;; amdgpu-corpus repo=ROCm/rocThrust kind=compiled arch=gfx1030 opt=O3
	.amdgcn_target "amdgcn-amd-amdhsa--gfx1030"
	.amdhsa_code_object_version 6
	.section	.text.unlikely.,"ax",@progbits
	.p2align	2                               ; -- Begin function __ockl_dm_alloc
	.type	__ockl_dm_alloc,@function
__ockl_dm_alloc:                        ; @__ockl_dm_alloc
; %bb.0:
	s_waitcnt vmcnt(0) expcnt(0) lgkmcnt(0)
	v_mov_b32_e32 v3, v1
	v_mov_b32_e32 v2, v0
	;; [unrolled: 1-line block ×4, first 2 shown]
	s_mov_b32 s42, exec_lo
	v_cmpx_ne_u64_e32 0, v[2:3]
	s_cbranch_execz .LBB0_661
; %bb.1:
	v_mbcnt_lo_u32_b32 v96, -1, 0
                                        ; implicit-def: $vgpr0_vgpr1
	s_mov_b32 s4, exec_lo
	v_cmpx_gt_u64_e32 0xc01, v[2:3]
	s_xor_b32 s43, exec_lo, s4
	s_cbranch_execz .LBB0_627
; %bb.2:
	v_max_u32_e32 v0, 16, v2
	s_load_dwordx2 s[20:21], s[8:9], 0x60
	v_mov_b32_e32 v4, 0
	v_mov_b32_e32 v8, 1
	;; [unrolled: 1-line block ×3, first 2 shown]
	v_ffbh_u32_e32 v1, v0
	v_mov_b32_e32 v97, 0x10100
	v_mov_b32_e32 v10, v4
	;; [unrolled: 1-line block ×4, first 2 shown]
	v_xor_b32_e32 v2, 31, v1
	v_lshlrev_b32_e32 v1, 1, v1
	v_mov_b32_e32 v7, 3
	v_mov_b32_e32 v15, 0x1800
	;; [unrolled: 1-line block ×3, first 2 shown]
	v_lshlrev_b32_e64 v2, v2, 1
	v_mov_b32_e32 v98, v8
	s_mov_b32 s16, 0
	v_cmp_gt_u32_e32 vcc_lo, v0, v2
	v_lshrrev_b32_e32 v5, 1, v2
	s_waitcnt lgkmcnt(0)
	s_add_u32 s44, s20, 0x800
	s_addc_u32 s45, s21, 0
	s_add_u32 s22, s20, 0x2800
	v_cndmask_b32_e64 v3, 0, 1, vcc_lo
	v_or_b32_e32 v2, v5, v2
	s_addc_u32 s23, s21, 0
	s_add_u32 s46, s20, 0x1000
	s_addc_u32 s47, s21, 0
	v_sub_nc_u32_e32 v1, v3, v1
	v_cmp_gt_u32_e32 vcc_lo, v0, v2
	s_add_u32 s56, s20, 0x2000
	s_addc_u32 s57, s21, 0
	s_add_u32 s58, s20, 0x1800
	s_addc_u32 s59, s21, 0
	v_add_co_ci_u32_e64 v9, null, 54, v1, vcc_lo
	s_add_u32 s24, s20, 0x1a800
	s_addc_u32 s25, s21, 0
	s_add_u32 s26, s20, 0x1a808
	v_lshlrev_b64 v[0:1], 7, v[9:10]
	v_lshlrev_b64 v[2:3], v9, 1
	s_addc_u32 s27, s21, 0
	s_getpc_b64 s[4:5]
	s_add_u32 s4, s4, kinfo@rel32@lo+4
	s_addc_u32 s5, s5, kinfo@rel32@hi+12
	v_mad_u64_u32 v[34:35], null, 0x1800, v9, s[22:23]
	v_add_co_u32 v28, vcc_lo, s44, v0
	v_add_co_ci_u32_e64 v29, null, s45, v1, vcc_lo
	v_add_co_u32 v30, vcc_lo, s20, v0
	v_add_co_ci_u32_e64 v31, null, s21, v1, vcc_lo
	v_add_co_u32 v36, vcc_lo, s46, v0
	v_and_b32_e32 v3, 0xbf, v2
	v_add_co_ci_u32_e64 v37, null, s47, v1, vcc_lo
	v_add_co_u32 v38, vcc_lo, s56, v0
	v_mad_u64_u32 v[32:33], null, v9, 28, s[4:5]
	v_add_co_ci_u32_e64 v39, null, s57, v1, vcc_lo
	v_add_co_u32 v48, vcc_lo, s58, v0
	v_add_co_ci_u32_e64 v49, null, s59, v1, vcc_lo
	v_mov_b32_e32 v0, 0
	v_cmp_ne_u64_e64 s4, 0, v[3:4]
	v_mov_b32_e32 v1, 0
	v_cmp_ne_u32_e64 s5, 2, v9
.LBB0_3:                                ; =>This Loop Header: Depth=1
                                        ;     Child Loop BB0_6 Depth 2
                                        ;       Child Loop BB0_11 Depth 3
                                        ;         Child Loop BB0_14 Depth 4
                                        ;         Child Loop BB0_37 Depth 4
                                        ;           Child Loop BB0_41 Depth 5
                                        ;           Child Loop BB0_62 Depth 5
                                        ;             Child Loop BB0_80 Depth 6
                                        ;             Child Loop BB0_88 Depth 6
	;; [unrolled: 1-line block ×29, first 2 shown]
                                        ;           Child Loop BB0_297 Depth 5
                                        ;           Child Loop BB0_300 Depth 5
	;; [unrolled: 1-line block ×7, first 2 shown]
                                        ;       Child Loop BB0_322 Depth 3
                                        ;         Child Loop BB0_326 Depth 4
                                        ;         Child Loop BB0_347 Depth 4
                                        ;           Child Loop BB0_365 Depth 5
                                        ;           Child Loop BB0_373 Depth 5
	;; [unrolled: 1-line block ×29, first 2 shown]
                                        ;         Child Loop BB0_582 Depth 4
                                        ;         Child Loop BB0_585 Depth 4
	;; [unrolled: 1-line block ×7, first 2 shown]
                                        ;       Child Loop BB0_607 Depth 3
	v_cmp_ne_u32_e32 vcc_lo, 0, v98
	v_mov_b32_e32 v98, v4
	s_and_saveexec_b32 s60, vcc_lo
	s_cbranch_execz .LBB0_625
; %bb.4:                                ;   in Loop: Header=BB0_3 Depth=1
	v_readfirstlane_b32 s6, v9
	v_mov_b32_e32 v98, 1
	s_mov_b32 s61, exec_lo
	v_cmpx_eq_u32_e64 s6, v9
	s_cbranch_execz .LBB0_624
; %bb.5:                                ;   in Loop: Header=BB0_3 Depth=1
	v_mov_b32_e32 v98, 1
	v_mov_b32_e32 v2, 1
.LBB0_6:                                ;   Parent Loop BB0_3 Depth=1
                                        ; =>  This Loop Header: Depth=2
                                        ;       Child Loop BB0_11 Depth 3
                                        ;         Child Loop BB0_14 Depth 4
                                        ;         Child Loop BB0_37 Depth 4
                                        ;           Child Loop BB0_41 Depth 5
                                        ;           Child Loop BB0_62 Depth 5
                                        ;             Child Loop BB0_80 Depth 6
                                        ;             Child Loop BB0_88 Depth 6
	;; [unrolled: 1-line block ×29, first 2 shown]
                                        ;           Child Loop BB0_297 Depth 5
                                        ;           Child Loop BB0_300 Depth 5
	;; [unrolled: 1-line block ×7, first 2 shown]
                                        ;       Child Loop BB0_322 Depth 3
                                        ;         Child Loop BB0_326 Depth 4
                                        ;         Child Loop BB0_347 Depth 4
                                        ;           Child Loop BB0_365 Depth 5
                                        ;           Child Loop BB0_373 Depth 5
	;; [unrolled: 1-line block ×29, first 2 shown]
                                        ;         Child Loop BB0_582 Depth 4
                                        ;         Child Loop BB0_585 Depth 4
	;; [unrolled: 1-line block ×7, first 2 shown]
                                        ;       Child Loop BB0_607 Depth 3
	v_cmp_ne_u32_e32 vcc_lo, 0, v2
	v_mov_b32_e32 v2, 0
	s_mov_b32 s6, 0
	s_and_saveexec_b32 s62, vcc_lo
	s_cbranch_execz .LBB0_623
; %bb.7:                                ;   in Loop: Header=BB0_6 Depth=2
	v_mbcnt_lo_u32_b32 v3, exec_lo, 0
	v_mov_b32_e32 v2, 0
	s_mov_b32 s6, exec_lo
	v_cmpx_eq_u32_e32 0, v3
	s_cbranch_execz .LBB0_9
; %bb.8:                                ;   in Loop: Header=BB0_6 Depth=2
	global_load_dword v2, v[28:29], off glc dlc
.LBB0_9:                                ;   in Loop: Header=BB0_6 Depth=2
	s_or_b32 exec_lo, exec_lo, s6
	s_waitcnt vmcnt(0)
	v_readfirstlane_b32 s63, v2
	s_mov_b32 s6, -1
                                        ; implicit-def: $vgpr52_vgpr53
	s_cmp_gt_u32 s63, 0x100ff
	s_cbranch_scc0 .LBB0_320
; %bb.10:                               ;   in Loop: Header=BB0_6 Depth=2
	v_mbcnt_lo_u32_b32 v99, exec_lo, 0
	v_mov_b32_e32 v3, v9
	s_mov_b32 s72, 0
	s_bcnt1_i32_b32 s73, exec_lo
                                        ; implicit-def: $vgpr52_vgpr53
	v_cmp_eq_u32_e64 s6, 0, v99
.LBB0_11:                               ;   Parent Loop BB0_3 Depth=1
                                        ;     Parent Loop BB0_6 Depth=2
                                        ; =>    This Loop Header: Depth=3
                                        ;         Child Loop BB0_14 Depth 4
                                        ;         Child Loop BB0_37 Depth 4
                                        ;           Child Loop BB0_41 Depth 5
                                        ;           Child Loop BB0_62 Depth 5
                                        ;             Child Loop BB0_80 Depth 6
                                        ;             Child Loop BB0_88 Depth 6
	;; [unrolled: 1-line block ×29, first 2 shown]
                                        ;           Child Loop BB0_297 Depth 5
                                        ;           Child Loop BB0_300 Depth 5
	;; [unrolled: 1-line block ×7, first 2 shown]
	v_lshlrev_b64 v[13:14], 7, v[3:4]
	v_mov_b32_e32 v5, 0
	s_and_saveexec_b32 s7, s6
	s_cbranch_execz .LBB0_13
; %bb.12:                               ;   in Loop: Header=BB0_11 Depth=3
	v_add_co_u32 v5, vcc_lo, s20, v13
	v_add_co_ci_u32_e64 v6, null, s21, v14, vcc_lo
	global_load_dword v5, v[5:6], off glc dlc
.LBB0_13:                               ;   in Loop: Header=BB0_11 Depth=3
	s_or_b32 exec_lo, exec_lo, s7
	s_getpc_b64 s[10:11]
	s_add_u32 s10, s10, kinfo@rel32@lo+8
	s_addc_u32 s11, s11, kinfo@rel32@hi+16
	s_waitcnt vmcnt(0)
	v_readfirstlane_b32 s7, v5
	v_mad_u64_u32 v[16:17], null, v3, 28, s[10:11]
	v_add_co_u32 v13, vcc_lo, s20, v13
	v_add_nc_u32_e32 v5, s7, v99
	v_add_co_ci_u32_e64 v14, null, s21, v14, vcc_lo
	s_mov_b32 s7, 0x10100
	global_load_dword v2, v[16:17], off
	v_mul_hi_u32 v6, 0xff00ff01, v5
	v_mul_u32_u24_sdwa v6, v6, v97 dst_sel:DWORD dst_unused:UNUSED_PAD src0_sel:WORD_1 src1_sel:DWORD
	v_sub_nc_u32_e32 v19, v5, v6
	v_mad_u64_u32 v[5:6], null, 0x1800, v3, s[22:23]
.LBB0_14:                               ;   Parent Loop BB0_3 Depth=1
                                        ;     Parent Loop BB0_6 Depth=2
                                        ;       Parent Loop BB0_11 Depth=3
                                        ; =>      This Inner Loop Header: Depth=4
	v_mov_b32_e32 v17, v6
	v_mov_b32_e32 v20, v19
	;; [unrolled: 1-line block ×3, first 2 shown]
	s_mov_b32 s10, exec_lo
	v_cmpx_lt_u32_e32 0xff, v19
	s_cbranch_execz .LBB0_16
; %bb.15:                               ;   in Loop: Header=BB0_14 Depth=4
	v_add_nc_u32_e32 v16, 0xffffff00, v19
	v_and_b32_e32 v20, 0xff, v19
	v_lshrrev_b32_e32 v16, 8, v16
	v_mad_u64_u32 v[16:17], null, v16, 24, v[5:6]
	global_load_dwordx2 v[16:17], v[16:17], off glc dlc
.LBB0_16:                               ;   in Loop: Header=BB0_14 Depth=4
	s_or_b32 exec_lo, exec_lo, s10
	s_waitcnt vmcnt(0)
	v_mad_u64_u32 v[16:17], null, v20, 24, v[16:17]
	global_load_dword v16, v[16:17], off offset:16 glc dlc
	s_waitcnt vmcnt(0)
	v_cmp_lt_u32_e32 vcc_lo, v16, v2
	s_cbranch_vccz .LBB0_18
; %bb.17:                               ;   in Loop: Header=BB0_14 Depth=4
	s_ff1_i32_b32 s10, vcc_lo
	s_lshl_b32 s10, s10, 2
	v_mov_b32_e32 v16, s10
	ds_bpermute_b32 v16, v16, v19
	s_branch .LBB0_19
.LBB0_18:                               ;   in Loop: Header=BB0_14 Depth=4
	v_mov_b32_e32 v16, -1
.LBB0_19:                               ;   in Loop: Header=BB0_14 Depth=4
	s_waitcnt lgkmcnt(0)
	v_readfirstlane_b32 s11, v16
	s_mov_b32 s12, -1
                                        ; implicit-def: $vgpr16_vgpr17
	s_cmp_eq_u32 s11, -1
	s_cselect_b32 s10, -1, 0
	s_and_b32 vcc_lo, exec_lo, s10
	s_cbranch_vccnz .LBB0_23
; %bb.20:                               ;   in Loop: Header=BB0_14 Depth=4
	v_mov_b32_e32 v17, v6
	v_mov_b32_e32 v16, v5
	s_cmpk_lt_u32 s11, 0x100
	s_cbranch_scc1 .LBB0_22
; %bb.21:                               ;   in Loop: Header=BB0_14 Depth=4
	s_add_i32 s12, s11, 0xffffff00
	s_and_b32 s11, s11, 0xff
	s_lshr_b32 s12, s12, 8
	v_mad_u64_u32 v[16:17], null, s12, 24, v[5:6]
	global_load_dwordx2 v[16:17], v[16:17], off glc dlc
.LBB0_22:                               ;   in Loop: Header=BB0_14 Depth=4
	s_waitcnt vmcnt(0)
	v_mad_u64_u32 v[16:17], null, s11, 24, v[16:17]
	s_mov_b32 s12, 0
.LBB0_23:                               ;   in Loop: Header=BB0_14 Depth=4
	s_and_b32 vcc_lo, exec_lo, s12
	s_cbranch_vccz .LBB0_27
; %bb.24:                               ;   in Loop: Header=BB0_14 Depth=4
	v_add_nc_u32_e32 v16, s73, v19
	v_mul_hi_u32 v17, 0xff00ff01, v16
	v_mul_u32_u24_sdwa v17, v17, v97 dst_sel:DWORD dst_unused:UNUSED_PAD src0_sel:WORD_1 src1_sel:DWORD
	v_sub_nc_u32_e32 v19, v16, v17
	s_and_saveexec_b32 s11, s6
	s_cbranch_execz .LBB0_26
; %bb.25:                               ;   in Loop: Header=BB0_14 Depth=4
	global_store_dword v[13:14], v19, off
.LBB0_26:                               ;   in Loop: Header=BB0_14 Depth=4
	s_or_b32 exec_lo, exec_lo, s11
	s_sub_i32 s7, s7, s73
	s_branch .LBB0_28
.LBB0_27:                               ;   in Loop: Header=BB0_14 Depth=4
	v_mov_b32_e32 v53, v17
	v_mov_b32_e32 v52, v16
.LBB0_28:                               ;   in Loop: Header=BB0_14 Depth=4
	s_mov_b32 s11, -1
	s_andn2_b32 vcc_lo, exec_lo, s10
	s_mov_b32 s10, -1
	s_cbranch_vccnz .LBB0_30
; %bb.29:                               ;   in Loop: Header=BB0_14 Depth=4
	s_cmp_lt_i32 s7, 1
	s_mov_b32 s11, 0
	s_cselect_b32 s10, -1, 0
.LBB0_30:                               ;   in Loop: Header=BB0_14 Depth=4
	s_andn2_b32 vcc_lo, exec_lo, s10
	s_cbranch_vccnz .LBB0_14
; %bb.31:                               ;   in Loop: Header=BB0_11 Depth=3
	s_andn2_b32 vcc_lo, exec_lo, s11
	s_mov_b32 s7, 0
	s_cbranch_vccz .LBB0_318
; %bb.32:                               ;   in Loop: Header=BB0_11 Depth=3
	v_cmp_eq_u32_e32 vcc_lo, v3, v9
	v_cmp_gt_u32_e64 s7, 14, v3
	v_mov_b32_e32 v5, 0
	v_mov_b32_e32 v6, 0
	s_and_b32 s10, vcc_lo, s7
	s_mov_b32 s7, 0
	s_and_saveexec_b32 s74, s10
	s_cbranch_execz .LBB0_317
; %bb.33:                               ;   in Loop: Header=BB0_11 Depth=3
	v_and_b32_e32 v3, -2, v3
	v_mov_b32_e32 v2, 0
	v_add_nc_u32_e32 v20, 2, v3
	s_and_saveexec_b32 s7, s6
	s_cbranch_execz .LBB0_35
; %bb.34:                               ;   in Loop: Header=BB0_11 Depth=3
	v_mov_b32_e32 v21, v4
	v_lshlrev_b64 v[5:6], 7, v[20:21]
	v_add_co_u32 v5, vcc_lo, s44, v5
	v_add_co_ci_u32_e64 v6, null, s45, v6, vcc_lo
	global_load_dword v2, v[5:6], off glc dlc
.LBB0_35:                               ;   in Loop: Header=BB0_11 Depth=3
	s_or_b32 exec_lo, exec_lo, s7
	s_waitcnt vmcnt(0)
	v_readfirstlane_b32 s75, v2
	s_mov_b32 s7, -1
	s_cmp_gt_u32 s75, 0x100ff
	s_cbranch_scc1 .LBB0_316
; %bb.36:                               ;   in Loop: Header=BB0_11 Depth=3
	v_lshlrev_b64 v[5:6], 7, v[3:4]
	v_mov_b32_e32 v21, v4
	v_lshlrev_b64 v[13:14], v20, 1
	v_mov_b32_e32 v14, v4
	v_mbcnt_lo_u32_b32 v100, exec_lo, 0
	s_getpc_b64 s[10:11]
	s_add_u32 s10, s10, kinfo@rel32@lo+4
	s_addc_u32 s11, s11, kinfo@rel32@hi+12
	v_add_co_u32 v54, vcc_lo, s20, v5
	v_add_co_ci_u32_e64 v55, null, s21, v6, vcc_lo
	v_lshlrev_b64 v[5:6], 7, v[20:21]
	v_and_b32_e32 v13, 20, v13
	v_mad_u64_u32 v[64:65], null, v3, 28, s[10:11]
	v_mad_u64_u32 v[66:67], null, 0x1800, v20, s[22:23]
	v_add_co_u32 v68, vcc_lo, s44, v5
	v_add_co_ci_u32_e64 v69, null, s45, v6, vcc_lo
	v_add_co_u32 v70, vcc_lo, s46, v5
	v_add_co_ci_u32_e64 v71, null, s47, v6, vcc_lo
	;; [unrolled: 2-line block ×3, first 2 shown]
	v_add_co_u32 v82, vcc_lo, s58, v5
	v_cmp_ne_u64_e64 s10, 0, v[13:14]
	v_cmp_eq_u32_e64 s7, 0, v100
	v_add_co_ci_u32_e64 v83, null, s59, v6, vcc_lo
	v_cmp_ne_u32_e64 s11, 0, v3
	v_mov_b32_e32 v22, v4
	v_mov_b32_e32 v23, v4
	s_bcnt1_i32_b32 s76, exec_lo
                                        ; implicit-def: $vgpr52_vgpr53
.LBB0_37:                               ;   Parent Loop BB0_3 Depth=1
                                        ;     Parent Loop BB0_6 Depth=2
                                        ;       Parent Loop BB0_11 Depth=3
                                        ; =>      This Loop Header: Depth=4
                                        ;           Child Loop BB0_41 Depth 5
                                        ;           Child Loop BB0_62 Depth 5
                                        ;             Child Loop BB0_80 Depth 6
                                        ;             Child Loop BB0_88 Depth 6
                                        ;             Child Loop BB0_94 Depth 6
                                        ;             Child Loop BB0_103 Depth 6
                                        ;             Child Loop BB0_108 Depth 6
                                        ;             Child Loop BB0_110 Depth 6
                                        ;             Child Loop BB0_128 Depth 6
                                        ;             Child Loop BB0_136 Depth 6
                                        ;             Child Loop BB0_142 Depth 6
                                        ;             Child Loop BB0_151 Depth 6
                                        ;             Child Loop BB0_159 Depth 6
                                        ;             Child Loop BB0_162 Depth 6
                                        ;             Child Loop BB0_164 Depth 6
                                        ;             Child Loop BB0_166 Depth 6
                                        ;             Child Loop BB0_168 Depth 6
                                        ;             Child Loop BB0_170 Depth 6
                                        ;             Child Loop BB0_172 Depth 6
                                        ;             Child Loop BB0_191 Depth 6
                                        ;             Child Loop BB0_199 Depth 6
                                        ;             Child Loop BB0_205 Depth 6
                                        ;             Child Loop BB0_214 Depth 6
                                        ;             Child Loop BB0_221 Depth 6
                                        ;             Child Loop BB0_224 Depth 6
                                        ;             Child Loop BB0_229 Depth 6
                                        ;             Child Loop BB0_236 Depth 6
                                        ;             Child Loop BB0_262 Depth 6
                                        ;             Child Loop BB0_270 Depth 6
                                        ;             Child Loop BB0_276 Depth 6
                                        ;             Child Loop BB0_285 Depth 6
                                        ;           Child Loop BB0_297 Depth 5
                                        ;           Child Loop BB0_300 Depth 5
	;; [unrolled: 1-line block ×7, first 2 shown]
	s_cmp_eq_u32 s75, 0
	s_mov_b32 s17, -1
	s_cbranch_scc1 .LBB0_59
; %bb.38:                               ;   in Loop: Header=BB0_37 Depth=4
	v_mov_b32_e32 v2, 0
	s_and_saveexec_b32 s12, s7
	s_cbranch_execz .LBB0_40
; %bb.39:                               ;   in Loop: Header=BB0_37 Depth=4
	global_load_dword v2, v[54:55], off offset:256 glc dlc
.LBB0_40:                               ;   in Loop: Header=BB0_37 Depth=4
	s_or_b32 exec_lo, exec_lo, s12
	global_load_dword v5, v[64:65], off offset:64
	v_cvt_f32_u32_e32 v3, s75
	s_sub_i32 s12, 0, s75
	v_rcp_iflag_f32_e32 v3, v3
	v_mul_f32_e32 v3, 0x4f7ffffe, v3
	v_cvt_u32_f32_e32 v3, v3
	v_mul_lo_u32 v6, s12, v3
	s_waitcnt vmcnt(1)
	v_readfirstlane_b32 s12, v2
	v_add_nc_u32_e32 v2, s12, v100
	s_mov_b32 s12, s75
	v_mul_hi_u32 v6, v3, v6
	v_add_nc_u32_e32 v6, v3, v6
	v_mul_hi_u32 v3, v2, v6
	v_mul_lo_u32 v3, v3, s75
	v_sub_nc_u32_e32 v2, v2, v3
	v_subrev_nc_u32_e32 v3, s75, v2
	v_cmp_le_u32_e32 vcc_lo, s75, v2
	v_cndmask_b32_e32 v2, v2, v3, vcc_lo
	v_subrev_nc_u32_e32 v3, s75, v2
	v_cmp_le_u32_e32 vcc_lo, s75, v2
	v_cndmask_b32_e32 v13, v2, v3, vcc_lo
.LBB0_41:                               ;   Parent Loop BB0_3 Depth=1
                                        ;     Parent Loop BB0_6 Depth=2
                                        ;       Parent Loop BB0_11 Depth=3
                                        ;         Parent Loop BB0_37 Depth=4
                                        ; =>        This Inner Loop Header: Depth=5
	v_mov_b32_e32 v2, v66
	v_mov_b32_e32 v14, v13
	;; [unrolled: 1-line block ×3, first 2 shown]
	s_mov_b32 s13, exec_lo
	v_cmpx_lt_u32_e32 0xff, v13
	s_cbranch_execz .LBB0_43
; %bb.42:                               ;   in Loop: Header=BB0_41 Depth=5
	v_add_nc_u32_e32 v2, 0xffffff00, v13
	v_and_b32_e32 v14, 0xff, v13
	v_lshrrev_b32_e32 v2, 8, v2
	v_mad_u64_u32 v[2:3], null, v2, 24, v[66:67]
	global_load_dwordx2 v[2:3], v[2:3], off glc dlc
.LBB0_43:                               ;   in Loop: Header=BB0_41 Depth=5
	s_or_b32 exec_lo, exec_lo, s13
	s_waitcnt vmcnt(0)
	v_mad_u64_u32 v[2:3], null, v14, 24, v[2:3]
	global_load_dword v2, v[2:3], off offset:16 glc dlc
	s_waitcnt vmcnt(0)
	v_cmp_lt_u32_e32 vcc_lo, v2, v5
	s_cbranch_vccz .LBB0_45
; %bb.44:                               ;   in Loop: Header=BB0_41 Depth=5
	s_ff1_i32_b32 s13, vcc_lo
	s_lshl_b32 s13, s13, 2
	v_mov_b32_e32 v2, s13
	ds_bpermute_b32 v2, v2, v13
	s_branch .LBB0_46
.LBB0_45:                               ;   in Loop: Header=BB0_41 Depth=5
	v_mov_b32_e32 v2, -1
.LBB0_46:                               ;   in Loop: Header=BB0_41 Depth=5
	s_waitcnt lgkmcnt(0)
	v_readfirstlane_b32 s14, v2
	s_mov_b32 s15, -1
                                        ; implicit-def: $vgpr2_vgpr3
	s_cmp_eq_u32 s14, -1
	s_cselect_b32 s13, -1, 0
	s_and_b32 vcc_lo, exec_lo, s13
	s_cbranch_vccnz .LBB0_50
; %bb.47:                               ;   in Loop: Header=BB0_41 Depth=5
	v_mov_b32_e32 v2, v66
	v_mov_b32_e32 v3, v67
	s_cmpk_lt_u32 s14, 0x100
	s_cbranch_scc1 .LBB0_49
; %bb.48:                               ;   in Loop: Header=BB0_41 Depth=5
	s_add_i32 s15, s14, 0xffffff00
	s_and_b32 s14, s14, 0xff
	s_lshr_b32 s15, s15, 8
	v_mad_u64_u32 v[2:3], null, s15, 24, v[66:67]
	global_load_dwordx2 v[2:3], v[2:3], off glc dlc
.LBB0_49:                               ;   in Loop: Header=BB0_41 Depth=5
	s_waitcnt vmcnt(0)
	v_mad_u64_u32 v[2:3], null, s14, 24, v[2:3]
	s_mov_b32 s15, 0
.LBB0_50:                               ;   in Loop: Header=BB0_41 Depth=5
	s_and_b32 vcc_lo, exec_lo, s15
	s_cbranch_vccz .LBB0_54
; %bb.51:                               ;   in Loop: Header=BB0_41 Depth=5
	v_add_nc_u32_e32 v2, s76, v13
	v_mul_hi_u32 v3, v2, v6
	v_mul_lo_u32 v3, v3, s75
	v_sub_nc_u32_e32 v2, v2, v3
	v_subrev_nc_u32_e32 v3, s75, v2
	v_cmp_le_u32_e32 vcc_lo, s75, v2
	v_cndmask_b32_e32 v2, v2, v3, vcc_lo
	v_subrev_nc_u32_e32 v3, s75, v2
	v_cmp_le_u32_e32 vcc_lo, s75, v2
	v_cndmask_b32_e32 v13, v2, v3, vcc_lo
	s_and_saveexec_b32 s14, s7
	s_cbranch_execz .LBB0_53
; %bb.52:                               ;   in Loop: Header=BB0_41 Depth=5
	global_store_dword v[54:55], v13, off offset:256
.LBB0_53:                               ;   in Loop: Header=BB0_41 Depth=5
	s_or_b32 exec_lo, exec_lo, s14
	s_sub_i32 s12, s12, s76
	s_branch .LBB0_55
.LBB0_54:                               ;   in Loop: Header=BB0_41 Depth=5
	v_mov_b32_e32 v53, v3
	v_mov_b32_e32 v52, v2
.LBB0_55:                               ;   in Loop: Header=BB0_41 Depth=5
	s_mov_b32 s14, -1
	s_andn2_b32 vcc_lo, exec_lo, s13
	s_mov_b32 s13, -1
	s_cbranch_vccnz .LBB0_57
; %bb.56:                               ;   in Loop: Header=BB0_41 Depth=5
	s_cmp_lt_i32 s12, 1
	s_mov_b32 s14, 0
	s_cselect_b32 s13, -1, 0
.LBB0_57:                               ;   in Loop: Header=BB0_41 Depth=5
	s_andn2_b32 vcc_lo, exec_lo, s13
	s_cbranch_vccnz .LBB0_41
; %bb.58:                               ;   in Loop: Header=BB0_37 Depth=4
	s_xor_b32 s12, s14, -1
	s_branch .LBB0_60
.LBB0_59:                               ;   in Loop: Header=BB0_37 Depth=4
	s_mov_b32 s12, -1
.LBB0_60:                               ;   in Loop: Header=BB0_37 Depth=4
	s_and_b32 vcc_lo, exec_lo, s12
	s_cbranch_vccz .LBB0_293
; %bb.61:                               ;   in Loop: Header=BB0_37 Depth=4
	v_mbcnt_lo_u32_b32 v2, exec_lo, 0
                                        ; implicit-def: $vgpr84_vgpr85
	v_cmp_eq_u32_e64 s12, 0, v2
.LBB0_62:                               ;   Parent Loop BB0_3 Depth=1
                                        ;     Parent Loop BB0_6 Depth=2
                                        ;       Parent Loop BB0_11 Depth=3
                                        ;         Parent Loop BB0_37 Depth=4
                                        ; =>        This Loop Header: Depth=5
                                        ;             Child Loop BB0_80 Depth 6
                                        ;             Child Loop BB0_88 Depth 6
	;; [unrolled: 1-line block ×29, first 2 shown]
	v_mov_b32_e32 v2, 0
	s_and_saveexec_b32 s13, s12
	s_cbranch_execz .LBB0_64
; %bb.63:                               ;   in Loop: Header=BB0_62 Depth=5
	global_load_dword v2, v[68:69], off glc dlc
.LBB0_64:                               ;   in Loop: Header=BB0_62 Depth=5
	s_or_b32 exec_lo, exec_lo, s13
	s_waitcnt vmcnt(0)
	v_readfirstlane_b32 s77, v2
	s_cmp_eq_u32 s77, 0x10100
	s_cbranch_scc1 .LBB0_174
; %bb.65:                               ;   in Loop: Header=BB0_62 Depth=5
	v_mov_b32_e32 v2, 0
	s_and_saveexec_b32 s13, s12
	s_cbranch_execz .LBB0_67
; %bb.66:                               ;   in Loop: Header=BB0_62 Depth=5
	v_mov_b32_e32 v51, v4
	global_atomic_cmpswap v2, v[70:71], v[50:51], off glc
	s_waitcnt vmcnt(0)
	v_cmp_ne_u32_e32 vcc_lo, 0, v2
	v_cndmask_b32_e32 v2, 0x100, v2, vcc_lo
.LBB0_67:                               ;   in Loop: Header=BB0_62 Depth=5
	s_or_b32 exec_lo, exec_lo, s13
	v_readfirstlane_b32 s78, v2
	s_cmp_lg_u32 s77, s78
	s_cbranch_scc1 .LBB0_175
; %bb.68:                               ;   in Loop: Header=BB0_62 Depth=5
	v_mbcnt_lo_u32_b32 v3, exec_lo, 0
	v_mov_b32_e32 v2, 0
	v_cmp_eq_u32_e64 s13, 0, v3
	s_and_saveexec_b32 s14, s13
	s_cbranch_execz .LBB0_70
; %bb.69:                               ;   in Loop: Header=BB0_62 Depth=5
	global_load_dword v2, v[70:71], off glc dlc
.LBB0_70:                               ;   in Loop: Header=BB0_62 Depth=5
	s_or_b32 exec_lo, exec_lo, s14
	s_waitcnt vmcnt(0)
	v_readfirstlane_b32 s88, v2
	s_mov_b32 s17, 2
	s_cmp_eq_u32 s88, 0x10100
	s_cbranch_scc1 .LBB0_155
; %bb.71:                               ;   in Loop: Header=BB0_62 Depth=5
	v_mov_b32_e32 v2, 1
	s_and_saveexec_b32 s17, s13
	s_cbranch_execz .LBB0_75
; %bb.72:                               ;   in Loop: Header=BB0_62 Depth=5
	global_load_dwordx2 v[26:27], v[80:81], off glc dlc
	s_memrealtime s[14:15]
	s_waitcnt vmcnt(0) lgkmcnt(0)
	v_sub_co_u32 v2, vcc_lo, s14, v26
	v_sub_co_ci_u32_e64 v3, null, s15, v27, vcc_lo
	v_cmp_lt_u64_e32 vcc_lo, 0x752f, v[2:3]
	v_mov_b32_e32 v2, 1
	s_and_saveexec_b32 s18, vcc_lo
	s_cbranch_execz .LBB0_74
; %bb.73:                               ;   in Loop: Header=BB0_62 Depth=5
	v_mov_b32_e32 v24, s14
	v_mov_b32_e32 v25, s15
	global_atomic_cmpswap_x2 v[2:3], v[80:81], v[24:27], off glc
	s_waitcnt vmcnt(0)
	v_cmp_eq_u64_e32 vcc_lo, v[2:3], v[26:27]
	v_cndmask_b32_e64 v2, 1, 2, vcc_lo
.LBB0_74:                               ;   in Loop: Header=BB0_62 Depth=5
	s_or_b32 exec_lo, exec_lo, s18
.LBB0_75:                               ;   in Loop: Header=BB0_62 Depth=5
	s_or_b32 exec_lo, exec_lo, s17
	v_readfirstlane_b32 s79, v2
	s_mov_b32 s17, 1
	s_cmp_eq_u32 s79, 1
	s_cbranch_scc1 .LBB0_155
; %bb.76:                               ;   in Loop: Header=BB0_62 Depth=5
	v_mov_b32_e32 v3, 0
	v_mov_b32_e32 v2, v3
	s_and_saveexec_b32 s89, s13
	s_cbranch_execz .LBB0_105
; %bb.77:                               ;   in Loop: Header=BB0_62 Depth=5
	s_load_dwordx2 s[28:29], s[8:9], 0x50
	v_readfirstlane_b32 s14, v96
	v_mov_b32_e32 v2, 0
	v_mov_b32_e32 v3, 0
	v_cmp_eq_u32_e64 s14, s14, v96
	s_and_saveexec_b32 s15, s14
	s_cbranch_execz .LBB0_83
; %bb.78:                               ;   in Loop: Header=BB0_62 Depth=5
	s_waitcnt lgkmcnt(0)
	global_load_dwordx2 v[26:27], v4, s[28:29] offset:24 glc dlc
	s_waitcnt vmcnt(0)
	buffer_gl1_inv
	buffer_gl0_inv
	s_clause 0x1
	global_load_dwordx2 v[2:3], v4, s[28:29] offset:40
	global_load_dwordx2 v[5:6], v4, s[28:29]
	s_mov_b32 s17, exec_lo
	s_waitcnt vmcnt(1)
	v_and_b32_e32 v3, v3, v27
	v_and_b32_e32 v2, v2, v26
	v_mul_lo_u32 v3, v3, 24
	v_mul_hi_u32 v13, v2, 24
	v_mul_lo_u32 v2, v2, 24
	v_add_nc_u32_e32 v3, v13, v3
	s_waitcnt vmcnt(0)
	v_add_co_u32 v2, vcc_lo, v5, v2
	v_add_co_ci_u32_e64 v3, null, v6, v3, vcc_lo
	global_load_dwordx2 v[24:25], v[2:3], off glc dlc
	s_waitcnt vmcnt(0)
	global_atomic_cmpswap_x2 v[2:3], v4, v[24:27], s[28:29] offset:24 glc
	s_waitcnt vmcnt(0)
	buffer_gl1_inv
	buffer_gl0_inv
	v_cmpx_ne_u64_e64 v[2:3], v[26:27]
	s_cbranch_execz .LBB0_82
; %bb.79:                               ;   in Loop: Header=BB0_62 Depth=5
	s_mov_b32 s18, 0
.LBB0_80:                               ;   Parent Loop BB0_3 Depth=1
                                        ;     Parent Loop BB0_6 Depth=2
                                        ;       Parent Loop BB0_11 Depth=3
                                        ;         Parent Loop BB0_37 Depth=4
                                        ;           Parent Loop BB0_62 Depth=5
                                        ; =>          This Inner Loop Header: Depth=6
	s_sleep 1
	s_clause 0x1
	global_load_dwordx2 v[5:6], v4, s[28:29] offset:40
	global_load_dwordx2 v[13:14], v4, s[28:29]
	v_mov_b32_e32 v27, v3
	v_mov_b32_e32 v26, v2
	s_waitcnt vmcnt(1)
	v_and_b32_e32 v2, v5, v26
	v_and_b32_e32 v5, v6, v27
	s_waitcnt vmcnt(0)
	v_mad_u64_u32 v[2:3], null, v2, 24, v[13:14]
	v_mad_u64_u32 v[5:6], null, v5, 24, v[3:4]
	v_mov_b32_e32 v3, v5
	global_load_dwordx2 v[24:25], v[2:3], off glc dlc
	s_waitcnt vmcnt(0)
	global_atomic_cmpswap_x2 v[2:3], v4, v[24:27], s[28:29] offset:24 glc
	s_waitcnt vmcnt(0)
	buffer_gl1_inv
	buffer_gl0_inv
	v_cmp_eq_u64_e32 vcc_lo, v[2:3], v[26:27]
	s_or_b32 s18, vcc_lo, s18
	s_andn2_b32 exec_lo, exec_lo, s18
	s_cbranch_execnz .LBB0_80
; %bb.81:                               ;   in Loop: Header=BB0_62 Depth=5
	s_or_b32 exec_lo, exec_lo, s18
.LBB0_82:                               ;   in Loop: Header=BB0_62 Depth=5
	s_or_b32 exec_lo, exec_lo, s17
.LBB0_83:                               ;   in Loop: Header=BB0_62 Depth=5
	s_or_b32 exec_lo, exec_lo, s15
	s_waitcnt lgkmcnt(0)
	s_clause 0x1
	global_load_dwordx2 v[5:6], v4, s[28:29] offset:40
	global_load_dwordx4 v[24:27], v4, s[28:29]
	v_readfirstlane_b32 s41, v3
	v_readfirstlane_b32 s40, v2
	s_mov_b32 s15, exec_lo
	s_waitcnt vmcnt(1)
	v_readfirstlane_b32 s18, v5
	v_readfirstlane_b32 s19, v6
	s_and_b64 s[18:19], s[18:19], s[40:41]
	s_mul_i32 s17, s19, 24
	s_mul_hi_u32 s90, s18, 24
	s_mul_i32 s91, s18, 24
	s_add_i32 s90, s90, s17
	s_waitcnt vmcnt(0)
	v_add_co_u32 v86, vcc_lo, v24, s91
	v_add_co_ci_u32_e64 v87, null, s90, v25, vcc_lo
	s_and_saveexec_b32 s17, s14
	s_cbranch_execz .LBB0_85
; %bb.84:                               ;   in Loop: Header=BB0_62 Depth=5
	v_mov_b32_e32 v3, s15
	v_mov_b32_e32 v6, v4
	;; [unrolled: 1-line block ×3, first 2 shown]
	global_store_dwordx4 v[86:87], v[5:8], off offset:8
.LBB0_85:                               ;   in Loop: Header=BB0_62 Depth=5
	s_or_b32 exec_lo, exec_lo, s17
	s_lshl_b64 s[18:19], s[18:19], 12
	s_mov_b32 s17, s16
	v_add_co_u32 v17, vcc_lo, v26, s18
	v_add_co_ci_u32_e64 v19, null, s19, v27, vcc_lo
	s_mov_b32 s19, s16
	s_mov_b32 s18, s16
	v_lshlrev_b32_e32 v51, 6, v96
	v_mov_b32_e32 v13, v4
	v_mov_b32_e32 v14, v4
	;; [unrolled: 1-line block ×3, first 2 shown]
	v_readfirstlane_b32 s90, v17
	v_readfirstlane_b32 s91, v19
	v_mov_b32_e32 v115, s19
	v_mov_b32_e32 v114, s18
	v_mov_b32_e32 v113, s17
	v_mov_b32_e32 v112, s16
	global_store_dwordx4 v51, v[13:16], s[90:91]
	global_store_dwordx4 v51, v[112:115], s[90:91] offset:16
	global_store_dwordx4 v51, v[112:115], s[90:91] offset:32
	;; [unrolled: 1-line block ×3, first 2 shown]
	s_and_saveexec_b32 s15, s14
	s_cbranch_execz .LBB0_93
; %bb.86:                               ;   in Loop: Header=BB0_62 Depth=5
	s_clause 0x1
	global_load_dwordx2 v[114:115], v4, s[28:29] offset:32 glc dlc
	global_load_dwordx2 v[2:3], v4, s[28:29] offset:40
	v_mov_b32_e32 v112, s40
	v_mov_b32_e32 v113, s41
	s_mov_b32 s17, exec_lo
	s_waitcnt vmcnt(0)
	v_and_b32_e32 v3, s41, v3
	v_and_b32_e32 v2, s40, v2
	v_mul_lo_u32 v3, v3, 24
	v_mul_hi_u32 v5, v2, 24
	v_mul_lo_u32 v2, v2, 24
	v_add_nc_u32_e32 v3, v5, v3
	v_add_co_u32 v2, vcc_lo, v24, v2
	v_add_co_ci_u32_e64 v3, null, v25, v3, vcc_lo
	global_store_dwordx2 v[2:3], v[114:115], off
	s_waitcnt_vscnt null, 0x0
	global_atomic_cmpswap_x2 v[26:27], v4, v[112:115], s[28:29] offset:32 glc
	s_waitcnt vmcnt(0)
	v_cmpx_ne_u64_e64 v[26:27], v[114:115]
	s_cbranch_execz .LBB0_89
; %bb.87:                               ;   in Loop: Header=BB0_62 Depth=5
	s_mov_b32 s18, 0
.LBB0_88:                               ;   Parent Loop BB0_3 Depth=1
                                        ;     Parent Loop BB0_6 Depth=2
                                        ;       Parent Loop BB0_11 Depth=3
                                        ;         Parent Loop BB0_37 Depth=4
                                        ;           Parent Loop BB0_62 Depth=5
                                        ; =>          This Inner Loop Header: Depth=6
	v_mov_b32_e32 v24, s40
	v_mov_b32_e32 v25, s41
	s_sleep 1
	global_store_dwordx2 v[2:3], v[26:27], off
	s_waitcnt_vscnt null, 0x0
	global_atomic_cmpswap_x2 v[5:6], v4, v[24:27], s[28:29] offset:32 glc
	s_waitcnt vmcnt(0)
	v_cmp_eq_u64_e32 vcc_lo, v[5:6], v[26:27]
	v_mov_b32_e32 v27, v6
	v_mov_b32_e32 v26, v5
	s_or_b32 s18, vcc_lo, s18
	s_andn2_b32 exec_lo, exec_lo, s18
	s_cbranch_execnz .LBB0_88
.LBB0_89:                               ;   in Loop: Header=BB0_62 Depth=5
	s_or_b32 exec_lo, exec_lo, s17
	global_load_dwordx2 v[5:6], v4, s[28:29] offset:16
	s_mov_b32 s18, exec_lo
	s_mov_b32 s17, exec_lo
	v_mbcnt_lo_u32_b32 v2, s18, 0
	v_cmpx_eq_u32_e32 0, v2
	s_cbranch_execz .LBB0_91
; %bb.90:                               ;   in Loop: Header=BB0_62 Depth=5
	s_bcnt1_i32_b32 s18, s18
	v_mov_b32_e32 v3, s18
	s_waitcnt vmcnt(0)
	global_atomic_add_x2 v[5:6], v[3:4], off offset:8
.LBB0_91:                               ;   in Loop: Header=BB0_62 Depth=5
	s_or_b32 exec_lo, exec_lo, s17
	s_waitcnt vmcnt(0)
	global_load_dwordx2 v[13:14], v[5:6], off offset:16
	s_waitcnt vmcnt(0)
	v_cmp_eq_u64_e32 vcc_lo, 0, v[13:14]
	s_cbranch_vccnz .LBB0_93
; %bb.92:                               ;   in Loop: Header=BB0_62 Depth=5
	global_load_dword v3, v[5:6], off offset:24
	s_waitcnt vmcnt(0)
	v_readfirstlane_b32 s17, v3
	s_waitcnt_vscnt null, 0x0
	global_store_dwordx2 v[13:14], v[3:4], off
	s_and_b32 m0, s17, 0x7fffff
	s_sendmsg sendmsg(MSG_INTERRUPT)
.LBB0_93:                               ;   in Loop: Header=BB0_62 Depth=5
	s_or_b32 exec_lo, exec_lo, s15
	v_add_co_u32 v2, vcc_lo, v17, v51
	v_add_co_ci_u32_e64 v3, null, 0, v19, vcc_lo
.LBB0_94:                               ;   Parent Loop BB0_3 Depth=1
                                        ;     Parent Loop BB0_6 Depth=2
                                        ;       Parent Loop BB0_11 Depth=3
                                        ;         Parent Loop BB0_37 Depth=4
                                        ;           Parent Loop BB0_62 Depth=5
                                        ; =>          This Inner Loop Header: Depth=6
	v_mov_b32_e32 v5, 1
	s_and_saveexec_b32 s15, s14
	s_cbranch_execz .LBB0_96
; %bb.95:                               ;   in Loop: Header=BB0_94 Depth=6
	global_load_dword v5, v[86:87], off offset:20 glc dlc
	s_waitcnt vmcnt(0)
	buffer_gl1_inv
	buffer_gl0_inv
	v_and_b32_e32 v5, 1, v5
.LBB0_96:                               ;   in Loop: Header=BB0_94 Depth=6
	s_or_b32 exec_lo, exec_lo, s15
	v_readfirstlane_b32 s15, v5
	s_cmp_eq_u32 s15, 0
	s_cbranch_scc1 .LBB0_98
; %bb.97:                               ;   in Loop: Header=BB0_94 Depth=6
	s_mov_b32 s15, 0
	s_sleep 1
	s_branch .LBB0_99
.LBB0_98:                               ;   in Loop: Header=BB0_94 Depth=6
	s_mov_b32 s15, -1
.LBB0_99:                               ;   in Loop: Header=BB0_94 Depth=6
	s_andn2_b32 vcc_lo, exec_lo, s15
	s_cbranch_vccnz .LBB0_94
; %bb.100:                              ;   in Loop: Header=BB0_62 Depth=5
	global_load_dwordx2 v[2:3], v[2:3], off
	s_and_saveexec_b32 s17, s14
	s_cbranch_execz .LBB0_104
; %bb.101:                              ;   in Loop: Header=BB0_62 Depth=5
	s_clause 0x2
	global_load_dwordx2 v[5:6], v4, s[28:29] offset:40
	global_load_dwordx2 v[114:115], v4, s[28:29] offset:24 glc dlc
	global_load_dwordx2 v[13:14], v4, s[28:29]
	s_waitcnt vmcnt(2)
	v_readfirstlane_b32 s18, v5
	v_readfirstlane_b32 s19, v6
	s_add_u32 s90, s18, 1
	s_addc_u32 s91, s19, 0
	s_add_u32 s14, s90, s40
	s_addc_u32 s15, s91, s41
	s_cmp_eq_u64 s[14:15], 0
	s_cselect_b32 s15, s91, s15
	s_cselect_b32 s14, s90, s14
	v_mov_b32_e32 v113, s15
	s_and_b64 s[18:19], s[14:15], s[18:19]
	v_mov_b32_e32 v112, s14
	s_mul_i32 s19, s19, 24
	s_mul_hi_u32 s40, s18, 24
	s_mul_i32 s18, s18, 24
	s_add_i32 s40, s40, s19
	s_waitcnt vmcnt(0)
	v_add_co_u32 v5, vcc_lo, v13, s18
	v_add_co_ci_u32_e64 v6, null, s40, v14, vcc_lo
	global_store_dwordx2 v[5:6], v[114:115], off
	s_waitcnt_vscnt null, 0x0
	global_atomic_cmpswap_x2 v[26:27], v4, v[112:115], s[28:29] offset:24 glc
	s_waitcnt vmcnt(0)
	v_cmp_ne_u64_e32 vcc_lo, v[26:27], v[114:115]
	s_and_b32 exec_lo, exec_lo, vcc_lo
	s_cbranch_execz .LBB0_104
; %bb.102:                              ;   in Loop: Header=BB0_62 Depth=5
	s_mov_b32 s18, 0
.LBB0_103:                              ;   Parent Loop BB0_3 Depth=1
                                        ;     Parent Loop BB0_6 Depth=2
                                        ;       Parent Loop BB0_11 Depth=3
                                        ;         Parent Loop BB0_37 Depth=4
                                        ;           Parent Loop BB0_62 Depth=5
                                        ; =>          This Inner Loop Header: Depth=6
	v_mov_b32_e32 v24, s14
	v_mov_b32_e32 v25, s15
	s_sleep 1
	global_store_dwordx2 v[5:6], v[26:27], off
	s_waitcnt_vscnt null, 0x0
	global_atomic_cmpswap_x2 v[13:14], v4, v[24:27], s[28:29] offset:24 glc
	s_waitcnt vmcnt(0)
	v_cmp_eq_u64_e32 vcc_lo, v[13:14], v[26:27]
	v_mov_b32_e32 v27, v14
	v_mov_b32_e32 v26, v13
	s_or_b32 s18, vcc_lo, s18
	s_andn2_b32 exec_lo, exec_lo, s18
	s_cbranch_execnz .LBB0_103
.LBB0_104:                              ;   in Loop: Header=BB0_62 Depth=5
	s_or_b32 exec_lo, exec_lo, s17
.LBB0_105:                              ;   in Loop: Header=BB0_62 Depth=5
	s_or_b32 exec_lo, exec_lo, s89
	s_waitcnt vmcnt(0)
	v_readfirstlane_b32 s18, v2
	v_readfirstlane_b32 s19, v3
	s_cmp_eq_u64 s[18:19], 0
	s_cbranch_scc1 .LBB0_154
; %bb.106:                              ;   in Loop: Header=BB0_62 Depth=5
	s_mov_b32 s14, exec_lo
	s_mov_b32 s15, exec_lo
	v_mbcnt_lo_u32_b32 v6, s14, 0
	v_cmpx_gt_u32_e32 0x300, v6
	s_cbranch_execz .LBB0_109
; %bb.107:                              ;   in Loop: Header=BB0_62 Depth=5
	v_lshlrev_b32_e32 v2, 3, v6
	s_bcnt1_i32_b32 s17, s14
	s_mov_b32 s29, 0
	s_lshl_b32 s28, s17, 3
	v_add_co_u32 v2, s14, s18, v2
	v_add_co_ci_u32_e64 v3, null, s19, 0, s14
.LBB0_108:                              ;   Parent Loop BB0_3 Depth=1
                                        ;     Parent Loop BB0_6 Depth=2
                                        ;       Parent Loop BB0_11 Depth=3
                                        ;         Parent Loop BB0_37 Depth=4
                                        ;           Parent Loop BB0_62 Depth=5
                                        ; =>          This Inner Loop Header: Depth=6
	v_add_nc_u32_e32 v6, s17, v6
	v_mov_b32_e32 v5, v4
	v_cmp_lt_u32_e32 vcc_lo, 0x2ff, v6
	global_store_dwordx2 v[2:3], v[4:5], off
	v_add_co_u32 v2, s14, v2, s28
	v_add_co_ci_u32_e64 v3, null, 0, v3, s14
	s_or_b32 s29, vcc_lo, s29
	s_andn2_b32 exec_lo, exec_lo, s29
	s_cbranch_execnz .LBB0_108
.LBB0_109:                              ;   in Loop: Header=BB0_62 Depth=5
	s_or_b32 exec_lo, exec_lo, s15
.LBB0_110:                              ;   Parent Loop BB0_3 Depth=1
                                        ;     Parent Loop BB0_6 Depth=2
                                        ;       Parent Loop BB0_11 Depth=3
                                        ;         Parent Loop BB0_37 Depth=4
                                        ;           Parent Loop BB0_62 Depth=5
                                        ; =>          This Inner Loop Header: Depth=6
	v_mov_b32_e32 v2, s88
	s_and_saveexec_b32 s14, s13
	s_cbranch_execz .LBB0_112
; %bb.111:                              ;   in Loop: Header=BB0_110 Depth=6
	global_load_dword v2, v[70:71], off glc dlc
.LBB0_112:                              ;   in Loop: Header=BB0_110 Depth=6
	s_or_b32 exec_lo, exec_lo, s14
	s_waitcnt vmcnt(0)
	v_readfirstlane_b32 s88, v2
	s_mov_b32 s15, -1
	s_cmp_lg_u32 s88, 0x10100
	s_cbranch_scc0 .LBB0_119
; %bb.113:                              ;   in Loop: Header=BB0_110 Depth=6
	v_mov_b32_e32 v2, s79
	s_and_saveexec_b32 s14, s13
	s_cbranch_execz .LBB0_117
; %bb.114:                              ;   in Loop: Header=BB0_110 Depth=6
	s_add_i32 s15, s88, 0xffffff00
	v_mov_b32_e32 v2, s18
	s_lshr_b32 s15, s15, 8
	v_mov_b32_e32 v3, s19
	v_mad_u64_u32 v[13:14], null, s15, 24, v[66:67]
	v_mov_b32_e32 v5, v4
	global_atomic_cmpswap_x2 v[2:3], v[13:14], v[2:5], off glc
	s_waitcnt vmcnt(0)
	v_cmp_eq_u64_e32 vcc_lo, 0, v[2:3]
	v_mov_b32_e32 v2, s79
	s_and_saveexec_b32 s15, vcc_lo
	s_cbranch_execz .LBB0_116
; %bb.115:                              ;   in Loop: Header=BB0_110 Depth=6
	s_waitcnt_vscnt null, 0x0
	global_atomic_add v[70:71], v50, off
	v_mov_b32_e32 v2, 0
.LBB0_116:                              ;   in Loop: Header=BB0_110 Depth=6
	s_or_b32 exec_lo, exec_lo, s15
.LBB0_117:                              ;   in Loop: Header=BB0_110 Depth=6
	s_or_b32 exec_lo, exec_lo, s14
	v_readfirstlane_b32 s15, v2
	s_cmp_eq_u32 s15, 0
	s_cbranch_scc1 .LBB0_120
; %bb.118:                              ;   in Loop: Header=BB0_110 Depth=6
	s_mov_b32 s14, 0
	s_mov_b32 s79, s15
	s_sleep 2
	s_branch .LBB0_121
.LBB0_119:                              ;   in Loop: Header=BB0_110 Depth=6
	s_mov_b32 s14, -1
	s_branch .LBB0_122
.LBB0_120:                              ;   in Loop: Header=BB0_110 Depth=6
	s_mov_b32 s14, -1
.LBB0_121:                              ;   in Loop: Header=BB0_110 Depth=6
	s_mov_b32 s15, 0
.LBB0_122:                              ;   in Loop: Header=BB0_110 Depth=6
	s_and_b32 vcc_lo, exec_lo, s14
	s_cbranch_vccz .LBB0_110
; %bb.123:                              ;   in Loop: Header=BB0_62 Depth=5
	s_and_b32 vcc_lo, exec_lo, s15
	s_mov_b32 s14, 0
	s_cbranch_vccz .LBB0_153
; %bb.124:                              ;   in Loop: Header=BB0_62 Depth=5
	s_and_saveexec_b32 s88, s13
	s_cbranch_execz .LBB0_152
; %bb.125:                              ;   in Loop: Header=BB0_62 Depth=5
	s_load_dwordx2 s[14:15], s[8:9], 0x50
	v_readfirstlane_b32 s13, v96
	v_mov_b32_e32 v2, 0
	v_mov_b32_e32 v3, 0
	v_cmp_eq_u32_e64 s13, s13, v96
	s_and_saveexec_b32 s17, s13
	s_cbranch_execz .LBB0_131
; %bb.126:                              ;   in Loop: Header=BB0_62 Depth=5
	s_waitcnt lgkmcnt(0)
	global_load_dwordx2 v[26:27], v4, s[14:15] offset:24 glc dlc
	s_waitcnt vmcnt(0)
	buffer_gl1_inv
	buffer_gl0_inv
	s_clause 0x1
	global_load_dwordx2 v[2:3], v4, s[14:15] offset:40
	global_load_dwordx2 v[5:6], v4, s[14:15]
	s_mov_b32 s28, exec_lo
	s_waitcnt vmcnt(1)
	v_and_b32_e32 v3, v3, v27
	v_and_b32_e32 v2, v2, v26
	v_mul_lo_u32 v3, v3, 24
	v_mul_hi_u32 v13, v2, 24
	v_mul_lo_u32 v2, v2, 24
	v_add_nc_u32_e32 v3, v13, v3
	s_waitcnt vmcnt(0)
	v_add_co_u32 v2, vcc_lo, v5, v2
	v_add_co_ci_u32_e64 v3, null, v6, v3, vcc_lo
	global_load_dwordx2 v[24:25], v[2:3], off glc dlc
	s_waitcnt vmcnt(0)
	global_atomic_cmpswap_x2 v[2:3], v4, v[24:27], s[14:15] offset:24 glc
	s_waitcnt vmcnt(0)
	buffer_gl1_inv
	buffer_gl0_inv
	v_cmpx_ne_u64_e64 v[2:3], v[26:27]
	s_cbranch_execz .LBB0_130
; %bb.127:                              ;   in Loop: Header=BB0_62 Depth=5
	s_mov_b32 s29, 0
.LBB0_128:                              ;   Parent Loop BB0_3 Depth=1
                                        ;     Parent Loop BB0_6 Depth=2
                                        ;       Parent Loop BB0_11 Depth=3
                                        ;         Parent Loop BB0_37 Depth=4
                                        ;           Parent Loop BB0_62 Depth=5
                                        ; =>          This Inner Loop Header: Depth=6
	s_sleep 1
	s_clause 0x1
	global_load_dwordx2 v[5:6], v4, s[14:15] offset:40
	global_load_dwordx2 v[13:14], v4, s[14:15]
	v_mov_b32_e32 v27, v3
	v_mov_b32_e32 v26, v2
	s_waitcnt vmcnt(1)
	v_and_b32_e32 v2, v5, v26
	v_and_b32_e32 v5, v6, v27
	s_waitcnt vmcnt(0)
	v_mad_u64_u32 v[2:3], null, v2, 24, v[13:14]
	v_mad_u64_u32 v[5:6], null, v5, 24, v[3:4]
	v_mov_b32_e32 v3, v5
	global_load_dwordx2 v[24:25], v[2:3], off glc dlc
	s_waitcnt vmcnt(0)
	global_atomic_cmpswap_x2 v[2:3], v4, v[24:27], s[14:15] offset:24 glc
	s_waitcnt vmcnt(0)
	buffer_gl1_inv
	buffer_gl0_inv
	v_cmp_eq_u64_e32 vcc_lo, v[2:3], v[26:27]
	s_or_b32 s29, vcc_lo, s29
	s_andn2_b32 exec_lo, exec_lo, s29
	s_cbranch_execnz .LBB0_128
; %bb.129:                              ;   in Loop: Header=BB0_62 Depth=5
	s_or_b32 exec_lo, exec_lo, s29
.LBB0_130:                              ;   in Loop: Header=BB0_62 Depth=5
	s_or_b32 exec_lo, exec_lo, s28
.LBB0_131:                              ;   in Loop: Header=BB0_62 Depth=5
	s_or_b32 exec_lo, exec_lo, s17
	s_waitcnt lgkmcnt(0)
	s_clause 0x1
	global_load_dwordx2 v[5:6], v4, s[14:15] offset:40
	global_load_dwordx4 v[24:27], v4, s[14:15]
	v_readfirstlane_b32 s29, v3
	v_readfirstlane_b32 s28, v2
	s_mov_b32 s17, exec_lo
	s_waitcnt vmcnt(1)
	v_readfirstlane_b32 s40, v5
	v_readfirstlane_b32 s41, v6
	s_and_b64 s[40:41], s[40:41], s[28:29]
	s_mul_i32 s89, s41, 24
	s_mul_hi_u32 s90, s40, 24
	s_mul_i32 s91, s40, 24
	s_add_i32 s90, s90, s89
	s_waitcnt vmcnt(0)
	v_add_co_u32 v13, vcc_lo, v24, s91
	v_add_co_ci_u32_e64 v14, null, s90, v25, vcc_lo
	s_and_saveexec_b32 s89, s13
	s_cbranch_execz .LBB0_133
; %bb.132:                              ;   in Loop: Header=BB0_62 Depth=5
	v_mov_b32_e32 v3, s17
	v_mov_b32_e32 v6, v4
	;; [unrolled: 1-line block ×3, first 2 shown]
	global_store_dwordx4 v[13:14], v[5:8], off offset:8
.LBB0_133:                              ;   in Loop: Header=BB0_62 Depth=5
	s_or_b32 exec_lo, exec_lo, s89
	s_lshl_b64 s[40:41], s[40:41], 12
	v_mov_b32_e32 v2, s18
	v_add_co_u32 v5, vcc_lo, v26, s40
	v_add_co_ci_u32_e64 v16, null, s41, v27, vcc_lo
	v_mov_b32_e32 v3, s19
	s_mov_b32 s19, s16
	s_mov_b32 s17, s16
	;; [unrolled: 1-line block ×3, first 2 shown]
	v_lshlrev_b32_e32 v6, 6, v96
	v_readfirstlane_b32 s40, v5
	v_readfirstlane_b32 s41, v16
	v_mov_b32_e32 v115, s19
	v_mov_b32_e32 v114, s18
	;; [unrolled: 1-line block ×5, first 2 shown]
	global_store_dwordx2 v6, v[2:3], s[40:41]
	global_store_dwordx4 v6, v[112:115], s[40:41] offset:8
	global_store_dwordx4 v6, v[112:115], s[40:41] offset:24
	;; [unrolled: 1-line block ×3, first 2 shown]
	global_store_dwordx2 v6, v[4:5], s[40:41] offset:56
	s_and_saveexec_b32 s17, s13
	s_cbranch_execz .LBB0_141
; %bb.134:                              ;   in Loop: Header=BB0_62 Depth=5
	s_clause 0x1
	global_load_dwordx2 v[114:115], v4, s[14:15] offset:32 glc dlc
	global_load_dwordx2 v[2:3], v4, s[14:15] offset:40
	v_mov_b32_e32 v112, s28
	v_mov_b32_e32 v113, s29
	s_mov_b32 s18, exec_lo
	s_waitcnt vmcnt(0)
	v_and_b32_e32 v3, s29, v3
	v_and_b32_e32 v2, s28, v2
	v_mul_lo_u32 v3, v3, 24
	v_mul_hi_u32 v5, v2, 24
	v_mul_lo_u32 v2, v2, 24
	v_add_nc_u32_e32 v3, v5, v3
	v_add_co_u32 v2, vcc_lo, v24, v2
	v_add_co_ci_u32_e64 v3, null, v25, v3, vcc_lo
	global_store_dwordx2 v[2:3], v[114:115], off
	s_waitcnt_vscnt null, 0x0
	global_atomic_cmpswap_x2 v[26:27], v4, v[112:115], s[14:15] offset:32 glc
	s_waitcnt vmcnt(0)
	v_cmpx_ne_u64_e64 v[26:27], v[114:115]
	s_cbranch_execz .LBB0_137
; %bb.135:                              ;   in Loop: Header=BB0_62 Depth=5
	s_mov_b32 s19, 0
.LBB0_136:                              ;   Parent Loop BB0_3 Depth=1
                                        ;     Parent Loop BB0_6 Depth=2
                                        ;       Parent Loop BB0_11 Depth=3
                                        ;         Parent Loop BB0_37 Depth=4
                                        ;           Parent Loop BB0_62 Depth=5
                                        ; =>          This Inner Loop Header: Depth=6
	v_mov_b32_e32 v24, s28
	v_mov_b32_e32 v25, s29
	s_sleep 1
	global_store_dwordx2 v[2:3], v[26:27], off
	s_waitcnt_vscnt null, 0x0
	global_atomic_cmpswap_x2 v[5:6], v4, v[24:27], s[14:15] offset:32 glc
	s_waitcnt vmcnt(0)
	v_cmp_eq_u64_e32 vcc_lo, v[5:6], v[26:27]
	v_mov_b32_e32 v27, v6
	v_mov_b32_e32 v26, v5
	s_or_b32 s19, vcc_lo, s19
	s_andn2_b32 exec_lo, exec_lo, s19
	s_cbranch_execnz .LBB0_136
.LBB0_137:                              ;   in Loop: Header=BB0_62 Depth=5
	s_or_b32 exec_lo, exec_lo, s18
	global_load_dwordx2 v[5:6], v4, s[14:15] offset:16
	s_mov_b32 s19, exec_lo
	s_mov_b32 s18, exec_lo
	v_mbcnt_lo_u32_b32 v2, s19, 0
	v_cmpx_eq_u32_e32 0, v2
	s_cbranch_execz .LBB0_139
; %bb.138:                              ;   in Loop: Header=BB0_62 Depth=5
	s_bcnt1_i32_b32 s19, s19
	v_mov_b32_e32 v3, s19
	s_waitcnt vmcnt(0)
	global_atomic_add_x2 v[5:6], v[3:4], off offset:8
.LBB0_139:                              ;   in Loop: Header=BB0_62 Depth=5
	s_or_b32 exec_lo, exec_lo, s18
	s_waitcnt vmcnt(0)
	global_load_dwordx2 v[16:17], v[5:6], off offset:16
	s_waitcnt vmcnt(0)
	v_cmp_eq_u64_e32 vcc_lo, 0, v[16:17]
	s_cbranch_vccnz .LBB0_141
; %bb.140:                              ;   in Loop: Header=BB0_62 Depth=5
	global_load_dword v3, v[5:6], off offset:24
	s_waitcnt vmcnt(0)
	v_readfirstlane_b32 s18, v3
	s_waitcnt_vscnt null, 0x0
	global_store_dwordx2 v[16:17], v[3:4], off
	s_and_b32 m0, s18, 0x7fffff
	s_sendmsg sendmsg(MSG_INTERRUPT)
.LBB0_141:                              ;   in Loop: Header=BB0_62 Depth=5
	s_or_b32 exec_lo, exec_lo, s17
.LBB0_142:                              ;   Parent Loop BB0_3 Depth=1
                                        ;     Parent Loop BB0_6 Depth=2
                                        ;       Parent Loop BB0_11 Depth=3
                                        ;         Parent Loop BB0_37 Depth=4
                                        ;           Parent Loop BB0_62 Depth=5
                                        ; =>          This Inner Loop Header: Depth=6
	v_mov_b32_e32 v2, 1
	s_and_saveexec_b32 s17, s13
	s_cbranch_execz .LBB0_144
; %bb.143:                              ;   in Loop: Header=BB0_142 Depth=6
	global_load_dword v2, v[13:14], off offset:20 glc dlc
	s_waitcnt vmcnt(0)
	buffer_gl1_inv
	buffer_gl0_inv
	v_and_b32_e32 v2, 1, v2
.LBB0_144:                              ;   in Loop: Header=BB0_142 Depth=6
	s_or_b32 exec_lo, exec_lo, s17
	v_readfirstlane_b32 s17, v2
	s_cmp_eq_u32 s17, 0
	s_cbranch_scc1 .LBB0_146
; %bb.145:                              ;   in Loop: Header=BB0_142 Depth=6
	s_mov_b32 s17, 0
	s_sleep 1
	s_branch .LBB0_147
.LBB0_146:                              ;   in Loop: Header=BB0_142 Depth=6
	s_mov_b32 s17, -1
.LBB0_147:                              ;   in Loop: Header=BB0_142 Depth=6
	s_andn2_b32 vcc_lo, exec_lo, s17
	s_cbranch_vccnz .LBB0_142
; %bb.148:                              ;   in Loop: Header=BB0_62 Depth=5
	s_and_b32 exec_lo, exec_lo, s13
	s_cbranch_execz .LBB0_152
; %bb.149:                              ;   in Loop: Header=BB0_62 Depth=5
	s_clause 0x2
	global_load_dwordx2 v[2:3], v4, s[14:15] offset:40
	global_load_dwordx2 v[114:115], v4, s[14:15] offset:24 glc dlc
	global_load_dwordx2 v[5:6], v4, s[14:15]
	s_waitcnt vmcnt(2)
	v_readfirstlane_b32 s40, v2
	v_readfirstlane_b32 s41, v3
	s_add_u32 s13, s40, 1
	s_addc_u32 s17, s41, 0
	s_add_u32 s18, s13, s28
	s_addc_u32 s19, s17, s29
	s_cmp_eq_u64 s[18:19], 0
	s_cselect_b32 s19, s17, s19
	s_cselect_b32 s18, s13, s18
	v_mov_b32_e32 v113, s19
	s_and_b64 s[28:29], s[18:19], s[40:41]
	v_mov_b32_e32 v112, s18
	s_mul_i32 s13, s29, 24
	s_mul_hi_u32 s17, s28, 24
	s_mul_i32 s28, s28, 24
	s_add_i32 s17, s17, s13
	s_waitcnt vmcnt(0)
	v_add_co_u32 v2, vcc_lo, v5, s28
	v_add_co_ci_u32_e64 v3, null, s17, v6, vcc_lo
	global_store_dwordx2 v[2:3], v[114:115], off
	s_waitcnt_vscnt null, 0x0
	global_atomic_cmpswap_x2 v[26:27], v4, v[112:115], s[14:15] offset:24 glc
	s_waitcnt vmcnt(0)
	v_cmp_ne_u64_e32 vcc_lo, v[26:27], v[114:115]
	s_and_b32 exec_lo, exec_lo, vcc_lo
	s_cbranch_execz .LBB0_152
; %bb.150:                              ;   in Loop: Header=BB0_62 Depth=5
	s_mov_b32 s13, 0
.LBB0_151:                              ;   Parent Loop BB0_3 Depth=1
                                        ;     Parent Loop BB0_6 Depth=2
                                        ;       Parent Loop BB0_11 Depth=3
                                        ;         Parent Loop BB0_37 Depth=4
                                        ;           Parent Loop BB0_62 Depth=5
                                        ; =>          This Inner Loop Header: Depth=6
	v_mov_b32_e32 v24, s18
	v_mov_b32_e32 v25, s19
	s_sleep 1
	global_store_dwordx2 v[2:3], v[26:27], off
	s_waitcnt_vscnt null, 0x0
	global_atomic_cmpswap_x2 v[5:6], v4, v[24:27], s[14:15] offset:24 glc
	s_waitcnt vmcnt(0)
	v_cmp_eq_u64_e32 vcc_lo, v[5:6], v[26:27]
	v_mov_b32_e32 v27, v6
	v_mov_b32_e32 v26, v5
	s_or_b32 s13, vcc_lo, s13
	s_andn2_b32 exec_lo, exec_lo, s13
	s_cbranch_execnz .LBB0_151
.LBB0_152:                              ;   in Loop: Header=BB0_62 Depth=5
	s_or_b32 exec_lo, exec_lo, s88
	s_mov_b32 s14, s79
.LBB0_153:                              ;   in Loop: Header=BB0_62 Depth=5
	s_mov_b32 s79, s14
.LBB0_154:                              ;   in Loop: Header=BB0_62 Depth=5
	s_mov_b32 s17, s79
.LBB0_155:                              ;   in Loop: Header=BB0_62 Depth=5
	s_cmp_eq_u32 s17, 0
	s_cselect_b32 s13, -1, 0
	s_and_b32 vcc_lo, exec_lo, s13
	s_cbranch_vccnz .LBB0_176
; %bb.156:                              ;   in Loop: Header=BB0_62 Depth=5
	v_mbcnt_lo_u32_b32 v2, exec_lo, 0
	s_mov_b32 s28, exec_lo
	v_cmpx_eq_u32_e32 0, v2
	s_cbranch_execz .LBB0_173
; %bb.157:                              ;   in Loop: Header=BB0_62 Depth=5
	global_load_dwordx2 v[2:3], v[80:81], off glc dlc
	s_memrealtime s[14:15]
	s_waitcnt vmcnt(0) lgkmcnt(0)
	v_sub_co_u32 v2, vcc_lo, s14, v2
	v_sub_co_ci_u32_e64 v3, null, s15, v3, vcc_lo
	v_cmp_gt_u64_e32 vcc_lo, 0x7530, v[2:3]
	s_and_b32 exec_lo, exec_lo, vcc_lo
	s_cbranch_execz .LBB0_173
; %bb.158:                              ;   in Loop: Header=BB0_62 Depth=5
	s_memrealtime s[18:19]
	v_readfirstlane_b32 s14, v2
	s_sub_i32 s14, 0x7530, s14
	s_waitcnt lgkmcnt(0)
	s_add_u32 s14, s14, s18
	s_addc_u32 s15, 0, s19
	s_add_u32 s40, s18, 0x659
	s_addc_u32 s41, 0, s19
.LBB0_159:                              ;   Parent Loop BB0_3 Depth=1
                                        ;     Parent Loop BB0_6 Depth=2
                                        ;       Parent Loop BB0_11 Depth=3
                                        ;         Parent Loop BB0_37 Depth=4
                                        ;           Parent Loop BB0_62 Depth=5
                                        ; =>          This Inner Loop Header: Depth=6
	v_cmp_le_u64_e64 s29, s[14:15], s[40:41]
	s_and_b32 vcc_lo, exec_lo, s29
	s_cbranch_vccnz .LBB0_162
; %bb.160:                              ;   in Loop: Header=BB0_159 Depth=6
	s_sleep 0x7f
	s_memrealtime s[18:19]
	s_waitcnt lgkmcnt(0)
	s_add_u32 s40, s18, 0x659
	s_addc_u32 s41, s19, 0
	s_branch .LBB0_159
.LBB0_161:                              ;   in Loop: Header=BB0_162 Depth=6
	s_sleep 63
	s_memrealtime s[18:19]
.LBB0_162:                              ;   Parent Loop BB0_3 Depth=1
                                        ;     Parent Loop BB0_6 Depth=2
                                        ;       Parent Loop BB0_11 Depth=3
                                        ;         Parent Loop BB0_37 Depth=4
                                        ;           Parent Loop BB0_62 Depth=5
                                        ; =>          This Inner Loop Header: Depth=6
	s_waitcnt lgkmcnt(0)
	s_add_u32 s40, s18, 0x326
	s_addc_u32 s41, s19, 0
	v_cmp_le_u64_e64 s29, s[14:15], s[40:41]
	s_and_b32 vcc_lo, exec_lo, s29
	s_cbranch_vccz .LBB0_161
; %bb.163:                              ;   in Loop: Header=BB0_62 Depth=5
	s_add_u32 s40, s18, 0x18c
	s_addc_u32 s41, s19, 0
	v_cmp_le_u64_e64 s29, s[14:15], s[40:41]
	s_and_b32 vcc_lo, exec_lo, s29
	s_cbranch_vccnz .LBB0_166
.LBB0_164:                              ;   Parent Loop BB0_3 Depth=1
                                        ;     Parent Loop BB0_6 Depth=2
                                        ;       Parent Loop BB0_11 Depth=3
                                        ;         Parent Loop BB0_37 Depth=4
                                        ;           Parent Loop BB0_62 Depth=5
                                        ; =>          This Inner Loop Header: Depth=6
	s_sleep 31
	s_memrealtime s[18:19]
	s_waitcnt lgkmcnt(0)
	s_add_u32 s40, s18, 0x18c
	s_addc_u32 s41, s19, 0
	v_cmp_gt_u64_e64 s29, s[14:15], s[40:41]
	s_and_b32 vcc_lo, exec_lo, s29
	s_cbranch_vccnz .LBB0_164
	s_branch .LBB0_166
.LBB0_165:                              ;   in Loop: Header=BB0_166 Depth=6
	s_sleep 15
	s_memrealtime s[18:19]
.LBB0_166:                              ;   Parent Loop BB0_3 Depth=1
                                        ;     Parent Loop BB0_6 Depth=2
                                        ;       Parent Loop BB0_11 Depth=3
                                        ;         Parent Loop BB0_37 Depth=4
                                        ;           Parent Loop BB0_62 Depth=5
                                        ; =>          This Inner Loop Header: Depth=6
	s_waitcnt lgkmcnt(0)
	s_add_u32 s40, s18, 0xc0
	s_addc_u32 s41, s19, 0
	v_cmp_le_u64_e64 s29, s[14:15], s[40:41]
	s_and_b32 vcc_lo, exec_lo, s29
	s_cbranch_vccz .LBB0_165
	s_branch .LBB0_168
.LBB0_167:                              ;   in Loop: Header=BB0_168 Depth=6
	s_sleep 7
	s_memrealtime s[18:19]
.LBB0_168:                              ;   Parent Loop BB0_3 Depth=1
                                        ;     Parent Loop BB0_6 Depth=2
                                        ;       Parent Loop BB0_11 Depth=3
                                        ;         Parent Loop BB0_37 Depth=4
                                        ;           Parent Loop BB0_62 Depth=5
                                        ; =>          This Inner Loop Header: Depth=6
	s_waitcnt lgkmcnt(0)
	s_add_u32 s40, s18, 0x59
	s_addc_u32 s41, s19, 0
	v_cmp_le_u64_e64 s29, s[14:15], s[40:41]
	s_and_b32 vcc_lo, exec_lo, s29
	s_cbranch_vccz .LBB0_167
	;; [unrolled: 16-line block ×3, first 2 shown]
; %bb.171:                              ;   in Loop: Header=BB0_62 Depth=5
	v_cmp_le_u64_e64 s18, s[14:15], s[18:19]
	s_and_b32 vcc_lo, exec_lo, s18
	s_cbranch_vccnz .LBB0_173
.LBB0_172:                              ;   Parent Loop BB0_3 Depth=1
                                        ;     Parent Loop BB0_6 Depth=2
                                        ;       Parent Loop BB0_11 Depth=3
                                        ;         Parent Loop BB0_37 Depth=4
                                        ;           Parent Loop BB0_62 Depth=5
                                        ; =>          This Inner Loop Header: Depth=6
	s_sleep 1
	s_memrealtime s[18:19]
	s_waitcnt lgkmcnt(0)
	v_cmp_gt_u64_e64 s18, s[14:15], s[18:19]
	s_and_b32 vcc_lo, exec_lo, s18
	s_cbranch_vccnz .LBB0_172
.LBB0_173:                              ;   in Loop: Header=BB0_62 Depth=5
	s_or_b32 exec_lo, exec_lo, s28
	s_cmp_lg_u32 s17, 2
	v_mov_b32_e32 v85, s16
	s_cselect_b32 s14, -1, 0
	v_cndmask_b32_e64 v84, 0, 1, s14
	s_branch .LBB0_176
.LBB0_174:                              ;   in Loop: Header=BB0_62 Depth=5
	v_mov_b32_e32 v84, 0
	v_mov_b32_e32 v85, 0
	s_mov_b32 s13, 0
	s_branch .LBB0_290
.LBB0_175:                              ;   in Loop: Header=BB0_62 Depth=5
	s_mov_b32 s13, -1
.LBB0_176:                              ;   in Loop: Header=BB0_62 Depth=5
	s_and_b32 vcc_lo, exec_lo, s13
	s_mov_b32 s13, 0
	s_cbranch_vccz .LBB0_290
; %bb.177:                              ;   in Loop: Header=BB0_62 Depth=5
	v_mov_b32_e32 v2, 1
	s_and_saveexec_b32 s13, s12
	s_cbranch_execz .LBB0_181
; %bb.178:                              ;   in Loop: Header=BB0_62 Depth=5
	global_load_dwordx2 v[26:27], v[82:83], off glc dlc
	s_memrealtime s[14:15]
	s_waitcnt vmcnt(0) lgkmcnt(0)
	v_sub_co_u32 v2, vcc_lo, s14, v26
	v_sub_co_ci_u32_e64 v3, null, s15, v27, vcc_lo
	v_cmp_lt_u64_e32 vcc_lo, 0x4e1f, v[2:3]
	v_mov_b32_e32 v2, 1
	s_and_saveexec_b32 s17, vcc_lo
	s_cbranch_execz .LBB0_180
; %bb.179:                              ;   in Loop: Header=BB0_62 Depth=5
	v_mov_b32_e32 v24, s14
	v_mov_b32_e32 v25, s15
	global_atomic_cmpswap_x2 v[2:3], v[82:83], v[24:27], off glc
	s_waitcnt vmcnt(0)
	v_cmp_ne_u64_e32 vcc_lo, v[2:3], v[26:27]
	v_cndmask_b32_e64 v2, 0, 1, vcc_lo
.LBB0_180:                              ;   in Loop: Header=BB0_62 Depth=5
	s_or_b32 exec_lo, exec_lo, s17
.LBB0_181:                              ;   in Loop: Header=BB0_62 Depth=5
	s_or_b32 exec_lo, exec_lo, s13
	v_readfirstlane_b32 s14, v2
	s_mov_b32 s15, s16
	s_mov_b32 s13, 0
	v_mov_b32_e32 v13, s14
	v_mov_b32_e32 v14, s15
	s_cmp_lg_u64 s[14:15], 0
	s_cbranch_scc1 .LBB0_289
; %bb.182:                              ;   in Loop: Header=BB0_62 Depth=5
	v_mov_b32_e32 v13, 0
	v_mov_b32_e32 v2, 0
	;; [unrolled: 1-line block ×4, first 2 shown]
	s_and_saveexec_b32 s40, s12
	s_cbranch_execz .LBB0_217
; %bb.183:                              ;   in Loop: Header=BB0_62 Depth=5
	s_clause 0x1
	global_load_dwordx2 v[2:3], v4, s[24:25] glc dlc
	global_load_dwordx2 v[5:6], v4, s[26:27]
	s_mov_b32 s13, -1
	s_waitcnt vmcnt(0)
	v_cmp_ge_u64_e32 vcc_lo, v[2:3], v[5:6]
                                        ; implicit-def: $vgpr2_vgpr3
	s_cbranch_vccnz .LBB0_187
; %bb.184:                              ;   in Loop: Header=BB0_62 Depth=5
	s_mov_b32 s14, exec_lo
	s_mov_b32 s13, exec_lo
	v_mbcnt_lo_u32_b32 v16, s14, 0
                                        ; implicit-def: $vgpr2_vgpr3
	v_cmpx_eq_u32_e32 0, v16
	s_cbranch_execz .LBB0_186
; %bb.185:                              ;   in Loop: Header=BB0_62 Depth=5
	s_bcnt1_i32_b32 s14, s14
	s_lshl_b32 s14, s14, 21
	v_mov_b32_e32 v3, s14
	global_atomic_add_x2 v[2:3], v4, v[3:4], s[24:25] glc
.LBB0_186:                              ;   in Loop: Header=BB0_62 Depth=5
	s_or_b32 exec_lo, exec_lo, s13
	s_waitcnt vmcnt(0)
	v_readfirstlane_b32 s15, v3
	v_readfirstlane_b32 s14, v2
	v_mad_u64_u32 v[2:3], null, 0x200000, v16, s[14:15]
	v_cmp_ge_u64_e64 s13, v[2:3], v[5:6]
.LBB0_187:                              ;   in Loop: Header=BB0_62 Depth=5
	s_and_saveexec_b32 s41, s13
	s_cbranch_execz .LBB0_216
; %bb.188:                              ;   in Loop: Header=BB0_62 Depth=5
	s_load_dwordx2 s[14:15], s[8:9], 0x50
	v_readfirstlane_b32 s13, v96
	v_mov_b32_e32 v2, 0
	v_mov_b32_e32 v3, 0
	v_cmp_eq_u32_e64 s13, s13, v96
	s_and_saveexec_b32 s17, s13
	s_cbranch_execz .LBB0_194
; %bb.189:                              ;   in Loop: Header=BB0_62 Depth=5
	s_waitcnt lgkmcnt(0)
	global_load_dwordx2 v[26:27], v4, s[14:15] offset:24 glc dlc
	s_waitcnt vmcnt(0)
	buffer_gl1_inv
	buffer_gl0_inv
	s_clause 0x1
	global_load_dwordx2 v[2:3], v4, s[14:15] offset:40
	global_load_dwordx2 v[5:6], v4, s[14:15]
	s_mov_b32 s18, exec_lo
	s_waitcnt vmcnt(1)
	v_and_b32_e32 v3, v3, v27
	v_and_b32_e32 v2, v2, v26
	v_mul_lo_u32 v3, v3, 24
	v_mul_hi_u32 v16, v2, 24
	v_mul_lo_u32 v2, v2, 24
	v_add_nc_u32_e32 v3, v16, v3
	s_waitcnt vmcnt(0)
	v_add_co_u32 v2, vcc_lo, v5, v2
	v_add_co_ci_u32_e64 v3, null, v6, v3, vcc_lo
	global_load_dwordx2 v[24:25], v[2:3], off glc dlc
	s_waitcnt vmcnt(0)
	global_atomic_cmpswap_x2 v[2:3], v4, v[24:27], s[14:15] offset:24 glc
	s_waitcnt vmcnt(0)
	buffer_gl1_inv
	buffer_gl0_inv
	v_cmpx_ne_u64_e64 v[2:3], v[26:27]
	s_cbranch_execz .LBB0_193
; %bb.190:                              ;   in Loop: Header=BB0_62 Depth=5
	s_mov_b32 s19, 0
.LBB0_191:                              ;   Parent Loop BB0_3 Depth=1
                                        ;     Parent Loop BB0_6 Depth=2
                                        ;       Parent Loop BB0_11 Depth=3
                                        ;         Parent Loop BB0_37 Depth=4
                                        ;           Parent Loop BB0_62 Depth=5
                                        ; =>          This Inner Loop Header: Depth=6
	s_sleep 1
	s_clause 0x1
	global_load_dwordx2 v[5:6], v4, s[14:15] offset:40
	global_load_dwordx2 v[16:17], v4, s[14:15]
	v_mov_b32_e32 v27, v3
	v_mov_b32_e32 v26, v2
	s_waitcnt vmcnt(1)
	v_and_b32_e32 v2, v5, v26
	v_and_b32_e32 v5, v6, v27
	s_waitcnt vmcnt(0)
	v_mad_u64_u32 v[2:3], null, v2, 24, v[16:17]
	v_mad_u64_u32 v[5:6], null, v5, 24, v[3:4]
	v_mov_b32_e32 v3, v5
	global_load_dwordx2 v[24:25], v[2:3], off glc dlc
	s_waitcnt vmcnt(0)
	global_atomic_cmpswap_x2 v[2:3], v4, v[24:27], s[14:15] offset:24 glc
	s_waitcnt vmcnt(0)
	buffer_gl1_inv
	buffer_gl0_inv
	v_cmp_eq_u64_e32 vcc_lo, v[2:3], v[26:27]
	s_or_b32 s19, vcc_lo, s19
	s_andn2_b32 exec_lo, exec_lo, s19
	s_cbranch_execnz .LBB0_191
; %bb.192:                              ;   in Loop: Header=BB0_62 Depth=5
	s_or_b32 exec_lo, exec_lo, s19
.LBB0_193:                              ;   in Loop: Header=BB0_62 Depth=5
	s_or_b32 exec_lo, exec_lo, s18
.LBB0_194:                              ;   in Loop: Header=BB0_62 Depth=5
	s_or_b32 exec_lo, exec_lo, s17
	s_waitcnt lgkmcnt(0)
	s_clause 0x1
	global_load_dwordx2 v[5:6], v4, s[14:15] offset:40
	global_load_dwordx4 v[24:27], v4, s[14:15]
	v_readfirstlane_b32 s29, v3
	v_readfirstlane_b32 s28, v2
	s_mov_b32 s17, exec_lo
	s_waitcnt vmcnt(1)
	v_readfirstlane_b32 s18, v5
	v_readfirstlane_b32 s19, v6
	s_and_b64 s[18:19], s[18:19], s[28:29]
	s_mul_i32 s79, s19, 24
	s_mul_hi_u32 s88, s18, 24
	s_mul_i32 s89, s18, 24
	s_add_i32 s88, s88, s79
	s_waitcnt vmcnt(0)
	v_add_co_u32 v86, vcc_lo, v24, s89
	v_add_co_ci_u32_e64 v87, null, s88, v25, vcc_lo
	s_and_saveexec_b32 s79, s13
	s_cbranch_execz .LBB0_196
; %bb.195:                              ;   in Loop: Header=BB0_62 Depth=5
	v_mov_b32_e32 v3, s17
	v_mov_b32_e32 v6, v4
	;; [unrolled: 1-line block ×3, first 2 shown]
	global_store_dwordx4 v[86:87], v[5:8], off offset:8
.LBB0_196:                              ;   in Loop: Header=BB0_62 Depth=5
	s_or_b32 exec_lo, exec_lo, s79
	s_lshl_b64 s[18:19], s[18:19], 12
	s_mov_b32 s17, s16
	v_add_co_u32 v51, vcc_lo, v26, s18
	v_add_co_ci_u32_e64 v101, null, s19, v27, vcc_lo
	s_mov_b32 s19, s16
	s_mov_b32 s18, s16
	v_lshlrev_b32_e32 v102, 6, v96
	v_mov_b32_e32 v16, v4
	v_mov_b32_e32 v17, v4
	;; [unrolled: 1-line block ×3, first 2 shown]
	v_readfirstlane_b32 s88, v51
	v_readfirstlane_b32 s89, v101
	v_mov_b32_e32 v115, s19
	v_mov_b32_e32 v114, s18
	;; [unrolled: 1-line block ×4, first 2 shown]
	global_store_dwordx4 v102, v[16:19], s[88:89]
	global_store_dwordx4 v102, v[112:115], s[88:89] offset:16
	global_store_dwordx4 v102, v[112:115], s[88:89] offset:32
	;; [unrolled: 1-line block ×3, first 2 shown]
	s_and_saveexec_b32 s17, s13
	s_cbranch_execz .LBB0_204
; %bb.197:                              ;   in Loop: Header=BB0_62 Depth=5
	s_clause 0x1
	global_load_dwordx2 v[114:115], v4, s[14:15] offset:32 glc dlc
	global_load_dwordx2 v[2:3], v4, s[14:15] offset:40
	v_mov_b32_e32 v112, s28
	v_mov_b32_e32 v113, s29
	s_mov_b32 s18, exec_lo
	s_waitcnt vmcnt(0)
	v_and_b32_e32 v3, s29, v3
	v_and_b32_e32 v2, s28, v2
	v_mul_lo_u32 v3, v3, 24
	v_mul_hi_u32 v5, v2, 24
	v_mul_lo_u32 v2, v2, 24
	v_add_nc_u32_e32 v3, v5, v3
	v_add_co_u32 v2, vcc_lo, v24, v2
	v_add_co_ci_u32_e64 v3, null, v25, v3, vcc_lo
	global_store_dwordx2 v[2:3], v[114:115], off
	s_waitcnt_vscnt null, 0x0
	global_atomic_cmpswap_x2 v[26:27], v4, v[112:115], s[14:15] offset:32 glc
	s_waitcnt vmcnt(0)
	v_cmpx_ne_u64_e64 v[26:27], v[114:115]
	s_cbranch_execz .LBB0_200
; %bb.198:                              ;   in Loop: Header=BB0_62 Depth=5
	s_mov_b32 s19, 0
.LBB0_199:                              ;   Parent Loop BB0_3 Depth=1
                                        ;     Parent Loop BB0_6 Depth=2
                                        ;       Parent Loop BB0_11 Depth=3
                                        ;         Parent Loop BB0_37 Depth=4
                                        ;           Parent Loop BB0_62 Depth=5
                                        ; =>          This Inner Loop Header: Depth=6
	v_mov_b32_e32 v24, s28
	v_mov_b32_e32 v25, s29
	s_sleep 1
	global_store_dwordx2 v[2:3], v[26:27], off
	s_waitcnt_vscnt null, 0x0
	global_atomic_cmpswap_x2 v[5:6], v4, v[24:27], s[14:15] offset:32 glc
	s_waitcnt vmcnt(0)
	v_cmp_eq_u64_e32 vcc_lo, v[5:6], v[26:27]
	v_mov_b32_e32 v27, v6
	v_mov_b32_e32 v26, v5
	s_or_b32 s19, vcc_lo, s19
	s_andn2_b32 exec_lo, exec_lo, s19
	s_cbranch_execnz .LBB0_199
.LBB0_200:                              ;   in Loop: Header=BB0_62 Depth=5
	s_or_b32 exec_lo, exec_lo, s18
	global_load_dwordx2 v[5:6], v4, s[14:15] offset:16
	s_mov_b32 s19, exec_lo
	s_mov_b32 s18, exec_lo
	v_mbcnt_lo_u32_b32 v2, s19, 0
	v_cmpx_eq_u32_e32 0, v2
	s_cbranch_execz .LBB0_202
; %bb.201:                              ;   in Loop: Header=BB0_62 Depth=5
	s_bcnt1_i32_b32 s19, s19
	v_mov_b32_e32 v3, s19
	s_waitcnt vmcnt(0)
	global_atomic_add_x2 v[5:6], v[3:4], off offset:8
.LBB0_202:                              ;   in Loop: Header=BB0_62 Depth=5
	s_or_b32 exec_lo, exec_lo, s18
	s_waitcnt vmcnt(0)
	global_load_dwordx2 v[16:17], v[5:6], off offset:16
	s_waitcnt vmcnt(0)
	v_cmp_eq_u64_e32 vcc_lo, 0, v[16:17]
	s_cbranch_vccnz .LBB0_204
; %bb.203:                              ;   in Loop: Header=BB0_62 Depth=5
	global_load_dword v3, v[5:6], off offset:24
	s_waitcnt vmcnt(0)
	v_readfirstlane_b32 s18, v3
	s_waitcnt_vscnt null, 0x0
	global_store_dwordx2 v[16:17], v[3:4], off
	s_and_b32 m0, s18, 0x7fffff
	s_sendmsg sendmsg(MSG_INTERRUPT)
.LBB0_204:                              ;   in Loop: Header=BB0_62 Depth=5
	s_or_b32 exec_lo, exec_lo, s17
	v_add_co_u32 v2, vcc_lo, v51, v102
	v_add_co_ci_u32_e64 v3, null, 0, v101, vcc_lo
.LBB0_205:                              ;   Parent Loop BB0_3 Depth=1
                                        ;     Parent Loop BB0_6 Depth=2
                                        ;       Parent Loop BB0_11 Depth=3
                                        ;         Parent Loop BB0_37 Depth=4
                                        ;           Parent Loop BB0_62 Depth=5
                                        ; =>          This Inner Loop Header: Depth=6
	v_mov_b32_e32 v5, 1
	s_and_saveexec_b32 s17, s13
	s_cbranch_execz .LBB0_207
; %bb.206:                              ;   in Loop: Header=BB0_205 Depth=6
	global_load_dword v5, v[86:87], off offset:20 glc dlc
	s_waitcnt vmcnt(0)
	buffer_gl1_inv
	buffer_gl0_inv
	v_and_b32_e32 v5, 1, v5
.LBB0_207:                              ;   in Loop: Header=BB0_205 Depth=6
	s_or_b32 exec_lo, exec_lo, s17
	v_readfirstlane_b32 s17, v5
	s_cmp_eq_u32 s17, 0
	s_cbranch_scc1 .LBB0_209
; %bb.208:                              ;   in Loop: Header=BB0_205 Depth=6
	s_mov_b32 s17, 0
	s_sleep 1
	s_branch .LBB0_210
.LBB0_209:                              ;   in Loop: Header=BB0_205 Depth=6
	s_mov_b32 s17, -1
.LBB0_210:                              ;   in Loop: Header=BB0_205 Depth=6
	s_andn2_b32 vcc_lo, exec_lo, s17
	s_cbranch_vccnz .LBB0_205
; %bb.211:                              ;   in Loop: Header=BB0_62 Depth=5
	global_load_dwordx2 v[2:3], v[2:3], off
	s_and_saveexec_b32 s17, s13
	s_cbranch_execz .LBB0_215
; %bb.212:                              ;   in Loop: Header=BB0_62 Depth=5
	s_clause 0x2
	global_load_dwordx2 v[5:6], v4, s[14:15] offset:40
	global_load_dwordx2 v[114:115], v4, s[14:15] offset:24 glc dlc
	global_load_dwordx2 v[16:17], v4, s[14:15]
	s_waitcnt vmcnt(2)
	v_readfirstlane_b32 s88, v5
	v_readfirstlane_b32 s89, v6
	s_add_u32 s13, s88, 1
	s_addc_u32 s79, s89, 0
	s_add_u32 s18, s13, s28
	s_addc_u32 s19, s79, s29
	s_cmp_eq_u64 s[18:19], 0
	s_cselect_b32 s19, s79, s19
	s_cselect_b32 s18, s13, s18
	v_mov_b32_e32 v113, s19
	s_and_b64 s[28:29], s[18:19], s[88:89]
	v_mov_b32_e32 v112, s18
	s_mul_i32 s13, s29, 24
	s_mul_hi_u32 s29, s28, 24
	s_mul_i32 s28, s28, 24
	s_add_i32 s29, s29, s13
	s_waitcnt vmcnt(0)
	v_add_co_u32 v5, vcc_lo, v16, s28
	v_add_co_ci_u32_e64 v6, null, s29, v17, vcc_lo
	global_store_dwordx2 v[5:6], v[114:115], off
	s_waitcnt_vscnt null, 0x0
	global_atomic_cmpswap_x2 v[26:27], v4, v[112:115], s[14:15] offset:24 glc
	s_waitcnt vmcnt(0)
	v_cmp_ne_u64_e32 vcc_lo, v[26:27], v[114:115]
	s_and_b32 exec_lo, exec_lo, vcc_lo
	s_cbranch_execz .LBB0_215
; %bb.213:                              ;   in Loop: Header=BB0_62 Depth=5
	s_mov_b32 s13, 0
.LBB0_214:                              ;   Parent Loop BB0_3 Depth=1
                                        ;     Parent Loop BB0_6 Depth=2
                                        ;       Parent Loop BB0_11 Depth=3
                                        ;         Parent Loop BB0_37 Depth=4
                                        ;           Parent Loop BB0_62 Depth=5
                                        ; =>          This Inner Loop Header: Depth=6
	v_mov_b32_e32 v24, s18
	v_mov_b32_e32 v25, s19
	s_sleep 1
	global_store_dwordx2 v[5:6], v[26:27], off
	s_waitcnt_vscnt null, 0x0
	global_atomic_cmpswap_x2 v[16:17], v4, v[24:27], s[14:15] offset:24 glc
	s_waitcnt vmcnt(0)
	v_cmp_eq_u64_e32 vcc_lo, v[16:17], v[26:27]
	v_mov_b32_e32 v27, v17
	v_mov_b32_e32 v26, v16
	s_or_b32 s13, vcc_lo, s13
	s_andn2_b32 exec_lo, exec_lo, s13
	s_cbranch_execnz .LBB0_214
.LBB0_215:                              ;   in Loop: Header=BB0_62 Depth=5
	s_or_b32 exec_lo, exec_lo, s17
.LBB0_216:                              ;   in Loop: Header=BB0_62 Depth=5
	s_or_b32 exec_lo, exec_lo, s41
.LBB0_217:                              ;   in Loop: Header=BB0_62 Depth=5
	s_or_b32 exec_lo, exec_lo, s40
	s_waitcnt vmcnt(0)
	v_readfirstlane_b32 s14, v2
	v_readfirstlane_b32 s15, v3
	s_cmp_eq_u64 s[14:15], 0
	s_cbranch_scc1 .LBB0_288
; %bb.218:                              ;   in Loop: Header=BB0_62 Depth=5
	global_load_dword v5, v[64:65], off offset:56
	v_mbcnt_lo_u32_b32 v13, exec_lo, 0
	s_bcnt1_i32_b32 s17, exec_lo
	s_waitcnt vmcnt(0)
	v_add_nc_u32_e32 v2, 31, v5
	v_lshrrev_b32_e32 v6, 5, v2
	s_and_saveexec_b32 s13, s10
	s_xor_b32 s18, exec_lo, s13
	s_cbranch_execz .LBB0_226
; %bb.219:                              ;   in Loop: Header=BB0_62 Depth=5
	global_load_dword v14, v[64:65], off offset:76
	s_mov_b32 s19, exec_lo
	v_cmpx_lt_u32_e64 v13, v6
	s_cbranch_execz .LBB0_222
; %bb.220:                              ;   in Loop: Header=BB0_62 Depth=5
	v_lshlrev_b32_e32 v2, 2, v13
	v_mov_b32_e32 v16, v13
	s_lshl_b32 s28, s17, 2
	s_mov_b32 s29, 0
	v_add_co_u32 v2, s13, s14, v2
	v_add_co_ci_u32_e64 v3, null, s15, 0, s13
	v_add_co_u32 v2, vcc_lo, v2, 16
	v_add_co_ci_u32_e64 v3, null, 0, v3, vcc_lo
.LBB0_221:                              ;   Parent Loop BB0_3 Depth=1
                                        ;     Parent Loop BB0_6 Depth=2
                                        ;       Parent Loop BB0_11 Depth=3
                                        ;         Parent Loop BB0_37 Depth=4
                                        ;           Parent Loop BB0_62 Depth=5
                                        ; =>          This Inner Loop Header: Depth=6
	v_add_nc_u32_e32 v16, s17, v16
	global_store_dword v[2:3], v4, off
	v_add_co_u32 v2, s13, v2, s28
	v_add_co_ci_u32_e64 v3, null, 0, v3, s13
	v_cmp_ge_u32_e32 vcc_lo, v16, v6
	s_or_b32 s29, vcc_lo, s29
	s_andn2_b32 exec_lo, exec_lo, s29
	s_cbranch_execnz .LBB0_221
.LBB0_222:                              ;   in Loop: Header=BB0_62 Depth=5
	s_or_b32 exec_lo, exec_lo, s19
	global_load_dword v2, v[64:65], off offset:72
	s_mov_b32 s13, exec_lo
	s_waitcnt vmcnt(0)
	v_mad_u64_u32 v[2:3], null, v14, v13, v[2:3]
	v_cmpx_lt_u32_e64 v2, v5
	s_cbranch_execz .LBB0_225
; %bb.223:                              ;   in Loop: Header=BB0_62 Depth=5
	v_mul_lo_u32 v3, v14, s17
	s_mov_b32 s19, 0
.LBB0_224:                              ;   Parent Loop BB0_3 Depth=1
                                        ;     Parent Loop BB0_6 Depth=2
                                        ;       Parent Loop BB0_11 Depth=3
                                        ;         Parent Loop BB0_37 Depth=4
                                        ;           Parent Loop BB0_62 Depth=5
                                        ; =>          This Inner Loop Header: Depth=6
	v_lshlrev_b32_e64 v14, v2, 1
	v_lshrrev_b32_e32 v16, 3, v2
	v_add_nc_u32_e32 v2, v2, v3
	v_and_b32_e32 v16, 0x1ffffffc, v16
	v_cmp_ge_u32_e32 vcc_lo, v2, v5
	global_store_dword v16, v14, s[14:15] offset:16
	s_or_b32 s19, vcc_lo, s19
	s_andn2_b32 exec_lo, exec_lo, s19
	s_cbranch_execnz .LBB0_224
.LBB0_225:                              ;   in Loop: Header=BB0_62 Depth=5
	s_or_b32 exec_lo, exec_lo, s13
.LBB0_226:                              ;   in Loop: Header=BB0_62 Depth=5
	s_andn2_saveexec_b32 s18, s18
	s_cbranch_execz .LBB0_231
; %bb.227:                              ;   in Loop: Header=BB0_62 Depth=5
	s_mov_b32 s19, exec_lo
	v_cmpx_lt_u32_e64 v13, v6
	s_cbranch_execz .LBB0_230
; %bb.228:                              ;   in Loop: Header=BB0_62 Depth=5
	global_load_dword v14, v[64:65], off offset:80
	v_lshlrev_b32_e32 v2, 2, v13
	v_mov_b32_e32 v16, v13
	s_lshl_b32 s28, s17, 2
	s_mov_b32 s29, 0
	v_add_co_u32 v2, s13, s14, v2
	v_add_co_ci_u32_e64 v3, null, s15, 0, s13
	v_add_co_u32 v2, vcc_lo, v2, 16
	v_add_co_ci_u32_e64 v3, null, 0, v3, vcc_lo
.LBB0_229:                              ;   Parent Loop BB0_3 Depth=1
                                        ;     Parent Loop BB0_6 Depth=2
                                        ;       Parent Loop BB0_11 Depth=3
                                        ;         Parent Loop BB0_37 Depth=4
                                        ;           Parent Loop BB0_62 Depth=5
                                        ; =>          This Inner Loop Header: Depth=6
	v_add_nc_u32_e32 v16, s17, v16
	s_waitcnt vmcnt(0)
	global_store_dword v[2:3], v14, off
	v_add_co_u32 v2, s13, v2, s28
	v_add_co_ci_u32_e64 v3, null, 0, v3, s13
	v_cmp_ge_u32_e32 vcc_lo, v16, v6
	s_or_b32 s29, vcc_lo, s29
	s_andn2_b32 exec_lo, exec_lo, s29
	s_cbranch_execnz .LBB0_229
.LBB0_230:                              ;   in Loop: Header=BB0_62 Depth=5
	s_or_b32 exec_lo, exec_lo, s19
.LBB0_231:                              ;   in Loop: Header=BB0_62 Depth=5
	s_or_b32 exec_lo, exec_lo, s18
	s_mov_b32 s13, exec_lo
	v_cmpx_eq_u32_e32 0, v13
	s_cbranch_execz .LBB0_235
; %bb.232:                              ;   in Loop: Header=BB0_62 Depth=5
	s_and_saveexec_b32 s17, s11
	s_cbranch_execz .LBB0_234
; %bb.233:                              ;   in Loop: Header=BB0_62 Depth=5
	v_add_nc_u32_e32 v3, -1, v6
	v_lshlrev_b64 v[2:3], 2, v[3:4]
	v_add_co_u32 v2, vcc_lo, s14, v2
	v_add_co_ci_u32_e64 v3, null, s15, v3, vcc_lo
	global_load_dword v6, v[2:3], off offset:16
	s_waitcnt vmcnt(0)
	v_lshl_or_b32 v5, -1, v5, v6
	global_store_dword v[2:3], v5, off offset:16
.LBB0_234:                              ;   in Loop: Header=BB0_62 Depth=5
	s_or_b32 exec_lo, exec_lo, s17
	global_store_dwordx4 v4, v[20:23], s[14:15]
.LBB0_235:                              ;   in Loop: Header=BB0_62 Depth=5
	s_or_b32 exec_lo, exec_lo, s13
.LBB0_236:                              ;   Parent Loop BB0_3 Depth=1
                                        ;     Parent Loop BB0_6 Depth=2
                                        ;       Parent Loop BB0_11 Depth=3
                                        ;         Parent Loop BB0_37 Depth=4
                                        ;           Parent Loop BB0_62 Depth=5
                                        ; =>          This Inner Loop Header: Depth=6
	v_mov_b32_e32 v2, s77
	s_and_saveexec_b32 s13, s12
	s_cbranch_execz .LBB0_238
; %bb.237:                              ;   in Loop: Header=BB0_236 Depth=6
	global_load_dword v2, v[68:69], off glc dlc
.LBB0_238:                              ;   in Loop: Header=BB0_236 Depth=6
	s_or_b32 exec_lo, exec_lo, s13
	s_waitcnt vmcnt(0)
	v_readfirstlane_b32 s77, v2
	s_cmp_eq_u32 s77, 0x10100
	s_cbranch_scc1 .LBB0_252
; %bb.239:                              ;   in Loop: Header=BB0_236 Depth=6
	v_mov_b32_e32 v2, s78
	s_and_saveexec_b32 s13, s12
	s_cbranch_execz .LBB0_241
; %bb.240:                              ;   in Loop: Header=BB0_236 Depth=6
	global_load_dword v2, v[70:71], off glc dlc
.LBB0_241:                              ;   in Loop: Header=BB0_236 Depth=6
	s_or_b32 exec_lo, exec_lo, s13
	s_waitcnt vmcnt(0)
	v_readfirstlane_b32 s78, v2
	s_mov_b32 s13, -1
	s_mov_b32 s17, -1
                                        ; implicit-def: $sgpr18_sgpr19
	s_cmp_lg_u32 s77, s78
	s_cbranch_scc0 .LBB0_251
; %bb.242:                              ;   in Loop: Header=BB0_236 Depth=6
	v_mov_b32_e32 v2, 0
	v_mov_b32_e32 v3, 0
	s_and_saveexec_b32 s13, s12
	s_cbranch_execz .LBB0_248
; %bb.243:                              ;   in Loop: Header=BB0_236 Depth=6
	v_mov_b32_e32 v2, v66
	v_mov_b32_e32 v3, v67
	s_cmpk_lt_u32 s77, 0x100
	s_mov_b32 s17, s77
	s_cbranch_scc1 .LBB0_245
; %bb.244:                              ;   in Loop: Header=BB0_236 Depth=6
	s_add_i32 s17, s77, 0xffffff00
	s_lshr_b32 s17, s17, 8
	v_mad_u64_u32 v[2:3], null, s17, 24, v[66:67]
	s_and_b32 s17, s77, 0xff
	global_load_dwordx2 v[2:3], v[2:3], off glc dlc
.LBB0_245:                              ;   in Loop: Header=BB0_236 Depth=6
	s_waitcnt vmcnt(0)
	v_mad_u64_u32 v[13:14], null, s17, 24, v[2:3]
	v_mov_b32_e32 v6, s77
	v_mov_b32_e32 v2, s14
	v_mov_b32_e32 v3, s15
	v_mov_b32_e32 v5, v4
	global_store_dword v4, v6, s[14:15] offset:4
	global_atomic_cmpswap_x2 v[2:3], v[13:14], v[2:5], off offset:8 glc
	s_waitcnt vmcnt(0)
	v_cmp_eq_u64_e32 vcc_lo, 0, v[2:3]
	v_mov_b32_e32 v2, 0
	v_mov_b32_e32 v3, 0
	s_and_saveexec_b32 s17, vcc_lo
	s_cbranch_execz .LBB0_247
; %bb.246:                              ;   in Loop: Header=BB0_236 Depth=6
	s_waitcnt_vscnt null, 0x0
	global_atomic_add v[68:69], v8, off
	v_mov_b32_e32 v2, v14
	v_mov_b32_e32 v3, v13
.LBB0_247:                              ;   in Loop: Header=BB0_236 Depth=6
	s_or_b32 exec_lo, exec_lo, s17
.LBB0_248:                              ;   in Loop: Header=BB0_236 Depth=6
	s_or_b32 exec_lo, exec_lo, s13
	v_readfirstlane_b32 s18, v3
	v_readfirstlane_b32 s19, v2
	s_mov_b32 s17, -1
	s_cmp_lg_u64 s[18:19], 0
	s_cbranch_scc1 .LBB0_250
; %bb.249:                              ;   in Loop: Header=BB0_236 Depth=6
	s_mov_b32 s17, 0
	s_sleep 2
.LBB0_250:                              ;   in Loop: Header=BB0_236 Depth=6
	s_mov_b32 s13, 0
.LBB0_251:                              ;   in Loop: Header=BB0_236 Depth=6
	s_mov_b32 s28, 0
	s_branch .LBB0_253
.LBB0_252:                              ;   in Loop: Header=BB0_236 Depth=6
	s_mov_b32 s28, -1
	s_mov_b32 s13, 0
	s_mov_b32 s17, -1
                                        ; implicit-def: $sgpr78
                                        ; implicit-def: $sgpr18_sgpr19
.LBB0_253:                              ;   in Loop: Header=BB0_236 Depth=6
	s_and_b32 vcc_lo, exec_lo, s17
	s_cbranch_vccz .LBB0_236
; %bb.254:                              ;   in Loop: Header=BB0_62 Depth=5
	s_and_b32 vcc_lo, exec_lo, s28
	s_cbranch_vccnz .LBB0_287
; %bb.255:                              ;   in Loop: Header=BB0_62 Depth=5
	s_xor_b32 s13, s13, -1
	s_and_b32 vcc_lo, exec_lo, s13
	s_mov_b32 s13, -1
	s_cbranch_vccz .LBB0_257
; %bb.256:                              ;   in Loop: Header=BB0_62 Depth=5
	s_mov_b32 s13, 0
.LBB0_257:                              ;   in Loop: Header=BB0_62 Depth=5
	v_mov_b32_e32 v13, s18
	v_mov_b32_e32 v14, s19
	s_andn2_b32 vcc_lo, exec_lo, s13
	s_mov_b32 s13, 0
	s_cbranch_vccnz .LBB0_289
; %bb.258:                              ;   in Loop: Header=BB0_62 Depth=5
	s_and_saveexec_b32 s77, s12
	s_cbranch_execz .LBB0_286
; %bb.259:                              ;   in Loop: Header=BB0_62 Depth=5
	s_load_dwordx2 s[28:29], s[8:9], 0x50
	v_readfirstlane_b32 s13, v96
	v_mov_b32_e32 v2, 0
	v_mov_b32_e32 v3, 0
	v_cmp_eq_u32_e64 s13, s13, v96
	s_and_saveexec_b32 s17, s13
	s_cbranch_execz .LBB0_265
; %bb.260:                              ;   in Loop: Header=BB0_62 Depth=5
	s_waitcnt lgkmcnt(0)
	global_load_dwordx2 v[26:27], v4, s[28:29] offset:24 glc dlc
	s_waitcnt vmcnt(0)
	buffer_gl1_inv
	buffer_gl0_inv
	s_clause 0x1
	global_load_dwordx2 v[2:3], v4, s[28:29] offset:40
	global_load_dwordx2 v[5:6], v4, s[28:29]
	s_mov_b32 s18, exec_lo
	s_waitcnt vmcnt(1)
	v_and_b32_e32 v3, v3, v27
	v_and_b32_e32 v2, v2, v26
	v_mul_lo_u32 v3, v3, 24
	v_mul_hi_u32 v13, v2, 24
	v_mul_lo_u32 v2, v2, 24
	v_add_nc_u32_e32 v3, v13, v3
	s_waitcnt vmcnt(0)
	v_add_co_u32 v2, vcc_lo, v5, v2
	v_add_co_ci_u32_e64 v3, null, v6, v3, vcc_lo
	global_load_dwordx2 v[24:25], v[2:3], off glc dlc
	s_waitcnt vmcnt(0)
	global_atomic_cmpswap_x2 v[2:3], v4, v[24:27], s[28:29] offset:24 glc
	s_waitcnt vmcnt(0)
	buffer_gl1_inv
	buffer_gl0_inv
	v_cmpx_ne_u64_e64 v[2:3], v[26:27]
	s_cbranch_execz .LBB0_264
; %bb.261:                              ;   in Loop: Header=BB0_62 Depth=5
	s_mov_b32 s19, 0
.LBB0_262:                              ;   Parent Loop BB0_3 Depth=1
                                        ;     Parent Loop BB0_6 Depth=2
                                        ;       Parent Loop BB0_11 Depth=3
                                        ;         Parent Loop BB0_37 Depth=4
                                        ;           Parent Loop BB0_62 Depth=5
                                        ; =>          This Inner Loop Header: Depth=6
	s_sleep 1
	s_clause 0x1
	global_load_dwordx2 v[5:6], v4, s[28:29] offset:40
	global_load_dwordx2 v[13:14], v4, s[28:29]
	v_mov_b32_e32 v27, v3
	v_mov_b32_e32 v26, v2
	s_waitcnt vmcnt(1)
	v_and_b32_e32 v2, v5, v26
	v_and_b32_e32 v5, v6, v27
	s_waitcnt vmcnt(0)
	v_mad_u64_u32 v[2:3], null, v2, 24, v[13:14]
	v_mad_u64_u32 v[5:6], null, v5, 24, v[3:4]
	v_mov_b32_e32 v3, v5
	global_load_dwordx2 v[24:25], v[2:3], off glc dlc
	s_waitcnt vmcnt(0)
	global_atomic_cmpswap_x2 v[2:3], v4, v[24:27], s[28:29] offset:24 glc
	s_waitcnt vmcnt(0)
	buffer_gl1_inv
	buffer_gl0_inv
	v_cmp_eq_u64_e32 vcc_lo, v[2:3], v[26:27]
	s_or_b32 s19, vcc_lo, s19
	s_andn2_b32 exec_lo, exec_lo, s19
	s_cbranch_execnz .LBB0_262
; %bb.263:                              ;   in Loop: Header=BB0_62 Depth=5
	s_or_b32 exec_lo, exec_lo, s19
.LBB0_264:                              ;   in Loop: Header=BB0_62 Depth=5
	s_or_b32 exec_lo, exec_lo, s18
.LBB0_265:                              ;   in Loop: Header=BB0_62 Depth=5
	s_or_b32 exec_lo, exec_lo, s17
	s_waitcnt lgkmcnt(0)
	s_clause 0x1
	global_load_dwordx2 v[5:6], v4, s[28:29] offset:40
	global_load_dwordx4 v[24:27], v4, s[28:29]
	v_readfirstlane_b32 s41, v3
	v_readfirstlane_b32 s40, v2
	s_mov_b32 s17, exec_lo
	s_waitcnt vmcnt(1)
	v_readfirstlane_b32 s18, v5
	v_readfirstlane_b32 s19, v6
	s_and_b64 s[18:19], s[18:19], s[40:41]
	s_mul_i32 s78, s19, 24
	s_mul_hi_u32 s79, s18, 24
	s_mul_i32 s88, s18, 24
	s_add_i32 s79, s79, s78
	s_waitcnt vmcnt(0)
	v_add_co_u32 v13, vcc_lo, v24, s88
	v_add_co_ci_u32_e64 v14, null, s79, v25, vcc_lo
	s_and_saveexec_b32 s78, s13
	s_cbranch_execz .LBB0_267
; %bb.266:                              ;   in Loop: Header=BB0_62 Depth=5
	v_mov_b32_e32 v3, s17
	v_mov_b32_e32 v6, v4
	;; [unrolled: 1-line block ×3, first 2 shown]
	global_store_dwordx4 v[13:14], v[5:8], off offset:8
.LBB0_267:                              ;   in Loop: Header=BB0_62 Depth=5
	s_or_b32 exec_lo, exec_lo, s78
	s_lshl_b64 s[18:19], s[18:19], 12
	v_mov_b32_e32 v2, s14
	v_add_co_u32 v5, vcc_lo, v26, s18
	v_add_co_ci_u32_e64 v16, null, s19, v27, vcc_lo
	s_mov_b32 s19, s16
	s_mov_b32 s17, s16
	;; [unrolled: 1-line block ×3, first 2 shown]
	v_lshlrev_b32_e32 v6, 6, v96
	v_mov_b32_e32 v3, s15
	v_readfirstlane_b32 s14, v5
	v_readfirstlane_b32 s15, v16
	v_mov_b32_e32 v115, s19
	v_mov_b32_e32 v114, s18
	;; [unrolled: 1-line block ×5, first 2 shown]
	global_store_dwordx2 v6, v[2:3], s[14:15]
	global_store_dwordx4 v6, v[112:115], s[14:15] offset:8
	global_store_dwordx4 v6, v[112:115], s[14:15] offset:24
	;; [unrolled: 1-line block ×3, first 2 shown]
	global_store_dwordx2 v6, v[4:5], s[14:15] offset:56
	s_and_saveexec_b32 s14, s13
	s_cbranch_execz .LBB0_275
; %bb.268:                              ;   in Loop: Header=BB0_62 Depth=5
	s_clause 0x1
	global_load_dwordx2 v[114:115], v4, s[28:29] offset:32 glc dlc
	global_load_dwordx2 v[2:3], v4, s[28:29] offset:40
	v_mov_b32_e32 v112, s40
	v_mov_b32_e32 v113, s41
	s_mov_b32 s15, exec_lo
	s_waitcnt vmcnt(0)
	v_and_b32_e32 v3, s41, v3
	v_and_b32_e32 v2, s40, v2
	v_mul_lo_u32 v3, v3, 24
	v_mul_hi_u32 v5, v2, 24
	v_mul_lo_u32 v2, v2, 24
	v_add_nc_u32_e32 v3, v5, v3
	v_add_co_u32 v2, vcc_lo, v24, v2
	v_add_co_ci_u32_e64 v3, null, v25, v3, vcc_lo
	global_store_dwordx2 v[2:3], v[114:115], off
	s_waitcnt_vscnt null, 0x0
	global_atomic_cmpswap_x2 v[26:27], v4, v[112:115], s[28:29] offset:32 glc
	s_waitcnt vmcnt(0)
	v_cmpx_ne_u64_e64 v[26:27], v[114:115]
	s_cbranch_execz .LBB0_271
; %bb.269:                              ;   in Loop: Header=BB0_62 Depth=5
	s_mov_b32 s17, 0
.LBB0_270:                              ;   Parent Loop BB0_3 Depth=1
                                        ;     Parent Loop BB0_6 Depth=2
                                        ;       Parent Loop BB0_11 Depth=3
                                        ;         Parent Loop BB0_37 Depth=4
                                        ;           Parent Loop BB0_62 Depth=5
                                        ; =>          This Inner Loop Header: Depth=6
	v_mov_b32_e32 v24, s40
	v_mov_b32_e32 v25, s41
	s_sleep 1
	global_store_dwordx2 v[2:3], v[26:27], off
	s_waitcnt_vscnt null, 0x0
	global_atomic_cmpswap_x2 v[5:6], v4, v[24:27], s[28:29] offset:32 glc
	s_waitcnt vmcnt(0)
	v_cmp_eq_u64_e32 vcc_lo, v[5:6], v[26:27]
	v_mov_b32_e32 v27, v6
	v_mov_b32_e32 v26, v5
	s_or_b32 s17, vcc_lo, s17
	s_andn2_b32 exec_lo, exec_lo, s17
	s_cbranch_execnz .LBB0_270
.LBB0_271:                              ;   in Loop: Header=BB0_62 Depth=5
	s_or_b32 exec_lo, exec_lo, s15
	global_load_dwordx2 v[5:6], v4, s[28:29] offset:16
	s_mov_b32 s17, exec_lo
	s_mov_b32 s15, exec_lo
	v_mbcnt_lo_u32_b32 v2, s17, 0
	v_cmpx_eq_u32_e32 0, v2
	s_cbranch_execz .LBB0_273
; %bb.272:                              ;   in Loop: Header=BB0_62 Depth=5
	s_bcnt1_i32_b32 s17, s17
	v_mov_b32_e32 v3, s17
	s_waitcnt vmcnt(0)
	global_atomic_add_x2 v[5:6], v[3:4], off offset:8
.LBB0_273:                              ;   in Loop: Header=BB0_62 Depth=5
	s_or_b32 exec_lo, exec_lo, s15
	s_waitcnt vmcnt(0)
	global_load_dwordx2 v[16:17], v[5:6], off offset:16
	s_waitcnt vmcnt(0)
	v_cmp_eq_u64_e32 vcc_lo, 0, v[16:17]
	s_cbranch_vccnz .LBB0_275
; %bb.274:                              ;   in Loop: Header=BB0_62 Depth=5
	global_load_dword v3, v[5:6], off offset:24
	s_waitcnt vmcnt(0)
	v_readfirstlane_b32 s15, v3
	s_waitcnt_vscnt null, 0x0
	global_store_dwordx2 v[16:17], v[3:4], off
	s_and_b32 m0, s15, 0x7fffff
	s_sendmsg sendmsg(MSG_INTERRUPT)
.LBB0_275:                              ;   in Loop: Header=BB0_62 Depth=5
	s_or_b32 exec_lo, exec_lo, s14
.LBB0_276:                              ;   Parent Loop BB0_3 Depth=1
                                        ;     Parent Loop BB0_6 Depth=2
                                        ;       Parent Loop BB0_11 Depth=3
                                        ;         Parent Loop BB0_37 Depth=4
                                        ;           Parent Loop BB0_62 Depth=5
                                        ; =>          This Inner Loop Header: Depth=6
	v_mov_b32_e32 v2, 1
	s_and_saveexec_b32 s14, s13
	s_cbranch_execz .LBB0_278
; %bb.277:                              ;   in Loop: Header=BB0_276 Depth=6
	global_load_dword v2, v[13:14], off offset:20 glc dlc
	s_waitcnt vmcnt(0)
	buffer_gl1_inv
	buffer_gl0_inv
	v_and_b32_e32 v2, 1, v2
.LBB0_278:                              ;   in Loop: Header=BB0_276 Depth=6
	s_or_b32 exec_lo, exec_lo, s14
	v_readfirstlane_b32 s14, v2
	s_cmp_eq_u32 s14, 0
	s_cbranch_scc1 .LBB0_280
; %bb.279:                              ;   in Loop: Header=BB0_276 Depth=6
	s_mov_b32 s14, 0
	s_sleep 1
	s_branch .LBB0_281
.LBB0_280:                              ;   in Loop: Header=BB0_276 Depth=6
	s_mov_b32 s14, -1
.LBB0_281:                              ;   in Loop: Header=BB0_276 Depth=6
	s_andn2_b32 vcc_lo, exec_lo, s14
	s_cbranch_vccnz .LBB0_276
; %bb.282:                              ;   in Loop: Header=BB0_62 Depth=5
	s_and_b32 exec_lo, exec_lo, s13
	s_cbranch_execz .LBB0_286
; %bb.283:                              ;   in Loop: Header=BB0_62 Depth=5
	s_clause 0x2
	global_load_dwordx2 v[2:3], v4, s[28:29] offset:40
	global_load_dwordx2 v[114:115], v4, s[28:29] offset:24 glc dlc
	global_load_dwordx2 v[5:6], v4, s[28:29]
	s_waitcnt vmcnt(2)
	v_readfirstlane_b32 s18, v2
	v_readfirstlane_b32 s19, v3
	s_add_u32 s13, s18, 1
	s_addc_u32 s17, s19, 0
	s_add_u32 s14, s13, s40
	s_addc_u32 s15, s17, s41
	s_cmp_eq_u64 s[14:15], 0
	s_cselect_b32 s15, s17, s15
	s_cselect_b32 s14, s13, s14
	v_mov_b32_e32 v113, s15
	s_and_b64 s[18:19], s[14:15], s[18:19]
	v_mov_b32_e32 v112, s14
	s_mul_i32 s13, s19, 24
	s_mul_hi_u32 s17, s18, 24
	s_mul_i32 s18, s18, 24
	s_add_i32 s17, s17, s13
	s_waitcnt vmcnt(0)
	v_add_co_u32 v2, vcc_lo, v5, s18
	v_add_co_ci_u32_e64 v3, null, s17, v6, vcc_lo
	global_store_dwordx2 v[2:3], v[114:115], off
	s_waitcnt_vscnt null, 0x0
	global_atomic_cmpswap_x2 v[26:27], v4, v[112:115], s[28:29] offset:24 glc
	s_waitcnt vmcnt(0)
	v_cmp_ne_u64_e32 vcc_lo, v[26:27], v[114:115]
	s_and_b32 exec_lo, exec_lo, vcc_lo
	s_cbranch_execz .LBB0_286
; %bb.284:                              ;   in Loop: Header=BB0_62 Depth=5
	s_mov_b32 s13, 0
.LBB0_285:                              ;   Parent Loop BB0_3 Depth=1
                                        ;     Parent Loop BB0_6 Depth=2
                                        ;       Parent Loop BB0_11 Depth=3
                                        ;         Parent Loop BB0_37 Depth=4
                                        ;           Parent Loop BB0_62 Depth=5
                                        ; =>          This Inner Loop Header: Depth=6
	v_mov_b32_e32 v24, s14
	v_mov_b32_e32 v25, s15
	s_sleep 1
	global_store_dwordx2 v[2:3], v[26:27], off
	s_waitcnt_vscnt null, 0x0
	global_atomic_cmpswap_x2 v[5:6], v4, v[24:27], s[28:29] offset:24 glc
	s_waitcnt vmcnt(0)
	v_cmp_eq_u64_e32 vcc_lo, v[5:6], v[26:27]
	v_mov_b32_e32 v27, v6
	v_mov_b32_e32 v26, v5
	s_or_b32 s13, vcc_lo, s13
	s_andn2_b32 exec_lo, exec_lo, s13
	s_cbranch_execnz .LBB0_285
.LBB0_286:                              ;   in Loop: Header=BB0_62 Depth=5
	s_or_b32 exec_lo, exec_lo, s77
	v_mov_b32_e32 v13, v84
	v_mov_b32_e32 v14, v85
	s_mov_b32 s13, -1
	s_branch .LBB0_289
.LBB0_287:                              ;   in Loop: Header=BB0_62 Depth=5
	v_mov_b32_e32 v13, 0
	v_mov_b32_e32 v14, 0
.LBB0_288:                              ;   in Loop: Header=BB0_62 Depth=5
	s_mov_b32 s13, 0
.LBB0_289:                              ;   in Loop: Header=BB0_62 Depth=5
	v_mov_b32_e32 v85, v14
	v_mov_b32_e32 v84, v13
.LBB0_290:                              ;   in Loop: Header=BB0_62 Depth=5
	s_xor_b32 s13, s13, -1
	s_andn2_b32 vcc_lo, exec_lo, s13
	s_cbranch_vccnz .LBB0_62
; %bb.291:                              ;   in Loop: Header=BB0_37 Depth=4
	v_cmp_ne_u64_e64 s17, 1, v[84:85]
	s_and_b32 vcc_lo, exec_lo, s17
	s_cbranch_vccz .LBB0_294
; %bb.292:                              ;   in Loop: Header=BB0_37 Depth=4
	v_mov_b32_e32 v52, v84
	v_mov_b32_e32 v53, v85
	s_branch .LBB0_314
.LBB0_293:                              ;   in Loop: Header=BB0_37 Depth=4
                                        ; implicit-def: $sgpr75
	s_branch .LBB0_314
.LBB0_294:                              ;   in Loop: Header=BB0_37 Depth=4
	v_mbcnt_lo_u32_b32 v2, exec_lo, 0
	s_mov_b32 s18, exec_lo
	v_cmpx_eq_u32_e32 0, v2
	s_cbranch_execz .LBB0_311
; %bb.295:                              ;   in Loop: Header=BB0_37 Depth=4
	global_load_dwordx2 v[2:3], v[82:83], off glc dlc
	s_memrealtime s[12:13]
	s_waitcnt vmcnt(0) lgkmcnt(0)
	v_sub_co_u32 v2, vcc_lo, s12, v2
	v_sub_co_ci_u32_e64 v3, null, s13, v3, vcc_lo
	v_cmp_gt_u64_e32 vcc_lo, 0x4e20, v[2:3]
	s_and_b32 exec_lo, exec_lo, vcc_lo
	s_cbranch_execz .LBB0_311
; %bb.296:                              ;   in Loop: Header=BB0_37 Depth=4
	s_memrealtime s[14:15]
	v_readfirstlane_b32 s12, v2
	s_sub_i32 s12, 0x4e20, s12
	s_waitcnt lgkmcnt(0)
	s_add_u32 s12, s12, s14
	s_addc_u32 s13, 0, s15
	s_add_u32 s28, s14, 0x659
	s_addc_u32 s29, 0, s15
.LBB0_297:                              ;   Parent Loop BB0_3 Depth=1
                                        ;     Parent Loop BB0_6 Depth=2
                                        ;       Parent Loop BB0_11 Depth=3
                                        ;         Parent Loop BB0_37 Depth=4
                                        ; =>        This Inner Loop Header: Depth=5
	v_cmp_le_u64_e64 s19, s[12:13], s[28:29]
	s_and_b32 vcc_lo, exec_lo, s19
	s_cbranch_vccnz .LBB0_300
; %bb.298:                              ;   in Loop: Header=BB0_297 Depth=5
	s_sleep 0x7f
	s_memrealtime s[14:15]
	s_waitcnt lgkmcnt(0)
	s_add_u32 s28, s14, 0x659
	s_addc_u32 s29, s15, 0
	s_branch .LBB0_297
.LBB0_299:                              ;   in Loop: Header=BB0_300 Depth=5
	s_sleep 63
	s_memrealtime s[14:15]
.LBB0_300:                              ;   Parent Loop BB0_3 Depth=1
                                        ;     Parent Loop BB0_6 Depth=2
                                        ;       Parent Loop BB0_11 Depth=3
                                        ;         Parent Loop BB0_37 Depth=4
                                        ; =>        This Inner Loop Header: Depth=5
	s_waitcnt lgkmcnt(0)
	s_add_u32 s28, s14, 0x326
	s_addc_u32 s29, s15, 0
	v_cmp_le_u64_e64 s19, s[12:13], s[28:29]
	s_and_b32 vcc_lo, exec_lo, s19
	s_cbranch_vccz .LBB0_299
; %bb.301:                              ;   in Loop: Header=BB0_37 Depth=4
	s_add_u32 s28, s14, 0x18c
	s_addc_u32 s29, s15, 0
	v_cmp_le_u64_e64 s19, s[12:13], s[28:29]
	s_and_b32 vcc_lo, exec_lo, s19
	s_cbranch_vccnz .LBB0_304
.LBB0_302:                              ;   Parent Loop BB0_3 Depth=1
                                        ;     Parent Loop BB0_6 Depth=2
                                        ;       Parent Loop BB0_11 Depth=3
                                        ;         Parent Loop BB0_37 Depth=4
                                        ; =>        This Inner Loop Header: Depth=5
	s_sleep 31
	s_memrealtime s[14:15]
	s_waitcnt lgkmcnt(0)
	s_add_u32 s28, s14, 0x18c
	s_addc_u32 s29, s15, 0
	v_cmp_gt_u64_e64 s19, s[12:13], s[28:29]
	s_and_b32 vcc_lo, exec_lo, s19
	s_cbranch_vccnz .LBB0_302
	s_branch .LBB0_304
.LBB0_303:                              ;   in Loop: Header=BB0_304 Depth=5
	s_sleep 15
	s_memrealtime s[14:15]
.LBB0_304:                              ;   Parent Loop BB0_3 Depth=1
                                        ;     Parent Loop BB0_6 Depth=2
                                        ;       Parent Loop BB0_11 Depth=3
                                        ;         Parent Loop BB0_37 Depth=4
                                        ; =>        This Inner Loop Header: Depth=5
	s_waitcnt lgkmcnt(0)
	s_add_u32 s28, s14, 0xc0
	s_addc_u32 s29, s15, 0
	v_cmp_le_u64_e64 s19, s[12:13], s[28:29]
	s_and_b32 vcc_lo, exec_lo, s19
	s_cbranch_vccz .LBB0_303
	s_branch .LBB0_306
.LBB0_305:                              ;   in Loop: Header=BB0_306 Depth=5
	s_sleep 7
	s_memrealtime s[14:15]
.LBB0_306:                              ;   Parent Loop BB0_3 Depth=1
                                        ;     Parent Loop BB0_6 Depth=2
                                        ;       Parent Loop BB0_11 Depth=3
                                        ;         Parent Loop BB0_37 Depth=4
                                        ; =>        This Inner Loop Header: Depth=5
	s_waitcnt lgkmcnt(0)
	s_add_u32 s28, s14, 0x59
	s_addc_u32 s29, s15, 0
	v_cmp_le_u64_e64 s19, s[12:13], s[28:29]
	s_and_b32 vcc_lo, exec_lo, s19
	s_cbranch_vccz .LBB0_305
	;; [unrolled: 15-line block ×3, first 2 shown]
; %bb.309:                              ;   in Loop: Header=BB0_37 Depth=4
	v_cmp_le_u64_e64 s14, s[12:13], s[14:15]
	s_and_b32 vcc_lo, exec_lo, s14
	s_cbranch_vccnz .LBB0_311
.LBB0_310:                              ;   Parent Loop BB0_3 Depth=1
                                        ;     Parent Loop BB0_6 Depth=2
                                        ;       Parent Loop BB0_11 Depth=3
                                        ;         Parent Loop BB0_37 Depth=4
                                        ; =>        This Inner Loop Header: Depth=5
	s_sleep 1
	s_memrealtime s[14:15]
	s_waitcnt lgkmcnt(0)
	v_cmp_gt_u64_e64 s14, s[12:13], s[14:15]
	s_and_b32 vcc_lo, exec_lo, s14
	s_cbranch_vccnz .LBB0_310
.LBB0_311:                              ;   in Loop: Header=BB0_37 Depth=4
	s_or_b32 exec_lo, exec_lo, s18
	v_mov_b32_e32 v2, s75
	s_and_saveexec_b32 s12, s7
	s_cbranch_execz .LBB0_313
; %bb.312:                              ;   in Loop: Header=BB0_37 Depth=4
	global_load_dword v2, v[68:69], off glc dlc
.LBB0_313:                              ;   in Loop: Header=BB0_37 Depth=4
	s_or_b32 exec_lo, exec_lo, s12
	s_waitcnt vmcnt(0)
	v_readfirstlane_b32 s75, v2
.LBB0_314:                              ;   in Loop: Header=BB0_37 Depth=4
	s_and_b32 vcc_lo, exec_lo, s17
	s_cbranch_vccz .LBB0_37
; %bb.315:                              ;   in Loop: Header=BB0_11 Depth=3
	v_mov_b32_e32 v20, v9
	s_mov_b32 s7, 0
.LBB0_316:                              ;   in Loop: Header=BB0_11 Depth=3
	v_mov_b32_e32 v5, v52
	v_mov_b32_e32 v6, v53
	;; [unrolled: 1-line block ×3, first 2 shown]
	s_and_b32 s7, s7, exec_lo
.LBB0_317:                              ;   in Loop: Header=BB0_11 Depth=3
	s_or_b32 exec_lo, exec_lo, s74
	v_mov_b32_e32 v53, v6
	v_mov_b32_e32 v52, v5
.LBB0_318:                              ;   in Loop: Header=BB0_11 Depth=3
	s_xor_b32 s7, s7, -1
	s_and_b32 s7, exec_lo, s7
	s_or_b32 s72, s7, s72
	s_andn2_b32 exec_lo, exec_lo, s72
	s_cbranch_execnz .LBB0_11
; %bb.319:                              ;   in Loop: Header=BB0_6 Depth=2
	s_or_b32 exec_lo, exec_lo, s72
	s_mov_b32 s6, 0
.LBB0_320:                              ;   in Loop: Header=BB0_6 Depth=2
	s_and_b32 vcc_lo, exec_lo, s6
	s_cbranch_vccz .LBB0_600
; %bb.321:                              ;   in Loop: Header=BB0_6 Depth=2
	v_mbcnt_lo_u32_b32 v54, exec_lo, 0
	s_bcnt1_i32_b32 s40, exec_lo
                                        ; implicit-def: $vgpr52_vgpr53
	v_cmp_eq_u32_e64 s6, 0, v54
.LBB0_322:                              ;   Parent Loop BB0_3 Depth=1
                                        ;     Parent Loop BB0_6 Depth=2
                                        ; =>    This Loop Header: Depth=3
                                        ;         Child Loop BB0_326 Depth 4
                                        ;         Child Loop BB0_347 Depth 4
                                        ;           Child Loop BB0_365 Depth 5
                                        ;           Child Loop BB0_373 Depth 5
	;; [unrolled: 1-line block ×29, first 2 shown]
                                        ;         Child Loop BB0_582 Depth 4
                                        ;         Child Loop BB0_585 Depth 4
                                        ;         Child Loop BB0_587 Depth 4
                                        ;         Child Loop BB0_589 Depth 4
                                        ;         Child Loop BB0_591 Depth 4
                                        ;         Child Loop BB0_593 Depth 4
                                        ;         Child Loop BB0_595 Depth 4
	s_cmp_eq_u32 s63, 0
	s_mov_b32 s7, -1
	s_cbranch_scc1 .LBB0_344
; %bb.323:                              ;   in Loop: Header=BB0_322 Depth=3
	v_mov_b32_e32 v2, 0
	s_and_saveexec_b32 s10, s6
	s_cbranch_execz .LBB0_325
; %bb.324:                              ;   in Loop: Header=BB0_322 Depth=3
	global_load_dword v2, v[30:31], off glc dlc
.LBB0_325:                              ;   in Loop: Header=BB0_322 Depth=3
	s_or_b32 exec_lo, exec_lo, s10
	global_load_dword v5, v[32:33], off offset:8
	v_cvt_f32_u32_e32 v3, s63
	s_sub_i32 s10, 0, s63
	v_rcp_iflag_f32_e32 v3, v3
	v_mul_f32_e32 v3, 0x4f7ffffe, v3
	v_cvt_u32_f32_e32 v3, v3
	v_mul_lo_u32 v6, s10, v3
	s_waitcnt vmcnt(1)
	v_readfirstlane_b32 s10, v2
	v_add_nc_u32_e32 v2, s10, v54
	s_mov_b32 s10, s63
	v_mul_hi_u32 v6, v3, v6
	v_add_nc_u32_e32 v6, v3, v6
	v_mul_hi_u32 v3, v2, v6
	v_mul_lo_u32 v3, v3, s63
	v_sub_nc_u32_e32 v2, v2, v3
	v_subrev_nc_u32_e32 v3, s63, v2
	v_cmp_le_u32_e32 vcc_lo, s63, v2
	v_cndmask_b32_e32 v2, v2, v3, vcc_lo
	v_subrev_nc_u32_e32 v3, s63, v2
	v_cmp_le_u32_e32 vcc_lo, s63, v2
	v_cndmask_b32_e32 v13, v2, v3, vcc_lo
.LBB0_326:                              ;   Parent Loop BB0_3 Depth=1
                                        ;     Parent Loop BB0_6 Depth=2
                                        ;       Parent Loop BB0_322 Depth=3
                                        ; =>      This Inner Loop Header: Depth=4
	v_mov_b32_e32 v2, v34
	v_mov_b32_e32 v14, v13
	;; [unrolled: 1-line block ×3, first 2 shown]
	s_mov_b32 s11, exec_lo
	v_cmpx_lt_u32_e32 0xff, v13
	s_cbranch_execz .LBB0_328
; %bb.327:                              ;   in Loop: Header=BB0_326 Depth=4
	v_add_nc_u32_e32 v2, 0xffffff00, v13
	v_and_b32_e32 v14, 0xff, v13
	v_lshrrev_b32_e32 v2, 8, v2
	v_mad_u64_u32 v[2:3], null, v2, 24, v[34:35]
	global_load_dwordx2 v[2:3], v[2:3], off glc dlc
.LBB0_328:                              ;   in Loop: Header=BB0_326 Depth=4
	s_or_b32 exec_lo, exec_lo, s11
	s_waitcnt vmcnt(0)
	v_mad_u64_u32 v[2:3], null, v14, 24, v[2:3]
	global_load_dword v2, v[2:3], off offset:16 glc dlc
	s_waitcnt vmcnt(0)
	v_cmp_lt_u32_e32 vcc_lo, v2, v5
	s_cbranch_vccz .LBB0_330
; %bb.329:                              ;   in Loop: Header=BB0_326 Depth=4
	s_ff1_i32_b32 s11, vcc_lo
	s_lshl_b32 s11, s11, 2
	v_mov_b32_e32 v2, s11
	ds_bpermute_b32 v2, v2, v13
	s_branch .LBB0_331
.LBB0_330:                              ;   in Loop: Header=BB0_326 Depth=4
	v_mov_b32_e32 v2, -1
.LBB0_331:                              ;   in Loop: Header=BB0_326 Depth=4
	s_waitcnt lgkmcnt(0)
	v_readfirstlane_b32 s12, v2
	s_mov_b32 s13, -1
                                        ; implicit-def: $vgpr2_vgpr3
	s_cmp_eq_u32 s12, -1
	s_cselect_b32 s11, -1, 0
	s_and_b32 vcc_lo, exec_lo, s11
	s_cbranch_vccnz .LBB0_335
; %bb.332:                              ;   in Loop: Header=BB0_326 Depth=4
	v_mov_b32_e32 v2, v34
	v_mov_b32_e32 v3, v35
	s_cmpk_lt_u32 s12, 0x100
	s_cbranch_scc1 .LBB0_334
; %bb.333:                              ;   in Loop: Header=BB0_326 Depth=4
	s_add_i32 s13, s12, 0xffffff00
	s_and_b32 s12, s12, 0xff
	s_lshr_b32 s13, s13, 8
	v_mad_u64_u32 v[2:3], null, s13, 24, v[34:35]
	global_load_dwordx2 v[2:3], v[2:3], off glc dlc
.LBB0_334:                              ;   in Loop: Header=BB0_326 Depth=4
	s_waitcnt vmcnt(0)
	v_mad_u64_u32 v[2:3], null, s12, 24, v[2:3]
	s_mov_b32 s13, 0
.LBB0_335:                              ;   in Loop: Header=BB0_326 Depth=4
	s_and_b32 vcc_lo, exec_lo, s13
	s_cbranch_vccz .LBB0_339
; %bb.336:                              ;   in Loop: Header=BB0_326 Depth=4
	v_add_nc_u32_e32 v2, s40, v13
	v_mul_hi_u32 v3, v2, v6
	v_mul_lo_u32 v3, v3, s63
	v_sub_nc_u32_e32 v2, v2, v3
	v_subrev_nc_u32_e32 v3, s63, v2
	v_cmp_le_u32_e32 vcc_lo, s63, v2
	v_cndmask_b32_e32 v2, v2, v3, vcc_lo
	v_subrev_nc_u32_e32 v3, s63, v2
	v_cmp_le_u32_e32 vcc_lo, s63, v2
	v_cndmask_b32_e32 v13, v2, v3, vcc_lo
	s_and_saveexec_b32 s12, s6
	s_cbranch_execz .LBB0_338
; %bb.337:                              ;   in Loop: Header=BB0_326 Depth=4
	global_store_dword v[30:31], v13, off
.LBB0_338:                              ;   in Loop: Header=BB0_326 Depth=4
	s_or_b32 exec_lo, exec_lo, s12
	s_sub_i32 s10, s10, s40
	s_branch .LBB0_340
.LBB0_339:                              ;   in Loop: Header=BB0_326 Depth=4
	v_mov_b32_e32 v53, v3
	v_mov_b32_e32 v52, v2
.LBB0_340:                              ;   in Loop: Header=BB0_326 Depth=4
	s_mov_b32 s12, -1
	s_andn2_b32 vcc_lo, exec_lo, s11
	s_mov_b32 s11, -1
	s_cbranch_vccnz .LBB0_342
; %bb.341:                              ;   in Loop: Header=BB0_326 Depth=4
	s_cmp_lt_i32 s10, 1
	s_mov_b32 s12, 0
	s_cselect_b32 s11, -1, 0
.LBB0_342:                              ;   in Loop: Header=BB0_326 Depth=4
	s_andn2_b32 vcc_lo, exec_lo, s11
	s_cbranch_vccnz .LBB0_326
; %bb.343:                              ;   in Loop: Header=BB0_322 Depth=3
	s_xor_b32 s10, s12, -1
	s_branch .LBB0_345
.LBB0_344:                              ;   in Loop: Header=BB0_322 Depth=3
	s_mov_b32 s10, -1
.LBB0_345:                              ;   in Loop: Header=BB0_322 Depth=3
	s_and_b32 vcc_lo, exec_lo, s10
	s_cbranch_vccz .LBB0_578
; %bb.346:                              ;   in Loop: Header=BB0_322 Depth=3
	v_mbcnt_lo_u32_b32 v2, exec_lo, 0
                                        ; implicit-def: $vgpr24_vgpr25
	v_cmp_eq_u32_e64 s7, 0, v2
.LBB0_347:                              ;   Parent Loop BB0_3 Depth=1
                                        ;     Parent Loop BB0_6 Depth=2
                                        ;       Parent Loop BB0_322 Depth=3
                                        ; =>      This Loop Header: Depth=4
                                        ;           Child Loop BB0_365 Depth 5
                                        ;           Child Loop BB0_373 Depth 5
	;; [unrolled: 1-line block ×29, first 2 shown]
	v_mov_b32_e32 v2, 0
	s_and_saveexec_b32 s10, s7
	s_cbranch_execz .LBB0_349
; %bb.348:                              ;   in Loop: Header=BB0_347 Depth=4
	global_load_dword v2, v[28:29], off glc dlc
.LBB0_349:                              ;   in Loop: Header=BB0_347 Depth=4
	s_or_b32 exec_lo, exec_lo, s10
	s_waitcnt vmcnt(0)
	v_readfirstlane_b32 s41, v2
	s_cmp_eq_u32 s41, 0x10100
	s_cbranch_scc1 .LBB0_459
; %bb.350:                              ;   in Loop: Header=BB0_347 Depth=4
	v_mov_b32_e32 v2, 0
	s_and_saveexec_b32 s10, s7
	s_cbranch_execz .LBB0_352
; %bb.351:                              ;   in Loop: Header=BB0_347 Depth=4
	v_mov_b32_e32 v51, v4
	global_atomic_cmpswap v2, v[36:37], v[50:51], off glc
	s_waitcnt vmcnt(0)
	v_cmp_ne_u32_e32 vcc_lo, 0, v2
	v_cndmask_b32_e32 v2, 0x100, v2, vcc_lo
.LBB0_352:                              ;   in Loop: Header=BB0_347 Depth=4
	s_or_b32 exec_lo, exec_lo, s10
	v_readfirstlane_b32 s72, v2
	s_cmp_lg_u32 s41, s72
	s_cbranch_scc1 .LBB0_460
; %bb.353:                              ;   in Loop: Header=BB0_347 Depth=4
	v_mbcnt_lo_u32_b32 v3, exec_lo, 0
	v_mov_b32_e32 v2, 0
	v_cmp_eq_u32_e64 s10, 0, v3
	s_and_saveexec_b32 s11, s10
	s_cbranch_execz .LBB0_355
; %bb.354:                              ;   in Loop: Header=BB0_347 Depth=4
	global_load_dword v2, v[36:37], off glc dlc
.LBB0_355:                              ;   in Loop: Header=BB0_347 Depth=4
	s_or_b32 exec_lo, exec_lo, s11
	s_waitcnt vmcnt(0)
	v_readfirstlane_b32 s28, v2
	s_mov_b32 s15, 2
	s_cmp_eq_u32 s28, 0x10100
	s_cbranch_scc1 .LBB0_440
; %bb.356:                              ;   in Loop: Header=BB0_347 Depth=4
	v_mov_b32_e32 v2, 1
	s_and_saveexec_b32 s11, s10
	s_cbranch_execz .LBB0_360
; %bb.357:                              ;   in Loop: Header=BB0_347 Depth=4
	global_load_dwordx2 v[21:22], v[38:39], off glc dlc
	s_memrealtime s[12:13]
	s_waitcnt vmcnt(0) lgkmcnt(0)
	v_sub_co_u32 v2, vcc_lo, s12, v21
	v_sub_co_ci_u32_e64 v3, null, s13, v22, vcc_lo
	v_cmp_lt_u64_e32 vcc_lo, 0x752f, v[2:3]
	v_mov_b32_e32 v2, 1
	s_and_saveexec_b32 s14, vcc_lo
	s_cbranch_execz .LBB0_359
; %bb.358:                              ;   in Loop: Header=BB0_347 Depth=4
	v_mov_b32_e32 v19, s12
	v_mov_b32_e32 v20, s13
	global_atomic_cmpswap_x2 v[2:3], v[38:39], v[19:22], off glc
	s_waitcnt vmcnt(0)
	v_cmp_eq_u64_e32 vcc_lo, v[2:3], v[21:22]
	v_cndmask_b32_e64 v2, 1, 2, vcc_lo
.LBB0_359:                              ;   in Loop: Header=BB0_347 Depth=4
	s_or_b32 exec_lo, exec_lo, s14
.LBB0_360:                              ;   in Loop: Header=BB0_347 Depth=4
	s_or_b32 exec_lo, exec_lo, s11
	v_readfirstlane_b32 s73, v2
	s_mov_b32 s15, 1
	s_cmp_eq_u32 s73, 1
	s_cbranch_scc1 .LBB0_440
; %bb.361:                              ;   in Loop: Header=BB0_347 Depth=4
	v_mov_b32_e32 v3, 0
	v_mov_b32_e32 v2, v3
	s_and_saveexec_b32 s29, s10
	s_cbranch_execz .LBB0_390
; %bb.362:                              ;   in Loop: Header=BB0_347 Depth=4
	s_load_dwordx2 s[12:13], s[8:9], 0x50
	v_readfirstlane_b32 s11, v96
	v_mov_b32_e32 v2, 0
	v_mov_b32_e32 v3, 0
	v_cmp_eq_u32_e64 s11, s11, v96
	s_and_saveexec_b32 s14, s11
	s_cbranch_execz .LBB0_368
; %bb.363:                              ;   in Loop: Header=BB0_347 Depth=4
	s_waitcnt lgkmcnt(0)
	global_load_dwordx2 v[21:22], v4, s[12:13] offset:24 glc dlc
	s_waitcnt vmcnt(0)
	buffer_gl1_inv
	buffer_gl0_inv
	s_clause 0x1
	global_load_dwordx2 v[2:3], v4, s[12:13] offset:40
	global_load_dwordx2 v[5:6], v4, s[12:13]
	s_mov_b32 s15, exec_lo
	s_waitcnt vmcnt(1)
	v_and_b32_e32 v3, v3, v22
	v_and_b32_e32 v2, v2, v21
	v_mul_lo_u32 v3, v3, 24
	v_mul_hi_u32 v13, v2, 24
	v_mul_lo_u32 v2, v2, 24
	v_add_nc_u32_e32 v3, v13, v3
	s_waitcnt vmcnt(0)
	v_add_co_u32 v2, vcc_lo, v5, v2
	v_add_co_ci_u32_e64 v3, null, v6, v3, vcc_lo
	global_load_dwordx2 v[19:20], v[2:3], off glc dlc
	s_waitcnt vmcnt(0)
	global_atomic_cmpswap_x2 v[2:3], v4, v[19:22], s[12:13] offset:24 glc
	s_waitcnt vmcnt(0)
	buffer_gl1_inv
	buffer_gl0_inv
	v_cmpx_ne_u64_e64 v[2:3], v[21:22]
	s_cbranch_execz .LBB0_367
; %bb.364:                              ;   in Loop: Header=BB0_347 Depth=4
	s_mov_b32 s17, 0
.LBB0_365:                              ;   Parent Loop BB0_3 Depth=1
                                        ;     Parent Loop BB0_6 Depth=2
                                        ;       Parent Loop BB0_322 Depth=3
                                        ;         Parent Loop BB0_347 Depth=4
                                        ; =>        This Inner Loop Header: Depth=5
	s_sleep 1
	s_clause 0x1
	global_load_dwordx2 v[5:6], v4, s[12:13] offset:40
	global_load_dwordx2 v[13:14], v4, s[12:13]
	v_mov_b32_e32 v22, v3
	v_mov_b32_e32 v21, v2
	s_waitcnt vmcnt(1)
	v_and_b32_e32 v2, v5, v21
	v_and_b32_e32 v5, v6, v22
	s_waitcnt vmcnt(0)
	v_mad_u64_u32 v[2:3], null, v2, 24, v[13:14]
	v_mad_u64_u32 v[5:6], null, v5, 24, v[3:4]
	v_mov_b32_e32 v3, v5
	global_load_dwordx2 v[19:20], v[2:3], off glc dlc
	s_waitcnt vmcnt(0)
	global_atomic_cmpswap_x2 v[2:3], v4, v[19:22], s[12:13] offset:24 glc
	s_waitcnt vmcnt(0)
	buffer_gl1_inv
	buffer_gl0_inv
	v_cmp_eq_u64_e32 vcc_lo, v[2:3], v[21:22]
	s_or_b32 s17, vcc_lo, s17
	s_andn2_b32 exec_lo, exec_lo, s17
	s_cbranch_execnz .LBB0_365
; %bb.366:                              ;   in Loop: Header=BB0_347 Depth=4
	s_or_b32 exec_lo, exec_lo, s17
.LBB0_367:                              ;   in Loop: Header=BB0_347 Depth=4
	s_or_b32 exec_lo, exec_lo, s15
.LBB0_368:                              ;   in Loop: Header=BB0_347 Depth=4
	s_or_b32 exec_lo, exec_lo, s14
	s_waitcnt lgkmcnt(0)
	s_clause 0x1
	global_load_dwordx2 v[5:6], v4, s[12:13] offset:40
	global_load_dwordx4 v[19:22], v4, s[12:13]
	v_readfirstlane_b32 s15, v3
	v_readfirstlane_b32 s14, v2
	s_mov_b32 s17, exec_lo
	s_waitcnt vmcnt(1)
	v_readfirstlane_b32 s18, v5
	v_readfirstlane_b32 s19, v6
	s_and_b64 s[18:19], s[18:19], s[14:15]
	s_mul_i32 s74, s19, 24
	s_mul_hi_u32 s75, s18, 24
	s_mul_i32 s76, s18, 24
	s_add_i32 s75, s75, s74
	s_waitcnt vmcnt(0)
	v_add_co_u32 v26, vcc_lo, v19, s76
	v_add_co_ci_u32_e64 v27, null, s75, v20, vcc_lo
	s_and_saveexec_b32 s74, s11
	s_cbranch_execz .LBB0_370
; %bb.369:                              ;   in Loop: Header=BB0_347 Depth=4
	v_mov_b32_e32 v3, s17
	v_mov_b32_e32 v6, v4
	;; [unrolled: 1-line block ×3, first 2 shown]
	global_store_dwordx4 v[26:27], v[5:8], off offset:8
.LBB0_370:                              ;   in Loop: Header=BB0_347 Depth=4
	s_or_b32 exec_lo, exec_lo, s74
	s_lshl_b64 s[18:19], s[18:19], 12
	s_mov_b32 s17, s16
	v_add_co_u32 v17, vcc_lo, v21, s18
	v_add_co_ci_u32_e64 v23, null, s19, v22, vcc_lo
	s_mov_b32 s19, s16
	s_mov_b32 s18, s16
	v_lshlrev_b32_e32 v51, 6, v96
	v_mov_b32_e32 v13, v4
	v_mov_b32_e32 v14, v4
	;; [unrolled: 1-line block ×3, first 2 shown]
	v_readfirstlane_b32 s74, v17
	v_readfirstlane_b32 s75, v23
	v_mov_b32_e32 v67, s19
	v_mov_b32_e32 v66, s18
	;; [unrolled: 1-line block ×4, first 2 shown]
	global_store_dwordx4 v51, v[13:16], s[74:75]
	global_store_dwordx4 v51, v[64:67], s[74:75] offset:16
	global_store_dwordx4 v51, v[64:67], s[74:75] offset:32
	;; [unrolled: 1-line block ×3, first 2 shown]
	s_and_saveexec_b32 s17, s11
	s_cbranch_execz .LBB0_378
; %bb.371:                              ;   in Loop: Header=BB0_347 Depth=4
	s_clause 0x1
	global_load_dwordx2 v[66:67], v4, s[12:13] offset:32 glc dlc
	global_load_dwordx2 v[2:3], v4, s[12:13] offset:40
	v_mov_b32_e32 v64, s14
	v_mov_b32_e32 v65, s15
	s_mov_b32 s18, exec_lo
	s_waitcnt vmcnt(0)
	v_and_b32_e32 v3, s15, v3
	v_and_b32_e32 v2, s14, v2
	v_mul_lo_u32 v3, v3, 24
	v_mul_hi_u32 v5, v2, 24
	v_mul_lo_u32 v2, v2, 24
	v_add_nc_u32_e32 v3, v5, v3
	v_add_co_u32 v2, vcc_lo, v19, v2
	v_add_co_ci_u32_e64 v3, null, v20, v3, vcc_lo
	global_store_dwordx2 v[2:3], v[66:67], off
	s_waitcnt_vscnt null, 0x0
	global_atomic_cmpswap_x2 v[21:22], v4, v[64:67], s[12:13] offset:32 glc
	s_waitcnt vmcnt(0)
	v_cmpx_ne_u64_e64 v[21:22], v[66:67]
	s_cbranch_execz .LBB0_374
; %bb.372:                              ;   in Loop: Header=BB0_347 Depth=4
	s_mov_b32 s19, 0
.LBB0_373:                              ;   Parent Loop BB0_3 Depth=1
                                        ;     Parent Loop BB0_6 Depth=2
                                        ;       Parent Loop BB0_322 Depth=3
                                        ;         Parent Loop BB0_347 Depth=4
                                        ; =>        This Inner Loop Header: Depth=5
	v_mov_b32_e32 v19, s14
	v_mov_b32_e32 v20, s15
	s_sleep 1
	global_store_dwordx2 v[2:3], v[21:22], off
	s_waitcnt_vscnt null, 0x0
	global_atomic_cmpswap_x2 v[5:6], v4, v[19:22], s[12:13] offset:32 glc
	s_waitcnt vmcnt(0)
	v_cmp_eq_u64_e32 vcc_lo, v[5:6], v[21:22]
	v_mov_b32_e32 v22, v6
	v_mov_b32_e32 v21, v5
	s_or_b32 s19, vcc_lo, s19
	s_andn2_b32 exec_lo, exec_lo, s19
	s_cbranch_execnz .LBB0_373
.LBB0_374:                              ;   in Loop: Header=BB0_347 Depth=4
	s_or_b32 exec_lo, exec_lo, s18
	global_load_dwordx2 v[5:6], v4, s[12:13] offset:16
	s_mov_b32 s19, exec_lo
	s_mov_b32 s18, exec_lo
	v_mbcnt_lo_u32_b32 v2, s19, 0
	v_cmpx_eq_u32_e32 0, v2
	s_cbranch_execz .LBB0_376
; %bb.375:                              ;   in Loop: Header=BB0_347 Depth=4
	s_bcnt1_i32_b32 s19, s19
	v_mov_b32_e32 v3, s19
	s_waitcnt vmcnt(0)
	global_atomic_add_x2 v[5:6], v[3:4], off offset:8
.LBB0_376:                              ;   in Loop: Header=BB0_347 Depth=4
	s_or_b32 exec_lo, exec_lo, s18
	s_waitcnt vmcnt(0)
	global_load_dwordx2 v[13:14], v[5:6], off offset:16
	s_waitcnt vmcnt(0)
	v_cmp_eq_u64_e32 vcc_lo, 0, v[13:14]
	s_cbranch_vccnz .LBB0_378
; %bb.377:                              ;   in Loop: Header=BB0_347 Depth=4
	global_load_dword v3, v[5:6], off offset:24
	s_waitcnt vmcnt(0)
	v_readfirstlane_b32 s18, v3
	s_waitcnt_vscnt null, 0x0
	global_store_dwordx2 v[13:14], v[3:4], off
	s_and_b32 m0, s18, 0x7fffff
	s_sendmsg sendmsg(MSG_INTERRUPT)
.LBB0_378:                              ;   in Loop: Header=BB0_347 Depth=4
	s_or_b32 exec_lo, exec_lo, s17
	v_add_co_u32 v2, vcc_lo, v17, v51
	v_add_co_ci_u32_e64 v3, null, 0, v23, vcc_lo
.LBB0_379:                              ;   Parent Loop BB0_3 Depth=1
                                        ;     Parent Loop BB0_6 Depth=2
                                        ;       Parent Loop BB0_322 Depth=3
                                        ;         Parent Loop BB0_347 Depth=4
                                        ; =>        This Inner Loop Header: Depth=5
	v_mov_b32_e32 v5, 1
	s_and_saveexec_b32 s17, s11
	s_cbranch_execz .LBB0_381
; %bb.380:                              ;   in Loop: Header=BB0_379 Depth=5
	global_load_dword v5, v[26:27], off offset:20 glc dlc
	s_waitcnt vmcnt(0)
	buffer_gl1_inv
	buffer_gl0_inv
	v_and_b32_e32 v5, 1, v5
.LBB0_381:                              ;   in Loop: Header=BB0_379 Depth=5
	s_or_b32 exec_lo, exec_lo, s17
	v_readfirstlane_b32 s17, v5
	s_cmp_eq_u32 s17, 0
	s_cbranch_scc1 .LBB0_383
; %bb.382:                              ;   in Loop: Header=BB0_379 Depth=5
	s_mov_b32 s17, 0
	s_sleep 1
	s_branch .LBB0_384
.LBB0_383:                              ;   in Loop: Header=BB0_379 Depth=5
	s_mov_b32 s17, -1
.LBB0_384:                              ;   in Loop: Header=BB0_379 Depth=5
	s_andn2_b32 vcc_lo, exec_lo, s17
	s_cbranch_vccnz .LBB0_379
; %bb.385:                              ;   in Loop: Header=BB0_347 Depth=4
	global_load_dwordx2 v[2:3], v[2:3], off
	s_and_saveexec_b32 s17, s11
	s_cbranch_execz .LBB0_389
; %bb.386:                              ;   in Loop: Header=BB0_347 Depth=4
	s_clause 0x2
	global_load_dwordx2 v[5:6], v4, s[12:13] offset:40
	global_load_dwordx2 v[66:67], v4, s[12:13] offset:24 glc dlc
	global_load_dwordx2 v[13:14], v4, s[12:13]
	s_waitcnt vmcnt(2)
	v_readfirstlane_b32 s18, v5
	v_readfirstlane_b32 s19, v6
	s_add_u32 s11, s18, 1
	s_addc_u32 s74, s19, 0
	s_add_u32 s14, s11, s14
	s_addc_u32 s15, s74, s15
	s_cmp_eq_u64 s[14:15], 0
	s_cselect_b32 s15, s74, s15
	s_cselect_b32 s14, s11, s14
	v_mov_b32_e32 v65, s15
	s_and_b64 s[18:19], s[14:15], s[18:19]
	v_mov_b32_e32 v64, s14
	s_mul_i32 s11, s19, 24
	s_mul_hi_u32 s19, s18, 24
	s_mul_i32 s18, s18, 24
	s_add_i32 s19, s19, s11
	s_waitcnt vmcnt(0)
	v_add_co_u32 v5, vcc_lo, v13, s18
	v_add_co_ci_u32_e64 v6, null, s19, v14, vcc_lo
	global_store_dwordx2 v[5:6], v[66:67], off
	s_waitcnt_vscnt null, 0x0
	global_atomic_cmpswap_x2 v[21:22], v4, v[64:67], s[12:13] offset:24 glc
	s_waitcnt vmcnt(0)
	v_cmp_ne_u64_e32 vcc_lo, v[21:22], v[66:67]
	s_and_b32 exec_lo, exec_lo, vcc_lo
	s_cbranch_execz .LBB0_389
; %bb.387:                              ;   in Loop: Header=BB0_347 Depth=4
	s_mov_b32 s11, 0
.LBB0_388:                              ;   Parent Loop BB0_3 Depth=1
                                        ;     Parent Loop BB0_6 Depth=2
                                        ;       Parent Loop BB0_322 Depth=3
                                        ;         Parent Loop BB0_347 Depth=4
                                        ; =>        This Inner Loop Header: Depth=5
	v_mov_b32_e32 v19, s14
	v_mov_b32_e32 v20, s15
	s_sleep 1
	global_store_dwordx2 v[5:6], v[21:22], off
	s_waitcnt_vscnt null, 0x0
	global_atomic_cmpswap_x2 v[13:14], v4, v[19:22], s[12:13] offset:24 glc
	s_waitcnt vmcnt(0)
	v_cmp_eq_u64_e32 vcc_lo, v[13:14], v[21:22]
	v_mov_b32_e32 v22, v14
	v_mov_b32_e32 v21, v13
	s_or_b32 s11, vcc_lo, s11
	s_andn2_b32 exec_lo, exec_lo, s11
	s_cbranch_execnz .LBB0_388
.LBB0_389:                              ;   in Loop: Header=BB0_347 Depth=4
	s_or_b32 exec_lo, exec_lo, s17
.LBB0_390:                              ;   in Loop: Header=BB0_347 Depth=4
	s_or_b32 exec_lo, exec_lo, s29
	s_waitcnt vmcnt(0)
	v_readfirstlane_b32 s14, v2
	v_readfirstlane_b32 s15, v3
	s_cmp_eq_u64 s[14:15], 0
	s_cbranch_scc1 .LBB0_439
; %bb.391:                              ;   in Loop: Header=BB0_347 Depth=4
	s_mov_b32 s11, exec_lo
	s_mov_b32 s12, exec_lo
	v_mbcnt_lo_u32_b32 v6, s11, 0
	v_cmpx_gt_u32_e32 0x300, v6
	s_cbranch_execz .LBB0_394
; %bb.392:                              ;   in Loop: Header=BB0_347 Depth=4
	v_lshlrev_b32_e32 v2, 3, v6
	s_bcnt1_i32_b32 s13, s11
	s_mov_b32 s18, 0
	s_lshl_b32 s17, s13, 3
	v_add_co_u32 v2, s11, s14, v2
	v_add_co_ci_u32_e64 v3, null, s15, 0, s11
.LBB0_393:                              ;   Parent Loop BB0_3 Depth=1
                                        ;     Parent Loop BB0_6 Depth=2
                                        ;       Parent Loop BB0_322 Depth=3
                                        ;         Parent Loop BB0_347 Depth=4
                                        ; =>        This Inner Loop Header: Depth=5
	v_add_nc_u32_e32 v6, s13, v6
	v_mov_b32_e32 v5, v4
	v_cmp_lt_u32_e32 vcc_lo, 0x2ff, v6
	global_store_dwordx2 v[2:3], v[4:5], off
	v_add_co_u32 v2, s11, v2, s17
	v_add_co_ci_u32_e64 v3, null, 0, v3, s11
	s_or_b32 s18, vcc_lo, s18
	s_andn2_b32 exec_lo, exec_lo, s18
	s_cbranch_execnz .LBB0_393
.LBB0_394:                              ;   in Loop: Header=BB0_347 Depth=4
	s_or_b32 exec_lo, exec_lo, s12
.LBB0_395:                              ;   Parent Loop BB0_3 Depth=1
                                        ;     Parent Loop BB0_6 Depth=2
                                        ;       Parent Loop BB0_322 Depth=3
                                        ;         Parent Loop BB0_347 Depth=4
                                        ; =>        This Inner Loop Header: Depth=5
	v_mov_b32_e32 v2, s28
	s_and_saveexec_b32 s11, s10
	s_cbranch_execz .LBB0_397
; %bb.396:                              ;   in Loop: Header=BB0_395 Depth=5
	global_load_dword v2, v[36:37], off glc dlc
.LBB0_397:                              ;   in Loop: Header=BB0_395 Depth=5
	s_or_b32 exec_lo, exec_lo, s11
	s_waitcnt vmcnt(0)
	v_readfirstlane_b32 s28, v2
	s_mov_b32 s12, -1
	s_cmp_lg_u32 s28, 0x10100
	s_cbranch_scc0 .LBB0_404
; %bb.398:                              ;   in Loop: Header=BB0_395 Depth=5
	v_mov_b32_e32 v2, s73
	s_and_saveexec_b32 s11, s10
	s_cbranch_execz .LBB0_402
; %bb.399:                              ;   in Loop: Header=BB0_395 Depth=5
	s_add_i32 s12, s28, 0xffffff00
	v_mov_b32_e32 v2, s14
	s_lshr_b32 s12, s12, 8
	v_mov_b32_e32 v3, s15
	v_mad_u64_u32 v[13:14], null, s12, 24, v[34:35]
	v_mov_b32_e32 v5, v4
	global_atomic_cmpswap_x2 v[2:3], v[13:14], v[2:5], off glc
	s_waitcnt vmcnt(0)
	v_cmp_eq_u64_e32 vcc_lo, 0, v[2:3]
	v_mov_b32_e32 v2, s73
	s_and_saveexec_b32 s12, vcc_lo
	s_cbranch_execz .LBB0_401
; %bb.400:                              ;   in Loop: Header=BB0_395 Depth=5
	s_waitcnt_vscnt null, 0x0
	global_atomic_add v[36:37], v50, off
	v_mov_b32_e32 v2, 0
.LBB0_401:                              ;   in Loop: Header=BB0_395 Depth=5
	s_or_b32 exec_lo, exec_lo, s12
.LBB0_402:                              ;   in Loop: Header=BB0_395 Depth=5
	s_or_b32 exec_lo, exec_lo, s11
	v_readfirstlane_b32 s12, v2
	s_cmp_eq_u32 s12, 0
	s_cbranch_scc1 .LBB0_405
; %bb.403:                              ;   in Loop: Header=BB0_395 Depth=5
	s_mov_b32 s11, 0
	s_mov_b32 s73, s12
	s_sleep 2
	s_branch .LBB0_406
.LBB0_404:                              ;   in Loop: Header=BB0_395 Depth=5
	s_mov_b32 s11, -1
	s_branch .LBB0_407
.LBB0_405:                              ;   in Loop: Header=BB0_395 Depth=5
	s_mov_b32 s11, -1
.LBB0_406:                              ;   in Loop: Header=BB0_395 Depth=5
	s_mov_b32 s12, 0
.LBB0_407:                              ;   in Loop: Header=BB0_395 Depth=5
	s_and_b32 vcc_lo, exec_lo, s11
	s_cbranch_vccz .LBB0_395
; %bb.408:                              ;   in Loop: Header=BB0_347 Depth=4
	s_and_b32 vcc_lo, exec_lo, s12
	s_mov_b32 s11, 0
	s_cbranch_vccz .LBB0_438
; %bb.409:                              ;   in Loop: Header=BB0_347 Depth=4
	s_and_saveexec_b32 s74, s10
	s_cbranch_execz .LBB0_437
; %bb.410:                              ;   in Loop: Header=BB0_347 Depth=4
	s_load_dwordx2 s[12:13], s[8:9], 0x50
	v_readfirstlane_b32 s10, v96
	v_mov_b32_e32 v2, 0
	v_mov_b32_e32 v3, 0
	v_cmp_eq_u32_e64 s10, s10, v96
	s_and_saveexec_b32 s11, s10
	s_cbranch_execz .LBB0_416
; %bb.411:                              ;   in Loop: Header=BB0_347 Depth=4
	s_waitcnt lgkmcnt(0)
	global_load_dwordx2 v[21:22], v4, s[12:13] offset:24 glc dlc
	s_waitcnt vmcnt(0)
	buffer_gl1_inv
	buffer_gl0_inv
	s_clause 0x1
	global_load_dwordx2 v[2:3], v4, s[12:13] offset:40
	global_load_dwordx2 v[5:6], v4, s[12:13]
	s_mov_b32 s17, exec_lo
	s_waitcnt vmcnt(1)
	v_and_b32_e32 v3, v3, v22
	v_and_b32_e32 v2, v2, v21
	v_mul_lo_u32 v3, v3, 24
	v_mul_hi_u32 v13, v2, 24
	v_mul_lo_u32 v2, v2, 24
	v_add_nc_u32_e32 v3, v13, v3
	s_waitcnt vmcnt(0)
	v_add_co_u32 v2, vcc_lo, v5, v2
	v_add_co_ci_u32_e64 v3, null, v6, v3, vcc_lo
	global_load_dwordx2 v[19:20], v[2:3], off glc dlc
	s_waitcnt vmcnt(0)
	global_atomic_cmpswap_x2 v[2:3], v4, v[19:22], s[12:13] offset:24 glc
	s_waitcnt vmcnt(0)
	buffer_gl1_inv
	buffer_gl0_inv
	v_cmpx_ne_u64_e64 v[2:3], v[21:22]
	s_cbranch_execz .LBB0_415
; %bb.412:                              ;   in Loop: Header=BB0_347 Depth=4
	s_mov_b32 s18, 0
.LBB0_413:                              ;   Parent Loop BB0_3 Depth=1
                                        ;     Parent Loop BB0_6 Depth=2
                                        ;       Parent Loop BB0_322 Depth=3
                                        ;         Parent Loop BB0_347 Depth=4
                                        ; =>        This Inner Loop Header: Depth=5
	s_sleep 1
	s_clause 0x1
	global_load_dwordx2 v[5:6], v4, s[12:13] offset:40
	global_load_dwordx2 v[13:14], v4, s[12:13]
	v_mov_b32_e32 v22, v3
	v_mov_b32_e32 v21, v2
	s_waitcnt vmcnt(1)
	v_and_b32_e32 v2, v5, v21
	v_and_b32_e32 v5, v6, v22
	s_waitcnt vmcnt(0)
	v_mad_u64_u32 v[2:3], null, v2, 24, v[13:14]
	v_mad_u64_u32 v[5:6], null, v5, 24, v[3:4]
	v_mov_b32_e32 v3, v5
	global_load_dwordx2 v[19:20], v[2:3], off glc dlc
	s_waitcnt vmcnt(0)
	global_atomic_cmpswap_x2 v[2:3], v4, v[19:22], s[12:13] offset:24 glc
	s_waitcnt vmcnt(0)
	buffer_gl1_inv
	buffer_gl0_inv
	v_cmp_eq_u64_e32 vcc_lo, v[2:3], v[21:22]
	s_or_b32 s18, vcc_lo, s18
	s_andn2_b32 exec_lo, exec_lo, s18
	s_cbranch_execnz .LBB0_413
; %bb.414:                              ;   in Loop: Header=BB0_347 Depth=4
	s_or_b32 exec_lo, exec_lo, s18
.LBB0_415:                              ;   in Loop: Header=BB0_347 Depth=4
	s_or_b32 exec_lo, exec_lo, s17
.LBB0_416:                              ;   in Loop: Header=BB0_347 Depth=4
	s_or_b32 exec_lo, exec_lo, s11
	s_waitcnt lgkmcnt(0)
	s_clause 0x1
	global_load_dwordx2 v[5:6], v4, s[12:13] offset:40
	global_load_dwordx4 v[19:22], v4, s[12:13]
	v_readfirstlane_b32 s29, v3
	v_readfirstlane_b32 s28, v2
	s_mov_b32 s11, exec_lo
	s_waitcnt vmcnt(1)
	v_readfirstlane_b32 s18, v5
	v_readfirstlane_b32 s19, v6
	s_and_b64 s[18:19], s[18:19], s[28:29]
	s_mul_i32 s17, s19, 24
	s_mul_hi_u32 s75, s18, 24
	s_mul_i32 s76, s18, 24
	s_add_i32 s75, s75, s17
	s_waitcnt vmcnt(0)
	v_add_co_u32 v13, vcc_lo, v19, s76
	v_add_co_ci_u32_e64 v14, null, s75, v20, vcc_lo
	s_and_saveexec_b32 s17, s10
	s_cbranch_execz .LBB0_418
; %bb.417:                              ;   in Loop: Header=BB0_347 Depth=4
	v_mov_b32_e32 v3, s11
	v_mov_b32_e32 v6, v4
	;; [unrolled: 1-line block ×3, first 2 shown]
	global_store_dwordx4 v[13:14], v[5:8], off offset:8
.LBB0_418:                              ;   in Loop: Header=BB0_347 Depth=4
	s_or_b32 exec_lo, exec_lo, s17
	s_lshl_b64 s[18:19], s[18:19], 12
	v_mov_b32_e32 v2, s14
	v_add_co_u32 v5, vcc_lo, v21, s18
	v_add_co_ci_u32_e64 v16, null, s19, v22, vcc_lo
	s_mov_b32 s19, s16
	s_mov_b32 s17, s16
	;; [unrolled: 1-line block ×3, first 2 shown]
	v_lshlrev_b32_e32 v6, 6, v96
	v_mov_b32_e32 v3, s15
	v_readfirstlane_b32 s14, v5
	v_readfirstlane_b32 s15, v16
	v_mov_b32_e32 v67, s19
	v_mov_b32_e32 v66, s18
	;; [unrolled: 1-line block ×5, first 2 shown]
	global_store_dwordx2 v6, v[2:3], s[14:15]
	global_store_dwordx4 v6, v[64:67], s[14:15] offset:8
	global_store_dwordx4 v6, v[64:67], s[14:15] offset:24
	;; [unrolled: 1-line block ×3, first 2 shown]
	global_store_dwordx2 v6, v[4:5], s[14:15] offset:56
	s_and_saveexec_b32 s11, s10
	s_cbranch_execz .LBB0_426
; %bb.419:                              ;   in Loop: Header=BB0_347 Depth=4
	s_clause 0x1
	global_load_dwordx2 v[66:67], v4, s[12:13] offset:32 glc dlc
	global_load_dwordx2 v[2:3], v4, s[12:13] offset:40
	v_mov_b32_e32 v64, s28
	v_mov_b32_e32 v65, s29
	s_mov_b32 s14, exec_lo
	s_waitcnt vmcnt(0)
	v_and_b32_e32 v3, s29, v3
	v_and_b32_e32 v2, s28, v2
	v_mul_lo_u32 v3, v3, 24
	v_mul_hi_u32 v5, v2, 24
	v_mul_lo_u32 v2, v2, 24
	v_add_nc_u32_e32 v3, v5, v3
	v_add_co_u32 v2, vcc_lo, v19, v2
	v_add_co_ci_u32_e64 v3, null, v20, v3, vcc_lo
	global_store_dwordx2 v[2:3], v[66:67], off
	s_waitcnt_vscnt null, 0x0
	global_atomic_cmpswap_x2 v[21:22], v4, v[64:67], s[12:13] offset:32 glc
	s_waitcnt vmcnt(0)
	v_cmpx_ne_u64_e64 v[21:22], v[66:67]
	s_cbranch_execz .LBB0_422
; %bb.420:                              ;   in Loop: Header=BB0_347 Depth=4
	s_mov_b32 s15, 0
.LBB0_421:                              ;   Parent Loop BB0_3 Depth=1
                                        ;     Parent Loop BB0_6 Depth=2
                                        ;       Parent Loop BB0_322 Depth=3
                                        ;         Parent Loop BB0_347 Depth=4
                                        ; =>        This Inner Loop Header: Depth=5
	v_mov_b32_e32 v19, s28
	v_mov_b32_e32 v20, s29
	s_sleep 1
	global_store_dwordx2 v[2:3], v[21:22], off
	s_waitcnt_vscnt null, 0x0
	global_atomic_cmpswap_x2 v[5:6], v4, v[19:22], s[12:13] offset:32 glc
	s_waitcnt vmcnt(0)
	v_cmp_eq_u64_e32 vcc_lo, v[5:6], v[21:22]
	v_mov_b32_e32 v22, v6
	v_mov_b32_e32 v21, v5
	s_or_b32 s15, vcc_lo, s15
	s_andn2_b32 exec_lo, exec_lo, s15
	s_cbranch_execnz .LBB0_421
.LBB0_422:                              ;   in Loop: Header=BB0_347 Depth=4
	s_or_b32 exec_lo, exec_lo, s14
	global_load_dwordx2 v[5:6], v4, s[12:13] offset:16
	s_mov_b32 s15, exec_lo
	s_mov_b32 s14, exec_lo
	v_mbcnt_lo_u32_b32 v2, s15, 0
	v_cmpx_eq_u32_e32 0, v2
	s_cbranch_execz .LBB0_424
; %bb.423:                              ;   in Loop: Header=BB0_347 Depth=4
	s_bcnt1_i32_b32 s15, s15
	v_mov_b32_e32 v3, s15
	s_waitcnt vmcnt(0)
	global_atomic_add_x2 v[5:6], v[3:4], off offset:8
.LBB0_424:                              ;   in Loop: Header=BB0_347 Depth=4
	s_or_b32 exec_lo, exec_lo, s14
	s_waitcnt vmcnt(0)
	global_load_dwordx2 v[16:17], v[5:6], off offset:16
	s_waitcnt vmcnt(0)
	v_cmp_eq_u64_e32 vcc_lo, 0, v[16:17]
	s_cbranch_vccnz .LBB0_426
; %bb.425:                              ;   in Loop: Header=BB0_347 Depth=4
	global_load_dword v3, v[5:6], off offset:24
	s_waitcnt vmcnt(0)
	v_readfirstlane_b32 s14, v3
	s_waitcnt_vscnt null, 0x0
	global_store_dwordx2 v[16:17], v[3:4], off
	s_and_b32 m0, s14, 0x7fffff
	s_sendmsg sendmsg(MSG_INTERRUPT)
.LBB0_426:                              ;   in Loop: Header=BB0_347 Depth=4
	s_or_b32 exec_lo, exec_lo, s11
.LBB0_427:                              ;   Parent Loop BB0_3 Depth=1
                                        ;     Parent Loop BB0_6 Depth=2
                                        ;       Parent Loop BB0_322 Depth=3
                                        ;         Parent Loop BB0_347 Depth=4
                                        ; =>        This Inner Loop Header: Depth=5
	v_mov_b32_e32 v2, 1
	s_and_saveexec_b32 s11, s10
	s_cbranch_execz .LBB0_429
; %bb.428:                              ;   in Loop: Header=BB0_427 Depth=5
	global_load_dword v2, v[13:14], off offset:20 glc dlc
	s_waitcnt vmcnt(0)
	buffer_gl1_inv
	buffer_gl0_inv
	v_and_b32_e32 v2, 1, v2
.LBB0_429:                              ;   in Loop: Header=BB0_427 Depth=5
	s_or_b32 exec_lo, exec_lo, s11
	v_readfirstlane_b32 s11, v2
	s_cmp_eq_u32 s11, 0
	s_cbranch_scc1 .LBB0_431
; %bb.430:                              ;   in Loop: Header=BB0_427 Depth=5
	s_mov_b32 s11, 0
	s_sleep 1
	s_branch .LBB0_432
.LBB0_431:                              ;   in Loop: Header=BB0_427 Depth=5
	s_mov_b32 s11, -1
.LBB0_432:                              ;   in Loop: Header=BB0_427 Depth=5
	s_andn2_b32 vcc_lo, exec_lo, s11
	s_cbranch_vccnz .LBB0_427
; %bb.433:                              ;   in Loop: Header=BB0_347 Depth=4
	s_and_b32 exec_lo, exec_lo, s10
	s_cbranch_execz .LBB0_437
; %bb.434:                              ;   in Loop: Header=BB0_347 Depth=4
	s_clause 0x2
	global_load_dwordx2 v[2:3], v4, s[12:13] offset:40
	global_load_dwordx2 v[66:67], v4, s[12:13] offset:24 glc dlc
	global_load_dwordx2 v[5:6], v4, s[12:13]
	s_waitcnt vmcnt(2)
	v_readfirstlane_b32 s14, v2
	v_readfirstlane_b32 s15, v3
	s_add_u32 s17, s14, 1
	s_addc_u32 s18, s15, 0
	s_add_u32 s10, s17, s28
	s_addc_u32 s11, s18, s29
	s_cmp_eq_u64 s[10:11], 0
	s_cselect_b32 s11, s18, s11
	s_cselect_b32 s10, s17, s10
	v_mov_b32_e32 v65, s11
	s_and_b64 s[14:15], s[10:11], s[14:15]
	v_mov_b32_e32 v64, s10
	s_mul_i32 s15, s15, 24
	s_mul_hi_u32 s17, s14, 24
	s_mul_i32 s14, s14, 24
	s_add_i32 s17, s17, s15
	s_waitcnt vmcnt(0)
	v_add_co_u32 v2, vcc_lo, v5, s14
	v_add_co_ci_u32_e64 v3, null, s17, v6, vcc_lo
	global_store_dwordx2 v[2:3], v[66:67], off
	s_waitcnt_vscnt null, 0x0
	global_atomic_cmpswap_x2 v[21:22], v4, v[64:67], s[12:13] offset:24 glc
	s_waitcnt vmcnt(0)
	v_cmp_ne_u64_e32 vcc_lo, v[21:22], v[66:67]
	s_and_b32 exec_lo, exec_lo, vcc_lo
	s_cbranch_execz .LBB0_437
; %bb.435:                              ;   in Loop: Header=BB0_347 Depth=4
	s_mov_b32 s14, 0
.LBB0_436:                              ;   Parent Loop BB0_3 Depth=1
                                        ;     Parent Loop BB0_6 Depth=2
                                        ;       Parent Loop BB0_322 Depth=3
                                        ;         Parent Loop BB0_347 Depth=4
                                        ; =>        This Inner Loop Header: Depth=5
	v_mov_b32_e32 v19, s10
	v_mov_b32_e32 v20, s11
	s_sleep 1
	global_store_dwordx2 v[2:3], v[21:22], off
	s_waitcnt_vscnt null, 0x0
	global_atomic_cmpswap_x2 v[5:6], v4, v[19:22], s[12:13] offset:24 glc
	s_waitcnt vmcnt(0)
	v_cmp_eq_u64_e32 vcc_lo, v[5:6], v[21:22]
	v_mov_b32_e32 v22, v6
	v_mov_b32_e32 v21, v5
	s_or_b32 s14, vcc_lo, s14
	s_andn2_b32 exec_lo, exec_lo, s14
	s_cbranch_execnz .LBB0_436
.LBB0_437:                              ;   in Loop: Header=BB0_347 Depth=4
	s_or_b32 exec_lo, exec_lo, s74
	s_mov_b32 s11, s73
.LBB0_438:                              ;   in Loop: Header=BB0_347 Depth=4
	s_mov_b32 s73, s11
.LBB0_439:                              ;   in Loop: Header=BB0_347 Depth=4
	s_mov_b32 s15, s73
.LBB0_440:                              ;   in Loop: Header=BB0_347 Depth=4
	s_cmp_eq_u32 s15, 0
	s_cselect_b32 s14, -1, 0
	s_and_b32 vcc_lo, exec_lo, s14
	s_cbranch_vccnz .LBB0_461
; %bb.441:                              ;   in Loop: Header=BB0_347 Depth=4
	v_mbcnt_lo_u32_b32 v2, exec_lo, 0
	s_mov_b32 s17, exec_lo
	v_cmpx_eq_u32_e32 0, v2
	s_cbranch_execz .LBB0_458
; %bb.442:                              ;   in Loop: Header=BB0_347 Depth=4
	global_load_dwordx2 v[2:3], v[38:39], off glc dlc
	s_memrealtime s[10:11]
	s_waitcnt vmcnt(0) lgkmcnt(0)
	v_sub_co_u32 v2, vcc_lo, s10, v2
	v_sub_co_ci_u32_e64 v3, null, s11, v3, vcc_lo
	v_cmp_gt_u64_e32 vcc_lo, 0x7530, v[2:3]
	s_and_b32 exec_lo, exec_lo, vcc_lo
	s_cbranch_execz .LBB0_458
; %bb.443:                              ;   in Loop: Header=BB0_347 Depth=4
	s_memrealtime s[12:13]
	v_readfirstlane_b32 s10, v2
	s_sub_i32 s10, 0x7530, s10
	s_waitcnt lgkmcnt(0)
	s_add_u32 s10, s10, s12
	s_addc_u32 s11, 0, s13
	s_add_u32 s18, s12, 0x659
	s_addc_u32 s19, 0, s13
.LBB0_444:                              ;   Parent Loop BB0_3 Depth=1
                                        ;     Parent Loop BB0_6 Depth=2
                                        ;       Parent Loop BB0_322 Depth=3
                                        ;         Parent Loop BB0_347 Depth=4
                                        ; =>        This Inner Loop Header: Depth=5
	v_cmp_le_u64_e64 s18, s[10:11], s[18:19]
	s_and_b32 vcc_lo, exec_lo, s18
	s_cbranch_vccnz .LBB0_447
; %bb.445:                              ;   in Loop: Header=BB0_444 Depth=5
	s_sleep 0x7f
	s_memrealtime s[12:13]
	s_waitcnt lgkmcnt(0)
	s_add_u32 s18, s12, 0x659
	s_addc_u32 s19, s13, 0
	s_branch .LBB0_444
.LBB0_446:                              ;   in Loop: Header=BB0_447 Depth=5
	s_sleep 63
	s_memrealtime s[12:13]
.LBB0_447:                              ;   Parent Loop BB0_3 Depth=1
                                        ;     Parent Loop BB0_6 Depth=2
                                        ;       Parent Loop BB0_322 Depth=3
                                        ;         Parent Loop BB0_347 Depth=4
                                        ; =>        This Inner Loop Header: Depth=5
	s_waitcnt lgkmcnt(0)
	s_add_u32 s18, s12, 0x326
	s_addc_u32 s19, s13, 0
	v_cmp_le_u64_e64 s18, s[10:11], s[18:19]
	s_and_b32 vcc_lo, exec_lo, s18
	s_cbranch_vccz .LBB0_446
; %bb.448:                              ;   in Loop: Header=BB0_347 Depth=4
	s_add_u32 s18, s12, 0x18c
	s_addc_u32 s19, s13, 0
	v_cmp_le_u64_e64 s18, s[10:11], s[18:19]
	s_and_b32 vcc_lo, exec_lo, s18
	s_cbranch_vccnz .LBB0_451
.LBB0_449:                              ;   Parent Loop BB0_3 Depth=1
                                        ;     Parent Loop BB0_6 Depth=2
                                        ;       Parent Loop BB0_322 Depth=3
                                        ;         Parent Loop BB0_347 Depth=4
                                        ; =>        This Inner Loop Header: Depth=5
	s_sleep 31
	s_memrealtime s[12:13]
	s_waitcnt lgkmcnt(0)
	s_add_u32 s18, s12, 0x18c
	s_addc_u32 s19, s13, 0
	v_cmp_gt_u64_e64 s18, s[10:11], s[18:19]
	s_and_b32 vcc_lo, exec_lo, s18
	s_cbranch_vccnz .LBB0_449
	s_branch .LBB0_451
.LBB0_450:                              ;   in Loop: Header=BB0_451 Depth=5
	s_sleep 15
	s_memrealtime s[12:13]
.LBB0_451:                              ;   Parent Loop BB0_3 Depth=1
                                        ;     Parent Loop BB0_6 Depth=2
                                        ;       Parent Loop BB0_322 Depth=3
                                        ;         Parent Loop BB0_347 Depth=4
                                        ; =>        This Inner Loop Header: Depth=5
	s_waitcnt lgkmcnt(0)
	s_add_u32 s18, s12, 0xc0
	s_addc_u32 s19, s13, 0
	v_cmp_le_u64_e64 s18, s[10:11], s[18:19]
	s_and_b32 vcc_lo, exec_lo, s18
	s_cbranch_vccz .LBB0_450
	s_branch .LBB0_453
.LBB0_452:                              ;   in Loop: Header=BB0_453 Depth=5
	s_sleep 7
	s_memrealtime s[12:13]
.LBB0_453:                              ;   Parent Loop BB0_3 Depth=1
                                        ;     Parent Loop BB0_6 Depth=2
                                        ;       Parent Loop BB0_322 Depth=3
                                        ;         Parent Loop BB0_347 Depth=4
                                        ; =>        This Inner Loop Header: Depth=5
	s_waitcnt lgkmcnt(0)
	s_add_u32 s18, s12, 0x59
	s_addc_u32 s19, s13, 0
	v_cmp_le_u64_e64 s18, s[10:11], s[18:19]
	s_and_b32 vcc_lo, exec_lo, s18
	s_cbranch_vccz .LBB0_452
	;; [unrolled: 15-line block ×3, first 2 shown]
; %bb.456:                              ;   in Loop: Header=BB0_347 Depth=4
	v_cmp_le_u64_e64 s12, s[10:11], s[12:13]
	s_and_b32 vcc_lo, exec_lo, s12
	s_cbranch_vccnz .LBB0_458
.LBB0_457:                              ;   Parent Loop BB0_3 Depth=1
                                        ;     Parent Loop BB0_6 Depth=2
                                        ;       Parent Loop BB0_322 Depth=3
                                        ;         Parent Loop BB0_347 Depth=4
                                        ; =>        This Inner Loop Header: Depth=5
	s_sleep 1
	s_memrealtime s[12:13]
	s_waitcnt lgkmcnt(0)
	v_cmp_gt_u64_e64 s12, s[10:11], s[12:13]
	s_and_b32 vcc_lo, exec_lo, s12
	s_cbranch_vccnz .LBB0_457
.LBB0_458:                              ;   in Loop: Header=BB0_347 Depth=4
	s_or_b32 exec_lo, exec_lo, s17
	s_cmp_lg_u32 s15, 2
	v_mov_b32_e32 v25, s16
	s_cselect_b32 s10, -1, 0
	v_cndmask_b32_e64 v24, 0, 1, s10
	s_branch .LBB0_461
.LBB0_459:                              ;   in Loop: Header=BB0_347 Depth=4
	v_mov_b32_e32 v24, 0
	v_mov_b32_e32 v25, 0
	s_mov_b32 s10, 0
	s_branch .LBB0_575
.LBB0_460:                              ;   in Loop: Header=BB0_347 Depth=4
	s_mov_b32 s14, -1
.LBB0_461:                              ;   in Loop: Header=BB0_347 Depth=4
	s_and_b32 vcc_lo, exec_lo, s14
	s_mov_b32 s10, 0
	s_cbranch_vccz .LBB0_575
; %bb.462:                              ;   in Loop: Header=BB0_347 Depth=4
	v_mov_b32_e32 v2, 1
	s_and_saveexec_b32 s12, s7
	s_cbranch_execz .LBB0_466
; %bb.463:                              ;   in Loop: Header=BB0_347 Depth=4
	global_load_dwordx2 v[21:22], v[48:49], off glc dlc
	s_memrealtime s[10:11]
	s_waitcnt vmcnt(0) lgkmcnt(0)
	v_sub_co_u32 v2, vcc_lo, s10, v21
	v_sub_co_ci_u32_e64 v3, null, s11, v22, vcc_lo
	v_cmp_lt_u64_e32 vcc_lo, 0x4e1f, v[2:3]
	v_mov_b32_e32 v2, 1
	s_and_saveexec_b32 s13, vcc_lo
	s_cbranch_execz .LBB0_465
; %bb.464:                              ;   in Loop: Header=BB0_347 Depth=4
	v_mov_b32_e32 v19, s10
	v_mov_b32_e32 v20, s11
	global_atomic_cmpswap_x2 v[2:3], v[48:49], v[19:22], off glc
	s_waitcnt vmcnt(0)
	v_cmp_ne_u64_e32 vcc_lo, v[2:3], v[21:22]
	v_cndmask_b32_e64 v2, 0, 1, vcc_lo
.LBB0_465:                              ;   in Loop: Header=BB0_347 Depth=4
	s_or_b32 exec_lo, exec_lo, s13
.LBB0_466:                              ;   in Loop: Header=BB0_347 Depth=4
	s_or_b32 exec_lo, exec_lo, s12
	v_readfirstlane_b32 s10, v2
	s_mov_b32 s11, s16
	v_mov_b32_e32 v14, s11
	v_mov_b32_e32 v13, s10
	s_cmp_lg_u64 s[10:11], 0
	s_mov_b32 s10, 0
	s_cbranch_scc1 .LBB0_574
; %bb.467:                              ;   in Loop: Header=BB0_347 Depth=4
	v_mov_b32_e32 v13, 0
	v_mov_b32_e32 v2, 0
	;; [unrolled: 1-line block ×4, first 2 shown]
	s_and_saveexec_b32 s28, s7
	s_cbranch_execz .LBB0_502
; %bb.468:                              ;   in Loop: Header=BB0_347 Depth=4
	s_clause 0x1
	global_load_dwordx2 v[2:3], v4, s[24:25] glc dlc
	global_load_dwordx2 v[5:6], v4, s[26:27]
	s_mov_b32 s10, -1
	s_waitcnt vmcnt(0)
	v_cmp_ge_u64_e32 vcc_lo, v[2:3], v[5:6]
                                        ; implicit-def: $vgpr2_vgpr3
	s_cbranch_vccnz .LBB0_472
; %bb.469:                              ;   in Loop: Header=BB0_347 Depth=4
	s_mov_b32 s11, exec_lo
	s_mov_b32 s10, exec_lo
	v_mbcnt_lo_u32_b32 v16, s11, 0
                                        ; implicit-def: $vgpr2_vgpr3
	v_cmpx_eq_u32_e32 0, v16
	s_cbranch_execz .LBB0_471
; %bb.470:                              ;   in Loop: Header=BB0_347 Depth=4
	s_bcnt1_i32_b32 s11, s11
	s_lshl_b32 s11, s11, 21
	v_mov_b32_e32 v3, s11
	global_atomic_add_x2 v[2:3], v4, v[3:4], s[24:25] glc
.LBB0_471:                              ;   in Loop: Header=BB0_347 Depth=4
	s_or_b32 exec_lo, exec_lo, s10
	s_waitcnt vmcnt(0)
	v_readfirstlane_b32 s11, v3
	v_readfirstlane_b32 s10, v2
	v_mad_u64_u32 v[2:3], null, 0x200000, v16, s[10:11]
	v_cmp_ge_u64_e64 s10, v[2:3], v[5:6]
.LBB0_472:                              ;   in Loop: Header=BB0_347 Depth=4
	s_and_saveexec_b32 s29, s10
	s_cbranch_execz .LBB0_501
; %bb.473:                              ;   in Loop: Header=BB0_347 Depth=4
	s_load_dwordx2 s[12:13], s[8:9], 0x50
	v_readfirstlane_b32 s10, v96
	v_mov_b32_e32 v2, 0
	v_mov_b32_e32 v3, 0
	v_cmp_eq_u32_e64 s10, s10, v96
	s_and_saveexec_b32 s11, s10
	s_cbranch_execz .LBB0_479
; %bb.474:                              ;   in Loop: Header=BB0_347 Depth=4
	s_waitcnt lgkmcnt(0)
	global_load_dwordx2 v[21:22], v4, s[12:13] offset:24 glc dlc
	s_waitcnt vmcnt(0)
	buffer_gl1_inv
	buffer_gl0_inv
	s_clause 0x1
	global_load_dwordx2 v[2:3], v4, s[12:13] offset:40
	global_load_dwordx2 v[5:6], v4, s[12:13]
	s_mov_b32 s14, exec_lo
	s_waitcnt vmcnt(1)
	v_and_b32_e32 v3, v3, v22
	v_and_b32_e32 v2, v2, v21
	v_mul_lo_u32 v3, v3, 24
	v_mul_hi_u32 v16, v2, 24
	v_mul_lo_u32 v2, v2, 24
	v_add_nc_u32_e32 v3, v16, v3
	s_waitcnt vmcnt(0)
	v_add_co_u32 v2, vcc_lo, v5, v2
	v_add_co_ci_u32_e64 v3, null, v6, v3, vcc_lo
	global_load_dwordx2 v[19:20], v[2:3], off glc dlc
	s_waitcnt vmcnt(0)
	global_atomic_cmpswap_x2 v[2:3], v4, v[19:22], s[12:13] offset:24 glc
	s_waitcnt vmcnt(0)
	buffer_gl1_inv
	buffer_gl0_inv
	v_cmpx_ne_u64_e64 v[2:3], v[21:22]
	s_cbranch_execz .LBB0_478
; %bb.475:                              ;   in Loop: Header=BB0_347 Depth=4
	s_mov_b32 s15, 0
.LBB0_476:                              ;   Parent Loop BB0_3 Depth=1
                                        ;     Parent Loop BB0_6 Depth=2
                                        ;       Parent Loop BB0_322 Depth=3
                                        ;         Parent Loop BB0_347 Depth=4
                                        ; =>        This Inner Loop Header: Depth=5
	s_sleep 1
	s_clause 0x1
	global_load_dwordx2 v[5:6], v4, s[12:13] offset:40
	global_load_dwordx2 v[16:17], v4, s[12:13]
	v_mov_b32_e32 v22, v3
	v_mov_b32_e32 v21, v2
	s_waitcnt vmcnt(1)
	v_and_b32_e32 v2, v5, v21
	v_and_b32_e32 v5, v6, v22
	s_waitcnt vmcnt(0)
	v_mad_u64_u32 v[2:3], null, v2, 24, v[16:17]
	v_mad_u64_u32 v[5:6], null, v5, 24, v[3:4]
	v_mov_b32_e32 v3, v5
	global_load_dwordx2 v[19:20], v[2:3], off glc dlc
	s_waitcnt vmcnt(0)
	global_atomic_cmpswap_x2 v[2:3], v4, v[19:22], s[12:13] offset:24 glc
	s_waitcnt vmcnt(0)
	buffer_gl1_inv
	buffer_gl0_inv
	v_cmp_eq_u64_e32 vcc_lo, v[2:3], v[21:22]
	s_or_b32 s15, vcc_lo, s15
	s_andn2_b32 exec_lo, exec_lo, s15
	s_cbranch_execnz .LBB0_476
; %bb.477:                              ;   in Loop: Header=BB0_347 Depth=4
	s_or_b32 exec_lo, exec_lo, s15
.LBB0_478:                              ;   in Loop: Header=BB0_347 Depth=4
	s_or_b32 exec_lo, exec_lo, s14
.LBB0_479:                              ;   in Loop: Header=BB0_347 Depth=4
	s_or_b32 exec_lo, exec_lo, s11
	s_waitcnt lgkmcnt(0)
	s_clause 0x1
	global_load_dwordx2 v[5:6], v4, s[12:13] offset:40
	global_load_dwordx4 v[20:23], v4, s[12:13]
	v_readfirstlane_b32 s15, v3
	v_readfirstlane_b32 s14, v2
	s_mov_b32 s11, exec_lo
	s_waitcnt vmcnt(1)
	v_readfirstlane_b32 s18, v5
	v_readfirstlane_b32 s19, v6
	s_and_b64 s[18:19], s[18:19], s[14:15]
	s_mul_i32 s17, s19, 24
	s_mul_hi_u32 s73, s18, 24
	s_mul_i32 s74, s18, 24
	s_add_i32 s73, s73, s17
	s_waitcnt vmcnt(0)
	v_add_co_u32 v26, vcc_lo, v20, s74
	v_add_co_ci_u32_e64 v27, null, s73, v21, vcc_lo
	s_and_saveexec_b32 s17, s10
	s_cbranch_execz .LBB0_481
; %bb.480:                              ;   in Loop: Header=BB0_347 Depth=4
	v_mov_b32_e32 v3, s11
	v_mov_b32_e32 v6, v4
	;; [unrolled: 1-line block ×3, first 2 shown]
	global_store_dwordx4 v[26:27], v[5:8], off offset:8
.LBB0_481:                              ;   in Loop: Header=BB0_347 Depth=4
	s_or_b32 exec_lo, exec_lo, s17
	s_lshl_b64 s[18:19], s[18:19], 12
	s_mov_b32 s17, s16
	v_add_co_u32 v51, vcc_lo, v22, s18
	v_add_co_ci_u32_e64 v23, null, s19, v23, vcc_lo
	s_mov_b32 s19, s16
	s_mov_b32 s18, s16
	v_lshlrev_b32_e32 v55, 6, v96
	v_mov_b32_e32 v16, v4
	v_mov_b32_e32 v17, v4
	;; [unrolled: 1-line block ×3, first 2 shown]
	v_readfirstlane_b32 s74, v51
	v_readfirstlane_b32 s75, v23
	v_mov_b32_e32 v67, s19
	v_mov_b32_e32 v66, s18
	;; [unrolled: 1-line block ×4, first 2 shown]
	global_store_dwordx4 v55, v[16:19], s[74:75]
	global_store_dwordx4 v55, v[64:67], s[74:75] offset:16
	global_store_dwordx4 v55, v[64:67], s[74:75] offset:32
	;; [unrolled: 1-line block ×3, first 2 shown]
	s_and_saveexec_b32 s11, s10
	s_cbranch_execz .LBB0_489
; %bb.482:                              ;   in Loop: Header=BB0_347 Depth=4
	s_clause 0x1
	global_load_dwordx2 v[66:67], v4, s[12:13] offset:32 glc dlc
	global_load_dwordx2 v[2:3], v4, s[12:13] offset:40
	v_mov_b32_e32 v64, s14
	v_mov_b32_e32 v65, s15
	s_mov_b32 s17, exec_lo
	s_waitcnt vmcnt(0)
	v_and_b32_e32 v3, s15, v3
	v_and_b32_e32 v2, s14, v2
	v_mul_lo_u32 v3, v3, 24
	v_mul_hi_u32 v5, v2, 24
	v_mul_lo_u32 v2, v2, 24
	v_add_nc_u32_e32 v3, v5, v3
	v_add_co_u32 v2, vcc_lo, v20, v2
	v_add_co_ci_u32_e64 v3, null, v21, v3, vcc_lo
	global_store_dwordx2 v[2:3], v[66:67], off
	s_waitcnt_vscnt null, 0x0
	global_atomic_cmpswap_x2 v[21:22], v4, v[64:67], s[12:13] offset:32 glc
	s_waitcnt vmcnt(0)
	v_cmpx_ne_u64_e64 v[21:22], v[66:67]
	s_cbranch_execz .LBB0_485
; %bb.483:                              ;   in Loop: Header=BB0_347 Depth=4
	s_mov_b32 s18, 0
.LBB0_484:                              ;   Parent Loop BB0_3 Depth=1
                                        ;     Parent Loop BB0_6 Depth=2
                                        ;       Parent Loop BB0_322 Depth=3
                                        ;         Parent Loop BB0_347 Depth=4
                                        ; =>        This Inner Loop Header: Depth=5
	v_mov_b32_e32 v19, s14
	v_mov_b32_e32 v20, s15
	s_sleep 1
	global_store_dwordx2 v[2:3], v[21:22], off
	s_waitcnt_vscnt null, 0x0
	global_atomic_cmpswap_x2 v[5:6], v4, v[19:22], s[12:13] offset:32 glc
	s_waitcnt vmcnt(0)
	v_cmp_eq_u64_e32 vcc_lo, v[5:6], v[21:22]
	v_mov_b32_e32 v22, v6
	v_mov_b32_e32 v21, v5
	s_or_b32 s18, vcc_lo, s18
	s_andn2_b32 exec_lo, exec_lo, s18
	s_cbranch_execnz .LBB0_484
.LBB0_485:                              ;   in Loop: Header=BB0_347 Depth=4
	s_or_b32 exec_lo, exec_lo, s17
	global_load_dwordx2 v[5:6], v4, s[12:13] offset:16
	s_mov_b32 s18, exec_lo
	s_mov_b32 s17, exec_lo
	v_mbcnt_lo_u32_b32 v2, s18, 0
	v_cmpx_eq_u32_e32 0, v2
	s_cbranch_execz .LBB0_487
; %bb.486:                              ;   in Loop: Header=BB0_347 Depth=4
	s_bcnt1_i32_b32 s18, s18
	v_mov_b32_e32 v3, s18
	s_waitcnt vmcnt(0)
	global_atomic_add_x2 v[5:6], v[3:4], off offset:8
.LBB0_487:                              ;   in Loop: Header=BB0_347 Depth=4
	s_or_b32 exec_lo, exec_lo, s17
	s_waitcnt vmcnt(0)
	global_load_dwordx2 v[16:17], v[5:6], off offset:16
	s_waitcnt vmcnt(0)
	v_cmp_eq_u64_e32 vcc_lo, 0, v[16:17]
	s_cbranch_vccnz .LBB0_489
; %bb.488:                              ;   in Loop: Header=BB0_347 Depth=4
	global_load_dword v3, v[5:6], off offset:24
	s_waitcnt vmcnt(0)
	v_readfirstlane_b32 s17, v3
	s_waitcnt_vscnt null, 0x0
	global_store_dwordx2 v[16:17], v[3:4], off
	s_and_b32 m0, s17, 0x7fffff
	s_sendmsg sendmsg(MSG_INTERRUPT)
.LBB0_489:                              ;   in Loop: Header=BB0_347 Depth=4
	s_or_b32 exec_lo, exec_lo, s11
	v_add_co_u32 v2, vcc_lo, v51, v55
	v_add_co_ci_u32_e64 v3, null, 0, v23, vcc_lo
.LBB0_490:                              ;   Parent Loop BB0_3 Depth=1
                                        ;     Parent Loop BB0_6 Depth=2
                                        ;       Parent Loop BB0_322 Depth=3
                                        ;         Parent Loop BB0_347 Depth=4
                                        ; =>        This Inner Loop Header: Depth=5
	v_mov_b32_e32 v5, 1
	s_and_saveexec_b32 s11, s10
	s_cbranch_execz .LBB0_492
; %bb.491:                              ;   in Loop: Header=BB0_490 Depth=5
	global_load_dword v5, v[26:27], off offset:20 glc dlc
	s_waitcnt vmcnt(0)
	buffer_gl1_inv
	buffer_gl0_inv
	v_and_b32_e32 v5, 1, v5
.LBB0_492:                              ;   in Loop: Header=BB0_490 Depth=5
	s_or_b32 exec_lo, exec_lo, s11
	v_readfirstlane_b32 s11, v5
	s_cmp_eq_u32 s11, 0
	s_cbranch_scc1 .LBB0_494
; %bb.493:                              ;   in Loop: Header=BB0_490 Depth=5
	s_mov_b32 s11, 0
	s_sleep 1
	s_branch .LBB0_495
.LBB0_494:                              ;   in Loop: Header=BB0_490 Depth=5
	s_mov_b32 s11, -1
.LBB0_495:                              ;   in Loop: Header=BB0_490 Depth=5
	s_andn2_b32 vcc_lo, exec_lo, s11
	s_cbranch_vccnz .LBB0_490
; %bb.496:                              ;   in Loop: Header=BB0_347 Depth=4
	global_load_dwordx2 v[2:3], v[2:3], off
	s_and_saveexec_b32 s17, s10
	s_cbranch_execz .LBB0_500
; %bb.497:                              ;   in Loop: Header=BB0_347 Depth=4
	s_clause 0x2
	global_load_dwordx2 v[5:6], v4, s[12:13] offset:40
	global_load_dwordx2 v[66:67], v4, s[12:13] offset:24 glc dlc
	global_load_dwordx2 v[16:17], v4, s[12:13]
	s_waitcnt vmcnt(2)
	v_readfirstlane_b32 s18, v5
	v_readfirstlane_b32 s19, v6
	s_add_u32 s73, s18, 1
	s_addc_u32 s74, s19, 0
	s_add_u32 s10, s73, s14
	s_addc_u32 s11, s74, s15
	s_cmp_eq_u64 s[10:11], 0
	s_cselect_b32 s11, s74, s11
	s_cselect_b32 s10, s73, s10
	v_mov_b32_e32 v65, s11
	s_and_b64 s[14:15], s[10:11], s[18:19]
	v_mov_b32_e32 v64, s10
	s_mul_i32 s15, s15, 24
	s_mul_hi_u32 s18, s14, 24
	s_mul_i32 s14, s14, 24
	s_add_i32 s18, s18, s15
	s_waitcnt vmcnt(0)
	v_add_co_u32 v5, vcc_lo, v16, s14
	v_add_co_ci_u32_e64 v6, null, s18, v17, vcc_lo
	global_store_dwordx2 v[5:6], v[66:67], off
	s_waitcnt_vscnt null, 0x0
	global_atomic_cmpswap_x2 v[21:22], v4, v[64:67], s[12:13] offset:24 glc
	s_waitcnt vmcnt(0)
	v_cmp_ne_u64_e32 vcc_lo, v[21:22], v[66:67]
	s_and_b32 exec_lo, exec_lo, vcc_lo
	s_cbranch_execz .LBB0_500
; %bb.498:                              ;   in Loop: Header=BB0_347 Depth=4
	s_mov_b32 s14, 0
.LBB0_499:                              ;   Parent Loop BB0_3 Depth=1
                                        ;     Parent Loop BB0_6 Depth=2
                                        ;       Parent Loop BB0_322 Depth=3
                                        ;         Parent Loop BB0_347 Depth=4
                                        ; =>        This Inner Loop Header: Depth=5
	v_mov_b32_e32 v19, s10
	v_mov_b32_e32 v20, s11
	s_sleep 1
	global_store_dwordx2 v[5:6], v[21:22], off
	s_waitcnt_vscnt null, 0x0
	global_atomic_cmpswap_x2 v[16:17], v4, v[19:22], s[12:13] offset:24 glc
	s_waitcnt vmcnt(0)
	v_cmp_eq_u64_e32 vcc_lo, v[16:17], v[21:22]
	v_mov_b32_e32 v22, v17
	v_mov_b32_e32 v21, v16
	s_or_b32 s14, vcc_lo, s14
	s_andn2_b32 exec_lo, exec_lo, s14
	s_cbranch_execnz .LBB0_499
.LBB0_500:                              ;   in Loop: Header=BB0_347 Depth=4
	s_or_b32 exec_lo, exec_lo, s17
.LBB0_501:                              ;   in Loop: Header=BB0_347 Depth=4
	s_or_b32 exec_lo, exec_lo, s29
.LBB0_502:                              ;   in Loop: Header=BB0_347 Depth=4
	s_or_b32 exec_lo, exec_lo, s28
	s_waitcnt vmcnt(0)
	v_readfirstlane_b32 s12, v2
	v_readfirstlane_b32 s13, v3
	s_cmp_eq_u64 s[12:13], 0
	s_cbranch_scc1 .LBB0_573
; %bb.503:                              ;   in Loop: Header=BB0_347 Depth=4
	global_load_dword v5, v[32:33], off
	v_mbcnt_lo_u32_b32 v13, exec_lo, 0
	s_bcnt1_i32_b32 s11, exec_lo
	s_waitcnt vmcnt(0)
	v_add_nc_u32_e32 v2, 31, v5
	v_lshrrev_b32_e32 v6, 5, v2
	s_and_saveexec_b32 s10, s4
	s_xor_b32 s14, exec_lo, s10
	s_cbranch_execz .LBB0_511
; %bb.504:                              ;   in Loop: Header=BB0_347 Depth=4
	global_load_dword v14, v[32:33], off offset:20
	s_mov_b32 s15, exec_lo
	v_cmpx_lt_u32_e64 v13, v6
	s_cbranch_execz .LBB0_507
; %bb.505:                              ;   in Loop: Header=BB0_347 Depth=4
	v_lshlrev_b32_e32 v2, 2, v13
	v_mov_b32_e32 v16, v13
	s_lshl_b32 s17, s11, 2
	s_mov_b32 s18, 0
	v_add_co_u32 v2, s10, s12, v2
	v_add_co_ci_u32_e64 v3, null, s13, 0, s10
	v_add_co_u32 v2, vcc_lo, v2, 16
	v_add_co_ci_u32_e64 v3, null, 0, v3, vcc_lo
.LBB0_506:                              ;   Parent Loop BB0_3 Depth=1
                                        ;     Parent Loop BB0_6 Depth=2
                                        ;       Parent Loop BB0_322 Depth=3
                                        ;         Parent Loop BB0_347 Depth=4
                                        ; =>        This Inner Loop Header: Depth=5
	v_add_nc_u32_e32 v16, s11, v16
	global_store_dword v[2:3], v4, off
	v_add_co_u32 v2, s10, v2, s17
	v_add_co_ci_u32_e64 v3, null, 0, v3, s10
	v_cmp_ge_u32_e32 vcc_lo, v16, v6
	s_or_b32 s18, vcc_lo, s18
	s_andn2_b32 exec_lo, exec_lo, s18
	s_cbranch_execnz .LBB0_506
.LBB0_507:                              ;   in Loop: Header=BB0_347 Depth=4
	s_or_b32 exec_lo, exec_lo, s15
	global_load_dword v2, v[32:33], off offset:16
	s_mov_b32 s10, exec_lo
	s_waitcnt vmcnt(0)
	v_mad_u64_u32 v[2:3], null, v14, v13, v[2:3]
	v_cmpx_lt_u32_e64 v2, v5
	s_cbranch_execz .LBB0_510
; %bb.508:                              ;   in Loop: Header=BB0_347 Depth=4
	v_mul_lo_u32 v3, v14, s11
	s_mov_b32 s15, 0
.LBB0_509:                              ;   Parent Loop BB0_3 Depth=1
                                        ;     Parent Loop BB0_6 Depth=2
                                        ;       Parent Loop BB0_322 Depth=3
                                        ;         Parent Loop BB0_347 Depth=4
                                        ; =>        This Inner Loop Header: Depth=5
	v_lshlrev_b32_e64 v14, v2, 1
	v_lshrrev_b32_e32 v16, 3, v2
	v_add_nc_u32_e32 v2, v2, v3
	v_and_b32_e32 v16, 0x1ffffffc, v16
	v_cmp_ge_u32_e32 vcc_lo, v2, v5
	global_store_dword v16, v14, s[12:13] offset:16
	s_or_b32 s15, vcc_lo, s15
	s_andn2_b32 exec_lo, exec_lo, s15
	s_cbranch_execnz .LBB0_509
.LBB0_510:                              ;   in Loop: Header=BB0_347 Depth=4
	s_or_b32 exec_lo, exec_lo, s10
.LBB0_511:                              ;   in Loop: Header=BB0_347 Depth=4
	s_andn2_saveexec_b32 s14, s14
	s_cbranch_execz .LBB0_516
; %bb.512:                              ;   in Loop: Header=BB0_347 Depth=4
	s_mov_b32 s15, exec_lo
	v_cmpx_lt_u32_e64 v13, v6
	s_cbranch_execz .LBB0_515
; %bb.513:                              ;   in Loop: Header=BB0_347 Depth=4
	global_load_dword v14, v[32:33], off offset:24
	v_lshlrev_b32_e32 v2, 2, v13
	v_mov_b32_e32 v16, v13
	s_lshl_b32 s17, s11, 2
	s_mov_b32 s18, 0
	v_add_co_u32 v2, s10, s12, v2
	v_add_co_ci_u32_e64 v3, null, s13, 0, s10
	v_add_co_u32 v2, vcc_lo, v2, 16
	v_add_co_ci_u32_e64 v3, null, 0, v3, vcc_lo
.LBB0_514:                              ;   Parent Loop BB0_3 Depth=1
                                        ;     Parent Loop BB0_6 Depth=2
                                        ;       Parent Loop BB0_322 Depth=3
                                        ;         Parent Loop BB0_347 Depth=4
                                        ; =>        This Inner Loop Header: Depth=5
	v_add_nc_u32_e32 v16, s11, v16
	s_waitcnt vmcnt(0)
	global_store_dword v[2:3], v14, off
	v_add_co_u32 v2, s10, v2, s17
	v_add_co_ci_u32_e64 v3, null, 0, v3, s10
	v_cmp_ge_u32_e32 vcc_lo, v16, v6
	s_or_b32 s18, vcc_lo, s18
	s_andn2_b32 exec_lo, exec_lo, s18
	s_cbranch_execnz .LBB0_514
.LBB0_515:                              ;   in Loop: Header=BB0_347 Depth=4
	s_or_b32 exec_lo, exec_lo, s15
.LBB0_516:                              ;   in Loop: Header=BB0_347 Depth=4
	s_or_b32 exec_lo, exec_lo, s14
	s_mov_b32 s10, exec_lo
	v_cmpx_eq_u32_e32 0, v13
	s_cbranch_execz .LBB0_520
; %bb.517:                              ;   in Loop: Header=BB0_347 Depth=4
	s_and_saveexec_b32 s11, s5
	s_cbranch_execz .LBB0_519
; %bb.518:                              ;   in Loop: Header=BB0_347 Depth=4
	v_add_nc_u32_e32 v3, -1, v6
	v_lshlrev_b64 v[2:3], 2, v[3:4]
	v_add_co_u32 v2, vcc_lo, s12, v2
	v_add_co_ci_u32_e64 v3, null, s13, v3, vcc_lo
	global_load_dword v6, v[2:3], off offset:16
	s_waitcnt vmcnt(0)
	v_lshl_or_b32 v5, -1, v5, v6
	global_store_dword v[2:3], v5, off offset:16
.LBB0_519:                              ;   in Loop: Header=BB0_347 Depth=4
	s_or_b32 exec_lo, exec_lo, s11
	global_store_dwordx4 v4, v[9:12], s[12:13]
.LBB0_520:                              ;   in Loop: Header=BB0_347 Depth=4
	s_or_b32 exec_lo, exec_lo, s10
.LBB0_521:                              ;   Parent Loop BB0_3 Depth=1
                                        ;     Parent Loop BB0_6 Depth=2
                                        ;       Parent Loop BB0_322 Depth=3
                                        ;         Parent Loop BB0_347 Depth=4
                                        ; =>        This Inner Loop Header: Depth=5
	v_mov_b32_e32 v2, s41
	s_and_saveexec_b32 s10, s7
	s_cbranch_execz .LBB0_523
; %bb.522:                              ;   in Loop: Header=BB0_521 Depth=5
	global_load_dword v2, v[28:29], off glc dlc
.LBB0_523:                              ;   in Loop: Header=BB0_521 Depth=5
	s_or_b32 exec_lo, exec_lo, s10
	s_waitcnt vmcnt(0)
	v_readfirstlane_b32 s41, v2
	s_cmp_eq_u32 s41, 0x10100
	s_cbranch_scc1 .LBB0_537
; %bb.524:                              ;   in Loop: Header=BB0_521 Depth=5
	v_mov_b32_e32 v2, s72
	s_and_saveexec_b32 s10, s7
	s_cbranch_execz .LBB0_526
; %bb.525:                              ;   in Loop: Header=BB0_521 Depth=5
	global_load_dword v2, v[36:37], off glc dlc
.LBB0_526:                              ;   in Loop: Header=BB0_521 Depth=5
	s_or_b32 exec_lo, exec_lo, s10
	s_waitcnt vmcnt(0)
	v_readfirstlane_b32 s72, v2
	s_mov_b32 s14, -1
	s_mov_b32 s15, -1
                                        ; implicit-def: $sgpr10_sgpr11
	s_cmp_lg_u32 s41, s72
	s_cbranch_scc0 .LBB0_536
; %bb.527:                              ;   in Loop: Header=BB0_521 Depth=5
	v_mov_b32_e32 v2, 0
	v_mov_b32_e32 v3, 0
	s_and_saveexec_b32 s10, s7
	s_cbranch_execz .LBB0_533
; %bb.528:                              ;   in Loop: Header=BB0_521 Depth=5
	v_mov_b32_e32 v2, v34
	v_mov_b32_e32 v3, v35
	s_cmpk_lt_u32 s41, 0x100
	s_mov_b32 s11, s41
	s_cbranch_scc1 .LBB0_530
; %bb.529:                              ;   in Loop: Header=BB0_521 Depth=5
	s_add_i32 s11, s41, 0xffffff00
	s_lshr_b32 s11, s11, 8
	v_mad_u64_u32 v[2:3], null, s11, 24, v[34:35]
	s_and_b32 s11, s41, 0xff
	global_load_dwordx2 v[2:3], v[2:3], off glc dlc
.LBB0_530:                              ;   in Loop: Header=BB0_521 Depth=5
	s_waitcnt vmcnt(0)
	v_mad_u64_u32 v[13:14], null, s11, 24, v[2:3]
	v_mov_b32_e32 v6, s41
	v_mov_b32_e32 v2, s12
	;; [unrolled: 1-line block ×4, first 2 shown]
	global_store_dword v4, v6, s[12:13] offset:4
	global_atomic_cmpswap_x2 v[2:3], v[13:14], v[2:5], off offset:8 glc
	s_waitcnt vmcnt(0)
	v_cmp_eq_u64_e32 vcc_lo, 0, v[2:3]
	v_mov_b32_e32 v2, 0
	v_mov_b32_e32 v3, 0
	s_and_saveexec_b32 s11, vcc_lo
	s_cbranch_execz .LBB0_532
; %bb.531:                              ;   in Loop: Header=BB0_521 Depth=5
	s_waitcnt_vscnt null, 0x0
	global_atomic_add v[28:29], v8, off
	v_mov_b32_e32 v2, v14
	v_mov_b32_e32 v3, v13
.LBB0_532:                              ;   in Loop: Header=BB0_521 Depth=5
	s_or_b32 exec_lo, exec_lo, s11
.LBB0_533:                              ;   in Loop: Header=BB0_521 Depth=5
	s_or_b32 exec_lo, exec_lo, s10
	v_readfirstlane_b32 s10, v3
	v_readfirstlane_b32 s11, v2
	s_cmp_lg_u64 s[10:11], 0
	s_cbranch_scc1 .LBB0_535
; %bb.534:                              ;   in Loop: Header=BB0_521 Depth=5
	s_mov_b32 s15, 0
	s_sleep 2
.LBB0_535:                              ;   in Loop: Header=BB0_521 Depth=5
	s_mov_b32 s14, 0
.LBB0_536:                              ;   in Loop: Header=BB0_521 Depth=5
	s_mov_b32 s17, 0
	s_branch .LBB0_538
.LBB0_537:                              ;   in Loop: Header=BB0_521 Depth=5
	s_mov_b32 s17, -1
	s_mov_b32 s14, 0
	s_mov_b32 s15, -1
                                        ; implicit-def: $sgpr72
                                        ; implicit-def: $sgpr10_sgpr11
.LBB0_538:                              ;   in Loop: Header=BB0_521 Depth=5
	s_and_b32 vcc_lo, exec_lo, s15
	s_cbranch_vccz .LBB0_521
; %bb.539:                              ;   in Loop: Header=BB0_347 Depth=4
	s_and_b32 vcc_lo, exec_lo, s17
	s_cbranch_vccnz .LBB0_572
; %bb.540:                              ;   in Loop: Header=BB0_347 Depth=4
	s_xor_b32 s14, s14, -1
	s_and_b32 vcc_lo, exec_lo, s14
	s_mov_b32 s14, -1
	s_cbranch_vccz .LBB0_542
; %bb.541:                              ;   in Loop: Header=BB0_347 Depth=4
	s_mov_b32 s14, 0
.LBB0_542:                              ;   in Loop: Header=BB0_347 Depth=4
	v_mov_b32_e32 v14, s11
	v_mov_b32_e32 v13, s10
	s_andn2_b32 vcc_lo, exec_lo, s14
	s_mov_b32 s10, 0
	s_cbranch_vccnz .LBB0_574
; %bb.543:                              ;   in Loop: Header=BB0_347 Depth=4
	s_and_saveexec_b32 s41, s7
	s_cbranch_execz .LBB0_571
; %bb.544:                              ;   in Loop: Header=BB0_347 Depth=4
	s_load_dwordx2 s[14:15], s[8:9], 0x50
	v_readfirstlane_b32 s10, v96
	v_mov_b32_e32 v2, 0
	v_mov_b32_e32 v3, 0
	v_cmp_eq_u32_e64 s10, s10, v96
	s_and_saveexec_b32 s11, s10
	s_cbranch_execz .LBB0_550
; %bb.545:                              ;   in Loop: Header=BB0_347 Depth=4
	s_waitcnt lgkmcnt(0)
	global_load_dwordx2 v[21:22], v4, s[14:15] offset:24 glc dlc
	s_waitcnt vmcnt(0)
	buffer_gl1_inv
	buffer_gl0_inv
	s_clause 0x1
	global_load_dwordx2 v[2:3], v4, s[14:15] offset:40
	global_load_dwordx2 v[5:6], v4, s[14:15]
	s_mov_b32 s17, exec_lo
	s_waitcnt vmcnt(1)
	v_and_b32_e32 v3, v3, v22
	v_and_b32_e32 v2, v2, v21
	v_mul_lo_u32 v3, v3, 24
	v_mul_hi_u32 v13, v2, 24
	v_mul_lo_u32 v2, v2, 24
	v_add_nc_u32_e32 v3, v13, v3
	s_waitcnt vmcnt(0)
	v_add_co_u32 v2, vcc_lo, v5, v2
	v_add_co_ci_u32_e64 v3, null, v6, v3, vcc_lo
	global_load_dwordx2 v[19:20], v[2:3], off glc dlc
	s_waitcnt vmcnt(0)
	global_atomic_cmpswap_x2 v[2:3], v4, v[19:22], s[14:15] offset:24 glc
	s_waitcnt vmcnt(0)
	buffer_gl1_inv
	buffer_gl0_inv
	v_cmpx_ne_u64_e64 v[2:3], v[21:22]
	s_cbranch_execz .LBB0_549
; %bb.546:                              ;   in Loop: Header=BB0_347 Depth=4
	s_mov_b32 s18, 0
.LBB0_547:                              ;   Parent Loop BB0_3 Depth=1
                                        ;     Parent Loop BB0_6 Depth=2
                                        ;       Parent Loop BB0_322 Depth=3
                                        ;         Parent Loop BB0_347 Depth=4
                                        ; =>        This Inner Loop Header: Depth=5
	s_sleep 1
	s_clause 0x1
	global_load_dwordx2 v[5:6], v4, s[14:15] offset:40
	global_load_dwordx2 v[13:14], v4, s[14:15]
	v_mov_b32_e32 v22, v3
	v_mov_b32_e32 v21, v2
	s_waitcnt vmcnt(1)
	v_and_b32_e32 v2, v5, v21
	v_and_b32_e32 v5, v6, v22
	s_waitcnt vmcnt(0)
	v_mad_u64_u32 v[2:3], null, v2, 24, v[13:14]
	v_mad_u64_u32 v[5:6], null, v5, 24, v[3:4]
	v_mov_b32_e32 v3, v5
	global_load_dwordx2 v[19:20], v[2:3], off glc dlc
	s_waitcnt vmcnt(0)
	global_atomic_cmpswap_x2 v[2:3], v4, v[19:22], s[14:15] offset:24 glc
	s_waitcnt vmcnt(0)
	buffer_gl1_inv
	buffer_gl0_inv
	v_cmp_eq_u64_e32 vcc_lo, v[2:3], v[21:22]
	s_or_b32 s18, vcc_lo, s18
	s_andn2_b32 exec_lo, exec_lo, s18
	s_cbranch_execnz .LBB0_547
; %bb.548:                              ;   in Loop: Header=BB0_347 Depth=4
	s_or_b32 exec_lo, exec_lo, s18
.LBB0_549:                              ;   in Loop: Header=BB0_347 Depth=4
	s_or_b32 exec_lo, exec_lo, s17
.LBB0_550:                              ;   in Loop: Header=BB0_347 Depth=4
	s_or_b32 exec_lo, exec_lo, s11
	s_waitcnt lgkmcnt(0)
	s_clause 0x1
	global_load_dwordx2 v[5:6], v4, s[14:15] offset:40
	global_load_dwordx4 v[19:22], v4, s[14:15]
	v_readfirstlane_b32 s29, v3
	v_readfirstlane_b32 s28, v2
	s_mov_b32 s11, exec_lo
	s_waitcnt vmcnt(1)
	v_readfirstlane_b32 s18, v5
	v_readfirstlane_b32 s19, v6
	s_and_b64 s[18:19], s[18:19], s[28:29]
	s_mul_i32 s17, s19, 24
	s_mul_hi_u32 s72, s18, 24
	s_mul_i32 s73, s18, 24
	s_add_i32 s72, s72, s17
	s_waitcnt vmcnt(0)
	v_add_co_u32 v13, vcc_lo, v19, s73
	v_add_co_ci_u32_e64 v14, null, s72, v20, vcc_lo
	s_and_saveexec_b32 s17, s10
	s_cbranch_execz .LBB0_552
; %bb.551:                              ;   in Loop: Header=BB0_347 Depth=4
	v_mov_b32_e32 v3, s11
	v_mov_b32_e32 v6, v4
	;; [unrolled: 1-line block ×3, first 2 shown]
	global_store_dwordx4 v[13:14], v[5:8], off offset:8
.LBB0_552:                              ;   in Loop: Header=BB0_347 Depth=4
	s_or_b32 exec_lo, exec_lo, s17
	s_lshl_b64 s[18:19], s[18:19], 12
	v_mov_b32_e32 v2, s12
	v_add_co_u32 v5, vcc_lo, v21, s18
	v_add_co_ci_u32_e64 v16, null, s19, v22, vcc_lo
	s_mov_b32 s19, s16
	s_mov_b32 s17, s16
	;; [unrolled: 1-line block ×3, first 2 shown]
	v_lshlrev_b32_e32 v6, 6, v96
	v_mov_b32_e32 v3, s13
	v_readfirstlane_b32 s12, v5
	v_readfirstlane_b32 s13, v16
	v_mov_b32_e32 v67, s19
	v_mov_b32_e32 v66, s18
	;; [unrolled: 1-line block ×5, first 2 shown]
	global_store_dwordx2 v6, v[2:3], s[12:13]
	global_store_dwordx4 v6, v[64:67], s[12:13] offset:8
	global_store_dwordx4 v6, v[64:67], s[12:13] offset:24
	global_store_dwordx4 v6, v[64:67], s[12:13] offset:40
	global_store_dwordx2 v6, v[4:5], s[12:13] offset:56
	s_and_saveexec_b32 s11, s10
	s_cbranch_execz .LBB0_560
; %bb.553:                              ;   in Loop: Header=BB0_347 Depth=4
	s_clause 0x1
	global_load_dwordx2 v[66:67], v4, s[14:15] offset:32 glc dlc
	global_load_dwordx2 v[2:3], v4, s[14:15] offset:40
	v_mov_b32_e32 v64, s28
	v_mov_b32_e32 v65, s29
	s_mov_b32 s12, exec_lo
	s_waitcnt vmcnt(0)
	v_and_b32_e32 v3, s29, v3
	v_and_b32_e32 v2, s28, v2
	v_mul_lo_u32 v3, v3, 24
	v_mul_hi_u32 v5, v2, 24
	v_mul_lo_u32 v2, v2, 24
	v_add_nc_u32_e32 v3, v5, v3
	v_add_co_u32 v2, vcc_lo, v19, v2
	v_add_co_ci_u32_e64 v3, null, v20, v3, vcc_lo
	global_store_dwordx2 v[2:3], v[66:67], off
	s_waitcnt_vscnt null, 0x0
	global_atomic_cmpswap_x2 v[21:22], v4, v[64:67], s[14:15] offset:32 glc
	s_waitcnt vmcnt(0)
	v_cmpx_ne_u64_e64 v[21:22], v[66:67]
	s_cbranch_execz .LBB0_556
; %bb.554:                              ;   in Loop: Header=BB0_347 Depth=4
	s_mov_b32 s13, 0
.LBB0_555:                              ;   Parent Loop BB0_3 Depth=1
                                        ;     Parent Loop BB0_6 Depth=2
                                        ;       Parent Loop BB0_322 Depth=3
                                        ;         Parent Loop BB0_347 Depth=4
                                        ; =>        This Inner Loop Header: Depth=5
	v_mov_b32_e32 v19, s28
	v_mov_b32_e32 v20, s29
	s_sleep 1
	global_store_dwordx2 v[2:3], v[21:22], off
	s_waitcnt_vscnt null, 0x0
	global_atomic_cmpswap_x2 v[5:6], v4, v[19:22], s[14:15] offset:32 glc
	s_waitcnt vmcnt(0)
	v_cmp_eq_u64_e32 vcc_lo, v[5:6], v[21:22]
	v_mov_b32_e32 v22, v6
	v_mov_b32_e32 v21, v5
	s_or_b32 s13, vcc_lo, s13
	s_andn2_b32 exec_lo, exec_lo, s13
	s_cbranch_execnz .LBB0_555
.LBB0_556:                              ;   in Loop: Header=BB0_347 Depth=4
	s_or_b32 exec_lo, exec_lo, s12
	global_load_dwordx2 v[5:6], v4, s[14:15] offset:16
	s_mov_b32 s13, exec_lo
	s_mov_b32 s12, exec_lo
	v_mbcnt_lo_u32_b32 v2, s13, 0
	v_cmpx_eq_u32_e32 0, v2
	s_cbranch_execz .LBB0_558
; %bb.557:                              ;   in Loop: Header=BB0_347 Depth=4
	s_bcnt1_i32_b32 s13, s13
	v_mov_b32_e32 v3, s13
	s_waitcnt vmcnt(0)
	global_atomic_add_x2 v[5:6], v[3:4], off offset:8
.LBB0_558:                              ;   in Loop: Header=BB0_347 Depth=4
	s_or_b32 exec_lo, exec_lo, s12
	s_waitcnt vmcnt(0)
	global_load_dwordx2 v[16:17], v[5:6], off offset:16
	s_waitcnt vmcnt(0)
	v_cmp_eq_u64_e32 vcc_lo, 0, v[16:17]
	s_cbranch_vccnz .LBB0_560
; %bb.559:                              ;   in Loop: Header=BB0_347 Depth=4
	global_load_dword v3, v[5:6], off offset:24
	s_waitcnt vmcnt(0)
	v_readfirstlane_b32 s12, v3
	s_waitcnt_vscnt null, 0x0
	global_store_dwordx2 v[16:17], v[3:4], off
	s_and_b32 m0, s12, 0x7fffff
	s_sendmsg sendmsg(MSG_INTERRUPT)
.LBB0_560:                              ;   in Loop: Header=BB0_347 Depth=4
	s_or_b32 exec_lo, exec_lo, s11
.LBB0_561:                              ;   Parent Loop BB0_3 Depth=1
                                        ;     Parent Loop BB0_6 Depth=2
                                        ;       Parent Loop BB0_322 Depth=3
                                        ;         Parent Loop BB0_347 Depth=4
                                        ; =>        This Inner Loop Header: Depth=5
	v_mov_b32_e32 v2, 1
	s_and_saveexec_b32 s11, s10
	s_cbranch_execz .LBB0_563
; %bb.562:                              ;   in Loop: Header=BB0_561 Depth=5
	global_load_dword v2, v[13:14], off offset:20 glc dlc
	s_waitcnt vmcnt(0)
	buffer_gl1_inv
	buffer_gl0_inv
	v_and_b32_e32 v2, 1, v2
.LBB0_563:                              ;   in Loop: Header=BB0_561 Depth=5
	s_or_b32 exec_lo, exec_lo, s11
	v_readfirstlane_b32 s11, v2
	s_cmp_eq_u32 s11, 0
	s_cbranch_scc1 .LBB0_565
; %bb.564:                              ;   in Loop: Header=BB0_561 Depth=5
	s_mov_b32 s11, 0
	s_sleep 1
	s_branch .LBB0_566
.LBB0_565:                              ;   in Loop: Header=BB0_561 Depth=5
	s_mov_b32 s11, -1
.LBB0_566:                              ;   in Loop: Header=BB0_561 Depth=5
	s_andn2_b32 vcc_lo, exec_lo, s11
	s_cbranch_vccnz .LBB0_561
; %bb.567:                              ;   in Loop: Header=BB0_347 Depth=4
	s_and_b32 exec_lo, exec_lo, s10
	s_cbranch_execz .LBB0_571
; %bb.568:                              ;   in Loop: Header=BB0_347 Depth=4
	s_clause 0x2
	global_load_dwordx2 v[2:3], v4, s[14:15] offset:40
	global_load_dwordx2 v[66:67], v4, s[14:15] offset:24 glc dlc
	global_load_dwordx2 v[5:6], v4, s[14:15]
	s_waitcnt vmcnt(2)
	v_readfirstlane_b32 s12, v2
	v_readfirstlane_b32 s13, v3
	s_add_u32 s17, s12, 1
	s_addc_u32 s18, s13, 0
	s_add_u32 s10, s17, s28
	s_addc_u32 s11, s18, s29
	s_cmp_eq_u64 s[10:11], 0
	s_cselect_b32 s11, s18, s11
	s_cselect_b32 s10, s17, s10
	v_mov_b32_e32 v65, s11
	s_and_b64 s[12:13], s[10:11], s[12:13]
	v_mov_b32_e32 v64, s10
	s_mul_i32 s13, s13, 24
	s_mul_hi_u32 s17, s12, 24
	s_mul_i32 s12, s12, 24
	s_add_i32 s17, s17, s13
	s_waitcnt vmcnt(0)
	v_add_co_u32 v2, vcc_lo, v5, s12
	v_add_co_ci_u32_e64 v3, null, s17, v6, vcc_lo
	global_store_dwordx2 v[2:3], v[66:67], off
	s_waitcnt_vscnt null, 0x0
	global_atomic_cmpswap_x2 v[21:22], v4, v[64:67], s[14:15] offset:24 glc
	s_waitcnt vmcnt(0)
	v_cmp_ne_u64_e32 vcc_lo, v[21:22], v[66:67]
	s_and_b32 exec_lo, exec_lo, vcc_lo
	s_cbranch_execz .LBB0_571
; %bb.569:                              ;   in Loop: Header=BB0_347 Depth=4
	s_mov_b32 s12, 0
.LBB0_570:                              ;   Parent Loop BB0_3 Depth=1
                                        ;     Parent Loop BB0_6 Depth=2
                                        ;       Parent Loop BB0_322 Depth=3
                                        ;         Parent Loop BB0_347 Depth=4
                                        ; =>        This Inner Loop Header: Depth=5
	v_mov_b32_e32 v19, s10
	v_mov_b32_e32 v20, s11
	s_sleep 1
	global_store_dwordx2 v[2:3], v[21:22], off
	s_waitcnt_vscnt null, 0x0
	global_atomic_cmpswap_x2 v[5:6], v4, v[19:22], s[14:15] offset:24 glc
	s_waitcnt vmcnt(0)
	v_cmp_eq_u64_e32 vcc_lo, v[5:6], v[21:22]
	v_mov_b32_e32 v22, v6
	v_mov_b32_e32 v21, v5
	s_or_b32 s12, vcc_lo, s12
	s_andn2_b32 exec_lo, exec_lo, s12
	s_cbranch_execnz .LBB0_570
.LBB0_571:                              ;   in Loop: Header=BB0_347 Depth=4
	s_or_b32 exec_lo, exec_lo, s41
	v_mov_b32_e32 v13, v24
	v_mov_b32_e32 v14, v25
	s_mov_b32 s10, -1
	s_branch .LBB0_574
.LBB0_572:                              ;   in Loop: Header=BB0_347 Depth=4
	v_mov_b32_e32 v13, 0
	v_mov_b32_e32 v14, 0
.LBB0_573:                              ;   in Loop: Header=BB0_347 Depth=4
	s_mov_b32 s10, 0
.LBB0_574:                              ;   in Loop: Header=BB0_347 Depth=4
	v_mov_b32_e32 v25, v14
	v_mov_b32_e32 v24, v13
.LBB0_575:                              ;   in Loop: Header=BB0_347 Depth=4
	s_xor_b32 s10, s10, -1
	s_andn2_b32 vcc_lo, exec_lo, s10
	s_cbranch_vccnz .LBB0_347
; %bb.576:                              ;   in Loop: Header=BB0_322 Depth=3
	v_cmp_ne_u64_e64 s7, 1, v[24:25]
	s_and_b32 vcc_lo, exec_lo, s7
	s_cbranch_vccz .LBB0_579
; %bb.577:                              ;   in Loop: Header=BB0_322 Depth=3
	v_mov_b32_e32 v53, v25
	v_mov_b32_e32 v52, v24
	s_branch .LBB0_599
.LBB0_578:                              ;   in Loop: Header=BB0_322 Depth=3
                                        ; implicit-def: $sgpr63
	s_branch .LBB0_599
.LBB0_579:                              ;   in Loop: Header=BB0_322 Depth=3
	v_mbcnt_lo_u32_b32 v2, exec_lo, 0
	s_mov_b32 s14, exec_lo
	v_cmpx_eq_u32_e32 0, v2
	s_cbranch_execz .LBB0_596
; %bb.580:                              ;   in Loop: Header=BB0_322 Depth=3
	global_load_dwordx2 v[2:3], v[48:49], off glc dlc
	s_memrealtime s[10:11]
	s_waitcnt vmcnt(0) lgkmcnt(0)
	v_sub_co_u32 v2, vcc_lo, s10, v2
	v_sub_co_ci_u32_e64 v3, null, s11, v3, vcc_lo
	v_cmp_gt_u64_e32 vcc_lo, 0x4e20, v[2:3]
	s_and_b32 exec_lo, exec_lo, vcc_lo
	s_cbranch_execz .LBB0_596
; %bb.581:                              ;   in Loop: Header=BB0_322 Depth=3
	s_memrealtime s[12:13]
	v_readfirstlane_b32 s10, v2
	s_sub_i32 s10, 0x4e20, s10
	s_waitcnt lgkmcnt(0)
	s_add_u32 s10, s10, s12
	s_addc_u32 s11, 0, s13
	s_add_u32 s18, s12, 0x659
	s_addc_u32 s19, 0, s13
.LBB0_582:                              ;   Parent Loop BB0_3 Depth=1
                                        ;     Parent Loop BB0_6 Depth=2
                                        ;       Parent Loop BB0_322 Depth=3
                                        ; =>      This Inner Loop Header: Depth=4
	v_cmp_le_u64_e64 s15, s[10:11], s[18:19]
	s_and_b32 vcc_lo, exec_lo, s15
	s_cbranch_vccnz .LBB0_585
; %bb.583:                              ;   in Loop: Header=BB0_582 Depth=4
	s_sleep 0x7f
	s_memrealtime s[12:13]
	s_waitcnt lgkmcnt(0)
	s_add_u32 s18, s12, 0x659
	s_addc_u32 s19, s13, 0
	s_branch .LBB0_582
.LBB0_584:                              ;   in Loop: Header=BB0_585 Depth=4
	s_sleep 63
	s_memrealtime s[12:13]
.LBB0_585:                              ;   Parent Loop BB0_3 Depth=1
                                        ;     Parent Loop BB0_6 Depth=2
                                        ;       Parent Loop BB0_322 Depth=3
                                        ; =>      This Inner Loop Header: Depth=4
	s_waitcnt lgkmcnt(0)
	s_add_u32 s18, s12, 0x326
	s_addc_u32 s19, s13, 0
	v_cmp_le_u64_e64 s15, s[10:11], s[18:19]
	s_and_b32 vcc_lo, exec_lo, s15
	s_cbranch_vccz .LBB0_584
; %bb.586:                              ;   in Loop: Header=BB0_322 Depth=3
	s_add_u32 s18, s12, 0x18c
	s_addc_u32 s19, s13, 0
	v_cmp_le_u64_e64 s15, s[10:11], s[18:19]
	s_and_b32 vcc_lo, exec_lo, s15
	s_cbranch_vccnz .LBB0_589
.LBB0_587:                              ;   Parent Loop BB0_3 Depth=1
                                        ;     Parent Loop BB0_6 Depth=2
                                        ;       Parent Loop BB0_322 Depth=3
                                        ; =>      This Inner Loop Header: Depth=4
	s_sleep 31
	s_memrealtime s[12:13]
	s_waitcnt lgkmcnt(0)
	s_add_u32 s18, s12, 0x18c
	s_addc_u32 s19, s13, 0
	v_cmp_gt_u64_e64 s15, s[10:11], s[18:19]
	s_and_b32 vcc_lo, exec_lo, s15
	s_cbranch_vccnz .LBB0_587
	s_branch .LBB0_589
.LBB0_588:                              ;   in Loop: Header=BB0_589 Depth=4
	s_sleep 15
	s_memrealtime s[12:13]
.LBB0_589:                              ;   Parent Loop BB0_3 Depth=1
                                        ;     Parent Loop BB0_6 Depth=2
                                        ;       Parent Loop BB0_322 Depth=3
                                        ; =>      This Inner Loop Header: Depth=4
	s_waitcnt lgkmcnt(0)
	s_add_u32 s18, s12, 0xc0
	s_addc_u32 s19, s13, 0
	v_cmp_le_u64_e64 s15, s[10:11], s[18:19]
	s_and_b32 vcc_lo, exec_lo, s15
	s_cbranch_vccz .LBB0_588
	s_branch .LBB0_591
.LBB0_590:                              ;   in Loop: Header=BB0_591 Depth=4
	s_sleep 7
	s_memrealtime s[12:13]
.LBB0_591:                              ;   Parent Loop BB0_3 Depth=1
                                        ;     Parent Loop BB0_6 Depth=2
                                        ;       Parent Loop BB0_322 Depth=3
                                        ; =>      This Inner Loop Header: Depth=4
	s_waitcnt lgkmcnt(0)
	s_add_u32 s18, s12, 0x59
	s_addc_u32 s19, s13, 0
	v_cmp_le_u64_e64 s15, s[10:11], s[18:19]
	s_and_b32 vcc_lo, exec_lo, s15
	s_cbranch_vccz .LBB0_590
	;; [unrolled: 14-line block ×3, first 2 shown]
; %bb.594:                              ;   in Loop: Header=BB0_322 Depth=3
	v_cmp_le_u64_e64 s12, s[10:11], s[12:13]
	s_and_b32 vcc_lo, exec_lo, s12
	s_cbranch_vccnz .LBB0_596
.LBB0_595:                              ;   Parent Loop BB0_3 Depth=1
                                        ;     Parent Loop BB0_6 Depth=2
                                        ;       Parent Loop BB0_322 Depth=3
                                        ; =>      This Inner Loop Header: Depth=4
	s_sleep 1
	s_memrealtime s[12:13]
	s_waitcnt lgkmcnt(0)
	v_cmp_gt_u64_e64 s12, s[10:11], s[12:13]
	s_and_b32 vcc_lo, exec_lo, s12
	s_cbranch_vccnz .LBB0_595
.LBB0_596:                              ;   in Loop: Header=BB0_322 Depth=3
	s_or_b32 exec_lo, exec_lo, s14
	v_mov_b32_e32 v2, s63
	s_and_saveexec_b32 s10, s6
	s_cbranch_execz .LBB0_598
; %bb.597:                              ;   in Loop: Header=BB0_322 Depth=3
	global_load_dword v2, v[28:29], off glc dlc
.LBB0_598:                              ;   in Loop: Header=BB0_322 Depth=3
	s_or_b32 exec_lo, exec_lo, s10
	s_waitcnt vmcnt(0)
	v_readfirstlane_b32 s63, v2
.LBB0_599:                              ;   in Loop: Header=BB0_322 Depth=3
	s_and_b32 vcc_lo, exec_lo, s7
	s_cbranch_vccz .LBB0_322
.LBB0_600:                              ;   in Loop: Header=BB0_6 Depth=2
	v_readfirstlane_b32 s10, v52
	v_readfirstlane_b32 s11, v53
	s_cmp_eq_u64 s[10:11], 0
	s_cbranch_scc1 .LBB0_621
; %bb.601:                              ;   in Loop: Header=BB0_6 Depth=2
	v_mov_b32_e32 v3, 0
	s_mov_b32 s13, exec_lo
	v_mbcnt_lo_u32_b32 v2, s13, 0
	global_load_dwordx2 v[0:1], v3, s[10:11] offset:8 glc dlc
	v_cmp_eq_u32_e32 vcc_lo, 0, v2
	s_waitcnt vmcnt(0)
	global_load_dword v5, v[0:1], off
	s_waitcnt vmcnt(0)
	v_readfirstlane_b32 s7, v5
	s_and_saveexec_b32 s12, vcc_lo
	s_cbranch_execz .LBB0_605
; %bb.602:                              ;   in Loop: Header=BB0_6 Depth=2
	s_mov_b32 s15, exec_lo
	s_bcnt1_i32_b32 s13, s13
	v_mbcnt_lo_u32_b32 v3, s15, 0
	s_mov_b32 s14, exec_lo
                                        ; implicit-def: $vgpr5
	v_cmpx_eq_u32_e32 0, v3
	s_cbranch_execz .LBB0_604
; %bb.603:                              ;   in Loop: Header=BB0_6 Depth=2
	s_bcnt1_i32_b32 s6, s15
	s_mul_i32 s6, s13, s6
	v_mov_b32_e32 v5, s6
	global_atomic_add v5, v[0:1], v5, off offset:8 glc
.LBB0_604:                              ;   in Loop: Header=BB0_6 Depth=2
	s_or_b32 exec_lo, exec_lo, s14
	s_waitcnt vmcnt(0)
	v_readfirstlane_b32 s6, v5
	v_mad_u32_u24 v3, s13, v3, s6
.LBB0_605:                              ;   in Loop: Header=BB0_6 Depth=2
	s_or_b32 exec_lo, exec_lo, s12
	s_mul_i32 s6, s7, 28
	s_getpc_b64 s[12:13]
	s_add_u32 s12, s12, kinfo@rel32@lo+4
	s_addc_u32 s13, s13, kinfo@rel32@hi+12
	s_mul_hi_u32 s14, s7, 28
	s_add_u32 s12, s12, s6
	s_addc_u32 s13, s13, s14
	v_mov_b32_e32 v5, 0
	s_load_dword s15, s[12:13], 0x0
	v_readfirstlane_b32 s6, v3
	v_mov_b32_e32 v6, 0
	s_waitcnt lgkmcnt(0)
	s_add_i32 s14, s15, 31
	s_cmp_lt_u32 s14, 32
	s_cbranch_scc1 .LBB0_615
; %bb.606:                              ;   in Loop: Header=BB0_6 Depth=2
	v_cvt_f32_u32_e32 v3, s15
	s_sub_i32 s17, 0, s15
	s_lshr_b32 s14, s14, 5
	v_add_lshl_u32 v2, s6, v2, 5
	s_sub_i32 s6, 0, s14
	v_rcp_iflag_f32_e32 v3, v3
	v_mul_f32_e32 v3, 0x4f7ffffe, v3
	v_cvt_u32_f32_e32 v3, v3
	v_mul_lo_u32 v5, s17, v3
	v_mul_hi_u32 v5, v3, v5
	v_add_nc_u32_e32 v3, v3, v5
	v_cvt_f32_u32_e32 v5, s14
	v_mul_hi_u32 v3, v2, v3
	v_rcp_iflag_f32_e32 v5, v5
	v_mul_lo_u32 v3, v3, s15
	v_mul_f32_e32 v5, 0x4f7ffffe, v5
	v_sub_nc_u32_e32 v2, v2, v3
	v_cvt_u32_f32_e32 v3, v5
	v_subrev_nc_u32_e32 v5, s15, v2
	v_mul_lo_u32 v6, s6, v3
	v_cmp_le_u32_e64 s6, s15, v2
	v_cndmask_b32_e64 v2, v2, v5, s6
	s_lshr_b32 s6, s7, 1
	v_mul_hi_u32 v14, v3, v6
	s_add_i32 s17, s6, 4
	s_bfe_i32 s7, s7, 0x10000
	v_subrev_nc_u32_e32 v13, s15, v2
	v_cmp_le_u32_e64 s6, s15, v2
	s_add_i32 s15, s14, -1
	v_mov_b32_e32 v5, 0
	v_mov_b32_e32 v6, 0
	;; [unrolled: 1-line block ×3, first 2 shown]
	v_cndmask_b32_e64 v13, v2, v13, s6
	s_lshl_b32 s6, 1, s17
	v_add_nc_u32_e32 v2, v3, v14
	s_lshr_b32 s17, s6, 1
	s_mov_b32 s15, 0
	v_lshrrev_b32_e32 v3, 5, v13
	s_and_b32 s17, s7, s17
	s_add_i32 s17, s17, s6
.LBB0_607:                              ;   Parent Loop BB0_3 Depth=1
                                        ;     Parent Loop BB0_6 Depth=2
                                        ; =>    This Inner Loop Header: Depth=3
	v_lshlrev_b64 v[13:14], 2, v[3:4]
	s_mov_b32 s19, -1
	s_mov_b32 s18, exec_lo
                                        ; implicit-def: $vgpr17
	v_add_co_u32 v13, s6, v0, v13
	v_add_co_ci_u32_e64 v14, null, v1, v14, s6
	global_load_dword v19, v[13:14], off offset:16 glc dlc
	s_waitcnt vmcnt(0)
	v_cmpx_ne_u32_e32 -1, v19
	s_cbranch_execz .LBB0_611
; %bb.608:                              ;   in Loop: Header=BB0_607 Depth=3
	v_not_b32_e32 v17, v19
	s_mov_b32 s19, exec_lo
	v_ffbl_b32_e32 v19, v17
	v_lshlrev_b32_e64 v17, v19, 1
	global_atomic_or v13, v[13:14], v17, off offset:16 glc
	s_waitcnt vmcnt(0)
	v_and_b32_e32 v13, v13, v17
	v_mov_b32_e32 v17, 0
	v_cmp_ne_u32_e64 s6, 0, v13
	v_cmpx_eq_u32_e32 0, v13
	s_cbranch_execz .LBB0_610
; %bb.609:                              ;   in Loop: Header=BB0_607 Depth=3
	s_load_dword s7, s[12:13], 0xc
	v_lshl_or_b32 v5, v3, 5, v19
	v_mov_b32_e32 v17, 2
	v_mul_lo_u32 v5, v5, s17
	s_waitcnt lgkmcnt(0)
	v_add_co_u32 v6, s7, v0, s7
	v_add_co_ci_u32_e64 v13, null, 0, v1, s7
	v_add_co_u32 v5, s7, v6, v5
	v_add_co_ci_u32_e64 v6, null, 0, v13, s7
.LBB0_610:                              ;   in Loop: Header=BB0_607 Depth=3
	s_or_b32 exec_lo, exec_lo, s19
	s_orn2_b32 s19, s6, exec_lo
.LBB0_611:                              ;   in Loop: Header=BB0_607 Depth=3
	s_or_b32 exec_lo, exec_lo, s18
	s_and_saveexec_b32 s7, s19
	s_cbranch_execz .LBB0_613
; %bb.612:                              ;   in Loop: Header=BB0_607 Depth=3
	v_add_nc_u32_e32 v3, 1, v3
	v_mov_b32_e32 v17, 0
	v_mul_hi_u32 v13, v3, v2
	v_mul_lo_u32 v13, v13, s14
	v_sub_nc_u32_e32 v3, v3, v13
	v_subrev_nc_u32_e32 v13, s14, v3
	v_cmp_le_u32_e64 s6, s14, v3
	v_cndmask_b32_e64 v3, v3, v13, s6
	v_subrev_nc_u32_e32 v13, s14, v3
	v_cmp_le_u32_e64 s6, s14, v3
	v_cndmask_b32_e64 v3, v3, v13, s6
.LBB0_613:                              ;   in Loop: Header=BB0_607 Depth=3
	s_or_b32 exec_lo, exec_lo, s7
	v_cmp_ne_u32_e64 s6, 0, v17
	v_sub_co_u32 v16, s7, v16, 1
	s_or_b32 s6, s6, s7
	s_and_b32 s6, exec_lo, s6
	s_or_b32 s15, s6, s15
	s_andn2_b32 exec_lo, exec_lo, s15
	s_cbranch_execnz .LBB0_607
; %bb.614:                              ;   in Loop: Header=BB0_6 Depth=2
	s_or_b32 exec_lo, exec_lo, s15
.LBB0_615:                              ;   in Loop: Header=BB0_6 Depth=2
	v_cmp_ne_u64_e64 s6, 0, v[5:6]
	s_and_saveexec_b32 s7, vcc_lo
	s_cbranch_execz .LBB0_618
; %bb.616:                              ;   in Loop: Header=BB0_6 Depth=2
	s_mov_b32 s12, exec_lo
	v_mbcnt_lo_u32_b32 v0, s12, 0
	v_cmp_eq_u32_e32 vcc_lo, 0, v0
	s_and_b32 s13, exec_lo, vcc_lo
	s_mov_b32 exec_lo, s13
	s_cbranch_execz .LBB0_618
; %bb.617:                              ;   in Loop: Header=BB0_6 Depth=2
	s_bcnt1_i32_b32 s6, s6
	s_bcnt1_i32_b32 s12, s12
	s_mul_i32 s6, s6, s12
	v_mov_b32_e32 v0, s6
	global_atomic_add v4, v0, s[10:11] offset:16
.LBB0_618:                              ;   in Loop: Header=BB0_6 Depth=2
	s_or_b32 exec_lo, exec_lo, s7
	v_mov_b32_e32 v0, 0
	v_mov_b32_e32 v1, 0
	;; [unrolled: 1-line block ×3, first 2 shown]
	s_mov_b32 s6, -1
	s_mov_b32 s7, exec_lo
	v_cmpx_ne_u64_e32 0, v[5:6]
; %bb.619:                              ;   in Loop: Header=BB0_6 Depth=2
	v_mov_b32_e32 v0, v5
	v_mov_b32_e32 v2, 0
	;; [unrolled: 1-line block ×4, first 2 shown]
	s_xor_b32 s6, exec_lo, -1
; %bb.620:                              ;   in Loop: Header=BB0_6 Depth=2
	s_or_b32 exec_lo, exec_lo, s7
	s_branch .LBB0_622
.LBB0_621:                              ;   in Loop: Header=BB0_6 Depth=2
	v_mov_b32_e32 v2, 0
	v_mov_b32_e32 v98, 0
	s_mov_b32 s6, 0
.LBB0_622:                              ;   in Loop: Header=BB0_6 Depth=2
	s_and_b32 s6, s6, exec_lo
.LBB0_623:                              ;   in Loop: Header=BB0_6 Depth=2
	s_or_b32 exec_lo, exec_lo, s62
	v_cndmask_b32_e64 v3, 0, 1, s6
	v_cmp_ne_u32_e32 vcc_lo, 0, v3
	s_cbranch_vccnz .LBB0_6
.LBB0_624:                              ;   in Loop: Header=BB0_3 Depth=1
	s_or_b32 exec_lo, exec_lo, s61
.LBB0_625:                              ;   in Loop: Header=BB0_3 Depth=1
	s_or_b32 exec_lo, exec_lo, s60
	v_cmp_ne_u32_e32 vcc_lo, 0, v98
	s_cbranch_vccnz .LBB0_3
; %bb.626:
                                        ; implicit-def: $vgpr96
                                        ; implicit-def: $vgpr2_vgpr3
.LBB0_627:
	s_andn2_saveexec_b32 s14, s43
	s_cbranch_execz .LBB0_660
; %bb.628:
	s_load_dwordx2 s[6:7], s[8:9], 0x50
	v_readfirstlane_b32 s4, v96
	v_mov_b32_e32 v8, 0
	v_mov_b32_e32 v9, 0
	v_cmp_eq_u32_e64 s4, s4, v96
	s_and_saveexec_b32 s5, s4
	s_cbranch_execz .LBB0_634
; %bb.629:
	v_mov_b32_e32 v0, 0
	s_mov_b32 s10, exec_lo
	s_waitcnt lgkmcnt(0)
	global_load_dwordx2 v[6:7], v0, s[6:7] offset:24 glc dlc
	s_waitcnt vmcnt(0)
	buffer_gl1_inv
	buffer_gl0_inv
	s_clause 0x1
	global_load_dwordx2 v[4:5], v0, s[6:7] offset:40
	global_load_dwordx2 v[8:9], v0, s[6:7]
	s_waitcnt vmcnt(1)
	v_and_b32_e32 v1, v5, v7
	v_and_b32_e32 v4, v4, v6
	v_mul_lo_u32 v1, v1, 24
	v_mul_hi_u32 v5, v4, 24
	v_mul_lo_u32 v4, v4, 24
	v_add_nc_u32_e32 v1, v5, v1
	s_waitcnt vmcnt(0)
	v_add_co_u32 v4, vcc_lo, v8, v4
	v_add_co_ci_u32_e64 v5, null, v9, v1, vcc_lo
	global_load_dwordx2 v[4:5], v[4:5], off glc dlc
	s_waitcnt vmcnt(0)
	global_atomic_cmpswap_x2 v[8:9], v0, v[4:7], s[6:7] offset:24 glc
	s_waitcnt vmcnt(0)
	buffer_gl1_inv
	buffer_gl0_inv
	v_cmpx_ne_u64_e64 v[8:9], v[6:7]
	s_cbranch_execz .LBB0_633
; %bb.630:
	s_mov_b32 s11, 0
.LBB0_631:                              ; =>This Inner Loop Header: Depth=1
	s_sleep 1
	s_clause 0x1
	global_load_dwordx2 v[4:5], v0, s[6:7] offset:40
	global_load_dwordx2 v[10:11], v0, s[6:7]
	v_mov_b32_e32 v6, v8
	v_mov_b32_e32 v7, v9
	s_waitcnt vmcnt(1)
	v_and_b32_e32 v1, v4, v6
	v_and_b32_e32 v4, v5, v7
	s_waitcnt vmcnt(0)
	v_mad_u64_u32 v[8:9], null, v1, 24, v[10:11]
	v_mov_b32_e32 v1, v9
	v_mad_u64_u32 v[4:5], null, v4, 24, v[1:2]
	v_mov_b32_e32 v9, v4
	global_load_dwordx2 v[4:5], v[8:9], off glc dlc
	s_waitcnt vmcnt(0)
	global_atomic_cmpswap_x2 v[8:9], v0, v[4:7], s[6:7] offset:24 glc
	s_waitcnt vmcnt(0)
	buffer_gl1_inv
	buffer_gl0_inv
	v_cmp_eq_u64_e32 vcc_lo, v[8:9], v[6:7]
	s_or_b32 s11, vcc_lo, s11
	s_andn2_b32 exec_lo, exec_lo, s11
	s_cbranch_execnz .LBB0_631
; %bb.632:
	s_or_b32 exec_lo, exec_lo, s11
.LBB0_633:
	s_or_b32 exec_lo, exec_lo, s10
.LBB0_634:
	s_or_b32 exec_lo, exec_lo, s5
	v_mov_b32_e32 v0, 0
	v_readfirstlane_b32 s11, v9
	v_readfirstlane_b32 s10, v8
	s_mov_b32 s5, exec_lo
	s_waitcnt lgkmcnt(0)
	s_clause 0x1
	global_load_dwordx2 v[10:11], v0, s[6:7] offset:40
	global_load_dwordx4 v[4:7], v0, s[6:7]
	s_waitcnt vmcnt(1)
	v_readfirstlane_b32 s12, v10
	v_readfirstlane_b32 s13, v11
	s_and_b64 s[12:13], s[12:13], s[10:11]
	s_mul_i32 s15, s13, 24
	s_mul_hi_u32 s16, s12, 24
	s_mul_i32 s17, s12, 24
	s_add_i32 s16, s16, s15
	s_waitcnt vmcnt(0)
	v_add_co_u32 v8, vcc_lo, v4, s17
	v_add_co_ci_u32_e64 v9, null, s16, v5, vcc_lo
	s_and_saveexec_b32 s15, s4
	s_cbranch_execz .LBB0_636
; %bb.635:
	v_mov_b32_e32 v10, s5
	v_mov_b32_e32 v11, v0
	;; [unrolled: 1-line block ×4, first 2 shown]
	global_store_dwordx4 v[8:9], v[10:13], off offset:8
.LBB0_636:
	s_or_b32 exec_lo, exec_lo, s15
	s_lshl_b64 s[12:13], s[12:13], 12
	v_lshlrev_b32_e32 v14, 6, v96
	v_add_co_u32 v6, vcc_lo, v6, s12
	v_add_co_ci_u32_e64 v7, null, s13, v7, vcc_lo
	s_mov_b32 s16, 0
	v_readfirstlane_b32 s12, v6
	v_add_co_u32 v6, vcc_lo, v6, v14
	s_mov_b32 s17, s16
	s_mov_b32 s18, s16
	;; [unrolled: 1-line block ×3, first 2 shown]
	v_mov_b32_e32 v1, v0
	v_readfirstlane_b32 s13, v7
	v_mov_b32_e32 v10, s16
	v_add_co_ci_u32_e64 v7, null, 0, v7, vcc_lo
	v_mov_b32_e32 v11, s17
	v_mov_b32_e32 v12, s18
	;; [unrolled: 1-line block ×3, first 2 shown]
	global_store_dwordx4 v14, v[0:3], s[12:13]
	global_store_dwordx4 v14, v[10:13], s[12:13] offset:16
	global_store_dwordx4 v14, v[10:13], s[12:13] offset:32
	;; [unrolled: 1-line block ×3, first 2 shown]
	s_and_saveexec_b32 s5, s4
	s_cbranch_execz .LBB0_644
; %bb.637:
	v_mov_b32_e32 v10, 0
	v_mov_b32_e32 v11, s10
	;; [unrolled: 1-line block ×3, first 2 shown]
	s_mov_b32 s12, exec_lo
	s_clause 0x1
	global_load_dwordx2 v[13:14], v10, s[6:7] offset:32 glc dlc
	global_load_dwordx2 v[0:1], v10, s[6:7] offset:40
	s_waitcnt vmcnt(0)
	v_and_b32_e32 v1, s11, v1
	v_and_b32_e32 v0, s10, v0
	v_mul_lo_u32 v1, v1, 24
	v_mul_hi_u32 v2, v0, 24
	v_mul_lo_u32 v0, v0, 24
	v_add_nc_u32_e32 v1, v2, v1
	v_add_co_u32 v4, vcc_lo, v4, v0
	v_add_co_ci_u32_e64 v5, null, v5, v1, vcc_lo
	global_store_dwordx2 v[4:5], v[13:14], off
	s_waitcnt_vscnt null, 0x0
	global_atomic_cmpswap_x2 v[2:3], v10, v[11:14], s[6:7] offset:32 glc
	s_waitcnt vmcnt(0)
	v_cmpx_ne_u64_e64 v[2:3], v[13:14]
	s_cbranch_execz .LBB0_640
; %bb.638:
	s_mov_b32 s13, 0
.LBB0_639:                              ; =>This Inner Loop Header: Depth=1
	v_mov_b32_e32 v0, s10
	v_mov_b32_e32 v1, s11
	s_sleep 1
	global_store_dwordx2 v[4:5], v[2:3], off
	s_waitcnt_vscnt null, 0x0
	global_atomic_cmpswap_x2 v[0:1], v10, v[0:3], s[6:7] offset:32 glc
	s_waitcnt vmcnt(0)
	v_cmp_eq_u64_e32 vcc_lo, v[0:1], v[2:3]
	v_mov_b32_e32 v3, v1
	v_mov_b32_e32 v2, v0
	s_or_b32 s13, vcc_lo, s13
	s_andn2_b32 exec_lo, exec_lo, s13
	s_cbranch_execnz .LBB0_639
.LBB0_640:
	s_or_b32 exec_lo, exec_lo, s12
	v_mov_b32_e32 v3, 0
	s_mov_b32 s13, exec_lo
	s_mov_b32 s12, exec_lo
	v_mbcnt_lo_u32_b32 v2, s13, 0
	global_load_dwordx2 v[0:1], v3, s[6:7] offset:16
	v_cmpx_eq_u32_e32 0, v2
	s_cbranch_execz .LBB0_642
; %bb.641:
	s_bcnt1_i32_b32 s13, s13
	v_mov_b32_e32 v2, s13
	s_waitcnt vmcnt(0)
	global_atomic_add_x2 v[0:1], v[2:3], off offset:8
.LBB0_642:
	s_or_b32 exec_lo, exec_lo, s12
	s_waitcnt vmcnt(0)
	global_load_dwordx2 v[2:3], v[0:1], off offset:16
	s_waitcnt vmcnt(0)
	v_cmp_eq_u64_e32 vcc_lo, 0, v[2:3]
	s_cbranch_vccnz .LBB0_644
; %bb.643:
	global_load_dword v0, v[0:1], off offset:24
	v_mov_b32_e32 v1, 0
	s_waitcnt vmcnt(0)
	v_readfirstlane_b32 s12, v0
	s_waitcnt_vscnt null, 0x0
	global_store_dwordx2 v[2:3], v[0:1], off
	s_and_b32 m0, s12, 0x7fffff
	s_sendmsg sendmsg(MSG_INTERRUPT)
.LBB0_644:
	s_or_b32 exec_lo, exec_lo, s5
.LBB0_645:                              ; =>This Inner Loop Header: Depth=1
	v_mov_b32_e32 v0, 1
	s_and_saveexec_b32 s5, s4
	s_cbranch_execz .LBB0_647
; %bb.646:                              ;   in Loop: Header=BB0_645 Depth=1
	global_load_dword v0, v[8:9], off offset:20 glc dlc
	s_waitcnt vmcnt(0)
	buffer_gl1_inv
	buffer_gl0_inv
	v_and_b32_e32 v0, 1, v0
.LBB0_647:                              ;   in Loop: Header=BB0_645 Depth=1
	s_or_b32 exec_lo, exec_lo, s5
	v_readfirstlane_b32 s5, v0
	s_cmp_eq_u32 s5, 0
	s_cbranch_scc1 .LBB0_649
; %bb.648:                              ;   in Loop: Header=BB0_645 Depth=1
	s_mov_b32 s5, 0
	s_sleep 1
	s_branch .LBB0_650
.LBB0_649:                              ;   in Loop: Header=BB0_645 Depth=1
	s_mov_b32 s5, -1
.LBB0_650:                              ;   in Loop: Header=BB0_645 Depth=1
	s_andn2_b32 vcc_lo, exec_lo, s5
	s_cbranch_vccnz .LBB0_645
; %bb.651:
	global_load_dwordx2 v[0:1], v[6:7], off
	s_and_saveexec_b32 s12, s4
	s_cbranch_execz .LBB0_655
; %bb.652:
	v_mov_b32_e32 v8, 0
	s_clause 0x2
	global_load_dwordx2 v[2:3], v8, s[6:7] offset:40
	global_load_dwordx2 v[11:12], v8, s[6:7] offset:24 glc dlc
	global_load_dwordx2 v[4:5], v8, s[6:7]
	s_waitcnt vmcnt(2)
	v_readfirstlane_b32 s16, v2
	v_readfirstlane_b32 s17, v3
	s_add_u32 s13, s16, 1
	s_addc_u32 s15, s17, 0
	s_add_u32 s4, s13, s10
	s_addc_u32 s5, s15, s11
	s_cmp_eq_u64 s[4:5], 0
	s_cselect_b32 s5, s15, s5
	s_cselect_b32 s4, s13, s4
	v_mov_b32_e32 v10, s5
	s_and_b64 s[10:11], s[4:5], s[16:17]
	v_mov_b32_e32 v9, s4
	s_mul_i32 s11, s11, 24
	s_mul_hi_u32 s13, s10, 24
	s_mul_i32 s10, s10, 24
	s_add_i32 s13, s13, s11
	s_waitcnt vmcnt(0)
	v_add_co_u32 v6, vcc_lo, v4, s10
	v_add_co_ci_u32_e64 v7, null, s13, v5, vcc_lo
	global_store_dwordx2 v[6:7], v[11:12], off
	s_waitcnt_vscnt null, 0x0
	global_atomic_cmpswap_x2 v[4:5], v8, v[9:12], s[6:7] offset:24 glc
	s_waitcnt vmcnt(0)
	v_cmp_ne_u64_e32 vcc_lo, v[4:5], v[11:12]
	s_and_b32 exec_lo, exec_lo, vcc_lo
	s_cbranch_execz .LBB0_655
; %bb.653:
	s_mov_b32 s10, 0
.LBB0_654:                              ; =>This Inner Loop Header: Depth=1
	v_mov_b32_e32 v2, s4
	v_mov_b32_e32 v3, s5
	s_sleep 1
	global_store_dwordx2 v[6:7], v[4:5], off
	s_waitcnt_vscnt null, 0x0
	global_atomic_cmpswap_x2 v[2:3], v8, v[2:5], s[6:7] offset:24 glc
	s_waitcnt vmcnt(0)
	v_cmp_eq_u64_e32 vcc_lo, v[2:3], v[4:5]
	v_mov_b32_e32 v5, v3
	v_mov_b32_e32 v4, v2
	s_or_b32 s10, vcc_lo, s10
	s_andn2_b32 exec_lo, exec_lo, s10
	s_cbranch_execnz .LBB0_654
.LBB0_655:
	s_or_b32 exec_lo, exec_lo, s12
	s_mov_b32 s4, exec_lo
	s_waitcnt vmcnt(0)
	v_cmpx_ne_u64_e32 0, v[0:1]
	s_cbranch_execz .LBB0_659
; %bb.656:
	s_mov_b32 s5, exec_lo
	v_mbcnt_lo_u32_b32 v2, s5, 0
	v_cmp_eq_u32_e32 vcc_lo, 0, v2
	s_and_b32 s6, exec_lo, vcc_lo
	s_mov_b32 exec_lo, s6
	s_cbranch_execz .LBB0_659
; %bb.657:
	s_mov_b32 s6, exec_lo
	v_mbcnt_lo_u32_b32 v2, s6, 0
	v_cmp_eq_u32_e32 vcc_lo, 0, v2
	s_and_b32 s7, exec_lo, vcc_lo
	s_mov_b32 exec_lo, s7
	s_cbranch_execz .LBB0_659
; %bb.658:
	s_load_dwordx2 s[8:9], s[8:9], 0x60
	s_bcnt1_i32_b32 s5, s5
	s_bcnt1_i32_b32 s6, s6
	v_mov_b32_e32 v3, 0
	s_mul_i32 s5, s5, s6
	v_mov_b32_e32 v4, 0x1a800
	v_mov_b32_e32 v2, s5
	s_waitcnt lgkmcnt(0)
	global_atomic_add_x2 v4, v[2:3], s[8:9] offset:136
.LBB0_659:
	s_or_b32 exec_lo, exec_lo, s4
.LBB0_660:
	s_or_b32 exec_lo, exec_lo, s14
.LBB0_661:
	s_or_b32 exec_lo, exec_lo, s42
	s_waitcnt lgkmcnt(0)
	s_setpc_b64 s[30:31]
.Lfunc_end0:
	.size	__ockl_dm_alloc, .Lfunc_end0-__ockl_dm_alloc
                                        ; -- End function
	.set .L__ockl_dm_alloc.num_vgpr, 116
	.set .L__ockl_dm_alloc.num_agpr, 0
	.set .L__ockl_dm_alloc.numbered_sgpr, 92
	.set .L__ockl_dm_alloc.num_named_barrier, 0
	.set .L__ockl_dm_alloc.private_seg_size, 0
	.set .L__ockl_dm_alloc.uses_vcc, 1
	.set .L__ockl_dm_alloc.uses_flat_scratch, 0
	.set .L__ockl_dm_alloc.has_dyn_sized_stack, 0
	.set .L__ockl_dm_alloc.has_recursion, 0
	.set .L__ockl_dm_alloc.has_indirect_call, 0
	.section	.AMDGPU.csdata,"",@progbits
; Function info:
; codeLenInByte = 20636
; TotalNumSgprs: 94
; NumVgprs: 116
; ScratchSize: 0
; MemoryBound: 1
	.section	.text.unlikely.,"ax",@progbits
	.p2align	2                               ; -- Begin function __ockl_dm_dealloc
	.type	__ockl_dm_dealloc,@function
__ockl_dm_dealloc:                      ; @__ockl_dm_dealloc
; %bb.0:
	s_waitcnt vmcnt(0) expcnt(0) lgkmcnt(0)
	v_and_b32_e32 v2, 0xfff, v0
	v_mov_b32_e32 v3, 0
	s_mov_b32 s4, exec_lo
	v_cmpx_ne_u64_e32 0, v[2:3]
	s_xor_b32 s10, exec_lo, s4
	s_cbranch_execz .LBB1_14
; %bb.1:
	v_and_b32_e32 v4, 0xffe00000, v0
	v_mov_b32_e32 v5, v1
	s_load_dwordx2 s[4:5], s[8:9], 0x60
	s_getpc_b64 s[6:7]
	s_add_u32 s6, s6, kinfo@rel32@lo+4
	s_addc_u32 s7, s7, kinfo@rel32@hi+12
	v_and_b32_e32 v15, 0x1fffff, v0
	v_mov_b32_e32 v17, 1
	global_load_dwordx2 v[6:7], v[4:5], off
                                        ; implicit-def: $sgpr11
	s_waitcnt vmcnt(0)
	v_lshrrev_b32_e32 v1, 1, v6
	v_bfe_i32 v2, v6, 0, 1
	v_add_nc_u32_e32 v11, 0xffffff00, v7
	v_mad_u64_u32 v[12:13], null, v6, 28, s[6:7]
	v_add_nc_u32_e32 v1, 4, v1
	v_and_b32_e32 v14, 0xff, v7
	v_lshrrev_b32_e32 v11, 8, v11
	v_lshlrev_b32_e64 v1, v1, 1
	v_lshrrev_b32_e32 v8, 1, v1
	v_and_b32_e32 v2, v2, v8
	s_waitcnt lgkmcnt(0)
	v_mad_u64_u32 v[8:9], null, 0x1800, v6, s[4:5]
	v_cmp_lt_u32_e64 s4, 0xff, v7
	v_add_nc_u32_e32 v2, v2, v1
	v_add_co_u32 v8, vcc_lo, 0x2800, v8
	v_cvt_f32_u32_e32 v1, v2
	v_sub_nc_u32_e32 v10, 0, v2
	v_add_co_ci_u32_e64 v9, null, 0, v9, vcc_lo
	v_rcp_iflag_f32_e32 v1, v1
	v_mul_f32_e32 v1, 0x4f7ffffe, v1
	v_cvt_u32_f32_e32 v1, v1
	v_mul_lo_u32 v10, v10, v1
	v_mul_hi_u32 v16, v1, v10
	v_mad_u64_u32 v[10:11], null, v11, 24, v[8:9]
	v_add_nc_u32_e32 v16, v1, v16
.LBB1_2:                                ; =>This Inner Loop Header: Depth=1
	v_mov_b32_e32 v0, 0
	s_andn2_b32 s11, s11, exec_lo
	s_mov_b32 s12, exec_lo
	v_cmpx_ne_u32_e32 0, v17
	s_cbranch_execz .LBB1_13
; %bb.3:                                ;   in Loop: Header=BB1_2 Depth=1
	v_readfirstlane_b32 s5, v6
	v_readfirstlane_b32 s6, v7
	v_mov_b32_e32 v0, 1
	v_cmp_eq_u32_e32 vcc_lo, s5, v6
	v_cmp_eq_u32_e64 s5, s6, v7
	s_and_b32 s6, vcc_lo, s5
	s_mov_b32 s5, -1
	s_and_saveexec_b32 s13, s6
	s_cbranch_execz .LBB1_12
; %bb.4:                                ;   in Loop: Header=BB1_2 Depth=1
	s_mov_b32 s14, exec_lo
	v_mov_b32_e32 v1, 0
	v_mbcnt_lo_u32_b32 v0, s14, 0
	v_cmp_eq_u32_e32 vcc_lo, 0, v0
	v_mov_b32_e32 v0, 0
	s_and_saveexec_b32 s5, vcc_lo
	s_cbranch_execz .LBB1_8
; %bb.5:                                ;   in Loop: Header=BB1_2 Depth=1
	v_mov_b32_e32 v0, v8
	v_mov_b32_e32 v17, v7
	;; [unrolled: 1-line block ×3, first 2 shown]
	s_and_saveexec_b32 s6, s4
	s_cbranch_execz .LBB1_7
; %bb.6:                                ;   in Loop: Header=BB1_2 Depth=1
	global_load_dwordx2 v[0:1], v[10:11], off glc dlc
	v_mov_b32_e32 v17, v14
.LBB1_7:                                ;   in Loop: Header=BB1_2 Depth=1
	s_or_b32 exec_lo, exec_lo, s6
	s_waitcnt vmcnt(0)
	v_mad_u64_u32 v[0:1], null, v17, 24, v[0:1]
.LBB1_8:                                ;   in Loop: Header=BB1_2 Depth=1
	s_or_b32 exec_lo, exec_lo, s5
	global_load_dword v17, v[12:13], off offset:12
	v_readfirstlane_b32 s6, v0
	v_readfirstlane_b32 s7, v1
	s_waitcnt vmcnt(0)
	v_sub_nc_u32_e32 v17, v15, v17
	v_mul_hi_u32 v18, v17, v16
	v_mul_lo_u32 v19, v18, v2
	v_sub_nc_u32_e32 v17, v17, v19
	v_add_nc_u32_e32 v19, 1, v18
	v_sub_nc_u32_e32 v20, v17, v2
	v_cmp_ge_u32_e64 s5, v17, v2
	v_cndmask_b32_e64 v18, v18, v19, s5
	v_cndmask_b32_e64 v17, v17, v20, s5
	v_add_nc_u32_e32 v19, 1, v18
	v_cmp_ge_u32_e64 s5, v17, v2
	v_cndmask_b32_e64 v17, v18, v19, s5
	v_lshrrev_b32_e32 v18, 3, v17
	v_lshlrev_b32_e64 v17, v17, 1
	v_and_b32_e32 v18, 0x1ffffffc, v18
	v_not_b32_e32 v19, v17
	v_add_co_u32 v17, s5, v4, v18
	v_add_co_ci_u32_e64 v18, null, 0, v5, s5
	global_atomic_and v[17:18], v19, off offset:16
	s_and_saveexec_b32 s5, vcc_lo
	s_cbranch_execz .LBB1_11
; %bb.9:                                ;   in Loop: Header=BB1_2 Depth=1
	s_mov_b32 s15, exec_lo
	v_mbcnt_lo_u32_b32 v0, s15, 0
	v_cmp_eq_u32_e32 vcc_lo, 0, v0
	s_and_b32 s16, exec_lo, vcc_lo
	s_mov_b32 exec_lo, s16
	s_cbranch_execz .LBB1_11
; %bb.10:                               ;   in Loop: Header=BB1_2 Depth=1
	s_bcnt1_i32_b32 s14, s14
	s_bcnt1_i32_b32 s15, s15
	s_mul_i32 s14, s14, s15
	v_mov_b32_e32 v0, s14
	global_atomic_sub v3, v0, s[6:7] offset:16
.LBB1_11:                               ;   in Loop: Header=BB1_2 Depth=1
	s_or_b32 exec_lo, exec_lo, s5
	v_mov_b32_e32 v0, 0
	s_xor_b32 s5, exec_lo, -1
.LBB1_12:                               ;   in Loop: Header=BB1_2 Depth=1
	s_or_b32 exec_lo, exec_lo, s13
	s_andn2_b32 s6, s11, exec_lo
	s_and_b32 s5, s5, exec_lo
	s_or_b32 s11, s6, s5
.LBB1_13:                               ;   in Loop: Header=BB1_2 Depth=1
	s_or_b32 exec_lo, exec_lo, s12
	v_cndmask_b32_e64 v1, 0, 1, s11
	v_mov_b32_e32 v17, v0
	v_cmp_ne_u32_e32 vcc_lo, 0, v1
                                        ; implicit-def: $vgpr0_vgpr1
	s_cbranch_vccnz .LBB1_2
.LBB1_14:
	s_andn2_saveexec_b32 s14, s10
	s_cbranch_execz .LBB1_47
; %bb.15:
	s_mov_b32 s15, exec_lo
	v_cmpx_ne_u64_e32 0, v[0:1]
	s_cbranch_execz .LBB1_46
; %bb.16:
	s_load_dwordx2 s[6:7], s[8:9], 0x50
	v_mbcnt_lo_u32_b32 v3, -1, 0
	v_mov_b32_e32 v8, 0
	v_mov_b32_e32 v9, 0
	v_readfirstlane_b32 s4, v3
	v_cmp_eq_u32_e64 s4, s4, v3
	s_and_saveexec_b32 s5, s4
	s_cbranch_execz .LBB1_22
; %bb.17:
	v_mov_b32_e32 v2, 0
	s_mov_b32 s10, exec_lo
	s_waitcnt lgkmcnt(0)
	global_load_dwordx2 v[6:7], v2, s[6:7] offset:24 glc dlc
	s_waitcnt vmcnt(0)
	buffer_gl1_inv
	buffer_gl0_inv
	s_clause 0x1
	global_load_dwordx2 v[4:5], v2, s[6:7] offset:40
	global_load_dwordx2 v[8:9], v2, s[6:7]
	s_waitcnt vmcnt(1)
	v_and_b32_e32 v5, v5, v7
	v_and_b32_e32 v4, v4, v6
	v_mul_lo_u32 v5, v5, 24
	v_mul_hi_u32 v10, v4, 24
	v_mul_lo_u32 v4, v4, 24
	v_add_nc_u32_e32 v5, v10, v5
	s_waitcnt vmcnt(0)
	v_add_co_u32 v4, vcc_lo, v8, v4
	v_add_co_ci_u32_e64 v5, null, v9, v5, vcc_lo
	global_load_dwordx2 v[4:5], v[4:5], off glc dlc
	s_waitcnt vmcnt(0)
	global_atomic_cmpswap_x2 v[8:9], v2, v[4:7], s[6:7] offset:24 glc
	s_waitcnt vmcnt(0)
	buffer_gl1_inv
	buffer_gl0_inv
	v_cmpx_ne_u64_e64 v[8:9], v[6:7]
	s_cbranch_execz .LBB1_21
; %bb.18:
	s_mov_b32 s11, 0
.LBB1_19:                               ; =>This Inner Loop Header: Depth=1
	s_sleep 1
	s_clause 0x1
	global_load_dwordx2 v[4:5], v2, s[6:7] offset:40
	global_load_dwordx2 v[10:11], v2, s[6:7]
	v_mov_b32_e32 v6, v8
	v_mov_b32_e32 v7, v9
	s_waitcnt vmcnt(1)
	v_and_b32_e32 v4, v4, v6
	v_and_b32_e32 v5, v5, v7
	s_waitcnt vmcnt(0)
	v_mad_u64_u32 v[8:9], null, v4, 24, v[10:11]
	v_mov_b32_e32 v4, v9
	v_mad_u64_u32 v[4:5], null, v5, 24, v[4:5]
	v_mov_b32_e32 v9, v4
	global_load_dwordx2 v[4:5], v[8:9], off glc dlc
	s_waitcnt vmcnt(0)
	global_atomic_cmpswap_x2 v[8:9], v2, v[4:7], s[6:7] offset:24 glc
	s_waitcnt vmcnt(0)
	buffer_gl1_inv
	buffer_gl0_inv
	v_cmp_eq_u64_e32 vcc_lo, v[8:9], v[6:7]
	s_or_b32 s11, vcc_lo, s11
	s_andn2_b32 exec_lo, exec_lo, s11
	s_cbranch_execnz .LBB1_19
; %bb.20:
	s_or_b32 exec_lo, exec_lo, s11
.LBB1_21:
	s_or_b32 exec_lo, exec_lo, s10
.LBB1_22:
	s_or_b32 exec_lo, exec_lo, s5
	v_mov_b32_e32 v2, 0
	v_readfirstlane_b32 s11, v9
	v_readfirstlane_b32 s10, v8
	s_mov_b32 s5, exec_lo
	s_waitcnt lgkmcnt(0)
	s_clause 0x1
	global_load_dwordx2 v[10:11], v2, s[6:7] offset:40
	global_load_dwordx4 v[4:7], v2, s[6:7]
	s_waitcnt vmcnt(1)
	v_readfirstlane_b32 s12, v10
	v_readfirstlane_b32 s13, v11
	s_and_b64 s[12:13], s[12:13], s[10:11]
	s_mul_i32 s16, s13, 24
	s_mul_hi_u32 s17, s12, 24
	s_mul_i32 s18, s12, 24
	s_add_i32 s17, s17, s16
	s_waitcnt vmcnt(0)
	v_add_co_u32 v8, vcc_lo, v4, s18
	v_add_co_ci_u32_e64 v9, null, s17, v5, vcc_lo
	s_and_saveexec_b32 s16, s4
	s_cbranch_execz .LBB1_24
; %bb.23:
	v_mov_b32_e32 v10, s5
	v_mov_b32_e32 v11, v2
	;; [unrolled: 1-line block ×4, first 2 shown]
	global_store_dwordx4 v[8:9], v[10:13], off offset:8
.LBB1_24:
	s_or_b32 exec_lo, exec_lo, s16
	s_lshl_b64 s[12:13], s[12:13], 12
	s_mov_b32 s16, 0
	v_add_co_u32 v6, vcc_lo, v6, s12
	v_add_co_ci_u32_e64 v7, null, s13, v7, vcc_lo
	s_mov_b32 s17, s16
	s_mov_b32 s18, s16
	;; [unrolled: 1-line block ×3, first 2 shown]
	v_lshlrev_b32_e32 v14, 6, v3
	v_mov_b32_e32 v3, v2
	v_readfirstlane_b32 s12, v6
	v_readfirstlane_b32 s13, v7
	v_mov_b32_e32 v10, s16
	v_mov_b32_e32 v11, s17
	;; [unrolled: 1-line block ×4, first 2 shown]
	global_store_dwordx4 v14, v[0:3], s[12:13]
	global_store_dwordx4 v14, v[10:13], s[12:13] offset:16
	global_store_dwordx4 v14, v[10:13], s[12:13] offset:32
	;; [unrolled: 1-line block ×3, first 2 shown]
	s_and_saveexec_b32 s5, s4
	s_cbranch_execz .LBB1_32
; %bb.25:
	v_mov_b32_e32 v6, 0
	v_mov_b32_e32 v10, s10
	;; [unrolled: 1-line block ×3, first 2 shown]
	s_mov_b32 s12, exec_lo
	s_clause 0x1
	global_load_dwordx2 v[12:13], v6, s[6:7] offset:32 glc dlc
	global_load_dwordx2 v[0:1], v6, s[6:7] offset:40
	s_waitcnt vmcnt(0)
	v_and_b32_e32 v1, s11, v1
	v_and_b32_e32 v0, s10, v0
	v_mul_lo_u32 v1, v1, 24
	v_mul_hi_u32 v2, v0, 24
	v_mul_lo_u32 v0, v0, 24
	v_add_nc_u32_e32 v1, v2, v1
	v_add_co_u32 v4, vcc_lo, v4, v0
	v_add_co_ci_u32_e64 v5, null, v5, v1, vcc_lo
	global_store_dwordx2 v[4:5], v[12:13], off
	s_waitcnt_vscnt null, 0x0
	global_atomic_cmpswap_x2 v[2:3], v6, v[10:13], s[6:7] offset:32 glc
	s_waitcnt vmcnt(0)
	v_cmpx_ne_u64_e64 v[2:3], v[12:13]
	s_cbranch_execz .LBB1_28
; %bb.26:
	s_mov_b32 s13, 0
.LBB1_27:                               ; =>This Inner Loop Header: Depth=1
	v_mov_b32_e32 v0, s10
	v_mov_b32_e32 v1, s11
	s_sleep 1
	global_store_dwordx2 v[4:5], v[2:3], off
	s_waitcnt_vscnt null, 0x0
	global_atomic_cmpswap_x2 v[0:1], v6, v[0:3], s[6:7] offset:32 glc
	s_waitcnt vmcnt(0)
	v_cmp_eq_u64_e32 vcc_lo, v[0:1], v[2:3]
	v_mov_b32_e32 v3, v1
	v_mov_b32_e32 v2, v0
	s_or_b32 s13, vcc_lo, s13
	s_andn2_b32 exec_lo, exec_lo, s13
	s_cbranch_execnz .LBB1_27
.LBB1_28:
	s_or_b32 exec_lo, exec_lo, s12
	v_mov_b32_e32 v3, 0
	s_mov_b32 s13, exec_lo
	s_mov_b32 s12, exec_lo
	v_mbcnt_lo_u32_b32 v2, s13, 0
	global_load_dwordx2 v[0:1], v3, s[6:7] offset:16
	v_cmpx_eq_u32_e32 0, v2
	s_cbranch_execz .LBB1_30
; %bb.29:
	s_bcnt1_i32_b32 s13, s13
	v_mov_b32_e32 v2, s13
	s_waitcnt vmcnt(0)
	global_atomic_add_x2 v[0:1], v[2:3], off offset:8
.LBB1_30:
	s_or_b32 exec_lo, exec_lo, s12
	s_waitcnt vmcnt(0)
	global_load_dwordx2 v[2:3], v[0:1], off offset:16
	s_waitcnt vmcnt(0)
	v_cmp_eq_u64_e32 vcc_lo, 0, v[2:3]
	s_cbranch_vccnz .LBB1_32
; %bb.31:
	global_load_dword v0, v[0:1], off offset:24
	v_mov_b32_e32 v1, 0
	s_waitcnt vmcnt(0)
	v_readfirstlane_b32 s12, v0
	s_waitcnt_vscnt null, 0x0
	global_store_dwordx2 v[2:3], v[0:1], off
	s_and_b32 m0, s12, 0x7fffff
	s_sendmsg sendmsg(MSG_INTERRUPT)
.LBB1_32:
	s_or_b32 exec_lo, exec_lo, s5
.LBB1_33:                               ; =>This Inner Loop Header: Depth=1
	v_mov_b32_e32 v0, 1
	s_and_saveexec_b32 s5, s4
	s_cbranch_execz .LBB1_35
; %bb.34:                               ;   in Loop: Header=BB1_33 Depth=1
	global_load_dword v0, v[8:9], off offset:20 glc dlc
	s_waitcnt vmcnt(0)
	buffer_gl1_inv
	buffer_gl0_inv
	v_and_b32_e32 v0, 1, v0
.LBB1_35:                               ;   in Loop: Header=BB1_33 Depth=1
	s_or_b32 exec_lo, exec_lo, s5
	v_readfirstlane_b32 s5, v0
	s_cmp_eq_u32 s5, 0
	s_cbranch_scc1 .LBB1_37
; %bb.36:                               ;   in Loop: Header=BB1_33 Depth=1
	s_mov_b32 s5, 0
	s_sleep 1
	s_branch .LBB1_38
.LBB1_37:                               ;   in Loop: Header=BB1_33 Depth=1
	s_mov_b32 s5, -1
.LBB1_38:                               ;   in Loop: Header=BB1_33 Depth=1
	s_andn2_b32 vcc_lo, exec_lo, s5
	s_cbranch_vccnz .LBB1_33
; %bb.39:
	s_and_saveexec_b32 s12, s4
	s_cbranch_execz .LBB1_43
; %bb.40:
	v_mov_b32_e32 v6, 0
	s_clause 0x2
	global_load_dwordx2 v[0:1], v6, s[6:7] offset:40
	global_load_dwordx2 v[9:10], v6, s[6:7] offset:24 glc dlc
	global_load_dwordx2 v[2:3], v6, s[6:7]
	s_waitcnt vmcnt(2)
	v_readfirstlane_b32 s16, v0
	v_readfirstlane_b32 s17, v1
	s_add_u32 s13, s16, 1
	s_addc_u32 s18, s17, 0
	s_add_u32 s4, s13, s10
	s_addc_u32 s5, s18, s11
	s_cmp_eq_u64 s[4:5], 0
	s_cselect_b32 s5, s18, s5
	s_cselect_b32 s4, s13, s4
	v_mov_b32_e32 v8, s5
	s_and_b64 s[10:11], s[4:5], s[16:17]
	v_mov_b32_e32 v7, s4
	s_mul_i32 s11, s11, 24
	s_mul_hi_u32 s13, s10, 24
	s_mul_i32 s10, s10, 24
	s_add_i32 s13, s13, s11
	s_waitcnt vmcnt(0)
	v_add_co_u32 v4, vcc_lo, v2, s10
	v_add_co_ci_u32_e64 v5, null, s13, v3, vcc_lo
	global_store_dwordx2 v[4:5], v[9:10], off
	s_waitcnt_vscnt null, 0x0
	global_atomic_cmpswap_x2 v[2:3], v6, v[7:10], s[6:7] offset:24 glc
	s_waitcnt vmcnt(0)
	v_cmp_ne_u64_e32 vcc_lo, v[2:3], v[9:10]
	s_and_b32 exec_lo, exec_lo, vcc_lo
	s_cbranch_execz .LBB1_43
; %bb.41:
	s_mov_b32 s10, 0
.LBB1_42:                               ; =>This Inner Loop Header: Depth=1
	v_mov_b32_e32 v0, s4
	v_mov_b32_e32 v1, s5
	s_sleep 1
	global_store_dwordx2 v[4:5], v[2:3], off
	s_waitcnt_vscnt null, 0x0
	global_atomic_cmpswap_x2 v[0:1], v6, v[0:3], s[6:7] offset:24 glc
	s_waitcnt vmcnt(0)
	v_cmp_eq_u64_e32 vcc_lo, v[0:1], v[2:3]
	v_mov_b32_e32 v3, v1
	v_mov_b32_e32 v2, v0
	s_or_b32 s10, vcc_lo, s10
	s_andn2_b32 exec_lo, exec_lo, s10
	s_cbranch_execnz .LBB1_42
.LBB1_43:
	s_or_b32 exec_lo, exec_lo, s12
	s_mov_b32 s4, exec_lo
	v_mbcnt_lo_u32_b32 v0, s4, 0
	v_cmp_eq_u32_e32 vcc_lo, 0, v0
	s_and_b32 s5, exec_lo, vcc_lo
	s_mov_b32 exec_lo, s5
	s_cbranch_execz .LBB1_46
; %bb.44:
	s_mov_b32 s5, exec_lo
	v_mbcnt_lo_u32_b32 v0, s5, 0
	v_cmp_eq_u32_e32 vcc_lo, 0, v0
	s_and_b32 s6, exec_lo, vcc_lo
	s_mov_b32 exec_lo, s6
	s_cbranch_execz .LBB1_46
; %bb.45:
	s_load_dwordx2 s[6:7], s[8:9], 0x60
	s_bcnt1_i32_b32 s4, s4
	s_bcnt1_i32_b32 s5, s5
	v_mov_b32_e32 v1, 0
	s_mul_i32 s4, s4, s5
	v_mov_b32_e32 v2, 0x1a800
	v_mov_b32_e32 v0, s4
	s_waitcnt lgkmcnt(0)
	global_atomic_sub_x2 v2, v[0:1], s[6:7] offset:136
.LBB1_46:
	s_or_b32 exec_lo, exec_lo, s15
.LBB1_47:
	s_or_b32 exec_lo, exec_lo, s14
	s_waitcnt lgkmcnt(0)
	s_setpc_b64 s[30:31]
.Lfunc_end1:
	.size	__ockl_dm_dealloc, .Lfunc_end1-__ockl_dm_dealloc
                                        ; -- End function
	.set .L__ockl_dm_dealloc.num_vgpr, 21
	.set .L__ockl_dm_dealloc.num_agpr, 0
	.set .L__ockl_dm_dealloc.numbered_sgpr, 32
	.set .L__ockl_dm_dealloc.num_named_barrier, 0
	.set .L__ockl_dm_dealloc.private_seg_size, 0
	.set .L__ockl_dm_dealloc.uses_vcc, 1
	.set .L__ockl_dm_dealloc.uses_flat_scratch, 0
	.set .L__ockl_dm_dealloc.has_dyn_sized_stack, 0
	.set .L__ockl_dm_dealloc.has_recursion, 0
	.set .L__ockl_dm_dealloc.has_indirect_call, 0
	.section	.AMDGPU.csdata,"",@progbits
; Function info:
; codeLenInByte = 2040
; TotalNumSgprs: 34
; NumVgprs: 21
; ScratchSize: 0
; MemoryBound: 1
	.section	.text.unlikely.,"ax",@progbits
	.p2align	2                               ; -- Begin function _ZN6thrust23THRUST_200600_302600_NS6detail19temporary_allocatorIiNS1_5seq_tEE8allocateEm
	.type	_ZN6thrust23THRUST_200600_302600_NS6detail19temporary_allocatorIiNS1_5seq_tEE8allocateEm,@function
_ZN6thrust23THRUST_200600_302600_NS6detail19temporary_allocatorIiNS1_5seq_tEE8allocateEm: ; @_ZN6thrust23THRUST_200600_302600_NS6detail19temporary_allocatorIiNS1_5seq_tEE8allocateEm
; %bb.0:
	s_waitcnt vmcnt(0) expcnt(0) lgkmcnt(0)
	s_mov_b32 s94, s33
	s_mov_b32 s33, s32
	s_or_saveexec_b32 s4, -1
	buffer_store_dword v40, off, s[0:3], s33 ; 4-byte Folded Spill
	s_mov_b32 exec_lo, s4
	v_writelane_b32 v40, s30, 0
	s_addk_i32 s32, 0x200
	v_writelane_b32 v40, s31, 1
	v_lshlrev_b64 v[2:3], 2, v[0:1]
	v_alignbit_b32 v1, v1, v0, 30
	s_getpc_b64 s[4:5]
	s_add_u32 s4, s4, __ockl_dm_alloc@rel32@lo+4
	s_addc_u32 s5, s5, __ockl_dm_alloc@rel32@hi+12
	s_mov_b64 s[92:93], s[8:9]
	v_mov_b32_e32 v0, v2
	s_swappc_b64 s[30:31], s[4:5]
	v_mov_b32_e32 v27, v1
	v_mov_b32_e32 v26, v0
	s_mov_b32 s4, exec_lo
	v_cmpx_ne_u64_e32 0, v[26:27]
	s_xor_b32 s4, exec_lo, s4
	s_andn2_saveexec_b32 s20, s4
	s_cbranch_execnz .LBB2_2
.LBB2_1:
	s_or_b32 exec_lo, exec_lo, s20
	s_waitcnt vmcnt(0)
	v_mov_b32_e32 v0, v26
	v_readlane_b32 s30, v40, 0
	v_mov_b32_e32 v1, v27
	v_readlane_b32 s31, v40, 1
	s_mov_b32 s32, s33
	s_or_saveexec_b32 s4, -1
	buffer_load_dword v40, off, s[0:3], s33 ; 4-byte Folded Reload
	s_mov_b32 exec_lo, s4
	s_mov_b32 s33, s94
	s_waitcnt vmcnt(0) lgkmcnt(0)
	s_setpc_b64 s[30:31]
.LBB2_2:
	v_mov_b32_e32 v0, v26
	v_mov_b32_e32 v1, v27
	s_getpc_b64 s[4:5]
	s_add_u32 s4, s4, __ockl_dm_dealloc@rel32@lo+4
	s_addc_u32 s5, s5, __ockl_dm_dealloc@rel32@hi+12
	s_mov_b64 s[8:9], s[92:93]
	s_swappc_b64 s[30:31], s[4:5]
	s_load_dwordx2 s[6:7], s[92:93], 0x50
	v_mbcnt_lo_u32_b32 v31, -1, 0
	v_mov_b32_e32 v6, 0
	v_mov_b32_e32 v7, 0
	v_readfirstlane_b32 s4, v31
	v_cmp_eq_u32_e64 s4, s4, v31
	s_and_saveexec_b32 s5, s4
	s_cbranch_execz .LBB2_8
; %bb.3:
	v_mov_b32_e32 v0, 0
	s_mov_b32 s8, exec_lo
	s_waitcnt lgkmcnt(0)
	global_load_dwordx2 v[3:4], v0, s[6:7] offset:24 glc dlc
	s_waitcnt vmcnt(0)
	buffer_gl1_inv
	buffer_gl0_inv
	s_clause 0x1
	global_load_dwordx2 v[1:2], v0, s[6:7] offset:40
	global_load_dwordx2 v[5:6], v0, s[6:7]
	s_waitcnt vmcnt(1)
	v_and_b32_e32 v2, v2, v4
	v_and_b32_e32 v1, v1, v3
	v_mul_lo_u32 v2, v2, 24
	v_mul_hi_u32 v7, v1, 24
	v_mul_lo_u32 v1, v1, 24
	v_add_nc_u32_e32 v2, v7, v2
	s_waitcnt vmcnt(0)
	v_add_co_u32 v1, vcc_lo, v5, v1
	v_add_co_ci_u32_e64 v2, null, v6, v2, vcc_lo
	global_load_dwordx2 v[1:2], v[1:2], off glc dlc
	s_waitcnt vmcnt(0)
	global_atomic_cmpswap_x2 v[6:7], v0, v[1:4], s[6:7] offset:24 glc
	s_waitcnt vmcnt(0)
	buffer_gl1_inv
	buffer_gl0_inv
	v_cmpx_ne_u64_e64 v[6:7], v[3:4]
	s_cbranch_execz .LBB2_7
; %bb.4:
	s_mov_b32 s9, 0
	.p2align	6
.LBB2_5:                                ; =>This Inner Loop Header: Depth=1
	s_sleep 1
	s_clause 0x1
	global_load_dwordx2 v[1:2], v0, s[6:7] offset:40
	global_load_dwordx2 v[8:9], v0, s[6:7]
	v_mov_b32_e32 v3, v6
	v_mov_b32_e32 v4, v7
	s_waitcnt vmcnt(1)
	v_and_b32_e32 v1, v1, v3
	v_and_b32_e32 v2, v2, v4
	s_waitcnt vmcnt(0)
	v_mad_u64_u32 v[5:6], null, v1, 24, v[8:9]
	v_mov_b32_e32 v1, v6
	v_mad_u64_u32 v[1:2], null, v2, 24, v[1:2]
	v_mov_b32_e32 v6, v1
	global_load_dwordx2 v[1:2], v[5:6], off glc dlc
	s_waitcnt vmcnt(0)
	global_atomic_cmpswap_x2 v[6:7], v0, v[1:4], s[6:7] offset:24 glc
	s_waitcnt vmcnt(0)
	buffer_gl1_inv
	buffer_gl0_inv
	v_cmp_eq_u64_e32 vcc_lo, v[6:7], v[3:4]
	s_or_b32 s9, vcc_lo, s9
	s_andn2_b32 exec_lo, exec_lo, s9
	s_cbranch_execnz .LBB2_5
; %bb.6:
	s_or_b32 exec_lo, exec_lo, s9
.LBB2_7:
	s_or_b32 exec_lo, exec_lo, s8
.LBB2_8:
	s_or_b32 exec_lo, exec_lo, s5
	v_mov_b32_e32 v5, 0
	v_readfirstlane_b32 s9, v7
	v_readfirstlane_b32 s8, v6
	s_mov_b32 s5, exec_lo
	s_waitcnt lgkmcnt(0)
	s_clause 0x1
	global_load_dwordx2 v[8:9], v5, s[6:7] offset:40
	global_load_dwordx4 v[0:3], v5, s[6:7]
	s_waitcnt vmcnt(1)
	v_readfirstlane_b32 s10, v8
	v_readfirstlane_b32 s11, v9
	s_and_b64 s[10:11], s[10:11], s[8:9]
	s_mul_i32 s12, s11, 24
	s_mul_hi_u32 s13, s10, 24
	s_mul_i32 s14, s10, 24
	s_add_i32 s13, s13, s12
	s_waitcnt vmcnt(0)
	v_add_co_u32 v8, vcc_lo, v0, s14
	v_add_co_ci_u32_e64 v9, null, s13, v1, vcc_lo
	s_and_saveexec_b32 s12, s4
	s_cbranch_execz .LBB2_10
; %bb.9:
	v_mov_b32_e32 v4, s5
	v_mov_b32_e32 v6, 2
	;; [unrolled: 1-line block ×3, first 2 shown]
	global_store_dwordx4 v[8:9], v[4:7], off offset:8
.LBB2_10:
	s_or_b32 exec_lo, exec_lo, s12
	s_lshl_b64 s[10:11], s[10:11], 12
	v_lshlrev_b32_e32 v30, 6, v31
	v_add_co_u32 v2, vcc_lo, v2, s10
	v_add_co_ci_u32_e64 v3, null, s11, v3, vcc_lo
	s_mov_b32 s12, 0
	v_add_co_u32 v10, vcc_lo, v2, v30
	s_mov_b32 s13, s12
	s_mov_b32 s14, s12
	;; [unrolled: 1-line block ×3, first 2 shown]
	v_mov_b32_e32 v4, 33
	v_mov_b32_e32 v6, v5
	;; [unrolled: 1-line block ×3, first 2 shown]
	v_readfirstlane_b32 s10, v2
	v_readfirstlane_b32 s11, v3
	v_mov_b32_e32 v12, s12
	v_add_co_ci_u32_e64 v11, null, 0, v3, vcc_lo
	v_mov_b32_e32 v13, s13
	v_mov_b32_e32 v14, s14
	;; [unrolled: 1-line block ×3, first 2 shown]
	global_store_dwordx4 v30, v[4:7], s[10:11]
	global_store_dwordx4 v30, v[12:15], s[10:11] offset:16
	global_store_dwordx4 v30, v[12:15], s[10:11] offset:32
	;; [unrolled: 1-line block ×3, first 2 shown]
	s_and_saveexec_b32 s5, s4
	s_cbranch_execz .LBB2_18
; %bb.11:
	v_mov_b32_e32 v6, 0
	v_mov_b32_e32 v12, s8
	;; [unrolled: 1-line block ×3, first 2 shown]
	s_mov_b32 s10, exec_lo
	s_clause 0x1
	global_load_dwordx2 v[14:15], v6, s[6:7] offset:32 glc dlc
	global_load_dwordx2 v[2:3], v6, s[6:7] offset:40
	s_waitcnt vmcnt(0)
	v_and_b32_e32 v3, s9, v3
	v_and_b32_e32 v2, s8, v2
	v_mul_lo_u32 v3, v3, 24
	v_mul_hi_u32 v4, v2, 24
	v_mul_lo_u32 v2, v2, 24
	v_add_nc_u32_e32 v3, v4, v3
	v_add_co_u32 v4, vcc_lo, v0, v2
	v_add_co_ci_u32_e64 v5, null, v1, v3, vcc_lo
	global_store_dwordx2 v[4:5], v[14:15], off
	s_waitcnt_vscnt null, 0x0
	global_atomic_cmpswap_x2 v[2:3], v6, v[12:15], s[6:7] offset:32 glc
	s_waitcnt vmcnt(0)
	v_cmpx_ne_u64_e64 v[2:3], v[14:15]
	s_cbranch_execz .LBB2_14
; %bb.12:
	s_mov_b32 s11, 0
.LBB2_13:                               ; =>This Inner Loop Header: Depth=1
	v_mov_b32_e32 v0, s8
	v_mov_b32_e32 v1, s9
	s_sleep 1
	global_store_dwordx2 v[4:5], v[2:3], off
	s_waitcnt_vscnt null, 0x0
	global_atomic_cmpswap_x2 v[0:1], v6, v[0:3], s[6:7] offset:32 glc
	s_waitcnt vmcnt(0)
	v_cmp_eq_u64_e32 vcc_lo, v[0:1], v[2:3]
	v_mov_b32_e32 v3, v1
	v_mov_b32_e32 v2, v0
	s_or_b32 s11, vcc_lo, s11
	s_andn2_b32 exec_lo, exec_lo, s11
	s_cbranch_execnz .LBB2_13
.LBB2_14:
	s_or_b32 exec_lo, exec_lo, s10
	v_mov_b32_e32 v3, 0
	s_mov_b32 s11, exec_lo
	s_mov_b32 s10, exec_lo
	v_mbcnt_lo_u32_b32 v2, s11, 0
	global_load_dwordx2 v[0:1], v3, s[6:7] offset:16
	v_cmpx_eq_u32_e32 0, v2
	s_cbranch_execz .LBB2_16
; %bb.15:
	s_bcnt1_i32_b32 s11, s11
	v_mov_b32_e32 v2, s11
	s_waitcnt vmcnt(0)
	global_atomic_add_x2 v[0:1], v[2:3], off offset:8
.LBB2_16:
	s_or_b32 exec_lo, exec_lo, s10
	s_waitcnt vmcnt(0)
	global_load_dwordx2 v[2:3], v[0:1], off offset:16
	s_waitcnt vmcnt(0)
	v_cmp_eq_u64_e32 vcc_lo, 0, v[2:3]
	s_cbranch_vccnz .LBB2_18
; %bb.17:
	global_load_dword v0, v[0:1], off offset:24
	v_mov_b32_e32 v1, 0
	s_waitcnt vmcnt(0)
	v_readfirstlane_b32 s10, v0
	s_waitcnt_vscnt null, 0x0
	global_store_dwordx2 v[2:3], v[0:1], off
	s_and_b32 m0, s10, 0x7fffff
	s_sendmsg sendmsg(MSG_INTERRUPT)
.LBB2_18:
	s_or_b32 exec_lo, exec_lo, s5
	s_branch .LBB2_22
	.p2align	6
.LBB2_19:                               ;   in Loop: Header=BB2_22 Depth=1
	s_or_b32 exec_lo, exec_lo, s5
	v_readfirstlane_b32 s5, v0
	s_cmp_eq_u32 s5, 0
	s_cbranch_scc1 .LBB2_21
; %bb.20:                               ;   in Loop: Header=BB2_22 Depth=1
	s_sleep 1
	s_cbranch_execnz .LBB2_22
	s_branch .LBB2_24
	.p2align	6
.LBB2_21:
	s_branch .LBB2_24
.LBB2_22:                               ; =>This Inner Loop Header: Depth=1
	v_mov_b32_e32 v0, 1
	s_and_saveexec_b32 s5, s4
	s_cbranch_execz .LBB2_19
; %bb.23:                               ;   in Loop: Header=BB2_22 Depth=1
	global_load_dword v0, v[8:9], off offset:20 glc dlc
	s_waitcnt vmcnt(0)
	buffer_gl1_inv
	buffer_gl0_inv
	v_and_b32_e32 v0, 1, v0
	s_branch .LBB2_19
.LBB2_24:
	global_load_dwordx2 v[4:5], v[10:11], off
	s_and_saveexec_b32 s10, s4
	s_cbranch_execz .LBB2_28
; %bb.25:
	v_mov_b32_e32 v8, 0
	s_clause 0x2
	global_load_dwordx2 v[0:1], v8, s[6:7] offset:40
	global_load_dwordx2 v[11:12], v8, s[6:7] offset:24 glc dlc
	global_load_dwordx2 v[2:3], v8, s[6:7]
	s_waitcnt vmcnt(2)
	v_readfirstlane_b32 s12, v0
	v_readfirstlane_b32 s13, v1
	s_add_u32 s11, s12, 1
	s_addc_u32 s14, s13, 0
	s_add_u32 s4, s11, s8
	s_addc_u32 s5, s14, s9
	s_cmp_eq_u64 s[4:5], 0
	s_cselect_b32 s5, s14, s5
	s_cselect_b32 s4, s11, s4
	v_mov_b32_e32 v10, s5
	s_and_b64 s[8:9], s[4:5], s[12:13]
	v_mov_b32_e32 v9, s4
	s_mul_i32 s9, s9, 24
	s_mul_hi_u32 s11, s8, 24
	s_mul_i32 s8, s8, 24
	s_add_i32 s11, s11, s9
	s_waitcnt vmcnt(0)
	v_add_co_u32 v6, vcc_lo, v2, s8
	v_add_co_ci_u32_e64 v7, null, s11, v3, vcc_lo
	global_store_dwordx2 v[6:7], v[11:12], off
	s_waitcnt_vscnt null, 0x0
	global_atomic_cmpswap_x2 v[2:3], v8, v[9:12], s[6:7] offset:24 glc
	s_waitcnt vmcnt(0)
	v_cmp_ne_u64_e32 vcc_lo, v[2:3], v[11:12]
	s_and_b32 exec_lo, exec_lo, vcc_lo
	s_cbranch_execz .LBB2_28
; %bb.26:
	s_mov_b32 s8, 0
.LBB2_27:                               ; =>This Inner Loop Header: Depth=1
	v_mov_b32_e32 v0, s4
	v_mov_b32_e32 v1, s5
	s_sleep 1
	global_store_dwordx2 v[6:7], v[2:3], off
	s_waitcnt_vscnt null, 0x0
	global_atomic_cmpswap_x2 v[0:1], v8, v[0:3], s[6:7] offset:24 glc
	s_waitcnt vmcnt(0)
	v_cmp_eq_u64_e32 vcc_lo, v[0:1], v[2:3]
	v_mov_b32_e32 v3, v1
	v_mov_b32_e32 v2, v0
	s_or_b32 s8, vcc_lo, s8
	s_andn2_b32 exec_lo, exec_lo, s8
	s_cbranch_execnz .LBB2_27
.LBB2_28:
	s_or_b32 exec_lo, exec_lo, s10
	s_getpc_b64 s[8:9]
	s_add_u32 s8, s8, .str.7@rel32@lo+4
	s_addc_u32 s9, s9, .str.7@rel32@hi+12
	s_cmp_lg_u64 s[8:9], 0
	s_cbranch_scc0 .LBB2_106
; %bb.29:
	s_waitcnt vmcnt(0)
	v_and_b32_e32 v32, 2, v4
	v_mov_b32_e32 v7, 0
	v_and_b32_e32 v0, -3, v4
	v_mov_b32_e32 v1, v5
	v_mov_b32_e32 v8, 2
	;; [unrolled: 1-line block ×3, first 2 shown]
	s_mov_b64 s[10:11], 4
	s_branch .LBB2_31
.LBB2_30:                               ;   in Loop: Header=BB2_31 Depth=1
	s_or_b32 exec_lo, exec_lo, s16
	s_sub_u32 s10, s10, s12
	s_subb_u32 s11, s11, s13
	s_add_u32 s8, s8, s12
	s_addc_u32 s9, s9, s13
	s_cmp_lg_u64 s[10:11], 0
	s_cbranch_scc0 .LBB2_107
.LBB2_31:                               ; =>This Loop Header: Depth=1
                                        ;     Child Loop BB2_34 Depth 2
                                        ;     Child Loop BB2_41 Depth 2
	;; [unrolled: 1-line block ×11, first 2 shown]
	v_cmp_lt_u64_e64 s4, s[10:11], 56
	v_cmp_gt_u64_e64 s14, s[10:11], 7
	s_and_b32 s4, s4, exec_lo
	s_cselect_b32 s13, s11, 0
	s_cselect_b32 s12, s10, 56
	s_add_u32 s4, s8, 8
	s_addc_u32 s5, s9, 0
	s_and_b32 vcc_lo, exec_lo, s14
	s_cbranch_vccnz .LBB2_36
; %bb.32:                               ;   in Loop: Header=BB2_31 Depth=1
	v_mov_b32_e32 v2, 0
	v_mov_b32_e32 v3, 0
	s_cmp_eq_u64 s[10:11], 0
	s_cbranch_scc1 .LBB2_35
; %bb.33:                               ;   in Loop: Header=BB2_31 Depth=1
	s_lshl_b64 s[4:5], s[12:13], 3
	s_mov_b64 s[14:15], 0
	s_mov_b64 s[16:17], s[8:9]
.LBB2_34:                               ;   Parent Loop BB2_31 Depth=1
                                        ; =>  This Inner Loop Header: Depth=2
	global_load_ubyte v6, v7, s[16:17]
	s_waitcnt vmcnt(0)
	v_and_b32_e32 v6, 0xffff, v6
	v_lshlrev_b64 v[10:11], s14, v[6:7]
	s_add_u32 s14, s14, 8
	s_addc_u32 s15, s15, 0
	s_add_u32 s16, s16, 1
	s_addc_u32 s17, s17, 0
	s_cmp_lg_u32 s4, s14
	v_or_b32_e32 v2, v10, v2
	v_or_b32_e32 v3, v11, v3
	s_cbranch_scc1 .LBB2_34
.LBB2_35:                               ;   in Loop: Header=BB2_31 Depth=1
	s_mov_b64 s[4:5], s[8:9]
	s_mov_b32 s18, 0
	s_cbranch_execz .LBB2_37
	s_branch .LBB2_38
.LBB2_36:                               ;   in Loop: Header=BB2_31 Depth=1
	s_mov_b32 s18, 0
.LBB2_37:                               ;   in Loop: Header=BB2_31 Depth=1
	global_load_dwordx2 v[2:3], v7, s[8:9]
	s_add_i32 s18, s12, -8
.LBB2_38:                               ;   in Loop: Header=BB2_31 Depth=1
	s_add_u32 s14, s4, 8
	s_addc_u32 s15, s5, 0
	s_cmp_gt_u32 s18, 7
	s_cbranch_scc1 .LBB2_43
; %bb.39:                               ;   in Loop: Header=BB2_31 Depth=1
	v_mov_b32_e32 v10, 0
	v_mov_b32_e32 v11, 0
	s_cmp_eq_u32 s18, 0
	s_cbranch_scc1 .LBB2_42
; %bb.40:                               ;   in Loop: Header=BB2_31 Depth=1
	s_mov_b64 s[14:15], 0
	s_mov_b64 s[16:17], 0
.LBB2_41:                               ;   Parent Loop BB2_31 Depth=1
                                        ; =>  This Inner Loop Header: Depth=2
	s_add_u32 s22, s4, s16
	s_addc_u32 s23, s5, s17
	s_add_u32 s16, s16, 1
	global_load_ubyte v6, v7, s[22:23]
	s_addc_u32 s17, s17, 0
	s_waitcnt vmcnt(0)
	v_and_b32_e32 v6, 0xffff, v6
	v_lshlrev_b64 v[12:13], s14, v[6:7]
	s_add_u32 s14, s14, 8
	s_addc_u32 s15, s15, 0
	s_cmp_lg_u32 s18, s16
	v_or_b32_e32 v10, v12, v10
	v_or_b32_e32 v11, v13, v11
	s_cbranch_scc1 .LBB2_41
.LBB2_42:                               ;   in Loop: Header=BB2_31 Depth=1
	s_mov_b64 s[14:15], s[4:5]
	s_mov_b32 s19, 0
	s_cbranch_execz .LBB2_44
	s_branch .LBB2_45
.LBB2_43:                               ;   in Loop: Header=BB2_31 Depth=1
                                        ; implicit-def: $vgpr10_vgpr11
	s_mov_b32 s19, 0
.LBB2_44:                               ;   in Loop: Header=BB2_31 Depth=1
	global_load_dwordx2 v[10:11], v7, s[4:5]
	s_add_i32 s19, s18, -8
.LBB2_45:                               ;   in Loop: Header=BB2_31 Depth=1
	s_add_u32 s4, s14, 8
	s_addc_u32 s5, s15, 0
	s_cmp_gt_u32 s19, 7
	s_cbranch_scc1 .LBB2_50
; %bb.46:                               ;   in Loop: Header=BB2_31 Depth=1
	v_mov_b32_e32 v12, 0
	v_mov_b32_e32 v13, 0
	s_cmp_eq_u32 s19, 0
	s_cbranch_scc1 .LBB2_49
; %bb.47:                               ;   in Loop: Header=BB2_31 Depth=1
	s_mov_b64 s[4:5], 0
	s_mov_b64 s[16:17], 0
.LBB2_48:                               ;   Parent Loop BB2_31 Depth=1
                                        ; =>  This Inner Loop Header: Depth=2
	s_add_u32 s22, s14, s16
	s_addc_u32 s23, s15, s17
	s_add_u32 s16, s16, 1
	global_load_ubyte v6, v7, s[22:23]
	s_addc_u32 s17, s17, 0
	s_waitcnt vmcnt(0)
	v_and_b32_e32 v6, 0xffff, v6
	v_lshlrev_b64 v[14:15], s4, v[6:7]
	s_add_u32 s4, s4, 8
	s_addc_u32 s5, s5, 0
	s_cmp_lg_u32 s19, s16
	v_or_b32_e32 v12, v14, v12
	v_or_b32_e32 v13, v15, v13
	s_cbranch_scc1 .LBB2_48
.LBB2_49:                               ;   in Loop: Header=BB2_31 Depth=1
	s_mov_b64 s[4:5], s[14:15]
	s_mov_b32 s18, 0
	s_cbranch_execz .LBB2_51
	s_branch .LBB2_52
.LBB2_50:                               ;   in Loop: Header=BB2_31 Depth=1
	s_mov_b32 s18, 0
.LBB2_51:                               ;   in Loop: Header=BB2_31 Depth=1
	global_load_dwordx2 v[12:13], v7, s[14:15]
	s_add_i32 s18, s19, -8
.LBB2_52:                               ;   in Loop: Header=BB2_31 Depth=1
	s_add_u32 s14, s4, 8
	s_addc_u32 s15, s5, 0
	s_cmp_gt_u32 s18, 7
	s_cbranch_scc1 .LBB2_57
; %bb.53:                               ;   in Loop: Header=BB2_31 Depth=1
	v_mov_b32_e32 v14, 0
	v_mov_b32_e32 v15, 0
	s_cmp_eq_u32 s18, 0
	s_cbranch_scc1 .LBB2_56
; %bb.54:                               ;   in Loop: Header=BB2_31 Depth=1
	s_mov_b64 s[14:15], 0
	s_mov_b64 s[16:17], 0
.LBB2_55:                               ;   Parent Loop BB2_31 Depth=1
                                        ; =>  This Inner Loop Header: Depth=2
	s_add_u32 s22, s4, s16
	s_addc_u32 s23, s5, s17
	s_add_u32 s16, s16, 1
	global_load_ubyte v6, v7, s[22:23]
	s_addc_u32 s17, s17, 0
	s_waitcnt vmcnt(0)
	v_and_b32_e32 v6, 0xffff, v6
	v_lshlrev_b64 v[16:17], s14, v[6:7]
	s_add_u32 s14, s14, 8
	s_addc_u32 s15, s15, 0
	s_cmp_lg_u32 s18, s16
	v_or_b32_e32 v14, v16, v14
	v_or_b32_e32 v15, v17, v15
	s_cbranch_scc1 .LBB2_55
.LBB2_56:                               ;   in Loop: Header=BB2_31 Depth=1
	s_mov_b64 s[14:15], s[4:5]
	s_mov_b32 s19, 0
	s_cbranch_execz .LBB2_58
	s_branch .LBB2_59
.LBB2_57:                               ;   in Loop: Header=BB2_31 Depth=1
                                        ; implicit-def: $vgpr14_vgpr15
	s_mov_b32 s19, 0
.LBB2_58:                               ;   in Loop: Header=BB2_31 Depth=1
	global_load_dwordx2 v[14:15], v7, s[4:5]
	s_add_i32 s19, s18, -8
.LBB2_59:                               ;   in Loop: Header=BB2_31 Depth=1
	s_add_u32 s4, s14, 8
	s_addc_u32 s5, s15, 0
	s_cmp_gt_u32 s19, 7
	s_cbranch_scc1 .LBB2_64
; %bb.60:                               ;   in Loop: Header=BB2_31 Depth=1
	v_mov_b32_e32 v16, 0
	v_mov_b32_e32 v17, 0
	s_cmp_eq_u32 s19, 0
	s_cbranch_scc1 .LBB2_63
; %bb.61:                               ;   in Loop: Header=BB2_31 Depth=1
	s_mov_b64 s[4:5], 0
	s_mov_b64 s[16:17], 0
.LBB2_62:                               ;   Parent Loop BB2_31 Depth=1
                                        ; =>  This Inner Loop Header: Depth=2
	s_add_u32 s22, s14, s16
	s_addc_u32 s23, s15, s17
	s_add_u32 s16, s16, 1
	global_load_ubyte v6, v7, s[22:23]
	s_addc_u32 s17, s17, 0
	s_waitcnt vmcnt(0)
	v_and_b32_e32 v6, 0xffff, v6
	v_lshlrev_b64 v[18:19], s4, v[6:7]
	s_add_u32 s4, s4, 8
	s_addc_u32 s5, s5, 0
	s_cmp_lg_u32 s19, s16
	v_or_b32_e32 v16, v18, v16
	v_or_b32_e32 v17, v19, v17
	s_cbranch_scc1 .LBB2_62
.LBB2_63:                               ;   in Loop: Header=BB2_31 Depth=1
	s_mov_b64 s[4:5], s[14:15]
	s_mov_b32 s18, 0
	s_cbranch_execz .LBB2_65
	s_branch .LBB2_66
.LBB2_64:                               ;   in Loop: Header=BB2_31 Depth=1
	s_mov_b32 s18, 0
.LBB2_65:                               ;   in Loop: Header=BB2_31 Depth=1
	global_load_dwordx2 v[16:17], v7, s[14:15]
	s_add_i32 s18, s19, -8
.LBB2_66:                               ;   in Loop: Header=BB2_31 Depth=1
	s_add_u32 s14, s4, 8
	s_addc_u32 s15, s5, 0
	s_cmp_gt_u32 s18, 7
	s_cbranch_scc1 .LBB2_71
; %bb.67:                               ;   in Loop: Header=BB2_31 Depth=1
	v_mov_b32_e32 v18, 0
	v_mov_b32_e32 v19, 0
	s_cmp_eq_u32 s18, 0
	s_cbranch_scc1 .LBB2_70
; %bb.68:                               ;   in Loop: Header=BB2_31 Depth=1
	s_mov_b64 s[14:15], 0
	s_mov_b64 s[16:17], 0
.LBB2_69:                               ;   Parent Loop BB2_31 Depth=1
                                        ; =>  This Inner Loop Header: Depth=2
	s_add_u32 s22, s4, s16
	s_addc_u32 s23, s5, s17
	s_add_u32 s16, s16, 1
	global_load_ubyte v6, v7, s[22:23]
	s_addc_u32 s17, s17, 0
	s_waitcnt vmcnt(0)
	v_and_b32_e32 v6, 0xffff, v6
	v_lshlrev_b64 v[20:21], s14, v[6:7]
	s_add_u32 s14, s14, 8
	s_addc_u32 s15, s15, 0
	s_cmp_lg_u32 s18, s16
	v_or_b32_e32 v18, v20, v18
	v_or_b32_e32 v19, v21, v19
	s_cbranch_scc1 .LBB2_69
.LBB2_70:                               ;   in Loop: Header=BB2_31 Depth=1
	s_mov_b64 s[14:15], s[4:5]
	s_mov_b32 s19, 0
	s_cbranch_execz .LBB2_72
	s_branch .LBB2_73
.LBB2_71:                               ;   in Loop: Header=BB2_31 Depth=1
                                        ; implicit-def: $vgpr18_vgpr19
	s_mov_b32 s19, 0
.LBB2_72:                               ;   in Loop: Header=BB2_31 Depth=1
	global_load_dwordx2 v[18:19], v7, s[4:5]
	s_add_i32 s19, s18, -8
.LBB2_73:                               ;   in Loop: Header=BB2_31 Depth=1
	s_cmp_gt_u32 s19, 7
	s_cbranch_scc1 .LBB2_78
; %bb.74:                               ;   in Loop: Header=BB2_31 Depth=1
	v_mov_b32_e32 v20, 0
	v_mov_b32_e32 v21, 0
	s_cmp_eq_u32 s19, 0
	s_cbranch_scc1 .LBB2_77
; %bb.75:                               ;   in Loop: Header=BB2_31 Depth=1
	s_mov_b64 s[4:5], 0
	s_mov_b64 s[16:17], s[14:15]
.LBB2_76:                               ;   Parent Loop BB2_31 Depth=1
                                        ; =>  This Inner Loop Header: Depth=2
	global_load_ubyte v6, v7, s[16:17]
	s_add_i32 s19, s19, -1
	s_waitcnt vmcnt(0)
	v_and_b32_e32 v6, 0xffff, v6
	v_lshlrev_b64 v[22:23], s4, v[6:7]
	s_add_u32 s4, s4, 8
	s_addc_u32 s5, s5, 0
	s_add_u32 s16, s16, 1
	s_addc_u32 s17, s17, 0
	s_cmp_lg_u32 s19, 0
	v_or_b32_e32 v20, v22, v20
	v_or_b32_e32 v21, v23, v21
	s_cbranch_scc1 .LBB2_76
.LBB2_77:                               ;   in Loop: Header=BB2_31 Depth=1
	s_cbranch_execz .LBB2_79
	s_branch .LBB2_80
.LBB2_78:                               ;   in Loop: Header=BB2_31 Depth=1
.LBB2_79:                               ;   in Loop: Header=BB2_31 Depth=1
	global_load_dwordx2 v[20:21], v7, s[14:15]
.LBB2_80:                               ;   in Loop: Header=BB2_31 Depth=1
	v_readfirstlane_b32 s4, v31
	v_mov_b32_e32 v28, 0
	v_mov_b32_e32 v29, 0
	v_cmp_eq_u32_e64 s4, s4, v31
	s_and_saveexec_b32 s5, s4
	s_cbranch_execz .LBB2_86
; %bb.81:                               ;   in Loop: Header=BB2_31 Depth=1
	global_load_dwordx2 v[24:25], v7, s[6:7] offset:24 glc dlc
	s_waitcnt vmcnt(0)
	buffer_gl1_inv
	buffer_gl0_inv
	s_clause 0x1
	global_load_dwordx2 v[22:23], v7, s[6:7] offset:40
	global_load_dwordx2 v[28:29], v7, s[6:7]
	s_mov_b32 s14, exec_lo
	s_waitcnt vmcnt(1)
	v_and_b32_e32 v6, v23, v25
	v_and_b32_e32 v22, v22, v24
	v_mul_lo_u32 v6, v6, 24
	v_mul_hi_u32 v23, v22, 24
	v_mul_lo_u32 v22, v22, 24
	v_add_nc_u32_e32 v6, v23, v6
	s_waitcnt vmcnt(0)
	v_add_co_u32 v22, vcc_lo, v28, v22
	v_add_co_ci_u32_e64 v23, null, v29, v6, vcc_lo
	global_load_dwordx2 v[22:23], v[22:23], off glc dlc
	s_waitcnt vmcnt(0)
	global_atomic_cmpswap_x2 v[28:29], v7, v[22:25], s[6:7] offset:24 glc
	s_waitcnt vmcnt(0)
	buffer_gl1_inv
	buffer_gl0_inv
	v_cmpx_ne_u64_e64 v[28:29], v[24:25]
	s_cbranch_execz .LBB2_85
; %bb.82:                               ;   in Loop: Header=BB2_31 Depth=1
	s_mov_b32 s15, 0
	.p2align	6
.LBB2_83:                               ;   Parent Loop BB2_31 Depth=1
                                        ; =>  This Inner Loop Header: Depth=2
	s_sleep 1
	s_clause 0x1
	global_load_dwordx2 v[22:23], v7, s[6:7] offset:40
	global_load_dwordx2 v[33:34], v7, s[6:7]
	v_mov_b32_e32 v24, v28
	v_mov_b32_e32 v25, v29
	s_waitcnt vmcnt(1)
	v_and_b32_e32 v6, v22, v24
	v_and_b32_e32 v22, v23, v25
	s_waitcnt vmcnt(0)
	v_mad_u64_u32 v[28:29], null, v6, 24, v[33:34]
	v_mov_b32_e32 v6, v29
	v_mad_u64_u32 v[22:23], null, v22, 24, v[6:7]
	v_mov_b32_e32 v29, v22
	global_load_dwordx2 v[22:23], v[28:29], off glc dlc
	s_waitcnt vmcnt(0)
	global_atomic_cmpswap_x2 v[28:29], v7, v[22:25], s[6:7] offset:24 glc
	s_waitcnt vmcnt(0)
	buffer_gl1_inv
	buffer_gl0_inv
	v_cmp_eq_u64_e32 vcc_lo, v[28:29], v[24:25]
	s_or_b32 s15, vcc_lo, s15
	s_andn2_b32 exec_lo, exec_lo, s15
	s_cbranch_execnz .LBB2_83
; %bb.84:                               ;   in Loop: Header=BB2_31 Depth=1
	s_or_b32 exec_lo, exec_lo, s15
.LBB2_85:                               ;   in Loop: Header=BB2_31 Depth=1
	s_or_b32 exec_lo, exec_lo, s14
.LBB2_86:                               ;   in Loop: Header=BB2_31 Depth=1
	s_or_b32 exec_lo, exec_lo, s5
	s_clause 0x1
	global_load_dwordx2 v[33:34], v7, s[6:7] offset:40
	global_load_dwordx4 v[22:25], v7, s[6:7]
	v_readfirstlane_b32 s15, v29
	v_readfirstlane_b32 s14, v28
	s_mov_b32 s5, exec_lo
	s_waitcnt vmcnt(1)
	v_readfirstlane_b32 s16, v33
	v_readfirstlane_b32 s17, v34
	s_and_b64 s[16:17], s[16:17], s[14:15]
	s_mul_i32 s18, s17, 24
	s_mul_hi_u32 s19, s16, 24
	s_mul_i32 s21, s16, 24
	s_add_i32 s19, s19, s18
	s_waitcnt vmcnt(0)
	v_add_co_u32 v28, vcc_lo, v22, s21
	v_add_co_ci_u32_e64 v29, null, s19, v23, vcc_lo
	s_and_saveexec_b32 s18, s4
	s_cbranch_execz .LBB2_88
; %bb.87:                               ;   in Loop: Header=BB2_31 Depth=1
	v_mov_b32_e32 v6, s5
	global_store_dwordx4 v[28:29], v[6:9], off offset:8
.LBB2_88:                               ;   in Loop: Header=BB2_31 Depth=1
	s_or_b32 exec_lo, exec_lo, s18
	v_cmp_lt_u64_e64 vcc_lo, s[10:11], 57
	s_lshl_b64 s[16:17], s[16:17], 12
	v_and_b32_e32 v0, 0xffffff1f, v0
	s_lshl_b32 s5, s12, 2
	s_add_i32 s5, s5, 28
	v_cndmask_b32_e32 v6, 0, v32, vcc_lo
	v_add_co_u32 v24, vcc_lo, v24, s16
	v_add_co_ci_u32_e64 v25, null, s17, v25, vcc_lo
	v_or_b32_e32 v0, v0, v6
	v_readfirstlane_b32 s16, v24
	v_readfirstlane_b32 s17, v25
	v_and_or_b32 v0, 0x1e0, s5, v0
	global_store_dwordx4 v30, v[10:13], s[16:17] offset:16
	global_store_dwordx4 v30, v[0:3], s[16:17]
	global_store_dwordx4 v30, v[14:17], s[16:17] offset:32
	global_store_dwordx4 v30, v[18:21], s[16:17] offset:48
	s_and_saveexec_b32 s5, s4
	s_cbranch_execz .LBB2_96
; %bb.89:                               ;   in Loop: Header=BB2_31 Depth=1
	s_clause 0x1
	global_load_dwordx2 v[14:15], v7, s[6:7] offset:32 glc dlc
	global_load_dwordx2 v[0:1], v7, s[6:7] offset:40
	v_mov_b32_e32 v12, s14
	v_mov_b32_e32 v13, s15
	s_waitcnt vmcnt(0)
	v_readfirstlane_b32 s16, v0
	v_readfirstlane_b32 s17, v1
	s_and_b64 s[16:17], s[16:17], s[14:15]
	s_mul_i32 s17, s17, 24
	s_mul_hi_u32 s18, s16, 24
	s_mul_i32 s16, s16, 24
	s_add_i32 s18, s18, s17
	v_add_co_u32 v10, vcc_lo, v22, s16
	v_add_co_ci_u32_e64 v11, null, s18, v23, vcc_lo
	s_mov_b32 s16, exec_lo
	global_store_dwordx2 v[10:11], v[14:15], off
	s_waitcnt_vscnt null, 0x0
	global_atomic_cmpswap_x2 v[2:3], v7, v[12:15], s[6:7] offset:32 glc
	s_waitcnt vmcnt(0)
	v_cmpx_ne_u64_e64 v[2:3], v[14:15]
	s_cbranch_execz .LBB2_92
; %bb.90:                               ;   in Loop: Header=BB2_31 Depth=1
	s_mov_b32 s17, 0
.LBB2_91:                               ;   Parent Loop BB2_31 Depth=1
                                        ; =>  This Inner Loop Header: Depth=2
	v_mov_b32_e32 v0, s14
	v_mov_b32_e32 v1, s15
	s_sleep 1
	global_store_dwordx2 v[10:11], v[2:3], off
	s_waitcnt_vscnt null, 0x0
	global_atomic_cmpswap_x2 v[0:1], v7, v[0:3], s[6:7] offset:32 glc
	s_waitcnt vmcnt(0)
	v_cmp_eq_u64_e32 vcc_lo, v[0:1], v[2:3]
	v_mov_b32_e32 v3, v1
	v_mov_b32_e32 v2, v0
	s_or_b32 s17, vcc_lo, s17
	s_andn2_b32 exec_lo, exec_lo, s17
	s_cbranch_execnz .LBB2_91
.LBB2_92:                               ;   in Loop: Header=BB2_31 Depth=1
	s_or_b32 exec_lo, exec_lo, s16
	global_load_dwordx2 v[0:1], v7, s[6:7] offset:16
	s_mov_b32 s17, exec_lo
	s_mov_b32 s16, exec_lo
	v_mbcnt_lo_u32_b32 v2, s17, 0
	v_cmpx_eq_u32_e32 0, v2
	s_cbranch_execz .LBB2_94
; %bb.93:                               ;   in Loop: Header=BB2_31 Depth=1
	s_bcnt1_i32_b32 s17, s17
	v_mov_b32_e32 v6, s17
	s_waitcnt vmcnt(0)
	global_atomic_add_x2 v[0:1], v[6:7], off offset:8
.LBB2_94:                               ;   in Loop: Header=BB2_31 Depth=1
	s_or_b32 exec_lo, exec_lo, s16
	s_waitcnt vmcnt(0)
	global_load_dwordx2 v[2:3], v[0:1], off offset:16
	s_waitcnt vmcnt(0)
	v_cmp_eq_u64_e32 vcc_lo, 0, v[2:3]
	s_cbranch_vccnz .LBB2_96
; %bb.95:                               ;   in Loop: Header=BB2_31 Depth=1
	global_load_dword v6, v[0:1], off offset:24
	s_waitcnt vmcnt(0)
	v_readfirstlane_b32 s16, v6
	s_waitcnt_vscnt null, 0x0
	global_store_dwordx2 v[2:3], v[6:7], off
	s_and_b32 m0, s16, 0x7fffff
	s_sendmsg sendmsg(MSG_INTERRUPT)
.LBB2_96:                               ;   in Loop: Header=BB2_31 Depth=1
	s_or_b32 exec_lo, exec_lo, s5
	v_add_co_u32 v0, vcc_lo, v24, v30
	v_add_co_ci_u32_e64 v1, null, 0, v25, vcc_lo
	s_branch .LBB2_100
	.p2align	6
.LBB2_97:                               ;   in Loop: Header=BB2_100 Depth=2
	s_or_b32 exec_lo, exec_lo, s5
	v_readfirstlane_b32 s5, v2
	s_cmp_eq_u32 s5, 0
	s_cbranch_scc1 .LBB2_99
; %bb.98:                               ;   in Loop: Header=BB2_100 Depth=2
	s_sleep 1
	s_cbranch_execnz .LBB2_100
	s_branch .LBB2_102
	.p2align	6
.LBB2_99:                               ;   in Loop: Header=BB2_31 Depth=1
	s_branch .LBB2_102
.LBB2_100:                              ;   Parent Loop BB2_31 Depth=1
                                        ; =>  This Inner Loop Header: Depth=2
	v_mov_b32_e32 v2, 1
	s_and_saveexec_b32 s5, s4
	s_cbranch_execz .LBB2_97
; %bb.101:                              ;   in Loop: Header=BB2_100 Depth=2
	global_load_dword v2, v[28:29], off offset:20 glc dlc
	s_waitcnt vmcnt(0)
	buffer_gl1_inv
	buffer_gl0_inv
	v_and_b32_e32 v2, 1, v2
	s_branch .LBB2_97
.LBB2_102:                              ;   in Loop: Header=BB2_31 Depth=1
	global_load_dwordx2 v[0:1], v[0:1], off
	s_and_saveexec_b32 s16, s4
	s_cbranch_execz .LBB2_30
; %bb.103:                              ;   in Loop: Header=BB2_31 Depth=1
	s_clause 0x2
	global_load_dwordx2 v[2:3], v7, s[6:7] offset:40
	global_load_dwordx2 v[14:15], v7, s[6:7] offset:24 glc dlc
	global_load_dwordx2 v[10:11], v7, s[6:7]
	s_waitcnt vmcnt(2)
	v_readfirstlane_b32 s18, v2
	v_readfirstlane_b32 s19, v3
	s_add_u32 s17, s18, 1
	s_addc_u32 s21, s19, 0
	s_add_u32 s4, s17, s14
	s_addc_u32 s5, s21, s15
	s_cmp_eq_u64 s[4:5], 0
	s_cselect_b32 s5, s21, s5
	s_cselect_b32 s4, s17, s4
	v_mov_b32_e32 v13, s5
	s_and_b64 s[14:15], s[4:5], s[18:19]
	v_mov_b32_e32 v12, s4
	s_mul_i32 s15, s15, 24
	s_mul_hi_u32 s17, s14, 24
	s_mul_i32 s14, s14, 24
	s_add_i32 s17, s17, s15
	s_waitcnt vmcnt(0)
	v_add_co_u32 v2, vcc_lo, v10, s14
	v_add_co_ci_u32_e64 v3, null, s17, v11, vcc_lo
	global_store_dwordx2 v[2:3], v[14:15], off
	s_waitcnt_vscnt null, 0x0
	global_atomic_cmpswap_x2 v[12:13], v7, v[12:15], s[6:7] offset:24 glc
	s_waitcnt vmcnt(0)
	v_cmp_ne_u64_e32 vcc_lo, v[12:13], v[14:15]
	s_and_b32 exec_lo, exec_lo, vcc_lo
	s_cbranch_execz .LBB2_30
; %bb.104:                              ;   in Loop: Header=BB2_31 Depth=1
	s_mov_b32 s14, 0
.LBB2_105:                              ;   Parent Loop BB2_31 Depth=1
                                        ; =>  This Inner Loop Header: Depth=2
	v_mov_b32_e32 v10, s4
	v_mov_b32_e32 v11, s5
	s_sleep 1
	global_store_dwordx2 v[2:3], v[12:13], off
	s_waitcnt_vscnt null, 0x0
	global_atomic_cmpswap_x2 v[10:11], v7, v[10:13], s[6:7] offset:24 glc
	s_waitcnt vmcnt(0)
	v_cmp_eq_u64_e32 vcc_lo, v[10:11], v[12:13]
	v_mov_b32_e32 v13, v11
	v_mov_b32_e32 v12, v10
	s_or_b32 s14, vcc_lo, s14
	s_andn2_b32 exec_lo, exec_lo, s14
	s_cbranch_execnz .LBB2_105
	s_branch .LBB2_30
.LBB2_106:
	s_mov_b32 s4, -1
                                        ; implicit-def: $vgpr0_vgpr1
	s_branch .LBB2_108
.LBB2_107:
	s_mov_b32 s4, 0
.LBB2_108:
	s_and_b32 vcc_lo, exec_lo, s4
	s_cbranch_vccz .LBB2_136
; %bb.109:
	v_readfirstlane_b32 s4, v31
	v_mov_b32_e32 v7, 0
	v_mov_b32_e32 v8, 0
	v_cmp_eq_u32_e64 s4, s4, v31
	s_and_saveexec_b32 s5, s4
	s_cbranch_execz .LBB2_115
; %bb.110:
	s_waitcnt vmcnt(0)
	v_mov_b32_e32 v0, 0
	s_mov_b32 s8, exec_lo
	global_load_dwordx2 v[9:10], v0, s[6:7] offset:24 glc dlc
	s_waitcnt vmcnt(0)
	buffer_gl1_inv
	buffer_gl0_inv
	s_clause 0x1
	global_load_dwordx2 v[1:2], v0, s[6:7] offset:40
	global_load_dwordx2 v[6:7], v0, s[6:7]
	s_waitcnt vmcnt(1)
	v_and_b32_e32 v2, v2, v10
	v_and_b32_e32 v1, v1, v9
	v_mul_lo_u32 v2, v2, 24
	v_mul_hi_u32 v3, v1, 24
	v_mul_lo_u32 v1, v1, 24
	v_add_nc_u32_e32 v2, v3, v2
	s_waitcnt vmcnt(0)
	v_add_co_u32 v1, vcc_lo, v6, v1
	v_add_co_ci_u32_e64 v2, null, v7, v2, vcc_lo
	global_load_dwordx2 v[7:8], v[1:2], off glc dlc
	s_waitcnt vmcnt(0)
	global_atomic_cmpswap_x2 v[7:8], v0, v[7:10], s[6:7] offset:24 glc
	s_waitcnt vmcnt(0)
	buffer_gl1_inv
	buffer_gl0_inv
	v_cmpx_ne_u64_e64 v[7:8], v[9:10]
	s_cbranch_execz .LBB2_114
; %bb.111:
	s_mov_b32 s9, 0
	.p2align	6
.LBB2_112:                              ; =>This Inner Loop Header: Depth=1
	s_sleep 1
	s_clause 0x1
	global_load_dwordx2 v[1:2], v0, s[6:7] offset:40
	global_load_dwordx2 v[11:12], v0, s[6:7]
	v_mov_b32_e32 v10, v8
	v_mov_b32_e32 v9, v7
	s_waitcnt vmcnt(1)
	v_and_b32_e32 v1, v1, v9
	v_and_b32_e32 v2, v2, v10
	s_waitcnt vmcnt(0)
	v_mad_u64_u32 v[6:7], null, v1, 24, v[11:12]
	v_mov_b32_e32 v1, v7
	v_mad_u64_u32 v[1:2], null, v2, 24, v[1:2]
	v_mov_b32_e32 v7, v1
	global_load_dwordx2 v[7:8], v[6:7], off glc dlc
	s_waitcnt vmcnt(0)
	global_atomic_cmpswap_x2 v[7:8], v0, v[7:10], s[6:7] offset:24 glc
	s_waitcnt vmcnt(0)
	buffer_gl1_inv
	buffer_gl0_inv
	v_cmp_eq_u64_e32 vcc_lo, v[7:8], v[9:10]
	s_or_b32 s9, vcc_lo, s9
	s_andn2_b32 exec_lo, exec_lo, s9
	s_cbranch_execnz .LBB2_112
; %bb.113:
	s_or_b32 exec_lo, exec_lo, s9
.LBB2_114:
	s_or_b32 exec_lo, exec_lo, s8
.LBB2_115:
	s_or_b32 exec_lo, exec_lo, s5
	v_mov_b32_e32 v6, 0
	v_readfirstlane_b32 s9, v8
	v_readfirstlane_b32 s8, v7
	s_mov_b32 s5, exec_lo
	s_clause 0x1
	global_load_dwordx2 v[9:10], v6, s[6:7] offset:40
	global_load_dwordx4 v[0:3], v6, s[6:7]
	s_waitcnt vmcnt(1)
	v_readfirstlane_b32 s10, v9
	v_readfirstlane_b32 s11, v10
	s_and_b64 s[10:11], s[10:11], s[8:9]
	s_mul_i32 s12, s11, 24
	s_mul_hi_u32 s13, s10, 24
	s_mul_i32 s14, s10, 24
	s_add_i32 s13, s13, s12
	s_waitcnt vmcnt(0)
	v_add_co_u32 v8, vcc_lo, v0, s14
	v_add_co_ci_u32_e64 v9, null, s13, v1, vcc_lo
	s_and_saveexec_b32 s12, s4
	s_cbranch_execz .LBB2_117
; %bb.116:
	v_mov_b32_e32 v10, s5
	v_mov_b32_e32 v11, v6
	;; [unrolled: 1-line block ×4, first 2 shown]
	global_store_dwordx4 v[8:9], v[10:13], off offset:8
.LBB2_117:
	s_or_b32 exec_lo, exec_lo, s12
	s_lshl_b64 s[10:11], s[10:11], 12
	s_mov_b32 s12, 0
	v_add_co_u32 v2, vcc_lo, v2, s10
	v_add_co_ci_u32_e64 v3, null, s11, v3, vcc_lo
	s_mov_b32 s13, s12
	v_add_co_u32 v10, vcc_lo, v2, v30
	s_mov_b32 s14, s12
	s_mov_b32 s15, s12
	v_and_or_b32 v4, 0xffffff1f, v4, 32
	v_mov_b32_e32 v7, v6
	v_readfirstlane_b32 s10, v2
	v_readfirstlane_b32 s11, v3
	v_mov_b32_e32 v12, s12
	v_add_co_ci_u32_e64 v11, null, 0, v3, vcc_lo
	v_mov_b32_e32 v13, s13
	v_mov_b32_e32 v14, s14
	;; [unrolled: 1-line block ×3, first 2 shown]
	global_store_dwordx4 v30, v[4:7], s[10:11]
	global_store_dwordx4 v30, v[12:15], s[10:11] offset:16
	global_store_dwordx4 v30, v[12:15], s[10:11] offset:32
	;; [unrolled: 1-line block ×3, first 2 shown]
	s_and_saveexec_b32 s5, s4
	s_cbranch_execz .LBB2_125
; %bb.118:
	v_mov_b32_e32 v6, 0
	v_mov_b32_e32 v12, s8
	;; [unrolled: 1-line block ×3, first 2 shown]
	s_clause 0x1
	global_load_dwordx2 v[14:15], v6, s[6:7] offset:32 glc dlc
	global_load_dwordx2 v[2:3], v6, s[6:7] offset:40
	s_waitcnt vmcnt(0)
	v_readfirstlane_b32 s10, v2
	v_readfirstlane_b32 s11, v3
	s_and_b64 s[10:11], s[10:11], s[8:9]
	s_mul_i32 s11, s11, 24
	s_mul_hi_u32 s12, s10, 24
	s_mul_i32 s10, s10, 24
	s_add_i32 s12, s12, s11
	v_add_co_u32 v4, vcc_lo, v0, s10
	v_add_co_ci_u32_e64 v5, null, s12, v1, vcc_lo
	s_mov_b32 s10, exec_lo
	global_store_dwordx2 v[4:5], v[14:15], off
	s_waitcnt_vscnt null, 0x0
	global_atomic_cmpswap_x2 v[2:3], v6, v[12:15], s[6:7] offset:32 glc
	s_waitcnt vmcnt(0)
	v_cmpx_ne_u64_e64 v[2:3], v[14:15]
	s_cbranch_execz .LBB2_121
; %bb.119:
	s_mov_b32 s11, 0
.LBB2_120:                              ; =>This Inner Loop Header: Depth=1
	v_mov_b32_e32 v0, s8
	v_mov_b32_e32 v1, s9
	s_sleep 1
	global_store_dwordx2 v[4:5], v[2:3], off
	s_waitcnt_vscnt null, 0x0
	global_atomic_cmpswap_x2 v[0:1], v6, v[0:3], s[6:7] offset:32 glc
	s_waitcnt vmcnt(0)
	v_cmp_eq_u64_e32 vcc_lo, v[0:1], v[2:3]
	v_mov_b32_e32 v3, v1
	v_mov_b32_e32 v2, v0
	s_or_b32 s11, vcc_lo, s11
	s_andn2_b32 exec_lo, exec_lo, s11
	s_cbranch_execnz .LBB2_120
.LBB2_121:
	s_or_b32 exec_lo, exec_lo, s10
	v_mov_b32_e32 v3, 0
	s_mov_b32 s11, exec_lo
	s_mov_b32 s10, exec_lo
	v_mbcnt_lo_u32_b32 v2, s11, 0
	global_load_dwordx2 v[0:1], v3, s[6:7] offset:16
	v_cmpx_eq_u32_e32 0, v2
	s_cbranch_execz .LBB2_123
; %bb.122:
	s_bcnt1_i32_b32 s11, s11
	v_mov_b32_e32 v2, s11
	s_waitcnt vmcnt(0)
	global_atomic_add_x2 v[0:1], v[2:3], off offset:8
.LBB2_123:
	s_or_b32 exec_lo, exec_lo, s10
	s_waitcnt vmcnt(0)
	global_load_dwordx2 v[2:3], v[0:1], off offset:16
	s_waitcnt vmcnt(0)
	v_cmp_eq_u64_e32 vcc_lo, 0, v[2:3]
	s_cbranch_vccnz .LBB2_125
; %bb.124:
	global_load_dword v0, v[0:1], off offset:24
	v_mov_b32_e32 v1, 0
	s_waitcnt vmcnt(0)
	v_readfirstlane_b32 s10, v0
	s_waitcnt_vscnt null, 0x0
	global_store_dwordx2 v[2:3], v[0:1], off
	s_and_b32 m0, s10, 0x7fffff
	s_sendmsg sendmsg(MSG_INTERRUPT)
.LBB2_125:
	s_or_b32 exec_lo, exec_lo, s5
	s_branch .LBB2_129
	.p2align	6
.LBB2_126:                              ;   in Loop: Header=BB2_129 Depth=1
	s_or_b32 exec_lo, exec_lo, s5
	v_readfirstlane_b32 s5, v0
	s_cmp_eq_u32 s5, 0
	s_cbranch_scc1 .LBB2_128
; %bb.127:                              ;   in Loop: Header=BB2_129 Depth=1
	s_sleep 1
	s_cbranch_execnz .LBB2_129
	s_branch .LBB2_131
	.p2align	6
.LBB2_128:
	s_branch .LBB2_131
.LBB2_129:                              ; =>This Inner Loop Header: Depth=1
	v_mov_b32_e32 v0, 1
	s_and_saveexec_b32 s5, s4
	s_cbranch_execz .LBB2_126
; %bb.130:                              ;   in Loop: Header=BB2_129 Depth=1
	global_load_dword v0, v[8:9], off offset:20 glc dlc
	s_waitcnt vmcnt(0)
	buffer_gl1_inv
	buffer_gl0_inv
	v_and_b32_e32 v0, 1, v0
	s_branch .LBB2_126
.LBB2_131:
	global_load_dwordx2 v[0:1], v[10:11], off
	s_and_saveexec_b32 s10, s4
	s_cbranch_execz .LBB2_135
; %bb.132:
	v_mov_b32_e32 v8, 0
	s_clause 0x2
	global_load_dwordx2 v[2:3], v8, s[6:7] offset:40
	global_load_dwordx2 v[11:12], v8, s[6:7] offset:24 glc dlc
	global_load_dwordx2 v[4:5], v8, s[6:7]
	s_waitcnt vmcnt(2)
	v_readfirstlane_b32 s12, v2
	v_readfirstlane_b32 s13, v3
	s_add_u32 s11, s12, 1
	s_addc_u32 s14, s13, 0
	s_add_u32 s4, s11, s8
	s_addc_u32 s5, s14, s9
	s_cmp_eq_u64 s[4:5], 0
	s_cselect_b32 s5, s14, s5
	s_cselect_b32 s4, s11, s4
	v_mov_b32_e32 v10, s5
	s_and_b64 s[8:9], s[4:5], s[12:13]
	v_mov_b32_e32 v9, s4
	s_mul_i32 s9, s9, 24
	s_mul_hi_u32 s11, s8, 24
	s_mul_i32 s8, s8, 24
	s_add_i32 s11, s11, s9
	s_waitcnt vmcnt(0)
	v_add_co_u32 v6, vcc_lo, v4, s8
	v_add_co_ci_u32_e64 v7, null, s11, v5, vcc_lo
	global_store_dwordx2 v[6:7], v[11:12], off
	s_waitcnt_vscnt null, 0x0
	global_atomic_cmpswap_x2 v[4:5], v8, v[9:12], s[6:7] offset:24 glc
	s_waitcnt vmcnt(0)
	v_cmp_ne_u64_e32 vcc_lo, v[4:5], v[11:12]
	s_and_b32 exec_lo, exec_lo, vcc_lo
	s_cbranch_execz .LBB2_135
; %bb.133:
	s_mov_b32 s8, 0
.LBB2_134:                              ; =>This Inner Loop Header: Depth=1
	v_mov_b32_e32 v2, s4
	v_mov_b32_e32 v3, s5
	s_sleep 1
	global_store_dwordx2 v[6:7], v[4:5], off
	s_waitcnt_vscnt null, 0x0
	global_atomic_cmpswap_x2 v[2:3], v8, v[2:5], s[6:7] offset:24 glc
	s_waitcnt vmcnt(0)
	v_cmp_eq_u64_e32 vcc_lo, v[2:3], v[4:5]
	v_mov_b32_e32 v5, v3
	v_mov_b32_e32 v4, v2
	s_or_b32 s8, vcc_lo, s8
	s_andn2_b32 exec_lo, exec_lo, s8
	s_cbranch_execnz .LBB2_134
.LBB2_135:
	s_or_b32 exec_lo, exec_lo, s10
.LBB2_136:
	s_getpc_b64 s[8:9]
	s_add_u32 s8, s8, .str.6@rel32@lo+4
	s_addc_u32 s9, s9, .str.6@rel32@hi+12
	s_mov_b32 s4, -1
	s_cmp_lg_u64 s[8:9], 0
	s_cbranch_scc0 .LBB2_215
; %bb.137:
	s_waitcnt vmcnt(0)
	v_and_b32_e32 v6, -3, v0
	v_mov_b32_e32 v7, v1
	v_mov_b32_e32 v3, 0
	;; [unrolled: 1-line block ×4, first 2 shown]
	s_mov_b64 s[10:11], 56
	s_branch .LBB2_139
.LBB2_138:                              ;   in Loop: Header=BB2_139 Depth=1
	s_or_b32 exec_lo, exec_lo, s16
	s_sub_u32 s10, s10, s12
	s_subb_u32 s11, s11, s13
	s_add_u32 s8, s8, s12
	s_addc_u32 s9, s9, s13
	s_cmp_lg_u64 s[10:11], 0
	s_cbranch_scc0 .LBB2_214
.LBB2_139:                              ; =>This Loop Header: Depth=1
                                        ;     Child Loop BB2_142 Depth 2
                                        ;     Child Loop BB2_148 Depth 2
	;; [unrolled: 1-line block ×11, first 2 shown]
	v_cmp_lt_u64_e64 s4, s[10:11], 56
	v_cmp_gt_u64_e64 s14, s[10:11], 7
	s_and_b32 s4, s4, exec_lo
	s_cselect_b32 s13, s11, 0
	s_cselect_b32 s12, s10, 56
	s_add_u32 s4, s8, 8
	s_addc_u32 s5, s9, 0
	s_and_b32 vcc_lo, exec_lo, s14
	s_cbranch_vccnz .LBB2_207
; %bb.140:                              ;   in Loop: Header=BB2_139 Depth=1
	s_waitcnt vmcnt(0)
	v_mov_b32_e32 v8, 0
	v_mov_b32_e32 v9, 0
	s_cmp_eq_u64 s[10:11], 0
	s_cbranch_scc1 .LBB2_143
; %bb.141:                              ;   in Loop: Header=BB2_139 Depth=1
	s_lshl_b64 s[4:5], s[12:13], 3
	s_mov_b64 s[14:15], 0
	s_mov_b64 s[16:17], s[8:9]
.LBB2_142:                              ;   Parent Loop BB2_139 Depth=1
                                        ; =>  This Inner Loop Header: Depth=2
	global_load_ubyte v2, v3, s[16:17]
	s_waitcnt vmcnt(0)
	v_and_b32_e32 v2, 0xffff, v2
	v_lshlrev_b64 v[10:11], s14, v[2:3]
	s_add_u32 s14, s14, 8
	s_addc_u32 s15, s15, 0
	s_add_u32 s16, s16, 1
	s_addc_u32 s17, s17, 0
	s_cmp_lg_u32 s4, s14
	v_or_b32_e32 v8, v10, v8
	v_or_b32_e32 v9, v11, v9
	s_cbranch_scc1 .LBB2_142
.LBB2_143:                              ;   in Loop: Header=BB2_139 Depth=1
	s_mov_b64 s[4:5], s[8:9]
	s_mov_b32 s18, 0
	s_cbranch_execnz .LBB2_145
.LBB2_144:                              ;   in Loop: Header=BB2_139 Depth=1
	global_load_dwordx2 v[8:9], v3, s[8:9]
	s_add_i32 s18, s12, -8
.LBB2_145:                              ;   in Loop: Header=BB2_139 Depth=1
	s_add_u32 s14, s4, 8
	s_addc_u32 s15, s5, 0
	s_cmp_gt_u32 s18, 7
	s_cbranch_scc1 .LBB2_208
; %bb.146:                              ;   in Loop: Header=BB2_139 Depth=1
	v_mov_b32_e32 v10, 0
	v_mov_b32_e32 v11, 0
	s_cmp_eq_u32 s18, 0
	s_cbranch_scc1 .LBB2_149
; %bb.147:                              ;   in Loop: Header=BB2_139 Depth=1
	s_mov_b64 s[14:15], 0
	s_mov_b64 s[16:17], 0
.LBB2_148:                              ;   Parent Loop BB2_139 Depth=1
                                        ; =>  This Inner Loop Header: Depth=2
	s_add_u32 s22, s4, s16
	s_addc_u32 s23, s5, s17
	s_add_u32 s16, s16, 1
	global_load_ubyte v2, v3, s[22:23]
	s_addc_u32 s17, s17, 0
	s_waitcnt vmcnt(0)
	v_and_b32_e32 v2, 0xffff, v2
	v_lshlrev_b64 v[12:13], s14, v[2:3]
	s_add_u32 s14, s14, 8
	s_addc_u32 s15, s15, 0
	s_cmp_lg_u32 s18, s16
	v_or_b32_e32 v10, v12, v10
	v_or_b32_e32 v11, v13, v11
	s_cbranch_scc1 .LBB2_148
.LBB2_149:                              ;   in Loop: Header=BB2_139 Depth=1
	s_mov_b64 s[14:15], s[4:5]
	s_mov_b32 s19, 0
	s_cbranch_execnz .LBB2_151
.LBB2_150:                              ;   in Loop: Header=BB2_139 Depth=1
	global_load_dwordx2 v[10:11], v3, s[4:5]
	s_add_i32 s19, s18, -8
.LBB2_151:                              ;   in Loop: Header=BB2_139 Depth=1
	s_add_u32 s4, s14, 8
	s_addc_u32 s5, s15, 0
	s_cmp_gt_u32 s19, 7
	s_cbranch_scc1 .LBB2_209
; %bb.152:                              ;   in Loop: Header=BB2_139 Depth=1
	v_mov_b32_e32 v12, 0
	v_mov_b32_e32 v13, 0
	s_cmp_eq_u32 s19, 0
	s_cbranch_scc1 .LBB2_155
; %bb.153:                              ;   in Loop: Header=BB2_139 Depth=1
	s_mov_b64 s[4:5], 0
	s_mov_b64 s[16:17], 0
.LBB2_154:                              ;   Parent Loop BB2_139 Depth=1
                                        ; =>  This Inner Loop Header: Depth=2
	s_add_u32 s22, s14, s16
	s_addc_u32 s23, s15, s17
	s_add_u32 s16, s16, 1
	global_load_ubyte v2, v3, s[22:23]
	s_addc_u32 s17, s17, 0
	s_waitcnt vmcnt(0)
	v_and_b32_e32 v2, 0xffff, v2
	v_lshlrev_b64 v[14:15], s4, v[2:3]
	s_add_u32 s4, s4, 8
	s_addc_u32 s5, s5, 0
	s_cmp_lg_u32 s19, s16
	v_or_b32_e32 v12, v14, v12
	v_or_b32_e32 v13, v15, v13
	s_cbranch_scc1 .LBB2_154
.LBB2_155:                              ;   in Loop: Header=BB2_139 Depth=1
	s_mov_b64 s[4:5], s[14:15]
	s_mov_b32 s18, 0
	s_cbranch_execnz .LBB2_157
.LBB2_156:                              ;   in Loop: Header=BB2_139 Depth=1
	global_load_dwordx2 v[12:13], v3, s[14:15]
	s_add_i32 s18, s19, -8
.LBB2_157:                              ;   in Loop: Header=BB2_139 Depth=1
	s_add_u32 s14, s4, 8
	s_addc_u32 s15, s5, 0
	s_cmp_gt_u32 s18, 7
	s_cbranch_scc1 .LBB2_210
; %bb.158:                              ;   in Loop: Header=BB2_139 Depth=1
	v_mov_b32_e32 v14, 0
	v_mov_b32_e32 v15, 0
	s_cmp_eq_u32 s18, 0
	s_cbranch_scc1 .LBB2_161
; %bb.159:                              ;   in Loop: Header=BB2_139 Depth=1
	s_mov_b64 s[14:15], 0
	s_mov_b64 s[16:17], 0
.LBB2_160:                              ;   Parent Loop BB2_139 Depth=1
                                        ; =>  This Inner Loop Header: Depth=2
	s_add_u32 s22, s4, s16
	s_addc_u32 s23, s5, s17
	s_add_u32 s16, s16, 1
	global_load_ubyte v2, v3, s[22:23]
	s_addc_u32 s17, s17, 0
	s_waitcnt vmcnt(0)
	v_and_b32_e32 v2, 0xffff, v2
	v_lshlrev_b64 v[16:17], s14, v[2:3]
	s_add_u32 s14, s14, 8
	s_addc_u32 s15, s15, 0
	s_cmp_lg_u32 s18, s16
	v_or_b32_e32 v14, v16, v14
	v_or_b32_e32 v15, v17, v15
	s_cbranch_scc1 .LBB2_160
.LBB2_161:                              ;   in Loop: Header=BB2_139 Depth=1
	s_mov_b64 s[14:15], s[4:5]
	s_mov_b32 s19, 0
	s_cbranch_execnz .LBB2_163
.LBB2_162:                              ;   in Loop: Header=BB2_139 Depth=1
	global_load_dwordx2 v[14:15], v3, s[4:5]
	s_add_i32 s19, s18, -8
.LBB2_163:                              ;   in Loop: Header=BB2_139 Depth=1
	s_add_u32 s4, s14, 8
	s_addc_u32 s5, s15, 0
	s_cmp_gt_u32 s19, 7
	s_cbranch_scc1 .LBB2_211
; %bb.164:                              ;   in Loop: Header=BB2_139 Depth=1
	v_mov_b32_e32 v16, 0
	v_mov_b32_e32 v17, 0
	s_cmp_eq_u32 s19, 0
	s_cbranch_scc1 .LBB2_167
; %bb.165:                              ;   in Loop: Header=BB2_139 Depth=1
	s_mov_b64 s[4:5], 0
	s_mov_b64 s[16:17], 0
.LBB2_166:                              ;   Parent Loop BB2_139 Depth=1
                                        ; =>  This Inner Loop Header: Depth=2
	s_add_u32 s22, s14, s16
	s_addc_u32 s23, s15, s17
	s_add_u32 s16, s16, 1
	global_load_ubyte v2, v3, s[22:23]
	s_addc_u32 s17, s17, 0
	s_waitcnt vmcnt(0)
	v_and_b32_e32 v2, 0xffff, v2
	v_lshlrev_b64 v[18:19], s4, v[2:3]
	s_add_u32 s4, s4, 8
	s_addc_u32 s5, s5, 0
	s_cmp_lg_u32 s19, s16
	v_or_b32_e32 v16, v18, v16
	v_or_b32_e32 v17, v19, v17
	s_cbranch_scc1 .LBB2_166
.LBB2_167:                              ;   in Loop: Header=BB2_139 Depth=1
	s_mov_b64 s[4:5], s[14:15]
	s_mov_b32 s18, 0
	s_cbranch_execnz .LBB2_169
.LBB2_168:                              ;   in Loop: Header=BB2_139 Depth=1
	global_load_dwordx2 v[16:17], v3, s[14:15]
	s_add_i32 s18, s19, -8
.LBB2_169:                              ;   in Loop: Header=BB2_139 Depth=1
	s_add_u32 s14, s4, 8
	s_addc_u32 s15, s5, 0
	s_cmp_gt_u32 s18, 7
	s_cbranch_scc1 .LBB2_212
; %bb.170:                              ;   in Loop: Header=BB2_139 Depth=1
	v_mov_b32_e32 v18, 0
	v_mov_b32_e32 v19, 0
	s_cmp_eq_u32 s18, 0
	s_cbranch_scc1 .LBB2_173
; %bb.171:                              ;   in Loop: Header=BB2_139 Depth=1
	s_mov_b64 s[14:15], 0
	s_mov_b64 s[16:17], 0
.LBB2_172:                              ;   Parent Loop BB2_139 Depth=1
                                        ; =>  This Inner Loop Header: Depth=2
	s_add_u32 s22, s4, s16
	s_addc_u32 s23, s5, s17
	s_add_u32 s16, s16, 1
	global_load_ubyte v2, v3, s[22:23]
	s_addc_u32 s17, s17, 0
	s_waitcnt vmcnt(0)
	v_and_b32_e32 v2, 0xffff, v2
	v_lshlrev_b64 v[20:21], s14, v[2:3]
	s_add_u32 s14, s14, 8
	s_addc_u32 s15, s15, 0
	s_cmp_lg_u32 s18, s16
	v_or_b32_e32 v18, v20, v18
	v_or_b32_e32 v19, v21, v19
	s_cbranch_scc1 .LBB2_172
.LBB2_173:                              ;   in Loop: Header=BB2_139 Depth=1
	s_mov_b64 s[14:15], s[4:5]
	s_mov_b32 s19, 0
	s_cbranch_execnz .LBB2_175
.LBB2_174:                              ;   in Loop: Header=BB2_139 Depth=1
	global_load_dwordx2 v[18:19], v3, s[4:5]
	s_add_i32 s19, s18, -8
.LBB2_175:                              ;   in Loop: Header=BB2_139 Depth=1
	s_cmp_gt_u32 s19, 7
	s_cbranch_scc1 .LBB2_213
; %bb.176:                              ;   in Loop: Header=BB2_139 Depth=1
	v_mov_b32_e32 v20, 0
	v_mov_b32_e32 v21, 0
	s_cmp_eq_u32 s19, 0
	s_cbranch_scc1 .LBB2_179
; %bb.177:                              ;   in Loop: Header=BB2_139 Depth=1
	s_mov_b64 s[4:5], 0
	s_mov_b64 s[16:17], s[14:15]
.LBB2_178:                              ;   Parent Loop BB2_139 Depth=1
                                        ; =>  This Inner Loop Header: Depth=2
	global_load_ubyte v2, v3, s[16:17]
	s_add_i32 s19, s19, -1
	s_waitcnt vmcnt(0)
	v_and_b32_e32 v2, 0xffff, v2
	v_lshlrev_b64 v[22:23], s4, v[2:3]
	s_add_u32 s4, s4, 8
	s_addc_u32 s5, s5, 0
	s_add_u32 s16, s16, 1
	s_addc_u32 s17, s17, 0
	s_cmp_lg_u32 s19, 0
	v_or_b32_e32 v20, v22, v20
	v_or_b32_e32 v21, v23, v21
	s_cbranch_scc1 .LBB2_178
.LBB2_179:                              ;   in Loop: Header=BB2_139 Depth=1
	s_cbranch_execnz .LBB2_181
.LBB2_180:                              ;   in Loop: Header=BB2_139 Depth=1
	global_load_dwordx2 v[20:21], v3, s[14:15]
.LBB2_181:                              ;   in Loop: Header=BB2_139 Depth=1
	v_readfirstlane_b32 s4, v31
	v_mov_b32_e32 v28, 0
	v_mov_b32_e32 v29, 0
	v_cmp_eq_u32_e64 s4, s4, v31
	s_and_saveexec_b32 s5, s4
	s_cbranch_execz .LBB2_187
; %bb.182:                              ;   in Loop: Header=BB2_139 Depth=1
	global_load_dwordx2 v[24:25], v3, s[6:7] offset:24 glc dlc
	s_waitcnt vmcnt(0)
	buffer_gl1_inv
	buffer_gl0_inv
	s_clause 0x1
	global_load_dwordx2 v[22:23], v3, s[6:7] offset:40
	global_load_dwordx2 v[28:29], v3, s[6:7]
	s_mov_b32 s14, exec_lo
	s_waitcnt vmcnt(1)
	v_and_b32_e32 v2, v23, v25
	v_and_b32_e32 v22, v22, v24
	v_mul_lo_u32 v2, v2, 24
	v_mul_hi_u32 v23, v22, 24
	v_mul_lo_u32 v22, v22, 24
	v_add_nc_u32_e32 v2, v23, v2
	s_waitcnt vmcnt(0)
	v_add_co_u32 v22, vcc_lo, v28, v22
	v_add_co_ci_u32_e64 v23, null, v29, v2, vcc_lo
	global_load_dwordx2 v[22:23], v[22:23], off glc dlc
	s_waitcnt vmcnt(0)
	global_atomic_cmpswap_x2 v[28:29], v3, v[22:25], s[6:7] offset:24 glc
	s_waitcnt vmcnt(0)
	buffer_gl1_inv
	buffer_gl0_inv
	v_cmpx_ne_u64_e64 v[28:29], v[24:25]
	s_cbranch_execz .LBB2_186
; %bb.183:                              ;   in Loop: Header=BB2_139 Depth=1
	s_mov_b32 s15, 0
	.p2align	6
.LBB2_184:                              ;   Parent Loop BB2_139 Depth=1
                                        ; =>  This Inner Loop Header: Depth=2
	s_sleep 1
	s_clause 0x1
	global_load_dwordx2 v[22:23], v3, s[6:7] offset:40
	global_load_dwordx2 v[32:33], v3, s[6:7]
	v_mov_b32_e32 v24, v28
	v_mov_b32_e32 v25, v29
	s_waitcnt vmcnt(1)
	v_and_b32_e32 v2, v22, v24
	v_and_b32_e32 v22, v23, v25
	s_waitcnt vmcnt(0)
	v_mad_u64_u32 v[28:29], null, v2, 24, v[32:33]
	v_mov_b32_e32 v2, v29
	v_mad_u64_u32 v[22:23], null, v22, 24, v[2:3]
	v_mov_b32_e32 v29, v22
	global_load_dwordx2 v[22:23], v[28:29], off glc dlc
	s_waitcnt vmcnt(0)
	global_atomic_cmpswap_x2 v[28:29], v3, v[22:25], s[6:7] offset:24 glc
	s_waitcnt vmcnt(0)
	buffer_gl1_inv
	buffer_gl0_inv
	v_cmp_eq_u64_e32 vcc_lo, v[28:29], v[24:25]
	s_or_b32 s15, vcc_lo, s15
	s_andn2_b32 exec_lo, exec_lo, s15
	s_cbranch_execnz .LBB2_184
; %bb.185:                              ;   in Loop: Header=BB2_139 Depth=1
	s_or_b32 exec_lo, exec_lo, s15
.LBB2_186:                              ;   in Loop: Header=BB2_139 Depth=1
	s_or_b32 exec_lo, exec_lo, s14
.LBB2_187:                              ;   in Loop: Header=BB2_139 Depth=1
	s_or_b32 exec_lo, exec_lo, s5
	s_clause 0x1
	global_load_dwordx2 v[32:33], v3, s[6:7] offset:40
	global_load_dwordx4 v[22:25], v3, s[6:7]
	v_readfirstlane_b32 s15, v29
	v_readfirstlane_b32 s14, v28
	s_mov_b32 s5, exec_lo
	s_waitcnt vmcnt(1)
	v_readfirstlane_b32 s16, v32
	v_readfirstlane_b32 s17, v33
	s_and_b64 s[16:17], s[16:17], s[14:15]
	s_mul_i32 s18, s17, 24
	s_mul_hi_u32 s19, s16, 24
	s_mul_i32 s21, s16, 24
	s_add_i32 s19, s19, s18
	s_waitcnt vmcnt(0)
	v_add_co_u32 v28, vcc_lo, v22, s21
	v_add_co_ci_u32_e64 v29, null, s19, v23, vcc_lo
	s_and_saveexec_b32 s18, s4
	s_cbranch_execz .LBB2_189
; %bb.188:                              ;   in Loop: Header=BB2_139 Depth=1
	v_mov_b32_e32 v2, s5
	global_store_dwordx4 v[28:29], v[2:5], off offset:8
.LBB2_189:                              ;   in Loop: Header=BB2_139 Depth=1
	s_or_b32 exec_lo, exec_lo, s18
	v_cmp_gt_u64_e64 s5, s[10:11], 56
	s_lshl_b64 s[16:17], s[16:17], 12
	v_and_b32_e32 v2, 0xffffff1f, v6
	v_add_co_u32 v24, vcc_lo, v24, s16
	v_add_co_ci_u32_e64 v25, null, s17, v25, vcc_lo
	s_and_b32 s5, s5, exec_lo
	s_cselect_b32 s5, 0, 2
	s_lshl_b32 s18, s12, 2
	v_or_b32_e32 v2, s5, v2
	v_readfirstlane_b32 s16, v24
	v_readfirstlane_b32 s17, v25
	s_add_i32 s18, s18, 28
	v_and_or_b32 v6, 0x1e0, s18, v2
	global_store_dwordx4 v30, v[10:13], s[16:17] offset:16
	global_store_dwordx4 v30, v[14:17], s[16:17] offset:32
	global_store_dwordx4 v30, v[6:9], s[16:17]
	global_store_dwordx4 v30, v[18:21], s[16:17] offset:48
	s_and_saveexec_b32 s5, s4
	s_cbranch_execz .LBB2_197
; %bb.190:                              ;   in Loop: Header=BB2_139 Depth=1
	s_clause 0x1
	global_load_dwordx2 v[14:15], v3, s[6:7] offset:32 glc dlc
	global_load_dwordx2 v[6:7], v3, s[6:7] offset:40
	v_mov_b32_e32 v12, s14
	v_mov_b32_e32 v13, s15
	s_waitcnt vmcnt(0)
	v_readfirstlane_b32 s16, v6
	v_readfirstlane_b32 s17, v7
	s_and_b64 s[16:17], s[16:17], s[14:15]
	s_mul_i32 s17, s17, 24
	s_mul_hi_u32 s18, s16, 24
	s_mul_i32 s16, s16, 24
	s_add_i32 s18, s18, s17
	v_add_co_u32 v10, vcc_lo, v22, s16
	v_add_co_ci_u32_e64 v11, null, s18, v23, vcc_lo
	s_mov_b32 s16, exec_lo
	global_store_dwordx2 v[10:11], v[14:15], off
	s_waitcnt_vscnt null, 0x0
	global_atomic_cmpswap_x2 v[8:9], v3, v[12:15], s[6:7] offset:32 glc
	s_waitcnt vmcnt(0)
	v_cmpx_ne_u64_e64 v[8:9], v[14:15]
	s_cbranch_execz .LBB2_193
; %bb.191:                              ;   in Loop: Header=BB2_139 Depth=1
	s_mov_b32 s17, 0
.LBB2_192:                              ;   Parent Loop BB2_139 Depth=1
                                        ; =>  This Inner Loop Header: Depth=2
	v_mov_b32_e32 v6, s14
	v_mov_b32_e32 v7, s15
	s_sleep 1
	global_store_dwordx2 v[10:11], v[8:9], off
	s_waitcnt_vscnt null, 0x0
	global_atomic_cmpswap_x2 v[6:7], v3, v[6:9], s[6:7] offset:32 glc
	s_waitcnt vmcnt(0)
	v_cmp_eq_u64_e32 vcc_lo, v[6:7], v[8:9]
	v_mov_b32_e32 v9, v7
	v_mov_b32_e32 v8, v6
	s_or_b32 s17, vcc_lo, s17
	s_andn2_b32 exec_lo, exec_lo, s17
	s_cbranch_execnz .LBB2_192
.LBB2_193:                              ;   in Loop: Header=BB2_139 Depth=1
	s_or_b32 exec_lo, exec_lo, s16
	global_load_dwordx2 v[6:7], v3, s[6:7] offset:16
	s_mov_b32 s17, exec_lo
	s_mov_b32 s16, exec_lo
	v_mbcnt_lo_u32_b32 v2, s17, 0
	v_cmpx_eq_u32_e32 0, v2
	s_cbranch_execz .LBB2_195
; %bb.194:                              ;   in Loop: Header=BB2_139 Depth=1
	s_bcnt1_i32_b32 s17, s17
	v_mov_b32_e32 v2, s17
	s_waitcnt vmcnt(0)
	global_atomic_add_x2 v[6:7], v[2:3], off offset:8
.LBB2_195:                              ;   in Loop: Header=BB2_139 Depth=1
	s_or_b32 exec_lo, exec_lo, s16
	s_waitcnt vmcnt(0)
	global_load_dwordx2 v[8:9], v[6:7], off offset:16
	s_waitcnt vmcnt(0)
	v_cmp_eq_u64_e32 vcc_lo, 0, v[8:9]
	s_cbranch_vccnz .LBB2_197
; %bb.196:                              ;   in Loop: Header=BB2_139 Depth=1
	global_load_dword v2, v[6:7], off offset:24
	s_waitcnt vmcnt(0)
	v_readfirstlane_b32 s16, v2
	s_waitcnt_vscnt null, 0x0
	global_store_dwordx2 v[8:9], v[2:3], off
	s_and_b32 m0, s16, 0x7fffff
	s_sendmsg sendmsg(MSG_INTERRUPT)
.LBB2_197:                              ;   in Loop: Header=BB2_139 Depth=1
	s_or_b32 exec_lo, exec_lo, s5
	v_add_co_u32 v6, vcc_lo, v24, v30
	v_add_co_ci_u32_e64 v7, null, 0, v25, vcc_lo
	s_branch .LBB2_201
	.p2align	6
.LBB2_198:                              ;   in Loop: Header=BB2_201 Depth=2
	s_or_b32 exec_lo, exec_lo, s5
	v_readfirstlane_b32 s5, v2
	s_cmp_eq_u32 s5, 0
	s_cbranch_scc1 .LBB2_200
; %bb.199:                              ;   in Loop: Header=BB2_201 Depth=2
	s_sleep 1
	s_cbranch_execnz .LBB2_201
	s_branch .LBB2_203
	.p2align	6
.LBB2_200:                              ;   in Loop: Header=BB2_139 Depth=1
	s_branch .LBB2_203
.LBB2_201:                              ;   Parent Loop BB2_139 Depth=1
                                        ; =>  This Inner Loop Header: Depth=2
	v_mov_b32_e32 v2, 1
	s_and_saveexec_b32 s5, s4
	s_cbranch_execz .LBB2_198
; %bb.202:                              ;   in Loop: Header=BB2_201 Depth=2
	global_load_dword v2, v[28:29], off offset:20 glc dlc
	s_waitcnt vmcnt(0)
	buffer_gl1_inv
	buffer_gl0_inv
	v_and_b32_e32 v2, 1, v2
	s_branch .LBB2_198
.LBB2_203:                              ;   in Loop: Header=BB2_139 Depth=1
	global_load_dwordx4 v[6:9], v[6:7], off
	s_and_saveexec_b32 s16, s4
	s_cbranch_execz .LBB2_138
; %bb.204:                              ;   in Loop: Header=BB2_139 Depth=1
	s_clause 0x2
	global_load_dwordx2 v[8:9], v3, s[6:7] offset:40
	global_load_dwordx2 v[16:17], v3, s[6:7] offset:24 glc dlc
	global_load_dwordx2 v[10:11], v3, s[6:7]
	s_waitcnt vmcnt(2)
	v_readfirstlane_b32 s18, v8
	v_readfirstlane_b32 s19, v9
	s_add_u32 s17, s18, 1
	s_addc_u32 s21, s19, 0
	s_add_u32 s4, s17, s14
	s_addc_u32 s5, s21, s15
	s_cmp_eq_u64 s[4:5], 0
	s_cselect_b32 s5, s21, s5
	s_cselect_b32 s4, s17, s4
	v_mov_b32_e32 v15, s5
	s_and_b64 s[14:15], s[4:5], s[18:19]
	v_mov_b32_e32 v14, s4
	s_mul_i32 s15, s15, 24
	s_mul_hi_u32 s17, s14, 24
	s_mul_i32 s14, s14, 24
	s_add_i32 s17, s17, s15
	s_waitcnt vmcnt(0)
	v_add_co_u32 v12, vcc_lo, v10, s14
	v_add_co_ci_u32_e64 v13, null, s17, v11, vcc_lo
	global_store_dwordx2 v[12:13], v[16:17], off
	s_waitcnt_vscnt null, 0x0
	global_atomic_cmpswap_x2 v[10:11], v3, v[14:17], s[6:7] offset:24 glc
	s_waitcnt vmcnt(0)
	v_cmp_ne_u64_e32 vcc_lo, v[10:11], v[16:17]
	s_and_b32 exec_lo, exec_lo, vcc_lo
	s_cbranch_execz .LBB2_138
; %bb.205:                              ;   in Loop: Header=BB2_139 Depth=1
	s_mov_b32 s14, 0
.LBB2_206:                              ;   Parent Loop BB2_139 Depth=1
                                        ; =>  This Inner Loop Header: Depth=2
	v_mov_b32_e32 v8, s4
	v_mov_b32_e32 v9, s5
	s_sleep 1
	global_store_dwordx2 v[12:13], v[10:11], off
	s_waitcnt_vscnt null, 0x0
	global_atomic_cmpswap_x2 v[8:9], v3, v[8:11], s[6:7] offset:24 glc
	s_waitcnt vmcnt(0)
	v_cmp_eq_u64_e32 vcc_lo, v[8:9], v[10:11]
	v_mov_b32_e32 v11, v9
	v_mov_b32_e32 v10, v8
	s_or_b32 s14, vcc_lo, s14
	s_andn2_b32 exec_lo, exec_lo, s14
	s_cbranch_execnz .LBB2_206
	s_branch .LBB2_138
.LBB2_207:                              ;   in Loop: Header=BB2_139 Depth=1
	s_mov_b32 s18, 0
	s_branch .LBB2_144
.LBB2_208:                              ;   in Loop: Header=BB2_139 Depth=1
                                        ; implicit-def: $vgpr10_vgpr11
	s_mov_b32 s19, 0
	s_branch .LBB2_150
.LBB2_209:                              ;   in Loop: Header=BB2_139 Depth=1
	s_mov_b32 s18, 0
	s_branch .LBB2_156
.LBB2_210:                              ;   in Loop: Header=BB2_139 Depth=1
                                        ; implicit-def: $vgpr14_vgpr15
	s_mov_b32 s19, 0
	s_branch .LBB2_162
.LBB2_211:                              ;   in Loop: Header=BB2_139 Depth=1
	s_mov_b32 s18, 0
	s_branch .LBB2_168
.LBB2_212:                              ;   in Loop: Header=BB2_139 Depth=1
                                        ; implicit-def: $vgpr18_vgpr19
	s_mov_b32 s19, 0
	s_branch .LBB2_174
.LBB2_213:                              ;   in Loop: Header=BB2_139 Depth=1
	s_branch .LBB2_180
.LBB2_214:
	s_mov_b32 s4, 0
.LBB2_215:
	s_and_b32 vcc_lo, exec_lo, s4
	s_cbranch_vccz .LBB2_243
; %bb.216:
	v_readfirstlane_b32 s4, v31
	s_waitcnt vmcnt(0)
	v_mov_b32_e32 v8, 0
	v_mov_b32_e32 v9, 0
	v_cmp_eq_u32_e64 s4, s4, v31
	s_and_saveexec_b32 s5, s4
	s_cbranch_execz .LBB2_222
; %bb.217:
	v_mov_b32_e32 v2, 0
	s_mov_b32 s8, exec_lo
	global_load_dwordx2 v[5:6], v2, s[6:7] offset:24 glc dlc
	s_waitcnt vmcnt(0)
	buffer_gl1_inv
	buffer_gl0_inv
	s_clause 0x1
	global_load_dwordx2 v[3:4], v2, s[6:7] offset:40
	global_load_dwordx2 v[7:8], v2, s[6:7]
	s_waitcnt vmcnt(1)
	v_and_b32_e32 v4, v4, v6
	v_and_b32_e32 v3, v3, v5
	v_mul_lo_u32 v4, v4, 24
	v_mul_hi_u32 v9, v3, 24
	v_mul_lo_u32 v3, v3, 24
	v_add_nc_u32_e32 v4, v9, v4
	s_waitcnt vmcnt(0)
	v_add_co_u32 v3, vcc_lo, v7, v3
	v_add_co_ci_u32_e64 v4, null, v8, v4, vcc_lo
	global_load_dwordx2 v[3:4], v[3:4], off glc dlc
	s_waitcnt vmcnt(0)
	global_atomic_cmpswap_x2 v[8:9], v2, v[3:6], s[6:7] offset:24 glc
	s_waitcnt vmcnt(0)
	buffer_gl1_inv
	buffer_gl0_inv
	v_cmpx_ne_u64_e64 v[8:9], v[5:6]
	s_cbranch_execz .LBB2_221
; %bb.218:
	s_mov_b32 s9, 0
	.p2align	6
.LBB2_219:                              ; =>This Inner Loop Header: Depth=1
	s_sleep 1
	s_clause 0x1
	global_load_dwordx2 v[3:4], v2, s[6:7] offset:40
	global_load_dwordx2 v[10:11], v2, s[6:7]
	v_mov_b32_e32 v5, v8
	v_mov_b32_e32 v6, v9
	s_waitcnt vmcnt(1)
	v_and_b32_e32 v3, v3, v5
	v_and_b32_e32 v4, v4, v6
	s_waitcnt vmcnt(0)
	v_mad_u64_u32 v[7:8], null, v3, 24, v[10:11]
	v_mov_b32_e32 v3, v8
	v_mad_u64_u32 v[3:4], null, v4, 24, v[3:4]
	v_mov_b32_e32 v8, v3
	global_load_dwordx2 v[3:4], v[7:8], off glc dlc
	s_waitcnt vmcnt(0)
	global_atomic_cmpswap_x2 v[8:9], v2, v[3:6], s[6:7] offset:24 glc
	s_waitcnt vmcnt(0)
	buffer_gl1_inv
	buffer_gl0_inv
	v_cmp_eq_u64_e32 vcc_lo, v[8:9], v[5:6]
	s_or_b32 s9, vcc_lo, s9
	s_andn2_b32 exec_lo, exec_lo, s9
	s_cbranch_execnz .LBB2_219
; %bb.220:
	s_or_b32 exec_lo, exec_lo, s9
.LBB2_221:
	s_or_b32 exec_lo, exec_lo, s8
.LBB2_222:
	s_or_b32 exec_lo, exec_lo, s5
	v_mov_b32_e32 v2, 0
	v_readfirstlane_b32 s9, v9
	v_readfirstlane_b32 s8, v8
	s_mov_b32 s5, exec_lo
	s_clause 0x1
	global_load_dwordx2 v[10:11], v2, s[6:7] offset:40
	global_load_dwordx4 v[4:7], v2, s[6:7]
	s_waitcnt vmcnt(1)
	v_readfirstlane_b32 s10, v10
	v_readfirstlane_b32 s11, v11
	s_and_b64 s[10:11], s[10:11], s[8:9]
	s_mul_i32 s12, s11, 24
	s_mul_hi_u32 s13, s10, 24
	s_mul_i32 s14, s10, 24
	s_add_i32 s13, s13, s12
	s_waitcnt vmcnt(0)
	v_add_co_u32 v8, vcc_lo, v4, s14
	v_add_co_ci_u32_e64 v9, null, s13, v5, vcc_lo
	s_and_saveexec_b32 s12, s4
	s_cbranch_execz .LBB2_224
; %bb.223:
	v_mov_b32_e32 v10, s5
	v_mov_b32_e32 v11, v2
	v_mov_b32_e32 v12, 2
	v_mov_b32_e32 v13, 1
	global_store_dwordx4 v[8:9], v[10:13], off offset:8
.LBB2_224:
	s_or_b32 exec_lo, exec_lo, s12
	s_lshl_b64 s[10:11], s[10:11], 12
	s_mov_b32 s12, 0
	v_add_co_u32 v6, vcc_lo, v6, s10
	v_add_co_ci_u32_e64 v7, null, s11, v7, vcc_lo
	s_mov_b32 s13, s12
	s_mov_b32 s14, s12
	;; [unrolled: 1-line block ×3, first 2 shown]
	v_and_or_b32 v0, 0xffffff1d, v0, 34
	v_mov_b32_e32 v3, v2
	v_readfirstlane_b32 s10, v6
	v_readfirstlane_b32 s11, v7
	v_mov_b32_e32 v10, s12
	v_mov_b32_e32 v11, s13
	;; [unrolled: 1-line block ×4, first 2 shown]
	global_store_dwordx4 v30, v[0:3], s[10:11]
	global_store_dwordx4 v30, v[10:13], s[10:11] offset:16
	global_store_dwordx4 v30, v[10:13], s[10:11] offset:32
	;; [unrolled: 1-line block ×3, first 2 shown]
	s_and_saveexec_b32 s5, s4
	s_cbranch_execz .LBB2_232
; %bb.225:
	v_mov_b32_e32 v6, 0
	v_mov_b32_e32 v10, s8
	;; [unrolled: 1-line block ×3, first 2 shown]
	s_clause 0x1
	global_load_dwordx2 v[12:13], v6, s[6:7] offset:32 glc dlc
	global_load_dwordx2 v[0:1], v6, s[6:7] offset:40
	s_waitcnt vmcnt(0)
	v_readfirstlane_b32 s10, v0
	v_readfirstlane_b32 s11, v1
	s_and_b64 s[10:11], s[10:11], s[8:9]
	s_mul_i32 s11, s11, 24
	s_mul_hi_u32 s12, s10, 24
	s_mul_i32 s10, s10, 24
	s_add_i32 s12, s12, s11
	v_add_co_u32 v4, vcc_lo, v4, s10
	v_add_co_ci_u32_e64 v5, null, s12, v5, vcc_lo
	s_mov_b32 s10, exec_lo
	global_store_dwordx2 v[4:5], v[12:13], off
	s_waitcnt_vscnt null, 0x0
	global_atomic_cmpswap_x2 v[2:3], v6, v[10:13], s[6:7] offset:32 glc
	s_waitcnt vmcnt(0)
	v_cmpx_ne_u64_e64 v[2:3], v[12:13]
	s_cbranch_execz .LBB2_228
; %bb.226:
	s_mov_b32 s11, 0
.LBB2_227:                              ; =>This Inner Loop Header: Depth=1
	v_mov_b32_e32 v0, s8
	v_mov_b32_e32 v1, s9
	s_sleep 1
	global_store_dwordx2 v[4:5], v[2:3], off
	s_waitcnt_vscnt null, 0x0
	global_atomic_cmpswap_x2 v[0:1], v6, v[0:3], s[6:7] offset:32 glc
	s_waitcnt vmcnt(0)
	v_cmp_eq_u64_e32 vcc_lo, v[0:1], v[2:3]
	v_mov_b32_e32 v3, v1
	v_mov_b32_e32 v2, v0
	s_or_b32 s11, vcc_lo, s11
	s_andn2_b32 exec_lo, exec_lo, s11
	s_cbranch_execnz .LBB2_227
.LBB2_228:
	s_or_b32 exec_lo, exec_lo, s10
	v_mov_b32_e32 v3, 0
	s_mov_b32 s11, exec_lo
	s_mov_b32 s10, exec_lo
	v_mbcnt_lo_u32_b32 v2, s11, 0
	global_load_dwordx2 v[0:1], v3, s[6:7] offset:16
	v_cmpx_eq_u32_e32 0, v2
	s_cbranch_execz .LBB2_230
; %bb.229:
	s_bcnt1_i32_b32 s11, s11
	v_mov_b32_e32 v2, s11
	s_waitcnt vmcnt(0)
	global_atomic_add_x2 v[0:1], v[2:3], off offset:8
.LBB2_230:
	s_or_b32 exec_lo, exec_lo, s10
	s_waitcnt vmcnt(0)
	global_load_dwordx2 v[2:3], v[0:1], off offset:16
	s_waitcnt vmcnt(0)
	v_cmp_eq_u64_e32 vcc_lo, 0, v[2:3]
	s_cbranch_vccnz .LBB2_232
; %bb.231:
	global_load_dword v0, v[0:1], off offset:24
	v_mov_b32_e32 v1, 0
	s_waitcnt vmcnt(0)
	v_readfirstlane_b32 s10, v0
	s_waitcnt_vscnt null, 0x0
	global_store_dwordx2 v[2:3], v[0:1], off
	s_and_b32 m0, s10, 0x7fffff
	s_sendmsg sendmsg(MSG_INTERRUPT)
.LBB2_232:
	s_or_b32 exec_lo, exec_lo, s5
	s_branch .LBB2_236
	.p2align	6
.LBB2_233:                              ;   in Loop: Header=BB2_236 Depth=1
	s_or_b32 exec_lo, exec_lo, s5
	v_readfirstlane_b32 s5, v0
	s_cmp_eq_u32 s5, 0
	s_cbranch_scc1 .LBB2_235
; %bb.234:                              ;   in Loop: Header=BB2_236 Depth=1
	s_sleep 1
	s_cbranch_execnz .LBB2_236
	s_branch .LBB2_238
	.p2align	6
.LBB2_235:
	s_branch .LBB2_238
.LBB2_236:                              ; =>This Inner Loop Header: Depth=1
	v_mov_b32_e32 v0, 1
	s_and_saveexec_b32 s5, s4
	s_cbranch_execz .LBB2_233
; %bb.237:                              ;   in Loop: Header=BB2_236 Depth=1
	global_load_dword v0, v[8:9], off offset:20 glc dlc
	s_waitcnt vmcnt(0)
	buffer_gl1_inv
	buffer_gl0_inv
	v_and_b32_e32 v0, 1, v0
	s_branch .LBB2_233
.LBB2_238:
	s_and_saveexec_b32 s10, s4
	s_cbranch_execz .LBB2_242
; %bb.239:
	v_mov_b32_e32 v6, 0
	s_clause 0x2
	global_load_dwordx2 v[0:1], v6, s[6:7] offset:40
	global_load_dwordx2 v[9:10], v6, s[6:7] offset:24 glc dlc
	global_load_dwordx2 v[2:3], v6, s[6:7]
	s_waitcnt vmcnt(2)
	v_readfirstlane_b32 s12, v0
	v_readfirstlane_b32 s13, v1
	s_add_u32 s11, s12, 1
	s_addc_u32 s14, s13, 0
	s_add_u32 s4, s11, s8
	s_addc_u32 s5, s14, s9
	s_cmp_eq_u64 s[4:5], 0
	s_cselect_b32 s5, s14, s5
	s_cselect_b32 s4, s11, s4
	v_mov_b32_e32 v8, s5
	s_and_b64 s[8:9], s[4:5], s[12:13]
	v_mov_b32_e32 v7, s4
	s_mul_i32 s9, s9, 24
	s_mul_hi_u32 s11, s8, 24
	s_mul_i32 s8, s8, 24
	s_add_i32 s11, s11, s9
	s_waitcnt vmcnt(0)
	v_add_co_u32 v4, vcc_lo, v2, s8
	v_add_co_ci_u32_e64 v5, null, s11, v3, vcc_lo
	global_store_dwordx2 v[4:5], v[9:10], off
	s_waitcnt_vscnt null, 0x0
	global_atomic_cmpswap_x2 v[2:3], v6, v[7:10], s[6:7] offset:24 glc
	s_waitcnt vmcnt(0)
	v_cmp_ne_u64_e32 vcc_lo, v[2:3], v[9:10]
	s_and_b32 exec_lo, exec_lo, vcc_lo
	s_cbranch_execz .LBB2_242
; %bb.240:
	s_mov_b32 s8, 0
.LBB2_241:                              ; =>This Inner Loop Header: Depth=1
	v_mov_b32_e32 v0, s4
	v_mov_b32_e32 v1, s5
	s_sleep 1
	global_store_dwordx2 v[4:5], v[2:3], off
	s_waitcnt_vscnt null, 0x0
	global_atomic_cmpswap_x2 v[0:1], v6, v[0:3], s[6:7] offset:24 glc
	s_waitcnt vmcnt(0)
	v_cmp_eq_u64_e32 vcc_lo, v[0:1], v[2:3]
	v_mov_b32_e32 v3, v1
	v_mov_b32_e32 v2, v0
	s_or_b32 s8, vcc_lo, s8
	s_andn2_b32 exec_lo, exec_lo, s8
	s_cbranch_execnz .LBB2_241
.LBB2_242:
	s_or_b32 exec_lo, exec_lo, s10
.LBB2_243:
	s_trap 2
	; divergent unreachable
	s_branch .LBB2_1
.Lfunc_end2:
	.size	_ZN6thrust23THRUST_200600_302600_NS6detail19temporary_allocatorIiNS1_5seq_tEE8allocateEm, .Lfunc_end2-_ZN6thrust23THRUST_200600_302600_NS6detail19temporary_allocatorIiNS1_5seq_tEE8allocateEm
                                        ; -- End function
	.set .L_ZN6thrust23THRUST_200600_302600_NS6detail19temporary_allocatorIiNS1_5seq_tEE8allocateEm.num_vgpr, max(41, .L__ockl_dm_alloc.num_vgpr, .L__ockl_dm_dealloc.num_vgpr)
	.set .L_ZN6thrust23THRUST_200600_302600_NS6detail19temporary_allocatorIiNS1_5seq_tEE8allocateEm.num_agpr, max(0, .L__ockl_dm_alloc.num_agpr, .L__ockl_dm_dealloc.num_agpr)
	.set .L_ZN6thrust23THRUST_200600_302600_NS6detail19temporary_allocatorIiNS1_5seq_tEE8allocateEm.numbered_sgpr, max(95, .L__ockl_dm_alloc.numbered_sgpr, .L__ockl_dm_dealloc.numbered_sgpr)
	.set .L_ZN6thrust23THRUST_200600_302600_NS6detail19temporary_allocatorIiNS1_5seq_tEE8allocateEm.num_named_barrier, max(0, .L__ockl_dm_alloc.num_named_barrier, .L__ockl_dm_dealloc.num_named_barrier)
	.set .L_ZN6thrust23THRUST_200600_302600_NS6detail19temporary_allocatorIiNS1_5seq_tEE8allocateEm.private_seg_size, 16+max(.L__ockl_dm_alloc.private_seg_size, .L__ockl_dm_dealloc.private_seg_size)
	.set .L_ZN6thrust23THRUST_200600_302600_NS6detail19temporary_allocatorIiNS1_5seq_tEE8allocateEm.uses_vcc, or(1, .L__ockl_dm_alloc.uses_vcc, .L__ockl_dm_dealloc.uses_vcc)
	.set .L_ZN6thrust23THRUST_200600_302600_NS6detail19temporary_allocatorIiNS1_5seq_tEE8allocateEm.uses_flat_scratch, or(0, .L__ockl_dm_alloc.uses_flat_scratch, .L__ockl_dm_dealloc.uses_flat_scratch)
	.set .L_ZN6thrust23THRUST_200600_302600_NS6detail19temporary_allocatorIiNS1_5seq_tEE8allocateEm.has_dyn_sized_stack, or(0, .L__ockl_dm_alloc.has_dyn_sized_stack, .L__ockl_dm_dealloc.has_dyn_sized_stack)
	.set .L_ZN6thrust23THRUST_200600_302600_NS6detail19temporary_allocatorIiNS1_5seq_tEE8allocateEm.has_recursion, or(0, .L__ockl_dm_alloc.has_recursion, .L__ockl_dm_dealloc.has_recursion)
	.set .L_ZN6thrust23THRUST_200600_302600_NS6detail19temporary_allocatorIiNS1_5seq_tEE8allocateEm.has_indirect_call, or(0, .L__ockl_dm_alloc.has_indirect_call, .L__ockl_dm_dealloc.has_indirect_call)
	.section	.AMDGPU.csdata,"",@progbits
; Function info:
; codeLenInByte = 8932
; TotalNumSgprs: 97
; NumVgprs: 116
; ScratchSize: 16
; MemoryBound: 0
	.text
	.protected	_Z16StableSortKerneliPi ; -- Begin function _Z16StableSortKerneliPi
	.globl	_Z16StableSortKerneliPi
	.p2align	8
	.type	_Z16StableSortKerneliPi,@function
_Z16StableSortKerneliPi:                ; @_Z16StableSortKerneliPi
; %bb.0:
	s_add_u32 s0, s0, s7
	s_addc_u32 s1, s1, 0
	s_mov_b32 s32, 0
	s_mov_b32 s6, exec_lo
	v_cmpx_eq_u32_e32 0, v0
	s_cbranch_execz .LBB3_63
; %bb.1:
	s_clause 0x1
	s_load_dword s36, s[4:5], 0x0
	s_load_dwordx2 s[34:35], s[4:5], 0x8
	s_waitcnt lgkmcnt(0)
	s_ashr_i32 s37, s36, 31
	s_lshl_b64 s[6:7], s[36:37], 2
	s_add_u32 s37, s34, s6
	s_addc_u32 s52, s35, s7
	s_sub_u32 s6, 0, s6
	s_subb_u32 s7, 0, s7
	s_ashr_i64 s[38:39], s[6:7], 2
	s_movk_i32 s6, 0xffe0
	s_mov_b32 s7, -1
	v_cmp_lt_i64_e64 s6, s[38:39], s[6:7]
	s_and_b32 vcc_lo, exec_lo, s6
	s_mov_b32 s6, -1
	s_cbranch_vccnz .LBB3_16
; %bb.2:
	s_and_b32 vcc_lo, exec_lo, s6
	s_cbranch_vccz .LBB3_63
; %bb.3:
	s_cmp_lt_i32 s36, 1
	s_cbranch_scc1 .LBB3_63
; %bb.4:
	v_mov_b32_e32 v0, 0
	s_branch .LBB3_6
.LBB3_5:                                ;   in Loop: Header=BB3_6 Depth=1
	s_and_b32 vcc_lo, exec_lo, s18
	s_mov_b64 s[34:35], s[4:5]
	s_cbranch_vccnz .LBB3_63
.LBB3_6:                                ; =>This Loop Header: Depth=1
                                        ;     Child Loop BB3_9 Depth 2
                                        ;       Child Loop BB3_11 Depth 3
                                        ;       Child Loop BB3_15 Depth 3
	s_add_u32 s4, s34, 0x80
	s_addc_u32 s5, s35, 0
	s_sub_u32 s10, s37, s4
	s_subb_u32 s11, s52, s5
	v_cmp_gt_i64_e64 s6, s[10:11], 0
	v_cmp_lt_i64_e64 s18, s[10:11], 1
	s_and_b32 s6, s6, exec_lo
	s_cselect_b32 s7, s5, s52
	s_cselect_b32 s6, s4, s37
	s_cmp_eq_u64 s[34:35], s[6:7]
	s_cselect_b32 s12, -1, 0
	s_add_u32 s8, s34, 4
	s_addc_u32 s9, s35, 0
	s_cmp_eq_u64 s[8:9], s[6:7]
	s_cselect_b32 s13, -1, 0
	s_or_b32 s12, s12, s13
	s_and_b32 vcc_lo, exec_lo, s12
	s_cbranch_vccnz .LBB3_5
; %bb.7:                                ;   in Loop: Header=BB3_6 Depth=1
	s_mov_b64 s[10:11], -4
	s_mov_b64 s[12:13], s[34:35]
	s_branch .LBB3_9
.LBB3_8:                                ;   in Loop: Header=BB3_9 Depth=2
	s_add_u32 s8, s8, 4
	s_addc_u32 s9, s9, 0
	s_add_u32 s12, s12, 4
	s_addc_u32 s13, s13, 0
	s_add_u32 s10, s10, -4
	s_addc_u32 s11, s11, -1
	s_cmp_lg_u64 s[8:9], s[6:7]
	global_store_dword v0, v1, s[14:15]
	s_cbranch_scc0 .LBB3_5
.LBB3_9:                                ;   Parent Loop BB3_6 Depth=1
                                        ; =>  This Loop Header: Depth=2
                                        ;       Child Loop BB3_11 Depth 3
                                        ;       Child Loop BB3_15 Depth 3
	s_clause 0x1
	global_load_dword v1, v0, s[8:9]
	global_load_dword v2, v0, s[34:35]
	s_mov_b32 s16, -1
                                        ; implicit-def: $sgpr14_sgpr15
	s_waitcnt vmcnt(0)
	v_cmp_lt_i32_e32 vcc_lo, v1, v2
	s_cbranch_vccnz .LBB3_13
; %bb.10:                               ;   in Loop: Header=BB3_9 Depth=2
	global_load_dword v2, v0, s[12:13]
	s_mov_b64 s[14:15], s[8:9]
	s_waitcnt vmcnt(0)
	v_cmp_ge_i32_e32 vcc_lo, v1, v2
	s_cbranch_vccnz .LBB3_12
.LBB3_11:                               ;   Parent Loop BB3_6 Depth=1
                                        ;     Parent Loop BB3_9 Depth=2
                                        ; =>    This Inner Loop Header: Depth=3
	global_store_dword v0, v2, s[14:15]
	global_load_dword v2, v0, s[14:15] offset:-8
	s_add_u32 s14, s14, -4
	s_addc_u32 s15, s15, -1
	s_waitcnt vmcnt(0)
	v_cmp_lt_i32_e32 vcc_lo, v1, v2
	s_cbranch_vccnz .LBB3_11
.LBB3_12:                               ;   in Loop: Header=BB3_9 Depth=2
	s_mov_b32 s16, 0
.LBB3_13:                               ;   in Loop: Header=BB3_9 Depth=2
	s_andn2_b32 vcc_lo, exec_lo, s16
	s_cbranch_vccnz .LBB3_8
; %bb.14:                               ;   in Loop: Header=BB3_9 Depth=2
	s_mov_b64 s[16:17], 0
.LBB3_15:                               ;   Parent Loop BB3_6 Depth=1
                                        ;     Parent Loop BB3_9 Depth=2
                                        ; =>    This Inner Loop Header: Depth=3
	s_add_u32 s20, s12, s16
	s_addc_u32 s21, s13, s17
	s_add_u32 s16, s16, -4
	global_load_dword v2, v0, s[20:21]
	s_addc_u32 s17, s17, -1
	s_mov_b64 s[14:15], s[34:35]
	s_cmp_eq_u64 s[10:11], s[16:17]
	s_waitcnt vmcnt(0)
	global_store_dword v0, v2, s[20:21] offset:4
	s_cbranch_scc0 .LBB3_15
	s_branch .LBB3_8
.LBB3_16:
	s_sub_u32 s48, 0, s38
	s_subb_u32 s49, 0, s39
	v_mov_b32_e32 v0, s48
	v_mov_b32_e32 v1, s49
	s_add_u32 s8, s4, 16
	s_addc_u32 s9, s5, 0
	s_mov_b64 s[50:51], s[4:5]
	s_getpc_b64 s[4:5]
	s_add_u32 s4, s4, _ZN6thrust23THRUST_200600_302600_NS6detail19temporary_allocatorIiNS1_5seq_tEE8allocateEm@rel32@lo+4
	s_addc_u32 s5, s5, _ZN6thrust23THRUST_200600_302600_NS6detail19temporary_allocatorIiNS1_5seq_tEE8allocateEm@rel32@hi+12
	s_swappc_b64 s[30:31], s[4:5]
	s_cmp_gt_i32 s36, 0
	s_cselect_b32 s24, -1, 0
	s_cmp_lt_i32 s36, 1
	s_cbranch_scc1 .LBB3_29
; %bb.17:
	v_mov_b32_e32 v2, 0
	s_mov_b64 s[4:5], s[34:35]
	s_branch .LBB3_19
.LBB3_18:                               ;   in Loop: Header=BB3_19 Depth=1
	s_andn2_b32 vcc_lo, exec_lo, s20
	s_mov_b64 s[4:5], s[6:7]
	s_cbranch_vccz .LBB3_29
.LBB3_19:                               ; =>This Loop Header: Depth=1
                                        ;     Child Loop BB3_22 Depth 2
                                        ;       Child Loop BB3_24 Depth 3
                                        ;       Child Loop BB3_28 Depth 3
	s_add_u32 s6, s4, 0x80
	s_addc_u32 s7, s5, 0
	s_sub_u32 s12, s37, s6
	s_subb_u32 s13, s52, s7
	v_cmp_gt_i64_e64 s8, s[12:13], 0
	v_cmp_lt_i64_e64 s20, s[12:13], 1
	s_and_b32 s8, s8, exec_lo
	s_cselect_b32 s9, s7, s52
	s_cselect_b32 s8, s6, s37
	s_cmp_eq_u64 s[4:5], s[8:9]
	s_cselect_b32 s14, -1, 0
	s_add_u32 s10, s4, 4
	s_addc_u32 s11, s5, 0
	s_cmp_eq_u64 s[10:11], s[8:9]
	s_cselect_b32 s15, -1, 0
	s_or_b32 s14, s14, s15
	s_and_b32 vcc_lo, exec_lo, s14
	s_cbranch_vccnz .LBB3_18
; %bb.20:                               ;   in Loop: Header=BB3_19 Depth=1
	s_mov_b64 s[12:13], -4
	s_mov_b64 s[14:15], s[4:5]
	s_branch .LBB3_22
.LBB3_21:                               ;   in Loop: Header=BB3_22 Depth=2
	s_add_u32 s10, s10, 4
	s_addc_u32 s11, s11, 0
	s_add_u32 s14, s14, 4
	s_addc_u32 s15, s15, 0
	s_add_u32 s12, s12, -4
	s_addc_u32 s13, s13, -1
	s_cmp_lg_u64 s[10:11], s[8:9]
	global_store_dword v2, v3, s[16:17]
	s_cbranch_scc0 .LBB3_18
.LBB3_22:                               ;   Parent Loop BB3_19 Depth=1
                                        ; =>  This Loop Header: Depth=2
                                        ;       Child Loop BB3_24 Depth 3
                                        ;       Child Loop BB3_28 Depth 3
	s_clause 0x1
	global_load_dword v3, v2, s[10:11]
	global_load_dword v4, v2, s[4:5]
	s_mov_b32 s18, -1
                                        ; implicit-def: $sgpr16_sgpr17
	s_waitcnt vmcnt(0)
	v_cmp_lt_i32_e32 vcc_lo, v3, v4
	s_cbranch_vccnz .LBB3_26
; %bb.23:                               ;   in Loop: Header=BB3_22 Depth=2
	global_load_dword v4, v2, s[14:15]
	s_mov_b64 s[16:17], s[10:11]
	s_waitcnt vmcnt(0)
	v_cmp_ge_i32_e32 vcc_lo, v3, v4
	s_cbranch_vccnz .LBB3_25
.LBB3_24:                               ;   Parent Loop BB3_19 Depth=1
                                        ;     Parent Loop BB3_22 Depth=2
                                        ; =>    This Inner Loop Header: Depth=3
	global_store_dword v2, v4, s[16:17]
	global_load_dword v4, v2, s[16:17] offset:-8
	s_add_u32 s16, s16, -4
	s_addc_u32 s17, s17, -1
	s_waitcnt vmcnt(0)
	v_cmp_lt_i32_e32 vcc_lo, v3, v4
	s_cbranch_vccnz .LBB3_24
.LBB3_25:                               ;   in Loop: Header=BB3_22 Depth=2
	s_mov_b32 s18, 0
.LBB3_26:                               ;   in Loop: Header=BB3_22 Depth=2
	s_andn2_b32 vcc_lo, exec_lo, s18
	s_cbranch_vccnz .LBB3_21
; %bb.27:                               ;   in Loop: Header=BB3_22 Depth=2
	s_mov_b64 s[18:19], 0
.LBB3_28:                               ;   Parent Loop BB3_19 Depth=1
                                        ;     Parent Loop BB3_22 Depth=2
                                        ; =>    This Inner Loop Header: Depth=3
	s_add_u32 s22, s14, s18
	s_addc_u32 s23, s15, s19
	s_add_u32 s18, s18, -4
	global_load_dword v4, v2, s[22:23]
	s_addc_u32 s19, s19, -1
	s_mov_b64 s[16:17], s[4:5]
	s_cmp_eq_u64 s[12:13], s[18:19]
	s_waitcnt vmcnt(0)
	global_store_dword v2, v4, s[22:23] offset:4
	s_cbranch_scc0 .LBB3_28
	s_branch .LBB3_21
.LBB3_29:
	s_lshl_b64 s[4:5], s[48:49], 2
	v_cndmask_b32_e64 v18, 0, 1, s24
	v_add_co_u32 v16, vcc_lo, v0, s4
	v_add_co_ci_u32_e64 v17, null, s5, v1, vcc_lo
	v_mov_b32_e32 v19, 0
	s_mov_b32 s4, -1
	s_mov_b64 s[8:9], 32
	s_mov_b64 s[6:7], s[50:51]
	s_branch .LBB3_31
.LBB3_30:                               ;   in Loop: Header=BB3_31 Depth=1
	s_lshl_b64 s[8:9], s[8:9], 1
	v_cmp_lt_i64_e64 s4, s[8:9], s[48:49]
	s_and_b32 vcc_lo, exec_lo, s4
	s_xor_b32 s4, s25, -1
	s_cbranch_vccz .LBB3_59
.LBB3_31:                               ; =>This Loop Header: Depth=1
                                        ;     Child Loop BB3_35 Depth 2
                                        ;       Child Loop BB3_37 Depth 3
                                        ;       Child Loop BB3_41 Depth 3
	;; [unrolled: 1-line block ×3, first 2 shown]
                                        ;     Child Loop BB3_51 Depth 2
                                        ;       Child Loop BB3_52 Depth 3
                                        ;       Child Loop BB3_55 Depth 3
                                        ;       Child Loop BB3_58 Depth 3
	s_mov_b32 s25, s4
	v_cmp_ne_u32_e64 s4, 1, v18
	s_andn2_b32 vcc_lo, exec_lo, s25
	s_mov_b32 s5, -1
	s_cbranch_vccz .LBB3_47
; %bb.32:                               ;   in Loop: Header=BB3_31 Depth=1
	s_and_b32 vcc_lo, exec_lo, s4
	s_cbranch_vccnz .LBB3_46
; %bb.33:                               ;   in Loop: Header=BB3_31 Depth=1
	v_mov_b32_e32 v3, v1
	v_mov_b32_e32 v2, v0
	s_lshl_b64 s[12:13], s[8:9], 1
	s_lshl_b64 s[10:11], s[8:9], 2
	s_mov_b32 s5, 0
	s_lshl_b64 s[12:13], s[12:13], 2
	s_mov_b64 s[14:15], s[34:35]
	s_branch .LBB3_35
.LBB3_34:                               ;   in Loop: Header=BB3_35 Depth=2
	s_or_b32 exec_lo, exec_lo, s16
	v_add_co_u32 v2, vcc_lo, v20, s10
	v_add_co_ci_u32_e64 v3, null, s11, v21, vcc_lo
	s_add_u32 s14, s14, s12
	v_sub_co_u32 v4, vcc_lo, v2, v16
	v_sub_co_ci_u32_e64 v5, null, v3, v17, vcc_lo
	s_addc_u32 s15, s15, s13
	v_cmp_lt_i64_e32 vcc_lo, -1, v[4:5]
	s_or_b32 s5, vcc_lo, s5
	s_andn2_b32 exec_lo, exec_lo, s5
	s_cbranch_execz .LBB3_45
.LBB3_35:                               ;   Parent Loop BB3_31 Depth=1
                                        ; =>  This Loop Header: Depth=2
                                        ;       Child Loop BB3_37 Depth 3
                                        ;       Child Loop BB3_41 Depth 3
	;; [unrolled: 1-line block ×3, first 2 shown]
	v_add_co_u32 v20, vcc_lo, v2, s10
	v_add_co_ci_u32_e64 v21, null, s11, v3, vcc_lo
	v_mov_b32_e32 v8, s14
	v_sub_co_u32 v4, vcc_lo, v20, v16
	v_sub_co_ci_u32_e64 v5, null, v21, v17, vcc_lo
	v_mov_b32_e32 v9, s15
	v_cmp_gt_i64_e32 vcc_lo, 0, v[4:5]
	v_cndmask_b32_e32 v10, v16, v20, vcc_lo
	v_cndmask_b32_e32 v11, v17, v21, vcc_lo
	v_add_co_u32 v6, vcc_lo, v10, s10
	v_add_co_ci_u32_e64 v7, null, s11, v11, vcc_lo
	v_sub_co_u32 v4, vcc_lo, v6, v16
	v_sub_co_ci_u32_e64 v5, null, v7, v17, vcc_lo
	v_cmp_gt_i64_e32 vcc_lo, 0, v[4:5]
	v_mov_b32_e32 v4, v10
	v_mov_b32_e32 v5, v11
	v_cndmask_b32_e32 v7, v17, v7, vcc_lo
	v_cndmask_b32_e32 v6, v16, v6, vcc_lo
	v_cmp_ne_u64_e32 vcc_lo, v[2:3], v[10:11]
	v_cmp_ne_u64_e64 s4, v[10:11], v[6:7]
	s_and_b32 s4, vcc_lo, s4
	s_and_saveexec_b32 s18, s4
	s_cbranch_execz .LBB3_39
; %bb.36:                               ;   in Loop: Header=BB3_35 Depth=2
	v_mov_b32_e32 v4, v10
	v_mov_b32_e32 v5, v11
	s_mov_b32 s19, 0
	s_mov_b64 s[16:17], s[14:15]
	.p2align	6
.LBB3_37:                               ;   Parent Loop BB3_31 Depth=1
                                        ;     Parent Loop BB3_35 Depth=2
                                        ; =>    This Inner Loop Header: Depth=3
	global_load_dword v8, v[4:5], off
	global_load_dword v9, v[2:3], off
	s_waitcnt vmcnt(0)
	v_cmp_lt_i32_e32 vcc_lo, v8, v9
	v_min_i32_e32 v8, v8, v9
	v_cndmask_b32_e64 v12, 0, 4, vcc_lo
	v_cndmask_b32_e64 v13, 4, 0, vcc_lo
	global_store_dword v19, v8, s[16:17]
	s_add_u32 s16, s16, 4
	s_addc_u32 s17, s17, 0
	v_add_co_u32 v4, vcc_lo, v4, v12
	v_add_co_ci_u32_e64 v5, null, 0, v5, vcc_lo
	v_add_co_u32 v2, vcc_lo, v2, v13
	v_add_co_ci_u32_e64 v3, null, 0, v3, vcc_lo
	v_cmp_eq_u64_e32 vcc_lo, v[4:5], v[6:7]
	v_mov_b32_e32 v8, s16
	v_mov_b32_e32 v9, s17
	v_cmp_eq_u64_e64 s4, v[2:3], v[10:11]
	s_or_b32 s4, s4, vcc_lo
	s_and_b32 s4, exec_lo, s4
	s_or_b32 s19, s4, s19
	s_andn2_b32 exec_lo, exec_lo, s19
	s_cbranch_execnz .LBB3_37
; %bb.38:                               ;   in Loop: Header=BB3_35 Depth=2
	s_or_b32 exec_lo, exec_lo, s19
.LBB3_39:                               ;   in Loop: Header=BB3_35 Depth=2
	s_or_b32 exec_lo, exec_lo, s18
	v_sub_co_u32 v10, vcc_lo, v10, v2
	v_sub_co_ci_u32_e64 v11, null, v11, v3, vcc_lo
	s_mov_b32 s16, exec_lo
	v_ashrrev_i64 v[12:13], 2, v[10:11]
	v_cmpx_lt_i64_e32 0, v[12:13]
	s_cbranch_execz .LBB3_42
; %bb.40:                               ;   in Loop: Header=BB3_35 Depth=2
	v_add_co_u32 v12, vcc_lo, v12, 1
	v_mov_b32_e32 v15, v9
	v_add_co_ci_u32_e64 v13, null, 0, v13, vcc_lo
	v_mov_b32_e32 v14, v8
	s_mov_b32 s17, 0
	.p2align	6
.LBB3_41:                               ;   Parent Loop BB3_31 Depth=1
                                        ;     Parent Loop BB3_35 Depth=2
                                        ; =>    This Inner Loop Header: Depth=3
	global_load_dword v22, v[2:3], off
	v_add_co_u32 v12, vcc_lo, v12, -1
	v_add_co_ci_u32_e64 v13, null, -1, v13, vcc_lo
	v_add_co_u32 v2, vcc_lo, v2, 4
	v_add_co_ci_u32_e64 v3, null, 0, v3, vcc_lo
	v_cmp_gt_u64_e32 vcc_lo, 2, v[12:13]
	s_or_b32 s17, vcc_lo, s17
	s_waitcnt vmcnt(0)
	global_store_dword v[14:15], v22, off
	v_add_co_u32 v14, s4, v14, 4
	v_add_co_ci_u32_e64 v15, null, 0, v15, s4
	s_andn2_b32 exec_lo, exec_lo, s17
	s_cbranch_execnz .LBB3_41
.LBB3_42:                               ;   in Loop: Header=BB3_35 Depth=2
	s_or_b32 exec_lo, exec_lo, s16
	v_sub_co_u32 v2, vcc_lo, v6, v4
	v_sub_co_ci_u32_e64 v3, null, v7, v5, vcc_lo
	s_mov_b32 s16, exec_lo
	v_ashrrev_i64 v[6:7], 2, v[2:3]
	v_cmpx_lt_i64_e32 0, v[6:7]
	s_cbranch_execz .LBB3_34
; %bb.43:                               ;   in Loop: Header=BB3_35 Depth=2
	v_add_co_u32 v2, vcc_lo, v8, v10
	v_add_co_ci_u32_e64 v3, null, v9, v11, vcc_lo
	v_add_co_u32 v6, vcc_lo, v6, 1
	v_add_co_ci_u32_e64 v7, null, 0, v7, vcc_lo
	s_mov_b32 s17, 0
	.p2align	6
.LBB3_44:                               ;   Parent Loop BB3_31 Depth=1
                                        ;     Parent Loop BB3_35 Depth=2
                                        ; =>    This Inner Loop Header: Depth=3
	global_load_dword v8, v[4:5], off
	v_add_co_u32 v6, vcc_lo, v6, -1
	v_add_co_ci_u32_e64 v7, null, -1, v7, vcc_lo
	v_add_co_u32 v4, vcc_lo, v4, 4
	v_add_co_ci_u32_e64 v5, null, 0, v5, vcc_lo
	v_cmp_gt_u64_e32 vcc_lo, 2, v[6:7]
	s_or_b32 s17, vcc_lo, s17
	s_waitcnt vmcnt(0)
	global_store_dword v[2:3], v8, off
	v_add_co_u32 v2, s4, v2, 4
	v_add_co_ci_u32_e64 v3, null, 0, v3, s4
	s_andn2_b32 exec_lo, exec_lo, s17
	s_cbranch_execnz .LBB3_44
	s_branch .LBB3_34
.LBB3_45:                               ;   in Loop: Header=BB3_31 Depth=1
	s_or_b32 exec_lo, exec_lo, s5
.LBB3_46:                               ;   in Loop: Header=BB3_31 Depth=1
	s_mov_b32 s5, 0
.LBB3_47:                               ;   in Loop: Header=BB3_31 Depth=1
	s_andn2_b32 vcc_lo, exec_lo, s5
	s_cbranch_vccnz .LBB3_30
; %bb.48:                               ;   in Loop: Header=BB3_31 Depth=1
	s_andn2_b32 vcc_lo, exec_lo, s24
	s_cbranch_vccnz .LBB3_30
; %bb.49:                               ;   in Loop: Header=BB3_31 Depth=1
	v_mov_b32_e32 v3, v1
	v_mov_b32_e32 v2, v0
	s_lshl_b64 s[4:5], s[8:9], 1
	s_lshl_b64 s[10:11], s[8:9], 2
	;; [unrolled: 1-line block ×3, first 2 shown]
	s_mov_b64 s[14:15], s[34:35]
	s_branch .LBB3_51
.LBB3_50:                               ;   in Loop: Header=BB3_51 Depth=2
	s_add_u32 s14, s26, s10
	s_addc_u32 s15, s27, s11
	s_sub_u32 s4, s37, s14
	s_subb_u32 s5, s52, s15
	v_add_co_u32 v2, vcc_lo, v2, s12
	v_cmp_lt_i64_e64 s4, s[4:5], 1
	v_add_co_ci_u32_e64 v3, null, s13, v3, vcc_lo
	s_and_b32 vcc_lo, exec_lo, s4
	s_cbranch_vccnz .LBB3_30
.LBB3_51:                               ;   Parent Loop BB3_31 Depth=1
                                        ; =>  This Loop Header: Depth=2
                                        ;       Child Loop BB3_52 Depth 3
                                        ;       Child Loop BB3_55 Depth 3
	;; [unrolled: 1-line block ×3, first 2 shown]
	s_add_u32 s26, s14, s10
	s_addc_u32 s27, s15, s11
	s_sub_u32 s4, s37, s26
	s_subb_u32 s5, s52, s27
	v_mov_b32_e32 v5, v3
	v_cmp_gt_i64_e64 s4, s[4:5], 0
	v_mov_b32_e32 v4, v2
	s_and_b32 s4, s4, exec_lo
	s_cselect_b32 s4, s26, s37
	s_cselect_b32 s5, s27, s52
	s_add_u32 s18, s4, s10
	s_addc_u32 s19, s5, s11
	s_sub_u32 s16, s37, s18
	s_subb_u32 s17, s52, s19
	v_cmp_gt_i64_e64 s16, s[16:17], 0
	s_and_b32 s16, s16, exec_lo
	s_cselect_b32 s19, s19, s52
	s_cselect_b32 s18, s18, s37
	s_cmp_lg_u64 s[14:15], s[4:5]
	s_cselect_b32 s16, -1, 0
	s_cmp_lg_u64 s[4:5], s[18:19]
	s_cselect_b32 s17, -1, 0
	s_and_b32 s16, s16, s17
	s_andn2_b32 vcc_lo, exec_lo, s16
	s_mov_b64 s[16:17], s[4:5]
	s_cbranch_vccnz .LBB3_53
	.p2align	6
.LBB3_52:                               ;   Parent Loop BB3_31 Depth=1
                                        ;     Parent Loop BB3_51 Depth=2
                                        ; =>    This Inner Loop Header: Depth=3
	s_clause 0x1
	global_load_dword v6, v19, s[16:17]
	global_load_dword v7, v19, s[14:15]
	s_waitcnt vmcnt(1)
	v_readfirstlane_b32 s20, v6
	s_waitcnt vmcnt(0)
	v_readfirstlane_b32 s21, v7
	s_min_i32 s22, s20, s21
	s_cmp_lt_i32 s20, s21
	v_mov_b32_e32 v6, s22
	s_cselect_b32 s20, 4, 0
	s_cselect_b32 s21, 0, 4
	s_add_u32 s16, s16, s20
	s_addc_u32 s17, s17, 0
	s_add_u32 s14, s14, s21
	s_addc_u32 s15, s15, 0
	global_store_dword v[4:5], v6, off
	s_cmp_lg_u64 s[14:15], s[4:5]
	v_add_co_u32 v4, vcc_lo, v4, 4
	s_cselect_b32 s20, -1, 0
	s_cmp_lg_u64 s[16:17], s[18:19]
	v_add_co_ci_u32_e64 v5, null, 0, v5, vcc_lo
	s_cselect_b32 s21, -1, 0
	s_and_b32 s20, s20, s21
	s_and_b32 vcc_lo, exec_lo, s20
	s_cbranch_vccnz .LBB3_52
.LBB3_53:                               ;   in Loop: Header=BB3_51 Depth=2
	s_sub_u32 s4, s14, s4
	s_subb_u32 s5, s15, s5
	s_ashr_i64 s[20:21], s[4:5], 2
	v_cmp_gt_i64_e64 s4, s[20:21], -1
	s_and_b32 vcc_lo, exec_lo, s4
	s_cbranch_vccnz .LBB3_56
; %bb.54:                               ;   in Loop: Header=BB3_51 Depth=2
	v_mov_b32_e32 v7, v5
	v_mov_b32_e32 v6, v4
	s_sub_u32 s22, 1, s20
	s_subb_u32 s23, 0, s21
.LBB3_55:                               ;   Parent Loop BB3_31 Depth=1
                                        ;     Parent Loop BB3_51 Depth=2
                                        ; =>    This Inner Loop Header: Depth=3
	global_load_dword v8, v19, s[14:15]
	s_add_u32 s14, s14, 4
	s_addc_u32 s15, s15, 0
	s_add_u32 s22, s22, -1
	s_addc_u32 s23, s23, -1
	v_cmp_gt_u64_e64 s4, s[22:23], 1
	s_and_b32 vcc_lo, exec_lo, s4
	s_waitcnt vmcnt(0)
	global_store_dword v[6:7], v8, off
	v_add_co_u32 v6, s4, v6, 4
	v_add_co_ci_u32_e64 v7, null, 0, v7, s4
	s_cbranch_vccnz .LBB3_55
.LBB3_56:                               ;   in Loop: Header=BB3_51 Depth=2
	s_sub_u32 s4, s16, s18
	s_subb_u32 s5, s17, s19
	s_ashr_i64 s[4:5], s[4:5], 2
	v_cmp_gt_i64_e64 s14, s[4:5], -1
	s_and_b32 vcc_lo, exec_lo, s14
	s_cbranch_vccnz .LBB3_50
; %bb.57:                               ;   in Loop: Header=BB3_51 Depth=2
	s_lshl_b64 s[14:15], s[20:21], 2
	v_sub_co_u32 v4, vcc_lo, v4, s14
	v_subrev_co_ci_u32_e64 v5, null, s15, v5, vcc_lo
	s_sub_u32 s14, 1, s4
	s_subb_u32 s15, 0, s5
	.p2align	6
.LBB3_58:                               ;   Parent Loop BB3_31 Depth=1
                                        ;     Parent Loop BB3_51 Depth=2
                                        ; =>    This Inner Loop Header: Depth=3
	global_load_dword v6, v19, s[16:17]
	s_add_u32 s16, s16, 4
	s_addc_u32 s17, s17, 0
	s_add_u32 s14, s14, -1
	s_addc_u32 s15, s15, -1
	v_cmp_gt_u64_e64 s4, s[14:15], 1
	s_and_b32 vcc_lo, exec_lo, s4
	s_waitcnt vmcnt(0)
	global_store_dword v[4:5], v6, off
	v_add_co_u32 v4, s4, v4, 4
	v_add_co_ci_u32_e64 v5, null, 0, v5, s4
	s_cbranch_vccnz .LBB3_58
	s_branch .LBB3_50
.LBB3_59:
	s_andn2_b32 vcc_lo, exec_lo, s25
	s_cbranch_vccnz .LBB3_62
; %bb.60:
	v_mov_b32_e32 v3, v1
	v_mov_b32_e32 v4, 0
	;; [unrolled: 1-line block ×3, first 2 shown]
	s_sub_u32 s4, 1, s38
	s_subb_u32 s5, 0, s39
	s_mov_b64 s[8:9], s[34:35]
.LBB3_61:                               ; =>This Inner Loop Header: Depth=1
	global_load_dword v5, v[2:3], off
	v_add_co_u32 v2, vcc_lo, v2, 4
	v_add_co_ci_u32_e64 v3, null, 0, v3, vcc_lo
	s_waitcnt vmcnt(0)
	global_store_dword v4, v5, s[8:9]
	s_add_u32 s8, s8, 4
	s_addc_u32 s9, s9, 0
	s_add_u32 s4, s4, -1
	s_addc_u32 s5, s5, -1
	v_cmp_gt_u64_e64 s10, s[4:5], 1
	s_and_b32 vcc_lo, exec_lo, s10
	s_cbranch_vccnz .LBB3_61
.LBB3_62:
	s_add_u32 s8, s6, 16
	s_addc_u32 s9, s7, 0
	s_getpc_b64 s[4:5]
	s_add_u32 s4, s4, __ockl_dm_dealloc@rel32@lo+4
	s_addc_u32 s5, s5, __ockl_dm_dealloc@rel32@hi+12
	s_swappc_b64 s[30:31], s[4:5]
.LBB3_63:
	s_endpgm
	.section	.rodata,"a",@progbits
	.p2align	6, 0x0
	.amdhsa_kernel _Z16StableSortKerneliPi
		.amdhsa_group_segment_fixed_size 0
		.amdhsa_private_segment_fixed_size 16
		.amdhsa_kernarg_size 272
		.amdhsa_user_sgpr_count 6
		.amdhsa_user_sgpr_private_segment_buffer 1
		.amdhsa_user_sgpr_dispatch_ptr 0
		.amdhsa_user_sgpr_queue_ptr 0
		.amdhsa_user_sgpr_kernarg_segment_ptr 1
		.amdhsa_user_sgpr_dispatch_id 0
		.amdhsa_user_sgpr_flat_scratch_init 0
		.amdhsa_user_sgpr_private_segment_size 0
		.amdhsa_wavefront_size32 1
		.amdhsa_uses_dynamic_stack 0
		.amdhsa_system_sgpr_private_segment_wavefront_offset 1
		.amdhsa_system_sgpr_workgroup_id_x 1
		.amdhsa_system_sgpr_workgroup_id_y 0
		.amdhsa_system_sgpr_workgroup_id_z 0
		.amdhsa_system_sgpr_workgroup_info 0
		.amdhsa_system_vgpr_workitem_id 0
		.amdhsa_next_free_vgpr 116
		.amdhsa_next_free_sgpr 95
		.amdhsa_reserve_vcc 1
		.amdhsa_reserve_flat_scratch 0
		.amdhsa_float_round_mode_32 0
		.amdhsa_float_round_mode_16_64 0
		.amdhsa_float_denorm_mode_32 3
		.amdhsa_float_denorm_mode_16_64 3
		.amdhsa_dx10_clamp 1
		.amdhsa_ieee_mode 1
		.amdhsa_fp16_overflow 0
		.amdhsa_workgroup_processor_mode 1
		.amdhsa_memory_ordered 1
		.amdhsa_forward_progress 1
		.amdhsa_shared_vgpr_count 0
		.amdhsa_exception_fp_ieee_invalid_op 0
		.amdhsa_exception_fp_denorm_src 0
		.amdhsa_exception_fp_ieee_div_zero 0
		.amdhsa_exception_fp_ieee_overflow 0
		.amdhsa_exception_fp_ieee_underflow 0
		.amdhsa_exception_fp_ieee_inexact 0
		.amdhsa_exception_int_div_zero 0
	.end_amdhsa_kernel
	.text
.Lfunc_end3:
	.size	_Z16StableSortKerneliPi, .Lfunc_end3-_Z16StableSortKerneliPi
                                        ; -- End function
	.set _Z16StableSortKerneliPi.num_vgpr, max(23, .L_ZN6thrust23THRUST_200600_302600_NS6detail19temporary_allocatorIiNS1_5seq_tEE8allocateEm.num_vgpr, .L__ockl_dm_dealloc.num_vgpr)
	.set _Z16StableSortKerneliPi.num_agpr, max(0, .L_ZN6thrust23THRUST_200600_302600_NS6detail19temporary_allocatorIiNS1_5seq_tEE8allocateEm.num_agpr, .L__ockl_dm_dealloc.num_agpr)
	.set _Z16StableSortKerneliPi.numbered_sgpr, max(53, .L_ZN6thrust23THRUST_200600_302600_NS6detail19temporary_allocatorIiNS1_5seq_tEE8allocateEm.numbered_sgpr, .L__ockl_dm_dealloc.numbered_sgpr)
	.set _Z16StableSortKerneliPi.num_named_barrier, max(0, .L_ZN6thrust23THRUST_200600_302600_NS6detail19temporary_allocatorIiNS1_5seq_tEE8allocateEm.num_named_barrier, .L__ockl_dm_dealloc.num_named_barrier)
	.set _Z16StableSortKerneliPi.private_seg_size, 0+max(.L_ZN6thrust23THRUST_200600_302600_NS6detail19temporary_allocatorIiNS1_5seq_tEE8allocateEm.private_seg_size, .L__ockl_dm_dealloc.private_seg_size)
	.set _Z16StableSortKerneliPi.uses_vcc, or(1, .L_ZN6thrust23THRUST_200600_302600_NS6detail19temporary_allocatorIiNS1_5seq_tEE8allocateEm.uses_vcc, .L__ockl_dm_dealloc.uses_vcc)
	.set _Z16StableSortKerneliPi.uses_flat_scratch, or(0, .L_ZN6thrust23THRUST_200600_302600_NS6detail19temporary_allocatorIiNS1_5seq_tEE8allocateEm.uses_flat_scratch, .L__ockl_dm_dealloc.uses_flat_scratch)
	.set _Z16StableSortKerneliPi.has_dyn_sized_stack, or(0, .L_ZN6thrust23THRUST_200600_302600_NS6detail19temporary_allocatorIiNS1_5seq_tEE8allocateEm.has_dyn_sized_stack, .L__ockl_dm_dealloc.has_dyn_sized_stack)
	.set _Z16StableSortKerneliPi.has_recursion, or(0, .L_ZN6thrust23THRUST_200600_302600_NS6detail19temporary_allocatorIiNS1_5seq_tEE8allocateEm.has_recursion, .L__ockl_dm_dealloc.has_recursion)
	.set _Z16StableSortKerneliPi.has_indirect_call, or(0, .L_ZN6thrust23THRUST_200600_302600_NS6detail19temporary_allocatorIiNS1_5seq_tEE8allocateEm.has_indirect_call, .L__ockl_dm_dealloc.has_indirect_call)
	.section	.AMDGPU.csdata,"",@progbits
; Kernel info:
; codeLenInByte = 2512
; TotalNumSgprs: 97
; NumVgprs: 116
; ScratchSize: 16
; MemoryBound: 0
; FloatMode: 240
; IeeeMode: 1
; LDSByteSize: 0 bytes/workgroup (compile time only)
; SGPRBlocks: 0
; VGPRBlocks: 14
; NumSGPRsForWavesPerEU: 97
; NumVGPRsForWavesPerEU: 116
; Occupancy: 8
; WaveLimiterHint : 1
; COMPUTE_PGM_RSRC2:SCRATCH_EN: 1
; COMPUTE_PGM_RSRC2:USER_SGPR: 6
; COMPUTE_PGM_RSRC2:TRAP_HANDLER: 0
; COMPUTE_PGM_RSRC2:TGID_X_EN: 1
; COMPUTE_PGM_RSRC2:TGID_Y_EN: 0
; COMPUTE_PGM_RSRC2:TGID_Z_EN: 0
; COMPUTE_PGM_RSRC2:TIDIG_COMP_CNT: 0
	.section	.text._ZN6thrust23THRUST_200600_302600_NS11hip_rocprim14__parallel_for6kernelILj256ENS1_20__uninitialized_fill7functorINS0_10device_ptrIiEEiEEmLj1EEEvT0_T1_SA_,"axG",@progbits,_ZN6thrust23THRUST_200600_302600_NS11hip_rocprim14__parallel_for6kernelILj256ENS1_20__uninitialized_fill7functorINS0_10device_ptrIiEEiEEmLj1EEEvT0_T1_SA_,comdat
	.protected	_ZN6thrust23THRUST_200600_302600_NS11hip_rocprim14__parallel_for6kernelILj256ENS1_20__uninitialized_fill7functorINS0_10device_ptrIiEEiEEmLj1EEEvT0_T1_SA_ ; -- Begin function _ZN6thrust23THRUST_200600_302600_NS11hip_rocprim14__parallel_for6kernelILj256ENS1_20__uninitialized_fill7functorINS0_10device_ptrIiEEiEEmLj1EEEvT0_T1_SA_
	.globl	_ZN6thrust23THRUST_200600_302600_NS11hip_rocprim14__parallel_for6kernelILj256ENS1_20__uninitialized_fill7functorINS0_10device_ptrIiEEiEEmLj1EEEvT0_T1_SA_
	.p2align	8
	.type	_ZN6thrust23THRUST_200600_302600_NS11hip_rocprim14__parallel_for6kernelILj256ENS1_20__uninitialized_fill7functorINS0_10device_ptrIiEEiEEmLj1EEEvT0_T1_SA_,@function
_ZN6thrust23THRUST_200600_302600_NS11hip_rocprim14__parallel_for6kernelILj256ENS1_20__uninitialized_fill7functorINS0_10device_ptrIiEEiEEmLj1EEEvT0_T1_SA_: ; @_ZN6thrust23THRUST_200600_302600_NS11hip_rocprim14__parallel_for6kernelILj256ENS1_20__uninitialized_fill7functorINS0_10device_ptrIiEEiEEmLj1EEEvT0_T1_SA_
; %bb.0:
	s_clause 0x2
	s_load_dwordx4 s[8:11], s[4:5], 0x10
	s_load_dwordx2 s[0:1], s[4:5], 0x0
	s_load_dword s7, s[4:5], 0x8
	s_lshl_b32 s2, s6, 8
	s_waitcnt lgkmcnt(0)
	s_add_u32 s2, s10, s2
	s_addc_u32 s3, s11, 0
	s_sub_u32 s4, s8, s2
	s_subb_u32 s5, s9, s3
	v_cmp_lt_u64_e64 s5, 0xff, s[4:5]
	s_and_b32 vcc_lo, exec_lo, s5
	s_mov_b32 s5, -1
	s_cbranch_vccz .LBB4_3
; %bb.1:
	s_andn2_b32 vcc_lo, exec_lo, s5
	s_cbranch_vccz .LBB4_6
.LBB4_2:
	s_endpgm
.LBB4_3:
	v_cmp_gt_u32_e32 vcc_lo, s4, v0
	s_and_saveexec_b32 s4, vcc_lo
	s_cbranch_execz .LBB4_5
; %bb.4:
	v_lshlrev_b32_e32 v1, 2, v0
	s_lshl_b64 s[8:9], s[2:3], 2
	v_mov_b32_e32 v3, s7
	s_add_u32 s5, s0, s8
	s_addc_u32 s6, s1, s9
	v_add_co_u32 v1, s5, s5, v1
	v_add_co_ci_u32_e64 v2, null, s6, 0, s5
	flat_store_dword v[1:2], v3
.LBB4_5:
	s_or_b32 exec_lo, exec_lo, s4
	s_cbranch_execnz .LBB4_2
.LBB4_6:
	v_lshlrev_b32_e32 v0, 2, v0
	s_lshl_b64 s[2:3], s[2:3], 2
	v_mov_b32_e32 v2, s7
	s_add_u32 s0, s0, s2
	s_addc_u32 s1, s1, s3
	v_add_co_u32 v0, s0, s0, v0
	v_add_co_ci_u32_e64 v1, null, s1, 0, s0
	flat_store_dword v[0:1], v2
	s_endpgm
	.section	.rodata,"a",@progbits
	.p2align	6, 0x0
	.amdhsa_kernel _ZN6thrust23THRUST_200600_302600_NS11hip_rocprim14__parallel_for6kernelILj256ENS1_20__uninitialized_fill7functorINS0_10device_ptrIiEEiEEmLj1EEEvT0_T1_SA_
		.amdhsa_group_segment_fixed_size 0
		.amdhsa_private_segment_fixed_size 0
		.amdhsa_kernarg_size 32
		.amdhsa_user_sgpr_count 6
		.amdhsa_user_sgpr_private_segment_buffer 1
		.amdhsa_user_sgpr_dispatch_ptr 0
		.amdhsa_user_sgpr_queue_ptr 0
		.amdhsa_user_sgpr_kernarg_segment_ptr 1
		.amdhsa_user_sgpr_dispatch_id 0
		.amdhsa_user_sgpr_flat_scratch_init 0
		.amdhsa_user_sgpr_private_segment_size 0
		.amdhsa_wavefront_size32 1
		.amdhsa_uses_dynamic_stack 0
		.amdhsa_system_sgpr_private_segment_wavefront_offset 0
		.amdhsa_system_sgpr_workgroup_id_x 1
		.amdhsa_system_sgpr_workgroup_id_y 0
		.amdhsa_system_sgpr_workgroup_id_z 0
		.amdhsa_system_sgpr_workgroup_info 0
		.amdhsa_system_vgpr_workitem_id 0
		.amdhsa_next_free_vgpr 4
		.amdhsa_next_free_sgpr 12
		.amdhsa_reserve_vcc 1
		.amdhsa_reserve_flat_scratch 0
		.amdhsa_float_round_mode_32 0
		.amdhsa_float_round_mode_16_64 0
		.amdhsa_float_denorm_mode_32 3
		.amdhsa_float_denorm_mode_16_64 3
		.amdhsa_dx10_clamp 1
		.amdhsa_ieee_mode 1
		.amdhsa_fp16_overflow 0
		.amdhsa_workgroup_processor_mode 1
		.amdhsa_memory_ordered 1
		.amdhsa_forward_progress 1
		.amdhsa_shared_vgpr_count 0
		.amdhsa_exception_fp_ieee_invalid_op 0
		.amdhsa_exception_fp_denorm_src 0
		.amdhsa_exception_fp_ieee_div_zero 0
		.amdhsa_exception_fp_ieee_overflow 0
		.amdhsa_exception_fp_ieee_underflow 0
		.amdhsa_exception_fp_ieee_inexact 0
		.amdhsa_exception_int_div_zero 0
	.end_amdhsa_kernel
	.section	.text._ZN6thrust23THRUST_200600_302600_NS11hip_rocprim14__parallel_for6kernelILj256ENS1_20__uninitialized_fill7functorINS0_10device_ptrIiEEiEEmLj1EEEvT0_T1_SA_,"axG",@progbits,_ZN6thrust23THRUST_200600_302600_NS11hip_rocprim14__parallel_for6kernelILj256ENS1_20__uninitialized_fill7functorINS0_10device_ptrIiEEiEEmLj1EEEvT0_T1_SA_,comdat
.Lfunc_end4:
	.size	_ZN6thrust23THRUST_200600_302600_NS11hip_rocprim14__parallel_for6kernelILj256ENS1_20__uninitialized_fill7functorINS0_10device_ptrIiEEiEEmLj1EEEvT0_T1_SA_, .Lfunc_end4-_ZN6thrust23THRUST_200600_302600_NS11hip_rocprim14__parallel_for6kernelILj256ENS1_20__uninitialized_fill7functorINS0_10device_ptrIiEEiEEmLj1EEEvT0_T1_SA_
                                        ; -- End function
	.set _ZN6thrust23THRUST_200600_302600_NS11hip_rocprim14__parallel_for6kernelILj256ENS1_20__uninitialized_fill7functorINS0_10device_ptrIiEEiEEmLj1EEEvT0_T1_SA_.num_vgpr, 4
	.set _ZN6thrust23THRUST_200600_302600_NS11hip_rocprim14__parallel_for6kernelILj256ENS1_20__uninitialized_fill7functorINS0_10device_ptrIiEEiEEmLj1EEEvT0_T1_SA_.num_agpr, 0
	.set _ZN6thrust23THRUST_200600_302600_NS11hip_rocprim14__parallel_for6kernelILj256ENS1_20__uninitialized_fill7functorINS0_10device_ptrIiEEiEEmLj1EEEvT0_T1_SA_.numbered_sgpr, 12
	.set _ZN6thrust23THRUST_200600_302600_NS11hip_rocprim14__parallel_for6kernelILj256ENS1_20__uninitialized_fill7functorINS0_10device_ptrIiEEiEEmLj1EEEvT0_T1_SA_.num_named_barrier, 0
	.set _ZN6thrust23THRUST_200600_302600_NS11hip_rocprim14__parallel_for6kernelILj256ENS1_20__uninitialized_fill7functorINS0_10device_ptrIiEEiEEmLj1EEEvT0_T1_SA_.private_seg_size, 0
	.set _ZN6thrust23THRUST_200600_302600_NS11hip_rocprim14__parallel_for6kernelILj256ENS1_20__uninitialized_fill7functorINS0_10device_ptrIiEEiEEmLj1EEEvT0_T1_SA_.uses_vcc, 1
	.set _ZN6thrust23THRUST_200600_302600_NS11hip_rocprim14__parallel_for6kernelILj256ENS1_20__uninitialized_fill7functorINS0_10device_ptrIiEEiEEmLj1EEEvT0_T1_SA_.uses_flat_scratch, 0
	.set _ZN6thrust23THRUST_200600_302600_NS11hip_rocprim14__parallel_for6kernelILj256ENS1_20__uninitialized_fill7functorINS0_10device_ptrIiEEiEEmLj1EEEvT0_T1_SA_.has_dyn_sized_stack, 0
	.set _ZN6thrust23THRUST_200600_302600_NS11hip_rocprim14__parallel_for6kernelILj256ENS1_20__uninitialized_fill7functorINS0_10device_ptrIiEEiEEmLj1EEEvT0_T1_SA_.has_recursion, 0
	.set _ZN6thrust23THRUST_200600_302600_NS11hip_rocprim14__parallel_for6kernelILj256ENS1_20__uninitialized_fill7functorINS0_10device_ptrIiEEiEEmLj1EEEvT0_T1_SA_.has_indirect_call, 0
	.section	.AMDGPU.csdata,"",@progbits
; Kernel info:
; codeLenInByte = 200
; TotalNumSgprs: 14
; NumVgprs: 4
; ScratchSize: 0
; MemoryBound: 0
; FloatMode: 240
; IeeeMode: 1
; LDSByteSize: 0 bytes/workgroup (compile time only)
; SGPRBlocks: 0
; VGPRBlocks: 0
; NumSGPRsForWavesPerEU: 14
; NumVGPRsForWavesPerEU: 4
; Occupancy: 16
; WaveLimiterHint : 0
; COMPUTE_PGM_RSRC2:SCRATCH_EN: 0
; COMPUTE_PGM_RSRC2:USER_SGPR: 6
; COMPUTE_PGM_RSRC2:TRAP_HANDLER: 0
; COMPUTE_PGM_RSRC2:TGID_X_EN: 1
; COMPUTE_PGM_RSRC2:TGID_Y_EN: 0
; COMPUTE_PGM_RSRC2:TGID_Z_EN: 0
; COMPUTE_PGM_RSRC2:TIDIG_COMP_CNT: 0
	.section	.text._ZN6thrust23THRUST_200600_302600_NS11hip_rocprim14__parallel_for6kernelILj256ENS1_20__uninitialized_fill7functorINS0_10device_ptrIyEEyEEmLj1EEEvT0_T1_SA_,"axG",@progbits,_ZN6thrust23THRUST_200600_302600_NS11hip_rocprim14__parallel_for6kernelILj256ENS1_20__uninitialized_fill7functorINS0_10device_ptrIyEEyEEmLj1EEEvT0_T1_SA_,comdat
	.protected	_ZN6thrust23THRUST_200600_302600_NS11hip_rocprim14__parallel_for6kernelILj256ENS1_20__uninitialized_fill7functorINS0_10device_ptrIyEEyEEmLj1EEEvT0_T1_SA_ ; -- Begin function _ZN6thrust23THRUST_200600_302600_NS11hip_rocprim14__parallel_for6kernelILj256ENS1_20__uninitialized_fill7functorINS0_10device_ptrIyEEyEEmLj1EEEvT0_T1_SA_
	.globl	_ZN6thrust23THRUST_200600_302600_NS11hip_rocprim14__parallel_for6kernelILj256ENS1_20__uninitialized_fill7functorINS0_10device_ptrIyEEyEEmLj1EEEvT0_T1_SA_
	.p2align	8
	.type	_ZN6thrust23THRUST_200600_302600_NS11hip_rocprim14__parallel_for6kernelILj256ENS1_20__uninitialized_fill7functorINS0_10device_ptrIyEEyEEmLj1EEEvT0_T1_SA_,@function
_ZN6thrust23THRUST_200600_302600_NS11hip_rocprim14__parallel_for6kernelILj256ENS1_20__uninitialized_fill7functorINS0_10device_ptrIyEEyEEmLj1EEEvT0_T1_SA_: ; @_ZN6thrust23THRUST_200600_302600_NS11hip_rocprim14__parallel_for6kernelILj256ENS1_20__uninitialized_fill7functorINS0_10device_ptrIyEEyEEmLj1EEEvT0_T1_SA_
; %bb.0:
	s_load_dwordx8 s[8:15], s[4:5], 0x0
	s_lshl_b32 s0, s6, 8
	s_waitcnt lgkmcnt(0)
	s_add_u32 s0, s14, s0
	s_addc_u32 s1, s15, 0
	s_sub_u32 s2, s12, s0
	s_subb_u32 s3, s13, s1
	v_cmp_lt_u64_e64 s3, 0xff, s[2:3]
	s_and_b32 vcc_lo, exec_lo, s3
	s_mov_b32 s3, -1
	s_cbranch_vccz .LBB5_3
; %bb.1:
	s_andn2_b32 vcc_lo, exec_lo, s3
	s_cbranch_vccz .LBB5_6
.LBB5_2:
	s_endpgm
.LBB5_3:
	v_cmp_gt_u32_e32 vcc_lo, s2, v0
	s_and_saveexec_b32 s2, vcc_lo
	s_cbranch_execz .LBB5_5
; %bb.4:
	v_lshlrev_b32_e32 v1, 3, v0
	s_lshl_b64 s[4:5], s[0:1], 3
	v_mov_b32_e32 v3, s10
	s_add_u32 s3, s8, s4
	s_addc_u32 s4, s9, s5
	v_add_co_u32 v1, s3, s3, v1
	v_add_co_ci_u32_e64 v2, null, s4, 0, s3
	v_mov_b32_e32 v4, s11
	flat_store_dwordx2 v[1:2], v[3:4]
.LBB5_5:
	s_or_b32 exec_lo, exec_lo, s2
	s_cbranch_execnz .LBB5_2
.LBB5_6:
	v_lshlrev_b32_e32 v0, 3, v0
	s_lshl_b64 s[0:1], s[0:1], 3
	v_mov_b32_e32 v2, s10
	s_add_u32 s0, s8, s0
	s_addc_u32 s1, s9, s1
	v_add_co_u32 v0, s0, s0, v0
	v_add_co_ci_u32_e64 v1, null, s1, 0, s0
	v_mov_b32_e32 v3, s11
	flat_store_dwordx2 v[0:1], v[2:3]
	s_endpgm
	.section	.rodata,"a",@progbits
	.p2align	6, 0x0
	.amdhsa_kernel _ZN6thrust23THRUST_200600_302600_NS11hip_rocprim14__parallel_for6kernelILj256ENS1_20__uninitialized_fill7functorINS0_10device_ptrIyEEyEEmLj1EEEvT0_T1_SA_
		.amdhsa_group_segment_fixed_size 0
		.amdhsa_private_segment_fixed_size 0
		.amdhsa_kernarg_size 32
		.amdhsa_user_sgpr_count 6
		.amdhsa_user_sgpr_private_segment_buffer 1
		.amdhsa_user_sgpr_dispatch_ptr 0
		.amdhsa_user_sgpr_queue_ptr 0
		.amdhsa_user_sgpr_kernarg_segment_ptr 1
		.amdhsa_user_sgpr_dispatch_id 0
		.amdhsa_user_sgpr_flat_scratch_init 0
		.amdhsa_user_sgpr_private_segment_size 0
		.amdhsa_wavefront_size32 1
		.amdhsa_uses_dynamic_stack 0
		.amdhsa_system_sgpr_private_segment_wavefront_offset 0
		.amdhsa_system_sgpr_workgroup_id_x 1
		.amdhsa_system_sgpr_workgroup_id_y 0
		.amdhsa_system_sgpr_workgroup_id_z 0
		.amdhsa_system_sgpr_workgroup_info 0
		.amdhsa_system_vgpr_workitem_id 0
		.amdhsa_next_free_vgpr 5
		.amdhsa_next_free_sgpr 16
		.amdhsa_reserve_vcc 1
		.amdhsa_reserve_flat_scratch 0
		.amdhsa_float_round_mode_32 0
		.amdhsa_float_round_mode_16_64 0
		.amdhsa_float_denorm_mode_32 3
		.amdhsa_float_denorm_mode_16_64 3
		.amdhsa_dx10_clamp 1
		.amdhsa_ieee_mode 1
		.amdhsa_fp16_overflow 0
		.amdhsa_workgroup_processor_mode 1
		.amdhsa_memory_ordered 1
		.amdhsa_forward_progress 1
		.amdhsa_shared_vgpr_count 0
		.amdhsa_exception_fp_ieee_invalid_op 0
		.amdhsa_exception_fp_denorm_src 0
		.amdhsa_exception_fp_ieee_div_zero 0
		.amdhsa_exception_fp_ieee_overflow 0
		.amdhsa_exception_fp_ieee_underflow 0
		.amdhsa_exception_fp_ieee_inexact 0
		.amdhsa_exception_int_div_zero 0
	.end_amdhsa_kernel
	.section	.text._ZN6thrust23THRUST_200600_302600_NS11hip_rocprim14__parallel_for6kernelILj256ENS1_20__uninitialized_fill7functorINS0_10device_ptrIyEEyEEmLj1EEEvT0_T1_SA_,"axG",@progbits,_ZN6thrust23THRUST_200600_302600_NS11hip_rocprim14__parallel_for6kernelILj256ENS1_20__uninitialized_fill7functorINS0_10device_ptrIyEEyEEmLj1EEEvT0_T1_SA_,comdat
.Lfunc_end5:
	.size	_ZN6thrust23THRUST_200600_302600_NS11hip_rocprim14__parallel_for6kernelILj256ENS1_20__uninitialized_fill7functorINS0_10device_ptrIyEEyEEmLj1EEEvT0_T1_SA_, .Lfunc_end5-_ZN6thrust23THRUST_200600_302600_NS11hip_rocprim14__parallel_for6kernelILj256ENS1_20__uninitialized_fill7functorINS0_10device_ptrIyEEyEEmLj1EEEvT0_T1_SA_
                                        ; -- End function
	.set _ZN6thrust23THRUST_200600_302600_NS11hip_rocprim14__parallel_for6kernelILj256ENS1_20__uninitialized_fill7functorINS0_10device_ptrIyEEyEEmLj1EEEvT0_T1_SA_.num_vgpr, 5
	.set _ZN6thrust23THRUST_200600_302600_NS11hip_rocprim14__parallel_for6kernelILj256ENS1_20__uninitialized_fill7functorINS0_10device_ptrIyEEyEEmLj1EEEvT0_T1_SA_.num_agpr, 0
	.set _ZN6thrust23THRUST_200600_302600_NS11hip_rocprim14__parallel_for6kernelILj256ENS1_20__uninitialized_fill7functorINS0_10device_ptrIyEEyEEmLj1EEEvT0_T1_SA_.numbered_sgpr, 16
	.set _ZN6thrust23THRUST_200600_302600_NS11hip_rocprim14__parallel_for6kernelILj256ENS1_20__uninitialized_fill7functorINS0_10device_ptrIyEEyEEmLj1EEEvT0_T1_SA_.num_named_barrier, 0
	.set _ZN6thrust23THRUST_200600_302600_NS11hip_rocprim14__parallel_for6kernelILj256ENS1_20__uninitialized_fill7functorINS0_10device_ptrIyEEyEEmLj1EEEvT0_T1_SA_.private_seg_size, 0
	.set _ZN6thrust23THRUST_200600_302600_NS11hip_rocprim14__parallel_for6kernelILj256ENS1_20__uninitialized_fill7functorINS0_10device_ptrIyEEyEEmLj1EEEvT0_T1_SA_.uses_vcc, 1
	.set _ZN6thrust23THRUST_200600_302600_NS11hip_rocprim14__parallel_for6kernelILj256ENS1_20__uninitialized_fill7functorINS0_10device_ptrIyEEyEEmLj1EEEvT0_T1_SA_.uses_flat_scratch, 0
	.set _ZN6thrust23THRUST_200600_302600_NS11hip_rocprim14__parallel_for6kernelILj256ENS1_20__uninitialized_fill7functorINS0_10device_ptrIyEEyEEmLj1EEEvT0_T1_SA_.has_dyn_sized_stack, 0
	.set _ZN6thrust23THRUST_200600_302600_NS11hip_rocprim14__parallel_for6kernelILj256ENS1_20__uninitialized_fill7functorINS0_10device_ptrIyEEyEEmLj1EEEvT0_T1_SA_.has_recursion, 0
	.set _ZN6thrust23THRUST_200600_302600_NS11hip_rocprim14__parallel_for6kernelILj256ENS1_20__uninitialized_fill7functorINS0_10device_ptrIyEEyEEmLj1EEEvT0_T1_SA_.has_indirect_call, 0
	.section	.AMDGPU.csdata,"",@progbits
; Kernel info:
; codeLenInByte = 188
; TotalNumSgprs: 18
; NumVgprs: 5
; ScratchSize: 0
; MemoryBound: 0
; FloatMode: 240
; IeeeMode: 1
; LDSByteSize: 0 bytes/workgroup (compile time only)
; SGPRBlocks: 0
; VGPRBlocks: 0
; NumSGPRsForWavesPerEU: 18
; NumVGPRsForWavesPerEU: 5
; Occupancy: 16
; WaveLimiterHint : 0
; COMPUTE_PGM_RSRC2:SCRATCH_EN: 0
; COMPUTE_PGM_RSRC2:USER_SGPR: 6
; COMPUTE_PGM_RSRC2:TRAP_HANDLER: 0
; COMPUTE_PGM_RSRC2:TGID_X_EN: 1
; COMPUTE_PGM_RSRC2:TGID_Y_EN: 0
; COMPUTE_PGM_RSRC2:TGID_Z_EN: 0
; COMPUTE_PGM_RSRC2:TIDIG_COMP_CNT: 0
	.section	.text._ZN7rocprim17ROCPRIM_400000_NS6detail44device_merge_sort_compile_time_verifier_archINS1_11comp_targetILNS1_3genE0ELNS1_11target_archE4294967295ELNS1_3gpuE0ELNS1_3repE0EEES8_NS0_14default_configES9_NS1_37merge_sort_block_sort_config_selectorIyNS0_10empty_typeEEENS1_38merge_sort_block_merge_config_selectorIySB_EEEEvv,"axG",@progbits,_ZN7rocprim17ROCPRIM_400000_NS6detail44device_merge_sort_compile_time_verifier_archINS1_11comp_targetILNS1_3genE0ELNS1_11target_archE4294967295ELNS1_3gpuE0ELNS1_3repE0EEES8_NS0_14default_configES9_NS1_37merge_sort_block_sort_config_selectorIyNS0_10empty_typeEEENS1_38merge_sort_block_merge_config_selectorIySB_EEEEvv,comdat
	.protected	_ZN7rocprim17ROCPRIM_400000_NS6detail44device_merge_sort_compile_time_verifier_archINS1_11comp_targetILNS1_3genE0ELNS1_11target_archE4294967295ELNS1_3gpuE0ELNS1_3repE0EEES8_NS0_14default_configES9_NS1_37merge_sort_block_sort_config_selectorIyNS0_10empty_typeEEENS1_38merge_sort_block_merge_config_selectorIySB_EEEEvv ; -- Begin function _ZN7rocprim17ROCPRIM_400000_NS6detail44device_merge_sort_compile_time_verifier_archINS1_11comp_targetILNS1_3genE0ELNS1_11target_archE4294967295ELNS1_3gpuE0ELNS1_3repE0EEES8_NS0_14default_configES9_NS1_37merge_sort_block_sort_config_selectorIyNS0_10empty_typeEEENS1_38merge_sort_block_merge_config_selectorIySB_EEEEvv
	.globl	_ZN7rocprim17ROCPRIM_400000_NS6detail44device_merge_sort_compile_time_verifier_archINS1_11comp_targetILNS1_3genE0ELNS1_11target_archE4294967295ELNS1_3gpuE0ELNS1_3repE0EEES8_NS0_14default_configES9_NS1_37merge_sort_block_sort_config_selectorIyNS0_10empty_typeEEENS1_38merge_sort_block_merge_config_selectorIySB_EEEEvv
	.p2align	8
	.type	_ZN7rocprim17ROCPRIM_400000_NS6detail44device_merge_sort_compile_time_verifier_archINS1_11comp_targetILNS1_3genE0ELNS1_11target_archE4294967295ELNS1_3gpuE0ELNS1_3repE0EEES8_NS0_14default_configES9_NS1_37merge_sort_block_sort_config_selectorIyNS0_10empty_typeEEENS1_38merge_sort_block_merge_config_selectorIySB_EEEEvv,@function
_ZN7rocprim17ROCPRIM_400000_NS6detail44device_merge_sort_compile_time_verifier_archINS1_11comp_targetILNS1_3genE0ELNS1_11target_archE4294967295ELNS1_3gpuE0ELNS1_3repE0EEES8_NS0_14default_configES9_NS1_37merge_sort_block_sort_config_selectorIyNS0_10empty_typeEEENS1_38merge_sort_block_merge_config_selectorIySB_EEEEvv: ; @_ZN7rocprim17ROCPRIM_400000_NS6detail44device_merge_sort_compile_time_verifier_archINS1_11comp_targetILNS1_3genE0ELNS1_11target_archE4294967295ELNS1_3gpuE0ELNS1_3repE0EEES8_NS0_14default_configES9_NS1_37merge_sort_block_sort_config_selectorIyNS0_10empty_typeEEENS1_38merge_sort_block_merge_config_selectorIySB_EEEEvv
; %bb.0:
	s_endpgm
	.section	.rodata,"a",@progbits
	.p2align	6, 0x0
	.amdhsa_kernel _ZN7rocprim17ROCPRIM_400000_NS6detail44device_merge_sort_compile_time_verifier_archINS1_11comp_targetILNS1_3genE0ELNS1_11target_archE4294967295ELNS1_3gpuE0ELNS1_3repE0EEES8_NS0_14default_configES9_NS1_37merge_sort_block_sort_config_selectorIyNS0_10empty_typeEEENS1_38merge_sort_block_merge_config_selectorIySB_EEEEvv
		.amdhsa_group_segment_fixed_size 0
		.amdhsa_private_segment_fixed_size 0
		.amdhsa_kernarg_size 0
		.amdhsa_user_sgpr_count 4
		.amdhsa_user_sgpr_private_segment_buffer 1
		.amdhsa_user_sgpr_dispatch_ptr 0
		.amdhsa_user_sgpr_queue_ptr 0
		.amdhsa_user_sgpr_kernarg_segment_ptr 0
		.amdhsa_user_sgpr_dispatch_id 0
		.amdhsa_user_sgpr_flat_scratch_init 0
		.amdhsa_user_sgpr_private_segment_size 0
		.amdhsa_wavefront_size32 1
		.amdhsa_uses_dynamic_stack 0
		.amdhsa_system_sgpr_private_segment_wavefront_offset 0
		.amdhsa_system_sgpr_workgroup_id_x 1
		.amdhsa_system_sgpr_workgroup_id_y 0
		.amdhsa_system_sgpr_workgroup_id_z 0
		.amdhsa_system_sgpr_workgroup_info 0
		.amdhsa_system_vgpr_workitem_id 0
		.amdhsa_next_free_vgpr 1
		.amdhsa_next_free_sgpr 1
		.amdhsa_reserve_vcc 0
		.amdhsa_reserve_flat_scratch 0
		.amdhsa_float_round_mode_32 0
		.amdhsa_float_round_mode_16_64 0
		.amdhsa_float_denorm_mode_32 3
		.amdhsa_float_denorm_mode_16_64 3
		.amdhsa_dx10_clamp 1
		.amdhsa_ieee_mode 1
		.amdhsa_fp16_overflow 0
		.amdhsa_workgroup_processor_mode 1
		.amdhsa_memory_ordered 1
		.amdhsa_forward_progress 1
		.amdhsa_shared_vgpr_count 0
		.amdhsa_exception_fp_ieee_invalid_op 0
		.amdhsa_exception_fp_denorm_src 0
		.amdhsa_exception_fp_ieee_div_zero 0
		.amdhsa_exception_fp_ieee_overflow 0
		.amdhsa_exception_fp_ieee_underflow 0
		.amdhsa_exception_fp_ieee_inexact 0
		.amdhsa_exception_int_div_zero 0
	.end_amdhsa_kernel
	.section	.text._ZN7rocprim17ROCPRIM_400000_NS6detail44device_merge_sort_compile_time_verifier_archINS1_11comp_targetILNS1_3genE0ELNS1_11target_archE4294967295ELNS1_3gpuE0ELNS1_3repE0EEES8_NS0_14default_configES9_NS1_37merge_sort_block_sort_config_selectorIyNS0_10empty_typeEEENS1_38merge_sort_block_merge_config_selectorIySB_EEEEvv,"axG",@progbits,_ZN7rocprim17ROCPRIM_400000_NS6detail44device_merge_sort_compile_time_verifier_archINS1_11comp_targetILNS1_3genE0ELNS1_11target_archE4294967295ELNS1_3gpuE0ELNS1_3repE0EEES8_NS0_14default_configES9_NS1_37merge_sort_block_sort_config_selectorIyNS0_10empty_typeEEENS1_38merge_sort_block_merge_config_selectorIySB_EEEEvv,comdat
.Lfunc_end6:
	.size	_ZN7rocprim17ROCPRIM_400000_NS6detail44device_merge_sort_compile_time_verifier_archINS1_11comp_targetILNS1_3genE0ELNS1_11target_archE4294967295ELNS1_3gpuE0ELNS1_3repE0EEES8_NS0_14default_configES9_NS1_37merge_sort_block_sort_config_selectorIyNS0_10empty_typeEEENS1_38merge_sort_block_merge_config_selectorIySB_EEEEvv, .Lfunc_end6-_ZN7rocprim17ROCPRIM_400000_NS6detail44device_merge_sort_compile_time_verifier_archINS1_11comp_targetILNS1_3genE0ELNS1_11target_archE4294967295ELNS1_3gpuE0ELNS1_3repE0EEES8_NS0_14default_configES9_NS1_37merge_sort_block_sort_config_selectorIyNS0_10empty_typeEEENS1_38merge_sort_block_merge_config_selectorIySB_EEEEvv
                                        ; -- End function
	.set _ZN7rocprim17ROCPRIM_400000_NS6detail44device_merge_sort_compile_time_verifier_archINS1_11comp_targetILNS1_3genE0ELNS1_11target_archE4294967295ELNS1_3gpuE0ELNS1_3repE0EEES8_NS0_14default_configES9_NS1_37merge_sort_block_sort_config_selectorIyNS0_10empty_typeEEENS1_38merge_sort_block_merge_config_selectorIySB_EEEEvv.num_vgpr, 0
	.set _ZN7rocprim17ROCPRIM_400000_NS6detail44device_merge_sort_compile_time_verifier_archINS1_11comp_targetILNS1_3genE0ELNS1_11target_archE4294967295ELNS1_3gpuE0ELNS1_3repE0EEES8_NS0_14default_configES9_NS1_37merge_sort_block_sort_config_selectorIyNS0_10empty_typeEEENS1_38merge_sort_block_merge_config_selectorIySB_EEEEvv.num_agpr, 0
	.set _ZN7rocprim17ROCPRIM_400000_NS6detail44device_merge_sort_compile_time_verifier_archINS1_11comp_targetILNS1_3genE0ELNS1_11target_archE4294967295ELNS1_3gpuE0ELNS1_3repE0EEES8_NS0_14default_configES9_NS1_37merge_sort_block_sort_config_selectorIyNS0_10empty_typeEEENS1_38merge_sort_block_merge_config_selectorIySB_EEEEvv.numbered_sgpr, 0
	.set _ZN7rocprim17ROCPRIM_400000_NS6detail44device_merge_sort_compile_time_verifier_archINS1_11comp_targetILNS1_3genE0ELNS1_11target_archE4294967295ELNS1_3gpuE0ELNS1_3repE0EEES8_NS0_14default_configES9_NS1_37merge_sort_block_sort_config_selectorIyNS0_10empty_typeEEENS1_38merge_sort_block_merge_config_selectorIySB_EEEEvv.num_named_barrier, 0
	.set _ZN7rocprim17ROCPRIM_400000_NS6detail44device_merge_sort_compile_time_verifier_archINS1_11comp_targetILNS1_3genE0ELNS1_11target_archE4294967295ELNS1_3gpuE0ELNS1_3repE0EEES8_NS0_14default_configES9_NS1_37merge_sort_block_sort_config_selectorIyNS0_10empty_typeEEENS1_38merge_sort_block_merge_config_selectorIySB_EEEEvv.private_seg_size, 0
	.set _ZN7rocprim17ROCPRIM_400000_NS6detail44device_merge_sort_compile_time_verifier_archINS1_11comp_targetILNS1_3genE0ELNS1_11target_archE4294967295ELNS1_3gpuE0ELNS1_3repE0EEES8_NS0_14default_configES9_NS1_37merge_sort_block_sort_config_selectorIyNS0_10empty_typeEEENS1_38merge_sort_block_merge_config_selectorIySB_EEEEvv.uses_vcc, 0
	.set _ZN7rocprim17ROCPRIM_400000_NS6detail44device_merge_sort_compile_time_verifier_archINS1_11comp_targetILNS1_3genE0ELNS1_11target_archE4294967295ELNS1_3gpuE0ELNS1_3repE0EEES8_NS0_14default_configES9_NS1_37merge_sort_block_sort_config_selectorIyNS0_10empty_typeEEENS1_38merge_sort_block_merge_config_selectorIySB_EEEEvv.uses_flat_scratch, 0
	.set _ZN7rocprim17ROCPRIM_400000_NS6detail44device_merge_sort_compile_time_verifier_archINS1_11comp_targetILNS1_3genE0ELNS1_11target_archE4294967295ELNS1_3gpuE0ELNS1_3repE0EEES8_NS0_14default_configES9_NS1_37merge_sort_block_sort_config_selectorIyNS0_10empty_typeEEENS1_38merge_sort_block_merge_config_selectorIySB_EEEEvv.has_dyn_sized_stack, 0
	.set _ZN7rocprim17ROCPRIM_400000_NS6detail44device_merge_sort_compile_time_verifier_archINS1_11comp_targetILNS1_3genE0ELNS1_11target_archE4294967295ELNS1_3gpuE0ELNS1_3repE0EEES8_NS0_14default_configES9_NS1_37merge_sort_block_sort_config_selectorIyNS0_10empty_typeEEENS1_38merge_sort_block_merge_config_selectorIySB_EEEEvv.has_recursion, 0
	.set _ZN7rocprim17ROCPRIM_400000_NS6detail44device_merge_sort_compile_time_verifier_archINS1_11comp_targetILNS1_3genE0ELNS1_11target_archE4294967295ELNS1_3gpuE0ELNS1_3repE0EEES8_NS0_14default_configES9_NS1_37merge_sort_block_sort_config_selectorIyNS0_10empty_typeEEENS1_38merge_sort_block_merge_config_selectorIySB_EEEEvv.has_indirect_call, 0
	.section	.AMDGPU.csdata,"",@progbits
; Kernel info:
; codeLenInByte = 4
; TotalNumSgprs: 0
; NumVgprs: 0
; ScratchSize: 0
; MemoryBound: 0
; FloatMode: 240
; IeeeMode: 1
; LDSByteSize: 0 bytes/workgroup (compile time only)
; SGPRBlocks: 0
; VGPRBlocks: 0
; NumSGPRsForWavesPerEU: 1
; NumVGPRsForWavesPerEU: 1
; Occupancy: 16
; WaveLimiterHint : 0
; COMPUTE_PGM_RSRC2:SCRATCH_EN: 0
; COMPUTE_PGM_RSRC2:USER_SGPR: 4
; COMPUTE_PGM_RSRC2:TRAP_HANDLER: 0
; COMPUTE_PGM_RSRC2:TGID_X_EN: 1
; COMPUTE_PGM_RSRC2:TGID_Y_EN: 0
; COMPUTE_PGM_RSRC2:TGID_Z_EN: 0
; COMPUTE_PGM_RSRC2:TIDIG_COMP_CNT: 0
	.section	.text._ZN7rocprim17ROCPRIM_400000_NS6detail44device_merge_sort_compile_time_verifier_archINS1_11comp_targetILNS1_3genE5ELNS1_11target_archE942ELNS1_3gpuE9ELNS1_3repE0EEES8_NS0_14default_configES9_NS1_37merge_sort_block_sort_config_selectorIyNS0_10empty_typeEEENS1_38merge_sort_block_merge_config_selectorIySB_EEEEvv,"axG",@progbits,_ZN7rocprim17ROCPRIM_400000_NS6detail44device_merge_sort_compile_time_verifier_archINS1_11comp_targetILNS1_3genE5ELNS1_11target_archE942ELNS1_3gpuE9ELNS1_3repE0EEES8_NS0_14default_configES9_NS1_37merge_sort_block_sort_config_selectorIyNS0_10empty_typeEEENS1_38merge_sort_block_merge_config_selectorIySB_EEEEvv,comdat
	.protected	_ZN7rocprim17ROCPRIM_400000_NS6detail44device_merge_sort_compile_time_verifier_archINS1_11comp_targetILNS1_3genE5ELNS1_11target_archE942ELNS1_3gpuE9ELNS1_3repE0EEES8_NS0_14default_configES9_NS1_37merge_sort_block_sort_config_selectorIyNS0_10empty_typeEEENS1_38merge_sort_block_merge_config_selectorIySB_EEEEvv ; -- Begin function _ZN7rocprim17ROCPRIM_400000_NS6detail44device_merge_sort_compile_time_verifier_archINS1_11comp_targetILNS1_3genE5ELNS1_11target_archE942ELNS1_3gpuE9ELNS1_3repE0EEES8_NS0_14default_configES9_NS1_37merge_sort_block_sort_config_selectorIyNS0_10empty_typeEEENS1_38merge_sort_block_merge_config_selectorIySB_EEEEvv
	.globl	_ZN7rocprim17ROCPRIM_400000_NS6detail44device_merge_sort_compile_time_verifier_archINS1_11comp_targetILNS1_3genE5ELNS1_11target_archE942ELNS1_3gpuE9ELNS1_3repE0EEES8_NS0_14default_configES9_NS1_37merge_sort_block_sort_config_selectorIyNS0_10empty_typeEEENS1_38merge_sort_block_merge_config_selectorIySB_EEEEvv
	.p2align	8
	.type	_ZN7rocprim17ROCPRIM_400000_NS6detail44device_merge_sort_compile_time_verifier_archINS1_11comp_targetILNS1_3genE5ELNS1_11target_archE942ELNS1_3gpuE9ELNS1_3repE0EEES8_NS0_14default_configES9_NS1_37merge_sort_block_sort_config_selectorIyNS0_10empty_typeEEENS1_38merge_sort_block_merge_config_selectorIySB_EEEEvv,@function
_ZN7rocprim17ROCPRIM_400000_NS6detail44device_merge_sort_compile_time_verifier_archINS1_11comp_targetILNS1_3genE5ELNS1_11target_archE942ELNS1_3gpuE9ELNS1_3repE0EEES8_NS0_14default_configES9_NS1_37merge_sort_block_sort_config_selectorIyNS0_10empty_typeEEENS1_38merge_sort_block_merge_config_selectorIySB_EEEEvv: ; @_ZN7rocprim17ROCPRIM_400000_NS6detail44device_merge_sort_compile_time_verifier_archINS1_11comp_targetILNS1_3genE5ELNS1_11target_archE942ELNS1_3gpuE9ELNS1_3repE0EEES8_NS0_14default_configES9_NS1_37merge_sort_block_sort_config_selectorIyNS0_10empty_typeEEENS1_38merge_sort_block_merge_config_selectorIySB_EEEEvv
; %bb.0:
	s_endpgm
	.section	.rodata,"a",@progbits
	.p2align	6, 0x0
	.amdhsa_kernel _ZN7rocprim17ROCPRIM_400000_NS6detail44device_merge_sort_compile_time_verifier_archINS1_11comp_targetILNS1_3genE5ELNS1_11target_archE942ELNS1_3gpuE9ELNS1_3repE0EEES8_NS0_14default_configES9_NS1_37merge_sort_block_sort_config_selectorIyNS0_10empty_typeEEENS1_38merge_sort_block_merge_config_selectorIySB_EEEEvv
		.amdhsa_group_segment_fixed_size 0
		.amdhsa_private_segment_fixed_size 0
		.amdhsa_kernarg_size 0
		.amdhsa_user_sgpr_count 4
		.amdhsa_user_sgpr_private_segment_buffer 1
		.amdhsa_user_sgpr_dispatch_ptr 0
		.amdhsa_user_sgpr_queue_ptr 0
		.amdhsa_user_sgpr_kernarg_segment_ptr 0
		.amdhsa_user_sgpr_dispatch_id 0
		.amdhsa_user_sgpr_flat_scratch_init 0
		.amdhsa_user_sgpr_private_segment_size 0
		.amdhsa_wavefront_size32 1
		.amdhsa_uses_dynamic_stack 0
		.amdhsa_system_sgpr_private_segment_wavefront_offset 0
		.amdhsa_system_sgpr_workgroup_id_x 1
		.amdhsa_system_sgpr_workgroup_id_y 0
		.amdhsa_system_sgpr_workgroup_id_z 0
		.amdhsa_system_sgpr_workgroup_info 0
		.amdhsa_system_vgpr_workitem_id 0
		.amdhsa_next_free_vgpr 1
		.amdhsa_next_free_sgpr 1
		.amdhsa_reserve_vcc 0
		.amdhsa_reserve_flat_scratch 0
		.amdhsa_float_round_mode_32 0
		.amdhsa_float_round_mode_16_64 0
		.amdhsa_float_denorm_mode_32 3
		.amdhsa_float_denorm_mode_16_64 3
		.amdhsa_dx10_clamp 1
		.amdhsa_ieee_mode 1
		.amdhsa_fp16_overflow 0
		.amdhsa_workgroup_processor_mode 1
		.amdhsa_memory_ordered 1
		.amdhsa_forward_progress 1
		.amdhsa_shared_vgpr_count 0
		.amdhsa_exception_fp_ieee_invalid_op 0
		.amdhsa_exception_fp_denorm_src 0
		.amdhsa_exception_fp_ieee_div_zero 0
		.amdhsa_exception_fp_ieee_overflow 0
		.amdhsa_exception_fp_ieee_underflow 0
		.amdhsa_exception_fp_ieee_inexact 0
		.amdhsa_exception_int_div_zero 0
	.end_amdhsa_kernel
	.section	.text._ZN7rocprim17ROCPRIM_400000_NS6detail44device_merge_sort_compile_time_verifier_archINS1_11comp_targetILNS1_3genE5ELNS1_11target_archE942ELNS1_3gpuE9ELNS1_3repE0EEES8_NS0_14default_configES9_NS1_37merge_sort_block_sort_config_selectorIyNS0_10empty_typeEEENS1_38merge_sort_block_merge_config_selectorIySB_EEEEvv,"axG",@progbits,_ZN7rocprim17ROCPRIM_400000_NS6detail44device_merge_sort_compile_time_verifier_archINS1_11comp_targetILNS1_3genE5ELNS1_11target_archE942ELNS1_3gpuE9ELNS1_3repE0EEES8_NS0_14default_configES9_NS1_37merge_sort_block_sort_config_selectorIyNS0_10empty_typeEEENS1_38merge_sort_block_merge_config_selectorIySB_EEEEvv,comdat
.Lfunc_end7:
	.size	_ZN7rocprim17ROCPRIM_400000_NS6detail44device_merge_sort_compile_time_verifier_archINS1_11comp_targetILNS1_3genE5ELNS1_11target_archE942ELNS1_3gpuE9ELNS1_3repE0EEES8_NS0_14default_configES9_NS1_37merge_sort_block_sort_config_selectorIyNS0_10empty_typeEEENS1_38merge_sort_block_merge_config_selectorIySB_EEEEvv, .Lfunc_end7-_ZN7rocprim17ROCPRIM_400000_NS6detail44device_merge_sort_compile_time_verifier_archINS1_11comp_targetILNS1_3genE5ELNS1_11target_archE942ELNS1_3gpuE9ELNS1_3repE0EEES8_NS0_14default_configES9_NS1_37merge_sort_block_sort_config_selectorIyNS0_10empty_typeEEENS1_38merge_sort_block_merge_config_selectorIySB_EEEEvv
                                        ; -- End function
	.set _ZN7rocprim17ROCPRIM_400000_NS6detail44device_merge_sort_compile_time_verifier_archINS1_11comp_targetILNS1_3genE5ELNS1_11target_archE942ELNS1_3gpuE9ELNS1_3repE0EEES8_NS0_14default_configES9_NS1_37merge_sort_block_sort_config_selectorIyNS0_10empty_typeEEENS1_38merge_sort_block_merge_config_selectorIySB_EEEEvv.num_vgpr, 0
	.set _ZN7rocprim17ROCPRIM_400000_NS6detail44device_merge_sort_compile_time_verifier_archINS1_11comp_targetILNS1_3genE5ELNS1_11target_archE942ELNS1_3gpuE9ELNS1_3repE0EEES8_NS0_14default_configES9_NS1_37merge_sort_block_sort_config_selectorIyNS0_10empty_typeEEENS1_38merge_sort_block_merge_config_selectorIySB_EEEEvv.num_agpr, 0
	.set _ZN7rocprim17ROCPRIM_400000_NS6detail44device_merge_sort_compile_time_verifier_archINS1_11comp_targetILNS1_3genE5ELNS1_11target_archE942ELNS1_3gpuE9ELNS1_3repE0EEES8_NS0_14default_configES9_NS1_37merge_sort_block_sort_config_selectorIyNS0_10empty_typeEEENS1_38merge_sort_block_merge_config_selectorIySB_EEEEvv.numbered_sgpr, 0
	.set _ZN7rocprim17ROCPRIM_400000_NS6detail44device_merge_sort_compile_time_verifier_archINS1_11comp_targetILNS1_3genE5ELNS1_11target_archE942ELNS1_3gpuE9ELNS1_3repE0EEES8_NS0_14default_configES9_NS1_37merge_sort_block_sort_config_selectorIyNS0_10empty_typeEEENS1_38merge_sort_block_merge_config_selectorIySB_EEEEvv.num_named_barrier, 0
	.set _ZN7rocprim17ROCPRIM_400000_NS6detail44device_merge_sort_compile_time_verifier_archINS1_11comp_targetILNS1_3genE5ELNS1_11target_archE942ELNS1_3gpuE9ELNS1_3repE0EEES8_NS0_14default_configES9_NS1_37merge_sort_block_sort_config_selectorIyNS0_10empty_typeEEENS1_38merge_sort_block_merge_config_selectorIySB_EEEEvv.private_seg_size, 0
	.set _ZN7rocprim17ROCPRIM_400000_NS6detail44device_merge_sort_compile_time_verifier_archINS1_11comp_targetILNS1_3genE5ELNS1_11target_archE942ELNS1_3gpuE9ELNS1_3repE0EEES8_NS0_14default_configES9_NS1_37merge_sort_block_sort_config_selectorIyNS0_10empty_typeEEENS1_38merge_sort_block_merge_config_selectorIySB_EEEEvv.uses_vcc, 0
	.set _ZN7rocprim17ROCPRIM_400000_NS6detail44device_merge_sort_compile_time_verifier_archINS1_11comp_targetILNS1_3genE5ELNS1_11target_archE942ELNS1_3gpuE9ELNS1_3repE0EEES8_NS0_14default_configES9_NS1_37merge_sort_block_sort_config_selectorIyNS0_10empty_typeEEENS1_38merge_sort_block_merge_config_selectorIySB_EEEEvv.uses_flat_scratch, 0
	.set _ZN7rocprim17ROCPRIM_400000_NS6detail44device_merge_sort_compile_time_verifier_archINS1_11comp_targetILNS1_3genE5ELNS1_11target_archE942ELNS1_3gpuE9ELNS1_3repE0EEES8_NS0_14default_configES9_NS1_37merge_sort_block_sort_config_selectorIyNS0_10empty_typeEEENS1_38merge_sort_block_merge_config_selectorIySB_EEEEvv.has_dyn_sized_stack, 0
	.set _ZN7rocprim17ROCPRIM_400000_NS6detail44device_merge_sort_compile_time_verifier_archINS1_11comp_targetILNS1_3genE5ELNS1_11target_archE942ELNS1_3gpuE9ELNS1_3repE0EEES8_NS0_14default_configES9_NS1_37merge_sort_block_sort_config_selectorIyNS0_10empty_typeEEENS1_38merge_sort_block_merge_config_selectorIySB_EEEEvv.has_recursion, 0
	.set _ZN7rocprim17ROCPRIM_400000_NS6detail44device_merge_sort_compile_time_verifier_archINS1_11comp_targetILNS1_3genE5ELNS1_11target_archE942ELNS1_3gpuE9ELNS1_3repE0EEES8_NS0_14default_configES9_NS1_37merge_sort_block_sort_config_selectorIyNS0_10empty_typeEEENS1_38merge_sort_block_merge_config_selectorIySB_EEEEvv.has_indirect_call, 0
	.section	.AMDGPU.csdata,"",@progbits
; Kernel info:
; codeLenInByte = 4
; TotalNumSgprs: 0
; NumVgprs: 0
; ScratchSize: 0
; MemoryBound: 0
; FloatMode: 240
; IeeeMode: 1
; LDSByteSize: 0 bytes/workgroup (compile time only)
; SGPRBlocks: 0
; VGPRBlocks: 0
; NumSGPRsForWavesPerEU: 1
; NumVGPRsForWavesPerEU: 1
; Occupancy: 16
; WaveLimiterHint : 0
; COMPUTE_PGM_RSRC2:SCRATCH_EN: 0
; COMPUTE_PGM_RSRC2:USER_SGPR: 4
; COMPUTE_PGM_RSRC2:TRAP_HANDLER: 0
; COMPUTE_PGM_RSRC2:TGID_X_EN: 1
; COMPUTE_PGM_RSRC2:TGID_Y_EN: 0
; COMPUTE_PGM_RSRC2:TGID_Z_EN: 0
; COMPUTE_PGM_RSRC2:TIDIG_COMP_CNT: 0
	.section	.text._ZN7rocprim17ROCPRIM_400000_NS6detail44device_merge_sort_compile_time_verifier_archINS1_11comp_targetILNS1_3genE4ELNS1_11target_archE910ELNS1_3gpuE8ELNS1_3repE0EEES8_NS0_14default_configES9_NS1_37merge_sort_block_sort_config_selectorIyNS0_10empty_typeEEENS1_38merge_sort_block_merge_config_selectorIySB_EEEEvv,"axG",@progbits,_ZN7rocprim17ROCPRIM_400000_NS6detail44device_merge_sort_compile_time_verifier_archINS1_11comp_targetILNS1_3genE4ELNS1_11target_archE910ELNS1_3gpuE8ELNS1_3repE0EEES8_NS0_14default_configES9_NS1_37merge_sort_block_sort_config_selectorIyNS0_10empty_typeEEENS1_38merge_sort_block_merge_config_selectorIySB_EEEEvv,comdat
	.protected	_ZN7rocprim17ROCPRIM_400000_NS6detail44device_merge_sort_compile_time_verifier_archINS1_11comp_targetILNS1_3genE4ELNS1_11target_archE910ELNS1_3gpuE8ELNS1_3repE0EEES8_NS0_14default_configES9_NS1_37merge_sort_block_sort_config_selectorIyNS0_10empty_typeEEENS1_38merge_sort_block_merge_config_selectorIySB_EEEEvv ; -- Begin function _ZN7rocprim17ROCPRIM_400000_NS6detail44device_merge_sort_compile_time_verifier_archINS1_11comp_targetILNS1_3genE4ELNS1_11target_archE910ELNS1_3gpuE8ELNS1_3repE0EEES8_NS0_14default_configES9_NS1_37merge_sort_block_sort_config_selectorIyNS0_10empty_typeEEENS1_38merge_sort_block_merge_config_selectorIySB_EEEEvv
	.globl	_ZN7rocprim17ROCPRIM_400000_NS6detail44device_merge_sort_compile_time_verifier_archINS1_11comp_targetILNS1_3genE4ELNS1_11target_archE910ELNS1_3gpuE8ELNS1_3repE0EEES8_NS0_14default_configES9_NS1_37merge_sort_block_sort_config_selectorIyNS0_10empty_typeEEENS1_38merge_sort_block_merge_config_selectorIySB_EEEEvv
	.p2align	8
	.type	_ZN7rocprim17ROCPRIM_400000_NS6detail44device_merge_sort_compile_time_verifier_archINS1_11comp_targetILNS1_3genE4ELNS1_11target_archE910ELNS1_3gpuE8ELNS1_3repE0EEES8_NS0_14default_configES9_NS1_37merge_sort_block_sort_config_selectorIyNS0_10empty_typeEEENS1_38merge_sort_block_merge_config_selectorIySB_EEEEvv,@function
_ZN7rocprim17ROCPRIM_400000_NS6detail44device_merge_sort_compile_time_verifier_archINS1_11comp_targetILNS1_3genE4ELNS1_11target_archE910ELNS1_3gpuE8ELNS1_3repE0EEES8_NS0_14default_configES9_NS1_37merge_sort_block_sort_config_selectorIyNS0_10empty_typeEEENS1_38merge_sort_block_merge_config_selectorIySB_EEEEvv: ; @_ZN7rocprim17ROCPRIM_400000_NS6detail44device_merge_sort_compile_time_verifier_archINS1_11comp_targetILNS1_3genE4ELNS1_11target_archE910ELNS1_3gpuE8ELNS1_3repE0EEES8_NS0_14default_configES9_NS1_37merge_sort_block_sort_config_selectorIyNS0_10empty_typeEEENS1_38merge_sort_block_merge_config_selectorIySB_EEEEvv
; %bb.0:
	s_endpgm
	.section	.rodata,"a",@progbits
	.p2align	6, 0x0
	.amdhsa_kernel _ZN7rocprim17ROCPRIM_400000_NS6detail44device_merge_sort_compile_time_verifier_archINS1_11comp_targetILNS1_3genE4ELNS1_11target_archE910ELNS1_3gpuE8ELNS1_3repE0EEES8_NS0_14default_configES9_NS1_37merge_sort_block_sort_config_selectorIyNS0_10empty_typeEEENS1_38merge_sort_block_merge_config_selectorIySB_EEEEvv
		.amdhsa_group_segment_fixed_size 0
		.amdhsa_private_segment_fixed_size 0
		.amdhsa_kernarg_size 0
		.amdhsa_user_sgpr_count 4
		.amdhsa_user_sgpr_private_segment_buffer 1
		.amdhsa_user_sgpr_dispatch_ptr 0
		.amdhsa_user_sgpr_queue_ptr 0
		.amdhsa_user_sgpr_kernarg_segment_ptr 0
		.amdhsa_user_sgpr_dispatch_id 0
		.amdhsa_user_sgpr_flat_scratch_init 0
		.amdhsa_user_sgpr_private_segment_size 0
		.amdhsa_wavefront_size32 1
		.amdhsa_uses_dynamic_stack 0
		.amdhsa_system_sgpr_private_segment_wavefront_offset 0
		.amdhsa_system_sgpr_workgroup_id_x 1
		.amdhsa_system_sgpr_workgroup_id_y 0
		.amdhsa_system_sgpr_workgroup_id_z 0
		.amdhsa_system_sgpr_workgroup_info 0
		.amdhsa_system_vgpr_workitem_id 0
		.amdhsa_next_free_vgpr 1
		.amdhsa_next_free_sgpr 1
		.amdhsa_reserve_vcc 0
		.amdhsa_reserve_flat_scratch 0
		.amdhsa_float_round_mode_32 0
		.amdhsa_float_round_mode_16_64 0
		.amdhsa_float_denorm_mode_32 3
		.amdhsa_float_denorm_mode_16_64 3
		.amdhsa_dx10_clamp 1
		.amdhsa_ieee_mode 1
		.amdhsa_fp16_overflow 0
		.amdhsa_workgroup_processor_mode 1
		.amdhsa_memory_ordered 1
		.amdhsa_forward_progress 1
		.amdhsa_shared_vgpr_count 0
		.amdhsa_exception_fp_ieee_invalid_op 0
		.amdhsa_exception_fp_denorm_src 0
		.amdhsa_exception_fp_ieee_div_zero 0
		.amdhsa_exception_fp_ieee_overflow 0
		.amdhsa_exception_fp_ieee_underflow 0
		.amdhsa_exception_fp_ieee_inexact 0
		.amdhsa_exception_int_div_zero 0
	.end_amdhsa_kernel
	.section	.text._ZN7rocprim17ROCPRIM_400000_NS6detail44device_merge_sort_compile_time_verifier_archINS1_11comp_targetILNS1_3genE4ELNS1_11target_archE910ELNS1_3gpuE8ELNS1_3repE0EEES8_NS0_14default_configES9_NS1_37merge_sort_block_sort_config_selectorIyNS0_10empty_typeEEENS1_38merge_sort_block_merge_config_selectorIySB_EEEEvv,"axG",@progbits,_ZN7rocprim17ROCPRIM_400000_NS6detail44device_merge_sort_compile_time_verifier_archINS1_11comp_targetILNS1_3genE4ELNS1_11target_archE910ELNS1_3gpuE8ELNS1_3repE0EEES8_NS0_14default_configES9_NS1_37merge_sort_block_sort_config_selectorIyNS0_10empty_typeEEENS1_38merge_sort_block_merge_config_selectorIySB_EEEEvv,comdat
.Lfunc_end8:
	.size	_ZN7rocprim17ROCPRIM_400000_NS6detail44device_merge_sort_compile_time_verifier_archINS1_11comp_targetILNS1_3genE4ELNS1_11target_archE910ELNS1_3gpuE8ELNS1_3repE0EEES8_NS0_14default_configES9_NS1_37merge_sort_block_sort_config_selectorIyNS0_10empty_typeEEENS1_38merge_sort_block_merge_config_selectorIySB_EEEEvv, .Lfunc_end8-_ZN7rocprim17ROCPRIM_400000_NS6detail44device_merge_sort_compile_time_verifier_archINS1_11comp_targetILNS1_3genE4ELNS1_11target_archE910ELNS1_3gpuE8ELNS1_3repE0EEES8_NS0_14default_configES9_NS1_37merge_sort_block_sort_config_selectorIyNS0_10empty_typeEEENS1_38merge_sort_block_merge_config_selectorIySB_EEEEvv
                                        ; -- End function
	.set _ZN7rocprim17ROCPRIM_400000_NS6detail44device_merge_sort_compile_time_verifier_archINS1_11comp_targetILNS1_3genE4ELNS1_11target_archE910ELNS1_3gpuE8ELNS1_3repE0EEES8_NS0_14default_configES9_NS1_37merge_sort_block_sort_config_selectorIyNS0_10empty_typeEEENS1_38merge_sort_block_merge_config_selectorIySB_EEEEvv.num_vgpr, 0
	.set _ZN7rocprim17ROCPRIM_400000_NS6detail44device_merge_sort_compile_time_verifier_archINS1_11comp_targetILNS1_3genE4ELNS1_11target_archE910ELNS1_3gpuE8ELNS1_3repE0EEES8_NS0_14default_configES9_NS1_37merge_sort_block_sort_config_selectorIyNS0_10empty_typeEEENS1_38merge_sort_block_merge_config_selectorIySB_EEEEvv.num_agpr, 0
	.set _ZN7rocprim17ROCPRIM_400000_NS6detail44device_merge_sort_compile_time_verifier_archINS1_11comp_targetILNS1_3genE4ELNS1_11target_archE910ELNS1_3gpuE8ELNS1_3repE0EEES8_NS0_14default_configES9_NS1_37merge_sort_block_sort_config_selectorIyNS0_10empty_typeEEENS1_38merge_sort_block_merge_config_selectorIySB_EEEEvv.numbered_sgpr, 0
	.set _ZN7rocprim17ROCPRIM_400000_NS6detail44device_merge_sort_compile_time_verifier_archINS1_11comp_targetILNS1_3genE4ELNS1_11target_archE910ELNS1_3gpuE8ELNS1_3repE0EEES8_NS0_14default_configES9_NS1_37merge_sort_block_sort_config_selectorIyNS0_10empty_typeEEENS1_38merge_sort_block_merge_config_selectorIySB_EEEEvv.num_named_barrier, 0
	.set _ZN7rocprim17ROCPRIM_400000_NS6detail44device_merge_sort_compile_time_verifier_archINS1_11comp_targetILNS1_3genE4ELNS1_11target_archE910ELNS1_3gpuE8ELNS1_3repE0EEES8_NS0_14default_configES9_NS1_37merge_sort_block_sort_config_selectorIyNS0_10empty_typeEEENS1_38merge_sort_block_merge_config_selectorIySB_EEEEvv.private_seg_size, 0
	.set _ZN7rocprim17ROCPRIM_400000_NS6detail44device_merge_sort_compile_time_verifier_archINS1_11comp_targetILNS1_3genE4ELNS1_11target_archE910ELNS1_3gpuE8ELNS1_3repE0EEES8_NS0_14default_configES9_NS1_37merge_sort_block_sort_config_selectorIyNS0_10empty_typeEEENS1_38merge_sort_block_merge_config_selectorIySB_EEEEvv.uses_vcc, 0
	.set _ZN7rocprim17ROCPRIM_400000_NS6detail44device_merge_sort_compile_time_verifier_archINS1_11comp_targetILNS1_3genE4ELNS1_11target_archE910ELNS1_3gpuE8ELNS1_3repE0EEES8_NS0_14default_configES9_NS1_37merge_sort_block_sort_config_selectorIyNS0_10empty_typeEEENS1_38merge_sort_block_merge_config_selectorIySB_EEEEvv.uses_flat_scratch, 0
	.set _ZN7rocprim17ROCPRIM_400000_NS6detail44device_merge_sort_compile_time_verifier_archINS1_11comp_targetILNS1_3genE4ELNS1_11target_archE910ELNS1_3gpuE8ELNS1_3repE0EEES8_NS0_14default_configES9_NS1_37merge_sort_block_sort_config_selectorIyNS0_10empty_typeEEENS1_38merge_sort_block_merge_config_selectorIySB_EEEEvv.has_dyn_sized_stack, 0
	.set _ZN7rocprim17ROCPRIM_400000_NS6detail44device_merge_sort_compile_time_verifier_archINS1_11comp_targetILNS1_3genE4ELNS1_11target_archE910ELNS1_3gpuE8ELNS1_3repE0EEES8_NS0_14default_configES9_NS1_37merge_sort_block_sort_config_selectorIyNS0_10empty_typeEEENS1_38merge_sort_block_merge_config_selectorIySB_EEEEvv.has_recursion, 0
	.set _ZN7rocprim17ROCPRIM_400000_NS6detail44device_merge_sort_compile_time_verifier_archINS1_11comp_targetILNS1_3genE4ELNS1_11target_archE910ELNS1_3gpuE8ELNS1_3repE0EEES8_NS0_14default_configES9_NS1_37merge_sort_block_sort_config_selectorIyNS0_10empty_typeEEENS1_38merge_sort_block_merge_config_selectorIySB_EEEEvv.has_indirect_call, 0
	.section	.AMDGPU.csdata,"",@progbits
; Kernel info:
; codeLenInByte = 4
; TotalNumSgprs: 0
; NumVgprs: 0
; ScratchSize: 0
; MemoryBound: 0
; FloatMode: 240
; IeeeMode: 1
; LDSByteSize: 0 bytes/workgroup (compile time only)
; SGPRBlocks: 0
; VGPRBlocks: 0
; NumSGPRsForWavesPerEU: 1
; NumVGPRsForWavesPerEU: 1
; Occupancy: 16
; WaveLimiterHint : 0
; COMPUTE_PGM_RSRC2:SCRATCH_EN: 0
; COMPUTE_PGM_RSRC2:USER_SGPR: 4
; COMPUTE_PGM_RSRC2:TRAP_HANDLER: 0
; COMPUTE_PGM_RSRC2:TGID_X_EN: 1
; COMPUTE_PGM_RSRC2:TGID_Y_EN: 0
; COMPUTE_PGM_RSRC2:TGID_Z_EN: 0
; COMPUTE_PGM_RSRC2:TIDIG_COMP_CNT: 0
	.section	.text._ZN7rocprim17ROCPRIM_400000_NS6detail44device_merge_sort_compile_time_verifier_archINS1_11comp_targetILNS1_3genE3ELNS1_11target_archE908ELNS1_3gpuE7ELNS1_3repE0EEES8_NS0_14default_configES9_NS1_37merge_sort_block_sort_config_selectorIyNS0_10empty_typeEEENS1_38merge_sort_block_merge_config_selectorIySB_EEEEvv,"axG",@progbits,_ZN7rocprim17ROCPRIM_400000_NS6detail44device_merge_sort_compile_time_verifier_archINS1_11comp_targetILNS1_3genE3ELNS1_11target_archE908ELNS1_3gpuE7ELNS1_3repE0EEES8_NS0_14default_configES9_NS1_37merge_sort_block_sort_config_selectorIyNS0_10empty_typeEEENS1_38merge_sort_block_merge_config_selectorIySB_EEEEvv,comdat
	.protected	_ZN7rocprim17ROCPRIM_400000_NS6detail44device_merge_sort_compile_time_verifier_archINS1_11comp_targetILNS1_3genE3ELNS1_11target_archE908ELNS1_3gpuE7ELNS1_3repE0EEES8_NS0_14default_configES9_NS1_37merge_sort_block_sort_config_selectorIyNS0_10empty_typeEEENS1_38merge_sort_block_merge_config_selectorIySB_EEEEvv ; -- Begin function _ZN7rocprim17ROCPRIM_400000_NS6detail44device_merge_sort_compile_time_verifier_archINS1_11comp_targetILNS1_3genE3ELNS1_11target_archE908ELNS1_3gpuE7ELNS1_3repE0EEES8_NS0_14default_configES9_NS1_37merge_sort_block_sort_config_selectorIyNS0_10empty_typeEEENS1_38merge_sort_block_merge_config_selectorIySB_EEEEvv
	.globl	_ZN7rocprim17ROCPRIM_400000_NS6detail44device_merge_sort_compile_time_verifier_archINS1_11comp_targetILNS1_3genE3ELNS1_11target_archE908ELNS1_3gpuE7ELNS1_3repE0EEES8_NS0_14default_configES9_NS1_37merge_sort_block_sort_config_selectorIyNS0_10empty_typeEEENS1_38merge_sort_block_merge_config_selectorIySB_EEEEvv
	.p2align	8
	.type	_ZN7rocprim17ROCPRIM_400000_NS6detail44device_merge_sort_compile_time_verifier_archINS1_11comp_targetILNS1_3genE3ELNS1_11target_archE908ELNS1_3gpuE7ELNS1_3repE0EEES8_NS0_14default_configES9_NS1_37merge_sort_block_sort_config_selectorIyNS0_10empty_typeEEENS1_38merge_sort_block_merge_config_selectorIySB_EEEEvv,@function
_ZN7rocprim17ROCPRIM_400000_NS6detail44device_merge_sort_compile_time_verifier_archINS1_11comp_targetILNS1_3genE3ELNS1_11target_archE908ELNS1_3gpuE7ELNS1_3repE0EEES8_NS0_14default_configES9_NS1_37merge_sort_block_sort_config_selectorIyNS0_10empty_typeEEENS1_38merge_sort_block_merge_config_selectorIySB_EEEEvv: ; @_ZN7rocprim17ROCPRIM_400000_NS6detail44device_merge_sort_compile_time_verifier_archINS1_11comp_targetILNS1_3genE3ELNS1_11target_archE908ELNS1_3gpuE7ELNS1_3repE0EEES8_NS0_14default_configES9_NS1_37merge_sort_block_sort_config_selectorIyNS0_10empty_typeEEENS1_38merge_sort_block_merge_config_selectorIySB_EEEEvv
; %bb.0:
	s_endpgm
	.section	.rodata,"a",@progbits
	.p2align	6, 0x0
	.amdhsa_kernel _ZN7rocprim17ROCPRIM_400000_NS6detail44device_merge_sort_compile_time_verifier_archINS1_11comp_targetILNS1_3genE3ELNS1_11target_archE908ELNS1_3gpuE7ELNS1_3repE0EEES8_NS0_14default_configES9_NS1_37merge_sort_block_sort_config_selectorIyNS0_10empty_typeEEENS1_38merge_sort_block_merge_config_selectorIySB_EEEEvv
		.amdhsa_group_segment_fixed_size 0
		.amdhsa_private_segment_fixed_size 0
		.amdhsa_kernarg_size 0
		.amdhsa_user_sgpr_count 4
		.amdhsa_user_sgpr_private_segment_buffer 1
		.amdhsa_user_sgpr_dispatch_ptr 0
		.amdhsa_user_sgpr_queue_ptr 0
		.amdhsa_user_sgpr_kernarg_segment_ptr 0
		.amdhsa_user_sgpr_dispatch_id 0
		.amdhsa_user_sgpr_flat_scratch_init 0
		.amdhsa_user_sgpr_private_segment_size 0
		.amdhsa_wavefront_size32 1
		.amdhsa_uses_dynamic_stack 0
		.amdhsa_system_sgpr_private_segment_wavefront_offset 0
		.amdhsa_system_sgpr_workgroup_id_x 1
		.amdhsa_system_sgpr_workgroup_id_y 0
		.amdhsa_system_sgpr_workgroup_id_z 0
		.amdhsa_system_sgpr_workgroup_info 0
		.amdhsa_system_vgpr_workitem_id 0
		.amdhsa_next_free_vgpr 1
		.amdhsa_next_free_sgpr 1
		.amdhsa_reserve_vcc 0
		.amdhsa_reserve_flat_scratch 0
		.amdhsa_float_round_mode_32 0
		.amdhsa_float_round_mode_16_64 0
		.amdhsa_float_denorm_mode_32 3
		.amdhsa_float_denorm_mode_16_64 3
		.amdhsa_dx10_clamp 1
		.amdhsa_ieee_mode 1
		.amdhsa_fp16_overflow 0
		.amdhsa_workgroup_processor_mode 1
		.amdhsa_memory_ordered 1
		.amdhsa_forward_progress 1
		.amdhsa_shared_vgpr_count 0
		.amdhsa_exception_fp_ieee_invalid_op 0
		.amdhsa_exception_fp_denorm_src 0
		.amdhsa_exception_fp_ieee_div_zero 0
		.amdhsa_exception_fp_ieee_overflow 0
		.amdhsa_exception_fp_ieee_underflow 0
		.amdhsa_exception_fp_ieee_inexact 0
		.amdhsa_exception_int_div_zero 0
	.end_amdhsa_kernel
	.section	.text._ZN7rocprim17ROCPRIM_400000_NS6detail44device_merge_sort_compile_time_verifier_archINS1_11comp_targetILNS1_3genE3ELNS1_11target_archE908ELNS1_3gpuE7ELNS1_3repE0EEES8_NS0_14default_configES9_NS1_37merge_sort_block_sort_config_selectorIyNS0_10empty_typeEEENS1_38merge_sort_block_merge_config_selectorIySB_EEEEvv,"axG",@progbits,_ZN7rocprim17ROCPRIM_400000_NS6detail44device_merge_sort_compile_time_verifier_archINS1_11comp_targetILNS1_3genE3ELNS1_11target_archE908ELNS1_3gpuE7ELNS1_3repE0EEES8_NS0_14default_configES9_NS1_37merge_sort_block_sort_config_selectorIyNS0_10empty_typeEEENS1_38merge_sort_block_merge_config_selectorIySB_EEEEvv,comdat
.Lfunc_end9:
	.size	_ZN7rocprim17ROCPRIM_400000_NS6detail44device_merge_sort_compile_time_verifier_archINS1_11comp_targetILNS1_3genE3ELNS1_11target_archE908ELNS1_3gpuE7ELNS1_3repE0EEES8_NS0_14default_configES9_NS1_37merge_sort_block_sort_config_selectorIyNS0_10empty_typeEEENS1_38merge_sort_block_merge_config_selectorIySB_EEEEvv, .Lfunc_end9-_ZN7rocprim17ROCPRIM_400000_NS6detail44device_merge_sort_compile_time_verifier_archINS1_11comp_targetILNS1_3genE3ELNS1_11target_archE908ELNS1_3gpuE7ELNS1_3repE0EEES8_NS0_14default_configES9_NS1_37merge_sort_block_sort_config_selectorIyNS0_10empty_typeEEENS1_38merge_sort_block_merge_config_selectorIySB_EEEEvv
                                        ; -- End function
	.set _ZN7rocprim17ROCPRIM_400000_NS6detail44device_merge_sort_compile_time_verifier_archINS1_11comp_targetILNS1_3genE3ELNS1_11target_archE908ELNS1_3gpuE7ELNS1_3repE0EEES8_NS0_14default_configES9_NS1_37merge_sort_block_sort_config_selectorIyNS0_10empty_typeEEENS1_38merge_sort_block_merge_config_selectorIySB_EEEEvv.num_vgpr, 0
	.set _ZN7rocprim17ROCPRIM_400000_NS6detail44device_merge_sort_compile_time_verifier_archINS1_11comp_targetILNS1_3genE3ELNS1_11target_archE908ELNS1_3gpuE7ELNS1_3repE0EEES8_NS0_14default_configES9_NS1_37merge_sort_block_sort_config_selectorIyNS0_10empty_typeEEENS1_38merge_sort_block_merge_config_selectorIySB_EEEEvv.num_agpr, 0
	.set _ZN7rocprim17ROCPRIM_400000_NS6detail44device_merge_sort_compile_time_verifier_archINS1_11comp_targetILNS1_3genE3ELNS1_11target_archE908ELNS1_3gpuE7ELNS1_3repE0EEES8_NS0_14default_configES9_NS1_37merge_sort_block_sort_config_selectorIyNS0_10empty_typeEEENS1_38merge_sort_block_merge_config_selectorIySB_EEEEvv.numbered_sgpr, 0
	.set _ZN7rocprim17ROCPRIM_400000_NS6detail44device_merge_sort_compile_time_verifier_archINS1_11comp_targetILNS1_3genE3ELNS1_11target_archE908ELNS1_3gpuE7ELNS1_3repE0EEES8_NS0_14default_configES9_NS1_37merge_sort_block_sort_config_selectorIyNS0_10empty_typeEEENS1_38merge_sort_block_merge_config_selectorIySB_EEEEvv.num_named_barrier, 0
	.set _ZN7rocprim17ROCPRIM_400000_NS6detail44device_merge_sort_compile_time_verifier_archINS1_11comp_targetILNS1_3genE3ELNS1_11target_archE908ELNS1_3gpuE7ELNS1_3repE0EEES8_NS0_14default_configES9_NS1_37merge_sort_block_sort_config_selectorIyNS0_10empty_typeEEENS1_38merge_sort_block_merge_config_selectorIySB_EEEEvv.private_seg_size, 0
	.set _ZN7rocprim17ROCPRIM_400000_NS6detail44device_merge_sort_compile_time_verifier_archINS1_11comp_targetILNS1_3genE3ELNS1_11target_archE908ELNS1_3gpuE7ELNS1_3repE0EEES8_NS0_14default_configES9_NS1_37merge_sort_block_sort_config_selectorIyNS0_10empty_typeEEENS1_38merge_sort_block_merge_config_selectorIySB_EEEEvv.uses_vcc, 0
	.set _ZN7rocprim17ROCPRIM_400000_NS6detail44device_merge_sort_compile_time_verifier_archINS1_11comp_targetILNS1_3genE3ELNS1_11target_archE908ELNS1_3gpuE7ELNS1_3repE0EEES8_NS0_14default_configES9_NS1_37merge_sort_block_sort_config_selectorIyNS0_10empty_typeEEENS1_38merge_sort_block_merge_config_selectorIySB_EEEEvv.uses_flat_scratch, 0
	.set _ZN7rocprim17ROCPRIM_400000_NS6detail44device_merge_sort_compile_time_verifier_archINS1_11comp_targetILNS1_3genE3ELNS1_11target_archE908ELNS1_3gpuE7ELNS1_3repE0EEES8_NS0_14default_configES9_NS1_37merge_sort_block_sort_config_selectorIyNS0_10empty_typeEEENS1_38merge_sort_block_merge_config_selectorIySB_EEEEvv.has_dyn_sized_stack, 0
	.set _ZN7rocprim17ROCPRIM_400000_NS6detail44device_merge_sort_compile_time_verifier_archINS1_11comp_targetILNS1_3genE3ELNS1_11target_archE908ELNS1_3gpuE7ELNS1_3repE0EEES8_NS0_14default_configES9_NS1_37merge_sort_block_sort_config_selectorIyNS0_10empty_typeEEENS1_38merge_sort_block_merge_config_selectorIySB_EEEEvv.has_recursion, 0
	.set _ZN7rocprim17ROCPRIM_400000_NS6detail44device_merge_sort_compile_time_verifier_archINS1_11comp_targetILNS1_3genE3ELNS1_11target_archE908ELNS1_3gpuE7ELNS1_3repE0EEES8_NS0_14default_configES9_NS1_37merge_sort_block_sort_config_selectorIyNS0_10empty_typeEEENS1_38merge_sort_block_merge_config_selectorIySB_EEEEvv.has_indirect_call, 0
	.section	.AMDGPU.csdata,"",@progbits
; Kernel info:
; codeLenInByte = 4
; TotalNumSgprs: 0
; NumVgprs: 0
; ScratchSize: 0
; MemoryBound: 0
; FloatMode: 240
; IeeeMode: 1
; LDSByteSize: 0 bytes/workgroup (compile time only)
; SGPRBlocks: 0
; VGPRBlocks: 0
; NumSGPRsForWavesPerEU: 1
; NumVGPRsForWavesPerEU: 1
; Occupancy: 16
; WaveLimiterHint : 0
; COMPUTE_PGM_RSRC2:SCRATCH_EN: 0
; COMPUTE_PGM_RSRC2:USER_SGPR: 4
; COMPUTE_PGM_RSRC2:TRAP_HANDLER: 0
; COMPUTE_PGM_RSRC2:TGID_X_EN: 1
; COMPUTE_PGM_RSRC2:TGID_Y_EN: 0
; COMPUTE_PGM_RSRC2:TGID_Z_EN: 0
; COMPUTE_PGM_RSRC2:TIDIG_COMP_CNT: 0
	.section	.text._ZN7rocprim17ROCPRIM_400000_NS6detail44device_merge_sort_compile_time_verifier_archINS1_11comp_targetILNS1_3genE2ELNS1_11target_archE906ELNS1_3gpuE6ELNS1_3repE0EEES8_NS0_14default_configES9_NS1_37merge_sort_block_sort_config_selectorIyNS0_10empty_typeEEENS1_38merge_sort_block_merge_config_selectorIySB_EEEEvv,"axG",@progbits,_ZN7rocprim17ROCPRIM_400000_NS6detail44device_merge_sort_compile_time_verifier_archINS1_11comp_targetILNS1_3genE2ELNS1_11target_archE906ELNS1_3gpuE6ELNS1_3repE0EEES8_NS0_14default_configES9_NS1_37merge_sort_block_sort_config_selectorIyNS0_10empty_typeEEENS1_38merge_sort_block_merge_config_selectorIySB_EEEEvv,comdat
	.protected	_ZN7rocprim17ROCPRIM_400000_NS6detail44device_merge_sort_compile_time_verifier_archINS1_11comp_targetILNS1_3genE2ELNS1_11target_archE906ELNS1_3gpuE6ELNS1_3repE0EEES8_NS0_14default_configES9_NS1_37merge_sort_block_sort_config_selectorIyNS0_10empty_typeEEENS1_38merge_sort_block_merge_config_selectorIySB_EEEEvv ; -- Begin function _ZN7rocprim17ROCPRIM_400000_NS6detail44device_merge_sort_compile_time_verifier_archINS1_11comp_targetILNS1_3genE2ELNS1_11target_archE906ELNS1_3gpuE6ELNS1_3repE0EEES8_NS0_14default_configES9_NS1_37merge_sort_block_sort_config_selectorIyNS0_10empty_typeEEENS1_38merge_sort_block_merge_config_selectorIySB_EEEEvv
	.globl	_ZN7rocprim17ROCPRIM_400000_NS6detail44device_merge_sort_compile_time_verifier_archINS1_11comp_targetILNS1_3genE2ELNS1_11target_archE906ELNS1_3gpuE6ELNS1_3repE0EEES8_NS0_14default_configES9_NS1_37merge_sort_block_sort_config_selectorIyNS0_10empty_typeEEENS1_38merge_sort_block_merge_config_selectorIySB_EEEEvv
	.p2align	8
	.type	_ZN7rocprim17ROCPRIM_400000_NS6detail44device_merge_sort_compile_time_verifier_archINS1_11comp_targetILNS1_3genE2ELNS1_11target_archE906ELNS1_3gpuE6ELNS1_3repE0EEES8_NS0_14default_configES9_NS1_37merge_sort_block_sort_config_selectorIyNS0_10empty_typeEEENS1_38merge_sort_block_merge_config_selectorIySB_EEEEvv,@function
_ZN7rocprim17ROCPRIM_400000_NS6detail44device_merge_sort_compile_time_verifier_archINS1_11comp_targetILNS1_3genE2ELNS1_11target_archE906ELNS1_3gpuE6ELNS1_3repE0EEES8_NS0_14default_configES9_NS1_37merge_sort_block_sort_config_selectorIyNS0_10empty_typeEEENS1_38merge_sort_block_merge_config_selectorIySB_EEEEvv: ; @_ZN7rocprim17ROCPRIM_400000_NS6detail44device_merge_sort_compile_time_verifier_archINS1_11comp_targetILNS1_3genE2ELNS1_11target_archE906ELNS1_3gpuE6ELNS1_3repE0EEES8_NS0_14default_configES9_NS1_37merge_sort_block_sort_config_selectorIyNS0_10empty_typeEEENS1_38merge_sort_block_merge_config_selectorIySB_EEEEvv
; %bb.0:
	s_endpgm
	.section	.rodata,"a",@progbits
	.p2align	6, 0x0
	.amdhsa_kernel _ZN7rocprim17ROCPRIM_400000_NS6detail44device_merge_sort_compile_time_verifier_archINS1_11comp_targetILNS1_3genE2ELNS1_11target_archE906ELNS1_3gpuE6ELNS1_3repE0EEES8_NS0_14default_configES9_NS1_37merge_sort_block_sort_config_selectorIyNS0_10empty_typeEEENS1_38merge_sort_block_merge_config_selectorIySB_EEEEvv
		.amdhsa_group_segment_fixed_size 0
		.amdhsa_private_segment_fixed_size 0
		.amdhsa_kernarg_size 0
		.amdhsa_user_sgpr_count 4
		.amdhsa_user_sgpr_private_segment_buffer 1
		.amdhsa_user_sgpr_dispatch_ptr 0
		.amdhsa_user_sgpr_queue_ptr 0
		.amdhsa_user_sgpr_kernarg_segment_ptr 0
		.amdhsa_user_sgpr_dispatch_id 0
		.amdhsa_user_sgpr_flat_scratch_init 0
		.amdhsa_user_sgpr_private_segment_size 0
		.amdhsa_wavefront_size32 1
		.amdhsa_uses_dynamic_stack 0
		.amdhsa_system_sgpr_private_segment_wavefront_offset 0
		.amdhsa_system_sgpr_workgroup_id_x 1
		.amdhsa_system_sgpr_workgroup_id_y 0
		.amdhsa_system_sgpr_workgroup_id_z 0
		.amdhsa_system_sgpr_workgroup_info 0
		.amdhsa_system_vgpr_workitem_id 0
		.amdhsa_next_free_vgpr 1
		.amdhsa_next_free_sgpr 1
		.amdhsa_reserve_vcc 0
		.amdhsa_reserve_flat_scratch 0
		.amdhsa_float_round_mode_32 0
		.amdhsa_float_round_mode_16_64 0
		.amdhsa_float_denorm_mode_32 3
		.amdhsa_float_denorm_mode_16_64 3
		.amdhsa_dx10_clamp 1
		.amdhsa_ieee_mode 1
		.amdhsa_fp16_overflow 0
		.amdhsa_workgroup_processor_mode 1
		.amdhsa_memory_ordered 1
		.amdhsa_forward_progress 1
		.amdhsa_shared_vgpr_count 0
		.amdhsa_exception_fp_ieee_invalid_op 0
		.amdhsa_exception_fp_denorm_src 0
		.amdhsa_exception_fp_ieee_div_zero 0
		.amdhsa_exception_fp_ieee_overflow 0
		.amdhsa_exception_fp_ieee_underflow 0
		.amdhsa_exception_fp_ieee_inexact 0
		.amdhsa_exception_int_div_zero 0
	.end_amdhsa_kernel
	.section	.text._ZN7rocprim17ROCPRIM_400000_NS6detail44device_merge_sort_compile_time_verifier_archINS1_11comp_targetILNS1_3genE2ELNS1_11target_archE906ELNS1_3gpuE6ELNS1_3repE0EEES8_NS0_14default_configES9_NS1_37merge_sort_block_sort_config_selectorIyNS0_10empty_typeEEENS1_38merge_sort_block_merge_config_selectorIySB_EEEEvv,"axG",@progbits,_ZN7rocprim17ROCPRIM_400000_NS6detail44device_merge_sort_compile_time_verifier_archINS1_11comp_targetILNS1_3genE2ELNS1_11target_archE906ELNS1_3gpuE6ELNS1_3repE0EEES8_NS0_14default_configES9_NS1_37merge_sort_block_sort_config_selectorIyNS0_10empty_typeEEENS1_38merge_sort_block_merge_config_selectorIySB_EEEEvv,comdat
.Lfunc_end10:
	.size	_ZN7rocprim17ROCPRIM_400000_NS6detail44device_merge_sort_compile_time_verifier_archINS1_11comp_targetILNS1_3genE2ELNS1_11target_archE906ELNS1_3gpuE6ELNS1_3repE0EEES8_NS0_14default_configES9_NS1_37merge_sort_block_sort_config_selectorIyNS0_10empty_typeEEENS1_38merge_sort_block_merge_config_selectorIySB_EEEEvv, .Lfunc_end10-_ZN7rocprim17ROCPRIM_400000_NS6detail44device_merge_sort_compile_time_verifier_archINS1_11comp_targetILNS1_3genE2ELNS1_11target_archE906ELNS1_3gpuE6ELNS1_3repE0EEES8_NS0_14default_configES9_NS1_37merge_sort_block_sort_config_selectorIyNS0_10empty_typeEEENS1_38merge_sort_block_merge_config_selectorIySB_EEEEvv
                                        ; -- End function
	.set _ZN7rocprim17ROCPRIM_400000_NS6detail44device_merge_sort_compile_time_verifier_archINS1_11comp_targetILNS1_3genE2ELNS1_11target_archE906ELNS1_3gpuE6ELNS1_3repE0EEES8_NS0_14default_configES9_NS1_37merge_sort_block_sort_config_selectorIyNS0_10empty_typeEEENS1_38merge_sort_block_merge_config_selectorIySB_EEEEvv.num_vgpr, 0
	.set _ZN7rocprim17ROCPRIM_400000_NS6detail44device_merge_sort_compile_time_verifier_archINS1_11comp_targetILNS1_3genE2ELNS1_11target_archE906ELNS1_3gpuE6ELNS1_3repE0EEES8_NS0_14default_configES9_NS1_37merge_sort_block_sort_config_selectorIyNS0_10empty_typeEEENS1_38merge_sort_block_merge_config_selectorIySB_EEEEvv.num_agpr, 0
	.set _ZN7rocprim17ROCPRIM_400000_NS6detail44device_merge_sort_compile_time_verifier_archINS1_11comp_targetILNS1_3genE2ELNS1_11target_archE906ELNS1_3gpuE6ELNS1_3repE0EEES8_NS0_14default_configES9_NS1_37merge_sort_block_sort_config_selectorIyNS0_10empty_typeEEENS1_38merge_sort_block_merge_config_selectorIySB_EEEEvv.numbered_sgpr, 0
	.set _ZN7rocprim17ROCPRIM_400000_NS6detail44device_merge_sort_compile_time_verifier_archINS1_11comp_targetILNS1_3genE2ELNS1_11target_archE906ELNS1_3gpuE6ELNS1_3repE0EEES8_NS0_14default_configES9_NS1_37merge_sort_block_sort_config_selectorIyNS0_10empty_typeEEENS1_38merge_sort_block_merge_config_selectorIySB_EEEEvv.num_named_barrier, 0
	.set _ZN7rocprim17ROCPRIM_400000_NS6detail44device_merge_sort_compile_time_verifier_archINS1_11comp_targetILNS1_3genE2ELNS1_11target_archE906ELNS1_3gpuE6ELNS1_3repE0EEES8_NS0_14default_configES9_NS1_37merge_sort_block_sort_config_selectorIyNS0_10empty_typeEEENS1_38merge_sort_block_merge_config_selectorIySB_EEEEvv.private_seg_size, 0
	.set _ZN7rocprim17ROCPRIM_400000_NS6detail44device_merge_sort_compile_time_verifier_archINS1_11comp_targetILNS1_3genE2ELNS1_11target_archE906ELNS1_3gpuE6ELNS1_3repE0EEES8_NS0_14default_configES9_NS1_37merge_sort_block_sort_config_selectorIyNS0_10empty_typeEEENS1_38merge_sort_block_merge_config_selectorIySB_EEEEvv.uses_vcc, 0
	.set _ZN7rocprim17ROCPRIM_400000_NS6detail44device_merge_sort_compile_time_verifier_archINS1_11comp_targetILNS1_3genE2ELNS1_11target_archE906ELNS1_3gpuE6ELNS1_3repE0EEES8_NS0_14default_configES9_NS1_37merge_sort_block_sort_config_selectorIyNS0_10empty_typeEEENS1_38merge_sort_block_merge_config_selectorIySB_EEEEvv.uses_flat_scratch, 0
	.set _ZN7rocprim17ROCPRIM_400000_NS6detail44device_merge_sort_compile_time_verifier_archINS1_11comp_targetILNS1_3genE2ELNS1_11target_archE906ELNS1_3gpuE6ELNS1_3repE0EEES8_NS0_14default_configES9_NS1_37merge_sort_block_sort_config_selectorIyNS0_10empty_typeEEENS1_38merge_sort_block_merge_config_selectorIySB_EEEEvv.has_dyn_sized_stack, 0
	.set _ZN7rocprim17ROCPRIM_400000_NS6detail44device_merge_sort_compile_time_verifier_archINS1_11comp_targetILNS1_3genE2ELNS1_11target_archE906ELNS1_3gpuE6ELNS1_3repE0EEES8_NS0_14default_configES9_NS1_37merge_sort_block_sort_config_selectorIyNS0_10empty_typeEEENS1_38merge_sort_block_merge_config_selectorIySB_EEEEvv.has_recursion, 0
	.set _ZN7rocprim17ROCPRIM_400000_NS6detail44device_merge_sort_compile_time_verifier_archINS1_11comp_targetILNS1_3genE2ELNS1_11target_archE906ELNS1_3gpuE6ELNS1_3repE0EEES8_NS0_14default_configES9_NS1_37merge_sort_block_sort_config_selectorIyNS0_10empty_typeEEENS1_38merge_sort_block_merge_config_selectorIySB_EEEEvv.has_indirect_call, 0
	.section	.AMDGPU.csdata,"",@progbits
; Kernel info:
; codeLenInByte = 4
; TotalNumSgprs: 0
; NumVgprs: 0
; ScratchSize: 0
; MemoryBound: 0
; FloatMode: 240
; IeeeMode: 1
; LDSByteSize: 0 bytes/workgroup (compile time only)
; SGPRBlocks: 0
; VGPRBlocks: 0
; NumSGPRsForWavesPerEU: 1
; NumVGPRsForWavesPerEU: 1
; Occupancy: 16
; WaveLimiterHint : 0
; COMPUTE_PGM_RSRC2:SCRATCH_EN: 0
; COMPUTE_PGM_RSRC2:USER_SGPR: 4
; COMPUTE_PGM_RSRC2:TRAP_HANDLER: 0
; COMPUTE_PGM_RSRC2:TGID_X_EN: 1
; COMPUTE_PGM_RSRC2:TGID_Y_EN: 0
; COMPUTE_PGM_RSRC2:TGID_Z_EN: 0
; COMPUTE_PGM_RSRC2:TIDIG_COMP_CNT: 0
	.section	.text._ZN7rocprim17ROCPRIM_400000_NS6detail44device_merge_sort_compile_time_verifier_archINS1_11comp_targetILNS1_3genE10ELNS1_11target_archE1201ELNS1_3gpuE5ELNS1_3repE0EEES8_NS0_14default_configES9_NS1_37merge_sort_block_sort_config_selectorIyNS0_10empty_typeEEENS1_38merge_sort_block_merge_config_selectorIySB_EEEEvv,"axG",@progbits,_ZN7rocprim17ROCPRIM_400000_NS6detail44device_merge_sort_compile_time_verifier_archINS1_11comp_targetILNS1_3genE10ELNS1_11target_archE1201ELNS1_3gpuE5ELNS1_3repE0EEES8_NS0_14default_configES9_NS1_37merge_sort_block_sort_config_selectorIyNS0_10empty_typeEEENS1_38merge_sort_block_merge_config_selectorIySB_EEEEvv,comdat
	.protected	_ZN7rocprim17ROCPRIM_400000_NS6detail44device_merge_sort_compile_time_verifier_archINS1_11comp_targetILNS1_3genE10ELNS1_11target_archE1201ELNS1_3gpuE5ELNS1_3repE0EEES8_NS0_14default_configES9_NS1_37merge_sort_block_sort_config_selectorIyNS0_10empty_typeEEENS1_38merge_sort_block_merge_config_selectorIySB_EEEEvv ; -- Begin function _ZN7rocprim17ROCPRIM_400000_NS6detail44device_merge_sort_compile_time_verifier_archINS1_11comp_targetILNS1_3genE10ELNS1_11target_archE1201ELNS1_3gpuE5ELNS1_3repE0EEES8_NS0_14default_configES9_NS1_37merge_sort_block_sort_config_selectorIyNS0_10empty_typeEEENS1_38merge_sort_block_merge_config_selectorIySB_EEEEvv
	.globl	_ZN7rocprim17ROCPRIM_400000_NS6detail44device_merge_sort_compile_time_verifier_archINS1_11comp_targetILNS1_3genE10ELNS1_11target_archE1201ELNS1_3gpuE5ELNS1_3repE0EEES8_NS0_14default_configES9_NS1_37merge_sort_block_sort_config_selectorIyNS0_10empty_typeEEENS1_38merge_sort_block_merge_config_selectorIySB_EEEEvv
	.p2align	8
	.type	_ZN7rocprim17ROCPRIM_400000_NS6detail44device_merge_sort_compile_time_verifier_archINS1_11comp_targetILNS1_3genE10ELNS1_11target_archE1201ELNS1_3gpuE5ELNS1_3repE0EEES8_NS0_14default_configES9_NS1_37merge_sort_block_sort_config_selectorIyNS0_10empty_typeEEENS1_38merge_sort_block_merge_config_selectorIySB_EEEEvv,@function
_ZN7rocprim17ROCPRIM_400000_NS6detail44device_merge_sort_compile_time_verifier_archINS1_11comp_targetILNS1_3genE10ELNS1_11target_archE1201ELNS1_3gpuE5ELNS1_3repE0EEES8_NS0_14default_configES9_NS1_37merge_sort_block_sort_config_selectorIyNS0_10empty_typeEEENS1_38merge_sort_block_merge_config_selectorIySB_EEEEvv: ; @_ZN7rocprim17ROCPRIM_400000_NS6detail44device_merge_sort_compile_time_verifier_archINS1_11comp_targetILNS1_3genE10ELNS1_11target_archE1201ELNS1_3gpuE5ELNS1_3repE0EEES8_NS0_14default_configES9_NS1_37merge_sort_block_sort_config_selectorIyNS0_10empty_typeEEENS1_38merge_sort_block_merge_config_selectorIySB_EEEEvv
; %bb.0:
	s_endpgm
	.section	.rodata,"a",@progbits
	.p2align	6, 0x0
	.amdhsa_kernel _ZN7rocprim17ROCPRIM_400000_NS6detail44device_merge_sort_compile_time_verifier_archINS1_11comp_targetILNS1_3genE10ELNS1_11target_archE1201ELNS1_3gpuE5ELNS1_3repE0EEES8_NS0_14default_configES9_NS1_37merge_sort_block_sort_config_selectorIyNS0_10empty_typeEEENS1_38merge_sort_block_merge_config_selectorIySB_EEEEvv
		.amdhsa_group_segment_fixed_size 0
		.amdhsa_private_segment_fixed_size 0
		.amdhsa_kernarg_size 0
		.amdhsa_user_sgpr_count 4
		.amdhsa_user_sgpr_private_segment_buffer 1
		.amdhsa_user_sgpr_dispatch_ptr 0
		.amdhsa_user_sgpr_queue_ptr 0
		.amdhsa_user_sgpr_kernarg_segment_ptr 0
		.amdhsa_user_sgpr_dispatch_id 0
		.amdhsa_user_sgpr_flat_scratch_init 0
		.amdhsa_user_sgpr_private_segment_size 0
		.amdhsa_wavefront_size32 1
		.amdhsa_uses_dynamic_stack 0
		.amdhsa_system_sgpr_private_segment_wavefront_offset 0
		.amdhsa_system_sgpr_workgroup_id_x 1
		.amdhsa_system_sgpr_workgroup_id_y 0
		.amdhsa_system_sgpr_workgroup_id_z 0
		.amdhsa_system_sgpr_workgroup_info 0
		.amdhsa_system_vgpr_workitem_id 0
		.amdhsa_next_free_vgpr 1
		.amdhsa_next_free_sgpr 1
		.amdhsa_reserve_vcc 0
		.amdhsa_reserve_flat_scratch 0
		.amdhsa_float_round_mode_32 0
		.amdhsa_float_round_mode_16_64 0
		.amdhsa_float_denorm_mode_32 3
		.amdhsa_float_denorm_mode_16_64 3
		.amdhsa_dx10_clamp 1
		.amdhsa_ieee_mode 1
		.amdhsa_fp16_overflow 0
		.amdhsa_workgroup_processor_mode 1
		.amdhsa_memory_ordered 1
		.amdhsa_forward_progress 1
		.amdhsa_shared_vgpr_count 0
		.amdhsa_exception_fp_ieee_invalid_op 0
		.amdhsa_exception_fp_denorm_src 0
		.amdhsa_exception_fp_ieee_div_zero 0
		.amdhsa_exception_fp_ieee_overflow 0
		.amdhsa_exception_fp_ieee_underflow 0
		.amdhsa_exception_fp_ieee_inexact 0
		.amdhsa_exception_int_div_zero 0
	.end_amdhsa_kernel
	.section	.text._ZN7rocprim17ROCPRIM_400000_NS6detail44device_merge_sort_compile_time_verifier_archINS1_11comp_targetILNS1_3genE10ELNS1_11target_archE1201ELNS1_3gpuE5ELNS1_3repE0EEES8_NS0_14default_configES9_NS1_37merge_sort_block_sort_config_selectorIyNS0_10empty_typeEEENS1_38merge_sort_block_merge_config_selectorIySB_EEEEvv,"axG",@progbits,_ZN7rocprim17ROCPRIM_400000_NS6detail44device_merge_sort_compile_time_verifier_archINS1_11comp_targetILNS1_3genE10ELNS1_11target_archE1201ELNS1_3gpuE5ELNS1_3repE0EEES8_NS0_14default_configES9_NS1_37merge_sort_block_sort_config_selectorIyNS0_10empty_typeEEENS1_38merge_sort_block_merge_config_selectorIySB_EEEEvv,comdat
.Lfunc_end11:
	.size	_ZN7rocprim17ROCPRIM_400000_NS6detail44device_merge_sort_compile_time_verifier_archINS1_11comp_targetILNS1_3genE10ELNS1_11target_archE1201ELNS1_3gpuE5ELNS1_3repE0EEES8_NS0_14default_configES9_NS1_37merge_sort_block_sort_config_selectorIyNS0_10empty_typeEEENS1_38merge_sort_block_merge_config_selectorIySB_EEEEvv, .Lfunc_end11-_ZN7rocprim17ROCPRIM_400000_NS6detail44device_merge_sort_compile_time_verifier_archINS1_11comp_targetILNS1_3genE10ELNS1_11target_archE1201ELNS1_3gpuE5ELNS1_3repE0EEES8_NS0_14default_configES9_NS1_37merge_sort_block_sort_config_selectorIyNS0_10empty_typeEEENS1_38merge_sort_block_merge_config_selectorIySB_EEEEvv
                                        ; -- End function
	.set _ZN7rocprim17ROCPRIM_400000_NS6detail44device_merge_sort_compile_time_verifier_archINS1_11comp_targetILNS1_3genE10ELNS1_11target_archE1201ELNS1_3gpuE5ELNS1_3repE0EEES8_NS0_14default_configES9_NS1_37merge_sort_block_sort_config_selectorIyNS0_10empty_typeEEENS1_38merge_sort_block_merge_config_selectorIySB_EEEEvv.num_vgpr, 0
	.set _ZN7rocprim17ROCPRIM_400000_NS6detail44device_merge_sort_compile_time_verifier_archINS1_11comp_targetILNS1_3genE10ELNS1_11target_archE1201ELNS1_3gpuE5ELNS1_3repE0EEES8_NS0_14default_configES9_NS1_37merge_sort_block_sort_config_selectorIyNS0_10empty_typeEEENS1_38merge_sort_block_merge_config_selectorIySB_EEEEvv.num_agpr, 0
	.set _ZN7rocprim17ROCPRIM_400000_NS6detail44device_merge_sort_compile_time_verifier_archINS1_11comp_targetILNS1_3genE10ELNS1_11target_archE1201ELNS1_3gpuE5ELNS1_3repE0EEES8_NS0_14default_configES9_NS1_37merge_sort_block_sort_config_selectorIyNS0_10empty_typeEEENS1_38merge_sort_block_merge_config_selectorIySB_EEEEvv.numbered_sgpr, 0
	.set _ZN7rocprim17ROCPRIM_400000_NS6detail44device_merge_sort_compile_time_verifier_archINS1_11comp_targetILNS1_3genE10ELNS1_11target_archE1201ELNS1_3gpuE5ELNS1_3repE0EEES8_NS0_14default_configES9_NS1_37merge_sort_block_sort_config_selectorIyNS0_10empty_typeEEENS1_38merge_sort_block_merge_config_selectorIySB_EEEEvv.num_named_barrier, 0
	.set _ZN7rocprim17ROCPRIM_400000_NS6detail44device_merge_sort_compile_time_verifier_archINS1_11comp_targetILNS1_3genE10ELNS1_11target_archE1201ELNS1_3gpuE5ELNS1_3repE0EEES8_NS0_14default_configES9_NS1_37merge_sort_block_sort_config_selectorIyNS0_10empty_typeEEENS1_38merge_sort_block_merge_config_selectorIySB_EEEEvv.private_seg_size, 0
	.set _ZN7rocprim17ROCPRIM_400000_NS6detail44device_merge_sort_compile_time_verifier_archINS1_11comp_targetILNS1_3genE10ELNS1_11target_archE1201ELNS1_3gpuE5ELNS1_3repE0EEES8_NS0_14default_configES9_NS1_37merge_sort_block_sort_config_selectorIyNS0_10empty_typeEEENS1_38merge_sort_block_merge_config_selectorIySB_EEEEvv.uses_vcc, 0
	.set _ZN7rocprim17ROCPRIM_400000_NS6detail44device_merge_sort_compile_time_verifier_archINS1_11comp_targetILNS1_3genE10ELNS1_11target_archE1201ELNS1_3gpuE5ELNS1_3repE0EEES8_NS0_14default_configES9_NS1_37merge_sort_block_sort_config_selectorIyNS0_10empty_typeEEENS1_38merge_sort_block_merge_config_selectorIySB_EEEEvv.uses_flat_scratch, 0
	.set _ZN7rocprim17ROCPRIM_400000_NS6detail44device_merge_sort_compile_time_verifier_archINS1_11comp_targetILNS1_3genE10ELNS1_11target_archE1201ELNS1_3gpuE5ELNS1_3repE0EEES8_NS0_14default_configES9_NS1_37merge_sort_block_sort_config_selectorIyNS0_10empty_typeEEENS1_38merge_sort_block_merge_config_selectorIySB_EEEEvv.has_dyn_sized_stack, 0
	.set _ZN7rocprim17ROCPRIM_400000_NS6detail44device_merge_sort_compile_time_verifier_archINS1_11comp_targetILNS1_3genE10ELNS1_11target_archE1201ELNS1_3gpuE5ELNS1_3repE0EEES8_NS0_14default_configES9_NS1_37merge_sort_block_sort_config_selectorIyNS0_10empty_typeEEENS1_38merge_sort_block_merge_config_selectorIySB_EEEEvv.has_recursion, 0
	.set _ZN7rocprim17ROCPRIM_400000_NS6detail44device_merge_sort_compile_time_verifier_archINS1_11comp_targetILNS1_3genE10ELNS1_11target_archE1201ELNS1_3gpuE5ELNS1_3repE0EEES8_NS0_14default_configES9_NS1_37merge_sort_block_sort_config_selectorIyNS0_10empty_typeEEENS1_38merge_sort_block_merge_config_selectorIySB_EEEEvv.has_indirect_call, 0
	.section	.AMDGPU.csdata,"",@progbits
; Kernel info:
; codeLenInByte = 4
; TotalNumSgprs: 0
; NumVgprs: 0
; ScratchSize: 0
; MemoryBound: 0
; FloatMode: 240
; IeeeMode: 1
; LDSByteSize: 0 bytes/workgroup (compile time only)
; SGPRBlocks: 0
; VGPRBlocks: 0
; NumSGPRsForWavesPerEU: 1
; NumVGPRsForWavesPerEU: 1
; Occupancy: 16
; WaveLimiterHint : 0
; COMPUTE_PGM_RSRC2:SCRATCH_EN: 0
; COMPUTE_PGM_RSRC2:USER_SGPR: 4
; COMPUTE_PGM_RSRC2:TRAP_HANDLER: 0
; COMPUTE_PGM_RSRC2:TGID_X_EN: 1
; COMPUTE_PGM_RSRC2:TGID_Y_EN: 0
; COMPUTE_PGM_RSRC2:TGID_Z_EN: 0
; COMPUTE_PGM_RSRC2:TIDIG_COMP_CNT: 0
	.section	.text._ZN7rocprim17ROCPRIM_400000_NS6detail44device_merge_sort_compile_time_verifier_archINS1_11comp_targetILNS1_3genE10ELNS1_11target_archE1200ELNS1_3gpuE4ELNS1_3repE0EEENS3_ILS4_10ELS5_1201ELS6_5ELS7_0EEENS0_14default_configESA_NS1_37merge_sort_block_sort_config_selectorIyNS0_10empty_typeEEENS1_38merge_sort_block_merge_config_selectorIySC_EEEEvv,"axG",@progbits,_ZN7rocprim17ROCPRIM_400000_NS6detail44device_merge_sort_compile_time_verifier_archINS1_11comp_targetILNS1_3genE10ELNS1_11target_archE1200ELNS1_3gpuE4ELNS1_3repE0EEENS3_ILS4_10ELS5_1201ELS6_5ELS7_0EEENS0_14default_configESA_NS1_37merge_sort_block_sort_config_selectorIyNS0_10empty_typeEEENS1_38merge_sort_block_merge_config_selectorIySC_EEEEvv,comdat
	.protected	_ZN7rocprim17ROCPRIM_400000_NS6detail44device_merge_sort_compile_time_verifier_archINS1_11comp_targetILNS1_3genE10ELNS1_11target_archE1200ELNS1_3gpuE4ELNS1_3repE0EEENS3_ILS4_10ELS5_1201ELS6_5ELS7_0EEENS0_14default_configESA_NS1_37merge_sort_block_sort_config_selectorIyNS0_10empty_typeEEENS1_38merge_sort_block_merge_config_selectorIySC_EEEEvv ; -- Begin function _ZN7rocprim17ROCPRIM_400000_NS6detail44device_merge_sort_compile_time_verifier_archINS1_11comp_targetILNS1_3genE10ELNS1_11target_archE1200ELNS1_3gpuE4ELNS1_3repE0EEENS3_ILS4_10ELS5_1201ELS6_5ELS7_0EEENS0_14default_configESA_NS1_37merge_sort_block_sort_config_selectorIyNS0_10empty_typeEEENS1_38merge_sort_block_merge_config_selectorIySC_EEEEvv
	.globl	_ZN7rocprim17ROCPRIM_400000_NS6detail44device_merge_sort_compile_time_verifier_archINS1_11comp_targetILNS1_3genE10ELNS1_11target_archE1200ELNS1_3gpuE4ELNS1_3repE0EEENS3_ILS4_10ELS5_1201ELS6_5ELS7_0EEENS0_14default_configESA_NS1_37merge_sort_block_sort_config_selectorIyNS0_10empty_typeEEENS1_38merge_sort_block_merge_config_selectorIySC_EEEEvv
	.p2align	8
	.type	_ZN7rocprim17ROCPRIM_400000_NS6detail44device_merge_sort_compile_time_verifier_archINS1_11comp_targetILNS1_3genE10ELNS1_11target_archE1200ELNS1_3gpuE4ELNS1_3repE0EEENS3_ILS4_10ELS5_1201ELS6_5ELS7_0EEENS0_14default_configESA_NS1_37merge_sort_block_sort_config_selectorIyNS0_10empty_typeEEENS1_38merge_sort_block_merge_config_selectorIySC_EEEEvv,@function
_ZN7rocprim17ROCPRIM_400000_NS6detail44device_merge_sort_compile_time_verifier_archINS1_11comp_targetILNS1_3genE10ELNS1_11target_archE1200ELNS1_3gpuE4ELNS1_3repE0EEENS3_ILS4_10ELS5_1201ELS6_5ELS7_0EEENS0_14default_configESA_NS1_37merge_sort_block_sort_config_selectorIyNS0_10empty_typeEEENS1_38merge_sort_block_merge_config_selectorIySC_EEEEvv: ; @_ZN7rocprim17ROCPRIM_400000_NS6detail44device_merge_sort_compile_time_verifier_archINS1_11comp_targetILNS1_3genE10ELNS1_11target_archE1200ELNS1_3gpuE4ELNS1_3repE0EEENS3_ILS4_10ELS5_1201ELS6_5ELS7_0EEENS0_14default_configESA_NS1_37merge_sort_block_sort_config_selectorIyNS0_10empty_typeEEENS1_38merge_sort_block_merge_config_selectorIySC_EEEEvv
; %bb.0:
	s_endpgm
	.section	.rodata,"a",@progbits
	.p2align	6, 0x0
	.amdhsa_kernel _ZN7rocprim17ROCPRIM_400000_NS6detail44device_merge_sort_compile_time_verifier_archINS1_11comp_targetILNS1_3genE10ELNS1_11target_archE1200ELNS1_3gpuE4ELNS1_3repE0EEENS3_ILS4_10ELS5_1201ELS6_5ELS7_0EEENS0_14default_configESA_NS1_37merge_sort_block_sort_config_selectorIyNS0_10empty_typeEEENS1_38merge_sort_block_merge_config_selectorIySC_EEEEvv
		.amdhsa_group_segment_fixed_size 0
		.amdhsa_private_segment_fixed_size 0
		.amdhsa_kernarg_size 0
		.amdhsa_user_sgpr_count 4
		.amdhsa_user_sgpr_private_segment_buffer 1
		.amdhsa_user_sgpr_dispatch_ptr 0
		.amdhsa_user_sgpr_queue_ptr 0
		.amdhsa_user_sgpr_kernarg_segment_ptr 0
		.amdhsa_user_sgpr_dispatch_id 0
		.amdhsa_user_sgpr_flat_scratch_init 0
		.amdhsa_user_sgpr_private_segment_size 0
		.amdhsa_wavefront_size32 1
		.amdhsa_uses_dynamic_stack 0
		.amdhsa_system_sgpr_private_segment_wavefront_offset 0
		.amdhsa_system_sgpr_workgroup_id_x 1
		.amdhsa_system_sgpr_workgroup_id_y 0
		.amdhsa_system_sgpr_workgroup_id_z 0
		.amdhsa_system_sgpr_workgroup_info 0
		.amdhsa_system_vgpr_workitem_id 0
		.amdhsa_next_free_vgpr 1
		.amdhsa_next_free_sgpr 1
		.amdhsa_reserve_vcc 0
		.amdhsa_reserve_flat_scratch 0
		.amdhsa_float_round_mode_32 0
		.amdhsa_float_round_mode_16_64 0
		.amdhsa_float_denorm_mode_32 3
		.amdhsa_float_denorm_mode_16_64 3
		.amdhsa_dx10_clamp 1
		.amdhsa_ieee_mode 1
		.amdhsa_fp16_overflow 0
		.amdhsa_workgroup_processor_mode 1
		.amdhsa_memory_ordered 1
		.amdhsa_forward_progress 1
		.amdhsa_shared_vgpr_count 0
		.amdhsa_exception_fp_ieee_invalid_op 0
		.amdhsa_exception_fp_denorm_src 0
		.amdhsa_exception_fp_ieee_div_zero 0
		.amdhsa_exception_fp_ieee_overflow 0
		.amdhsa_exception_fp_ieee_underflow 0
		.amdhsa_exception_fp_ieee_inexact 0
		.amdhsa_exception_int_div_zero 0
	.end_amdhsa_kernel
	.section	.text._ZN7rocprim17ROCPRIM_400000_NS6detail44device_merge_sort_compile_time_verifier_archINS1_11comp_targetILNS1_3genE10ELNS1_11target_archE1200ELNS1_3gpuE4ELNS1_3repE0EEENS3_ILS4_10ELS5_1201ELS6_5ELS7_0EEENS0_14default_configESA_NS1_37merge_sort_block_sort_config_selectorIyNS0_10empty_typeEEENS1_38merge_sort_block_merge_config_selectorIySC_EEEEvv,"axG",@progbits,_ZN7rocprim17ROCPRIM_400000_NS6detail44device_merge_sort_compile_time_verifier_archINS1_11comp_targetILNS1_3genE10ELNS1_11target_archE1200ELNS1_3gpuE4ELNS1_3repE0EEENS3_ILS4_10ELS5_1201ELS6_5ELS7_0EEENS0_14default_configESA_NS1_37merge_sort_block_sort_config_selectorIyNS0_10empty_typeEEENS1_38merge_sort_block_merge_config_selectorIySC_EEEEvv,comdat
.Lfunc_end12:
	.size	_ZN7rocprim17ROCPRIM_400000_NS6detail44device_merge_sort_compile_time_verifier_archINS1_11comp_targetILNS1_3genE10ELNS1_11target_archE1200ELNS1_3gpuE4ELNS1_3repE0EEENS3_ILS4_10ELS5_1201ELS6_5ELS7_0EEENS0_14default_configESA_NS1_37merge_sort_block_sort_config_selectorIyNS0_10empty_typeEEENS1_38merge_sort_block_merge_config_selectorIySC_EEEEvv, .Lfunc_end12-_ZN7rocprim17ROCPRIM_400000_NS6detail44device_merge_sort_compile_time_verifier_archINS1_11comp_targetILNS1_3genE10ELNS1_11target_archE1200ELNS1_3gpuE4ELNS1_3repE0EEENS3_ILS4_10ELS5_1201ELS6_5ELS7_0EEENS0_14default_configESA_NS1_37merge_sort_block_sort_config_selectorIyNS0_10empty_typeEEENS1_38merge_sort_block_merge_config_selectorIySC_EEEEvv
                                        ; -- End function
	.set _ZN7rocprim17ROCPRIM_400000_NS6detail44device_merge_sort_compile_time_verifier_archINS1_11comp_targetILNS1_3genE10ELNS1_11target_archE1200ELNS1_3gpuE4ELNS1_3repE0EEENS3_ILS4_10ELS5_1201ELS6_5ELS7_0EEENS0_14default_configESA_NS1_37merge_sort_block_sort_config_selectorIyNS0_10empty_typeEEENS1_38merge_sort_block_merge_config_selectorIySC_EEEEvv.num_vgpr, 0
	.set _ZN7rocprim17ROCPRIM_400000_NS6detail44device_merge_sort_compile_time_verifier_archINS1_11comp_targetILNS1_3genE10ELNS1_11target_archE1200ELNS1_3gpuE4ELNS1_3repE0EEENS3_ILS4_10ELS5_1201ELS6_5ELS7_0EEENS0_14default_configESA_NS1_37merge_sort_block_sort_config_selectorIyNS0_10empty_typeEEENS1_38merge_sort_block_merge_config_selectorIySC_EEEEvv.num_agpr, 0
	.set _ZN7rocprim17ROCPRIM_400000_NS6detail44device_merge_sort_compile_time_verifier_archINS1_11comp_targetILNS1_3genE10ELNS1_11target_archE1200ELNS1_3gpuE4ELNS1_3repE0EEENS3_ILS4_10ELS5_1201ELS6_5ELS7_0EEENS0_14default_configESA_NS1_37merge_sort_block_sort_config_selectorIyNS0_10empty_typeEEENS1_38merge_sort_block_merge_config_selectorIySC_EEEEvv.numbered_sgpr, 0
	.set _ZN7rocprim17ROCPRIM_400000_NS6detail44device_merge_sort_compile_time_verifier_archINS1_11comp_targetILNS1_3genE10ELNS1_11target_archE1200ELNS1_3gpuE4ELNS1_3repE0EEENS3_ILS4_10ELS5_1201ELS6_5ELS7_0EEENS0_14default_configESA_NS1_37merge_sort_block_sort_config_selectorIyNS0_10empty_typeEEENS1_38merge_sort_block_merge_config_selectorIySC_EEEEvv.num_named_barrier, 0
	.set _ZN7rocprim17ROCPRIM_400000_NS6detail44device_merge_sort_compile_time_verifier_archINS1_11comp_targetILNS1_3genE10ELNS1_11target_archE1200ELNS1_3gpuE4ELNS1_3repE0EEENS3_ILS4_10ELS5_1201ELS6_5ELS7_0EEENS0_14default_configESA_NS1_37merge_sort_block_sort_config_selectorIyNS0_10empty_typeEEENS1_38merge_sort_block_merge_config_selectorIySC_EEEEvv.private_seg_size, 0
	.set _ZN7rocprim17ROCPRIM_400000_NS6detail44device_merge_sort_compile_time_verifier_archINS1_11comp_targetILNS1_3genE10ELNS1_11target_archE1200ELNS1_3gpuE4ELNS1_3repE0EEENS3_ILS4_10ELS5_1201ELS6_5ELS7_0EEENS0_14default_configESA_NS1_37merge_sort_block_sort_config_selectorIyNS0_10empty_typeEEENS1_38merge_sort_block_merge_config_selectorIySC_EEEEvv.uses_vcc, 0
	.set _ZN7rocprim17ROCPRIM_400000_NS6detail44device_merge_sort_compile_time_verifier_archINS1_11comp_targetILNS1_3genE10ELNS1_11target_archE1200ELNS1_3gpuE4ELNS1_3repE0EEENS3_ILS4_10ELS5_1201ELS6_5ELS7_0EEENS0_14default_configESA_NS1_37merge_sort_block_sort_config_selectorIyNS0_10empty_typeEEENS1_38merge_sort_block_merge_config_selectorIySC_EEEEvv.uses_flat_scratch, 0
	.set _ZN7rocprim17ROCPRIM_400000_NS6detail44device_merge_sort_compile_time_verifier_archINS1_11comp_targetILNS1_3genE10ELNS1_11target_archE1200ELNS1_3gpuE4ELNS1_3repE0EEENS3_ILS4_10ELS5_1201ELS6_5ELS7_0EEENS0_14default_configESA_NS1_37merge_sort_block_sort_config_selectorIyNS0_10empty_typeEEENS1_38merge_sort_block_merge_config_selectorIySC_EEEEvv.has_dyn_sized_stack, 0
	.set _ZN7rocprim17ROCPRIM_400000_NS6detail44device_merge_sort_compile_time_verifier_archINS1_11comp_targetILNS1_3genE10ELNS1_11target_archE1200ELNS1_3gpuE4ELNS1_3repE0EEENS3_ILS4_10ELS5_1201ELS6_5ELS7_0EEENS0_14default_configESA_NS1_37merge_sort_block_sort_config_selectorIyNS0_10empty_typeEEENS1_38merge_sort_block_merge_config_selectorIySC_EEEEvv.has_recursion, 0
	.set _ZN7rocprim17ROCPRIM_400000_NS6detail44device_merge_sort_compile_time_verifier_archINS1_11comp_targetILNS1_3genE10ELNS1_11target_archE1200ELNS1_3gpuE4ELNS1_3repE0EEENS3_ILS4_10ELS5_1201ELS6_5ELS7_0EEENS0_14default_configESA_NS1_37merge_sort_block_sort_config_selectorIyNS0_10empty_typeEEENS1_38merge_sort_block_merge_config_selectorIySC_EEEEvv.has_indirect_call, 0
	.section	.AMDGPU.csdata,"",@progbits
; Kernel info:
; codeLenInByte = 4
; TotalNumSgprs: 0
; NumVgprs: 0
; ScratchSize: 0
; MemoryBound: 0
; FloatMode: 240
; IeeeMode: 1
; LDSByteSize: 0 bytes/workgroup (compile time only)
; SGPRBlocks: 0
; VGPRBlocks: 0
; NumSGPRsForWavesPerEU: 1
; NumVGPRsForWavesPerEU: 1
; Occupancy: 16
; WaveLimiterHint : 0
; COMPUTE_PGM_RSRC2:SCRATCH_EN: 0
; COMPUTE_PGM_RSRC2:USER_SGPR: 4
; COMPUTE_PGM_RSRC2:TRAP_HANDLER: 0
; COMPUTE_PGM_RSRC2:TGID_X_EN: 1
; COMPUTE_PGM_RSRC2:TGID_Y_EN: 0
; COMPUTE_PGM_RSRC2:TGID_Z_EN: 0
; COMPUTE_PGM_RSRC2:TIDIG_COMP_CNT: 0
	.section	.text._ZN7rocprim17ROCPRIM_400000_NS6detail44device_merge_sort_compile_time_verifier_archINS1_11comp_targetILNS1_3genE9ELNS1_11target_archE1100ELNS1_3gpuE3ELNS1_3repE0EEES8_NS0_14default_configES9_NS1_37merge_sort_block_sort_config_selectorIyNS0_10empty_typeEEENS1_38merge_sort_block_merge_config_selectorIySB_EEEEvv,"axG",@progbits,_ZN7rocprim17ROCPRIM_400000_NS6detail44device_merge_sort_compile_time_verifier_archINS1_11comp_targetILNS1_3genE9ELNS1_11target_archE1100ELNS1_3gpuE3ELNS1_3repE0EEES8_NS0_14default_configES9_NS1_37merge_sort_block_sort_config_selectorIyNS0_10empty_typeEEENS1_38merge_sort_block_merge_config_selectorIySB_EEEEvv,comdat
	.protected	_ZN7rocprim17ROCPRIM_400000_NS6detail44device_merge_sort_compile_time_verifier_archINS1_11comp_targetILNS1_3genE9ELNS1_11target_archE1100ELNS1_3gpuE3ELNS1_3repE0EEES8_NS0_14default_configES9_NS1_37merge_sort_block_sort_config_selectorIyNS0_10empty_typeEEENS1_38merge_sort_block_merge_config_selectorIySB_EEEEvv ; -- Begin function _ZN7rocprim17ROCPRIM_400000_NS6detail44device_merge_sort_compile_time_verifier_archINS1_11comp_targetILNS1_3genE9ELNS1_11target_archE1100ELNS1_3gpuE3ELNS1_3repE0EEES8_NS0_14default_configES9_NS1_37merge_sort_block_sort_config_selectorIyNS0_10empty_typeEEENS1_38merge_sort_block_merge_config_selectorIySB_EEEEvv
	.globl	_ZN7rocprim17ROCPRIM_400000_NS6detail44device_merge_sort_compile_time_verifier_archINS1_11comp_targetILNS1_3genE9ELNS1_11target_archE1100ELNS1_3gpuE3ELNS1_3repE0EEES8_NS0_14default_configES9_NS1_37merge_sort_block_sort_config_selectorIyNS0_10empty_typeEEENS1_38merge_sort_block_merge_config_selectorIySB_EEEEvv
	.p2align	8
	.type	_ZN7rocprim17ROCPRIM_400000_NS6detail44device_merge_sort_compile_time_verifier_archINS1_11comp_targetILNS1_3genE9ELNS1_11target_archE1100ELNS1_3gpuE3ELNS1_3repE0EEES8_NS0_14default_configES9_NS1_37merge_sort_block_sort_config_selectorIyNS0_10empty_typeEEENS1_38merge_sort_block_merge_config_selectorIySB_EEEEvv,@function
_ZN7rocprim17ROCPRIM_400000_NS6detail44device_merge_sort_compile_time_verifier_archINS1_11comp_targetILNS1_3genE9ELNS1_11target_archE1100ELNS1_3gpuE3ELNS1_3repE0EEES8_NS0_14default_configES9_NS1_37merge_sort_block_sort_config_selectorIyNS0_10empty_typeEEENS1_38merge_sort_block_merge_config_selectorIySB_EEEEvv: ; @_ZN7rocprim17ROCPRIM_400000_NS6detail44device_merge_sort_compile_time_verifier_archINS1_11comp_targetILNS1_3genE9ELNS1_11target_archE1100ELNS1_3gpuE3ELNS1_3repE0EEES8_NS0_14default_configES9_NS1_37merge_sort_block_sort_config_selectorIyNS0_10empty_typeEEENS1_38merge_sort_block_merge_config_selectorIySB_EEEEvv
; %bb.0:
	s_endpgm
	.section	.rodata,"a",@progbits
	.p2align	6, 0x0
	.amdhsa_kernel _ZN7rocprim17ROCPRIM_400000_NS6detail44device_merge_sort_compile_time_verifier_archINS1_11comp_targetILNS1_3genE9ELNS1_11target_archE1100ELNS1_3gpuE3ELNS1_3repE0EEES8_NS0_14default_configES9_NS1_37merge_sort_block_sort_config_selectorIyNS0_10empty_typeEEENS1_38merge_sort_block_merge_config_selectorIySB_EEEEvv
		.amdhsa_group_segment_fixed_size 0
		.amdhsa_private_segment_fixed_size 0
		.amdhsa_kernarg_size 0
		.amdhsa_user_sgpr_count 4
		.amdhsa_user_sgpr_private_segment_buffer 1
		.amdhsa_user_sgpr_dispatch_ptr 0
		.amdhsa_user_sgpr_queue_ptr 0
		.amdhsa_user_sgpr_kernarg_segment_ptr 0
		.amdhsa_user_sgpr_dispatch_id 0
		.amdhsa_user_sgpr_flat_scratch_init 0
		.amdhsa_user_sgpr_private_segment_size 0
		.amdhsa_wavefront_size32 1
		.amdhsa_uses_dynamic_stack 0
		.amdhsa_system_sgpr_private_segment_wavefront_offset 0
		.amdhsa_system_sgpr_workgroup_id_x 1
		.amdhsa_system_sgpr_workgroup_id_y 0
		.amdhsa_system_sgpr_workgroup_id_z 0
		.amdhsa_system_sgpr_workgroup_info 0
		.amdhsa_system_vgpr_workitem_id 0
		.amdhsa_next_free_vgpr 1
		.amdhsa_next_free_sgpr 1
		.amdhsa_reserve_vcc 0
		.amdhsa_reserve_flat_scratch 0
		.amdhsa_float_round_mode_32 0
		.amdhsa_float_round_mode_16_64 0
		.amdhsa_float_denorm_mode_32 3
		.amdhsa_float_denorm_mode_16_64 3
		.amdhsa_dx10_clamp 1
		.amdhsa_ieee_mode 1
		.amdhsa_fp16_overflow 0
		.amdhsa_workgroup_processor_mode 1
		.amdhsa_memory_ordered 1
		.amdhsa_forward_progress 1
		.amdhsa_shared_vgpr_count 0
		.amdhsa_exception_fp_ieee_invalid_op 0
		.amdhsa_exception_fp_denorm_src 0
		.amdhsa_exception_fp_ieee_div_zero 0
		.amdhsa_exception_fp_ieee_overflow 0
		.amdhsa_exception_fp_ieee_underflow 0
		.amdhsa_exception_fp_ieee_inexact 0
		.amdhsa_exception_int_div_zero 0
	.end_amdhsa_kernel
	.section	.text._ZN7rocprim17ROCPRIM_400000_NS6detail44device_merge_sort_compile_time_verifier_archINS1_11comp_targetILNS1_3genE9ELNS1_11target_archE1100ELNS1_3gpuE3ELNS1_3repE0EEES8_NS0_14default_configES9_NS1_37merge_sort_block_sort_config_selectorIyNS0_10empty_typeEEENS1_38merge_sort_block_merge_config_selectorIySB_EEEEvv,"axG",@progbits,_ZN7rocprim17ROCPRIM_400000_NS6detail44device_merge_sort_compile_time_verifier_archINS1_11comp_targetILNS1_3genE9ELNS1_11target_archE1100ELNS1_3gpuE3ELNS1_3repE0EEES8_NS0_14default_configES9_NS1_37merge_sort_block_sort_config_selectorIyNS0_10empty_typeEEENS1_38merge_sort_block_merge_config_selectorIySB_EEEEvv,comdat
.Lfunc_end13:
	.size	_ZN7rocprim17ROCPRIM_400000_NS6detail44device_merge_sort_compile_time_verifier_archINS1_11comp_targetILNS1_3genE9ELNS1_11target_archE1100ELNS1_3gpuE3ELNS1_3repE0EEES8_NS0_14default_configES9_NS1_37merge_sort_block_sort_config_selectorIyNS0_10empty_typeEEENS1_38merge_sort_block_merge_config_selectorIySB_EEEEvv, .Lfunc_end13-_ZN7rocprim17ROCPRIM_400000_NS6detail44device_merge_sort_compile_time_verifier_archINS1_11comp_targetILNS1_3genE9ELNS1_11target_archE1100ELNS1_3gpuE3ELNS1_3repE0EEES8_NS0_14default_configES9_NS1_37merge_sort_block_sort_config_selectorIyNS0_10empty_typeEEENS1_38merge_sort_block_merge_config_selectorIySB_EEEEvv
                                        ; -- End function
	.set _ZN7rocprim17ROCPRIM_400000_NS6detail44device_merge_sort_compile_time_verifier_archINS1_11comp_targetILNS1_3genE9ELNS1_11target_archE1100ELNS1_3gpuE3ELNS1_3repE0EEES8_NS0_14default_configES9_NS1_37merge_sort_block_sort_config_selectorIyNS0_10empty_typeEEENS1_38merge_sort_block_merge_config_selectorIySB_EEEEvv.num_vgpr, 0
	.set _ZN7rocprim17ROCPRIM_400000_NS6detail44device_merge_sort_compile_time_verifier_archINS1_11comp_targetILNS1_3genE9ELNS1_11target_archE1100ELNS1_3gpuE3ELNS1_3repE0EEES8_NS0_14default_configES9_NS1_37merge_sort_block_sort_config_selectorIyNS0_10empty_typeEEENS1_38merge_sort_block_merge_config_selectorIySB_EEEEvv.num_agpr, 0
	.set _ZN7rocprim17ROCPRIM_400000_NS6detail44device_merge_sort_compile_time_verifier_archINS1_11comp_targetILNS1_3genE9ELNS1_11target_archE1100ELNS1_3gpuE3ELNS1_3repE0EEES8_NS0_14default_configES9_NS1_37merge_sort_block_sort_config_selectorIyNS0_10empty_typeEEENS1_38merge_sort_block_merge_config_selectorIySB_EEEEvv.numbered_sgpr, 0
	.set _ZN7rocprim17ROCPRIM_400000_NS6detail44device_merge_sort_compile_time_verifier_archINS1_11comp_targetILNS1_3genE9ELNS1_11target_archE1100ELNS1_3gpuE3ELNS1_3repE0EEES8_NS0_14default_configES9_NS1_37merge_sort_block_sort_config_selectorIyNS0_10empty_typeEEENS1_38merge_sort_block_merge_config_selectorIySB_EEEEvv.num_named_barrier, 0
	.set _ZN7rocprim17ROCPRIM_400000_NS6detail44device_merge_sort_compile_time_verifier_archINS1_11comp_targetILNS1_3genE9ELNS1_11target_archE1100ELNS1_3gpuE3ELNS1_3repE0EEES8_NS0_14default_configES9_NS1_37merge_sort_block_sort_config_selectorIyNS0_10empty_typeEEENS1_38merge_sort_block_merge_config_selectorIySB_EEEEvv.private_seg_size, 0
	.set _ZN7rocprim17ROCPRIM_400000_NS6detail44device_merge_sort_compile_time_verifier_archINS1_11comp_targetILNS1_3genE9ELNS1_11target_archE1100ELNS1_3gpuE3ELNS1_3repE0EEES8_NS0_14default_configES9_NS1_37merge_sort_block_sort_config_selectorIyNS0_10empty_typeEEENS1_38merge_sort_block_merge_config_selectorIySB_EEEEvv.uses_vcc, 0
	.set _ZN7rocprim17ROCPRIM_400000_NS6detail44device_merge_sort_compile_time_verifier_archINS1_11comp_targetILNS1_3genE9ELNS1_11target_archE1100ELNS1_3gpuE3ELNS1_3repE0EEES8_NS0_14default_configES9_NS1_37merge_sort_block_sort_config_selectorIyNS0_10empty_typeEEENS1_38merge_sort_block_merge_config_selectorIySB_EEEEvv.uses_flat_scratch, 0
	.set _ZN7rocprim17ROCPRIM_400000_NS6detail44device_merge_sort_compile_time_verifier_archINS1_11comp_targetILNS1_3genE9ELNS1_11target_archE1100ELNS1_3gpuE3ELNS1_3repE0EEES8_NS0_14default_configES9_NS1_37merge_sort_block_sort_config_selectorIyNS0_10empty_typeEEENS1_38merge_sort_block_merge_config_selectorIySB_EEEEvv.has_dyn_sized_stack, 0
	.set _ZN7rocprim17ROCPRIM_400000_NS6detail44device_merge_sort_compile_time_verifier_archINS1_11comp_targetILNS1_3genE9ELNS1_11target_archE1100ELNS1_3gpuE3ELNS1_3repE0EEES8_NS0_14default_configES9_NS1_37merge_sort_block_sort_config_selectorIyNS0_10empty_typeEEENS1_38merge_sort_block_merge_config_selectorIySB_EEEEvv.has_recursion, 0
	.set _ZN7rocprim17ROCPRIM_400000_NS6detail44device_merge_sort_compile_time_verifier_archINS1_11comp_targetILNS1_3genE9ELNS1_11target_archE1100ELNS1_3gpuE3ELNS1_3repE0EEES8_NS0_14default_configES9_NS1_37merge_sort_block_sort_config_selectorIyNS0_10empty_typeEEENS1_38merge_sort_block_merge_config_selectorIySB_EEEEvv.has_indirect_call, 0
	.section	.AMDGPU.csdata,"",@progbits
; Kernel info:
; codeLenInByte = 4
; TotalNumSgprs: 0
; NumVgprs: 0
; ScratchSize: 0
; MemoryBound: 0
; FloatMode: 240
; IeeeMode: 1
; LDSByteSize: 0 bytes/workgroup (compile time only)
; SGPRBlocks: 0
; VGPRBlocks: 0
; NumSGPRsForWavesPerEU: 1
; NumVGPRsForWavesPerEU: 1
; Occupancy: 16
; WaveLimiterHint : 0
; COMPUTE_PGM_RSRC2:SCRATCH_EN: 0
; COMPUTE_PGM_RSRC2:USER_SGPR: 4
; COMPUTE_PGM_RSRC2:TRAP_HANDLER: 0
; COMPUTE_PGM_RSRC2:TGID_X_EN: 1
; COMPUTE_PGM_RSRC2:TGID_Y_EN: 0
; COMPUTE_PGM_RSRC2:TGID_Z_EN: 0
; COMPUTE_PGM_RSRC2:TIDIG_COMP_CNT: 0
	.section	.text._ZN7rocprim17ROCPRIM_400000_NS6detail44device_merge_sort_compile_time_verifier_archINS1_11comp_targetILNS1_3genE8ELNS1_11target_archE1030ELNS1_3gpuE2ELNS1_3repE0EEES8_NS0_14default_configES9_NS1_37merge_sort_block_sort_config_selectorIyNS0_10empty_typeEEENS1_38merge_sort_block_merge_config_selectorIySB_EEEEvv,"axG",@progbits,_ZN7rocprim17ROCPRIM_400000_NS6detail44device_merge_sort_compile_time_verifier_archINS1_11comp_targetILNS1_3genE8ELNS1_11target_archE1030ELNS1_3gpuE2ELNS1_3repE0EEES8_NS0_14default_configES9_NS1_37merge_sort_block_sort_config_selectorIyNS0_10empty_typeEEENS1_38merge_sort_block_merge_config_selectorIySB_EEEEvv,comdat
	.protected	_ZN7rocprim17ROCPRIM_400000_NS6detail44device_merge_sort_compile_time_verifier_archINS1_11comp_targetILNS1_3genE8ELNS1_11target_archE1030ELNS1_3gpuE2ELNS1_3repE0EEES8_NS0_14default_configES9_NS1_37merge_sort_block_sort_config_selectorIyNS0_10empty_typeEEENS1_38merge_sort_block_merge_config_selectorIySB_EEEEvv ; -- Begin function _ZN7rocprim17ROCPRIM_400000_NS6detail44device_merge_sort_compile_time_verifier_archINS1_11comp_targetILNS1_3genE8ELNS1_11target_archE1030ELNS1_3gpuE2ELNS1_3repE0EEES8_NS0_14default_configES9_NS1_37merge_sort_block_sort_config_selectorIyNS0_10empty_typeEEENS1_38merge_sort_block_merge_config_selectorIySB_EEEEvv
	.globl	_ZN7rocprim17ROCPRIM_400000_NS6detail44device_merge_sort_compile_time_verifier_archINS1_11comp_targetILNS1_3genE8ELNS1_11target_archE1030ELNS1_3gpuE2ELNS1_3repE0EEES8_NS0_14default_configES9_NS1_37merge_sort_block_sort_config_selectorIyNS0_10empty_typeEEENS1_38merge_sort_block_merge_config_selectorIySB_EEEEvv
	.p2align	8
	.type	_ZN7rocprim17ROCPRIM_400000_NS6detail44device_merge_sort_compile_time_verifier_archINS1_11comp_targetILNS1_3genE8ELNS1_11target_archE1030ELNS1_3gpuE2ELNS1_3repE0EEES8_NS0_14default_configES9_NS1_37merge_sort_block_sort_config_selectorIyNS0_10empty_typeEEENS1_38merge_sort_block_merge_config_selectorIySB_EEEEvv,@function
_ZN7rocprim17ROCPRIM_400000_NS6detail44device_merge_sort_compile_time_verifier_archINS1_11comp_targetILNS1_3genE8ELNS1_11target_archE1030ELNS1_3gpuE2ELNS1_3repE0EEES8_NS0_14default_configES9_NS1_37merge_sort_block_sort_config_selectorIyNS0_10empty_typeEEENS1_38merge_sort_block_merge_config_selectorIySB_EEEEvv: ; @_ZN7rocprim17ROCPRIM_400000_NS6detail44device_merge_sort_compile_time_verifier_archINS1_11comp_targetILNS1_3genE8ELNS1_11target_archE1030ELNS1_3gpuE2ELNS1_3repE0EEES8_NS0_14default_configES9_NS1_37merge_sort_block_sort_config_selectorIyNS0_10empty_typeEEENS1_38merge_sort_block_merge_config_selectorIySB_EEEEvv
; %bb.0:
	s_endpgm
	.section	.rodata,"a",@progbits
	.p2align	6, 0x0
	.amdhsa_kernel _ZN7rocprim17ROCPRIM_400000_NS6detail44device_merge_sort_compile_time_verifier_archINS1_11comp_targetILNS1_3genE8ELNS1_11target_archE1030ELNS1_3gpuE2ELNS1_3repE0EEES8_NS0_14default_configES9_NS1_37merge_sort_block_sort_config_selectorIyNS0_10empty_typeEEENS1_38merge_sort_block_merge_config_selectorIySB_EEEEvv
		.amdhsa_group_segment_fixed_size 0
		.amdhsa_private_segment_fixed_size 0
		.amdhsa_kernarg_size 0
		.amdhsa_user_sgpr_count 4
		.amdhsa_user_sgpr_private_segment_buffer 1
		.amdhsa_user_sgpr_dispatch_ptr 0
		.amdhsa_user_sgpr_queue_ptr 0
		.amdhsa_user_sgpr_kernarg_segment_ptr 0
		.amdhsa_user_sgpr_dispatch_id 0
		.amdhsa_user_sgpr_flat_scratch_init 0
		.amdhsa_user_sgpr_private_segment_size 0
		.amdhsa_wavefront_size32 1
		.amdhsa_uses_dynamic_stack 0
		.amdhsa_system_sgpr_private_segment_wavefront_offset 0
		.amdhsa_system_sgpr_workgroup_id_x 1
		.amdhsa_system_sgpr_workgroup_id_y 0
		.amdhsa_system_sgpr_workgroup_id_z 0
		.amdhsa_system_sgpr_workgroup_info 0
		.amdhsa_system_vgpr_workitem_id 0
		.amdhsa_next_free_vgpr 1
		.amdhsa_next_free_sgpr 1
		.amdhsa_reserve_vcc 0
		.amdhsa_reserve_flat_scratch 0
		.amdhsa_float_round_mode_32 0
		.amdhsa_float_round_mode_16_64 0
		.amdhsa_float_denorm_mode_32 3
		.amdhsa_float_denorm_mode_16_64 3
		.amdhsa_dx10_clamp 1
		.amdhsa_ieee_mode 1
		.amdhsa_fp16_overflow 0
		.amdhsa_workgroup_processor_mode 1
		.amdhsa_memory_ordered 1
		.amdhsa_forward_progress 1
		.amdhsa_shared_vgpr_count 0
		.amdhsa_exception_fp_ieee_invalid_op 0
		.amdhsa_exception_fp_denorm_src 0
		.amdhsa_exception_fp_ieee_div_zero 0
		.amdhsa_exception_fp_ieee_overflow 0
		.amdhsa_exception_fp_ieee_underflow 0
		.amdhsa_exception_fp_ieee_inexact 0
		.amdhsa_exception_int_div_zero 0
	.end_amdhsa_kernel
	.section	.text._ZN7rocprim17ROCPRIM_400000_NS6detail44device_merge_sort_compile_time_verifier_archINS1_11comp_targetILNS1_3genE8ELNS1_11target_archE1030ELNS1_3gpuE2ELNS1_3repE0EEES8_NS0_14default_configES9_NS1_37merge_sort_block_sort_config_selectorIyNS0_10empty_typeEEENS1_38merge_sort_block_merge_config_selectorIySB_EEEEvv,"axG",@progbits,_ZN7rocprim17ROCPRIM_400000_NS6detail44device_merge_sort_compile_time_verifier_archINS1_11comp_targetILNS1_3genE8ELNS1_11target_archE1030ELNS1_3gpuE2ELNS1_3repE0EEES8_NS0_14default_configES9_NS1_37merge_sort_block_sort_config_selectorIyNS0_10empty_typeEEENS1_38merge_sort_block_merge_config_selectorIySB_EEEEvv,comdat
.Lfunc_end14:
	.size	_ZN7rocprim17ROCPRIM_400000_NS6detail44device_merge_sort_compile_time_verifier_archINS1_11comp_targetILNS1_3genE8ELNS1_11target_archE1030ELNS1_3gpuE2ELNS1_3repE0EEES8_NS0_14default_configES9_NS1_37merge_sort_block_sort_config_selectorIyNS0_10empty_typeEEENS1_38merge_sort_block_merge_config_selectorIySB_EEEEvv, .Lfunc_end14-_ZN7rocprim17ROCPRIM_400000_NS6detail44device_merge_sort_compile_time_verifier_archINS1_11comp_targetILNS1_3genE8ELNS1_11target_archE1030ELNS1_3gpuE2ELNS1_3repE0EEES8_NS0_14default_configES9_NS1_37merge_sort_block_sort_config_selectorIyNS0_10empty_typeEEENS1_38merge_sort_block_merge_config_selectorIySB_EEEEvv
                                        ; -- End function
	.set _ZN7rocprim17ROCPRIM_400000_NS6detail44device_merge_sort_compile_time_verifier_archINS1_11comp_targetILNS1_3genE8ELNS1_11target_archE1030ELNS1_3gpuE2ELNS1_3repE0EEES8_NS0_14default_configES9_NS1_37merge_sort_block_sort_config_selectorIyNS0_10empty_typeEEENS1_38merge_sort_block_merge_config_selectorIySB_EEEEvv.num_vgpr, 0
	.set _ZN7rocprim17ROCPRIM_400000_NS6detail44device_merge_sort_compile_time_verifier_archINS1_11comp_targetILNS1_3genE8ELNS1_11target_archE1030ELNS1_3gpuE2ELNS1_3repE0EEES8_NS0_14default_configES9_NS1_37merge_sort_block_sort_config_selectorIyNS0_10empty_typeEEENS1_38merge_sort_block_merge_config_selectorIySB_EEEEvv.num_agpr, 0
	.set _ZN7rocprim17ROCPRIM_400000_NS6detail44device_merge_sort_compile_time_verifier_archINS1_11comp_targetILNS1_3genE8ELNS1_11target_archE1030ELNS1_3gpuE2ELNS1_3repE0EEES8_NS0_14default_configES9_NS1_37merge_sort_block_sort_config_selectorIyNS0_10empty_typeEEENS1_38merge_sort_block_merge_config_selectorIySB_EEEEvv.numbered_sgpr, 0
	.set _ZN7rocprim17ROCPRIM_400000_NS6detail44device_merge_sort_compile_time_verifier_archINS1_11comp_targetILNS1_3genE8ELNS1_11target_archE1030ELNS1_3gpuE2ELNS1_3repE0EEES8_NS0_14default_configES9_NS1_37merge_sort_block_sort_config_selectorIyNS0_10empty_typeEEENS1_38merge_sort_block_merge_config_selectorIySB_EEEEvv.num_named_barrier, 0
	.set _ZN7rocprim17ROCPRIM_400000_NS6detail44device_merge_sort_compile_time_verifier_archINS1_11comp_targetILNS1_3genE8ELNS1_11target_archE1030ELNS1_3gpuE2ELNS1_3repE0EEES8_NS0_14default_configES9_NS1_37merge_sort_block_sort_config_selectorIyNS0_10empty_typeEEENS1_38merge_sort_block_merge_config_selectorIySB_EEEEvv.private_seg_size, 0
	.set _ZN7rocprim17ROCPRIM_400000_NS6detail44device_merge_sort_compile_time_verifier_archINS1_11comp_targetILNS1_3genE8ELNS1_11target_archE1030ELNS1_3gpuE2ELNS1_3repE0EEES8_NS0_14default_configES9_NS1_37merge_sort_block_sort_config_selectorIyNS0_10empty_typeEEENS1_38merge_sort_block_merge_config_selectorIySB_EEEEvv.uses_vcc, 0
	.set _ZN7rocprim17ROCPRIM_400000_NS6detail44device_merge_sort_compile_time_verifier_archINS1_11comp_targetILNS1_3genE8ELNS1_11target_archE1030ELNS1_3gpuE2ELNS1_3repE0EEES8_NS0_14default_configES9_NS1_37merge_sort_block_sort_config_selectorIyNS0_10empty_typeEEENS1_38merge_sort_block_merge_config_selectorIySB_EEEEvv.uses_flat_scratch, 0
	.set _ZN7rocprim17ROCPRIM_400000_NS6detail44device_merge_sort_compile_time_verifier_archINS1_11comp_targetILNS1_3genE8ELNS1_11target_archE1030ELNS1_3gpuE2ELNS1_3repE0EEES8_NS0_14default_configES9_NS1_37merge_sort_block_sort_config_selectorIyNS0_10empty_typeEEENS1_38merge_sort_block_merge_config_selectorIySB_EEEEvv.has_dyn_sized_stack, 0
	.set _ZN7rocprim17ROCPRIM_400000_NS6detail44device_merge_sort_compile_time_verifier_archINS1_11comp_targetILNS1_3genE8ELNS1_11target_archE1030ELNS1_3gpuE2ELNS1_3repE0EEES8_NS0_14default_configES9_NS1_37merge_sort_block_sort_config_selectorIyNS0_10empty_typeEEENS1_38merge_sort_block_merge_config_selectorIySB_EEEEvv.has_recursion, 0
	.set _ZN7rocprim17ROCPRIM_400000_NS6detail44device_merge_sort_compile_time_verifier_archINS1_11comp_targetILNS1_3genE8ELNS1_11target_archE1030ELNS1_3gpuE2ELNS1_3repE0EEES8_NS0_14default_configES9_NS1_37merge_sort_block_sort_config_selectorIyNS0_10empty_typeEEENS1_38merge_sort_block_merge_config_selectorIySB_EEEEvv.has_indirect_call, 0
	.section	.AMDGPU.csdata,"",@progbits
; Kernel info:
; codeLenInByte = 4
; TotalNumSgprs: 0
; NumVgprs: 0
; ScratchSize: 0
; MemoryBound: 0
; FloatMode: 240
; IeeeMode: 1
; LDSByteSize: 0 bytes/workgroup (compile time only)
; SGPRBlocks: 0
; VGPRBlocks: 0
; NumSGPRsForWavesPerEU: 1
; NumVGPRsForWavesPerEU: 1
; Occupancy: 16
; WaveLimiterHint : 0
; COMPUTE_PGM_RSRC2:SCRATCH_EN: 0
; COMPUTE_PGM_RSRC2:USER_SGPR: 4
; COMPUTE_PGM_RSRC2:TRAP_HANDLER: 0
; COMPUTE_PGM_RSRC2:TGID_X_EN: 1
; COMPUTE_PGM_RSRC2:TGID_Y_EN: 0
; COMPUTE_PGM_RSRC2:TGID_Z_EN: 0
; COMPUTE_PGM_RSRC2:TIDIG_COMP_CNT: 0
	.section	.text._ZN7rocprim17ROCPRIM_400000_NS6detail17trampoline_kernelINS0_14default_configENS1_37merge_sort_block_sort_config_selectorIyNS0_10empty_typeEEEZNS1_21merge_sort_block_sortIS3_N6thrust23THRUST_200600_302600_NS6detail15normal_iteratorINS9_10device_ptrIyEEEESE_PS5_SF_11less_div_10IyEEE10hipError_tT0_T1_T2_T3_mRjT4_P12ihipStream_tbNS1_7vsmem_tEEUlT_E_NS1_11comp_targetILNS1_3genE0ELNS1_11target_archE4294967295ELNS1_3gpuE0ELNS1_3repE0EEENS1_30default_config_static_selectorELNS0_4arch9wavefront6targetE0EEEvSK_,"axG",@progbits,_ZN7rocprim17ROCPRIM_400000_NS6detail17trampoline_kernelINS0_14default_configENS1_37merge_sort_block_sort_config_selectorIyNS0_10empty_typeEEEZNS1_21merge_sort_block_sortIS3_N6thrust23THRUST_200600_302600_NS6detail15normal_iteratorINS9_10device_ptrIyEEEESE_PS5_SF_11less_div_10IyEEE10hipError_tT0_T1_T2_T3_mRjT4_P12ihipStream_tbNS1_7vsmem_tEEUlT_E_NS1_11comp_targetILNS1_3genE0ELNS1_11target_archE4294967295ELNS1_3gpuE0ELNS1_3repE0EEENS1_30default_config_static_selectorELNS0_4arch9wavefront6targetE0EEEvSK_,comdat
	.protected	_ZN7rocprim17ROCPRIM_400000_NS6detail17trampoline_kernelINS0_14default_configENS1_37merge_sort_block_sort_config_selectorIyNS0_10empty_typeEEEZNS1_21merge_sort_block_sortIS3_N6thrust23THRUST_200600_302600_NS6detail15normal_iteratorINS9_10device_ptrIyEEEESE_PS5_SF_11less_div_10IyEEE10hipError_tT0_T1_T2_T3_mRjT4_P12ihipStream_tbNS1_7vsmem_tEEUlT_E_NS1_11comp_targetILNS1_3genE0ELNS1_11target_archE4294967295ELNS1_3gpuE0ELNS1_3repE0EEENS1_30default_config_static_selectorELNS0_4arch9wavefront6targetE0EEEvSK_ ; -- Begin function _ZN7rocprim17ROCPRIM_400000_NS6detail17trampoline_kernelINS0_14default_configENS1_37merge_sort_block_sort_config_selectorIyNS0_10empty_typeEEEZNS1_21merge_sort_block_sortIS3_N6thrust23THRUST_200600_302600_NS6detail15normal_iteratorINS9_10device_ptrIyEEEESE_PS5_SF_11less_div_10IyEEE10hipError_tT0_T1_T2_T3_mRjT4_P12ihipStream_tbNS1_7vsmem_tEEUlT_E_NS1_11comp_targetILNS1_3genE0ELNS1_11target_archE4294967295ELNS1_3gpuE0ELNS1_3repE0EEENS1_30default_config_static_selectorELNS0_4arch9wavefront6targetE0EEEvSK_
	.globl	_ZN7rocprim17ROCPRIM_400000_NS6detail17trampoline_kernelINS0_14default_configENS1_37merge_sort_block_sort_config_selectorIyNS0_10empty_typeEEEZNS1_21merge_sort_block_sortIS3_N6thrust23THRUST_200600_302600_NS6detail15normal_iteratorINS9_10device_ptrIyEEEESE_PS5_SF_11less_div_10IyEEE10hipError_tT0_T1_T2_T3_mRjT4_P12ihipStream_tbNS1_7vsmem_tEEUlT_E_NS1_11comp_targetILNS1_3genE0ELNS1_11target_archE4294967295ELNS1_3gpuE0ELNS1_3repE0EEENS1_30default_config_static_selectorELNS0_4arch9wavefront6targetE0EEEvSK_
	.p2align	8
	.type	_ZN7rocprim17ROCPRIM_400000_NS6detail17trampoline_kernelINS0_14default_configENS1_37merge_sort_block_sort_config_selectorIyNS0_10empty_typeEEEZNS1_21merge_sort_block_sortIS3_N6thrust23THRUST_200600_302600_NS6detail15normal_iteratorINS9_10device_ptrIyEEEESE_PS5_SF_11less_div_10IyEEE10hipError_tT0_T1_T2_T3_mRjT4_P12ihipStream_tbNS1_7vsmem_tEEUlT_E_NS1_11comp_targetILNS1_3genE0ELNS1_11target_archE4294967295ELNS1_3gpuE0ELNS1_3repE0EEENS1_30default_config_static_selectorELNS0_4arch9wavefront6targetE0EEEvSK_,@function
_ZN7rocprim17ROCPRIM_400000_NS6detail17trampoline_kernelINS0_14default_configENS1_37merge_sort_block_sort_config_selectorIyNS0_10empty_typeEEEZNS1_21merge_sort_block_sortIS3_N6thrust23THRUST_200600_302600_NS6detail15normal_iteratorINS9_10device_ptrIyEEEESE_PS5_SF_11less_div_10IyEEE10hipError_tT0_T1_T2_T3_mRjT4_P12ihipStream_tbNS1_7vsmem_tEEUlT_E_NS1_11comp_targetILNS1_3genE0ELNS1_11target_archE4294967295ELNS1_3gpuE0ELNS1_3repE0EEENS1_30default_config_static_selectorELNS0_4arch9wavefront6targetE0EEEvSK_: ; @_ZN7rocprim17ROCPRIM_400000_NS6detail17trampoline_kernelINS0_14default_configENS1_37merge_sort_block_sort_config_selectorIyNS0_10empty_typeEEEZNS1_21merge_sort_block_sortIS3_N6thrust23THRUST_200600_302600_NS6detail15normal_iteratorINS9_10device_ptrIyEEEESE_PS5_SF_11less_div_10IyEEE10hipError_tT0_T1_T2_T3_mRjT4_P12ihipStream_tbNS1_7vsmem_tEEUlT_E_NS1_11comp_targetILNS1_3genE0ELNS1_11target_archE4294967295ELNS1_3gpuE0ELNS1_3repE0EEENS1_30default_config_static_selectorELNS0_4arch9wavefront6targetE0EEEvSK_
; %bb.0:
	.section	.rodata,"a",@progbits
	.p2align	6, 0x0
	.amdhsa_kernel _ZN7rocprim17ROCPRIM_400000_NS6detail17trampoline_kernelINS0_14default_configENS1_37merge_sort_block_sort_config_selectorIyNS0_10empty_typeEEEZNS1_21merge_sort_block_sortIS3_N6thrust23THRUST_200600_302600_NS6detail15normal_iteratorINS9_10device_ptrIyEEEESE_PS5_SF_11less_div_10IyEEE10hipError_tT0_T1_T2_T3_mRjT4_P12ihipStream_tbNS1_7vsmem_tEEUlT_E_NS1_11comp_targetILNS1_3genE0ELNS1_11target_archE4294967295ELNS1_3gpuE0ELNS1_3repE0EEENS1_30default_config_static_selectorELNS0_4arch9wavefront6targetE0EEEvSK_
		.amdhsa_group_segment_fixed_size 0
		.amdhsa_private_segment_fixed_size 0
		.amdhsa_kernarg_size 64
		.amdhsa_user_sgpr_count 6
		.amdhsa_user_sgpr_private_segment_buffer 1
		.amdhsa_user_sgpr_dispatch_ptr 0
		.amdhsa_user_sgpr_queue_ptr 0
		.amdhsa_user_sgpr_kernarg_segment_ptr 1
		.amdhsa_user_sgpr_dispatch_id 0
		.amdhsa_user_sgpr_flat_scratch_init 0
		.amdhsa_user_sgpr_private_segment_size 0
		.amdhsa_wavefront_size32 1
		.amdhsa_uses_dynamic_stack 0
		.amdhsa_system_sgpr_private_segment_wavefront_offset 0
		.amdhsa_system_sgpr_workgroup_id_x 1
		.amdhsa_system_sgpr_workgroup_id_y 0
		.amdhsa_system_sgpr_workgroup_id_z 0
		.amdhsa_system_sgpr_workgroup_info 0
		.amdhsa_system_vgpr_workitem_id 0
		.amdhsa_next_free_vgpr 1
		.amdhsa_next_free_sgpr 1
		.amdhsa_reserve_vcc 0
		.amdhsa_reserve_flat_scratch 0
		.amdhsa_float_round_mode_32 0
		.amdhsa_float_round_mode_16_64 0
		.amdhsa_float_denorm_mode_32 3
		.amdhsa_float_denorm_mode_16_64 3
		.amdhsa_dx10_clamp 1
		.amdhsa_ieee_mode 1
		.amdhsa_fp16_overflow 0
		.amdhsa_workgroup_processor_mode 1
		.amdhsa_memory_ordered 1
		.amdhsa_forward_progress 1
		.amdhsa_shared_vgpr_count 0
		.amdhsa_exception_fp_ieee_invalid_op 0
		.amdhsa_exception_fp_denorm_src 0
		.amdhsa_exception_fp_ieee_div_zero 0
		.amdhsa_exception_fp_ieee_overflow 0
		.amdhsa_exception_fp_ieee_underflow 0
		.amdhsa_exception_fp_ieee_inexact 0
		.amdhsa_exception_int_div_zero 0
	.end_amdhsa_kernel
	.section	.text._ZN7rocprim17ROCPRIM_400000_NS6detail17trampoline_kernelINS0_14default_configENS1_37merge_sort_block_sort_config_selectorIyNS0_10empty_typeEEEZNS1_21merge_sort_block_sortIS3_N6thrust23THRUST_200600_302600_NS6detail15normal_iteratorINS9_10device_ptrIyEEEESE_PS5_SF_11less_div_10IyEEE10hipError_tT0_T1_T2_T3_mRjT4_P12ihipStream_tbNS1_7vsmem_tEEUlT_E_NS1_11comp_targetILNS1_3genE0ELNS1_11target_archE4294967295ELNS1_3gpuE0ELNS1_3repE0EEENS1_30default_config_static_selectorELNS0_4arch9wavefront6targetE0EEEvSK_,"axG",@progbits,_ZN7rocprim17ROCPRIM_400000_NS6detail17trampoline_kernelINS0_14default_configENS1_37merge_sort_block_sort_config_selectorIyNS0_10empty_typeEEEZNS1_21merge_sort_block_sortIS3_N6thrust23THRUST_200600_302600_NS6detail15normal_iteratorINS9_10device_ptrIyEEEESE_PS5_SF_11less_div_10IyEEE10hipError_tT0_T1_T2_T3_mRjT4_P12ihipStream_tbNS1_7vsmem_tEEUlT_E_NS1_11comp_targetILNS1_3genE0ELNS1_11target_archE4294967295ELNS1_3gpuE0ELNS1_3repE0EEENS1_30default_config_static_selectorELNS0_4arch9wavefront6targetE0EEEvSK_,comdat
.Lfunc_end15:
	.size	_ZN7rocprim17ROCPRIM_400000_NS6detail17trampoline_kernelINS0_14default_configENS1_37merge_sort_block_sort_config_selectorIyNS0_10empty_typeEEEZNS1_21merge_sort_block_sortIS3_N6thrust23THRUST_200600_302600_NS6detail15normal_iteratorINS9_10device_ptrIyEEEESE_PS5_SF_11less_div_10IyEEE10hipError_tT0_T1_T2_T3_mRjT4_P12ihipStream_tbNS1_7vsmem_tEEUlT_E_NS1_11comp_targetILNS1_3genE0ELNS1_11target_archE4294967295ELNS1_3gpuE0ELNS1_3repE0EEENS1_30default_config_static_selectorELNS0_4arch9wavefront6targetE0EEEvSK_, .Lfunc_end15-_ZN7rocprim17ROCPRIM_400000_NS6detail17trampoline_kernelINS0_14default_configENS1_37merge_sort_block_sort_config_selectorIyNS0_10empty_typeEEEZNS1_21merge_sort_block_sortIS3_N6thrust23THRUST_200600_302600_NS6detail15normal_iteratorINS9_10device_ptrIyEEEESE_PS5_SF_11less_div_10IyEEE10hipError_tT0_T1_T2_T3_mRjT4_P12ihipStream_tbNS1_7vsmem_tEEUlT_E_NS1_11comp_targetILNS1_3genE0ELNS1_11target_archE4294967295ELNS1_3gpuE0ELNS1_3repE0EEENS1_30default_config_static_selectorELNS0_4arch9wavefront6targetE0EEEvSK_
                                        ; -- End function
	.set _ZN7rocprim17ROCPRIM_400000_NS6detail17trampoline_kernelINS0_14default_configENS1_37merge_sort_block_sort_config_selectorIyNS0_10empty_typeEEEZNS1_21merge_sort_block_sortIS3_N6thrust23THRUST_200600_302600_NS6detail15normal_iteratorINS9_10device_ptrIyEEEESE_PS5_SF_11less_div_10IyEEE10hipError_tT0_T1_T2_T3_mRjT4_P12ihipStream_tbNS1_7vsmem_tEEUlT_E_NS1_11comp_targetILNS1_3genE0ELNS1_11target_archE4294967295ELNS1_3gpuE0ELNS1_3repE0EEENS1_30default_config_static_selectorELNS0_4arch9wavefront6targetE0EEEvSK_.num_vgpr, 0
	.set _ZN7rocprim17ROCPRIM_400000_NS6detail17trampoline_kernelINS0_14default_configENS1_37merge_sort_block_sort_config_selectorIyNS0_10empty_typeEEEZNS1_21merge_sort_block_sortIS3_N6thrust23THRUST_200600_302600_NS6detail15normal_iteratorINS9_10device_ptrIyEEEESE_PS5_SF_11less_div_10IyEEE10hipError_tT0_T1_T2_T3_mRjT4_P12ihipStream_tbNS1_7vsmem_tEEUlT_E_NS1_11comp_targetILNS1_3genE0ELNS1_11target_archE4294967295ELNS1_3gpuE0ELNS1_3repE0EEENS1_30default_config_static_selectorELNS0_4arch9wavefront6targetE0EEEvSK_.num_agpr, 0
	.set _ZN7rocprim17ROCPRIM_400000_NS6detail17trampoline_kernelINS0_14default_configENS1_37merge_sort_block_sort_config_selectorIyNS0_10empty_typeEEEZNS1_21merge_sort_block_sortIS3_N6thrust23THRUST_200600_302600_NS6detail15normal_iteratorINS9_10device_ptrIyEEEESE_PS5_SF_11less_div_10IyEEE10hipError_tT0_T1_T2_T3_mRjT4_P12ihipStream_tbNS1_7vsmem_tEEUlT_E_NS1_11comp_targetILNS1_3genE0ELNS1_11target_archE4294967295ELNS1_3gpuE0ELNS1_3repE0EEENS1_30default_config_static_selectorELNS0_4arch9wavefront6targetE0EEEvSK_.numbered_sgpr, 0
	.set _ZN7rocprim17ROCPRIM_400000_NS6detail17trampoline_kernelINS0_14default_configENS1_37merge_sort_block_sort_config_selectorIyNS0_10empty_typeEEEZNS1_21merge_sort_block_sortIS3_N6thrust23THRUST_200600_302600_NS6detail15normal_iteratorINS9_10device_ptrIyEEEESE_PS5_SF_11less_div_10IyEEE10hipError_tT0_T1_T2_T3_mRjT4_P12ihipStream_tbNS1_7vsmem_tEEUlT_E_NS1_11comp_targetILNS1_3genE0ELNS1_11target_archE4294967295ELNS1_3gpuE0ELNS1_3repE0EEENS1_30default_config_static_selectorELNS0_4arch9wavefront6targetE0EEEvSK_.num_named_barrier, 0
	.set _ZN7rocprim17ROCPRIM_400000_NS6detail17trampoline_kernelINS0_14default_configENS1_37merge_sort_block_sort_config_selectorIyNS0_10empty_typeEEEZNS1_21merge_sort_block_sortIS3_N6thrust23THRUST_200600_302600_NS6detail15normal_iteratorINS9_10device_ptrIyEEEESE_PS5_SF_11less_div_10IyEEE10hipError_tT0_T1_T2_T3_mRjT4_P12ihipStream_tbNS1_7vsmem_tEEUlT_E_NS1_11comp_targetILNS1_3genE0ELNS1_11target_archE4294967295ELNS1_3gpuE0ELNS1_3repE0EEENS1_30default_config_static_selectorELNS0_4arch9wavefront6targetE0EEEvSK_.private_seg_size, 0
	.set _ZN7rocprim17ROCPRIM_400000_NS6detail17trampoline_kernelINS0_14default_configENS1_37merge_sort_block_sort_config_selectorIyNS0_10empty_typeEEEZNS1_21merge_sort_block_sortIS3_N6thrust23THRUST_200600_302600_NS6detail15normal_iteratorINS9_10device_ptrIyEEEESE_PS5_SF_11less_div_10IyEEE10hipError_tT0_T1_T2_T3_mRjT4_P12ihipStream_tbNS1_7vsmem_tEEUlT_E_NS1_11comp_targetILNS1_3genE0ELNS1_11target_archE4294967295ELNS1_3gpuE0ELNS1_3repE0EEENS1_30default_config_static_selectorELNS0_4arch9wavefront6targetE0EEEvSK_.uses_vcc, 0
	.set _ZN7rocprim17ROCPRIM_400000_NS6detail17trampoline_kernelINS0_14default_configENS1_37merge_sort_block_sort_config_selectorIyNS0_10empty_typeEEEZNS1_21merge_sort_block_sortIS3_N6thrust23THRUST_200600_302600_NS6detail15normal_iteratorINS9_10device_ptrIyEEEESE_PS5_SF_11less_div_10IyEEE10hipError_tT0_T1_T2_T3_mRjT4_P12ihipStream_tbNS1_7vsmem_tEEUlT_E_NS1_11comp_targetILNS1_3genE0ELNS1_11target_archE4294967295ELNS1_3gpuE0ELNS1_3repE0EEENS1_30default_config_static_selectorELNS0_4arch9wavefront6targetE0EEEvSK_.uses_flat_scratch, 0
	.set _ZN7rocprim17ROCPRIM_400000_NS6detail17trampoline_kernelINS0_14default_configENS1_37merge_sort_block_sort_config_selectorIyNS0_10empty_typeEEEZNS1_21merge_sort_block_sortIS3_N6thrust23THRUST_200600_302600_NS6detail15normal_iteratorINS9_10device_ptrIyEEEESE_PS5_SF_11less_div_10IyEEE10hipError_tT0_T1_T2_T3_mRjT4_P12ihipStream_tbNS1_7vsmem_tEEUlT_E_NS1_11comp_targetILNS1_3genE0ELNS1_11target_archE4294967295ELNS1_3gpuE0ELNS1_3repE0EEENS1_30default_config_static_selectorELNS0_4arch9wavefront6targetE0EEEvSK_.has_dyn_sized_stack, 0
	.set _ZN7rocprim17ROCPRIM_400000_NS6detail17trampoline_kernelINS0_14default_configENS1_37merge_sort_block_sort_config_selectorIyNS0_10empty_typeEEEZNS1_21merge_sort_block_sortIS3_N6thrust23THRUST_200600_302600_NS6detail15normal_iteratorINS9_10device_ptrIyEEEESE_PS5_SF_11less_div_10IyEEE10hipError_tT0_T1_T2_T3_mRjT4_P12ihipStream_tbNS1_7vsmem_tEEUlT_E_NS1_11comp_targetILNS1_3genE0ELNS1_11target_archE4294967295ELNS1_3gpuE0ELNS1_3repE0EEENS1_30default_config_static_selectorELNS0_4arch9wavefront6targetE0EEEvSK_.has_recursion, 0
	.set _ZN7rocprim17ROCPRIM_400000_NS6detail17trampoline_kernelINS0_14default_configENS1_37merge_sort_block_sort_config_selectorIyNS0_10empty_typeEEEZNS1_21merge_sort_block_sortIS3_N6thrust23THRUST_200600_302600_NS6detail15normal_iteratorINS9_10device_ptrIyEEEESE_PS5_SF_11less_div_10IyEEE10hipError_tT0_T1_T2_T3_mRjT4_P12ihipStream_tbNS1_7vsmem_tEEUlT_E_NS1_11comp_targetILNS1_3genE0ELNS1_11target_archE4294967295ELNS1_3gpuE0ELNS1_3repE0EEENS1_30default_config_static_selectorELNS0_4arch9wavefront6targetE0EEEvSK_.has_indirect_call, 0
	.section	.AMDGPU.csdata,"",@progbits
; Kernel info:
; codeLenInByte = 0
; TotalNumSgprs: 0
; NumVgprs: 0
; ScratchSize: 0
; MemoryBound: 0
; FloatMode: 240
; IeeeMode: 1
; LDSByteSize: 0 bytes/workgroup (compile time only)
; SGPRBlocks: 0
; VGPRBlocks: 0
; NumSGPRsForWavesPerEU: 1
; NumVGPRsForWavesPerEU: 1
; Occupancy: 16
; WaveLimiterHint : 0
; COMPUTE_PGM_RSRC2:SCRATCH_EN: 0
; COMPUTE_PGM_RSRC2:USER_SGPR: 6
; COMPUTE_PGM_RSRC2:TRAP_HANDLER: 0
; COMPUTE_PGM_RSRC2:TGID_X_EN: 1
; COMPUTE_PGM_RSRC2:TGID_Y_EN: 0
; COMPUTE_PGM_RSRC2:TGID_Z_EN: 0
; COMPUTE_PGM_RSRC2:TIDIG_COMP_CNT: 0
	.section	.text._ZN7rocprim17ROCPRIM_400000_NS6detail17trampoline_kernelINS0_14default_configENS1_37merge_sort_block_sort_config_selectorIyNS0_10empty_typeEEEZNS1_21merge_sort_block_sortIS3_N6thrust23THRUST_200600_302600_NS6detail15normal_iteratorINS9_10device_ptrIyEEEESE_PS5_SF_11less_div_10IyEEE10hipError_tT0_T1_T2_T3_mRjT4_P12ihipStream_tbNS1_7vsmem_tEEUlT_E_NS1_11comp_targetILNS1_3genE5ELNS1_11target_archE942ELNS1_3gpuE9ELNS1_3repE0EEENS1_30default_config_static_selectorELNS0_4arch9wavefront6targetE0EEEvSK_,"axG",@progbits,_ZN7rocprim17ROCPRIM_400000_NS6detail17trampoline_kernelINS0_14default_configENS1_37merge_sort_block_sort_config_selectorIyNS0_10empty_typeEEEZNS1_21merge_sort_block_sortIS3_N6thrust23THRUST_200600_302600_NS6detail15normal_iteratorINS9_10device_ptrIyEEEESE_PS5_SF_11less_div_10IyEEE10hipError_tT0_T1_T2_T3_mRjT4_P12ihipStream_tbNS1_7vsmem_tEEUlT_E_NS1_11comp_targetILNS1_3genE5ELNS1_11target_archE942ELNS1_3gpuE9ELNS1_3repE0EEENS1_30default_config_static_selectorELNS0_4arch9wavefront6targetE0EEEvSK_,comdat
	.protected	_ZN7rocprim17ROCPRIM_400000_NS6detail17trampoline_kernelINS0_14default_configENS1_37merge_sort_block_sort_config_selectorIyNS0_10empty_typeEEEZNS1_21merge_sort_block_sortIS3_N6thrust23THRUST_200600_302600_NS6detail15normal_iteratorINS9_10device_ptrIyEEEESE_PS5_SF_11less_div_10IyEEE10hipError_tT0_T1_T2_T3_mRjT4_P12ihipStream_tbNS1_7vsmem_tEEUlT_E_NS1_11comp_targetILNS1_3genE5ELNS1_11target_archE942ELNS1_3gpuE9ELNS1_3repE0EEENS1_30default_config_static_selectorELNS0_4arch9wavefront6targetE0EEEvSK_ ; -- Begin function _ZN7rocprim17ROCPRIM_400000_NS6detail17trampoline_kernelINS0_14default_configENS1_37merge_sort_block_sort_config_selectorIyNS0_10empty_typeEEEZNS1_21merge_sort_block_sortIS3_N6thrust23THRUST_200600_302600_NS6detail15normal_iteratorINS9_10device_ptrIyEEEESE_PS5_SF_11less_div_10IyEEE10hipError_tT0_T1_T2_T3_mRjT4_P12ihipStream_tbNS1_7vsmem_tEEUlT_E_NS1_11comp_targetILNS1_3genE5ELNS1_11target_archE942ELNS1_3gpuE9ELNS1_3repE0EEENS1_30default_config_static_selectorELNS0_4arch9wavefront6targetE0EEEvSK_
	.globl	_ZN7rocprim17ROCPRIM_400000_NS6detail17trampoline_kernelINS0_14default_configENS1_37merge_sort_block_sort_config_selectorIyNS0_10empty_typeEEEZNS1_21merge_sort_block_sortIS3_N6thrust23THRUST_200600_302600_NS6detail15normal_iteratorINS9_10device_ptrIyEEEESE_PS5_SF_11less_div_10IyEEE10hipError_tT0_T1_T2_T3_mRjT4_P12ihipStream_tbNS1_7vsmem_tEEUlT_E_NS1_11comp_targetILNS1_3genE5ELNS1_11target_archE942ELNS1_3gpuE9ELNS1_3repE0EEENS1_30default_config_static_selectorELNS0_4arch9wavefront6targetE0EEEvSK_
	.p2align	8
	.type	_ZN7rocprim17ROCPRIM_400000_NS6detail17trampoline_kernelINS0_14default_configENS1_37merge_sort_block_sort_config_selectorIyNS0_10empty_typeEEEZNS1_21merge_sort_block_sortIS3_N6thrust23THRUST_200600_302600_NS6detail15normal_iteratorINS9_10device_ptrIyEEEESE_PS5_SF_11less_div_10IyEEE10hipError_tT0_T1_T2_T3_mRjT4_P12ihipStream_tbNS1_7vsmem_tEEUlT_E_NS1_11comp_targetILNS1_3genE5ELNS1_11target_archE942ELNS1_3gpuE9ELNS1_3repE0EEENS1_30default_config_static_selectorELNS0_4arch9wavefront6targetE0EEEvSK_,@function
_ZN7rocprim17ROCPRIM_400000_NS6detail17trampoline_kernelINS0_14default_configENS1_37merge_sort_block_sort_config_selectorIyNS0_10empty_typeEEEZNS1_21merge_sort_block_sortIS3_N6thrust23THRUST_200600_302600_NS6detail15normal_iteratorINS9_10device_ptrIyEEEESE_PS5_SF_11less_div_10IyEEE10hipError_tT0_T1_T2_T3_mRjT4_P12ihipStream_tbNS1_7vsmem_tEEUlT_E_NS1_11comp_targetILNS1_3genE5ELNS1_11target_archE942ELNS1_3gpuE9ELNS1_3repE0EEENS1_30default_config_static_selectorELNS0_4arch9wavefront6targetE0EEEvSK_: ; @_ZN7rocprim17ROCPRIM_400000_NS6detail17trampoline_kernelINS0_14default_configENS1_37merge_sort_block_sort_config_selectorIyNS0_10empty_typeEEEZNS1_21merge_sort_block_sortIS3_N6thrust23THRUST_200600_302600_NS6detail15normal_iteratorINS9_10device_ptrIyEEEESE_PS5_SF_11less_div_10IyEEE10hipError_tT0_T1_T2_T3_mRjT4_P12ihipStream_tbNS1_7vsmem_tEEUlT_E_NS1_11comp_targetILNS1_3genE5ELNS1_11target_archE942ELNS1_3gpuE9ELNS1_3repE0EEENS1_30default_config_static_selectorELNS0_4arch9wavefront6targetE0EEEvSK_
; %bb.0:
	.section	.rodata,"a",@progbits
	.p2align	6, 0x0
	.amdhsa_kernel _ZN7rocprim17ROCPRIM_400000_NS6detail17trampoline_kernelINS0_14default_configENS1_37merge_sort_block_sort_config_selectorIyNS0_10empty_typeEEEZNS1_21merge_sort_block_sortIS3_N6thrust23THRUST_200600_302600_NS6detail15normal_iteratorINS9_10device_ptrIyEEEESE_PS5_SF_11less_div_10IyEEE10hipError_tT0_T1_T2_T3_mRjT4_P12ihipStream_tbNS1_7vsmem_tEEUlT_E_NS1_11comp_targetILNS1_3genE5ELNS1_11target_archE942ELNS1_3gpuE9ELNS1_3repE0EEENS1_30default_config_static_selectorELNS0_4arch9wavefront6targetE0EEEvSK_
		.amdhsa_group_segment_fixed_size 0
		.amdhsa_private_segment_fixed_size 0
		.amdhsa_kernarg_size 64
		.amdhsa_user_sgpr_count 6
		.amdhsa_user_sgpr_private_segment_buffer 1
		.amdhsa_user_sgpr_dispatch_ptr 0
		.amdhsa_user_sgpr_queue_ptr 0
		.amdhsa_user_sgpr_kernarg_segment_ptr 1
		.amdhsa_user_sgpr_dispatch_id 0
		.amdhsa_user_sgpr_flat_scratch_init 0
		.amdhsa_user_sgpr_private_segment_size 0
		.amdhsa_wavefront_size32 1
		.amdhsa_uses_dynamic_stack 0
		.amdhsa_system_sgpr_private_segment_wavefront_offset 0
		.amdhsa_system_sgpr_workgroup_id_x 1
		.amdhsa_system_sgpr_workgroup_id_y 0
		.amdhsa_system_sgpr_workgroup_id_z 0
		.amdhsa_system_sgpr_workgroup_info 0
		.amdhsa_system_vgpr_workitem_id 0
		.amdhsa_next_free_vgpr 1
		.amdhsa_next_free_sgpr 1
		.amdhsa_reserve_vcc 0
		.amdhsa_reserve_flat_scratch 0
		.amdhsa_float_round_mode_32 0
		.amdhsa_float_round_mode_16_64 0
		.amdhsa_float_denorm_mode_32 3
		.amdhsa_float_denorm_mode_16_64 3
		.amdhsa_dx10_clamp 1
		.amdhsa_ieee_mode 1
		.amdhsa_fp16_overflow 0
		.amdhsa_workgroup_processor_mode 1
		.amdhsa_memory_ordered 1
		.amdhsa_forward_progress 1
		.amdhsa_shared_vgpr_count 0
		.amdhsa_exception_fp_ieee_invalid_op 0
		.amdhsa_exception_fp_denorm_src 0
		.amdhsa_exception_fp_ieee_div_zero 0
		.amdhsa_exception_fp_ieee_overflow 0
		.amdhsa_exception_fp_ieee_underflow 0
		.amdhsa_exception_fp_ieee_inexact 0
		.amdhsa_exception_int_div_zero 0
	.end_amdhsa_kernel
	.section	.text._ZN7rocprim17ROCPRIM_400000_NS6detail17trampoline_kernelINS0_14default_configENS1_37merge_sort_block_sort_config_selectorIyNS0_10empty_typeEEEZNS1_21merge_sort_block_sortIS3_N6thrust23THRUST_200600_302600_NS6detail15normal_iteratorINS9_10device_ptrIyEEEESE_PS5_SF_11less_div_10IyEEE10hipError_tT0_T1_T2_T3_mRjT4_P12ihipStream_tbNS1_7vsmem_tEEUlT_E_NS1_11comp_targetILNS1_3genE5ELNS1_11target_archE942ELNS1_3gpuE9ELNS1_3repE0EEENS1_30default_config_static_selectorELNS0_4arch9wavefront6targetE0EEEvSK_,"axG",@progbits,_ZN7rocprim17ROCPRIM_400000_NS6detail17trampoline_kernelINS0_14default_configENS1_37merge_sort_block_sort_config_selectorIyNS0_10empty_typeEEEZNS1_21merge_sort_block_sortIS3_N6thrust23THRUST_200600_302600_NS6detail15normal_iteratorINS9_10device_ptrIyEEEESE_PS5_SF_11less_div_10IyEEE10hipError_tT0_T1_T2_T3_mRjT4_P12ihipStream_tbNS1_7vsmem_tEEUlT_E_NS1_11comp_targetILNS1_3genE5ELNS1_11target_archE942ELNS1_3gpuE9ELNS1_3repE0EEENS1_30default_config_static_selectorELNS0_4arch9wavefront6targetE0EEEvSK_,comdat
.Lfunc_end16:
	.size	_ZN7rocprim17ROCPRIM_400000_NS6detail17trampoline_kernelINS0_14default_configENS1_37merge_sort_block_sort_config_selectorIyNS0_10empty_typeEEEZNS1_21merge_sort_block_sortIS3_N6thrust23THRUST_200600_302600_NS6detail15normal_iteratorINS9_10device_ptrIyEEEESE_PS5_SF_11less_div_10IyEEE10hipError_tT0_T1_T2_T3_mRjT4_P12ihipStream_tbNS1_7vsmem_tEEUlT_E_NS1_11comp_targetILNS1_3genE5ELNS1_11target_archE942ELNS1_3gpuE9ELNS1_3repE0EEENS1_30default_config_static_selectorELNS0_4arch9wavefront6targetE0EEEvSK_, .Lfunc_end16-_ZN7rocprim17ROCPRIM_400000_NS6detail17trampoline_kernelINS0_14default_configENS1_37merge_sort_block_sort_config_selectorIyNS0_10empty_typeEEEZNS1_21merge_sort_block_sortIS3_N6thrust23THRUST_200600_302600_NS6detail15normal_iteratorINS9_10device_ptrIyEEEESE_PS5_SF_11less_div_10IyEEE10hipError_tT0_T1_T2_T3_mRjT4_P12ihipStream_tbNS1_7vsmem_tEEUlT_E_NS1_11comp_targetILNS1_3genE5ELNS1_11target_archE942ELNS1_3gpuE9ELNS1_3repE0EEENS1_30default_config_static_selectorELNS0_4arch9wavefront6targetE0EEEvSK_
                                        ; -- End function
	.set _ZN7rocprim17ROCPRIM_400000_NS6detail17trampoline_kernelINS0_14default_configENS1_37merge_sort_block_sort_config_selectorIyNS0_10empty_typeEEEZNS1_21merge_sort_block_sortIS3_N6thrust23THRUST_200600_302600_NS6detail15normal_iteratorINS9_10device_ptrIyEEEESE_PS5_SF_11less_div_10IyEEE10hipError_tT0_T1_T2_T3_mRjT4_P12ihipStream_tbNS1_7vsmem_tEEUlT_E_NS1_11comp_targetILNS1_3genE5ELNS1_11target_archE942ELNS1_3gpuE9ELNS1_3repE0EEENS1_30default_config_static_selectorELNS0_4arch9wavefront6targetE0EEEvSK_.num_vgpr, 0
	.set _ZN7rocprim17ROCPRIM_400000_NS6detail17trampoline_kernelINS0_14default_configENS1_37merge_sort_block_sort_config_selectorIyNS0_10empty_typeEEEZNS1_21merge_sort_block_sortIS3_N6thrust23THRUST_200600_302600_NS6detail15normal_iteratorINS9_10device_ptrIyEEEESE_PS5_SF_11less_div_10IyEEE10hipError_tT0_T1_T2_T3_mRjT4_P12ihipStream_tbNS1_7vsmem_tEEUlT_E_NS1_11comp_targetILNS1_3genE5ELNS1_11target_archE942ELNS1_3gpuE9ELNS1_3repE0EEENS1_30default_config_static_selectorELNS0_4arch9wavefront6targetE0EEEvSK_.num_agpr, 0
	.set _ZN7rocprim17ROCPRIM_400000_NS6detail17trampoline_kernelINS0_14default_configENS1_37merge_sort_block_sort_config_selectorIyNS0_10empty_typeEEEZNS1_21merge_sort_block_sortIS3_N6thrust23THRUST_200600_302600_NS6detail15normal_iteratorINS9_10device_ptrIyEEEESE_PS5_SF_11less_div_10IyEEE10hipError_tT0_T1_T2_T3_mRjT4_P12ihipStream_tbNS1_7vsmem_tEEUlT_E_NS1_11comp_targetILNS1_3genE5ELNS1_11target_archE942ELNS1_3gpuE9ELNS1_3repE0EEENS1_30default_config_static_selectorELNS0_4arch9wavefront6targetE0EEEvSK_.numbered_sgpr, 0
	.set _ZN7rocprim17ROCPRIM_400000_NS6detail17trampoline_kernelINS0_14default_configENS1_37merge_sort_block_sort_config_selectorIyNS0_10empty_typeEEEZNS1_21merge_sort_block_sortIS3_N6thrust23THRUST_200600_302600_NS6detail15normal_iteratorINS9_10device_ptrIyEEEESE_PS5_SF_11less_div_10IyEEE10hipError_tT0_T1_T2_T3_mRjT4_P12ihipStream_tbNS1_7vsmem_tEEUlT_E_NS1_11comp_targetILNS1_3genE5ELNS1_11target_archE942ELNS1_3gpuE9ELNS1_3repE0EEENS1_30default_config_static_selectorELNS0_4arch9wavefront6targetE0EEEvSK_.num_named_barrier, 0
	.set _ZN7rocprim17ROCPRIM_400000_NS6detail17trampoline_kernelINS0_14default_configENS1_37merge_sort_block_sort_config_selectorIyNS0_10empty_typeEEEZNS1_21merge_sort_block_sortIS3_N6thrust23THRUST_200600_302600_NS6detail15normal_iteratorINS9_10device_ptrIyEEEESE_PS5_SF_11less_div_10IyEEE10hipError_tT0_T1_T2_T3_mRjT4_P12ihipStream_tbNS1_7vsmem_tEEUlT_E_NS1_11comp_targetILNS1_3genE5ELNS1_11target_archE942ELNS1_3gpuE9ELNS1_3repE0EEENS1_30default_config_static_selectorELNS0_4arch9wavefront6targetE0EEEvSK_.private_seg_size, 0
	.set _ZN7rocprim17ROCPRIM_400000_NS6detail17trampoline_kernelINS0_14default_configENS1_37merge_sort_block_sort_config_selectorIyNS0_10empty_typeEEEZNS1_21merge_sort_block_sortIS3_N6thrust23THRUST_200600_302600_NS6detail15normal_iteratorINS9_10device_ptrIyEEEESE_PS5_SF_11less_div_10IyEEE10hipError_tT0_T1_T2_T3_mRjT4_P12ihipStream_tbNS1_7vsmem_tEEUlT_E_NS1_11comp_targetILNS1_3genE5ELNS1_11target_archE942ELNS1_3gpuE9ELNS1_3repE0EEENS1_30default_config_static_selectorELNS0_4arch9wavefront6targetE0EEEvSK_.uses_vcc, 0
	.set _ZN7rocprim17ROCPRIM_400000_NS6detail17trampoline_kernelINS0_14default_configENS1_37merge_sort_block_sort_config_selectorIyNS0_10empty_typeEEEZNS1_21merge_sort_block_sortIS3_N6thrust23THRUST_200600_302600_NS6detail15normal_iteratorINS9_10device_ptrIyEEEESE_PS5_SF_11less_div_10IyEEE10hipError_tT0_T1_T2_T3_mRjT4_P12ihipStream_tbNS1_7vsmem_tEEUlT_E_NS1_11comp_targetILNS1_3genE5ELNS1_11target_archE942ELNS1_3gpuE9ELNS1_3repE0EEENS1_30default_config_static_selectorELNS0_4arch9wavefront6targetE0EEEvSK_.uses_flat_scratch, 0
	.set _ZN7rocprim17ROCPRIM_400000_NS6detail17trampoline_kernelINS0_14default_configENS1_37merge_sort_block_sort_config_selectorIyNS0_10empty_typeEEEZNS1_21merge_sort_block_sortIS3_N6thrust23THRUST_200600_302600_NS6detail15normal_iteratorINS9_10device_ptrIyEEEESE_PS5_SF_11less_div_10IyEEE10hipError_tT0_T1_T2_T3_mRjT4_P12ihipStream_tbNS1_7vsmem_tEEUlT_E_NS1_11comp_targetILNS1_3genE5ELNS1_11target_archE942ELNS1_3gpuE9ELNS1_3repE0EEENS1_30default_config_static_selectorELNS0_4arch9wavefront6targetE0EEEvSK_.has_dyn_sized_stack, 0
	.set _ZN7rocprim17ROCPRIM_400000_NS6detail17trampoline_kernelINS0_14default_configENS1_37merge_sort_block_sort_config_selectorIyNS0_10empty_typeEEEZNS1_21merge_sort_block_sortIS3_N6thrust23THRUST_200600_302600_NS6detail15normal_iteratorINS9_10device_ptrIyEEEESE_PS5_SF_11less_div_10IyEEE10hipError_tT0_T1_T2_T3_mRjT4_P12ihipStream_tbNS1_7vsmem_tEEUlT_E_NS1_11comp_targetILNS1_3genE5ELNS1_11target_archE942ELNS1_3gpuE9ELNS1_3repE0EEENS1_30default_config_static_selectorELNS0_4arch9wavefront6targetE0EEEvSK_.has_recursion, 0
	.set _ZN7rocprim17ROCPRIM_400000_NS6detail17trampoline_kernelINS0_14default_configENS1_37merge_sort_block_sort_config_selectorIyNS0_10empty_typeEEEZNS1_21merge_sort_block_sortIS3_N6thrust23THRUST_200600_302600_NS6detail15normal_iteratorINS9_10device_ptrIyEEEESE_PS5_SF_11less_div_10IyEEE10hipError_tT0_T1_T2_T3_mRjT4_P12ihipStream_tbNS1_7vsmem_tEEUlT_E_NS1_11comp_targetILNS1_3genE5ELNS1_11target_archE942ELNS1_3gpuE9ELNS1_3repE0EEENS1_30default_config_static_selectorELNS0_4arch9wavefront6targetE0EEEvSK_.has_indirect_call, 0
	.section	.AMDGPU.csdata,"",@progbits
; Kernel info:
; codeLenInByte = 0
; TotalNumSgprs: 0
; NumVgprs: 0
; ScratchSize: 0
; MemoryBound: 0
; FloatMode: 240
; IeeeMode: 1
; LDSByteSize: 0 bytes/workgroup (compile time only)
; SGPRBlocks: 0
; VGPRBlocks: 0
; NumSGPRsForWavesPerEU: 1
; NumVGPRsForWavesPerEU: 1
; Occupancy: 16
; WaveLimiterHint : 0
; COMPUTE_PGM_RSRC2:SCRATCH_EN: 0
; COMPUTE_PGM_RSRC2:USER_SGPR: 6
; COMPUTE_PGM_RSRC2:TRAP_HANDLER: 0
; COMPUTE_PGM_RSRC2:TGID_X_EN: 1
; COMPUTE_PGM_RSRC2:TGID_Y_EN: 0
; COMPUTE_PGM_RSRC2:TGID_Z_EN: 0
; COMPUTE_PGM_RSRC2:TIDIG_COMP_CNT: 0
	.section	.text._ZN7rocprim17ROCPRIM_400000_NS6detail17trampoline_kernelINS0_14default_configENS1_37merge_sort_block_sort_config_selectorIyNS0_10empty_typeEEEZNS1_21merge_sort_block_sortIS3_N6thrust23THRUST_200600_302600_NS6detail15normal_iteratorINS9_10device_ptrIyEEEESE_PS5_SF_11less_div_10IyEEE10hipError_tT0_T1_T2_T3_mRjT4_P12ihipStream_tbNS1_7vsmem_tEEUlT_E_NS1_11comp_targetILNS1_3genE4ELNS1_11target_archE910ELNS1_3gpuE8ELNS1_3repE0EEENS1_30default_config_static_selectorELNS0_4arch9wavefront6targetE0EEEvSK_,"axG",@progbits,_ZN7rocprim17ROCPRIM_400000_NS6detail17trampoline_kernelINS0_14default_configENS1_37merge_sort_block_sort_config_selectorIyNS0_10empty_typeEEEZNS1_21merge_sort_block_sortIS3_N6thrust23THRUST_200600_302600_NS6detail15normal_iteratorINS9_10device_ptrIyEEEESE_PS5_SF_11less_div_10IyEEE10hipError_tT0_T1_T2_T3_mRjT4_P12ihipStream_tbNS1_7vsmem_tEEUlT_E_NS1_11comp_targetILNS1_3genE4ELNS1_11target_archE910ELNS1_3gpuE8ELNS1_3repE0EEENS1_30default_config_static_selectorELNS0_4arch9wavefront6targetE0EEEvSK_,comdat
	.protected	_ZN7rocprim17ROCPRIM_400000_NS6detail17trampoline_kernelINS0_14default_configENS1_37merge_sort_block_sort_config_selectorIyNS0_10empty_typeEEEZNS1_21merge_sort_block_sortIS3_N6thrust23THRUST_200600_302600_NS6detail15normal_iteratorINS9_10device_ptrIyEEEESE_PS5_SF_11less_div_10IyEEE10hipError_tT0_T1_T2_T3_mRjT4_P12ihipStream_tbNS1_7vsmem_tEEUlT_E_NS1_11comp_targetILNS1_3genE4ELNS1_11target_archE910ELNS1_3gpuE8ELNS1_3repE0EEENS1_30default_config_static_selectorELNS0_4arch9wavefront6targetE0EEEvSK_ ; -- Begin function _ZN7rocprim17ROCPRIM_400000_NS6detail17trampoline_kernelINS0_14default_configENS1_37merge_sort_block_sort_config_selectorIyNS0_10empty_typeEEEZNS1_21merge_sort_block_sortIS3_N6thrust23THRUST_200600_302600_NS6detail15normal_iteratorINS9_10device_ptrIyEEEESE_PS5_SF_11less_div_10IyEEE10hipError_tT0_T1_T2_T3_mRjT4_P12ihipStream_tbNS1_7vsmem_tEEUlT_E_NS1_11comp_targetILNS1_3genE4ELNS1_11target_archE910ELNS1_3gpuE8ELNS1_3repE0EEENS1_30default_config_static_selectorELNS0_4arch9wavefront6targetE0EEEvSK_
	.globl	_ZN7rocprim17ROCPRIM_400000_NS6detail17trampoline_kernelINS0_14default_configENS1_37merge_sort_block_sort_config_selectorIyNS0_10empty_typeEEEZNS1_21merge_sort_block_sortIS3_N6thrust23THRUST_200600_302600_NS6detail15normal_iteratorINS9_10device_ptrIyEEEESE_PS5_SF_11less_div_10IyEEE10hipError_tT0_T1_T2_T3_mRjT4_P12ihipStream_tbNS1_7vsmem_tEEUlT_E_NS1_11comp_targetILNS1_3genE4ELNS1_11target_archE910ELNS1_3gpuE8ELNS1_3repE0EEENS1_30default_config_static_selectorELNS0_4arch9wavefront6targetE0EEEvSK_
	.p2align	8
	.type	_ZN7rocprim17ROCPRIM_400000_NS6detail17trampoline_kernelINS0_14default_configENS1_37merge_sort_block_sort_config_selectorIyNS0_10empty_typeEEEZNS1_21merge_sort_block_sortIS3_N6thrust23THRUST_200600_302600_NS6detail15normal_iteratorINS9_10device_ptrIyEEEESE_PS5_SF_11less_div_10IyEEE10hipError_tT0_T1_T2_T3_mRjT4_P12ihipStream_tbNS1_7vsmem_tEEUlT_E_NS1_11comp_targetILNS1_3genE4ELNS1_11target_archE910ELNS1_3gpuE8ELNS1_3repE0EEENS1_30default_config_static_selectorELNS0_4arch9wavefront6targetE0EEEvSK_,@function
_ZN7rocprim17ROCPRIM_400000_NS6detail17trampoline_kernelINS0_14default_configENS1_37merge_sort_block_sort_config_selectorIyNS0_10empty_typeEEEZNS1_21merge_sort_block_sortIS3_N6thrust23THRUST_200600_302600_NS6detail15normal_iteratorINS9_10device_ptrIyEEEESE_PS5_SF_11less_div_10IyEEE10hipError_tT0_T1_T2_T3_mRjT4_P12ihipStream_tbNS1_7vsmem_tEEUlT_E_NS1_11comp_targetILNS1_3genE4ELNS1_11target_archE910ELNS1_3gpuE8ELNS1_3repE0EEENS1_30default_config_static_selectorELNS0_4arch9wavefront6targetE0EEEvSK_: ; @_ZN7rocprim17ROCPRIM_400000_NS6detail17trampoline_kernelINS0_14default_configENS1_37merge_sort_block_sort_config_selectorIyNS0_10empty_typeEEEZNS1_21merge_sort_block_sortIS3_N6thrust23THRUST_200600_302600_NS6detail15normal_iteratorINS9_10device_ptrIyEEEESE_PS5_SF_11less_div_10IyEEE10hipError_tT0_T1_T2_T3_mRjT4_P12ihipStream_tbNS1_7vsmem_tEEUlT_E_NS1_11comp_targetILNS1_3genE4ELNS1_11target_archE910ELNS1_3gpuE8ELNS1_3repE0EEENS1_30default_config_static_selectorELNS0_4arch9wavefront6targetE0EEEvSK_
; %bb.0:
	.section	.rodata,"a",@progbits
	.p2align	6, 0x0
	.amdhsa_kernel _ZN7rocprim17ROCPRIM_400000_NS6detail17trampoline_kernelINS0_14default_configENS1_37merge_sort_block_sort_config_selectorIyNS0_10empty_typeEEEZNS1_21merge_sort_block_sortIS3_N6thrust23THRUST_200600_302600_NS6detail15normal_iteratorINS9_10device_ptrIyEEEESE_PS5_SF_11less_div_10IyEEE10hipError_tT0_T1_T2_T3_mRjT4_P12ihipStream_tbNS1_7vsmem_tEEUlT_E_NS1_11comp_targetILNS1_3genE4ELNS1_11target_archE910ELNS1_3gpuE8ELNS1_3repE0EEENS1_30default_config_static_selectorELNS0_4arch9wavefront6targetE0EEEvSK_
		.amdhsa_group_segment_fixed_size 0
		.amdhsa_private_segment_fixed_size 0
		.amdhsa_kernarg_size 64
		.amdhsa_user_sgpr_count 6
		.amdhsa_user_sgpr_private_segment_buffer 1
		.amdhsa_user_sgpr_dispatch_ptr 0
		.amdhsa_user_sgpr_queue_ptr 0
		.amdhsa_user_sgpr_kernarg_segment_ptr 1
		.amdhsa_user_sgpr_dispatch_id 0
		.amdhsa_user_sgpr_flat_scratch_init 0
		.amdhsa_user_sgpr_private_segment_size 0
		.amdhsa_wavefront_size32 1
		.amdhsa_uses_dynamic_stack 0
		.amdhsa_system_sgpr_private_segment_wavefront_offset 0
		.amdhsa_system_sgpr_workgroup_id_x 1
		.amdhsa_system_sgpr_workgroup_id_y 0
		.amdhsa_system_sgpr_workgroup_id_z 0
		.amdhsa_system_sgpr_workgroup_info 0
		.amdhsa_system_vgpr_workitem_id 0
		.amdhsa_next_free_vgpr 1
		.amdhsa_next_free_sgpr 1
		.amdhsa_reserve_vcc 0
		.amdhsa_reserve_flat_scratch 0
		.amdhsa_float_round_mode_32 0
		.amdhsa_float_round_mode_16_64 0
		.amdhsa_float_denorm_mode_32 3
		.amdhsa_float_denorm_mode_16_64 3
		.amdhsa_dx10_clamp 1
		.amdhsa_ieee_mode 1
		.amdhsa_fp16_overflow 0
		.amdhsa_workgroup_processor_mode 1
		.amdhsa_memory_ordered 1
		.amdhsa_forward_progress 1
		.amdhsa_shared_vgpr_count 0
		.amdhsa_exception_fp_ieee_invalid_op 0
		.amdhsa_exception_fp_denorm_src 0
		.amdhsa_exception_fp_ieee_div_zero 0
		.amdhsa_exception_fp_ieee_overflow 0
		.amdhsa_exception_fp_ieee_underflow 0
		.amdhsa_exception_fp_ieee_inexact 0
		.amdhsa_exception_int_div_zero 0
	.end_amdhsa_kernel
	.section	.text._ZN7rocprim17ROCPRIM_400000_NS6detail17trampoline_kernelINS0_14default_configENS1_37merge_sort_block_sort_config_selectorIyNS0_10empty_typeEEEZNS1_21merge_sort_block_sortIS3_N6thrust23THRUST_200600_302600_NS6detail15normal_iteratorINS9_10device_ptrIyEEEESE_PS5_SF_11less_div_10IyEEE10hipError_tT0_T1_T2_T3_mRjT4_P12ihipStream_tbNS1_7vsmem_tEEUlT_E_NS1_11comp_targetILNS1_3genE4ELNS1_11target_archE910ELNS1_3gpuE8ELNS1_3repE0EEENS1_30default_config_static_selectorELNS0_4arch9wavefront6targetE0EEEvSK_,"axG",@progbits,_ZN7rocprim17ROCPRIM_400000_NS6detail17trampoline_kernelINS0_14default_configENS1_37merge_sort_block_sort_config_selectorIyNS0_10empty_typeEEEZNS1_21merge_sort_block_sortIS3_N6thrust23THRUST_200600_302600_NS6detail15normal_iteratorINS9_10device_ptrIyEEEESE_PS5_SF_11less_div_10IyEEE10hipError_tT0_T1_T2_T3_mRjT4_P12ihipStream_tbNS1_7vsmem_tEEUlT_E_NS1_11comp_targetILNS1_3genE4ELNS1_11target_archE910ELNS1_3gpuE8ELNS1_3repE0EEENS1_30default_config_static_selectorELNS0_4arch9wavefront6targetE0EEEvSK_,comdat
.Lfunc_end17:
	.size	_ZN7rocprim17ROCPRIM_400000_NS6detail17trampoline_kernelINS0_14default_configENS1_37merge_sort_block_sort_config_selectorIyNS0_10empty_typeEEEZNS1_21merge_sort_block_sortIS3_N6thrust23THRUST_200600_302600_NS6detail15normal_iteratorINS9_10device_ptrIyEEEESE_PS5_SF_11less_div_10IyEEE10hipError_tT0_T1_T2_T3_mRjT4_P12ihipStream_tbNS1_7vsmem_tEEUlT_E_NS1_11comp_targetILNS1_3genE4ELNS1_11target_archE910ELNS1_3gpuE8ELNS1_3repE0EEENS1_30default_config_static_selectorELNS0_4arch9wavefront6targetE0EEEvSK_, .Lfunc_end17-_ZN7rocprim17ROCPRIM_400000_NS6detail17trampoline_kernelINS0_14default_configENS1_37merge_sort_block_sort_config_selectorIyNS0_10empty_typeEEEZNS1_21merge_sort_block_sortIS3_N6thrust23THRUST_200600_302600_NS6detail15normal_iteratorINS9_10device_ptrIyEEEESE_PS5_SF_11less_div_10IyEEE10hipError_tT0_T1_T2_T3_mRjT4_P12ihipStream_tbNS1_7vsmem_tEEUlT_E_NS1_11comp_targetILNS1_3genE4ELNS1_11target_archE910ELNS1_3gpuE8ELNS1_3repE0EEENS1_30default_config_static_selectorELNS0_4arch9wavefront6targetE0EEEvSK_
                                        ; -- End function
	.set _ZN7rocprim17ROCPRIM_400000_NS6detail17trampoline_kernelINS0_14default_configENS1_37merge_sort_block_sort_config_selectorIyNS0_10empty_typeEEEZNS1_21merge_sort_block_sortIS3_N6thrust23THRUST_200600_302600_NS6detail15normal_iteratorINS9_10device_ptrIyEEEESE_PS5_SF_11less_div_10IyEEE10hipError_tT0_T1_T2_T3_mRjT4_P12ihipStream_tbNS1_7vsmem_tEEUlT_E_NS1_11comp_targetILNS1_3genE4ELNS1_11target_archE910ELNS1_3gpuE8ELNS1_3repE0EEENS1_30default_config_static_selectorELNS0_4arch9wavefront6targetE0EEEvSK_.num_vgpr, 0
	.set _ZN7rocprim17ROCPRIM_400000_NS6detail17trampoline_kernelINS0_14default_configENS1_37merge_sort_block_sort_config_selectorIyNS0_10empty_typeEEEZNS1_21merge_sort_block_sortIS3_N6thrust23THRUST_200600_302600_NS6detail15normal_iteratorINS9_10device_ptrIyEEEESE_PS5_SF_11less_div_10IyEEE10hipError_tT0_T1_T2_T3_mRjT4_P12ihipStream_tbNS1_7vsmem_tEEUlT_E_NS1_11comp_targetILNS1_3genE4ELNS1_11target_archE910ELNS1_3gpuE8ELNS1_3repE0EEENS1_30default_config_static_selectorELNS0_4arch9wavefront6targetE0EEEvSK_.num_agpr, 0
	.set _ZN7rocprim17ROCPRIM_400000_NS6detail17trampoline_kernelINS0_14default_configENS1_37merge_sort_block_sort_config_selectorIyNS0_10empty_typeEEEZNS1_21merge_sort_block_sortIS3_N6thrust23THRUST_200600_302600_NS6detail15normal_iteratorINS9_10device_ptrIyEEEESE_PS5_SF_11less_div_10IyEEE10hipError_tT0_T1_T2_T3_mRjT4_P12ihipStream_tbNS1_7vsmem_tEEUlT_E_NS1_11comp_targetILNS1_3genE4ELNS1_11target_archE910ELNS1_3gpuE8ELNS1_3repE0EEENS1_30default_config_static_selectorELNS0_4arch9wavefront6targetE0EEEvSK_.numbered_sgpr, 0
	.set _ZN7rocprim17ROCPRIM_400000_NS6detail17trampoline_kernelINS0_14default_configENS1_37merge_sort_block_sort_config_selectorIyNS0_10empty_typeEEEZNS1_21merge_sort_block_sortIS3_N6thrust23THRUST_200600_302600_NS6detail15normal_iteratorINS9_10device_ptrIyEEEESE_PS5_SF_11less_div_10IyEEE10hipError_tT0_T1_T2_T3_mRjT4_P12ihipStream_tbNS1_7vsmem_tEEUlT_E_NS1_11comp_targetILNS1_3genE4ELNS1_11target_archE910ELNS1_3gpuE8ELNS1_3repE0EEENS1_30default_config_static_selectorELNS0_4arch9wavefront6targetE0EEEvSK_.num_named_barrier, 0
	.set _ZN7rocprim17ROCPRIM_400000_NS6detail17trampoline_kernelINS0_14default_configENS1_37merge_sort_block_sort_config_selectorIyNS0_10empty_typeEEEZNS1_21merge_sort_block_sortIS3_N6thrust23THRUST_200600_302600_NS6detail15normal_iteratorINS9_10device_ptrIyEEEESE_PS5_SF_11less_div_10IyEEE10hipError_tT0_T1_T2_T3_mRjT4_P12ihipStream_tbNS1_7vsmem_tEEUlT_E_NS1_11comp_targetILNS1_3genE4ELNS1_11target_archE910ELNS1_3gpuE8ELNS1_3repE0EEENS1_30default_config_static_selectorELNS0_4arch9wavefront6targetE0EEEvSK_.private_seg_size, 0
	.set _ZN7rocprim17ROCPRIM_400000_NS6detail17trampoline_kernelINS0_14default_configENS1_37merge_sort_block_sort_config_selectorIyNS0_10empty_typeEEEZNS1_21merge_sort_block_sortIS3_N6thrust23THRUST_200600_302600_NS6detail15normal_iteratorINS9_10device_ptrIyEEEESE_PS5_SF_11less_div_10IyEEE10hipError_tT0_T1_T2_T3_mRjT4_P12ihipStream_tbNS1_7vsmem_tEEUlT_E_NS1_11comp_targetILNS1_3genE4ELNS1_11target_archE910ELNS1_3gpuE8ELNS1_3repE0EEENS1_30default_config_static_selectorELNS0_4arch9wavefront6targetE0EEEvSK_.uses_vcc, 0
	.set _ZN7rocprim17ROCPRIM_400000_NS6detail17trampoline_kernelINS0_14default_configENS1_37merge_sort_block_sort_config_selectorIyNS0_10empty_typeEEEZNS1_21merge_sort_block_sortIS3_N6thrust23THRUST_200600_302600_NS6detail15normal_iteratorINS9_10device_ptrIyEEEESE_PS5_SF_11less_div_10IyEEE10hipError_tT0_T1_T2_T3_mRjT4_P12ihipStream_tbNS1_7vsmem_tEEUlT_E_NS1_11comp_targetILNS1_3genE4ELNS1_11target_archE910ELNS1_3gpuE8ELNS1_3repE0EEENS1_30default_config_static_selectorELNS0_4arch9wavefront6targetE0EEEvSK_.uses_flat_scratch, 0
	.set _ZN7rocprim17ROCPRIM_400000_NS6detail17trampoline_kernelINS0_14default_configENS1_37merge_sort_block_sort_config_selectorIyNS0_10empty_typeEEEZNS1_21merge_sort_block_sortIS3_N6thrust23THRUST_200600_302600_NS6detail15normal_iteratorINS9_10device_ptrIyEEEESE_PS5_SF_11less_div_10IyEEE10hipError_tT0_T1_T2_T3_mRjT4_P12ihipStream_tbNS1_7vsmem_tEEUlT_E_NS1_11comp_targetILNS1_3genE4ELNS1_11target_archE910ELNS1_3gpuE8ELNS1_3repE0EEENS1_30default_config_static_selectorELNS0_4arch9wavefront6targetE0EEEvSK_.has_dyn_sized_stack, 0
	.set _ZN7rocprim17ROCPRIM_400000_NS6detail17trampoline_kernelINS0_14default_configENS1_37merge_sort_block_sort_config_selectorIyNS0_10empty_typeEEEZNS1_21merge_sort_block_sortIS3_N6thrust23THRUST_200600_302600_NS6detail15normal_iteratorINS9_10device_ptrIyEEEESE_PS5_SF_11less_div_10IyEEE10hipError_tT0_T1_T2_T3_mRjT4_P12ihipStream_tbNS1_7vsmem_tEEUlT_E_NS1_11comp_targetILNS1_3genE4ELNS1_11target_archE910ELNS1_3gpuE8ELNS1_3repE0EEENS1_30default_config_static_selectorELNS0_4arch9wavefront6targetE0EEEvSK_.has_recursion, 0
	.set _ZN7rocprim17ROCPRIM_400000_NS6detail17trampoline_kernelINS0_14default_configENS1_37merge_sort_block_sort_config_selectorIyNS0_10empty_typeEEEZNS1_21merge_sort_block_sortIS3_N6thrust23THRUST_200600_302600_NS6detail15normal_iteratorINS9_10device_ptrIyEEEESE_PS5_SF_11less_div_10IyEEE10hipError_tT0_T1_T2_T3_mRjT4_P12ihipStream_tbNS1_7vsmem_tEEUlT_E_NS1_11comp_targetILNS1_3genE4ELNS1_11target_archE910ELNS1_3gpuE8ELNS1_3repE0EEENS1_30default_config_static_selectorELNS0_4arch9wavefront6targetE0EEEvSK_.has_indirect_call, 0
	.section	.AMDGPU.csdata,"",@progbits
; Kernel info:
; codeLenInByte = 0
; TotalNumSgprs: 0
; NumVgprs: 0
; ScratchSize: 0
; MemoryBound: 0
; FloatMode: 240
; IeeeMode: 1
; LDSByteSize: 0 bytes/workgroup (compile time only)
; SGPRBlocks: 0
; VGPRBlocks: 0
; NumSGPRsForWavesPerEU: 1
; NumVGPRsForWavesPerEU: 1
; Occupancy: 16
; WaveLimiterHint : 0
; COMPUTE_PGM_RSRC2:SCRATCH_EN: 0
; COMPUTE_PGM_RSRC2:USER_SGPR: 6
; COMPUTE_PGM_RSRC2:TRAP_HANDLER: 0
; COMPUTE_PGM_RSRC2:TGID_X_EN: 1
; COMPUTE_PGM_RSRC2:TGID_Y_EN: 0
; COMPUTE_PGM_RSRC2:TGID_Z_EN: 0
; COMPUTE_PGM_RSRC2:TIDIG_COMP_CNT: 0
	.section	.text._ZN7rocprim17ROCPRIM_400000_NS6detail17trampoline_kernelINS0_14default_configENS1_37merge_sort_block_sort_config_selectorIyNS0_10empty_typeEEEZNS1_21merge_sort_block_sortIS3_N6thrust23THRUST_200600_302600_NS6detail15normal_iteratorINS9_10device_ptrIyEEEESE_PS5_SF_11less_div_10IyEEE10hipError_tT0_T1_T2_T3_mRjT4_P12ihipStream_tbNS1_7vsmem_tEEUlT_E_NS1_11comp_targetILNS1_3genE3ELNS1_11target_archE908ELNS1_3gpuE7ELNS1_3repE0EEENS1_30default_config_static_selectorELNS0_4arch9wavefront6targetE0EEEvSK_,"axG",@progbits,_ZN7rocprim17ROCPRIM_400000_NS6detail17trampoline_kernelINS0_14default_configENS1_37merge_sort_block_sort_config_selectorIyNS0_10empty_typeEEEZNS1_21merge_sort_block_sortIS3_N6thrust23THRUST_200600_302600_NS6detail15normal_iteratorINS9_10device_ptrIyEEEESE_PS5_SF_11less_div_10IyEEE10hipError_tT0_T1_T2_T3_mRjT4_P12ihipStream_tbNS1_7vsmem_tEEUlT_E_NS1_11comp_targetILNS1_3genE3ELNS1_11target_archE908ELNS1_3gpuE7ELNS1_3repE0EEENS1_30default_config_static_selectorELNS0_4arch9wavefront6targetE0EEEvSK_,comdat
	.protected	_ZN7rocprim17ROCPRIM_400000_NS6detail17trampoline_kernelINS0_14default_configENS1_37merge_sort_block_sort_config_selectorIyNS0_10empty_typeEEEZNS1_21merge_sort_block_sortIS3_N6thrust23THRUST_200600_302600_NS6detail15normal_iteratorINS9_10device_ptrIyEEEESE_PS5_SF_11less_div_10IyEEE10hipError_tT0_T1_T2_T3_mRjT4_P12ihipStream_tbNS1_7vsmem_tEEUlT_E_NS1_11comp_targetILNS1_3genE3ELNS1_11target_archE908ELNS1_3gpuE7ELNS1_3repE0EEENS1_30default_config_static_selectorELNS0_4arch9wavefront6targetE0EEEvSK_ ; -- Begin function _ZN7rocprim17ROCPRIM_400000_NS6detail17trampoline_kernelINS0_14default_configENS1_37merge_sort_block_sort_config_selectorIyNS0_10empty_typeEEEZNS1_21merge_sort_block_sortIS3_N6thrust23THRUST_200600_302600_NS6detail15normal_iteratorINS9_10device_ptrIyEEEESE_PS5_SF_11less_div_10IyEEE10hipError_tT0_T1_T2_T3_mRjT4_P12ihipStream_tbNS1_7vsmem_tEEUlT_E_NS1_11comp_targetILNS1_3genE3ELNS1_11target_archE908ELNS1_3gpuE7ELNS1_3repE0EEENS1_30default_config_static_selectorELNS0_4arch9wavefront6targetE0EEEvSK_
	.globl	_ZN7rocprim17ROCPRIM_400000_NS6detail17trampoline_kernelINS0_14default_configENS1_37merge_sort_block_sort_config_selectorIyNS0_10empty_typeEEEZNS1_21merge_sort_block_sortIS3_N6thrust23THRUST_200600_302600_NS6detail15normal_iteratorINS9_10device_ptrIyEEEESE_PS5_SF_11less_div_10IyEEE10hipError_tT0_T1_T2_T3_mRjT4_P12ihipStream_tbNS1_7vsmem_tEEUlT_E_NS1_11comp_targetILNS1_3genE3ELNS1_11target_archE908ELNS1_3gpuE7ELNS1_3repE0EEENS1_30default_config_static_selectorELNS0_4arch9wavefront6targetE0EEEvSK_
	.p2align	8
	.type	_ZN7rocprim17ROCPRIM_400000_NS6detail17trampoline_kernelINS0_14default_configENS1_37merge_sort_block_sort_config_selectorIyNS0_10empty_typeEEEZNS1_21merge_sort_block_sortIS3_N6thrust23THRUST_200600_302600_NS6detail15normal_iteratorINS9_10device_ptrIyEEEESE_PS5_SF_11less_div_10IyEEE10hipError_tT0_T1_T2_T3_mRjT4_P12ihipStream_tbNS1_7vsmem_tEEUlT_E_NS1_11comp_targetILNS1_3genE3ELNS1_11target_archE908ELNS1_3gpuE7ELNS1_3repE0EEENS1_30default_config_static_selectorELNS0_4arch9wavefront6targetE0EEEvSK_,@function
_ZN7rocprim17ROCPRIM_400000_NS6detail17trampoline_kernelINS0_14default_configENS1_37merge_sort_block_sort_config_selectorIyNS0_10empty_typeEEEZNS1_21merge_sort_block_sortIS3_N6thrust23THRUST_200600_302600_NS6detail15normal_iteratorINS9_10device_ptrIyEEEESE_PS5_SF_11less_div_10IyEEE10hipError_tT0_T1_T2_T3_mRjT4_P12ihipStream_tbNS1_7vsmem_tEEUlT_E_NS1_11comp_targetILNS1_3genE3ELNS1_11target_archE908ELNS1_3gpuE7ELNS1_3repE0EEENS1_30default_config_static_selectorELNS0_4arch9wavefront6targetE0EEEvSK_: ; @_ZN7rocprim17ROCPRIM_400000_NS6detail17trampoline_kernelINS0_14default_configENS1_37merge_sort_block_sort_config_selectorIyNS0_10empty_typeEEEZNS1_21merge_sort_block_sortIS3_N6thrust23THRUST_200600_302600_NS6detail15normal_iteratorINS9_10device_ptrIyEEEESE_PS5_SF_11less_div_10IyEEE10hipError_tT0_T1_T2_T3_mRjT4_P12ihipStream_tbNS1_7vsmem_tEEUlT_E_NS1_11comp_targetILNS1_3genE3ELNS1_11target_archE908ELNS1_3gpuE7ELNS1_3repE0EEENS1_30default_config_static_selectorELNS0_4arch9wavefront6targetE0EEEvSK_
; %bb.0:
	.section	.rodata,"a",@progbits
	.p2align	6, 0x0
	.amdhsa_kernel _ZN7rocprim17ROCPRIM_400000_NS6detail17trampoline_kernelINS0_14default_configENS1_37merge_sort_block_sort_config_selectorIyNS0_10empty_typeEEEZNS1_21merge_sort_block_sortIS3_N6thrust23THRUST_200600_302600_NS6detail15normal_iteratorINS9_10device_ptrIyEEEESE_PS5_SF_11less_div_10IyEEE10hipError_tT0_T1_T2_T3_mRjT4_P12ihipStream_tbNS1_7vsmem_tEEUlT_E_NS1_11comp_targetILNS1_3genE3ELNS1_11target_archE908ELNS1_3gpuE7ELNS1_3repE0EEENS1_30default_config_static_selectorELNS0_4arch9wavefront6targetE0EEEvSK_
		.amdhsa_group_segment_fixed_size 0
		.amdhsa_private_segment_fixed_size 0
		.amdhsa_kernarg_size 64
		.amdhsa_user_sgpr_count 6
		.amdhsa_user_sgpr_private_segment_buffer 1
		.amdhsa_user_sgpr_dispatch_ptr 0
		.amdhsa_user_sgpr_queue_ptr 0
		.amdhsa_user_sgpr_kernarg_segment_ptr 1
		.amdhsa_user_sgpr_dispatch_id 0
		.amdhsa_user_sgpr_flat_scratch_init 0
		.amdhsa_user_sgpr_private_segment_size 0
		.amdhsa_wavefront_size32 1
		.amdhsa_uses_dynamic_stack 0
		.amdhsa_system_sgpr_private_segment_wavefront_offset 0
		.amdhsa_system_sgpr_workgroup_id_x 1
		.amdhsa_system_sgpr_workgroup_id_y 0
		.amdhsa_system_sgpr_workgroup_id_z 0
		.amdhsa_system_sgpr_workgroup_info 0
		.amdhsa_system_vgpr_workitem_id 0
		.amdhsa_next_free_vgpr 1
		.amdhsa_next_free_sgpr 1
		.amdhsa_reserve_vcc 0
		.amdhsa_reserve_flat_scratch 0
		.amdhsa_float_round_mode_32 0
		.amdhsa_float_round_mode_16_64 0
		.amdhsa_float_denorm_mode_32 3
		.amdhsa_float_denorm_mode_16_64 3
		.amdhsa_dx10_clamp 1
		.amdhsa_ieee_mode 1
		.amdhsa_fp16_overflow 0
		.amdhsa_workgroup_processor_mode 1
		.amdhsa_memory_ordered 1
		.amdhsa_forward_progress 1
		.amdhsa_shared_vgpr_count 0
		.amdhsa_exception_fp_ieee_invalid_op 0
		.amdhsa_exception_fp_denorm_src 0
		.amdhsa_exception_fp_ieee_div_zero 0
		.amdhsa_exception_fp_ieee_overflow 0
		.amdhsa_exception_fp_ieee_underflow 0
		.amdhsa_exception_fp_ieee_inexact 0
		.amdhsa_exception_int_div_zero 0
	.end_amdhsa_kernel
	.section	.text._ZN7rocprim17ROCPRIM_400000_NS6detail17trampoline_kernelINS0_14default_configENS1_37merge_sort_block_sort_config_selectorIyNS0_10empty_typeEEEZNS1_21merge_sort_block_sortIS3_N6thrust23THRUST_200600_302600_NS6detail15normal_iteratorINS9_10device_ptrIyEEEESE_PS5_SF_11less_div_10IyEEE10hipError_tT0_T1_T2_T3_mRjT4_P12ihipStream_tbNS1_7vsmem_tEEUlT_E_NS1_11comp_targetILNS1_3genE3ELNS1_11target_archE908ELNS1_3gpuE7ELNS1_3repE0EEENS1_30default_config_static_selectorELNS0_4arch9wavefront6targetE0EEEvSK_,"axG",@progbits,_ZN7rocprim17ROCPRIM_400000_NS6detail17trampoline_kernelINS0_14default_configENS1_37merge_sort_block_sort_config_selectorIyNS0_10empty_typeEEEZNS1_21merge_sort_block_sortIS3_N6thrust23THRUST_200600_302600_NS6detail15normal_iteratorINS9_10device_ptrIyEEEESE_PS5_SF_11less_div_10IyEEE10hipError_tT0_T1_T2_T3_mRjT4_P12ihipStream_tbNS1_7vsmem_tEEUlT_E_NS1_11comp_targetILNS1_3genE3ELNS1_11target_archE908ELNS1_3gpuE7ELNS1_3repE0EEENS1_30default_config_static_selectorELNS0_4arch9wavefront6targetE0EEEvSK_,comdat
.Lfunc_end18:
	.size	_ZN7rocprim17ROCPRIM_400000_NS6detail17trampoline_kernelINS0_14default_configENS1_37merge_sort_block_sort_config_selectorIyNS0_10empty_typeEEEZNS1_21merge_sort_block_sortIS3_N6thrust23THRUST_200600_302600_NS6detail15normal_iteratorINS9_10device_ptrIyEEEESE_PS5_SF_11less_div_10IyEEE10hipError_tT0_T1_T2_T3_mRjT4_P12ihipStream_tbNS1_7vsmem_tEEUlT_E_NS1_11comp_targetILNS1_3genE3ELNS1_11target_archE908ELNS1_3gpuE7ELNS1_3repE0EEENS1_30default_config_static_selectorELNS0_4arch9wavefront6targetE0EEEvSK_, .Lfunc_end18-_ZN7rocprim17ROCPRIM_400000_NS6detail17trampoline_kernelINS0_14default_configENS1_37merge_sort_block_sort_config_selectorIyNS0_10empty_typeEEEZNS1_21merge_sort_block_sortIS3_N6thrust23THRUST_200600_302600_NS6detail15normal_iteratorINS9_10device_ptrIyEEEESE_PS5_SF_11less_div_10IyEEE10hipError_tT0_T1_T2_T3_mRjT4_P12ihipStream_tbNS1_7vsmem_tEEUlT_E_NS1_11comp_targetILNS1_3genE3ELNS1_11target_archE908ELNS1_3gpuE7ELNS1_3repE0EEENS1_30default_config_static_selectorELNS0_4arch9wavefront6targetE0EEEvSK_
                                        ; -- End function
	.set _ZN7rocprim17ROCPRIM_400000_NS6detail17trampoline_kernelINS0_14default_configENS1_37merge_sort_block_sort_config_selectorIyNS0_10empty_typeEEEZNS1_21merge_sort_block_sortIS3_N6thrust23THRUST_200600_302600_NS6detail15normal_iteratorINS9_10device_ptrIyEEEESE_PS5_SF_11less_div_10IyEEE10hipError_tT0_T1_T2_T3_mRjT4_P12ihipStream_tbNS1_7vsmem_tEEUlT_E_NS1_11comp_targetILNS1_3genE3ELNS1_11target_archE908ELNS1_3gpuE7ELNS1_3repE0EEENS1_30default_config_static_selectorELNS0_4arch9wavefront6targetE0EEEvSK_.num_vgpr, 0
	.set _ZN7rocprim17ROCPRIM_400000_NS6detail17trampoline_kernelINS0_14default_configENS1_37merge_sort_block_sort_config_selectorIyNS0_10empty_typeEEEZNS1_21merge_sort_block_sortIS3_N6thrust23THRUST_200600_302600_NS6detail15normal_iteratorINS9_10device_ptrIyEEEESE_PS5_SF_11less_div_10IyEEE10hipError_tT0_T1_T2_T3_mRjT4_P12ihipStream_tbNS1_7vsmem_tEEUlT_E_NS1_11comp_targetILNS1_3genE3ELNS1_11target_archE908ELNS1_3gpuE7ELNS1_3repE0EEENS1_30default_config_static_selectorELNS0_4arch9wavefront6targetE0EEEvSK_.num_agpr, 0
	.set _ZN7rocprim17ROCPRIM_400000_NS6detail17trampoline_kernelINS0_14default_configENS1_37merge_sort_block_sort_config_selectorIyNS0_10empty_typeEEEZNS1_21merge_sort_block_sortIS3_N6thrust23THRUST_200600_302600_NS6detail15normal_iteratorINS9_10device_ptrIyEEEESE_PS5_SF_11less_div_10IyEEE10hipError_tT0_T1_T2_T3_mRjT4_P12ihipStream_tbNS1_7vsmem_tEEUlT_E_NS1_11comp_targetILNS1_3genE3ELNS1_11target_archE908ELNS1_3gpuE7ELNS1_3repE0EEENS1_30default_config_static_selectorELNS0_4arch9wavefront6targetE0EEEvSK_.numbered_sgpr, 0
	.set _ZN7rocprim17ROCPRIM_400000_NS6detail17trampoline_kernelINS0_14default_configENS1_37merge_sort_block_sort_config_selectorIyNS0_10empty_typeEEEZNS1_21merge_sort_block_sortIS3_N6thrust23THRUST_200600_302600_NS6detail15normal_iteratorINS9_10device_ptrIyEEEESE_PS5_SF_11less_div_10IyEEE10hipError_tT0_T1_T2_T3_mRjT4_P12ihipStream_tbNS1_7vsmem_tEEUlT_E_NS1_11comp_targetILNS1_3genE3ELNS1_11target_archE908ELNS1_3gpuE7ELNS1_3repE0EEENS1_30default_config_static_selectorELNS0_4arch9wavefront6targetE0EEEvSK_.num_named_barrier, 0
	.set _ZN7rocprim17ROCPRIM_400000_NS6detail17trampoline_kernelINS0_14default_configENS1_37merge_sort_block_sort_config_selectorIyNS0_10empty_typeEEEZNS1_21merge_sort_block_sortIS3_N6thrust23THRUST_200600_302600_NS6detail15normal_iteratorINS9_10device_ptrIyEEEESE_PS5_SF_11less_div_10IyEEE10hipError_tT0_T1_T2_T3_mRjT4_P12ihipStream_tbNS1_7vsmem_tEEUlT_E_NS1_11comp_targetILNS1_3genE3ELNS1_11target_archE908ELNS1_3gpuE7ELNS1_3repE0EEENS1_30default_config_static_selectorELNS0_4arch9wavefront6targetE0EEEvSK_.private_seg_size, 0
	.set _ZN7rocprim17ROCPRIM_400000_NS6detail17trampoline_kernelINS0_14default_configENS1_37merge_sort_block_sort_config_selectorIyNS0_10empty_typeEEEZNS1_21merge_sort_block_sortIS3_N6thrust23THRUST_200600_302600_NS6detail15normal_iteratorINS9_10device_ptrIyEEEESE_PS5_SF_11less_div_10IyEEE10hipError_tT0_T1_T2_T3_mRjT4_P12ihipStream_tbNS1_7vsmem_tEEUlT_E_NS1_11comp_targetILNS1_3genE3ELNS1_11target_archE908ELNS1_3gpuE7ELNS1_3repE0EEENS1_30default_config_static_selectorELNS0_4arch9wavefront6targetE0EEEvSK_.uses_vcc, 0
	.set _ZN7rocprim17ROCPRIM_400000_NS6detail17trampoline_kernelINS0_14default_configENS1_37merge_sort_block_sort_config_selectorIyNS0_10empty_typeEEEZNS1_21merge_sort_block_sortIS3_N6thrust23THRUST_200600_302600_NS6detail15normal_iteratorINS9_10device_ptrIyEEEESE_PS5_SF_11less_div_10IyEEE10hipError_tT0_T1_T2_T3_mRjT4_P12ihipStream_tbNS1_7vsmem_tEEUlT_E_NS1_11comp_targetILNS1_3genE3ELNS1_11target_archE908ELNS1_3gpuE7ELNS1_3repE0EEENS1_30default_config_static_selectorELNS0_4arch9wavefront6targetE0EEEvSK_.uses_flat_scratch, 0
	.set _ZN7rocprim17ROCPRIM_400000_NS6detail17trampoline_kernelINS0_14default_configENS1_37merge_sort_block_sort_config_selectorIyNS0_10empty_typeEEEZNS1_21merge_sort_block_sortIS3_N6thrust23THRUST_200600_302600_NS6detail15normal_iteratorINS9_10device_ptrIyEEEESE_PS5_SF_11less_div_10IyEEE10hipError_tT0_T1_T2_T3_mRjT4_P12ihipStream_tbNS1_7vsmem_tEEUlT_E_NS1_11comp_targetILNS1_3genE3ELNS1_11target_archE908ELNS1_3gpuE7ELNS1_3repE0EEENS1_30default_config_static_selectorELNS0_4arch9wavefront6targetE0EEEvSK_.has_dyn_sized_stack, 0
	.set _ZN7rocprim17ROCPRIM_400000_NS6detail17trampoline_kernelINS0_14default_configENS1_37merge_sort_block_sort_config_selectorIyNS0_10empty_typeEEEZNS1_21merge_sort_block_sortIS3_N6thrust23THRUST_200600_302600_NS6detail15normal_iteratorINS9_10device_ptrIyEEEESE_PS5_SF_11less_div_10IyEEE10hipError_tT0_T1_T2_T3_mRjT4_P12ihipStream_tbNS1_7vsmem_tEEUlT_E_NS1_11comp_targetILNS1_3genE3ELNS1_11target_archE908ELNS1_3gpuE7ELNS1_3repE0EEENS1_30default_config_static_selectorELNS0_4arch9wavefront6targetE0EEEvSK_.has_recursion, 0
	.set _ZN7rocprim17ROCPRIM_400000_NS6detail17trampoline_kernelINS0_14default_configENS1_37merge_sort_block_sort_config_selectorIyNS0_10empty_typeEEEZNS1_21merge_sort_block_sortIS3_N6thrust23THRUST_200600_302600_NS6detail15normal_iteratorINS9_10device_ptrIyEEEESE_PS5_SF_11less_div_10IyEEE10hipError_tT0_T1_T2_T3_mRjT4_P12ihipStream_tbNS1_7vsmem_tEEUlT_E_NS1_11comp_targetILNS1_3genE3ELNS1_11target_archE908ELNS1_3gpuE7ELNS1_3repE0EEENS1_30default_config_static_selectorELNS0_4arch9wavefront6targetE0EEEvSK_.has_indirect_call, 0
	.section	.AMDGPU.csdata,"",@progbits
; Kernel info:
; codeLenInByte = 0
; TotalNumSgprs: 0
; NumVgprs: 0
; ScratchSize: 0
; MemoryBound: 0
; FloatMode: 240
; IeeeMode: 1
; LDSByteSize: 0 bytes/workgroup (compile time only)
; SGPRBlocks: 0
; VGPRBlocks: 0
; NumSGPRsForWavesPerEU: 1
; NumVGPRsForWavesPerEU: 1
; Occupancy: 16
; WaveLimiterHint : 0
; COMPUTE_PGM_RSRC2:SCRATCH_EN: 0
; COMPUTE_PGM_RSRC2:USER_SGPR: 6
; COMPUTE_PGM_RSRC2:TRAP_HANDLER: 0
; COMPUTE_PGM_RSRC2:TGID_X_EN: 1
; COMPUTE_PGM_RSRC2:TGID_Y_EN: 0
; COMPUTE_PGM_RSRC2:TGID_Z_EN: 0
; COMPUTE_PGM_RSRC2:TIDIG_COMP_CNT: 0
	.section	.text._ZN7rocprim17ROCPRIM_400000_NS6detail17trampoline_kernelINS0_14default_configENS1_37merge_sort_block_sort_config_selectorIyNS0_10empty_typeEEEZNS1_21merge_sort_block_sortIS3_N6thrust23THRUST_200600_302600_NS6detail15normal_iteratorINS9_10device_ptrIyEEEESE_PS5_SF_11less_div_10IyEEE10hipError_tT0_T1_T2_T3_mRjT4_P12ihipStream_tbNS1_7vsmem_tEEUlT_E_NS1_11comp_targetILNS1_3genE2ELNS1_11target_archE906ELNS1_3gpuE6ELNS1_3repE0EEENS1_30default_config_static_selectorELNS0_4arch9wavefront6targetE0EEEvSK_,"axG",@progbits,_ZN7rocprim17ROCPRIM_400000_NS6detail17trampoline_kernelINS0_14default_configENS1_37merge_sort_block_sort_config_selectorIyNS0_10empty_typeEEEZNS1_21merge_sort_block_sortIS3_N6thrust23THRUST_200600_302600_NS6detail15normal_iteratorINS9_10device_ptrIyEEEESE_PS5_SF_11less_div_10IyEEE10hipError_tT0_T1_T2_T3_mRjT4_P12ihipStream_tbNS1_7vsmem_tEEUlT_E_NS1_11comp_targetILNS1_3genE2ELNS1_11target_archE906ELNS1_3gpuE6ELNS1_3repE0EEENS1_30default_config_static_selectorELNS0_4arch9wavefront6targetE0EEEvSK_,comdat
	.protected	_ZN7rocprim17ROCPRIM_400000_NS6detail17trampoline_kernelINS0_14default_configENS1_37merge_sort_block_sort_config_selectorIyNS0_10empty_typeEEEZNS1_21merge_sort_block_sortIS3_N6thrust23THRUST_200600_302600_NS6detail15normal_iteratorINS9_10device_ptrIyEEEESE_PS5_SF_11less_div_10IyEEE10hipError_tT0_T1_T2_T3_mRjT4_P12ihipStream_tbNS1_7vsmem_tEEUlT_E_NS1_11comp_targetILNS1_3genE2ELNS1_11target_archE906ELNS1_3gpuE6ELNS1_3repE0EEENS1_30default_config_static_selectorELNS0_4arch9wavefront6targetE0EEEvSK_ ; -- Begin function _ZN7rocprim17ROCPRIM_400000_NS6detail17trampoline_kernelINS0_14default_configENS1_37merge_sort_block_sort_config_selectorIyNS0_10empty_typeEEEZNS1_21merge_sort_block_sortIS3_N6thrust23THRUST_200600_302600_NS6detail15normal_iteratorINS9_10device_ptrIyEEEESE_PS5_SF_11less_div_10IyEEE10hipError_tT0_T1_T2_T3_mRjT4_P12ihipStream_tbNS1_7vsmem_tEEUlT_E_NS1_11comp_targetILNS1_3genE2ELNS1_11target_archE906ELNS1_3gpuE6ELNS1_3repE0EEENS1_30default_config_static_selectorELNS0_4arch9wavefront6targetE0EEEvSK_
	.globl	_ZN7rocprim17ROCPRIM_400000_NS6detail17trampoline_kernelINS0_14default_configENS1_37merge_sort_block_sort_config_selectorIyNS0_10empty_typeEEEZNS1_21merge_sort_block_sortIS3_N6thrust23THRUST_200600_302600_NS6detail15normal_iteratorINS9_10device_ptrIyEEEESE_PS5_SF_11less_div_10IyEEE10hipError_tT0_T1_T2_T3_mRjT4_P12ihipStream_tbNS1_7vsmem_tEEUlT_E_NS1_11comp_targetILNS1_3genE2ELNS1_11target_archE906ELNS1_3gpuE6ELNS1_3repE0EEENS1_30default_config_static_selectorELNS0_4arch9wavefront6targetE0EEEvSK_
	.p2align	8
	.type	_ZN7rocprim17ROCPRIM_400000_NS6detail17trampoline_kernelINS0_14default_configENS1_37merge_sort_block_sort_config_selectorIyNS0_10empty_typeEEEZNS1_21merge_sort_block_sortIS3_N6thrust23THRUST_200600_302600_NS6detail15normal_iteratorINS9_10device_ptrIyEEEESE_PS5_SF_11less_div_10IyEEE10hipError_tT0_T1_T2_T3_mRjT4_P12ihipStream_tbNS1_7vsmem_tEEUlT_E_NS1_11comp_targetILNS1_3genE2ELNS1_11target_archE906ELNS1_3gpuE6ELNS1_3repE0EEENS1_30default_config_static_selectorELNS0_4arch9wavefront6targetE0EEEvSK_,@function
_ZN7rocprim17ROCPRIM_400000_NS6detail17trampoline_kernelINS0_14default_configENS1_37merge_sort_block_sort_config_selectorIyNS0_10empty_typeEEEZNS1_21merge_sort_block_sortIS3_N6thrust23THRUST_200600_302600_NS6detail15normal_iteratorINS9_10device_ptrIyEEEESE_PS5_SF_11less_div_10IyEEE10hipError_tT0_T1_T2_T3_mRjT4_P12ihipStream_tbNS1_7vsmem_tEEUlT_E_NS1_11comp_targetILNS1_3genE2ELNS1_11target_archE906ELNS1_3gpuE6ELNS1_3repE0EEENS1_30default_config_static_selectorELNS0_4arch9wavefront6targetE0EEEvSK_: ; @_ZN7rocprim17ROCPRIM_400000_NS6detail17trampoline_kernelINS0_14default_configENS1_37merge_sort_block_sort_config_selectorIyNS0_10empty_typeEEEZNS1_21merge_sort_block_sortIS3_N6thrust23THRUST_200600_302600_NS6detail15normal_iteratorINS9_10device_ptrIyEEEESE_PS5_SF_11less_div_10IyEEE10hipError_tT0_T1_T2_T3_mRjT4_P12ihipStream_tbNS1_7vsmem_tEEUlT_E_NS1_11comp_targetILNS1_3genE2ELNS1_11target_archE906ELNS1_3gpuE6ELNS1_3repE0EEENS1_30default_config_static_selectorELNS0_4arch9wavefront6targetE0EEEvSK_
; %bb.0:
	.section	.rodata,"a",@progbits
	.p2align	6, 0x0
	.amdhsa_kernel _ZN7rocprim17ROCPRIM_400000_NS6detail17trampoline_kernelINS0_14default_configENS1_37merge_sort_block_sort_config_selectorIyNS0_10empty_typeEEEZNS1_21merge_sort_block_sortIS3_N6thrust23THRUST_200600_302600_NS6detail15normal_iteratorINS9_10device_ptrIyEEEESE_PS5_SF_11less_div_10IyEEE10hipError_tT0_T1_T2_T3_mRjT4_P12ihipStream_tbNS1_7vsmem_tEEUlT_E_NS1_11comp_targetILNS1_3genE2ELNS1_11target_archE906ELNS1_3gpuE6ELNS1_3repE0EEENS1_30default_config_static_selectorELNS0_4arch9wavefront6targetE0EEEvSK_
		.amdhsa_group_segment_fixed_size 0
		.amdhsa_private_segment_fixed_size 0
		.amdhsa_kernarg_size 64
		.amdhsa_user_sgpr_count 6
		.amdhsa_user_sgpr_private_segment_buffer 1
		.amdhsa_user_sgpr_dispatch_ptr 0
		.amdhsa_user_sgpr_queue_ptr 0
		.amdhsa_user_sgpr_kernarg_segment_ptr 1
		.amdhsa_user_sgpr_dispatch_id 0
		.amdhsa_user_sgpr_flat_scratch_init 0
		.amdhsa_user_sgpr_private_segment_size 0
		.amdhsa_wavefront_size32 1
		.amdhsa_uses_dynamic_stack 0
		.amdhsa_system_sgpr_private_segment_wavefront_offset 0
		.amdhsa_system_sgpr_workgroup_id_x 1
		.amdhsa_system_sgpr_workgroup_id_y 0
		.amdhsa_system_sgpr_workgroup_id_z 0
		.amdhsa_system_sgpr_workgroup_info 0
		.amdhsa_system_vgpr_workitem_id 0
		.amdhsa_next_free_vgpr 1
		.amdhsa_next_free_sgpr 1
		.amdhsa_reserve_vcc 0
		.amdhsa_reserve_flat_scratch 0
		.amdhsa_float_round_mode_32 0
		.amdhsa_float_round_mode_16_64 0
		.amdhsa_float_denorm_mode_32 3
		.amdhsa_float_denorm_mode_16_64 3
		.amdhsa_dx10_clamp 1
		.amdhsa_ieee_mode 1
		.amdhsa_fp16_overflow 0
		.amdhsa_workgroup_processor_mode 1
		.amdhsa_memory_ordered 1
		.amdhsa_forward_progress 1
		.amdhsa_shared_vgpr_count 0
		.amdhsa_exception_fp_ieee_invalid_op 0
		.amdhsa_exception_fp_denorm_src 0
		.amdhsa_exception_fp_ieee_div_zero 0
		.amdhsa_exception_fp_ieee_overflow 0
		.amdhsa_exception_fp_ieee_underflow 0
		.amdhsa_exception_fp_ieee_inexact 0
		.amdhsa_exception_int_div_zero 0
	.end_amdhsa_kernel
	.section	.text._ZN7rocprim17ROCPRIM_400000_NS6detail17trampoline_kernelINS0_14default_configENS1_37merge_sort_block_sort_config_selectorIyNS0_10empty_typeEEEZNS1_21merge_sort_block_sortIS3_N6thrust23THRUST_200600_302600_NS6detail15normal_iteratorINS9_10device_ptrIyEEEESE_PS5_SF_11less_div_10IyEEE10hipError_tT0_T1_T2_T3_mRjT4_P12ihipStream_tbNS1_7vsmem_tEEUlT_E_NS1_11comp_targetILNS1_3genE2ELNS1_11target_archE906ELNS1_3gpuE6ELNS1_3repE0EEENS1_30default_config_static_selectorELNS0_4arch9wavefront6targetE0EEEvSK_,"axG",@progbits,_ZN7rocprim17ROCPRIM_400000_NS6detail17trampoline_kernelINS0_14default_configENS1_37merge_sort_block_sort_config_selectorIyNS0_10empty_typeEEEZNS1_21merge_sort_block_sortIS3_N6thrust23THRUST_200600_302600_NS6detail15normal_iteratorINS9_10device_ptrIyEEEESE_PS5_SF_11less_div_10IyEEE10hipError_tT0_T1_T2_T3_mRjT4_P12ihipStream_tbNS1_7vsmem_tEEUlT_E_NS1_11comp_targetILNS1_3genE2ELNS1_11target_archE906ELNS1_3gpuE6ELNS1_3repE0EEENS1_30default_config_static_selectorELNS0_4arch9wavefront6targetE0EEEvSK_,comdat
.Lfunc_end19:
	.size	_ZN7rocprim17ROCPRIM_400000_NS6detail17trampoline_kernelINS0_14default_configENS1_37merge_sort_block_sort_config_selectorIyNS0_10empty_typeEEEZNS1_21merge_sort_block_sortIS3_N6thrust23THRUST_200600_302600_NS6detail15normal_iteratorINS9_10device_ptrIyEEEESE_PS5_SF_11less_div_10IyEEE10hipError_tT0_T1_T2_T3_mRjT4_P12ihipStream_tbNS1_7vsmem_tEEUlT_E_NS1_11comp_targetILNS1_3genE2ELNS1_11target_archE906ELNS1_3gpuE6ELNS1_3repE0EEENS1_30default_config_static_selectorELNS0_4arch9wavefront6targetE0EEEvSK_, .Lfunc_end19-_ZN7rocprim17ROCPRIM_400000_NS6detail17trampoline_kernelINS0_14default_configENS1_37merge_sort_block_sort_config_selectorIyNS0_10empty_typeEEEZNS1_21merge_sort_block_sortIS3_N6thrust23THRUST_200600_302600_NS6detail15normal_iteratorINS9_10device_ptrIyEEEESE_PS5_SF_11less_div_10IyEEE10hipError_tT0_T1_T2_T3_mRjT4_P12ihipStream_tbNS1_7vsmem_tEEUlT_E_NS1_11comp_targetILNS1_3genE2ELNS1_11target_archE906ELNS1_3gpuE6ELNS1_3repE0EEENS1_30default_config_static_selectorELNS0_4arch9wavefront6targetE0EEEvSK_
                                        ; -- End function
	.set _ZN7rocprim17ROCPRIM_400000_NS6detail17trampoline_kernelINS0_14default_configENS1_37merge_sort_block_sort_config_selectorIyNS0_10empty_typeEEEZNS1_21merge_sort_block_sortIS3_N6thrust23THRUST_200600_302600_NS6detail15normal_iteratorINS9_10device_ptrIyEEEESE_PS5_SF_11less_div_10IyEEE10hipError_tT0_T1_T2_T3_mRjT4_P12ihipStream_tbNS1_7vsmem_tEEUlT_E_NS1_11comp_targetILNS1_3genE2ELNS1_11target_archE906ELNS1_3gpuE6ELNS1_3repE0EEENS1_30default_config_static_selectorELNS0_4arch9wavefront6targetE0EEEvSK_.num_vgpr, 0
	.set _ZN7rocprim17ROCPRIM_400000_NS6detail17trampoline_kernelINS0_14default_configENS1_37merge_sort_block_sort_config_selectorIyNS0_10empty_typeEEEZNS1_21merge_sort_block_sortIS3_N6thrust23THRUST_200600_302600_NS6detail15normal_iteratorINS9_10device_ptrIyEEEESE_PS5_SF_11less_div_10IyEEE10hipError_tT0_T1_T2_T3_mRjT4_P12ihipStream_tbNS1_7vsmem_tEEUlT_E_NS1_11comp_targetILNS1_3genE2ELNS1_11target_archE906ELNS1_3gpuE6ELNS1_3repE0EEENS1_30default_config_static_selectorELNS0_4arch9wavefront6targetE0EEEvSK_.num_agpr, 0
	.set _ZN7rocprim17ROCPRIM_400000_NS6detail17trampoline_kernelINS0_14default_configENS1_37merge_sort_block_sort_config_selectorIyNS0_10empty_typeEEEZNS1_21merge_sort_block_sortIS3_N6thrust23THRUST_200600_302600_NS6detail15normal_iteratorINS9_10device_ptrIyEEEESE_PS5_SF_11less_div_10IyEEE10hipError_tT0_T1_T2_T3_mRjT4_P12ihipStream_tbNS1_7vsmem_tEEUlT_E_NS1_11comp_targetILNS1_3genE2ELNS1_11target_archE906ELNS1_3gpuE6ELNS1_3repE0EEENS1_30default_config_static_selectorELNS0_4arch9wavefront6targetE0EEEvSK_.numbered_sgpr, 0
	.set _ZN7rocprim17ROCPRIM_400000_NS6detail17trampoline_kernelINS0_14default_configENS1_37merge_sort_block_sort_config_selectorIyNS0_10empty_typeEEEZNS1_21merge_sort_block_sortIS3_N6thrust23THRUST_200600_302600_NS6detail15normal_iteratorINS9_10device_ptrIyEEEESE_PS5_SF_11less_div_10IyEEE10hipError_tT0_T1_T2_T3_mRjT4_P12ihipStream_tbNS1_7vsmem_tEEUlT_E_NS1_11comp_targetILNS1_3genE2ELNS1_11target_archE906ELNS1_3gpuE6ELNS1_3repE0EEENS1_30default_config_static_selectorELNS0_4arch9wavefront6targetE0EEEvSK_.num_named_barrier, 0
	.set _ZN7rocprim17ROCPRIM_400000_NS6detail17trampoline_kernelINS0_14default_configENS1_37merge_sort_block_sort_config_selectorIyNS0_10empty_typeEEEZNS1_21merge_sort_block_sortIS3_N6thrust23THRUST_200600_302600_NS6detail15normal_iteratorINS9_10device_ptrIyEEEESE_PS5_SF_11less_div_10IyEEE10hipError_tT0_T1_T2_T3_mRjT4_P12ihipStream_tbNS1_7vsmem_tEEUlT_E_NS1_11comp_targetILNS1_3genE2ELNS1_11target_archE906ELNS1_3gpuE6ELNS1_3repE0EEENS1_30default_config_static_selectorELNS0_4arch9wavefront6targetE0EEEvSK_.private_seg_size, 0
	.set _ZN7rocprim17ROCPRIM_400000_NS6detail17trampoline_kernelINS0_14default_configENS1_37merge_sort_block_sort_config_selectorIyNS0_10empty_typeEEEZNS1_21merge_sort_block_sortIS3_N6thrust23THRUST_200600_302600_NS6detail15normal_iteratorINS9_10device_ptrIyEEEESE_PS5_SF_11less_div_10IyEEE10hipError_tT0_T1_T2_T3_mRjT4_P12ihipStream_tbNS1_7vsmem_tEEUlT_E_NS1_11comp_targetILNS1_3genE2ELNS1_11target_archE906ELNS1_3gpuE6ELNS1_3repE0EEENS1_30default_config_static_selectorELNS0_4arch9wavefront6targetE0EEEvSK_.uses_vcc, 0
	.set _ZN7rocprim17ROCPRIM_400000_NS6detail17trampoline_kernelINS0_14default_configENS1_37merge_sort_block_sort_config_selectorIyNS0_10empty_typeEEEZNS1_21merge_sort_block_sortIS3_N6thrust23THRUST_200600_302600_NS6detail15normal_iteratorINS9_10device_ptrIyEEEESE_PS5_SF_11less_div_10IyEEE10hipError_tT0_T1_T2_T3_mRjT4_P12ihipStream_tbNS1_7vsmem_tEEUlT_E_NS1_11comp_targetILNS1_3genE2ELNS1_11target_archE906ELNS1_3gpuE6ELNS1_3repE0EEENS1_30default_config_static_selectorELNS0_4arch9wavefront6targetE0EEEvSK_.uses_flat_scratch, 0
	.set _ZN7rocprim17ROCPRIM_400000_NS6detail17trampoline_kernelINS0_14default_configENS1_37merge_sort_block_sort_config_selectorIyNS0_10empty_typeEEEZNS1_21merge_sort_block_sortIS3_N6thrust23THRUST_200600_302600_NS6detail15normal_iteratorINS9_10device_ptrIyEEEESE_PS5_SF_11less_div_10IyEEE10hipError_tT0_T1_T2_T3_mRjT4_P12ihipStream_tbNS1_7vsmem_tEEUlT_E_NS1_11comp_targetILNS1_3genE2ELNS1_11target_archE906ELNS1_3gpuE6ELNS1_3repE0EEENS1_30default_config_static_selectorELNS0_4arch9wavefront6targetE0EEEvSK_.has_dyn_sized_stack, 0
	.set _ZN7rocprim17ROCPRIM_400000_NS6detail17trampoline_kernelINS0_14default_configENS1_37merge_sort_block_sort_config_selectorIyNS0_10empty_typeEEEZNS1_21merge_sort_block_sortIS3_N6thrust23THRUST_200600_302600_NS6detail15normal_iteratorINS9_10device_ptrIyEEEESE_PS5_SF_11less_div_10IyEEE10hipError_tT0_T1_T2_T3_mRjT4_P12ihipStream_tbNS1_7vsmem_tEEUlT_E_NS1_11comp_targetILNS1_3genE2ELNS1_11target_archE906ELNS1_3gpuE6ELNS1_3repE0EEENS1_30default_config_static_selectorELNS0_4arch9wavefront6targetE0EEEvSK_.has_recursion, 0
	.set _ZN7rocprim17ROCPRIM_400000_NS6detail17trampoline_kernelINS0_14default_configENS1_37merge_sort_block_sort_config_selectorIyNS0_10empty_typeEEEZNS1_21merge_sort_block_sortIS3_N6thrust23THRUST_200600_302600_NS6detail15normal_iteratorINS9_10device_ptrIyEEEESE_PS5_SF_11less_div_10IyEEE10hipError_tT0_T1_T2_T3_mRjT4_P12ihipStream_tbNS1_7vsmem_tEEUlT_E_NS1_11comp_targetILNS1_3genE2ELNS1_11target_archE906ELNS1_3gpuE6ELNS1_3repE0EEENS1_30default_config_static_selectorELNS0_4arch9wavefront6targetE0EEEvSK_.has_indirect_call, 0
	.section	.AMDGPU.csdata,"",@progbits
; Kernel info:
; codeLenInByte = 0
; TotalNumSgprs: 0
; NumVgprs: 0
; ScratchSize: 0
; MemoryBound: 0
; FloatMode: 240
; IeeeMode: 1
; LDSByteSize: 0 bytes/workgroup (compile time only)
; SGPRBlocks: 0
; VGPRBlocks: 0
; NumSGPRsForWavesPerEU: 1
; NumVGPRsForWavesPerEU: 1
; Occupancy: 16
; WaveLimiterHint : 0
; COMPUTE_PGM_RSRC2:SCRATCH_EN: 0
; COMPUTE_PGM_RSRC2:USER_SGPR: 6
; COMPUTE_PGM_RSRC2:TRAP_HANDLER: 0
; COMPUTE_PGM_RSRC2:TGID_X_EN: 1
; COMPUTE_PGM_RSRC2:TGID_Y_EN: 0
; COMPUTE_PGM_RSRC2:TGID_Z_EN: 0
; COMPUTE_PGM_RSRC2:TIDIG_COMP_CNT: 0
	.section	.text._ZN7rocprim17ROCPRIM_400000_NS6detail17trampoline_kernelINS0_14default_configENS1_37merge_sort_block_sort_config_selectorIyNS0_10empty_typeEEEZNS1_21merge_sort_block_sortIS3_N6thrust23THRUST_200600_302600_NS6detail15normal_iteratorINS9_10device_ptrIyEEEESE_PS5_SF_11less_div_10IyEEE10hipError_tT0_T1_T2_T3_mRjT4_P12ihipStream_tbNS1_7vsmem_tEEUlT_E_NS1_11comp_targetILNS1_3genE10ELNS1_11target_archE1201ELNS1_3gpuE5ELNS1_3repE0EEENS1_30default_config_static_selectorELNS0_4arch9wavefront6targetE0EEEvSK_,"axG",@progbits,_ZN7rocprim17ROCPRIM_400000_NS6detail17trampoline_kernelINS0_14default_configENS1_37merge_sort_block_sort_config_selectorIyNS0_10empty_typeEEEZNS1_21merge_sort_block_sortIS3_N6thrust23THRUST_200600_302600_NS6detail15normal_iteratorINS9_10device_ptrIyEEEESE_PS5_SF_11less_div_10IyEEE10hipError_tT0_T1_T2_T3_mRjT4_P12ihipStream_tbNS1_7vsmem_tEEUlT_E_NS1_11comp_targetILNS1_3genE10ELNS1_11target_archE1201ELNS1_3gpuE5ELNS1_3repE0EEENS1_30default_config_static_selectorELNS0_4arch9wavefront6targetE0EEEvSK_,comdat
	.protected	_ZN7rocprim17ROCPRIM_400000_NS6detail17trampoline_kernelINS0_14default_configENS1_37merge_sort_block_sort_config_selectorIyNS0_10empty_typeEEEZNS1_21merge_sort_block_sortIS3_N6thrust23THRUST_200600_302600_NS6detail15normal_iteratorINS9_10device_ptrIyEEEESE_PS5_SF_11less_div_10IyEEE10hipError_tT0_T1_T2_T3_mRjT4_P12ihipStream_tbNS1_7vsmem_tEEUlT_E_NS1_11comp_targetILNS1_3genE10ELNS1_11target_archE1201ELNS1_3gpuE5ELNS1_3repE0EEENS1_30default_config_static_selectorELNS0_4arch9wavefront6targetE0EEEvSK_ ; -- Begin function _ZN7rocprim17ROCPRIM_400000_NS6detail17trampoline_kernelINS0_14default_configENS1_37merge_sort_block_sort_config_selectorIyNS0_10empty_typeEEEZNS1_21merge_sort_block_sortIS3_N6thrust23THRUST_200600_302600_NS6detail15normal_iteratorINS9_10device_ptrIyEEEESE_PS5_SF_11less_div_10IyEEE10hipError_tT0_T1_T2_T3_mRjT4_P12ihipStream_tbNS1_7vsmem_tEEUlT_E_NS1_11comp_targetILNS1_3genE10ELNS1_11target_archE1201ELNS1_3gpuE5ELNS1_3repE0EEENS1_30default_config_static_selectorELNS0_4arch9wavefront6targetE0EEEvSK_
	.globl	_ZN7rocprim17ROCPRIM_400000_NS6detail17trampoline_kernelINS0_14default_configENS1_37merge_sort_block_sort_config_selectorIyNS0_10empty_typeEEEZNS1_21merge_sort_block_sortIS3_N6thrust23THRUST_200600_302600_NS6detail15normal_iteratorINS9_10device_ptrIyEEEESE_PS5_SF_11less_div_10IyEEE10hipError_tT0_T1_T2_T3_mRjT4_P12ihipStream_tbNS1_7vsmem_tEEUlT_E_NS1_11comp_targetILNS1_3genE10ELNS1_11target_archE1201ELNS1_3gpuE5ELNS1_3repE0EEENS1_30default_config_static_selectorELNS0_4arch9wavefront6targetE0EEEvSK_
	.p2align	8
	.type	_ZN7rocprim17ROCPRIM_400000_NS6detail17trampoline_kernelINS0_14default_configENS1_37merge_sort_block_sort_config_selectorIyNS0_10empty_typeEEEZNS1_21merge_sort_block_sortIS3_N6thrust23THRUST_200600_302600_NS6detail15normal_iteratorINS9_10device_ptrIyEEEESE_PS5_SF_11less_div_10IyEEE10hipError_tT0_T1_T2_T3_mRjT4_P12ihipStream_tbNS1_7vsmem_tEEUlT_E_NS1_11comp_targetILNS1_3genE10ELNS1_11target_archE1201ELNS1_3gpuE5ELNS1_3repE0EEENS1_30default_config_static_selectorELNS0_4arch9wavefront6targetE0EEEvSK_,@function
_ZN7rocprim17ROCPRIM_400000_NS6detail17trampoline_kernelINS0_14default_configENS1_37merge_sort_block_sort_config_selectorIyNS0_10empty_typeEEEZNS1_21merge_sort_block_sortIS3_N6thrust23THRUST_200600_302600_NS6detail15normal_iteratorINS9_10device_ptrIyEEEESE_PS5_SF_11less_div_10IyEEE10hipError_tT0_T1_T2_T3_mRjT4_P12ihipStream_tbNS1_7vsmem_tEEUlT_E_NS1_11comp_targetILNS1_3genE10ELNS1_11target_archE1201ELNS1_3gpuE5ELNS1_3repE0EEENS1_30default_config_static_selectorELNS0_4arch9wavefront6targetE0EEEvSK_: ; @_ZN7rocprim17ROCPRIM_400000_NS6detail17trampoline_kernelINS0_14default_configENS1_37merge_sort_block_sort_config_selectorIyNS0_10empty_typeEEEZNS1_21merge_sort_block_sortIS3_N6thrust23THRUST_200600_302600_NS6detail15normal_iteratorINS9_10device_ptrIyEEEESE_PS5_SF_11less_div_10IyEEE10hipError_tT0_T1_T2_T3_mRjT4_P12ihipStream_tbNS1_7vsmem_tEEUlT_E_NS1_11comp_targetILNS1_3genE10ELNS1_11target_archE1201ELNS1_3gpuE5ELNS1_3repE0EEENS1_30default_config_static_selectorELNS0_4arch9wavefront6targetE0EEEvSK_
; %bb.0:
	.section	.rodata,"a",@progbits
	.p2align	6, 0x0
	.amdhsa_kernel _ZN7rocprim17ROCPRIM_400000_NS6detail17trampoline_kernelINS0_14default_configENS1_37merge_sort_block_sort_config_selectorIyNS0_10empty_typeEEEZNS1_21merge_sort_block_sortIS3_N6thrust23THRUST_200600_302600_NS6detail15normal_iteratorINS9_10device_ptrIyEEEESE_PS5_SF_11less_div_10IyEEE10hipError_tT0_T1_T2_T3_mRjT4_P12ihipStream_tbNS1_7vsmem_tEEUlT_E_NS1_11comp_targetILNS1_3genE10ELNS1_11target_archE1201ELNS1_3gpuE5ELNS1_3repE0EEENS1_30default_config_static_selectorELNS0_4arch9wavefront6targetE0EEEvSK_
		.amdhsa_group_segment_fixed_size 0
		.amdhsa_private_segment_fixed_size 0
		.amdhsa_kernarg_size 64
		.amdhsa_user_sgpr_count 6
		.amdhsa_user_sgpr_private_segment_buffer 1
		.amdhsa_user_sgpr_dispatch_ptr 0
		.amdhsa_user_sgpr_queue_ptr 0
		.amdhsa_user_sgpr_kernarg_segment_ptr 1
		.amdhsa_user_sgpr_dispatch_id 0
		.amdhsa_user_sgpr_flat_scratch_init 0
		.amdhsa_user_sgpr_private_segment_size 0
		.amdhsa_wavefront_size32 1
		.amdhsa_uses_dynamic_stack 0
		.amdhsa_system_sgpr_private_segment_wavefront_offset 0
		.amdhsa_system_sgpr_workgroup_id_x 1
		.amdhsa_system_sgpr_workgroup_id_y 0
		.amdhsa_system_sgpr_workgroup_id_z 0
		.amdhsa_system_sgpr_workgroup_info 0
		.amdhsa_system_vgpr_workitem_id 0
		.amdhsa_next_free_vgpr 1
		.amdhsa_next_free_sgpr 1
		.amdhsa_reserve_vcc 0
		.amdhsa_reserve_flat_scratch 0
		.amdhsa_float_round_mode_32 0
		.amdhsa_float_round_mode_16_64 0
		.amdhsa_float_denorm_mode_32 3
		.amdhsa_float_denorm_mode_16_64 3
		.amdhsa_dx10_clamp 1
		.amdhsa_ieee_mode 1
		.amdhsa_fp16_overflow 0
		.amdhsa_workgroup_processor_mode 1
		.amdhsa_memory_ordered 1
		.amdhsa_forward_progress 1
		.amdhsa_shared_vgpr_count 0
		.amdhsa_exception_fp_ieee_invalid_op 0
		.amdhsa_exception_fp_denorm_src 0
		.amdhsa_exception_fp_ieee_div_zero 0
		.amdhsa_exception_fp_ieee_overflow 0
		.amdhsa_exception_fp_ieee_underflow 0
		.amdhsa_exception_fp_ieee_inexact 0
		.amdhsa_exception_int_div_zero 0
	.end_amdhsa_kernel
	.section	.text._ZN7rocprim17ROCPRIM_400000_NS6detail17trampoline_kernelINS0_14default_configENS1_37merge_sort_block_sort_config_selectorIyNS0_10empty_typeEEEZNS1_21merge_sort_block_sortIS3_N6thrust23THRUST_200600_302600_NS6detail15normal_iteratorINS9_10device_ptrIyEEEESE_PS5_SF_11less_div_10IyEEE10hipError_tT0_T1_T2_T3_mRjT4_P12ihipStream_tbNS1_7vsmem_tEEUlT_E_NS1_11comp_targetILNS1_3genE10ELNS1_11target_archE1201ELNS1_3gpuE5ELNS1_3repE0EEENS1_30default_config_static_selectorELNS0_4arch9wavefront6targetE0EEEvSK_,"axG",@progbits,_ZN7rocprim17ROCPRIM_400000_NS6detail17trampoline_kernelINS0_14default_configENS1_37merge_sort_block_sort_config_selectorIyNS0_10empty_typeEEEZNS1_21merge_sort_block_sortIS3_N6thrust23THRUST_200600_302600_NS6detail15normal_iteratorINS9_10device_ptrIyEEEESE_PS5_SF_11less_div_10IyEEE10hipError_tT0_T1_T2_T3_mRjT4_P12ihipStream_tbNS1_7vsmem_tEEUlT_E_NS1_11comp_targetILNS1_3genE10ELNS1_11target_archE1201ELNS1_3gpuE5ELNS1_3repE0EEENS1_30default_config_static_selectorELNS0_4arch9wavefront6targetE0EEEvSK_,comdat
.Lfunc_end20:
	.size	_ZN7rocprim17ROCPRIM_400000_NS6detail17trampoline_kernelINS0_14default_configENS1_37merge_sort_block_sort_config_selectorIyNS0_10empty_typeEEEZNS1_21merge_sort_block_sortIS3_N6thrust23THRUST_200600_302600_NS6detail15normal_iteratorINS9_10device_ptrIyEEEESE_PS5_SF_11less_div_10IyEEE10hipError_tT0_T1_T2_T3_mRjT4_P12ihipStream_tbNS1_7vsmem_tEEUlT_E_NS1_11comp_targetILNS1_3genE10ELNS1_11target_archE1201ELNS1_3gpuE5ELNS1_3repE0EEENS1_30default_config_static_selectorELNS0_4arch9wavefront6targetE0EEEvSK_, .Lfunc_end20-_ZN7rocprim17ROCPRIM_400000_NS6detail17trampoline_kernelINS0_14default_configENS1_37merge_sort_block_sort_config_selectorIyNS0_10empty_typeEEEZNS1_21merge_sort_block_sortIS3_N6thrust23THRUST_200600_302600_NS6detail15normal_iteratorINS9_10device_ptrIyEEEESE_PS5_SF_11less_div_10IyEEE10hipError_tT0_T1_T2_T3_mRjT4_P12ihipStream_tbNS1_7vsmem_tEEUlT_E_NS1_11comp_targetILNS1_3genE10ELNS1_11target_archE1201ELNS1_3gpuE5ELNS1_3repE0EEENS1_30default_config_static_selectorELNS0_4arch9wavefront6targetE0EEEvSK_
                                        ; -- End function
	.set _ZN7rocprim17ROCPRIM_400000_NS6detail17trampoline_kernelINS0_14default_configENS1_37merge_sort_block_sort_config_selectorIyNS0_10empty_typeEEEZNS1_21merge_sort_block_sortIS3_N6thrust23THRUST_200600_302600_NS6detail15normal_iteratorINS9_10device_ptrIyEEEESE_PS5_SF_11less_div_10IyEEE10hipError_tT0_T1_T2_T3_mRjT4_P12ihipStream_tbNS1_7vsmem_tEEUlT_E_NS1_11comp_targetILNS1_3genE10ELNS1_11target_archE1201ELNS1_3gpuE5ELNS1_3repE0EEENS1_30default_config_static_selectorELNS0_4arch9wavefront6targetE0EEEvSK_.num_vgpr, 0
	.set _ZN7rocprim17ROCPRIM_400000_NS6detail17trampoline_kernelINS0_14default_configENS1_37merge_sort_block_sort_config_selectorIyNS0_10empty_typeEEEZNS1_21merge_sort_block_sortIS3_N6thrust23THRUST_200600_302600_NS6detail15normal_iteratorINS9_10device_ptrIyEEEESE_PS5_SF_11less_div_10IyEEE10hipError_tT0_T1_T2_T3_mRjT4_P12ihipStream_tbNS1_7vsmem_tEEUlT_E_NS1_11comp_targetILNS1_3genE10ELNS1_11target_archE1201ELNS1_3gpuE5ELNS1_3repE0EEENS1_30default_config_static_selectorELNS0_4arch9wavefront6targetE0EEEvSK_.num_agpr, 0
	.set _ZN7rocprim17ROCPRIM_400000_NS6detail17trampoline_kernelINS0_14default_configENS1_37merge_sort_block_sort_config_selectorIyNS0_10empty_typeEEEZNS1_21merge_sort_block_sortIS3_N6thrust23THRUST_200600_302600_NS6detail15normal_iteratorINS9_10device_ptrIyEEEESE_PS5_SF_11less_div_10IyEEE10hipError_tT0_T1_T2_T3_mRjT4_P12ihipStream_tbNS1_7vsmem_tEEUlT_E_NS1_11comp_targetILNS1_3genE10ELNS1_11target_archE1201ELNS1_3gpuE5ELNS1_3repE0EEENS1_30default_config_static_selectorELNS0_4arch9wavefront6targetE0EEEvSK_.numbered_sgpr, 0
	.set _ZN7rocprim17ROCPRIM_400000_NS6detail17trampoline_kernelINS0_14default_configENS1_37merge_sort_block_sort_config_selectorIyNS0_10empty_typeEEEZNS1_21merge_sort_block_sortIS3_N6thrust23THRUST_200600_302600_NS6detail15normal_iteratorINS9_10device_ptrIyEEEESE_PS5_SF_11less_div_10IyEEE10hipError_tT0_T1_T2_T3_mRjT4_P12ihipStream_tbNS1_7vsmem_tEEUlT_E_NS1_11comp_targetILNS1_3genE10ELNS1_11target_archE1201ELNS1_3gpuE5ELNS1_3repE0EEENS1_30default_config_static_selectorELNS0_4arch9wavefront6targetE0EEEvSK_.num_named_barrier, 0
	.set _ZN7rocprim17ROCPRIM_400000_NS6detail17trampoline_kernelINS0_14default_configENS1_37merge_sort_block_sort_config_selectorIyNS0_10empty_typeEEEZNS1_21merge_sort_block_sortIS3_N6thrust23THRUST_200600_302600_NS6detail15normal_iteratorINS9_10device_ptrIyEEEESE_PS5_SF_11less_div_10IyEEE10hipError_tT0_T1_T2_T3_mRjT4_P12ihipStream_tbNS1_7vsmem_tEEUlT_E_NS1_11comp_targetILNS1_3genE10ELNS1_11target_archE1201ELNS1_3gpuE5ELNS1_3repE0EEENS1_30default_config_static_selectorELNS0_4arch9wavefront6targetE0EEEvSK_.private_seg_size, 0
	.set _ZN7rocprim17ROCPRIM_400000_NS6detail17trampoline_kernelINS0_14default_configENS1_37merge_sort_block_sort_config_selectorIyNS0_10empty_typeEEEZNS1_21merge_sort_block_sortIS3_N6thrust23THRUST_200600_302600_NS6detail15normal_iteratorINS9_10device_ptrIyEEEESE_PS5_SF_11less_div_10IyEEE10hipError_tT0_T1_T2_T3_mRjT4_P12ihipStream_tbNS1_7vsmem_tEEUlT_E_NS1_11comp_targetILNS1_3genE10ELNS1_11target_archE1201ELNS1_3gpuE5ELNS1_3repE0EEENS1_30default_config_static_selectorELNS0_4arch9wavefront6targetE0EEEvSK_.uses_vcc, 0
	.set _ZN7rocprim17ROCPRIM_400000_NS6detail17trampoline_kernelINS0_14default_configENS1_37merge_sort_block_sort_config_selectorIyNS0_10empty_typeEEEZNS1_21merge_sort_block_sortIS3_N6thrust23THRUST_200600_302600_NS6detail15normal_iteratorINS9_10device_ptrIyEEEESE_PS5_SF_11less_div_10IyEEE10hipError_tT0_T1_T2_T3_mRjT4_P12ihipStream_tbNS1_7vsmem_tEEUlT_E_NS1_11comp_targetILNS1_3genE10ELNS1_11target_archE1201ELNS1_3gpuE5ELNS1_3repE0EEENS1_30default_config_static_selectorELNS0_4arch9wavefront6targetE0EEEvSK_.uses_flat_scratch, 0
	.set _ZN7rocprim17ROCPRIM_400000_NS6detail17trampoline_kernelINS0_14default_configENS1_37merge_sort_block_sort_config_selectorIyNS0_10empty_typeEEEZNS1_21merge_sort_block_sortIS3_N6thrust23THRUST_200600_302600_NS6detail15normal_iteratorINS9_10device_ptrIyEEEESE_PS5_SF_11less_div_10IyEEE10hipError_tT0_T1_T2_T3_mRjT4_P12ihipStream_tbNS1_7vsmem_tEEUlT_E_NS1_11comp_targetILNS1_3genE10ELNS1_11target_archE1201ELNS1_3gpuE5ELNS1_3repE0EEENS1_30default_config_static_selectorELNS0_4arch9wavefront6targetE0EEEvSK_.has_dyn_sized_stack, 0
	.set _ZN7rocprim17ROCPRIM_400000_NS6detail17trampoline_kernelINS0_14default_configENS1_37merge_sort_block_sort_config_selectorIyNS0_10empty_typeEEEZNS1_21merge_sort_block_sortIS3_N6thrust23THRUST_200600_302600_NS6detail15normal_iteratorINS9_10device_ptrIyEEEESE_PS5_SF_11less_div_10IyEEE10hipError_tT0_T1_T2_T3_mRjT4_P12ihipStream_tbNS1_7vsmem_tEEUlT_E_NS1_11comp_targetILNS1_3genE10ELNS1_11target_archE1201ELNS1_3gpuE5ELNS1_3repE0EEENS1_30default_config_static_selectorELNS0_4arch9wavefront6targetE0EEEvSK_.has_recursion, 0
	.set _ZN7rocprim17ROCPRIM_400000_NS6detail17trampoline_kernelINS0_14default_configENS1_37merge_sort_block_sort_config_selectorIyNS0_10empty_typeEEEZNS1_21merge_sort_block_sortIS3_N6thrust23THRUST_200600_302600_NS6detail15normal_iteratorINS9_10device_ptrIyEEEESE_PS5_SF_11less_div_10IyEEE10hipError_tT0_T1_T2_T3_mRjT4_P12ihipStream_tbNS1_7vsmem_tEEUlT_E_NS1_11comp_targetILNS1_3genE10ELNS1_11target_archE1201ELNS1_3gpuE5ELNS1_3repE0EEENS1_30default_config_static_selectorELNS0_4arch9wavefront6targetE0EEEvSK_.has_indirect_call, 0
	.section	.AMDGPU.csdata,"",@progbits
; Kernel info:
; codeLenInByte = 0
; TotalNumSgprs: 0
; NumVgprs: 0
; ScratchSize: 0
; MemoryBound: 0
; FloatMode: 240
; IeeeMode: 1
; LDSByteSize: 0 bytes/workgroup (compile time only)
; SGPRBlocks: 0
; VGPRBlocks: 0
; NumSGPRsForWavesPerEU: 1
; NumVGPRsForWavesPerEU: 1
; Occupancy: 16
; WaveLimiterHint : 0
; COMPUTE_PGM_RSRC2:SCRATCH_EN: 0
; COMPUTE_PGM_RSRC2:USER_SGPR: 6
; COMPUTE_PGM_RSRC2:TRAP_HANDLER: 0
; COMPUTE_PGM_RSRC2:TGID_X_EN: 1
; COMPUTE_PGM_RSRC2:TGID_Y_EN: 0
; COMPUTE_PGM_RSRC2:TGID_Z_EN: 0
; COMPUTE_PGM_RSRC2:TIDIG_COMP_CNT: 0
	.section	.text._ZN7rocprim17ROCPRIM_400000_NS6detail17trampoline_kernelINS0_14default_configENS1_37merge_sort_block_sort_config_selectorIyNS0_10empty_typeEEEZNS1_21merge_sort_block_sortIS3_N6thrust23THRUST_200600_302600_NS6detail15normal_iteratorINS9_10device_ptrIyEEEESE_PS5_SF_11less_div_10IyEEE10hipError_tT0_T1_T2_T3_mRjT4_P12ihipStream_tbNS1_7vsmem_tEEUlT_E_NS1_11comp_targetILNS1_3genE10ELNS1_11target_archE1200ELNS1_3gpuE4ELNS1_3repE0EEENS1_30default_config_static_selectorELNS0_4arch9wavefront6targetE0EEEvSK_,"axG",@progbits,_ZN7rocprim17ROCPRIM_400000_NS6detail17trampoline_kernelINS0_14default_configENS1_37merge_sort_block_sort_config_selectorIyNS0_10empty_typeEEEZNS1_21merge_sort_block_sortIS3_N6thrust23THRUST_200600_302600_NS6detail15normal_iteratorINS9_10device_ptrIyEEEESE_PS5_SF_11less_div_10IyEEE10hipError_tT0_T1_T2_T3_mRjT4_P12ihipStream_tbNS1_7vsmem_tEEUlT_E_NS1_11comp_targetILNS1_3genE10ELNS1_11target_archE1200ELNS1_3gpuE4ELNS1_3repE0EEENS1_30default_config_static_selectorELNS0_4arch9wavefront6targetE0EEEvSK_,comdat
	.protected	_ZN7rocprim17ROCPRIM_400000_NS6detail17trampoline_kernelINS0_14default_configENS1_37merge_sort_block_sort_config_selectorIyNS0_10empty_typeEEEZNS1_21merge_sort_block_sortIS3_N6thrust23THRUST_200600_302600_NS6detail15normal_iteratorINS9_10device_ptrIyEEEESE_PS5_SF_11less_div_10IyEEE10hipError_tT0_T1_T2_T3_mRjT4_P12ihipStream_tbNS1_7vsmem_tEEUlT_E_NS1_11comp_targetILNS1_3genE10ELNS1_11target_archE1200ELNS1_3gpuE4ELNS1_3repE0EEENS1_30default_config_static_selectorELNS0_4arch9wavefront6targetE0EEEvSK_ ; -- Begin function _ZN7rocprim17ROCPRIM_400000_NS6detail17trampoline_kernelINS0_14default_configENS1_37merge_sort_block_sort_config_selectorIyNS0_10empty_typeEEEZNS1_21merge_sort_block_sortIS3_N6thrust23THRUST_200600_302600_NS6detail15normal_iteratorINS9_10device_ptrIyEEEESE_PS5_SF_11less_div_10IyEEE10hipError_tT0_T1_T2_T3_mRjT4_P12ihipStream_tbNS1_7vsmem_tEEUlT_E_NS1_11comp_targetILNS1_3genE10ELNS1_11target_archE1200ELNS1_3gpuE4ELNS1_3repE0EEENS1_30default_config_static_selectorELNS0_4arch9wavefront6targetE0EEEvSK_
	.globl	_ZN7rocprim17ROCPRIM_400000_NS6detail17trampoline_kernelINS0_14default_configENS1_37merge_sort_block_sort_config_selectorIyNS0_10empty_typeEEEZNS1_21merge_sort_block_sortIS3_N6thrust23THRUST_200600_302600_NS6detail15normal_iteratorINS9_10device_ptrIyEEEESE_PS5_SF_11less_div_10IyEEE10hipError_tT0_T1_T2_T3_mRjT4_P12ihipStream_tbNS1_7vsmem_tEEUlT_E_NS1_11comp_targetILNS1_3genE10ELNS1_11target_archE1200ELNS1_3gpuE4ELNS1_3repE0EEENS1_30default_config_static_selectorELNS0_4arch9wavefront6targetE0EEEvSK_
	.p2align	8
	.type	_ZN7rocprim17ROCPRIM_400000_NS6detail17trampoline_kernelINS0_14default_configENS1_37merge_sort_block_sort_config_selectorIyNS0_10empty_typeEEEZNS1_21merge_sort_block_sortIS3_N6thrust23THRUST_200600_302600_NS6detail15normal_iteratorINS9_10device_ptrIyEEEESE_PS5_SF_11less_div_10IyEEE10hipError_tT0_T1_T2_T3_mRjT4_P12ihipStream_tbNS1_7vsmem_tEEUlT_E_NS1_11comp_targetILNS1_3genE10ELNS1_11target_archE1200ELNS1_3gpuE4ELNS1_3repE0EEENS1_30default_config_static_selectorELNS0_4arch9wavefront6targetE0EEEvSK_,@function
_ZN7rocprim17ROCPRIM_400000_NS6detail17trampoline_kernelINS0_14default_configENS1_37merge_sort_block_sort_config_selectorIyNS0_10empty_typeEEEZNS1_21merge_sort_block_sortIS3_N6thrust23THRUST_200600_302600_NS6detail15normal_iteratorINS9_10device_ptrIyEEEESE_PS5_SF_11less_div_10IyEEE10hipError_tT0_T1_T2_T3_mRjT4_P12ihipStream_tbNS1_7vsmem_tEEUlT_E_NS1_11comp_targetILNS1_3genE10ELNS1_11target_archE1200ELNS1_3gpuE4ELNS1_3repE0EEENS1_30default_config_static_selectorELNS0_4arch9wavefront6targetE0EEEvSK_: ; @_ZN7rocprim17ROCPRIM_400000_NS6detail17trampoline_kernelINS0_14default_configENS1_37merge_sort_block_sort_config_selectorIyNS0_10empty_typeEEEZNS1_21merge_sort_block_sortIS3_N6thrust23THRUST_200600_302600_NS6detail15normal_iteratorINS9_10device_ptrIyEEEESE_PS5_SF_11less_div_10IyEEE10hipError_tT0_T1_T2_T3_mRjT4_P12ihipStream_tbNS1_7vsmem_tEEUlT_E_NS1_11comp_targetILNS1_3genE10ELNS1_11target_archE1200ELNS1_3gpuE4ELNS1_3repE0EEENS1_30default_config_static_selectorELNS0_4arch9wavefront6targetE0EEEvSK_
; %bb.0:
	.section	.rodata,"a",@progbits
	.p2align	6, 0x0
	.amdhsa_kernel _ZN7rocprim17ROCPRIM_400000_NS6detail17trampoline_kernelINS0_14default_configENS1_37merge_sort_block_sort_config_selectorIyNS0_10empty_typeEEEZNS1_21merge_sort_block_sortIS3_N6thrust23THRUST_200600_302600_NS6detail15normal_iteratorINS9_10device_ptrIyEEEESE_PS5_SF_11less_div_10IyEEE10hipError_tT0_T1_T2_T3_mRjT4_P12ihipStream_tbNS1_7vsmem_tEEUlT_E_NS1_11comp_targetILNS1_3genE10ELNS1_11target_archE1200ELNS1_3gpuE4ELNS1_3repE0EEENS1_30default_config_static_selectorELNS0_4arch9wavefront6targetE0EEEvSK_
		.amdhsa_group_segment_fixed_size 0
		.amdhsa_private_segment_fixed_size 0
		.amdhsa_kernarg_size 64
		.amdhsa_user_sgpr_count 6
		.amdhsa_user_sgpr_private_segment_buffer 1
		.amdhsa_user_sgpr_dispatch_ptr 0
		.amdhsa_user_sgpr_queue_ptr 0
		.amdhsa_user_sgpr_kernarg_segment_ptr 1
		.amdhsa_user_sgpr_dispatch_id 0
		.amdhsa_user_sgpr_flat_scratch_init 0
		.amdhsa_user_sgpr_private_segment_size 0
		.amdhsa_wavefront_size32 1
		.amdhsa_uses_dynamic_stack 0
		.amdhsa_system_sgpr_private_segment_wavefront_offset 0
		.amdhsa_system_sgpr_workgroup_id_x 1
		.amdhsa_system_sgpr_workgroup_id_y 0
		.amdhsa_system_sgpr_workgroup_id_z 0
		.amdhsa_system_sgpr_workgroup_info 0
		.amdhsa_system_vgpr_workitem_id 0
		.amdhsa_next_free_vgpr 1
		.amdhsa_next_free_sgpr 1
		.amdhsa_reserve_vcc 0
		.amdhsa_reserve_flat_scratch 0
		.amdhsa_float_round_mode_32 0
		.amdhsa_float_round_mode_16_64 0
		.amdhsa_float_denorm_mode_32 3
		.amdhsa_float_denorm_mode_16_64 3
		.amdhsa_dx10_clamp 1
		.amdhsa_ieee_mode 1
		.amdhsa_fp16_overflow 0
		.amdhsa_workgroup_processor_mode 1
		.amdhsa_memory_ordered 1
		.amdhsa_forward_progress 1
		.amdhsa_shared_vgpr_count 0
		.amdhsa_exception_fp_ieee_invalid_op 0
		.amdhsa_exception_fp_denorm_src 0
		.amdhsa_exception_fp_ieee_div_zero 0
		.amdhsa_exception_fp_ieee_overflow 0
		.amdhsa_exception_fp_ieee_underflow 0
		.amdhsa_exception_fp_ieee_inexact 0
		.amdhsa_exception_int_div_zero 0
	.end_amdhsa_kernel
	.section	.text._ZN7rocprim17ROCPRIM_400000_NS6detail17trampoline_kernelINS0_14default_configENS1_37merge_sort_block_sort_config_selectorIyNS0_10empty_typeEEEZNS1_21merge_sort_block_sortIS3_N6thrust23THRUST_200600_302600_NS6detail15normal_iteratorINS9_10device_ptrIyEEEESE_PS5_SF_11less_div_10IyEEE10hipError_tT0_T1_T2_T3_mRjT4_P12ihipStream_tbNS1_7vsmem_tEEUlT_E_NS1_11comp_targetILNS1_3genE10ELNS1_11target_archE1200ELNS1_3gpuE4ELNS1_3repE0EEENS1_30default_config_static_selectorELNS0_4arch9wavefront6targetE0EEEvSK_,"axG",@progbits,_ZN7rocprim17ROCPRIM_400000_NS6detail17trampoline_kernelINS0_14default_configENS1_37merge_sort_block_sort_config_selectorIyNS0_10empty_typeEEEZNS1_21merge_sort_block_sortIS3_N6thrust23THRUST_200600_302600_NS6detail15normal_iteratorINS9_10device_ptrIyEEEESE_PS5_SF_11less_div_10IyEEE10hipError_tT0_T1_T2_T3_mRjT4_P12ihipStream_tbNS1_7vsmem_tEEUlT_E_NS1_11comp_targetILNS1_3genE10ELNS1_11target_archE1200ELNS1_3gpuE4ELNS1_3repE0EEENS1_30default_config_static_selectorELNS0_4arch9wavefront6targetE0EEEvSK_,comdat
.Lfunc_end21:
	.size	_ZN7rocprim17ROCPRIM_400000_NS6detail17trampoline_kernelINS0_14default_configENS1_37merge_sort_block_sort_config_selectorIyNS0_10empty_typeEEEZNS1_21merge_sort_block_sortIS3_N6thrust23THRUST_200600_302600_NS6detail15normal_iteratorINS9_10device_ptrIyEEEESE_PS5_SF_11less_div_10IyEEE10hipError_tT0_T1_T2_T3_mRjT4_P12ihipStream_tbNS1_7vsmem_tEEUlT_E_NS1_11comp_targetILNS1_3genE10ELNS1_11target_archE1200ELNS1_3gpuE4ELNS1_3repE0EEENS1_30default_config_static_selectorELNS0_4arch9wavefront6targetE0EEEvSK_, .Lfunc_end21-_ZN7rocprim17ROCPRIM_400000_NS6detail17trampoline_kernelINS0_14default_configENS1_37merge_sort_block_sort_config_selectorIyNS0_10empty_typeEEEZNS1_21merge_sort_block_sortIS3_N6thrust23THRUST_200600_302600_NS6detail15normal_iteratorINS9_10device_ptrIyEEEESE_PS5_SF_11less_div_10IyEEE10hipError_tT0_T1_T2_T3_mRjT4_P12ihipStream_tbNS1_7vsmem_tEEUlT_E_NS1_11comp_targetILNS1_3genE10ELNS1_11target_archE1200ELNS1_3gpuE4ELNS1_3repE0EEENS1_30default_config_static_selectorELNS0_4arch9wavefront6targetE0EEEvSK_
                                        ; -- End function
	.set _ZN7rocprim17ROCPRIM_400000_NS6detail17trampoline_kernelINS0_14default_configENS1_37merge_sort_block_sort_config_selectorIyNS0_10empty_typeEEEZNS1_21merge_sort_block_sortIS3_N6thrust23THRUST_200600_302600_NS6detail15normal_iteratorINS9_10device_ptrIyEEEESE_PS5_SF_11less_div_10IyEEE10hipError_tT0_T1_T2_T3_mRjT4_P12ihipStream_tbNS1_7vsmem_tEEUlT_E_NS1_11comp_targetILNS1_3genE10ELNS1_11target_archE1200ELNS1_3gpuE4ELNS1_3repE0EEENS1_30default_config_static_selectorELNS0_4arch9wavefront6targetE0EEEvSK_.num_vgpr, 0
	.set _ZN7rocprim17ROCPRIM_400000_NS6detail17trampoline_kernelINS0_14default_configENS1_37merge_sort_block_sort_config_selectorIyNS0_10empty_typeEEEZNS1_21merge_sort_block_sortIS3_N6thrust23THRUST_200600_302600_NS6detail15normal_iteratorINS9_10device_ptrIyEEEESE_PS5_SF_11less_div_10IyEEE10hipError_tT0_T1_T2_T3_mRjT4_P12ihipStream_tbNS1_7vsmem_tEEUlT_E_NS1_11comp_targetILNS1_3genE10ELNS1_11target_archE1200ELNS1_3gpuE4ELNS1_3repE0EEENS1_30default_config_static_selectorELNS0_4arch9wavefront6targetE0EEEvSK_.num_agpr, 0
	.set _ZN7rocprim17ROCPRIM_400000_NS6detail17trampoline_kernelINS0_14default_configENS1_37merge_sort_block_sort_config_selectorIyNS0_10empty_typeEEEZNS1_21merge_sort_block_sortIS3_N6thrust23THRUST_200600_302600_NS6detail15normal_iteratorINS9_10device_ptrIyEEEESE_PS5_SF_11less_div_10IyEEE10hipError_tT0_T1_T2_T3_mRjT4_P12ihipStream_tbNS1_7vsmem_tEEUlT_E_NS1_11comp_targetILNS1_3genE10ELNS1_11target_archE1200ELNS1_3gpuE4ELNS1_3repE0EEENS1_30default_config_static_selectorELNS0_4arch9wavefront6targetE0EEEvSK_.numbered_sgpr, 0
	.set _ZN7rocprim17ROCPRIM_400000_NS6detail17trampoline_kernelINS0_14default_configENS1_37merge_sort_block_sort_config_selectorIyNS0_10empty_typeEEEZNS1_21merge_sort_block_sortIS3_N6thrust23THRUST_200600_302600_NS6detail15normal_iteratorINS9_10device_ptrIyEEEESE_PS5_SF_11less_div_10IyEEE10hipError_tT0_T1_T2_T3_mRjT4_P12ihipStream_tbNS1_7vsmem_tEEUlT_E_NS1_11comp_targetILNS1_3genE10ELNS1_11target_archE1200ELNS1_3gpuE4ELNS1_3repE0EEENS1_30default_config_static_selectorELNS0_4arch9wavefront6targetE0EEEvSK_.num_named_barrier, 0
	.set _ZN7rocprim17ROCPRIM_400000_NS6detail17trampoline_kernelINS0_14default_configENS1_37merge_sort_block_sort_config_selectorIyNS0_10empty_typeEEEZNS1_21merge_sort_block_sortIS3_N6thrust23THRUST_200600_302600_NS6detail15normal_iteratorINS9_10device_ptrIyEEEESE_PS5_SF_11less_div_10IyEEE10hipError_tT0_T1_T2_T3_mRjT4_P12ihipStream_tbNS1_7vsmem_tEEUlT_E_NS1_11comp_targetILNS1_3genE10ELNS1_11target_archE1200ELNS1_3gpuE4ELNS1_3repE0EEENS1_30default_config_static_selectorELNS0_4arch9wavefront6targetE0EEEvSK_.private_seg_size, 0
	.set _ZN7rocprim17ROCPRIM_400000_NS6detail17trampoline_kernelINS0_14default_configENS1_37merge_sort_block_sort_config_selectorIyNS0_10empty_typeEEEZNS1_21merge_sort_block_sortIS3_N6thrust23THRUST_200600_302600_NS6detail15normal_iteratorINS9_10device_ptrIyEEEESE_PS5_SF_11less_div_10IyEEE10hipError_tT0_T1_T2_T3_mRjT4_P12ihipStream_tbNS1_7vsmem_tEEUlT_E_NS1_11comp_targetILNS1_3genE10ELNS1_11target_archE1200ELNS1_3gpuE4ELNS1_3repE0EEENS1_30default_config_static_selectorELNS0_4arch9wavefront6targetE0EEEvSK_.uses_vcc, 0
	.set _ZN7rocprim17ROCPRIM_400000_NS6detail17trampoline_kernelINS0_14default_configENS1_37merge_sort_block_sort_config_selectorIyNS0_10empty_typeEEEZNS1_21merge_sort_block_sortIS3_N6thrust23THRUST_200600_302600_NS6detail15normal_iteratorINS9_10device_ptrIyEEEESE_PS5_SF_11less_div_10IyEEE10hipError_tT0_T1_T2_T3_mRjT4_P12ihipStream_tbNS1_7vsmem_tEEUlT_E_NS1_11comp_targetILNS1_3genE10ELNS1_11target_archE1200ELNS1_3gpuE4ELNS1_3repE0EEENS1_30default_config_static_selectorELNS0_4arch9wavefront6targetE0EEEvSK_.uses_flat_scratch, 0
	.set _ZN7rocprim17ROCPRIM_400000_NS6detail17trampoline_kernelINS0_14default_configENS1_37merge_sort_block_sort_config_selectorIyNS0_10empty_typeEEEZNS1_21merge_sort_block_sortIS3_N6thrust23THRUST_200600_302600_NS6detail15normal_iteratorINS9_10device_ptrIyEEEESE_PS5_SF_11less_div_10IyEEE10hipError_tT0_T1_T2_T3_mRjT4_P12ihipStream_tbNS1_7vsmem_tEEUlT_E_NS1_11comp_targetILNS1_3genE10ELNS1_11target_archE1200ELNS1_3gpuE4ELNS1_3repE0EEENS1_30default_config_static_selectorELNS0_4arch9wavefront6targetE0EEEvSK_.has_dyn_sized_stack, 0
	.set _ZN7rocprim17ROCPRIM_400000_NS6detail17trampoline_kernelINS0_14default_configENS1_37merge_sort_block_sort_config_selectorIyNS0_10empty_typeEEEZNS1_21merge_sort_block_sortIS3_N6thrust23THRUST_200600_302600_NS6detail15normal_iteratorINS9_10device_ptrIyEEEESE_PS5_SF_11less_div_10IyEEE10hipError_tT0_T1_T2_T3_mRjT4_P12ihipStream_tbNS1_7vsmem_tEEUlT_E_NS1_11comp_targetILNS1_3genE10ELNS1_11target_archE1200ELNS1_3gpuE4ELNS1_3repE0EEENS1_30default_config_static_selectorELNS0_4arch9wavefront6targetE0EEEvSK_.has_recursion, 0
	.set _ZN7rocprim17ROCPRIM_400000_NS6detail17trampoline_kernelINS0_14default_configENS1_37merge_sort_block_sort_config_selectorIyNS0_10empty_typeEEEZNS1_21merge_sort_block_sortIS3_N6thrust23THRUST_200600_302600_NS6detail15normal_iteratorINS9_10device_ptrIyEEEESE_PS5_SF_11less_div_10IyEEE10hipError_tT0_T1_T2_T3_mRjT4_P12ihipStream_tbNS1_7vsmem_tEEUlT_E_NS1_11comp_targetILNS1_3genE10ELNS1_11target_archE1200ELNS1_3gpuE4ELNS1_3repE0EEENS1_30default_config_static_selectorELNS0_4arch9wavefront6targetE0EEEvSK_.has_indirect_call, 0
	.section	.AMDGPU.csdata,"",@progbits
; Kernel info:
; codeLenInByte = 0
; TotalNumSgprs: 0
; NumVgprs: 0
; ScratchSize: 0
; MemoryBound: 0
; FloatMode: 240
; IeeeMode: 1
; LDSByteSize: 0 bytes/workgroup (compile time only)
; SGPRBlocks: 0
; VGPRBlocks: 0
; NumSGPRsForWavesPerEU: 1
; NumVGPRsForWavesPerEU: 1
; Occupancy: 16
; WaveLimiterHint : 0
; COMPUTE_PGM_RSRC2:SCRATCH_EN: 0
; COMPUTE_PGM_RSRC2:USER_SGPR: 6
; COMPUTE_PGM_RSRC2:TRAP_HANDLER: 0
; COMPUTE_PGM_RSRC2:TGID_X_EN: 1
; COMPUTE_PGM_RSRC2:TGID_Y_EN: 0
; COMPUTE_PGM_RSRC2:TGID_Z_EN: 0
; COMPUTE_PGM_RSRC2:TIDIG_COMP_CNT: 0
	.section	.text._ZN7rocprim17ROCPRIM_400000_NS6detail17trampoline_kernelINS0_14default_configENS1_37merge_sort_block_sort_config_selectorIyNS0_10empty_typeEEEZNS1_21merge_sort_block_sortIS3_N6thrust23THRUST_200600_302600_NS6detail15normal_iteratorINS9_10device_ptrIyEEEESE_PS5_SF_11less_div_10IyEEE10hipError_tT0_T1_T2_T3_mRjT4_P12ihipStream_tbNS1_7vsmem_tEEUlT_E_NS1_11comp_targetILNS1_3genE9ELNS1_11target_archE1100ELNS1_3gpuE3ELNS1_3repE0EEENS1_30default_config_static_selectorELNS0_4arch9wavefront6targetE0EEEvSK_,"axG",@progbits,_ZN7rocprim17ROCPRIM_400000_NS6detail17trampoline_kernelINS0_14default_configENS1_37merge_sort_block_sort_config_selectorIyNS0_10empty_typeEEEZNS1_21merge_sort_block_sortIS3_N6thrust23THRUST_200600_302600_NS6detail15normal_iteratorINS9_10device_ptrIyEEEESE_PS5_SF_11less_div_10IyEEE10hipError_tT0_T1_T2_T3_mRjT4_P12ihipStream_tbNS1_7vsmem_tEEUlT_E_NS1_11comp_targetILNS1_3genE9ELNS1_11target_archE1100ELNS1_3gpuE3ELNS1_3repE0EEENS1_30default_config_static_selectorELNS0_4arch9wavefront6targetE0EEEvSK_,comdat
	.protected	_ZN7rocprim17ROCPRIM_400000_NS6detail17trampoline_kernelINS0_14default_configENS1_37merge_sort_block_sort_config_selectorIyNS0_10empty_typeEEEZNS1_21merge_sort_block_sortIS3_N6thrust23THRUST_200600_302600_NS6detail15normal_iteratorINS9_10device_ptrIyEEEESE_PS5_SF_11less_div_10IyEEE10hipError_tT0_T1_T2_T3_mRjT4_P12ihipStream_tbNS1_7vsmem_tEEUlT_E_NS1_11comp_targetILNS1_3genE9ELNS1_11target_archE1100ELNS1_3gpuE3ELNS1_3repE0EEENS1_30default_config_static_selectorELNS0_4arch9wavefront6targetE0EEEvSK_ ; -- Begin function _ZN7rocprim17ROCPRIM_400000_NS6detail17trampoline_kernelINS0_14default_configENS1_37merge_sort_block_sort_config_selectorIyNS0_10empty_typeEEEZNS1_21merge_sort_block_sortIS3_N6thrust23THRUST_200600_302600_NS6detail15normal_iteratorINS9_10device_ptrIyEEEESE_PS5_SF_11less_div_10IyEEE10hipError_tT0_T1_T2_T3_mRjT4_P12ihipStream_tbNS1_7vsmem_tEEUlT_E_NS1_11comp_targetILNS1_3genE9ELNS1_11target_archE1100ELNS1_3gpuE3ELNS1_3repE0EEENS1_30default_config_static_selectorELNS0_4arch9wavefront6targetE0EEEvSK_
	.globl	_ZN7rocprim17ROCPRIM_400000_NS6detail17trampoline_kernelINS0_14default_configENS1_37merge_sort_block_sort_config_selectorIyNS0_10empty_typeEEEZNS1_21merge_sort_block_sortIS3_N6thrust23THRUST_200600_302600_NS6detail15normal_iteratorINS9_10device_ptrIyEEEESE_PS5_SF_11less_div_10IyEEE10hipError_tT0_T1_T2_T3_mRjT4_P12ihipStream_tbNS1_7vsmem_tEEUlT_E_NS1_11comp_targetILNS1_3genE9ELNS1_11target_archE1100ELNS1_3gpuE3ELNS1_3repE0EEENS1_30default_config_static_selectorELNS0_4arch9wavefront6targetE0EEEvSK_
	.p2align	8
	.type	_ZN7rocprim17ROCPRIM_400000_NS6detail17trampoline_kernelINS0_14default_configENS1_37merge_sort_block_sort_config_selectorIyNS0_10empty_typeEEEZNS1_21merge_sort_block_sortIS3_N6thrust23THRUST_200600_302600_NS6detail15normal_iteratorINS9_10device_ptrIyEEEESE_PS5_SF_11less_div_10IyEEE10hipError_tT0_T1_T2_T3_mRjT4_P12ihipStream_tbNS1_7vsmem_tEEUlT_E_NS1_11comp_targetILNS1_3genE9ELNS1_11target_archE1100ELNS1_3gpuE3ELNS1_3repE0EEENS1_30default_config_static_selectorELNS0_4arch9wavefront6targetE0EEEvSK_,@function
_ZN7rocprim17ROCPRIM_400000_NS6detail17trampoline_kernelINS0_14default_configENS1_37merge_sort_block_sort_config_selectorIyNS0_10empty_typeEEEZNS1_21merge_sort_block_sortIS3_N6thrust23THRUST_200600_302600_NS6detail15normal_iteratorINS9_10device_ptrIyEEEESE_PS5_SF_11less_div_10IyEEE10hipError_tT0_T1_T2_T3_mRjT4_P12ihipStream_tbNS1_7vsmem_tEEUlT_E_NS1_11comp_targetILNS1_3genE9ELNS1_11target_archE1100ELNS1_3gpuE3ELNS1_3repE0EEENS1_30default_config_static_selectorELNS0_4arch9wavefront6targetE0EEEvSK_: ; @_ZN7rocprim17ROCPRIM_400000_NS6detail17trampoline_kernelINS0_14default_configENS1_37merge_sort_block_sort_config_selectorIyNS0_10empty_typeEEEZNS1_21merge_sort_block_sortIS3_N6thrust23THRUST_200600_302600_NS6detail15normal_iteratorINS9_10device_ptrIyEEEESE_PS5_SF_11less_div_10IyEEE10hipError_tT0_T1_T2_T3_mRjT4_P12ihipStream_tbNS1_7vsmem_tEEUlT_E_NS1_11comp_targetILNS1_3genE9ELNS1_11target_archE1100ELNS1_3gpuE3ELNS1_3repE0EEENS1_30default_config_static_selectorELNS0_4arch9wavefront6targetE0EEEvSK_
; %bb.0:
	.section	.rodata,"a",@progbits
	.p2align	6, 0x0
	.amdhsa_kernel _ZN7rocprim17ROCPRIM_400000_NS6detail17trampoline_kernelINS0_14default_configENS1_37merge_sort_block_sort_config_selectorIyNS0_10empty_typeEEEZNS1_21merge_sort_block_sortIS3_N6thrust23THRUST_200600_302600_NS6detail15normal_iteratorINS9_10device_ptrIyEEEESE_PS5_SF_11less_div_10IyEEE10hipError_tT0_T1_T2_T3_mRjT4_P12ihipStream_tbNS1_7vsmem_tEEUlT_E_NS1_11comp_targetILNS1_3genE9ELNS1_11target_archE1100ELNS1_3gpuE3ELNS1_3repE0EEENS1_30default_config_static_selectorELNS0_4arch9wavefront6targetE0EEEvSK_
		.amdhsa_group_segment_fixed_size 0
		.amdhsa_private_segment_fixed_size 0
		.amdhsa_kernarg_size 64
		.amdhsa_user_sgpr_count 6
		.amdhsa_user_sgpr_private_segment_buffer 1
		.amdhsa_user_sgpr_dispatch_ptr 0
		.amdhsa_user_sgpr_queue_ptr 0
		.amdhsa_user_sgpr_kernarg_segment_ptr 1
		.amdhsa_user_sgpr_dispatch_id 0
		.amdhsa_user_sgpr_flat_scratch_init 0
		.amdhsa_user_sgpr_private_segment_size 0
		.amdhsa_wavefront_size32 1
		.amdhsa_uses_dynamic_stack 0
		.amdhsa_system_sgpr_private_segment_wavefront_offset 0
		.amdhsa_system_sgpr_workgroup_id_x 1
		.amdhsa_system_sgpr_workgroup_id_y 0
		.amdhsa_system_sgpr_workgroup_id_z 0
		.amdhsa_system_sgpr_workgroup_info 0
		.amdhsa_system_vgpr_workitem_id 0
		.amdhsa_next_free_vgpr 1
		.amdhsa_next_free_sgpr 1
		.amdhsa_reserve_vcc 0
		.amdhsa_reserve_flat_scratch 0
		.amdhsa_float_round_mode_32 0
		.amdhsa_float_round_mode_16_64 0
		.amdhsa_float_denorm_mode_32 3
		.amdhsa_float_denorm_mode_16_64 3
		.amdhsa_dx10_clamp 1
		.amdhsa_ieee_mode 1
		.amdhsa_fp16_overflow 0
		.amdhsa_workgroup_processor_mode 1
		.amdhsa_memory_ordered 1
		.amdhsa_forward_progress 1
		.amdhsa_shared_vgpr_count 0
		.amdhsa_exception_fp_ieee_invalid_op 0
		.amdhsa_exception_fp_denorm_src 0
		.amdhsa_exception_fp_ieee_div_zero 0
		.amdhsa_exception_fp_ieee_overflow 0
		.amdhsa_exception_fp_ieee_underflow 0
		.amdhsa_exception_fp_ieee_inexact 0
		.amdhsa_exception_int_div_zero 0
	.end_amdhsa_kernel
	.section	.text._ZN7rocprim17ROCPRIM_400000_NS6detail17trampoline_kernelINS0_14default_configENS1_37merge_sort_block_sort_config_selectorIyNS0_10empty_typeEEEZNS1_21merge_sort_block_sortIS3_N6thrust23THRUST_200600_302600_NS6detail15normal_iteratorINS9_10device_ptrIyEEEESE_PS5_SF_11less_div_10IyEEE10hipError_tT0_T1_T2_T3_mRjT4_P12ihipStream_tbNS1_7vsmem_tEEUlT_E_NS1_11comp_targetILNS1_3genE9ELNS1_11target_archE1100ELNS1_3gpuE3ELNS1_3repE0EEENS1_30default_config_static_selectorELNS0_4arch9wavefront6targetE0EEEvSK_,"axG",@progbits,_ZN7rocprim17ROCPRIM_400000_NS6detail17trampoline_kernelINS0_14default_configENS1_37merge_sort_block_sort_config_selectorIyNS0_10empty_typeEEEZNS1_21merge_sort_block_sortIS3_N6thrust23THRUST_200600_302600_NS6detail15normal_iteratorINS9_10device_ptrIyEEEESE_PS5_SF_11less_div_10IyEEE10hipError_tT0_T1_T2_T3_mRjT4_P12ihipStream_tbNS1_7vsmem_tEEUlT_E_NS1_11comp_targetILNS1_3genE9ELNS1_11target_archE1100ELNS1_3gpuE3ELNS1_3repE0EEENS1_30default_config_static_selectorELNS0_4arch9wavefront6targetE0EEEvSK_,comdat
.Lfunc_end22:
	.size	_ZN7rocprim17ROCPRIM_400000_NS6detail17trampoline_kernelINS0_14default_configENS1_37merge_sort_block_sort_config_selectorIyNS0_10empty_typeEEEZNS1_21merge_sort_block_sortIS3_N6thrust23THRUST_200600_302600_NS6detail15normal_iteratorINS9_10device_ptrIyEEEESE_PS5_SF_11less_div_10IyEEE10hipError_tT0_T1_T2_T3_mRjT4_P12ihipStream_tbNS1_7vsmem_tEEUlT_E_NS1_11comp_targetILNS1_3genE9ELNS1_11target_archE1100ELNS1_3gpuE3ELNS1_3repE0EEENS1_30default_config_static_selectorELNS0_4arch9wavefront6targetE0EEEvSK_, .Lfunc_end22-_ZN7rocprim17ROCPRIM_400000_NS6detail17trampoline_kernelINS0_14default_configENS1_37merge_sort_block_sort_config_selectorIyNS0_10empty_typeEEEZNS1_21merge_sort_block_sortIS3_N6thrust23THRUST_200600_302600_NS6detail15normal_iteratorINS9_10device_ptrIyEEEESE_PS5_SF_11less_div_10IyEEE10hipError_tT0_T1_T2_T3_mRjT4_P12ihipStream_tbNS1_7vsmem_tEEUlT_E_NS1_11comp_targetILNS1_3genE9ELNS1_11target_archE1100ELNS1_3gpuE3ELNS1_3repE0EEENS1_30default_config_static_selectorELNS0_4arch9wavefront6targetE0EEEvSK_
                                        ; -- End function
	.set _ZN7rocprim17ROCPRIM_400000_NS6detail17trampoline_kernelINS0_14default_configENS1_37merge_sort_block_sort_config_selectorIyNS0_10empty_typeEEEZNS1_21merge_sort_block_sortIS3_N6thrust23THRUST_200600_302600_NS6detail15normal_iteratorINS9_10device_ptrIyEEEESE_PS5_SF_11less_div_10IyEEE10hipError_tT0_T1_T2_T3_mRjT4_P12ihipStream_tbNS1_7vsmem_tEEUlT_E_NS1_11comp_targetILNS1_3genE9ELNS1_11target_archE1100ELNS1_3gpuE3ELNS1_3repE0EEENS1_30default_config_static_selectorELNS0_4arch9wavefront6targetE0EEEvSK_.num_vgpr, 0
	.set _ZN7rocprim17ROCPRIM_400000_NS6detail17trampoline_kernelINS0_14default_configENS1_37merge_sort_block_sort_config_selectorIyNS0_10empty_typeEEEZNS1_21merge_sort_block_sortIS3_N6thrust23THRUST_200600_302600_NS6detail15normal_iteratorINS9_10device_ptrIyEEEESE_PS5_SF_11less_div_10IyEEE10hipError_tT0_T1_T2_T3_mRjT4_P12ihipStream_tbNS1_7vsmem_tEEUlT_E_NS1_11comp_targetILNS1_3genE9ELNS1_11target_archE1100ELNS1_3gpuE3ELNS1_3repE0EEENS1_30default_config_static_selectorELNS0_4arch9wavefront6targetE0EEEvSK_.num_agpr, 0
	.set _ZN7rocprim17ROCPRIM_400000_NS6detail17trampoline_kernelINS0_14default_configENS1_37merge_sort_block_sort_config_selectorIyNS0_10empty_typeEEEZNS1_21merge_sort_block_sortIS3_N6thrust23THRUST_200600_302600_NS6detail15normal_iteratorINS9_10device_ptrIyEEEESE_PS5_SF_11less_div_10IyEEE10hipError_tT0_T1_T2_T3_mRjT4_P12ihipStream_tbNS1_7vsmem_tEEUlT_E_NS1_11comp_targetILNS1_3genE9ELNS1_11target_archE1100ELNS1_3gpuE3ELNS1_3repE0EEENS1_30default_config_static_selectorELNS0_4arch9wavefront6targetE0EEEvSK_.numbered_sgpr, 0
	.set _ZN7rocprim17ROCPRIM_400000_NS6detail17trampoline_kernelINS0_14default_configENS1_37merge_sort_block_sort_config_selectorIyNS0_10empty_typeEEEZNS1_21merge_sort_block_sortIS3_N6thrust23THRUST_200600_302600_NS6detail15normal_iteratorINS9_10device_ptrIyEEEESE_PS5_SF_11less_div_10IyEEE10hipError_tT0_T1_T2_T3_mRjT4_P12ihipStream_tbNS1_7vsmem_tEEUlT_E_NS1_11comp_targetILNS1_3genE9ELNS1_11target_archE1100ELNS1_3gpuE3ELNS1_3repE0EEENS1_30default_config_static_selectorELNS0_4arch9wavefront6targetE0EEEvSK_.num_named_barrier, 0
	.set _ZN7rocprim17ROCPRIM_400000_NS6detail17trampoline_kernelINS0_14default_configENS1_37merge_sort_block_sort_config_selectorIyNS0_10empty_typeEEEZNS1_21merge_sort_block_sortIS3_N6thrust23THRUST_200600_302600_NS6detail15normal_iteratorINS9_10device_ptrIyEEEESE_PS5_SF_11less_div_10IyEEE10hipError_tT0_T1_T2_T3_mRjT4_P12ihipStream_tbNS1_7vsmem_tEEUlT_E_NS1_11comp_targetILNS1_3genE9ELNS1_11target_archE1100ELNS1_3gpuE3ELNS1_3repE0EEENS1_30default_config_static_selectorELNS0_4arch9wavefront6targetE0EEEvSK_.private_seg_size, 0
	.set _ZN7rocprim17ROCPRIM_400000_NS6detail17trampoline_kernelINS0_14default_configENS1_37merge_sort_block_sort_config_selectorIyNS0_10empty_typeEEEZNS1_21merge_sort_block_sortIS3_N6thrust23THRUST_200600_302600_NS6detail15normal_iteratorINS9_10device_ptrIyEEEESE_PS5_SF_11less_div_10IyEEE10hipError_tT0_T1_T2_T3_mRjT4_P12ihipStream_tbNS1_7vsmem_tEEUlT_E_NS1_11comp_targetILNS1_3genE9ELNS1_11target_archE1100ELNS1_3gpuE3ELNS1_3repE0EEENS1_30default_config_static_selectorELNS0_4arch9wavefront6targetE0EEEvSK_.uses_vcc, 0
	.set _ZN7rocprim17ROCPRIM_400000_NS6detail17trampoline_kernelINS0_14default_configENS1_37merge_sort_block_sort_config_selectorIyNS0_10empty_typeEEEZNS1_21merge_sort_block_sortIS3_N6thrust23THRUST_200600_302600_NS6detail15normal_iteratorINS9_10device_ptrIyEEEESE_PS5_SF_11less_div_10IyEEE10hipError_tT0_T1_T2_T3_mRjT4_P12ihipStream_tbNS1_7vsmem_tEEUlT_E_NS1_11comp_targetILNS1_3genE9ELNS1_11target_archE1100ELNS1_3gpuE3ELNS1_3repE0EEENS1_30default_config_static_selectorELNS0_4arch9wavefront6targetE0EEEvSK_.uses_flat_scratch, 0
	.set _ZN7rocprim17ROCPRIM_400000_NS6detail17trampoline_kernelINS0_14default_configENS1_37merge_sort_block_sort_config_selectorIyNS0_10empty_typeEEEZNS1_21merge_sort_block_sortIS3_N6thrust23THRUST_200600_302600_NS6detail15normal_iteratorINS9_10device_ptrIyEEEESE_PS5_SF_11less_div_10IyEEE10hipError_tT0_T1_T2_T3_mRjT4_P12ihipStream_tbNS1_7vsmem_tEEUlT_E_NS1_11comp_targetILNS1_3genE9ELNS1_11target_archE1100ELNS1_3gpuE3ELNS1_3repE0EEENS1_30default_config_static_selectorELNS0_4arch9wavefront6targetE0EEEvSK_.has_dyn_sized_stack, 0
	.set _ZN7rocprim17ROCPRIM_400000_NS6detail17trampoline_kernelINS0_14default_configENS1_37merge_sort_block_sort_config_selectorIyNS0_10empty_typeEEEZNS1_21merge_sort_block_sortIS3_N6thrust23THRUST_200600_302600_NS6detail15normal_iteratorINS9_10device_ptrIyEEEESE_PS5_SF_11less_div_10IyEEE10hipError_tT0_T1_T2_T3_mRjT4_P12ihipStream_tbNS1_7vsmem_tEEUlT_E_NS1_11comp_targetILNS1_3genE9ELNS1_11target_archE1100ELNS1_3gpuE3ELNS1_3repE0EEENS1_30default_config_static_selectorELNS0_4arch9wavefront6targetE0EEEvSK_.has_recursion, 0
	.set _ZN7rocprim17ROCPRIM_400000_NS6detail17trampoline_kernelINS0_14default_configENS1_37merge_sort_block_sort_config_selectorIyNS0_10empty_typeEEEZNS1_21merge_sort_block_sortIS3_N6thrust23THRUST_200600_302600_NS6detail15normal_iteratorINS9_10device_ptrIyEEEESE_PS5_SF_11less_div_10IyEEE10hipError_tT0_T1_T2_T3_mRjT4_P12ihipStream_tbNS1_7vsmem_tEEUlT_E_NS1_11comp_targetILNS1_3genE9ELNS1_11target_archE1100ELNS1_3gpuE3ELNS1_3repE0EEENS1_30default_config_static_selectorELNS0_4arch9wavefront6targetE0EEEvSK_.has_indirect_call, 0
	.section	.AMDGPU.csdata,"",@progbits
; Kernel info:
; codeLenInByte = 0
; TotalNumSgprs: 0
; NumVgprs: 0
; ScratchSize: 0
; MemoryBound: 0
; FloatMode: 240
; IeeeMode: 1
; LDSByteSize: 0 bytes/workgroup (compile time only)
; SGPRBlocks: 0
; VGPRBlocks: 0
; NumSGPRsForWavesPerEU: 1
; NumVGPRsForWavesPerEU: 1
; Occupancy: 16
; WaveLimiterHint : 0
; COMPUTE_PGM_RSRC2:SCRATCH_EN: 0
; COMPUTE_PGM_RSRC2:USER_SGPR: 6
; COMPUTE_PGM_RSRC2:TRAP_HANDLER: 0
; COMPUTE_PGM_RSRC2:TGID_X_EN: 1
; COMPUTE_PGM_RSRC2:TGID_Y_EN: 0
; COMPUTE_PGM_RSRC2:TGID_Z_EN: 0
; COMPUTE_PGM_RSRC2:TIDIG_COMP_CNT: 0
	.section	.text._ZN7rocprim17ROCPRIM_400000_NS6detail17trampoline_kernelINS0_14default_configENS1_37merge_sort_block_sort_config_selectorIyNS0_10empty_typeEEEZNS1_21merge_sort_block_sortIS3_N6thrust23THRUST_200600_302600_NS6detail15normal_iteratorINS9_10device_ptrIyEEEESE_PS5_SF_11less_div_10IyEEE10hipError_tT0_T1_T2_T3_mRjT4_P12ihipStream_tbNS1_7vsmem_tEEUlT_E_NS1_11comp_targetILNS1_3genE8ELNS1_11target_archE1030ELNS1_3gpuE2ELNS1_3repE0EEENS1_30default_config_static_selectorELNS0_4arch9wavefront6targetE0EEEvSK_,"axG",@progbits,_ZN7rocprim17ROCPRIM_400000_NS6detail17trampoline_kernelINS0_14default_configENS1_37merge_sort_block_sort_config_selectorIyNS0_10empty_typeEEEZNS1_21merge_sort_block_sortIS3_N6thrust23THRUST_200600_302600_NS6detail15normal_iteratorINS9_10device_ptrIyEEEESE_PS5_SF_11less_div_10IyEEE10hipError_tT0_T1_T2_T3_mRjT4_P12ihipStream_tbNS1_7vsmem_tEEUlT_E_NS1_11comp_targetILNS1_3genE8ELNS1_11target_archE1030ELNS1_3gpuE2ELNS1_3repE0EEENS1_30default_config_static_selectorELNS0_4arch9wavefront6targetE0EEEvSK_,comdat
	.protected	_ZN7rocprim17ROCPRIM_400000_NS6detail17trampoline_kernelINS0_14default_configENS1_37merge_sort_block_sort_config_selectorIyNS0_10empty_typeEEEZNS1_21merge_sort_block_sortIS3_N6thrust23THRUST_200600_302600_NS6detail15normal_iteratorINS9_10device_ptrIyEEEESE_PS5_SF_11less_div_10IyEEE10hipError_tT0_T1_T2_T3_mRjT4_P12ihipStream_tbNS1_7vsmem_tEEUlT_E_NS1_11comp_targetILNS1_3genE8ELNS1_11target_archE1030ELNS1_3gpuE2ELNS1_3repE0EEENS1_30default_config_static_selectorELNS0_4arch9wavefront6targetE0EEEvSK_ ; -- Begin function _ZN7rocprim17ROCPRIM_400000_NS6detail17trampoline_kernelINS0_14default_configENS1_37merge_sort_block_sort_config_selectorIyNS0_10empty_typeEEEZNS1_21merge_sort_block_sortIS3_N6thrust23THRUST_200600_302600_NS6detail15normal_iteratorINS9_10device_ptrIyEEEESE_PS5_SF_11less_div_10IyEEE10hipError_tT0_T1_T2_T3_mRjT4_P12ihipStream_tbNS1_7vsmem_tEEUlT_E_NS1_11comp_targetILNS1_3genE8ELNS1_11target_archE1030ELNS1_3gpuE2ELNS1_3repE0EEENS1_30default_config_static_selectorELNS0_4arch9wavefront6targetE0EEEvSK_
	.globl	_ZN7rocprim17ROCPRIM_400000_NS6detail17trampoline_kernelINS0_14default_configENS1_37merge_sort_block_sort_config_selectorIyNS0_10empty_typeEEEZNS1_21merge_sort_block_sortIS3_N6thrust23THRUST_200600_302600_NS6detail15normal_iteratorINS9_10device_ptrIyEEEESE_PS5_SF_11less_div_10IyEEE10hipError_tT0_T1_T2_T3_mRjT4_P12ihipStream_tbNS1_7vsmem_tEEUlT_E_NS1_11comp_targetILNS1_3genE8ELNS1_11target_archE1030ELNS1_3gpuE2ELNS1_3repE0EEENS1_30default_config_static_selectorELNS0_4arch9wavefront6targetE0EEEvSK_
	.p2align	8
	.type	_ZN7rocprim17ROCPRIM_400000_NS6detail17trampoline_kernelINS0_14default_configENS1_37merge_sort_block_sort_config_selectorIyNS0_10empty_typeEEEZNS1_21merge_sort_block_sortIS3_N6thrust23THRUST_200600_302600_NS6detail15normal_iteratorINS9_10device_ptrIyEEEESE_PS5_SF_11less_div_10IyEEE10hipError_tT0_T1_T2_T3_mRjT4_P12ihipStream_tbNS1_7vsmem_tEEUlT_E_NS1_11comp_targetILNS1_3genE8ELNS1_11target_archE1030ELNS1_3gpuE2ELNS1_3repE0EEENS1_30default_config_static_selectorELNS0_4arch9wavefront6targetE0EEEvSK_,@function
_ZN7rocprim17ROCPRIM_400000_NS6detail17trampoline_kernelINS0_14default_configENS1_37merge_sort_block_sort_config_selectorIyNS0_10empty_typeEEEZNS1_21merge_sort_block_sortIS3_N6thrust23THRUST_200600_302600_NS6detail15normal_iteratorINS9_10device_ptrIyEEEESE_PS5_SF_11less_div_10IyEEE10hipError_tT0_T1_T2_T3_mRjT4_P12ihipStream_tbNS1_7vsmem_tEEUlT_E_NS1_11comp_targetILNS1_3genE8ELNS1_11target_archE1030ELNS1_3gpuE2ELNS1_3repE0EEENS1_30default_config_static_selectorELNS0_4arch9wavefront6targetE0EEEvSK_: ; @_ZN7rocprim17ROCPRIM_400000_NS6detail17trampoline_kernelINS0_14default_configENS1_37merge_sort_block_sort_config_selectorIyNS0_10empty_typeEEEZNS1_21merge_sort_block_sortIS3_N6thrust23THRUST_200600_302600_NS6detail15normal_iteratorINS9_10device_ptrIyEEEESE_PS5_SF_11less_div_10IyEEE10hipError_tT0_T1_T2_T3_mRjT4_P12ihipStream_tbNS1_7vsmem_tEEUlT_E_NS1_11comp_targetILNS1_3genE8ELNS1_11target_archE1030ELNS1_3gpuE2ELNS1_3repE0EEENS1_30default_config_static_selectorELNS0_4arch9wavefront6targetE0EEEvSK_
; %bb.0:
	s_clause 0x1
	s_load_dwordx2 s[10:11], s[4:5], 0x40
	s_load_dword s0, s[4:5], 0x0
	s_add_u32 s2, s4, 64
	s_addc_u32 s3, s5, 0
	s_waitcnt lgkmcnt(0)
	s_mul_i32 s1, s11, s8
	s_add_i32 s1, s1, s7
	s_mul_i32 s1, s1, s10
	s_add_i32 s8, s1, s6
	s_cmp_ge_u32 s8, s0
	s_cbranch_scc1 .LBB23_345
; %bb.1:
	s_clause 0x1
	s_load_dwordx2 s[12:13], s[4:5], 0x8
	s_load_dwordx4 s[16:19], s[4:5], 0x18
	s_mov_b32 s9, 0
	v_mov_b32_e32 v3, v1
	s_lshl_b64 s[0:1], s[8:9], 13
	v_lshlrev_b32_e32 v28, 3, v0
	v_lshrrev_b32_e32 v30, 2, v0
	v_or_b32_e32 v33, 0x100, v0
	v_or_b32_e32 v32, 0x200, v0
	;; [unrolled: 1-line block ×3, first 2 shown]
	v_and_b32_e32 v29, 0xf8, v0
	s_waitcnt lgkmcnt(0)
	s_lshr_b64 s[14:15], s[12:13], 10
	s_add_u32 s4, s16, s0
	s_addc_u32 s5, s17, s1
	s_add_u32 s11, s18, s0
	s_addc_u32 s13, s19, s1
	s_cmp_lg_u64 s[14:15], s[8:9]
	s_cbranch_scc0 .LBB23_205
; %bb.2:
	v_add_co_u32 v4, s0, s4, v28
	v_add_co_ci_u32_e64 v5, null, s5, 0, s0
	v_lshrrev_b32_e32 v1, 2, v33
	v_add_co_u32 v6, vcc_lo, 0x800, v4
	v_add_co_ci_u32_e64 v7, null, 0, v5, vcc_lo
	v_add_co_u32 v8, vcc_lo, 0x1000, v4
	v_add_co_ci_u32_e64 v9, null, 0, v5, vcc_lo
	v_add_co_u32 v10, vcc_lo, 0x1800, v4
	v_add_co_ci_u32_e64 v11, null, 0, v5, vcc_lo
	s_clause 0x3
	flat_load_dwordx2 v[4:5], v[4:5]
	flat_load_dwordx2 v[6:7], v[6:7]
	flat_load_dwordx2 v[8:9], v[8:9]
	flat_load_dwordx2 v[10:11], v[10:11]
	v_lshrrev_b32_e32 v12, 2, v32
	v_lshrrev_b32_e32 v13, 2, v31
	v_and_b32_e32 v14, 56, v30
	v_and_b32_e32 v1, 0x78, v1
	v_lshl_add_u32 v38, v0, 5, v29
	v_and_b32_e32 v12, 0xb8, v12
	v_and_b32_e32 v13, 0xf8, v13
	v_add_nc_u32_e32 v34, v14, v28
	v_add_nc_u32_e32 v35, v1, v28
	v_mov_b32_e32 v1, 0
	v_add_nc_u32_e32 v36, v12, v28
	v_add_nc_u32_e32 v37, v13, v28
	s_waitcnt vmcnt(3) lgkmcnt(3)
	ds_write_b64 v34, v[4:5]
	s_waitcnt vmcnt(2) lgkmcnt(3)
	ds_write_b64 v35, v[6:7] offset:2048
	s_waitcnt vmcnt(1) lgkmcnt(3)
	ds_write_b64 v36, v[8:9] offset:4096
	;; [unrolled: 2-line block ×3, first 2 shown]
	s_waitcnt lgkmcnt(0)
	s_barrier
	buffer_gl0_inv
	ds_read2_b64 v[12:15], v38 offset1:1
	ds_read2_b64 v[16:19], v38 offset0:2 offset1:3
	s_waitcnt lgkmcnt(0)
	s_barrier
	buffer_gl0_inv
	s_load_dword s0, s[2:3], 0xc
	s_waitcnt lgkmcnt(0)
	s_lshr_b32 s7, s0, 16
	s_cmp_lt_u32 s6, s10
	v_mad_u32_u24 v5, v2, s7, v3
	s_cselect_b32 s0, 12, 18
	s_mov_b32 s7, exec_lo
	s_add_u32 s0, s2, s0
	s_addc_u32 s1, s3, 0
	global_load_ushort v4, v1, s[0:1]
	s_waitcnt vmcnt(0)
	v_mul_lo_u32 v4, v5, v4
	v_add_lshl_u32 v39, v4, v0, 2
	v_mov_b32_e32 v4, v12
	v_mov_b32_e32 v5, v13
	;; [unrolled: 1-line block ×8, first 2 shown]
	v_cmpx_gt_u32_e32 0x400, v39
	s_cbranch_execz .LBB23_12
; %bb.3:
	v_mul_hi_i32 v4, 0x66666667, v14
	v_mul_hi_i32 v5, 0x66666667, v12
	;; [unrolled: 1-line block ×4, first 2 shown]
	v_mov_b32_e32 v24, v16
	v_mov_b32_e32 v25, v17
	v_mov_b32_e32 v26, v18
	v_mov_b32_e32 v27, v19
	v_lshrrev_b32_e32 v8, 31, v4
	v_ashrrev_i32_e32 v4, 2, v4
	v_lshrrev_b32_e32 v9, 31, v5
	v_ashrrev_i32_e32 v5, 2, v5
	;; [unrolled: 2-line block ×3, first 2 shown]
	v_add_nc_u32_e32 v4, v4, v8
	v_lshrrev_b32_e32 v8, 31, v7
	v_add_nc_u32_e32 v5, v5, v9
	v_ashrrev_i32_e32 v7, 2, v7
	v_add_nc_u32_e32 v41, v6, v10
	s_mov_b32 s0, exec_lo
	v_cmp_lt_i32_e32 vcc_lo, v4, v5
	v_add_nc_u32_e32 v40, v7, v8
	v_cndmask_b32_e32 v20, v12, v14, vcc_lo
	v_cndmask_b32_e32 v23, v15, v13, vcc_lo
	;; [unrolled: 1-line block ×4, first 2 shown]
	v_mov_b32_e32 v14, v18
	v_mov_b32_e32 v4, v20
	v_mov_b32_e32 v7, v23
	v_mov_b32_e32 v6, v22
	v_mov_b32_e32 v5, v21
	v_mov_b32_e32 v8, v24
	v_mov_b32_e32 v9, v25
	v_mov_b32_e32 v10, v26
	v_mov_b32_e32 v11, v27
	v_mov_b32_e32 v15, v19
	v_cmpx_lt_i32_e64 v41, v40
	s_cbranch_execz .LBB23_5
; %bb.4:
	v_mov_b32_e32 v24, v18
	v_mov_b32_e32 v25, v19
	;; [unrolled: 1-line block ×17, first 2 shown]
.LBB23_5:
	s_or_b32 exec_lo, exec_lo, s0
	v_mul_hi_i32 v12, 0x66666667, v22
	s_mov_b32 s0, exec_lo
                                        ; implicit-def: $vgpr24
	v_lshrrev_b32_e32 v13, 31, v12
	v_ashrrev_i32_e32 v12, 2, v12
	v_add_nc_u32_e32 v12, v12, v13
	v_cmpx_ge_i32_e64 v40, v12
	s_xor_b32 s0, exec_lo, s0
; %bb.6:
	v_mul_hi_i32 v13, 0x66666667, v16
                                        ; implicit-def: $vgpr40
	v_lshrrev_b32_e32 v18, 31, v13
	v_ashrrev_i32_e32 v13, 2, v13
	v_add_nc_u32_e32 v24, v13, v18
; %bb.7:
	s_or_saveexec_b32 s0, s0
	v_mov_b32_e32 v19, v17
	v_mov_b32_e32 v18, v16
	s_xor_b32 exec_lo, exec_lo, s0
	s_cbranch_execz .LBB23_9
; %bb.8:
	v_mov_b32_e32 v18, v22
	v_mov_b32_e32 v8, v22
	;; [unrolled: 1-line block ×10, first 2 shown]
.LBB23_9:
	s_or_b32 exec_lo, exec_lo, s0
	v_mul_hi_i32 v13, 0x66666667, v20
	v_mul_hi_i32 v17, 0x66666667, v14
	s_mov_b32 s14, exec_lo
	v_lshrrev_b32_e32 v16, 31, v13
	v_ashrrev_i32_e32 v13, 2, v13
	v_add_nc_u32_e32 v13, v13, v16
	v_cmp_lt_i32_e32 vcc_lo, v12, v13
	v_lshrrev_b32_e32 v12, 31, v17
	v_ashrrev_i32_e32 v13, 2, v17
	v_cndmask_b32_e32 v16, v22, v20, vcc_lo
	v_cndmask_b32_e32 v7, v7, v21, vcc_lo
	v_add_nc_u32_e32 v25, v13, v12
	v_cndmask_b32_e32 v6, v6, v20, vcc_lo
	v_cndmask_b32_e32 v5, v5, v23, vcc_lo
	v_mul_hi_i32 v17, 0x66666667, v16
	v_cndmask_b32_e32 v4, v4, v22, vcc_lo
	v_cmp_lt_i32_e64 s0, v25, v24
	v_cndmask_b32_e32 v13, v21, v23, vcc_lo
	v_cndmask_b32_e32 v12, v20, v22, vcc_lo
	v_min_i32_e32 v20, v25, v24
	v_cndmask_b32_e64 v11, v11, v19, s0
	v_lshrrev_b32_e32 v26, 31, v17
	v_ashrrev_i32_e32 v17, 2, v17
	v_cndmask_b32_e64 v10, v10, v18, s0
	v_cndmask_b32_e64 v9, v9, v15, s0
	;; [unrolled: 1-line block ×3, first 2 shown]
	v_add_nc_u32_e32 v17, v17, v26
	v_cmpx_lt_i32_e64 v20, v17
; %bb.10:
	v_cndmask_b32_e32 v9, v23, v21, vcc_lo
	v_cndmask_b32_e64 v7, v19, v15, s0
	v_cndmask_b32_e64 v6, v18, v14, s0
	v_mov_b32_e32 v8, v16
; %bb.11:
	s_or_b32 exec_lo, exec_lo, s14
.LBB23_12:
	s_or_b32 exec_lo, exec_lo, s7
	v_mbcnt_lo_u32_b32 v15, -1, 0
	v_and_b32_e32 v14, 0xffffff80, v39
	v_lshlrev_b32_e32 v16, 2, v0
	s_mov_b32 s0, 0
	s_mov_b32 s1, exec_lo
	v_lshlrev_b32_e32 v19, 2, v15
	v_sub_nc_u32_e64 v18, 0x400, v14 clamp
	v_or_b32_e32 v17, 4, v19
	v_and_b32_e32 v20, 4, v19
	v_and_b32_e32 v25, 0x78, v19
	v_min_u32_e32 v21, v18, v17
	v_min_u32_e32 v26, v18, v20
	v_add_nc_u32_e32 v17, 4, v21
	v_sub_nc_u32_e32 v24, v21, v25
	v_min_u32_e32 v22, v18, v17
	v_lshlrev_b32_e32 v17, 3, v14
	v_mov_b32_e32 v14, v6
	v_min_u32_e32 v27, v26, v24
	v_sub_nc_u32_e32 v23, v22, v21
	v_lshl_or_b32 v20, v15, 5, v17
	v_mov_b32_e32 v15, v7
	v_lshl_or_b32 v24, v25, 3, v17
	ds_write_b128 v20, v[12:15]
	ds_write_b128 v20, v[8:11] offset:16
	v_sub_nc_u32_e64 v23, v26, v23 clamp
	; wave barrier
	v_cmpx_lt_u32_e64 v23, v27
	s_cbranch_execz .LBB23_16
; %bb.13:
	v_lshlrev_b32_e32 v12, 3, v21
	v_lshlrev_b32_e32 v13, 3, v26
	v_add3_u32 v12, v17, v12, v13
	.p2align	6
.LBB23_14:                              ; =>This Inner Loop Header: Depth=1
	v_add_nc_u32_e32 v13, v27, v23
	v_lshrrev_b32_e32 v13, 1, v13
	v_not_b32_e32 v14, v13
	v_lshl_add_u32 v15, v13, 3, v24
	v_lshl_add_u32 v14, v14, 3, v12
	ds_read_b32 v15, v15
	ds_read_b32 v14, v14
	s_waitcnt lgkmcnt(1)
	v_mul_hi_i32 v15, 0x66666667, v15
	s_waitcnt lgkmcnt(0)
	v_mul_hi_i32 v14, 0x66666667, v14
	v_lshrrev_b32_e32 v39, 31, v15
	v_ashrrev_i32_e32 v15, 2, v15
	v_lshrrev_b32_e32 v40, 31, v14
	v_ashrrev_i32_e32 v14, 2, v14
	v_add_nc_u32_e32 v15, v15, v39
	v_add_nc_u32_e32 v39, 1, v13
	v_add_nc_u32_e32 v14, v14, v40
	v_cmp_lt_i32_e32 vcc_lo, v14, v15
	v_cndmask_b32_e32 v27, v27, v13, vcc_lo
	v_cndmask_b32_e32 v23, v39, v23, vcc_lo
	v_cmp_ge_u32_e32 vcc_lo, v23, v27
	s_or_b32 s0, vcc_lo, s0
	s_andn2_b32 exec_lo, exec_lo, s0
	s_cbranch_execnz .LBB23_14
; %bb.15:
	s_or_b32 exec_lo, exec_lo, s0
.LBB23_16:
	s_or_b32 exec_lo, exec_lo, s1
	v_add_nc_u32_e32 v13, v21, v26
	v_add_nc_u32_e32 v12, v23, v25
	v_sub_nc_u32_e32 v13, v13, v23
	v_cmp_le_u32_e32 vcc_lo, v12, v21
	v_cmp_le_u32_e64 s0, v13, v22
	s_or_b32 s0, vcc_lo, s0
	s_and_saveexec_b32 s1, s0
	s_cbranch_execz .LBB23_36
; %bb.17:
	s_mov_b32 s7, exec_lo
	v_cmp_ge_u32_e32 vcc_lo, v12, v21
                                        ; implicit-def: $vgpr4_vgpr5
	v_cmpx_lt_u32_e64 v12, v21
; %bb.18:
	v_lshl_add_u32 v4, v23, 3, v24
	ds_read_b64 v[4:5], v4
; %bb.19:
	s_or_b32 exec_lo, exec_lo, s7
	v_cmp_ge_u32_e64 s7, v13, v22
	s_mov_b32 s14, exec_lo
                                        ; implicit-def: $vgpr6_vgpr7
	v_cmpx_lt_u32_e64 v13, v22
; %bb.20:
	v_lshl_add_u32 v6, v13, 3, v17
	ds_read_b64 v[6:7], v6
; %bb.21:
	s_or_b32 exec_lo, exec_lo, s14
	s_nor_b32 s14, vcc_lo, s7
	s_and_saveexec_b32 s0, s14
	s_cbranch_execz .LBB23_23
; %bb.22:
	s_waitcnt lgkmcnt(0)
	v_mul_hi_i32 v8, 0x66666667, v6
	v_mul_hi_i32 v9, 0x66666667, v4
	s_andn2_b32 s7, s7, exec_lo
	v_lshrrev_b32_e32 v10, 31, v8
	v_ashrrev_i32_e32 v8, 2, v8
	v_lshrrev_b32_e32 v11, 31, v9
	v_ashrrev_i32_e32 v9, 2, v9
	v_add_nc_u32_e32 v8, v8, v10
	v_add_nc_u32_e32 v9, v9, v11
	v_cmp_ge_i32_e32 vcc_lo, v8, v9
	s_and_b32 s14, vcc_lo, exec_lo
	s_or_b32 s7, s7, s14
.LBB23_23:
	s_or_b32 exec_lo, exec_lo, s0
	v_cndmask_b32_e64 v8, v13, v12, s7
	v_cndmask_b32_e64 v9, v22, v21, s7
	s_mov_b32 s0, -1
	s_mov_b32 s14, -1
	s_mov_b32 s15, exec_lo
	v_add_nc_u32_e32 v14, 1, v8
	v_add_nc_u32_e32 v8, -1, v9
	v_cndmask_b32_e64 v9, v12, v14, s7
	v_min_u32_e32 v8, v14, v8
	v_lshl_add_u32 v8, v8, 3, v17
	ds_read_b64 v[10:11], v8
	v_cndmask_b32_e64 v8, v14, v13, s7
	s_waitcnt lgkmcnt(0)
	v_cndmask_b32_e64 v12, v11, v7, s7
	v_cndmask_b32_e64 v13, v10, v6, s7
	;; [unrolled: 1-line block ×4, first 2 shown]
	v_cmpx_lt_u32_e64 v8, v22
	s_cbranch_execz .LBB23_27
; %bb.24:
	s_mov_b32 s16, 0
	s_mov_b32 s14, exec_lo
	v_cmpx_lt_u32_e64 v9, v21
	s_cbranch_execz .LBB23_26
; %bb.25:
	v_mul_hi_i32 v10, 0x66666667, v13
	v_mul_hi_i32 v11, 0x66666667, v15
	v_lshrrev_b32_e32 v23, 31, v10
	v_ashrrev_i32_e32 v10, 2, v10
	v_lshrrev_b32_e32 v24, 31, v11
	v_ashrrev_i32_e32 v11, 2, v11
	v_add_nc_u32_e32 v10, v10, v23
	v_add_nc_u32_e32 v11, v11, v24
	v_cmp_ge_i32_e32 vcc_lo, v10, v11
	s_and_b32 s16, vcc_lo, exec_lo
.LBB23_26:
	s_or_b32 exec_lo, exec_lo, s14
	s_orn2_b32 s14, s16, exec_lo
.LBB23_27:
	s_or_b32 exec_lo, exec_lo, s15
	v_cndmask_b32_e64 v10, v8, v9, s14
	v_cndmask_b32_e64 v11, v22, v21, s14
	s_mov_b32 s15, exec_lo
	v_add_nc_u32_e32 v23, 1, v10
	v_add_nc_u32_e32 v10, -1, v11
	v_cndmask_b32_e64 v27, v9, v23, s14
	v_min_u32_e32 v10, v23, v10
	v_lshl_add_u32 v10, v10, 3, v17
	ds_read_b64 v[39:40], v10
	v_cndmask_b32_e64 v10, v23, v8, s14
	s_waitcnt lgkmcnt(0)
	v_cndmask_b32_e64 v23, v40, v12, s14
	v_cndmask_b32_e64 v24, v39, v13, s14
	;; [unrolled: 1-line block ×4, first 2 shown]
	v_cmpx_lt_u32_e64 v10, v22
	s_cbranch_execz .LBB23_31
; %bb.28:
	s_mov_b32 s16, 0
	s_mov_b32 s0, exec_lo
	v_cmpx_lt_u32_e64 v27, v21
	s_cbranch_execz .LBB23_30
; %bb.29:
	v_mul_hi_i32 v8, 0x66666667, v24
	v_mul_hi_i32 v9, 0x66666667, v26
	v_lshrrev_b32_e32 v11, 31, v8
	v_ashrrev_i32_e32 v8, 2, v8
	v_lshrrev_b32_e32 v39, 31, v9
	v_ashrrev_i32_e32 v9, 2, v9
	v_add_nc_u32_e32 v8, v8, v11
	v_add_nc_u32_e32 v9, v9, v39
	v_cmp_ge_i32_e32 vcc_lo, v8, v9
	s_and_b32 s16, vcc_lo, exec_lo
.LBB23_30:
	s_or_b32 exec_lo, exec_lo, s0
	s_orn2_b32 s0, s16, exec_lo
.LBB23_31:
	s_or_b32 exec_lo, exec_lo, s15
	v_cndmask_b32_e64 v8, v10, v27, s0
	v_cndmask_b32_e64 v9, v22, v21, s0
	s_mov_b32 s15, exec_lo
	v_add_nc_u32_e32 v39, 1, v8
	v_add_nc_u32_e32 v8, -1, v9
	v_cndmask_b32_e64 v40, v39, v10, s0
	v_min_u32_e32 v8, v39, v8
	v_lshl_add_u32 v8, v8, 3, v17
	ds_read_b64 v[8:9], v8
	s_waitcnt lgkmcnt(0)
	v_cndmask_b32_e64 v11, v25, v9, s0
	v_cndmask_b32_e64 v10, v26, v8, s0
	v_cmpx_lt_u32_e64 v40, v22
	s_cbranch_execz .LBB23_35
; %bb.32:
	v_cndmask_b32_e64 v22, v27, v39, s0
	v_cndmask_b32_e64 v9, v9, v23, s0
	;; [unrolled: 1-line block ×3, first 2 shown]
	s_mov_b32 s16, exec_lo
	v_cmpx_lt_u32_e64 v22, v21
	s_cbranch_execz .LBB23_34
; %bb.33:
	v_mul_hi_i32 v21, 0x66666667, v8
	v_mul_hi_i32 v22, 0x66666667, v10
	v_lshrrev_b32_e32 v27, 31, v21
	v_ashrrev_i32_e32 v21, 2, v21
	v_lshrrev_b32_e32 v39, 31, v22
	v_ashrrev_i32_e32 v22, 2, v22
	v_add_nc_u32_e32 v21, v21, v27
	v_add_nc_u32_e32 v22, v22, v39
	v_cmp_lt_i32_e32 vcc_lo, v21, v22
	v_cndmask_b32_e32 v9, v11, v9, vcc_lo
	v_cndmask_b32_e32 v8, v10, v8, vcc_lo
.LBB23_34:
	s_or_b32 exec_lo, exec_lo, s16
	v_mov_b32_e32 v11, v9
	v_mov_b32_e32 v10, v8
.LBB23_35:
	s_or_b32 exec_lo, exec_lo, s15
	v_cndmask_b32_e64 v5, v7, v5, s7
	v_cndmask_b32_e64 v4, v6, v4, s7
	;; [unrolled: 1-line block ×6, first 2 shown]
.LBB23_36:
	s_or_b32 exec_lo, exec_lo, s1
	v_and_b32_e32 v21, 0x70, v19
	v_and_b32_e32 v13, 12, v19
	s_mov_b32 s0, exec_lo
	; wave barrier
	v_or_b32_e32 v12, 8, v21
	v_min_u32_e32 v22, v18, v13
	ds_write_b128 v20, v[4:7]
	ds_write_b128 v20, v[8:11] offset:16
	; wave barrier
	v_min_u32_e32 v14, v18, v12
	v_add_nc_u32_e32 v12, 8, v14
	v_sub_nc_u32_e32 v13, v14, v21
	v_min_u32_e32 v15, v18, v12
	v_min_u32_e32 v23, v22, v13
	v_lshl_add_u32 v13, v21, 3, v17
	v_sub_nc_u32_e32 v12, v15, v14
	v_sub_nc_u32_e64 v12, v22, v12 clamp
	v_cmpx_lt_u32_e64 v12, v23
	s_cbranch_execz .LBB23_40
; %bb.37:
	v_lshlrev_b32_e32 v24, 3, v14
	v_lshlrev_b32_e32 v25, 3, v22
	s_mov_b32 s1, 0
	v_add3_u32 v24, v17, v24, v25
	.p2align	6
.LBB23_38:                              ; =>This Inner Loop Header: Depth=1
	v_add_nc_u32_e32 v25, v23, v12
	v_lshrrev_b32_e32 v25, 1, v25
	v_not_b32_e32 v26, v25
	v_lshl_add_u32 v27, v25, 3, v13
	v_lshl_add_u32 v26, v26, 3, v24
	ds_read_b32 v27, v27
	ds_read_b32 v26, v26
	s_waitcnt lgkmcnt(1)
	v_mul_hi_i32 v27, 0x66666667, v27
	s_waitcnt lgkmcnt(0)
	v_mul_hi_i32 v26, 0x66666667, v26
	v_lshrrev_b32_e32 v39, 31, v27
	v_ashrrev_i32_e32 v27, 2, v27
	v_lshrrev_b32_e32 v40, 31, v26
	v_ashrrev_i32_e32 v26, 2, v26
	v_add_nc_u32_e32 v27, v27, v39
	v_add_nc_u32_e32 v39, 1, v25
	;; [unrolled: 1-line block ×3, first 2 shown]
	v_cmp_lt_i32_e32 vcc_lo, v26, v27
	v_cndmask_b32_e32 v23, v23, v25, vcc_lo
	v_cndmask_b32_e32 v12, v39, v12, vcc_lo
	v_cmp_ge_u32_e32 vcc_lo, v12, v23
	s_or_b32 s1, vcc_lo, s1
	s_andn2_b32 exec_lo, exec_lo, s1
	s_cbranch_execnz .LBB23_38
; %bb.39:
	s_or_b32 exec_lo, exec_lo, s1
.LBB23_40:
	s_or_b32 exec_lo, exec_lo, s0
	v_add_nc_u32_e32 v22, v14, v22
	v_add_nc_u32_e32 v21, v12, v21
	v_sub_nc_u32_e32 v22, v22, v12
	v_cmp_le_u32_e32 vcc_lo, v21, v14
	v_cmp_le_u32_e64 s0, v22, v15
	s_or_b32 s0, vcc_lo, s0
	s_and_saveexec_b32 s1, s0
	s_cbranch_execz .LBB23_60
; %bb.41:
	s_mov_b32 s7, exec_lo
	v_cmp_ge_u32_e32 vcc_lo, v21, v14
                                        ; implicit-def: $vgpr4_vgpr5
	v_cmpx_lt_u32_e64 v21, v14
; %bb.42:
	v_lshl_add_u32 v4, v12, 3, v13
	ds_read_b64 v[4:5], v4
; %bb.43:
	s_or_b32 exec_lo, exec_lo, s7
	v_cmp_ge_u32_e64 s7, v22, v15
	s_mov_b32 s14, exec_lo
                                        ; implicit-def: $vgpr8_vgpr9
	v_cmpx_lt_u32_e64 v22, v15
; %bb.44:
	v_lshl_add_u32 v6, v22, 3, v17
	ds_read_b64 v[8:9], v6
; %bb.45:
	s_or_b32 exec_lo, exec_lo, s14
	s_nor_b32 s14, vcc_lo, s7
	s_and_saveexec_b32 s0, s14
	s_cbranch_execz .LBB23_47
; %bb.46:
	s_waitcnt lgkmcnt(0)
	v_mul_hi_i32 v6, 0x66666667, v8
	v_mul_hi_i32 v7, 0x66666667, v4
	s_andn2_b32 s7, s7, exec_lo
	v_lshrrev_b32_e32 v10, 31, v6
	v_ashrrev_i32_e32 v6, 2, v6
	v_lshrrev_b32_e32 v11, 31, v7
	v_ashrrev_i32_e32 v7, 2, v7
	v_add_nc_u32_e32 v6, v6, v10
	v_add_nc_u32_e32 v7, v7, v11
	v_cmp_ge_i32_e32 vcc_lo, v6, v7
	s_and_b32 s14, vcc_lo, exec_lo
	s_or_b32 s7, s7, s14
.LBB23_47:
	s_or_b32 exec_lo, exec_lo, s0
	v_cndmask_b32_e64 v6, v22, v21, s7
	v_cndmask_b32_e64 v7, v15, v14, s7
	s_mov_b32 s0, -1
	s_mov_b32 s14, -1
	s_mov_b32 s15, exec_lo
	v_add_nc_u32_e32 v6, 1, v6
	v_add_nc_u32_e32 v7, -1, v7
	v_cndmask_b32_e64 v12, v6, v22, s7
	v_min_u32_e32 v7, v6, v7
	v_cndmask_b32_e64 v13, v21, v6, s7
	v_lshl_add_u32 v7, v7, 3, v17
	ds_read_b64 v[23:24], v7
	s_waitcnt lgkmcnt(0)
	v_cndmask_b32_e64 v6, v24, v9, s7
	v_cndmask_b32_e64 v10, v23, v8, s7
	;; [unrolled: 1-line block ×4, first 2 shown]
	v_cmpx_lt_u32_e64 v12, v15
	s_cbranch_execz .LBB23_51
; %bb.48:
	s_mov_b32 s16, 0
	s_mov_b32 s14, exec_lo
	v_cmpx_lt_u32_e64 v13, v14
	s_cbranch_execz .LBB23_50
; %bb.49:
	v_mul_hi_i32 v21, 0x66666667, v10
	v_mul_hi_i32 v22, 0x66666667, v11
	v_lshrrev_b32_e32 v23, 31, v21
	v_ashrrev_i32_e32 v21, 2, v21
	v_lshrrev_b32_e32 v24, 31, v22
	v_ashrrev_i32_e32 v22, 2, v22
	v_add_nc_u32_e32 v21, v21, v23
	v_add_nc_u32_e32 v22, v22, v24
	v_cmp_ge_i32_e32 vcc_lo, v21, v22
	s_and_b32 s16, vcc_lo, exec_lo
.LBB23_50:
	s_or_b32 exec_lo, exec_lo, s14
	s_orn2_b32 s14, s16, exec_lo
.LBB23_51:
	s_or_b32 exec_lo, exec_lo, s15
	v_cndmask_b32_e64 v21, v12, v13, s14
	v_cndmask_b32_e64 v22, v15, v14, s14
	s_mov_b32 s15, exec_lo
	v_add_nc_u32_e32 v21, 1, v21
	v_add_nc_u32_e32 v22, -1, v22
	v_cndmask_b32_e64 v24, v21, v12, s14
	v_min_u32_e32 v22, v21, v22
	v_cndmask_b32_e64 v21, v13, v21, s14
	v_lshl_add_u32 v22, v22, 3, v17
	ds_read_b64 v[26:27], v22
	s_waitcnt lgkmcnt(0)
	v_cndmask_b32_e64 v22, v27, v6, s14
	v_cndmask_b32_e64 v23, v26, v10, s14
	;; [unrolled: 1-line block ×4, first 2 shown]
	v_cmpx_lt_u32_e64 v24, v15
	s_cbranch_execz .LBB23_55
; %bb.52:
	s_mov_b32 s16, 0
	s_mov_b32 s0, exec_lo
	v_cmpx_lt_u32_e64 v21, v14
	s_cbranch_execz .LBB23_54
; %bb.53:
	v_mul_hi_i32 v12, 0x66666667, v23
	v_mul_hi_i32 v13, 0x66666667, v26
	v_lshrrev_b32_e32 v27, 31, v12
	v_ashrrev_i32_e32 v12, 2, v12
	v_lshrrev_b32_e32 v39, 31, v13
	v_ashrrev_i32_e32 v13, 2, v13
	v_add_nc_u32_e32 v12, v12, v27
	v_add_nc_u32_e32 v13, v13, v39
	v_cmp_ge_i32_e32 vcc_lo, v12, v13
	s_and_b32 s16, vcc_lo, exec_lo
.LBB23_54:
	s_or_b32 exec_lo, exec_lo, s0
	s_orn2_b32 s0, s16, exec_lo
.LBB23_55:
	s_or_b32 exec_lo, exec_lo, s15
	v_cndmask_b32_e64 v12, v24, v21, s0
	v_cndmask_b32_e64 v13, v15, v14, s0
	;; [unrolled: 1-line block ×5, first 2 shown]
	v_add_nc_u32_e32 v27, 1, v12
	v_add_nc_u32_e32 v12, -1, v13
	v_cndmask_b32_e64 v4, v8, v4, s7
	v_cndmask_b32_e64 v9, v22, v25, s0
	v_cndmask_b32_e64 v8, v23, v26, s0
	v_cndmask_b32_e64 v24, v27, v24, s0
	v_min_u32_e32 v12, v27, v12
	s_mov_b32 s7, exec_lo
	v_lshl_add_u32 v12, v12, 3, v17
	ds_read_b64 v[12:13], v12
	s_waitcnt lgkmcnt(0)
	v_cndmask_b32_e64 v11, v25, v13, s0
	v_cndmask_b32_e64 v10, v26, v12, s0
	v_cmpx_lt_u32_e64 v24, v15
	s_cbranch_execz .LBB23_59
; %bb.56:
	v_cndmask_b32_e64 v15, v21, v27, s0
	v_cndmask_b32_e64 v13, v13, v22, s0
	;; [unrolled: 1-line block ×3, first 2 shown]
	s_mov_b32 s0, exec_lo
	v_cmpx_lt_u32_e64 v15, v14
	s_cbranch_execz .LBB23_58
; %bb.57:
	v_mul_hi_i32 v14, 0x66666667, v12
	v_mul_hi_i32 v15, 0x66666667, v10
	v_lshrrev_b32_e32 v21, 31, v14
	v_ashrrev_i32_e32 v14, 2, v14
	v_lshrrev_b32_e32 v22, 31, v15
	v_ashrrev_i32_e32 v15, 2, v15
	v_add_nc_u32_e32 v14, v14, v21
	v_add_nc_u32_e32 v15, v15, v22
	v_cmp_lt_i32_e32 vcc_lo, v14, v15
	v_cndmask_b32_e32 v13, v11, v13, vcc_lo
	v_cndmask_b32_e32 v12, v10, v12, vcc_lo
.LBB23_58:
	s_or_b32 exec_lo, exec_lo, s0
	v_mov_b32_e32 v10, v12
	v_mov_b32_e32 v11, v13
.LBB23_59:
	s_or_b32 exec_lo, exec_lo, s7
.LBB23_60:
	s_or_b32 exec_lo, exec_lo, s1
	v_and_b32_e32 v21, 0x60, v19
	v_and_b32_e32 v13, 28, v19
	s_mov_b32 s0, exec_lo
	; wave barrier
	v_or_b32_e32 v12, 16, v21
	v_min_u32_e32 v22, v18, v13
	ds_write_b128 v20, v[4:7]
	ds_write_b128 v20, v[8:11] offset:16
	; wave barrier
	v_min_u32_e32 v14, v18, v12
	v_add_nc_u32_e32 v12, 16, v14
	v_sub_nc_u32_e32 v13, v14, v21
	v_min_u32_e32 v15, v18, v12
	v_min_u32_e32 v23, v22, v13
	v_lshl_add_u32 v13, v21, 3, v17
	v_sub_nc_u32_e32 v12, v15, v14
	v_sub_nc_u32_e64 v12, v22, v12 clamp
	v_cmpx_lt_u32_e64 v12, v23
	s_cbranch_execz .LBB23_64
; %bb.61:
	v_lshlrev_b32_e32 v24, 3, v14
	v_lshlrev_b32_e32 v25, 3, v22
	s_mov_b32 s1, 0
	v_add3_u32 v24, v17, v24, v25
	.p2align	6
.LBB23_62:                              ; =>This Inner Loop Header: Depth=1
	v_add_nc_u32_e32 v25, v23, v12
	v_lshrrev_b32_e32 v25, 1, v25
	v_not_b32_e32 v26, v25
	v_lshl_add_u32 v27, v25, 3, v13
	v_lshl_add_u32 v26, v26, 3, v24
	ds_read_b32 v27, v27
	ds_read_b32 v26, v26
	s_waitcnt lgkmcnt(1)
	v_mul_hi_i32 v27, 0x66666667, v27
	s_waitcnt lgkmcnt(0)
	v_mul_hi_i32 v26, 0x66666667, v26
	v_lshrrev_b32_e32 v39, 31, v27
	v_ashrrev_i32_e32 v27, 2, v27
	v_lshrrev_b32_e32 v40, 31, v26
	v_ashrrev_i32_e32 v26, 2, v26
	v_add_nc_u32_e32 v27, v27, v39
	v_add_nc_u32_e32 v39, 1, v25
	;; [unrolled: 1-line block ×3, first 2 shown]
	v_cmp_lt_i32_e32 vcc_lo, v26, v27
	v_cndmask_b32_e32 v23, v23, v25, vcc_lo
	v_cndmask_b32_e32 v12, v39, v12, vcc_lo
	v_cmp_ge_u32_e32 vcc_lo, v12, v23
	s_or_b32 s1, vcc_lo, s1
	s_andn2_b32 exec_lo, exec_lo, s1
	s_cbranch_execnz .LBB23_62
; %bb.63:
	s_or_b32 exec_lo, exec_lo, s1
.LBB23_64:
	s_or_b32 exec_lo, exec_lo, s0
	v_add_nc_u32_e32 v22, v14, v22
	v_add_nc_u32_e32 v21, v12, v21
	v_sub_nc_u32_e32 v22, v22, v12
	v_cmp_le_u32_e32 vcc_lo, v21, v14
	v_cmp_le_u32_e64 s0, v22, v15
	s_or_b32 s0, vcc_lo, s0
	s_and_saveexec_b32 s1, s0
	s_cbranch_execz .LBB23_84
; %bb.65:
	s_mov_b32 s7, exec_lo
	v_cmp_ge_u32_e32 vcc_lo, v21, v14
                                        ; implicit-def: $vgpr4_vgpr5
	v_cmpx_lt_u32_e64 v21, v14
; %bb.66:
	v_lshl_add_u32 v4, v12, 3, v13
	ds_read_b64 v[4:5], v4
; %bb.67:
	s_or_b32 exec_lo, exec_lo, s7
	v_cmp_ge_u32_e64 s7, v22, v15
	s_mov_b32 s14, exec_lo
                                        ; implicit-def: $vgpr8_vgpr9
	v_cmpx_lt_u32_e64 v22, v15
; %bb.68:
	v_lshl_add_u32 v6, v22, 3, v17
	ds_read_b64 v[8:9], v6
; %bb.69:
	s_or_b32 exec_lo, exec_lo, s14
	s_nor_b32 s14, vcc_lo, s7
	s_and_saveexec_b32 s0, s14
	s_cbranch_execz .LBB23_71
; %bb.70:
	s_waitcnt lgkmcnt(0)
	v_mul_hi_i32 v6, 0x66666667, v8
	v_mul_hi_i32 v7, 0x66666667, v4
	s_andn2_b32 s7, s7, exec_lo
	v_lshrrev_b32_e32 v10, 31, v6
	v_ashrrev_i32_e32 v6, 2, v6
	v_lshrrev_b32_e32 v11, 31, v7
	v_ashrrev_i32_e32 v7, 2, v7
	v_add_nc_u32_e32 v6, v6, v10
	v_add_nc_u32_e32 v7, v7, v11
	v_cmp_ge_i32_e32 vcc_lo, v6, v7
	s_and_b32 s14, vcc_lo, exec_lo
	s_or_b32 s7, s7, s14
.LBB23_71:
	s_or_b32 exec_lo, exec_lo, s0
	v_cndmask_b32_e64 v6, v22, v21, s7
	v_cndmask_b32_e64 v7, v15, v14, s7
	s_mov_b32 s0, -1
	s_mov_b32 s14, -1
	s_mov_b32 s15, exec_lo
	v_add_nc_u32_e32 v6, 1, v6
	v_add_nc_u32_e32 v7, -1, v7
	v_cndmask_b32_e64 v12, v6, v22, s7
	v_min_u32_e32 v7, v6, v7
	v_cndmask_b32_e64 v13, v21, v6, s7
	v_lshl_add_u32 v7, v7, 3, v17
	ds_read_b64 v[23:24], v7
	s_waitcnt lgkmcnt(0)
	v_cndmask_b32_e64 v6, v24, v9, s7
	v_cndmask_b32_e64 v10, v23, v8, s7
	;; [unrolled: 1-line block ×4, first 2 shown]
	v_cmpx_lt_u32_e64 v12, v15
	s_cbranch_execz .LBB23_75
; %bb.72:
	s_mov_b32 s16, 0
	s_mov_b32 s14, exec_lo
	v_cmpx_lt_u32_e64 v13, v14
	s_cbranch_execz .LBB23_74
; %bb.73:
	v_mul_hi_i32 v21, 0x66666667, v10
	v_mul_hi_i32 v22, 0x66666667, v11
	v_lshrrev_b32_e32 v23, 31, v21
	v_ashrrev_i32_e32 v21, 2, v21
	v_lshrrev_b32_e32 v24, 31, v22
	v_ashrrev_i32_e32 v22, 2, v22
	v_add_nc_u32_e32 v21, v21, v23
	v_add_nc_u32_e32 v22, v22, v24
	v_cmp_ge_i32_e32 vcc_lo, v21, v22
	s_and_b32 s16, vcc_lo, exec_lo
.LBB23_74:
	s_or_b32 exec_lo, exec_lo, s14
	s_orn2_b32 s14, s16, exec_lo
.LBB23_75:
	s_or_b32 exec_lo, exec_lo, s15
	v_cndmask_b32_e64 v21, v12, v13, s14
	v_cndmask_b32_e64 v22, v15, v14, s14
	s_mov_b32 s15, exec_lo
	v_add_nc_u32_e32 v21, 1, v21
	v_add_nc_u32_e32 v22, -1, v22
	v_cndmask_b32_e64 v24, v21, v12, s14
	v_min_u32_e32 v22, v21, v22
	v_cndmask_b32_e64 v21, v13, v21, s14
	v_lshl_add_u32 v22, v22, 3, v17
	ds_read_b64 v[26:27], v22
	s_waitcnt lgkmcnt(0)
	v_cndmask_b32_e64 v22, v27, v6, s14
	v_cndmask_b32_e64 v23, v26, v10, s14
	;; [unrolled: 1-line block ×4, first 2 shown]
	v_cmpx_lt_u32_e64 v24, v15
	s_cbranch_execz .LBB23_79
; %bb.76:
	s_mov_b32 s16, 0
	s_mov_b32 s0, exec_lo
	v_cmpx_lt_u32_e64 v21, v14
	s_cbranch_execz .LBB23_78
; %bb.77:
	v_mul_hi_i32 v12, 0x66666667, v23
	v_mul_hi_i32 v13, 0x66666667, v26
	v_lshrrev_b32_e32 v27, 31, v12
	v_ashrrev_i32_e32 v12, 2, v12
	v_lshrrev_b32_e32 v39, 31, v13
	v_ashrrev_i32_e32 v13, 2, v13
	v_add_nc_u32_e32 v12, v12, v27
	v_add_nc_u32_e32 v13, v13, v39
	v_cmp_ge_i32_e32 vcc_lo, v12, v13
	s_and_b32 s16, vcc_lo, exec_lo
.LBB23_78:
	s_or_b32 exec_lo, exec_lo, s0
	s_orn2_b32 s0, s16, exec_lo
.LBB23_79:
	s_or_b32 exec_lo, exec_lo, s15
	v_cndmask_b32_e64 v12, v24, v21, s0
	v_cndmask_b32_e64 v13, v15, v14, s0
	;; [unrolled: 1-line block ×5, first 2 shown]
	v_add_nc_u32_e32 v27, 1, v12
	v_add_nc_u32_e32 v12, -1, v13
	v_cndmask_b32_e64 v4, v8, v4, s7
	v_cndmask_b32_e64 v9, v22, v25, s0
	;; [unrolled: 1-line block ×4, first 2 shown]
	v_min_u32_e32 v12, v27, v12
	s_mov_b32 s7, exec_lo
	v_lshl_add_u32 v12, v12, 3, v17
	ds_read_b64 v[12:13], v12
	s_waitcnt lgkmcnt(0)
	v_cndmask_b32_e64 v11, v25, v13, s0
	v_cndmask_b32_e64 v10, v26, v12, s0
	v_cmpx_lt_u32_e64 v24, v15
	s_cbranch_execz .LBB23_83
; %bb.80:
	v_cndmask_b32_e64 v15, v21, v27, s0
	v_cndmask_b32_e64 v13, v13, v22, s0
	;; [unrolled: 1-line block ×3, first 2 shown]
	s_mov_b32 s0, exec_lo
	v_cmpx_lt_u32_e64 v15, v14
	s_cbranch_execz .LBB23_82
; %bb.81:
	v_mul_hi_i32 v14, 0x66666667, v12
	v_mul_hi_i32 v15, 0x66666667, v10
	v_lshrrev_b32_e32 v21, 31, v14
	v_ashrrev_i32_e32 v14, 2, v14
	v_lshrrev_b32_e32 v22, 31, v15
	v_ashrrev_i32_e32 v15, 2, v15
	v_add_nc_u32_e32 v14, v14, v21
	v_add_nc_u32_e32 v15, v15, v22
	v_cmp_lt_i32_e32 vcc_lo, v14, v15
	v_cndmask_b32_e32 v13, v11, v13, vcc_lo
	v_cndmask_b32_e32 v12, v10, v12, vcc_lo
.LBB23_82:
	s_or_b32 exec_lo, exec_lo, s0
	v_mov_b32_e32 v10, v12
	v_mov_b32_e32 v11, v13
.LBB23_83:
	s_or_b32 exec_lo, exec_lo, s7
.LBB23_84:
	s_or_b32 exec_lo, exec_lo, s1
	v_and_b32_e32 v21, 64, v19
	v_and_b32_e32 v13, 60, v19
	s_mov_b32 s0, exec_lo
	; wave barrier
	v_or_b32_e32 v12, 32, v21
	ds_write_b128 v20, v[4:7]
	ds_write_b128 v20, v[8:11] offset:16
	; wave barrier
	v_min_u32_e32 v14, v18, v12
	v_add_nc_u32_e32 v12, 32, v14
	v_min_u32_e32 v15, v18, v12
	v_min_u32_e32 v18, v18, v13
	v_sub_nc_u32_e32 v13, v14, v21
	v_sub_nc_u32_e32 v12, v15, v14
	v_min_u32_e32 v19, v18, v13
	v_lshl_add_u32 v13, v21, 3, v17
	v_sub_nc_u32_e64 v12, v18, v12 clamp
	v_cmpx_lt_u32_e64 v12, v19
	s_cbranch_execz .LBB23_88
; %bb.85:
	v_lshlrev_b32_e32 v20, 3, v14
	v_lshlrev_b32_e32 v22, 3, v18
	s_mov_b32 s1, 0
	v_add3_u32 v20, v17, v20, v22
	.p2align	6
.LBB23_86:                              ; =>This Inner Loop Header: Depth=1
	v_add_nc_u32_e32 v22, v19, v12
	v_lshrrev_b32_e32 v22, 1, v22
	v_not_b32_e32 v23, v22
	v_lshl_add_u32 v24, v22, 3, v13
	v_lshl_add_u32 v23, v23, 3, v20
	ds_read_b32 v24, v24
	ds_read_b32 v23, v23
	s_waitcnt lgkmcnt(1)
	v_mul_hi_i32 v24, 0x66666667, v24
	s_waitcnt lgkmcnt(0)
	v_mul_hi_i32 v23, 0x66666667, v23
	v_lshrrev_b32_e32 v25, 31, v24
	v_ashrrev_i32_e32 v24, 2, v24
	v_lshrrev_b32_e32 v26, 31, v23
	v_ashrrev_i32_e32 v23, 2, v23
	v_add_nc_u32_e32 v24, v24, v25
	v_add_nc_u32_e32 v25, 1, v22
	;; [unrolled: 1-line block ×3, first 2 shown]
	v_cmp_lt_i32_e32 vcc_lo, v23, v24
	v_cndmask_b32_e32 v19, v19, v22, vcc_lo
	v_cndmask_b32_e32 v12, v25, v12, vcc_lo
	v_cmp_ge_u32_e32 vcc_lo, v12, v19
	s_or_b32 s1, vcc_lo, s1
	s_andn2_b32 exec_lo, exec_lo, s1
	s_cbranch_execnz .LBB23_86
; %bb.87:
	s_or_b32 exec_lo, exec_lo, s1
.LBB23_88:
	s_or_b32 exec_lo, exec_lo, s0
	v_add_nc_u32_e32 v19, v14, v18
	v_add_nc_u32_e32 v18, v12, v21
	v_sub_nc_u32_e32 v19, v19, v12
	v_cmp_le_u32_e32 vcc_lo, v18, v14
	v_cmp_le_u32_e64 s0, v19, v15
	s_or_b32 s0, vcc_lo, s0
	s_and_saveexec_b32 s1, s0
	s_cbranch_execz .LBB23_108
; %bb.89:
	s_mov_b32 s7, exec_lo
	v_cmp_ge_u32_e32 vcc_lo, v18, v14
                                        ; implicit-def: $vgpr4_vgpr5
	v_cmpx_lt_u32_e64 v18, v14
; %bb.90:
	v_lshl_add_u32 v4, v12, 3, v13
	ds_read_b64 v[4:5], v4
; %bb.91:
	s_or_b32 exec_lo, exec_lo, s7
	v_cmp_ge_u32_e64 s7, v19, v15
	s_mov_b32 s14, exec_lo
                                        ; implicit-def: $vgpr8_vgpr9
	v_cmpx_lt_u32_e64 v19, v15
; %bb.92:
	v_lshl_add_u32 v6, v19, 3, v17
	ds_read_b64 v[8:9], v6
; %bb.93:
	s_or_b32 exec_lo, exec_lo, s14
	s_nor_b32 s14, vcc_lo, s7
	s_and_saveexec_b32 s0, s14
	s_cbranch_execz .LBB23_95
; %bb.94:
	s_waitcnt lgkmcnt(0)
	v_mul_hi_i32 v6, 0x66666667, v8
	v_mul_hi_i32 v7, 0x66666667, v4
	s_andn2_b32 s7, s7, exec_lo
	v_lshrrev_b32_e32 v10, 31, v6
	v_ashrrev_i32_e32 v6, 2, v6
	v_lshrrev_b32_e32 v11, 31, v7
	v_ashrrev_i32_e32 v7, 2, v7
	v_add_nc_u32_e32 v6, v6, v10
	v_add_nc_u32_e32 v7, v7, v11
	v_cmp_ge_i32_e32 vcc_lo, v6, v7
	s_and_b32 s14, vcc_lo, exec_lo
	s_or_b32 s7, s7, s14
.LBB23_95:
	s_or_b32 exec_lo, exec_lo, s0
	v_cndmask_b32_e64 v6, v19, v18, s7
	v_cndmask_b32_e64 v7, v15, v14, s7
	s_mov_b32 s0, -1
	s_mov_b32 s14, -1
	s_mov_b32 s15, exec_lo
	v_add_nc_u32_e32 v6, 1, v6
	v_add_nc_u32_e32 v7, -1, v7
	v_cndmask_b32_e64 v12, v6, v19, s7
	v_min_u32_e32 v7, v6, v7
	v_cndmask_b32_e64 v13, v18, v6, s7
	v_lshl_add_u32 v7, v7, 3, v17
	ds_read_b64 v[20:21], v7
	s_waitcnt lgkmcnt(0)
	v_cndmask_b32_e64 v6, v21, v9, s7
	v_cndmask_b32_e64 v10, v20, v8, s7
	v_cndmask_b32_e64 v7, v5, v21, s7
	v_cndmask_b32_e64 v11, v4, v20, s7
	v_cmpx_lt_u32_e64 v12, v15
	s_cbranch_execz .LBB23_99
; %bb.96:
	s_mov_b32 s16, 0
	s_mov_b32 s14, exec_lo
	v_cmpx_lt_u32_e64 v13, v14
	s_cbranch_execz .LBB23_98
; %bb.97:
	v_mul_hi_i32 v18, 0x66666667, v10
	v_mul_hi_i32 v19, 0x66666667, v11
	v_lshrrev_b32_e32 v20, 31, v18
	v_ashrrev_i32_e32 v18, 2, v18
	v_lshrrev_b32_e32 v21, 31, v19
	v_ashrrev_i32_e32 v19, 2, v19
	v_add_nc_u32_e32 v18, v18, v20
	v_add_nc_u32_e32 v19, v19, v21
	v_cmp_ge_i32_e32 vcc_lo, v18, v19
	s_and_b32 s16, vcc_lo, exec_lo
.LBB23_98:
	s_or_b32 exec_lo, exec_lo, s14
	s_orn2_b32 s14, s16, exec_lo
.LBB23_99:
	s_or_b32 exec_lo, exec_lo, s15
	v_cndmask_b32_e64 v18, v12, v13, s14
	v_cndmask_b32_e64 v19, v15, v14, s14
	s_mov_b32 s15, exec_lo
	v_add_nc_u32_e32 v18, 1, v18
	v_add_nc_u32_e32 v19, -1, v19
	v_cndmask_b32_e64 v21, v18, v12, s14
	v_min_u32_e32 v19, v18, v19
	v_cndmask_b32_e64 v18, v13, v18, s14
	v_lshl_add_u32 v19, v19, 3, v17
	ds_read_b64 v[23:24], v19
	s_waitcnt lgkmcnt(0)
	v_cndmask_b32_e64 v19, v24, v6, s14
	v_cndmask_b32_e64 v20, v23, v10, s14
	;; [unrolled: 1-line block ×4, first 2 shown]
	v_cmpx_lt_u32_e64 v21, v15
	s_cbranch_execz .LBB23_103
; %bb.100:
	s_mov_b32 s16, 0
	s_mov_b32 s0, exec_lo
	v_cmpx_lt_u32_e64 v18, v14
	s_cbranch_execz .LBB23_102
; %bb.101:
	v_mul_hi_i32 v12, 0x66666667, v20
	v_mul_hi_i32 v13, 0x66666667, v23
	v_lshrrev_b32_e32 v24, 31, v12
	v_ashrrev_i32_e32 v12, 2, v12
	v_lshrrev_b32_e32 v25, 31, v13
	v_ashrrev_i32_e32 v13, 2, v13
	v_add_nc_u32_e32 v12, v12, v24
	v_add_nc_u32_e32 v13, v13, v25
	v_cmp_ge_i32_e32 vcc_lo, v12, v13
	s_and_b32 s16, vcc_lo, exec_lo
.LBB23_102:
	s_or_b32 exec_lo, exec_lo, s0
	s_orn2_b32 s0, s16, exec_lo
.LBB23_103:
	s_or_b32 exec_lo, exec_lo, s15
	v_cndmask_b32_e64 v12, v21, v18, s0
	v_cndmask_b32_e64 v13, v15, v14, s0
	;; [unrolled: 1-line block ×5, first 2 shown]
	v_add_nc_u32_e32 v24, 1, v12
	v_add_nc_u32_e32 v12, -1, v13
	v_cndmask_b32_e64 v4, v8, v4, s7
	v_cndmask_b32_e64 v9, v19, v22, s0
	;; [unrolled: 1-line block ×3, first 2 shown]
	s_mov_b32 s7, exec_lo
	v_min_u32_e32 v12, v24, v12
	v_lshl_add_u32 v12, v12, 3, v17
	v_cndmask_b32_e64 v17, v24, v21, s0
	ds_read_b64 v[12:13], v12
	s_waitcnt lgkmcnt(0)
	v_cndmask_b32_e64 v11, v22, v13, s0
	v_cndmask_b32_e64 v10, v23, v12, s0
	v_cmpx_lt_u32_e64 v17, v15
	s_cbranch_execz .LBB23_107
; %bb.104:
	v_cndmask_b32_e64 v15, v18, v24, s0
	v_cndmask_b32_e64 v13, v13, v19, s0
	;; [unrolled: 1-line block ×3, first 2 shown]
	s_mov_b32 s0, exec_lo
	v_cmpx_lt_u32_e64 v15, v14
	s_cbranch_execz .LBB23_106
; %bb.105:
	v_mul_hi_i32 v14, 0x66666667, v12
	v_mul_hi_i32 v15, 0x66666667, v10
	v_lshrrev_b32_e32 v17, 31, v14
	v_ashrrev_i32_e32 v14, 2, v14
	v_lshrrev_b32_e32 v18, 31, v15
	v_ashrrev_i32_e32 v15, 2, v15
	v_add_nc_u32_e32 v14, v14, v17
	v_add_nc_u32_e32 v15, v15, v18
	v_cmp_lt_i32_e32 vcc_lo, v14, v15
	v_cndmask_b32_e32 v13, v11, v13, vcc_lo
	v_cndmask_b32_e32 v12, v10, v12, vcc_lo
.LBB23_106:
	s_or_b32 exec_lo, exec_lo, s0
	v_mov_b32_e32 v10, v12
	v_mov_b32_e32 v11, v13
.LBB23_107:
	s_or_b32 exec_lo, exec_lo, s7
.LBB23_108:
	s_or_b32 exec_lo, exec_lo, s1
	v_and_b32_e32 v18, 0x380, v16
	v_and_b32_e32 v19, 0x7c, v16
	v_lshlrev_b32_e32 v14, 3, v16
	s_mov_b32 s0, exec_lo
	v_or_b32_e32 v15, 64, v18
	v_add_nc_u32_e32 v17, 0x80, v18
	; wave barrier
	s_waitcnt lgkmcnt(0)
	s_barrier
	v_sub_nc_u32_e32 v13, v15, v18
	v_sub_nc_u32_e32 v12, v17, v15
	buffer_gl0_inv
	ds_write_b128 v14, v[4:7]
	ds_write_b128 v14, v[8:11] offset:16
	v_min_u32_e32 v20, v19, v13
	v_sub_nc_u32_e64 v12, v19, v12 clamp
	v_lshlrev_b32_e32 v13, 3, v18
	s_waitcnt lgkmcnt(0)
	s_barrier
	buffer_gl0_inv
	v_cmpx_lt_u32_e64 v12, v20
	s_cbranch_execz .LBB23_112
; %bb.109:
	v_lshlrev_b32_e32 v21, 3, v19
	s_mov_b32 s1, 0
	v_lshl_add_u32 v21, v15, 3, v21
	.p2align	6
.LBB23_110:                             ; =>This Inner Loop Header: Depth=1
	v_add_nc_u32_e32 v22, v20, v12
	v_lshrrev_b32_e32 v22, 1, v22
	v_not_b32_e32 v23, v22
	v_lshl_add_u32 v24, v22, 3, v13
	v_lshl_add_u32 v23, v23, 3, v21
	ds_read_b32 v24, v24
	ds_read_b32 v23, v23
	s_waitcnt lgkmcnt(1)
	v_mul_hi_i32 v24, 0x66666667, v24
	s_waitcnt lgkmcnt(0)
	v_mul_hi_i32 v23, 0x66666667, v23
	v_lshrrev_b32_e32 v25, 31, v24
	v_ashrrev_i32_e32 v24, 2, v24
	v_lshrrev_b32_e32 v26, 31, v23
	v_ashrrev_i32_e32 v23, 2, v23
	v_add_nc_u32_e32 v24, v24, v25
	v_add_nc_u32_e32 v25, 1, v22
	;; [unrolled: 1-line block ×3, first 2 shown]
	v_cmp_lt_i32_e32 vcc_lo, v23, v24
	v_cndmask_b32_e32 v20, v20, v22, vcc_lo
	v_cndmask_b32_e32 v12, v25, v12, vcc_lo
	v_cmp_ge_u32_e32 vcc_lo, v12, v20
	s_or_b32 s1, vcc_lo, s1
	s_andn2_b32 exec_lo, exec_lo, s1
	s_cbranch_execnz .LBB23_110
; %bb.111:
	s_or_b32 exec_lo, exec_lo, s1
.LBB23_112:
	s_or_b32 exec_lo, exec_lo, s0
	v_sub_nc_u32_e32 v19, v19, v12
	v_add_nc_u32_e32 v18, v12, v18
	v_add_nc_u32_e32 v19, v19, v15
	v_cmp_le_u32_e32 vcc_lo, v18, v15
	v_cmp_le_u32_e64 s0, v19, v17
	s_or_b32 s0, vcc_lo, s0
	s_and_saveexec_b32 s1, s0
	s_cbranch_execz .LBB23_132
; %bb.113:
	s_mov_b32 s7, exec_lo
	v_cmp_ge_u32_e32 vcc_lo, v18, v15
                                        ; implicit-def: $vgpr4_vgpr5
	v_cmpx_lt_u32_e64 v18, v15
; %bb.114:
	v_lshl_add_u32 v4, v12, 3, v13
	ds_read_b64 v[4:5], v4
; %bb.115:
	s_or_b32 exec_lo, exec_lo, s7
	v_cmp_ge_u32_e64 s7, v19, v17
	s_mov_b32 s14, exec_lo
                                        ; implicit-def: $vgpr8_vgpr9
	v_cmpx_lt_u32_e64 v19, v17
; %bb.116:
	v_lshlrev_b32_e32 v6, 3, v19
	ds_read_b64 v[8:9], v6
; %bb.117:
	s_or_b32 exec_lo, exec_lo, s14
	s_nor_b32 s14, vcc_lo, s7
	s_and_saveexec_b32 s0, s14
	s_cbranch_execz .LBB23_119
; %bb.118:
	s_waitcnt lgkmcnt(0)
	v_mul_hi_i32 v6, 0x66666667, v8
	v_mul_hi_i32 v7, 0x66666667, v4
	s_andn2_b32 s7, s7, exec_lo
	v_lshrrev_b32_e32 v10, 31, v6
	v_ashrrev_i32_e32 v6, 2, v6
	v_lshrrev_b32_e32 v11, 31, v7
	v_ashrrev_i32_e32 v7, 2, v7
	v_add_nc_u32_e32 v6, v6, v10
	v_add_nc_u32_e32 v7, v7, v11
	v_cmp_ge_i32_e32 vcc_lo, v6, v7
	s_and_b32 s14, vcc_lo, exec_lo
	s_or_b32 s7, s7, s14
.LBB23_119:
	s_or_b32 exec_lo, exec_lo, s0
	v_cndmask_b32_e64 v6, v19, v18, s7
	v_cndmask_b32_e64 v7, v17, v15, s7
	s_mov_b32 s0, -1
	s_mov_b32 s14, -1
	s_mov_b32 s15, exec_lo
	v_add_nc_u32_e32 v6, 1, v6
	v_add_nc_u32_e32 v7, -1, v7
	v_cndmask_b32_e64 v12, v6, v19, s7
	v_min_u32_e32 v7, v6, v7
	v_cndmask_b32_e64 v13, v18, v6, s7
	v_lshlrev_b32_e32 v7, 3, v7
	ds_read_b64 v[20:21], v7
	s_waitcnt lgkmcnt(0)
	v_cndmask_b32_e64 v6, v21, v9, s7
	v_cndmask_b32_e64 v10, v20, v8, s7
	;; [unrolled: 1-line block ×4, first 2 shown]
	v_cmpx_lt_u32_e64 v12, v17
	s_cbranch_execz .LBB23_123
; %bb.120:
	s_mov_b32 s16, 0
	s_mov_b32 s14, exec_lo
	v_cmpx_lt_u32_e64 v13, v15
	s_cbranch_execz .LBB23_122
; %bb.121:
	v_mul_hi_i32 v18, 0x66666667, v10
	v_mul_hi_i32 v19, 0x66666667, v11
	v_lshrrev_b32_e32 v20, 31, v18
	v_ashrrev_i32_e32 v18, 2, v18
	v_lshrrev_b32_e32 v21, 31, v19
	v_ashrrev_i32_e32 v19, 2, v19
	v_add_nc_u32_e32 v18, v18, v20
	v_add_nc_u32_e32 v19, v19, v21
	v_cmp_ge_i32_e32 vcc_lo, v18, v19
	s_and_b32 s16, vcc_lo, exec_lo
.LBB23_122:
	s_or_b32 exec_lo, exec_lo, s14
	s_orn2_b32 s14, s16, exec_lo
.LBB23_123:
	s_or_b32 exec_lo, exec_lo, s15
	v_cndmask_b32_e64 v18, v12, v13, s14
	v_cndmask_b32_e64 v19, v17, v15, s14
	s_mov_b32 s15, exec_lo
	v_add_nc_u32_e32 v18, 1, v18
	v_add_nc_u32_e32 v19, -1, v19
	v_cndmask_b32_e64 v21, v18, v12, s14
	v_min_u32_e32 v19, v18, v19
	v_cndmask_b32_e64 v18, v13, v18, s14
	v_lshlrev_b32_e32 v19, 3, v19
	ds_read_b64 v[23:24], v19
	s_waitcnt lgkmcnt(0)
	v_cndmask_b32_e64 v19, v24, v6, s14
	v_cndmask_b32_e64 v20, v23, v10, s14
	;; [unrolled: 1-line block ×4, first 2 shown]
	v_cmpx_lt_u32_e64 v21, v17
	s_cbranch_execz .LBB23_127
; %bb.124:
	s_mov_b32 s16, 0
	s_mov_b32 s0, exec_lo
	v_cmpx_lt_u32_e64 v18, v15
	s_cbranch_execz .LBB23_126
; %bb.125:
	v_mul_hi_i32 v12, 0x66666667, v20
	v_mul_hi_i32 v13, 0x66666667, v23
	v_lshrrev_b32_e32 v24, 31, v12
	v_ashrrev_i32_e32 v12, 2, v12
	v_lshrrev_b32_e32 v25, 31, v13
	v_ashrrev_i32_e32 v13, 2, v13
	v_add_nc_u32_e32 v12, v12, v24
	v_add_nc_u32_e32 v13, v13, v25
	v_cmp_ge_i32_e32 vcc_lo, v12, v13
	s_and_b32 s16, vcc_lo, exec_lo
.LBB23_126:
	s_or_b32 exec_lo, exec_lo, s0
	s_orn2_b32 s0, s16, exec_lo
.LBB23_127:
	s_or_b32 exec_lo, exec_lo, s15
	v_cndmask_b32_e64 v12, v21, v18, s0
	v_cndmask_b32_e64 v13, v17, v15, s0
	;; [unrolled: 1-line block ×5, first 2 shown]
	v_add_nc_u32_e32 v24, 1, v12
	v_add_nc_u32_e32 v12, -1, v13
	v_cndmask_b32_e64 v4, v8, v4, s7
	v_cndmask_b32_e64 v9, v19, v22, s0
	;; [unrolled: 1-line block ×4, first 2 shown]
	v_min_u32_e32 v12, v24, v12
	s_mov_b32 s7, exec_lo
	v_lshlrev_b32_e32 v12, 3, v12
	ds_read_b64 v[12:13], v12
	s_waitcnt lgkmcnt(0)
	v_cndmask_b32_e64 v11, v22, v13, s0
	v_cndmask_b32_e64 v10, v23, v12, s0
	v_cmpx_lt_u32_e64 v21, v17
	s_cbranch_execz .LBB23_131
; %bb.128:
	v_cndmask_b32_e64 v17, v18, v24, s0
	v_cndmask_b32_e64 v13, v13, v19, s0
	;; [unrolled: 1-line block ×3, first 2 shown]
	s_mov_b32 s0, exec_lo
	v_cmpx_lt_u32_e64 v17, v15
	s_cbranch_execz .LBB23_130
; %bb.129:
	v_mul_hi_i32 v15, 0x66666667, v12
	v_mul_hi_i32 v17, 0x66666667, v10
	v_lshrrev_b32_e32 v18, 31, v15
	v_ashrrev_i32_e32 v15, 2, v15
	v_lshrrev_b32_e32 v19, 31, v17
	v_ashrrev_i32_e32 v17, 2, v17
	v_add_nc_u32_e32 v15, v15, v18
	v_add_nc_u32_e32 v17, v17, v19
	v_cmp_lt_i32_e32 vcc_lo, v15, v17
	v_cndmask_b32_e32 v13, v11, v13, vcc_lo
	v_cndmask_b32_e32 v12, v10, v12, vcc_lo
.LBB23_130:
	s_or_b32 exec_lo, exec_lo, s0
	v_mov_b32_e32 v10, v12
	v_mov_b32_e32 v11, v13
.LBB23_131:
	s_or_b32 exec_lo, exec_lo, s7
.LBB23_132:
	s_or_b32 exec_lo, exec_lo, s1
	v_and_b32_e32 v18, 0x300, v16
	v_and_b32_e32 v19, 0xfc, v16
	s_mov_b32 s0, exec_lo
	s_barrier
	v_or_b32_e32 v15, 0x80, v18
	v_add_nc_u32_e32 v17, 0x100, v18
	buffer_gl0_inv
	ds_write_b128 v14, v[4:7]
	ds_write_b128 v14, v[8:11] offset:16
	v_sub_nc_u32_e32 v13, v15, v18
	v_sub_nc_u32_e32 v12, v17, v15
	s_waitcnt lgkmcnt(0)
	s_barrier
	buffer_gl0_inv
	v_min_u32_e32 v20, v19, v13
	v_sub_nc_u32_e64 v12, v19, v12 clamp
	v_lshlrev_b32_e32 v13, 3, v18
	v_cmpx_lt_u32_e64 v12, v20
	s_cbranch_execz .LBB23_136
; %bb.133:
	v_lshlrev_b32_e32 v21, 3, v19
	s_mov_b32 s1, 0
	v_lshl_add_u32 v21, v15, 3, v21
	.p2align	6
.LBB23_134:                             ; =>This Inner Loop Header: Depth=1
	v_add_nc_u32_e32 v22, v20, v12
	v_lshrrev_b32_e32 v22, 1, v22
	v_not_b32_e32 v23, v22
	v_lshl_add_u32 v24, v22, 3, v13
	v_lshl_add_u32 v23, v23, 3, v21
	ds_read_b32 v24, v24
	ds_read_b32 v23, v23
	s_waitcnt lgkmcnt(1)
	v_mul_hi_i32 v24, 0x66666667, v24
	s_waitcnt lgkmcnt(0)
	v_mul_hi_i32 v23, 0x66666667, v23
	v_lshrrev_b32_e32 v25, 31, v24
	v_ashrrev_i32_e32 v24, 2, v24
	v_lshrrev_b32_e32 v26, 31, v23
	v_ashrrev_i32_e32 v23, 2, v23
	v_add_nc_u32_e32 v24, v24, v25
	v_add_nc_u32_e32 v25, 1, v22
	;; [unrolled: 1-line block ×3, first 2 shown]
	v_cmp_lt_i32_e32 vcc_lo, v23, v24
	v_cndmask_b32_e32 v20, v20, v22, vcc_lo
	v_cndmask_b32_e32 v12, v25, v12, vcc_lo
	v_cmp_ge_u32_e32 vcc_lo, v12, v20
	s_or_b32 s1, vcc_lo, s1
	s_andn2_b32 exec_lo, exec_lo, s1
	s_cbranch_execnz .LBB23_134
; %bb.135:
	s_or_b32 exec_lo, exec_lo, s1
.LBB23_136:
	s_or_b32 exec_lo, exec_lo, s0
	v_sub_nc_u32_e32 v19, v19, v12
	v_add_nc_u32_e32 v18, v12, v18
	v_add_nc_u32_e32 v19, v19, v15
	v_cmp_le_u32_e32 vcc_lo, v18, v15
	v_cmp_le_u32_e64 s0, v19, v17
	s_or_b32 s0, vcc_lo, s0
	s_and_saveexec_b32 s1, s0
	s_cbranch_execz .LBB23_156
; %bb.137:
	s_mov_b32 s7, exec_lo
	v_cmp_ge_u32_e32 vcc_lo, v18, v15
                                        ; implicit-def: $vgpr4_vgpr5
	v_cmpx_lt_u32_e64 v18, v15
; %bb.138:
	v_lshl_add_u32 v4, v12, 3, v13
	ds_read_b64 v[4:5], v4
; %bb.139:
	s_or_b32 exec_lo, exec_lo, s7
	v_cmp_ge_u32_e64 s7, v19, v17
	s_mov_b32 s14, exec_lo
                                        ; implicit-def: $vgpr8_vgpr9
	v_cmpx_lt_u32_e64 v19, v17
; %bb.140:
	v_lshlrev_b32_e32 v6, 3, v19
	ds_read_b64 v[8:9], v6
; %bb.141:
	s_or_b32 exec_lo, exec_lo, s14
	s_nor_b32 s14, vcc_lo, s7
	s_and_saveexec_b32 s0, s14
	s_cbranch_execz .LBB23_143
; %bb.142:
	s_waitcnt lgkmcnt(0)
	v_mul_hi_i32 v6, 0x66666667, v8
	v_mul_hi_i32 v7, 0x66666667, v4
	s_andn2_b32 s7, s7, exec_lo
	v_lshrrev_b32_e32 v10, 31, v6
	v_ashrrev_i32_e32 v6, 2, v6
	v_lshrrev_b32_e32 v11, 31, v7
	v_ashrrev_i32_e32 v7, 2, v7
	v_add_nc_u32_e32 v6, v6, v10
	v_add_nc_u32_e32 v7, v7, v11
	v_cmp_ge_i32_e32 vcc_lo, v6, v7
	s_and_b32 s14, vcc_lo, exec_lo
	s_or_b32 s7, s7, s14
.LBB23_143:
	s_or_b32 exec_lo, exec_lo, s0
	v_cndmask_b32_e64 v6, v19, v18, s7
	v_cndmask_b32_e64 v7, v17, v15, s7
	s_mov_b32 s0, -1
	s_mov_b32 s14, -1
	s_mov_b32 s15, exec_lo
	v_add_nc_u32_e32 v6, 1, v6
	v_add_nc_u32_e32 v7, -1, v7
	v_cndmask_b32_e64 v12, v6, v19, s7
	v_min_u32_e32 v7, v6, v7
	v_cndmask_b32_e64 v13, v18, v6, s7
	v_lshlrev_b32_e32 v7, 3, v7
	ds_read_b64 v[20:21], v7
	s_waitcnt lgkmcnt(0)
	v_cndmask_b32_e64 v6, v21, v9, s7
	v_cndmask_b32_e64 v10, v20, v8, s7
	;; [unrolled: 1-line block ×4, first 2 shown]
	v_cmpx_lt_u32_e64 v12, v17
	s_cbranch_execz .LBB23_147
; %bb.144:
	s_mov_b32 s16, 0
	s_mov_b32 s14, exec_lo
	v_cmpx_lt_u32_e64 v13, v15
	s_cbranch_execz .LBB23_146
; %bb.145:
	v_mul_hi_i32 v18, 0x66666667, v10
	v_mul_hi_i32 v19, 0x66666667, v11
	v_lshrrev_b32_e32 v20, 31, v18
	v_ashrrev_i32_e32 v18, 2, v18
	v_lshrrev_b32_e32 v21, 31, v19
	v_ashrrev_i32_e32 v19, 2, v19
	v_add_nc_u32_e32 v18, v18, v20
	v_add_nc_u32_e32 v19, v19, v21
	v_cmp_ge_i32_e32 vcc_lo, v18, v19
	s_and_b32 s16, vcc_lo, exec_lo
.LBB23_146:
	s_or_b32 exec_lo, exec_lo, s14
	s_orn2_b32 s14, s16, exec_lo
.LBB23_147:
	s_or_b32 exec_lo, exec_lo, s15
	v_cndmask_b32_e64 v18, v12, v13, s14
	v_cndmask_b32_e64 v19, v17, v15, s14
	s_mov_b32 s15, exec_lo
	v_add_nc_u32_e32 v18, 1, v18
	v_add_nc_u32_e32 v19, -1, v19
	v_cndmask_b32_e64 v21, v18, v12, s14
	v_min_u32_e32 v19, v18, v19
	v_cndmask_b32_e64 v18, v13, v18, s14
	v_lshlrev_b32_e32 v19, 3, v19
	ds_read_b64 v[23:24], v19
	s_waitcnt lgkmcnt(0)
	v_cndmask_b32_e64 v19, v24, v6, s14
	v_cndmask_b32_e64 v20, v23, v10, s14
	;; [unrolled: 1-line block ×4, first 2 shown]
	v_cmpx_lt_u32_e64 v21, v17
	s_cbranch_execz .LBB23_151
; %bb.148:
	s_mov_b32 s16, 0
	s_mov_b32 s0, exec_lo
	v_cmpx_lt_u32_e64 v18, v15
	s_cbranch_execz .LBB23_150
; %bb.149:
	v_mul_hi_i32 v12, 0x66666667, v20
	v_mul_hi_i32 v13, 0x66666667, v23
	v_lshrrev_b32_e32 v24, 31, v12
	v_ashrrev_i32_e32 v12, 2, v12
	v_lshrrev_b32_e32 v25, 31, v13
	v_ashrrev_i32_e32 v13, 2, v13
	v_add_nc_u32_e32 v12, v12, v24
	v_add_nc_u32_e32 v13, v13, v25
	v_cmp_ge_i32_e32 vcc_lo, v12, v13
	s_and_b32 s16, vcc_lo, exec_lo
.LBB23_150:
	s_or_b32 exec_lo, exec_lo, s0
	s_orn2_b32 s0, s16, exec_lo
.LBB23_151:
	s_or_b32 exec_lo, exec_lo, s15
	v_cndmask_b32_e64 v12, v21, v18, s0
	v_cndmask_b32_e64 v13, v17, v15, s0
	;; [unrolled: 1-line block ×5, first 2 shown]
	v_add_nc_u32_e32 v24, 1, v12
	v_add_nc_u32_e32 v12, -1, v13
	v_cndmask_b32_e64 v4, v8, v4, s7
	v_cndmask_b32_e64 v9, v19, v22, s0
	v_cndmask_b32_e64 v8, v20, v23, s0
	v_cndmask_b32_e64 v21, v24, v21, s0
	v_min_u32_e32 v12, v24, v12
	s_mov_b32 s7, exec_lo
	v_lshlrev_b32_e32 v12, 3, v12
	ds_read_b64 v[12:13], v12
	s_waitcnt lgkmcnt(0)
	v_cndmask_b32_e64 v11, v22, v13, s0
	v_cndmask_b32_e64 v10, v23, v12, s0
	v_cmpx_lt_u32_e64 v21, v17
	s_cbranch_execz .LBB23_155
; %bb.152:
	v_cndmask_b32_e64 v17, v18, v24, s0
	v_cndmask_b32_e64 v13, v13, v19, s0
	;; [unrolled: 1-line block ×3, first 2 shown]
	s_mov_b32 s0, exec_lo
	v_cmpx_lt_u32_e64 v17, v15
	s_cbranch_execz .LBB23_154
; %bb.153:
	v_mul_hi_i32 v15, 0x66666667, v12
	v_mul_hi_i32 v17, 0x66666667, v10
	v_lshrrev_b32_e32 v18, 31, v15
	v_ashrrev_i32_e32 v15, 2, v15
	v_lshrrev_b32_e32 v19, 31, v17
	v_ashrrev_i32_e32 v17, 2, v17
	v_add_nc_u32_e32 v15, v15, v18
	v_add_nc_u32_e32 v17, v17, v19
	v_cmp_lt_i32_e32 vcc_lo, v15, v17
	v_cndmask_b32_e32 v13, v11, v13, vcc_lo
	v_cndmask_b32_e32 v12, v10, v12, vcc_lo
.LBB23_154:
	s_or_b32 exec_lo, exec_lo, s0
	v_mov_b32_e32 v10, v12
	v_mov_b32_e32 v11, v13
.LBB23_155:
	s_or_b32 exec_lo, exec_lo, s7
.LBB23_156:
	s_or_b32 exec_lo, exec_lo, s1
	v_and_b32_e32 v18, 0x200, v16
	v_and_b32_e32 v19, 0x1fc, v16
	s_mov_b32 s0, exec_lo
	s_barrier
	v_or_b32_e32 v15, 0x100, v18
	v_add_nc_u32_e32 v17, 0x200, v18
	buffer_gl0_inv
	ds_write_b128 v14, v[4:7]
	ds_write_b128 v14, v[8:11] offset:16
	v_sub_nc_u32_e32 v13, v15, v18
	v_sub_nc_u32_e32 v12, v17, v15
	s_waitcnt lgkmcnt(0)
	s_barrier
	buffer_gl0_inv
	v_min_u32_e32 v20, v19, v13
	v_sub_nc_u32_e64 v12, v19, v12 clamp
	v_lshlrev_b32_e32 v13, 3, v18
	v_cmpx_lt_u32_e64 v12, v20
	s_cbranch_execz .LBB23_160
; %bb.157:
	v_lshlrev_b32_e32 v21, 3, v19
	s_mov_b32 s1, 0
	v_lshl_add_u32 v21, v15, 3, v21
	.p2align	6
.LBB23_158:                             ; =>This Inner Loop Header: Depth=1
	v_add_nc_u32_e32 v22, v20, v12
	v_lshrrev_b32_e32 v22, 1, v22
	v_not_b32_e32 v23, v22
	v_lshl_add_u32 v24, v22, 3, v13
	v_lshl_add_u32 v23, v23, 3, v21
	ds_read_b32 v24, v24
	ds_read_b32 v23, v23
	s_waitcnt lgkmcnt(1)
	v_mul_hi_i32 v24, 0x66666667, v24
	s_waitcnt lgkmcnt(0)
	v_mul_hi_i32 v23, 0x66666667, v23
	v_lshrrev_b32_e32 v25, 31, v24
	v_ashrrev_i32_e32 v24, 2, v24
	v_lshrrev_b32_e32 v26, 31, v23
	v_ashrrev_i32_e32 v23, 2, v23
	v_add_nc_u32_e32 v24, v24, v25
	v_add_nc_u32_e32 v25, 1, v22
	;; [unrolled: 1-line block ×3, first 2 shown]
	v_cmp_lt_i32_e32 vcc_lo, v23, v24
	v_cndmask_b32_e32 v20, v20, v22, vcc_lo
	v_cndmask_b32_e32 v12, v25, v12, vcc_lo
	v_cmp_ge_u32_e32 vcc_lo, v12, v20
	s_or_b32 s1, vcc_lo, s1
	s_andn2_b32 exec_lo, exec_lo, s1
	s_cbranch_execnz .LBB23_158
; %bb.159:
	s_or_b32 exec_lo, exec_lo, s1
.LBB23_160:
	s_or_b32 exec_lo, exec_lo, s0
	v_sub_nc_u32_e32 v19, v19, v12
	v_add_nc_u32_e32 v18, v12, v18
	v_add_nc_u32_e32 v19, v19, v15
	v_cmp_le_u32_e32 vcc_lo, v18, v15
	v_cmp_le_u32_e64 s0, v19, v17
	s_or_b32 s0, vcc_lo, s0
	s_and_saveexec_b32 s1, s0
	s_cbranch_execz .LBB23_180
; %bb.161:
	s_mov_b32 s7, exec_lo
	v_cmp_ge_u32_e32 vcc_lo, v18, v15
                                        ; implicit-def: $vgpr4_vgpr5
	v_cmpx_lt_u32_e64 v18, v15
; %bb.162:
	v_lshl_add_u32 v4, v12, 3, v13
	ds_read_b64 v[4:5], v4
; %bb.163:
	s_or_b32 exec_lo, exec_lo, s7
	v_cmp_ge_u32_e64 s7, v19, v17
	s_mov_b32 s14, exec_lo
                                        ; implicit-def: $vgpr8_vgpr9
	v_cmpx_lt_u32_e64 v19, v17
; %bb.164:
	v_lshlrev_b32_e32 v6, 3, v19
	ds_read_b64 v[8:9], v6
; %bb.165:
	s_or_b32 exec_lo, exec_lo, s14
	s_nor_b32 s14, vcc_lo, s7
	s_and_saveexec_b32 s0, s14
	s_cbranch_execz .LBB23_167
; %bb.166:
	s_waitcnt lgkmcnt(0)
	v_mul_hi_i32 v6, 0x66666667, v8
	v_mul_hi_i32 v7, 0x66666667, v4
	s_andn2_b32 s7, s7, exec_lo
	v_lshrrev_b32_e32 v10, 31, v6
	v_ashrrev_i32_e32 v6, 2, v6
	v_lshrrev_b32_e32 v11, 31, v7
	v_ashrrev_i32_e32 v7, 2, v7
	v_add_nc_u32_e32 v6, v6, v10
	v_add_nc_u32_e32 v7, v7, v11
	v_cmp_ge_i32_e32 vcc_lo, v6, v7
	s_and_b32 s14, vcc_lo, exec_lo
	s_or_b32 s7, s7, s14
.LBB23_167:
	s_or_b32 exec_lo, exec_lo, s0
	v_cndmask_b32_e64 v6, v19, v18, s7
	v_cndmask_b32_e64 v7, v17, v15, s7
	s_mov_b32 s0, -1
	s_mov_b32 s14, -1
	s_mov_b32 s15, exec_lo
	v_add_nc_u32_e32 v6, 1, v6
	v_add_nc_u32_e32 v7, -1, v7
	v_cndmask_b32_e64 v12, v6, v19, s7
	v_min_u32_e32 v7, v6, v7
	v_cndmask_b32_e64 v13, v18, v6, s7
	v_lshlrev_b32_e32 v7, 3, v7
	ds_read_b64 v[20:21], v7
	s_waitcnt lgkmcnt(0)
	v_cndmask_b32_e64 v6, v21, v9, s7
	v_cndmask_b32_e64 v10, v20, v8, s7
	;; [unrolled: 1-line block ×4, first 2 shown]
	v_cmpx_lt_u32_e64 v12, v17
	s_cbranch_execz .LBB23_171
; %bb.168:
	s_mov_b32 s16, 0
	s_mov_b32 s14, exec_lo
	v_cmpx_lt_u32_e64 v13, v15
	s_cbranch_execz .LBB23_170
; %bb.169:
	v_mul_hi_i32 v18, 0x66666667, v10
	v_mul_hi_i32 v19, 0x66666667, v11
	v_lshrrev_b32_e32 v20, 31, v18
	v_ashrrev_i32_e32 v18, 2, v18
	v_lshrrev_b32_e32 v21, 31, v19
	v_ashrrev_i32_e32 v19, 2, v19
	v_add_nc_u32_e32 v18, v18, v20
	v_add_nc_u32_e32 v19, v19, v21
	v_cmp_ge_i32_e32 vcc_lo, v18, v19
	s_and_b32 s16, vcc_lo, exec_lo
.LBB23_170:
	s_or_b32 exec_lo, exec_lo, s14
	s_orn2_b32 s14, s16, exec_lo
.LBB23_171:
	s_or_b32 exec_lo, exec_lo, s15
	v_cndmask_b32_e64 v18, v12, v13, s14
	v_cndmask_b32_e64 v19, v17, v15, s14
	s_mov_b32 s15, exec_lo
	v_add_nc_u32_e32 v18, 1, v18
	v_add_nc_u32_e32 v19, -1, v19
	v_cndmask_b32_e64 v21, v18, v12, s14
	v_min_u32_e32 v19, v18, v19
	v_cndmask_b32_e64 v18, v13, v18, s14
	v_lshlrev_b32_e32 v19, 3, v19
	ds_read_b64 v[23:24], v19
	s_waitcnt lgkmcnt(0)
	v_cndmask_b32_e64 v19, v24, v6, s14
	v_cndmask_b32_e64 v20, v23, v10, s14
	;; [unrolled: 1-line block ×4, first 2 shown]
	v_cmpx_lt_u32_e64 v21, v17
	s_cbranch_execz .LBB23_175
; %bb.172:
	s_mov_b32 s16, 0
	s_mov_b32 s0, exec_lo
	v_cmpx_lt_u32_e64 v18, v15
	s_cbranch_execz .LBB23_174
; %bb.173:
	v_mul_hi_i32 v12, 0x66666667, v20
	v_mul_hi_i32 v13, 0x66666667, v23
	v_lshrrev_b32_e32 v24, 31, v12
	v_ashrrev_i32_e32 v12, 2, v12
	v_lshrrev_b32_e32 v25, 31, v13
	v_ashrrev_i32_e32 v13, 2, v13
	v_add_nc_u32_e32 v12, v12, v24
	v_add_nc_u32_e32 v13, v13, v25
	v_cmp_ge_i32_e32 vcc_lo, v12, v13
	s_and_b32 s16, vcc_lo, exec_lo
.LBB23_174:
	s_or_b32 exec_lo, exec_lo, s0
	s_orn2_b32 s0, s16, exec_lo
.LBB23_175:
	s_or_b32 exec_lo, exec_lo, s15
	v_cndmask_b32_e64 v12, v21, v18, s0
	v_cndmask_b32_e64 v13, v17, v15, s0
	;; [unrolled: 1-line block ×5, first 2 shown]
	v_add_nc_u32_e32 v24, 1, v12
	v_add_nc_u32_e32 v12, -1, v13
	v_cndmask_b32_e64 v4, v8, v4, s7
	v_cndmask_b32_e64 v9, v19, v22, s0
	v_cndmask_b32_e64 v8, v20, v23, s0
	v_cndmask_b32_e64 v21, v24, v21, s0
	v_min_u32_e32 v12, v24, v12
	s_mov_b32 s7, exec_lo
	v_lshlrev_b32_e32 v12, 3, v12
	ds_read_b64 v[12:13], v12
	s_waitcnt lgkmcnt(0)
	v_cndmask_b32_e64 v11, v22, v13, s0
	v_cndmask_b32_e64 v10, v23, v12, s0
	v_cmpx_lt_u32_e64 v21, v17
	s_cbranch_execz .LBB23_179
; %bb.176:
	v_cndmask_b32_e64 v17, v18, v24, s0
	v_cndmask_b32_e64 v13, v13, v19, s0
	;; [unrolled: 1-line block ×3, first 2 shown]
	s_mov_b32 s0, exec_lo
	v_cmpx_lt_u32_e64 v17, v15
	s_cbranch_execz .LBB23_178
; %bb.177:
	v_mul_hi_i32 v15, 0x66666667, v12
	v_mul_hi_i32 v17, 0x66666667, v10
	v_lshrrev_b32_e32 v18, 31, v15
	v_ashrrev_i32_e32 v15, 2, v15
	v_lshrrev_b32_e32 v19, 31, v17
	v_ashrrev_i32_e32 v17, 2, v17
	v_add_nc_u32_e32 v15, v15, v18
	v_add_nc_u32_e32 v17, v17, v19
	v_cmp_lt_i32_e32 vcc_lo, v15, v17
	v_cndmask_b32_e32 v13, v11, v13, vcc_lo
	v_cndmask_b32_e32 v12, v10, v12, vcc_lo
.LBB23_178:
	s_or_b32 exec_lo, exec_lo, s0
	v_mov_b32_e32 v10, v12
	v_mov_b32_e32 v11, v13
.LBB23_179:
	s_or_b32 exec_lo, exec_lo, s7
.LBB23_180:
	s_or_b32 exec_lo, exec_lo, s1
	v_and_b32_e32 v13, 0x3fc, v16
	s_mov_b32 s0, exec_lo
	s_barrier
	buffer_gl0_inv
	v_subrev_nc_u32_e64 v12, 0x200, v13 clamp
	v_min_u32_e32 v15, 0x200, v13
	ds_write_b128 v14, v[4:7]
	ds_write_b128 v14, v[8:11] offset:16
	s_waitcnt lgkmcnt(0)
	s_barrier
	buffer_gl0_inv
	v_cmpx_lt_u32_e64 v12, v15
	s_cbranch_execz .LBB23_184
; %bb.181:
	v_lshlrev_b32_e32 v14, 3, v13
	s_mov_b32 s1, 0
	v_lshl_add_u32 v14, 0x200, 3, v14
	.p2align	6
.LBB23_182:                             ; =>This Inner Loop Header: Depth=1
	v_add_nc_u32_e32 v16, v15, v12
	v_lshrrev_b32_e32 v16, 1, v16
	v_not_b32_e32 v17, v16
	v_lshlrev_b32_e32 v18, 3, v16
	v_lshl_add_u32 v17, v17, 3, v14
	ds_read_b32 v18, v18
	ds_read_b32 v17, v17
	s_waitcnt lgkmcnt(1)
	v_mul_hi_i32 v18, 0x66666667, v18
	s_waitcnt lgkmcnt(0)
	v_mul_hi_i32 v17, 0x66666667, v17
	v_lshrrev_b32_e32 v19, 31, v18
	v_ashrrev_i32_e32 v18, 2, v18
	v_lshrrev_b32_e32 v20, 31, v17
	v_ashrrev_i32_e32 v17, 2, v17
	v_add_nc_u32_e32 v18, v18, v19
	v_add_nc_u32_e32 v19, 1, v16
	;; [unrolled: 1-line block ×3, first 2 shown]
	v_cmp_lt_i32_e32 vcc_lo, v17, v18
	v_cndmask_b32_e32 v15, v15, v16, vcc_lo
	v_cndmask_b32_e32 v12, v19, v12, vcc_lo
	v_cmp_ge_u32_e32 vcc_lo, v12, v15
	s_or_b32 s1, vcc_lo, s1
	s_andn2_b32 exec_lo, exec_lo, s1
	s_cbranch_execnz .LBB23_182
; %bb.183:
	s_or_b32 exec_lo, exec_lo, s1
.LBB23_184:
	s_or_b32 exec_lo, exec_lo, s0
	v_sub_nc_u32_e32 v13, v13, v12
	v_cmp_ge_u32_e32 vcc_lo, 0x200, v12
	v_add_nc_u32_e32 v13, 0x200, v13
	v_cmp_gt_u32_e64 s0, 0x401, v13
	s_or_b32 s0, vcc_lo, s0
	s_and_saveexec_b32 s1, s0
	s_cbranch_execz .LBB23_204
; %bb.185:
	s_mov_b32 s7, exec_lo
	v_cmp_le_u32_e32 vcc_lo, 0x200, v12
                                        ; implicit-def: $vgpr4_vgpr5
	v_cmpx_gt_u32_e32 0x200, v12
; %bb.186:
	v_lshlrev_b32_e32 v4, 3, v12
	ds_read_b64 v[4:5], v4
; %bb.187:
	s_or_b32 exec_lo, exec_lo, s7
	v_cmp_lt_u32_e64 s7, 0x3ff, v13
	s_mov_b32 s14, exec_lo
                                        ; implicit-def: $vgpr8_vgpr9
	v_cmpx_gt_u32_e32 0x400, v13
; %bb.188:
	v_lshlrev_b32_e32 v6, 3, v13
	ds_read_b64 v[8:9], v6
; %bb.189:
	s_or_b32 exec_lo, exec_lo, s14
	s_nor_b32 s14, vcc_lo, s7
	s_and_saveexec_b32 s0, s14
	s_cbranch_execz .LBB23_191
; %bb.190:
	s_waitcnt lgkmcnt(0)
	v_mul_hi_i32 v6, 0x66666667, v8
	v_mul_hi_i32 v7, 0x66666667, v4
	s_andn2_b32 s7, s7, exec_lo
	v_lshrrev_b32_e32 v10, 31, v6
	v_ashrrev_i32_e32 v6, 2, v6
	v_lshrrev_b32_e32 v11, 31, v7
	v_ashrrev_i32_e32 v7, 2, v7
	v_add_nc_u32_e32 v6, v6, v10
	v_add_nc_u32_e32 v7, v7, v11
	v_cmp_ge_i32_e32 vcc_lo, v6, v7
	s_and_b32 s14, vcc_lo, exec_lo
	s_or_b32 s7, s7, s14
.LBB23_191:
	s_or_b32 exec_lo, exec_lo, s0
	v_cndmask_b32_e64 v7, v13, v12, s7
	v_add_nc_u32_e64 v6, 0x200, -1
	s_mov_b32 s0, -1
	s_mov_b32 s14, -1
	s_mov_b32 s15, exec_lo
	v_add_nc_u32_e32 v7, 1, v7
	v_cndmask_b32_e64 v10, 0x3ff, v6, s7
	v_cndmask_b32_e64 v13, v7, v13, s7
	v_min_u32_e32 v10, v7, v10
	v_cndmask_b32_e64 v12, v12, v7, s7
	v_lshlrev_b32_e32 v10, 3, v10
	ds_read_b64 v[14:15], v10
	s_waitcnt lgkmcnt(0)
	v_cndmask_b32_e64 v7, v15, v9, s7
	v_cndmask_b32_e64 v10, v14, v8, s7
	;; [unrolled: 1-line block ×4, first 2 shown]
	v_cmpx_gt_u32_e32 0x400, v13
	s_cbranch_execz .LBB23_195
; %bb.192:
	s_mov_b32 s16, 0
	s_mov_b32 s14, exec_lo
	v_cmpx_gt_u32_e32 0x200, v12
	s_cbranch_execz .LBB23_194
; %bb.193:
	v_mul_hi_i32 v15, 0x66666667, v10
	v_mul_hi_i32 v16, 0x66666667, v14
	v_lshrrev_b32_e32 v17, 31, v15
	v_ashrrev_i32_e32 v15, 2, v15
	v_lshrrev_b32_e32 v18, 31, v16
	v_ashrrev_i32_e32 v16, 2, v16
	v_add_nc_u32_e32 v15, v15, v17
	v_add_nc_u32_e32 v16, v16, v18
	v_cmp_ge_i32_e32 vcc_lo, v15, v16
	s_and_b32 s16, vcc_lo, exec_lo
.LBB23_194:
	s_or_b32 exec_lo, exec_lo, s14
	s_orn2_b32 s14, s16, exec_lo
.LBB23_195:
	s_or_b32 exec_lo, exec_lo, s15
	v_cndmask_b32_e64 v15, v13, v12, s14
	v_cndmask_b32_e64 v16, 0x3ff, v6, s14
	s_mov_b32 s15, exec_lo
	v_add_nc_u32_e32 v15, 1, v15
	v_min_u32_e32 v16, v15, v16
	v_cndmask_b32_e64 v18, v15, v13, s14
	v_cndmask_b32_e64 v15, v12, v15, s14
	v_lshlrev_b32_e32 v16, 3, v16
	ds_read_b64 v[20:21], v16
	s_waitcnt lgkmcnt(0)
	v_cndmask_b32_e64 v16, v21, v7, s14
	v_cndmask_b32_e64 v17, v20, v10, s14
	;; [unrolled: 1-line block ×4, first 2 shown]
	v_cmpx_gt_u32_e32 0x400, v18
	s_cbranch_execz .LBB23_199
; %bb.196:
	s_mov_b32 s16, 0
	s_mov_b32 s0, exec_lo
	v_cmpx_gt_u32_e32 0x200, v15
	s_cbranch_execz .LBB23_198
; %bb.197:
	v_mul_hi_i32 v12, 0x66666667, v17
	v_mul_hi_i32 v13, 0x66666667, v20
	v_lshrrev_b32_e32 v21, 31, v12
	v_ashrrev_i32_e32 v12, 2, v12
	v_lshrrev_b32_e32 v22, 31, v13
	v_ashrrev_i32_e32 v13, 2, v13
	v_add_nc_u32_e32 v12, v12, v21
	v_add_nc_u32_e32 v13, v13, v22
	v_cmp_ge_i32_e32 vcc_lo, v12, v13
	s_and_b32 s16, vcc_lo, exec_lo
.LBB23_198:
	s_or_b32 exec_lo, exec_lo, s0
	s_orn2_b32 s0, s16, exec_lo
.LBB23_199:
	s_or_b32 exec_lo, exec_lo, s15
	v_cndmask_b32_e64 v12, v18, v15, s0
	v_cndmask_b32_e64 v6, 0x3ff, v6, s0
	v_cndmask_b32_e64 v7, v7, v11, s14
	v_cndmask_b32_e64 v5, v9, v5, s7
	v_cndmask_b32_e64 v4, v8, v4, s7
	v_add_nc_u32_e32 v21, 1, v12
	v_cndmask_b32_e64 v9, v16, v19, s0
	v_cndmask_b32_e64 v8, v17, v20, s0
	s_mov_b32 s7, exec_lo
	v_min_u32_e32 v6, v21, v6
	v_lshlrev_b32_e32 v6, 3, v6
	ds_read_b64 v[12:13], v6
	v_cndmask_b32_e64 v6, v10, v14, s14
	v_cndmask_b32_e64 v14, v21, v18, s0
	s_waitcnt lgkmcnt(0)
	v_cndmask_b32_e64 v11, v19, v13, s0
	v_cndmask_b32_e64 v10, v20, v12, s0
	v_cmpx_gt_u32_e32 0x400, v14
	s_cbranch_execz .LBB23_203
; %bb.200:
	v_cndmask_b32_e64 v14, v15, v21, s0
	v_cndmask_b32_e64 v13, v13, v16, s0
	;; [unrolled: 1-line block ×3, first 2 shown]
	s_mov_b32 s0, exec_lo
	v_cmpx_gt_u32_e32 0x200, v14
	s_cbranch_execz .LBB23_202
; %bb.201:
	v_mul_hi_i32 v14, 0x66666667, v12
	v_mul_hi_i32 v15, 0x66666667, v10
	v_lshrrev_b32_e32 v16, 31, v14
	v_ashrrev_i32_e32 v14, 2, v14
	v_lshrrev_b32_e32 v17, 31, v15
	v_ashrrev_i32_e32 v15, 2, v15
	v_add_nc_u32_e32 v14, v14, v16
	v_add_nc_u32_e32 v15, v15, v17
	v_cmp_lt_i32_e32 vcc_lo, v14, v15
	v_cndmask_b32_e32 v13, v11, v13, vcc_lo
	v_cndmask_b32_e32 v12, v10, v12, vcc_lo
.LBB23_202:
	s_or_b32 exec_lo, exec_lo, s0
	v_mov_b32_e32 v10, v12
	v_mov_b32_e32 v11, v13
.LBB23_203:
	s_or_b32 exec_lo, exec_lo, s7
.LBB23_204:
	s_or_b32 exec_lo, exec_lo, s1
	s_barrier
	buffer_gl0_inv
	s_barrier
	buffer_gl0_inv
	ds_write2_b64 v38, v[4:5], v[6:7] offset1:1
	ds_write2_b64 v38, v[8:9], v[10:11] offset0:2 offset1:3
	s_waitcnt lgkmcnt(0)
	s_barrier
	buffer_gl0_inv
	ds_read_b64 v[6:7], v34
	ds_read_b64 v[8:9], v35 offset:2048
	ds_read_b64 v[10:11], v36 offset:4096
	;; [unrolled: 1-line block ×3, first 2 shown]
	v_add_co_u32 v12, s0, s11, v28
	v_add_co_ci_u32_e64 v13, null, s13, 0, s0
	v_add_co_u32 v14, vcc_lo, 0x800, v12
	v_add_co_ci_u32_e64 v15, null, 0, v13, vcc_lo
	v_add_co_u32 v16, vcc_lo, 0x1000, v12
	v_add_co_ci_u32_e64 v17, null, 0, v13, vcc_lo
	s_mov_b32 s14, -1
	s_waitcnt lgkmcnt(3)
	flat_store_dwordx2 v[12:13], v[6:7]
	s_waitcnt lgkmcnt(3)
	flat_store_dwordx2 v[14:15], v[8:9]
	s_waitcnt lgkmcnt(3)
	flat_store_dwordx2 v[16:17], v[10:11]
	s_branch .LBB23_343
.LBB23_205:
	s_mov_b32 s14, s9
                                        ; implicit-def: $vgpr4_vgpr5
	s_cbranch_execz .LBB23_343
; %bb.206:
	s_waitcnt lgkmcnt(3)
	v_mov_b32_e32 v4, 0
	s_lshl_b64 s[0:1], s[8:9], 10
	s_sub_i32 s8, s12, s0
	v_cmp_gt_u32_e32 vcc_lo, s8, v0
	v_mov_b32_e32 v5, v4
	v_mov_b32_e32 v6, v4
	;; [unrolled: 1-line block ×7, first 2 shown]
	s_and_saveexec_b32 s0, vcc_lo
	s_cbranch_execnz .LBB23_346
; %bb.207:
	s_or_b32 exec_lo, exec_lo, s0
	v_cmp_gt_u32_e64 s0, s8, v33
	s_and_saveexec_b32 s1, s0
	s_cbranch_execnz .LBB23_347
.LBB23_208:
	s_or_b32 exec_lo, exec_lo, s1
	v_cmp_gt_u32_e64 s1, s8, v32
	s_and_saveexec_b32 s7, s1
	s_cbranch_execnz .LBB23_348
.LBB23_209:
	s_or_b32 exec_lo, exec_lo, s7
	v_cmp_gt_u32_e64 s14, s8, v31
	s_and_saveexec_b32 s7, s14
	s_cbranch_execz .LBB23_211
.LBB23_210:
	v_lshlrev_b32_e32 v1, 3, v31
	v_add_co_u32 v10, s4, s4, v1
	v_add_co_ci_u32_e64 v11, null, s5, 0, s4
	flat_load_dwordx2 v[10:11], v[10:11]
.LBB23_211:
	s_or_b32 exec_lo, exec_lo, s7
	v_lshrrev_b32_e32 v12, 2, v32
	v_lshrrev_b32_e32 v13, 2, v31
	;; [unrolled: 1-line block ×3, first 2 shown]
	v_and_b32_e32 v14, 56, v30
	v_and_b32_e32 v15, 0xf8, v12
	;; [unrolled: 1-line block ×4, first 2 shown]
	v_add_nc_u32_e32 v12, v14, v28
	v_add_nc_u32_e32 v14, v15, v28
	;; [unrolled: 1-line block ×3, first 2 shown]
	v_lshl_add_u32 v16, v0, 5, v29
	v_add_nc_u32_e32 v13, v1, v28
	ds_write_b64 v12, v[4:5]
	s_waitcnt vmcnt(0) lgkmcnt(1)
	ds_write_b64 v13, v[6:7] offset:2048
	ds_write_b64 v14, v[8:9] offset:4096
	;; [unrolled: 1-line block ×3, first 2 shown]
	s_waitcnt lgkmcnt(0)
	s_waitcnt_vscnt null, 0x0
	s_barrier
	buffer_gl0_inv
	ds_read2_b64 v[4:7], v16 offset1:1
	ds_read2_b64 v[8:11], v16 offset0:2 offset1:3
	s_waitcnt lgkmcnt(0)
	s_barrier
	buffer_gl0_inv
	s_load_dword s4, s[2:3], 0xc
	v_mov_b32_e32 v1, 0
	s_waitcnt lgkmcnt(0)
	s_lshr_b32 s4, s4, 16
	s_cmp_lt_u32 s6, s10
	v_mad_u32_u24 v2, v2, s4, v3
	s_cselect_b32 s5, 12, 18
	s_add_u32 s2, s2, s5
	s_addc_u32 s3, s3, 0
	global_load_ushort v1, v1, s[2:3]
	s_waitcnt vmcnt(0)
	v_mul_lo_u32 v1, v2, v1
	v_add_lshl_u32 v1, v1, v0, 2
	v_sub_nc_u32_e64 v2, s8, v1 clamp
	v_cmp_lt_u32_e64 s2, 1, v2
	s_and_saveexec_b32 s4, s2
	s_cbranch_execz .LBB23_215
; %bb.212:
	v_mul_hi_i32 v3, 0x66666667, v6
	v_mul_hi_i32 v17, 0x66666667, v4
	s_mov_b32 s5, exec_lo
	v_lshrrev_b32_e32 v18, 31, v3
	v_ashrrev_i32_e32 v3, 2, v3
	v_lshrrev_b32_e32 v19, 31, v17
	v_ashrrev_i32_e32 v17, 2, v17
	v_add_nc_u32_e32 v3, v3, v18
	v_add_nc_u32_e32 v17, v17, v19
	v_cmpx_lt_i32_e64 v3, v17
	s_cbranch_execz .LBB23_214
; %bb.213:
	v_mov_b32_e32 v17, v6
	v_mov_b32_e32 v18, v7
	;; [unrolled: 1-line block ×16, first 2 shown]
.LBB23_214:
	s_or_b32 exec_lo, exec_lo, s5
.LBB23_215:
	s_or_b32 exec_lo, exec_lo, s4
	v_mul_hi_i32 v3, 0x66666667, v10
	v_mul_hi_i32 v17, 0x66666667, v8
	v_cmp_lt_u32_e64 s3, 3, v2
	v_cmp_lt_u32_e64 s5, 2, v2
	v_and_b32_e32 v1, 0xffffff80, v1
	v_lshrrev_b32_e32 v18, 31, v3
	v_ashrrev_i32_e32 v3, 2, v3
	v_lshrrev_b32_e32 v19, 31, v17
	v_ashrrev_i32_e32 v17, 2, v17
	v_add_nc_u32_e32 v3, v3, v18
	v_mul_hi_i32 v18, 0x66666667, v6
	v_add_nc_u32_e32 v17, v17, v19
	v_cmp_lt_i32_e64 s4, v3, v17
	v_lshrrev_b32_e32 v20, 31, v18
	v_ashrrev_i32_e32 v18, 2, v18
	s_and_b32 s4, s3, s4
	v_cndmask_b32_e64 v17, v8, v10, s4
	v_add_nc_u32_e32 v18, v18, v20
	v_cndmask_b32_e64 v3, v11, v9, s4
	v_cndmask_b32_e64 v2, v9, v11, s4
	;; [unrolled: 1-line block ×3, first 2 shown]
	v_mul_hi_i32 v19, 0x66666667, v17
	v_mul_hi_i32 v8, 0x66666667, v4
	v_mbcnt_lo_u32_b32 v20, -1, 0
	v_mul_hi_i32 v11, 0x66666667, v9
	v_lshrrev_b32_e32 v21, 31, v19
	v_ashrrev_i32_e32 v19, 2, v19
	v_add_nc_u32_e32 v19, v19, v21
	v_cmp_lt_i32_e64 s6, v19, v18
	v_lshrrev_b32_e32 v19, 31, v8
	v_lshrrev_b32_e32 v18, 31, v11
	v_ashrrev_i32_e32 v11, 2, v11
	v_ashrrev_i32_e32 v8, 2, v8
	s_and_b32 s4, s5, s6
	v_cndmask_b32_e64 v24, v17, v6, s4
	v_cndmask_b32_e64 v25, v6, v17, s4
	v_add_nc_u32_e32 v11, v11, v18
	v_add_nc_u32_e32 v8, v8, v19
	v_lshlrev_b32_e32 v18, 2, v20
	v_mul_hi_i32 v6, 0x66666667, v24
	v_mul_hi_i32 v17, 0x66666667, v25
	v_sub_nc_u32_e64 v19, s8, v1 clamp
	v_cndmask_b32_e64 v10, v2, v7, s4
	v_cndmask_b32_e64 v7, v7, v2, s4
	v_lshrrev_b32_e32 v21, 31, v6
	v_ashrrev_i32_e32 v6, 2, v6
	v_lshrrev_b32_e32 v22, 31, v17
	v_ashrrev_i32_e32 v17, 2, v17
	v_add_nc_u32_e32 v6, v6, v21
	v_add_nc_u32_e32 v17, v17, v22
	v_and_b32_e32 v22, 4, v18
	v_cmp_lt_i32_e64 s6, v11, v6
	v_or_b32_e32 v11, 4, v18
	v_cmp_lt_i32_e64 s7, v17, v8
	v_lshlrev_b32_e32 v17, 3, v1
	v_and_b32_e32 v1, 0x78, v18
	s_and_b32 s3, s3, s6
	v_min_u32_e32 v21, v19, v11
	s_and_b32 s2, s2, s7
	v_cndmask_b32_e64 v26, v24, v9, s3
	v_cndmask_b32_e64 v27, v25, v4, s2
	v_cndmask_b32_e64 v6, v3, v10, s3
	v_add_nc_u32_e32 v23, 4, v21
	v_cndmask_b32_e64 v32, v7, v5, s2
	v_mul_hi_i32 v2, 0x66666667, v26
	v_mul_hi_i32 v11, 0x66666667, v27
	v_cndmask_b32_e64 v3, v10, v3, s3
	v_cndmask_b32_e64 v8, v5, v7, s2
	;; [unrolled: 1-line block ×3, first 2 shown]
	v_lshl_or_b32 v20, v20, 5, v17
	v_cndmask_b32_e64 v5, v9, v24, s3
	v_lshl_or_b32 v24, v1, 3, v17
	v_lshrrev_b32_e32 v29, 31, v2
	v_ashrrev_i32_e32 v30, 2, v2
	v_lshrrev_b32_e32 v31, 31, v11
	v_ashrrev_i32_e32 v11, 2, v11
	v_min_u32_e32 v2, v19, v22
	v_min_u32_e32 v22, v19, v23
	v_add_nc_u32_e32 v29, v30, v29
	v_sub_nc_u32_e32 v23, v21, v1
	v_add_nc_u32_e32 v30, v11, v31
	s_mov_b32 s3, exec_lo
	v_sub_nc_u32_e32 v31, v22, v21
	v_min_u32_e32 v11, v2, v23
	v_cmp_lt_i32_e64 s4, v29, v30
	v_sub_nc_u32_e64 v23, v2, v31 clamp
	s_and_b32 s2, s5, s4
	v_cndmask_b32_e64 v4, v3, v32, s2
	v_cndmask_b32_e64 v10, v32, v3, s2
	;; [unrolled: 1-line block ×4, first 2 shown]
	ds_write_b128 v20, v[7:10]
	ds_write_b128 v20, v[3:6] offset:16
	; wave barrier
	v_cmpx_lt_u32_e64 v23, v11
	s_cbranch_execz .LBB23_219
; %bb.216:
	v_lshlrev_b32_e32 v25, 3, v21
	v_lshlrev_b32_e32 v26, 3, v2
	s_mov_b32 s4, 0
	v_add3_u32 v25, v17, v25, v26
	s_inst_prefetch 0x1
	.p2align	6
.LBB23_217:                             ; =>This Inner Loop Header: Depth=1
	v_add_nc_u32_e32 v26, v11, v23
	v_lshrrev_b32_e32 v26, 1, v26
	v_not_b32_e32 v27, v26
	v_lshl_add_u32 v29, v26, 3, v24
	v_lshl_add_u32 v27, v27, 3, v25
	ds_read_b32 v29, v29
	ds_read_b32 v27, v27
	s_waitcnt lgkmcnt(1)
	v_mul_hi_i32 v29, 0x66666667, v29
	s_waitcnt lgkmcnt(0)
	v_mul_hi_i32 v27, 0x66666667, v27
	v_lshrrev_b32_e32 v30, 31, v29
	v_ashrrev_i32_e32 v29, 2, v29
	v_lshrrev_b32_e32 v31, 31, v27
	v_ashrrev_i32_e32 v27, 2, v27
	v_add_nc_u32_e32 v29, v29, v30
	v_add_nc_u32_e32 v30, 1, v26
	;; [unrolled: 1-line block ×3, first 2 shown]
	v_cmp_lt_i32_e64 s2, v27, v29
	v_cndmask_b32_e64 v11, v11, v26, s2
	v_cndmask_b32_e64 v23, v30, v23, s2
	v_cmp_ge_u32_e64 s2, v23, v11
	s_or_b32 s4, s2, s4
	s_andn2_b32 exec_lo, exec_lo, s4
	s_cbranch_execnz .LBB23_217
; %bb.218:
	s_inst_prefetch 0x2
	s_or_b32 exec_lo, exec_lo, s4
.LBB23_219:
	s_or_b32 exec_lo, exec_lo, s3
	v_add_nc_u32_e32 v2, v21, v2
	v_add_nc_u32_e32 v25, v23, v1
	v_lshlrev_b32_e32 v11, 2, v0
	v_sub_nc_u32_e32 v26, v2, v23
	v_cmp_le_u32_e64 s2, v25, v21
	v_cmp_le_u32_e64 s3, v26, v22
	s_or_b32 s2, s2, s3
	s_and_saveexec_b32 s4, s2
	s_cbranch_execz .LBB23_239
; %bb.220:
	v_cmp_ge_u32_e64 s2, v25, v21
	s_mov_b32 s5, exec_lo
                                        ; implicit-def: $vgpr1_vgpr2
	v_cmpx_lt_u32_e64 v25, v21
; %bb.221:
	v_lshl_add_u32 v1, v23, 3, v24
	ds_read_b64 v[1:2], v1
; %bb.222:
	s_or_b32 exec_lo, exec_lo, s5
	v_cmp_ge_u32_e64 s5, v26, v22
	s_mov_b32 s6, exec_lo
                                        ; implicit-def: $vgpr3_vgpr4
	v_cmpx_lt_u32_e64 v26, v22
; %bb.223:
	v_lshl_add_u32 v3, v26, 3, v17
	ds_read_b64 v[3:4], v3
; %bb.224:
	s_or_b32 exec_lo, exec_lo, s6
	s_nor_b32 s2, s2, s5
	s_and_saveexec_b32 s3, s2
	s_cbranch_execz .LBB23_226
; %bb.225:
	s_waitcnt lgkmcnt(0)
	v_mul_hi_i32 v5, 0x66666667, v3
	v_mul_hi_i32 v6, 0x66666667, v1
	s_andn2_b32 s5, s5, exec_lo
	v_lshrrev_b32_e32 v7, 31, v5
	v_ashrrev_i32_e32 v5, 2, v5
	v_lshrrev_b32_e32 v8, 31, v6
	v_ashrrev_i32_e32 v6, 2, v6
	v_add_nc_u32_e32 v5, v5, v7
	v_add_nc_u32_e32 v6, v6, v8
	v_cmp_ge_i32_e64 s2, v5, v6
	s_and_b32 s2, s2, exec_lo
	s_or_b32 s5, s5, s2
.LBB23_226:
	s_or_b32 exec_lo, exec_lo, s3
	v_cndmask_b32_e64 v5, v26, v25, s5
	v_cndmask_b32_e64 v6, v22, v21, s5
	s_mov_b32 s3, -1
	s_mov_b32 s6, -1
	s_mov_b32 s7, exec_lo
	v_add_nc_u32_e32 v9, 1, v5
	v_add_nc_u32_e32 v5, -1, v6
	v_cndmask_b32_e64 v6, v25, v9, s5
	v_min_u32_e32 v5, v9, v5
	v_lshl_add_u32 v5, v5, 3, v17
	ds_read_b64 v[7:8], v5
	v_cndmask_b32_e64 v5, v9, v26, s5
	s_waitcnt lgkmcnt(0)
	v_cndmask_b32_e64 v9, v8, v4, s5
	v_cndmask_b32_e64 v23, v7, v3, s5
	;; [unrolled: 1-line block ×4, first 2 shown]
	v_cmpx_lt_u32_e64 v5, v22
	s_cbranch_execz .LBB23_230
; %bb.227:
	s_mov_b32 s9, 0
	s_mov_b32 s6, exec_lo
	v_cmpx_lt_u32_e64 v6, v21
	s_cbranch_execz .LBB23_229
; %bb.228:
	v_mul_hi_i32 v7, 0x66666667, v23
	v_mul_hi_i32 v8, 0x66666667, v24
	v_lshrrev_b32_e32 v25, 31, v7
	v_ashrrev_i32_e32 v7, 2, v7
	v_lshrrev_b32_e32 v26, 31, v8
	v_ashrrev_i32_e32 v8, 2, v8
	v_add_nc_u32_e32 v7, v7, v25
	v_add_nc_u32_e32 v8, v8, v26
	v_cmp_ge_i32_e64 s2, v7, v8
	s_and_b32 s9, s2, exec_lo
.LBB23_229:
	s_or_b32 exec_lo, exec_lo, s6
	s_orn2_b32 s6, s9, exec_lo
.LBB23_230:
	s_or_b32 exec_lo, exec_lo, s7
	v_cndmask_b32_e64 v7, v5, v6, s6
	v_cndmask_b32_e64 v8, v22, v21, s6
	s_mov_b32 s7, exec_lo
	v_add_nc_u32_e32 v25, 1, v7
	v_add_nc_u32_e32 v7, -1, v8
	v_cndmask_b32_e64 v5, v25, v5, s6
	v_min_u32_e32 v7, v25, v7
	v_cndmask_b32_e64 v30, v6, v25, s6
	v_lshl_add_u32 v7, v7, 3, v17
	ds_read_b64 v[7:8], v7
	s_waitcnt lgkmcnt(0)
	v_cndmask_b32_e64 v25, v8, v9, s6
	v_cndmask_b32_e64 v26, v7, v23, s6
	;; [unrolled: 1-line block ×4, first 2 shown]
	v_cmpx_lt_u32_e64 v5, v22
	s_cbranch_execz .LBB23_234
; %bb.231:
	s_mov_b32 s9, 0
	s_mov_b32 s3, exec_lo
	v_cmpx_lt_u32_e64 v30, v21
	s_cbranch_execz .LBB23_233
; %bb.232:
	v_mul_hi_i32 v6, 0x66666667, v26
	v_mul_hi_i32 v7, 0x66666667, v29
	v_lshrrev_b32_e32 v8, 31, v6
	v_ashrrev_i32_e32 v6, 2, v6
	v_lshrrev_b32_e32 v31, 31, v7
	v_ashrrev_i32_e32 v7, 2, v7
	v_add_nc_u32_e32 v6, v6, v8
	v_add_nc_u32_e32 v7, v7, v31
	v_cmp_ge_i32_e64 s2, v6, v7
	s_and_b32 s9, s2, exec_lo
.LBB23_233:
	s_or_b32 exec_lo, exec_lo, s3
	s_orn2_b32 s3, s9, exec_lo
.LBB23_234:
	s_or_b32 exec_lo, exec_lo, s7
	v_cndmask_b32_e64 v6, v5, v30, s3
	v_cndmask_b32_e64 v7, v22, v21, s3
	s_mov_b32 s7, exec_lo
	v_add_nc_u32_e32 v31, 1, v6
	v_add_nc_u32_e32 v6, -1, v7
	v_cndmask_b32_e64 v32, v31, v5, s3
	v_min_u32_e32 v6, v31, v6
	v_lshl_add_u32 v6, v6, 3, v17
	ds_read_b64 v[7:8], v6
	s_waitcnt lgkmcnt(0)
	v_cndmask_b32_e64 v6, v27, v8, s3
	v_cndmask_b32_e64 v5, v29, v7, s3
	v_cmpx_lt_u32_e64 v32, v22
	s_cbranch_execz .LBB23_238
; %bb.235:
	v_cndmask_b32_e64 v22, v30, v31, s3
	v_cndmask_b32_e64 v8, v8, v25, s3
	;; [unrolled: 1-line block ×3, first 2 shown]
	s_mov_b32 s9, exec_lo
	v_cmpx_lt_u32_e64 v22, v21
	s_cbranch_execz .LBB23_237
; %bb.236:
	v_mul_hi_i32 v21, 0x66666667, v7
	v_mul_hi_i32 v22, 0x66666667, v5
	v_lshrrev_b32_e32 v30, 31, v21
	v_ashrrev_i32_e32 v21, 2, v21
	v_lshrrev_b32_e32 v31, 31, v22
	v_ashrrev_i32_e32 v22, 2, v22
	v_add_nc_u32_e32 v21, v21, v30
	v_add_nc_u32_e32 v22, v22, v31
	v_cmp_lt_i32_e64 s2, v21, v22
	v_cndmask_b32_e64 v8, v6, v8, s2
	v_cndmask_b32_e64 v7, v5, v7, s2
.LBB23_237:
	s_or_b32 exec_lo, exec_lo, s9
	v_mov_b32_e32 v5, v7
	v_mov_b32_e32 v6, v8
.LBB23_238:
	s_or_b32 exec_lo, exec_lo, s7
	v_cndmask_b32_e64 v8, v4, v2, s5
	v_cndmask_b32_e64 v7, v3, v1, s5
	;; [unrolled: 1-line block ×6, first 2 shown]
.LBB23_239:
	s_or_b32 exec_lo, exec_lo, s4
	v_and_b32_e32 v1, 0x70, v18
	v_and_b32_e32 v23, 12, v18
	s_mov_b32 s3, exec_lo
	; wave barrier
	v_or_b32_e32 v2, 8, v1
	ds_write_b128 v20, v[7:10]
	ds_write_b128 v20, v[3:6] offset:16
	; wave barrier
	v_min_u32_e32 v21, v19, v2
	v_add_nc_u32_e32 v2, 8, v21
	v_sub_nc_u32_e32 v24, v21, v1
	v_min_u32_e32 v22, v19, v2
	v_min_u32_e32 v2, v19, v23
	v_sub_nc_u32_e32 v23, v22, v21
	v_min_u32_e32 v25, v2, v24
	v_lshl_add_u32 v24, v1, 3, v17
	v_sub_nc_u32_e64 v23, v2, v23 clamp
	v_cmpx_lt_u32_e64 v23, v25
	s_cbranch_execz .LBB23_243
; %bb.240:
	v_lshlrev_b32_e32 v26, 3, v21
	v_lshlrev_b32_e32 v27, 3, v2
	s_mov_b32 s4, 0
	v_add3_u32 v26, v17, v26, v27
	s_inst_prefetch 0x1
	.p2align	6
.LBB23_241:                             ; =>This Inner Loop Header: Depth=1
	v_add_nc_u32_e32 v27, v25, v23
	v_lshrrev_b32_e32 v27, 1, v27
	v_not_b32_e32 v29, v27
	v_lshl_add_u32 v30, v27, 3, v24
	v_lshl_add_u32 v29, v29, 3, v26
	ds_read_b32 v30, v30
	ds_read_b32 v29, v29
	s_waitcnt lgkmcnt(1)
	v_mul_hi_i32 v30, 0x66666667, v30
	s_waitcnt lgkmcnt(0)
	v_mul_hi_i32 v29, 0x66666667, v29
	v_lshrrev_b32_e32 v31, 31, v30
	v_ashrrev_i32_e32 v30, 2, v30
	v_lshrrev_b32_e32 v32, 31, v29
	v_ashrrev_i32_e32 v29, 2, v29
	v_add_nc_u32_e32 v30, v30, v31
	v_add_nc_u32_e32 v31, 1, v27
	v_add_nc_u32_e32 v29, v29, v32
	v_cmp_lt_i32_e64 s2, v29, v30
	v_cndmask_b32_e64 v25, v25, v27, s2
	v_cndmask_b32_e64 v23, v31, v23, s2
	v_cmp_ge_u32_e64 s2, v23, v25
	s_or_b32 s4, s2, s4
	s_andn2_b32 exec_lo, exec_lo, s4
	s_cbranch_execnz .LBB23_241
; %bb.242:
	s_inst_prefetch 0x2
	s_or_b32 exec_lo, exec_lo, s4
.LBB23_243:
	s_or_b32 exec_lo, exec_lo, s3
	v_add_nc_u32_e32 v2, v21, v2
	v_add_nc_u32_e32 v25, v23, v1
	v_sub_nc_u32_e32 v26, v2, v23
	v_cmp_le_u32_e64 s2, v25, v21
	v_cmp_le_u32_e64 s3, v26, v22
	s_or_b32 s2, s2, s3
	s_and_saveexec_b32 s4, s2
	s_cbranch_execz .LBB23_263
; %bb.244:
	v_cmp_ge_u32_e64 s2, v25, v21
	s_mov_b32 s5, exec_lo
                                        ; implicit-def: $vgpr1_vgpr2
	v_cmpx_lt_u32_e64 v25, v21
; %bb.245:
	v_lshl_add_u32 v1, v23, 3, v24
	ds_read_b64 v[1:2], v1
; %bb.246:
	s_or_b32 exec_lo, exec_lo, s5
	v_cmp_ge_u32_e64 s5, v26, v22
	s_mov_b32 s6, exec_lo
                                        ; implicit-def: $vgpr3_vgpr4
	v_cmpx_lt_u32_e64 v26, v22
; %bb.247:
	v_lshl_add_u32 v3, v26, 3, v17
	ds_read_b64 v[3:4], v3
; %bb.248:
	s_or_b32 exec_lo, exec_lo, s6
	s_nor_b32 s2, s2, s5
	s_and_saveexec_b32 s3, s2
	s_cbranch_execz .LBB23_250
; %bb.249:
	s_waitcnt lgkmcnt(0)
	v_mul_hi_i32 v5, 0x66666667, v3
	v_mul_hi_i32 v6, 0x66666667, v1
	s_andn2_b32 s5, s5, exec_lo
	v_lshrrev_b32_e32 v7, 31, v5
	v_ashrrev_i32_e32 v5, 2, v5
	v_lshrrev_b32_e32 v8, 31, v6
	v_ashrrev_i32_e32 v6, 2, v6
	v_add_nc_u32_e32 v5, v5, v7
	v_add_nc_u32_e32 v6, v6, v8
	v_cmp_ge_i32_e64 s2, v5, v6
	s_and_b32 s2, s2, exec_lo
	s_or_b32 s5, s5, s2
.LBB23_250:
	s_or_b32 exec_lo, exec_lo, s3
	v_cndmask_b32_e64 v5, v26, v25, s5
	v_cndmask_b32_e64 v6, v22, v21, s5
	s_mov_b32 s3, -1
	s_mov_b32 s6, -1
	s_mov_b32 s7, exec_lo
	v_add_nc_u32_e32 v9, 1, v5
	v_add_nc_u32_e32 v5, -1, v6
	v_cndmask_b32_e64 v6, v25, v9, s5
	v_min_u32_e32 v5, v9, v5
	v_lshl_add_u32 v5, v5, 3, v17
	ds_read_b64 v[7:8], v5
	v_cndmask_b32_e64 v5, v9, v26, s5
	s_waitcnt lgkmcnt(0)
	v_cndmask_b32_e64 v9, v8, v4, s5
	v_cndmask_b32_e64 v23, v7, v3, s5
	v_cndmask_b32_e64 v10, v2, v8, s5
	v_cndmask_b32_e64 v24, v1, v7, s5
	v_cmpx_lt_u32_e64 v5, v22
	s_cbranch_execz .LBB23_254
; %bb.251:
	s_mov_b32 s9, 0
	s_mov_b32 s6, exec_lo
	v_cmpx_lt_u32_e64 v6, v21
	s_cbranch_execz .LBB23_253
; %bb.252:
	v_mul_hi_i32 v7, 0x66666667, v23
	v_mul_hi_i32 v8, 0x66666667, v24
	v_lshrrev_b32_e32 v25, 31, v7
	v_ashrrev_i32_e32 v7, 2, v7
	v_lshrrev_b32_e32 v26, 31, v8
	v_ashrrev_i32_e32 v8, 2, v8
	v_add_nc_u32_e32 v7, v7, v25
	v_add_nc_u32_e32 v8, v8, v26
	v_cmp_ge_i32_e64 s2, v7, v8
	s_and_b32 s9, s2, exec_lo
.LBB23_253:
	s_or_b32 exec_lo, exec_lo, s6
	s_orn2_b32 s6, s9, exec_lo
.LBB23_254:
	s_or_b32 exec_lo, exec_lo, s7
	v_cndmask_b32_e64 v7, v5, v6, s6
	v_cndmask_b32_e64 v8, v22, v21, s6
	s_mov_b32 s7, exec_lo
	v_add_nc_u32_e32 v25, 1, v7
	v_add_nc_u32_e32 v7, -1, v8
	v_cndmask_b32_e64 v5, v25, v5, s6
	v_min_u32_e32 v7, v25, v7
	v_cndmask_b32_e64 v30, v6, v25, s6
	v_lshl_add_u32 v7, v7, 3, v17
	ds_read_b64 v[7:8], v7
	s_waitcnt lgkmcnt(0)
	v_cndmask_b32_e64 v25, v8, v9, s6
	v_cndmask_b32_e64 v26, v7, v23, s6
	v_cndmask_b32_e64 v27, v10, v8, s6
	v_cndmask_b32_e64 v29, v24, v7, s6
	v_cmpx_lt_u32_e64 v5, v22
	s_cbranch_execz .LBB23_258
; %bb.255:
	s_mov_b32 s9, 0
	s_mov_b32 s3, exec_lo
	v_cmpx_lt_u32_e64 v30, v21
	s_cbranch_execz .LBB23_257
; %bb.256:
	v_mul_hi_i32 v6, 0x66666667, v26
	v_mul_hi_i32 v7, 0x66666667, v29
	v_lshrrev_b32_e32 v8, 31, v6
	v_ashrrev_i32_e32 v6, 2, v6
	v_lshrrev_b32_e32 v31, 31, v7
	v_ashrrev_i32_e32 v7, 2, v7
	v_add_nc_u32_e32 v6, v6, v8
	v_add_nc_u32_e32 v7, v7, v31
	v_cmp_ge_i32_e64 s2, v6, v7
	s_and_b32 s9, s2, exec_lo
.LBB23_257:
	s_or_b32 exec_lo, exec_lo, s3
	s_orn2_b32 s3, s9, exec_lo
.LBB23_258:
	s_or_b32 exec_lo, exec_lo, s7
	v_cndmask_b32_e64 v6, v5, v30, s3
	v_cndmask_b32_e64 v7, v22, v21, s3
	s_mov_b32 s7, exec_lo
	v_add_nc_u32_e32 v31, 1, v6
	v_add_nc_u32_e32 v6, -1, v7
	v_cndmask_b32_e64 v32, v31, v5, s3
	v_min_u32_e32 v6, v31, v6
	v_lshl_add_u32 v6, v6, 3, v17
	ds_read_b64 v[7:8], v6
	s_waitcnt lgkmcnt(0)
	v_cndmask_b32_e64 v6, v27, v8, s3
	v_cndmask_b32_e64 v5, v29, v7, s3
	v_cmpx_lt_u32_e64 v32, v22
	s_cbranch_execz .LBB23_262
; %bb.259:
	v_cndmask_b32_e64 v22, v30, v31, s3
	v_cndmask_b32_e64 v8, v8, v25, s3
	;; [unrolled: 1-line block ×3, first 2 shown]
	s_mov_b32 s9, exec_lo
	v_cmpx_lt_u32_e64 v22, v21
	s_cbranch_execz .LBB23_261
; %bb.260:
	v_mul_hi_i32 v21, 0x66666667, v7
	v_mul_hi_i32 v22, 0x66666667, v5
	v_lshrrev_b32_e32 v30, 31, v21
	v_ashrrev_i32_e32 v21, 2, v21
	v_lshrrev_b32_e32 v31, 31, v22
	v_ashrrev_i32_e32 v22, 2, v22
	v_add_nc_u32_e32 v21, v21, v30
	v_add_nc_u32_e32 v22, v22, v31
	v_cmp_lt_i32_e64 s2, v21, v22
	v_cndmask_b32_e64 v8, v6, v8, s2
	v_cndmask_b32_e64 v7, v5, v7, s2
.LBB23_261:
	s_or_b32 exec_lo, exec_lo, s9
	v_mov_b32_e32 v5, v7
	v_mov_b32_e32 v6, v8
.LBB23_262:
	s_or_b32 exec_lo, exec_lo, s7
	v_cndmask_b32_e64 v8, v4, v2, s5
	v_cndmask_b32_e64 v7, v3, v1, s5
	;; [unrolled: 1-line block ×6, first 2 shown]
.LBB23_263:
	s_or_b32 exec_lo, exec_lo, s4
	v_and_b32_e32 v1, 0x60, v18
	v_and_b32_e32 v23, 28, v18
	s_mov_b32 s3, exec_lo
	; wave barrier
	v_or_b32_e32 v2, 16, v1
	ds_write_b128 v20, v[7:10]
	ds_write_b128 v20, v[3:6] offset:16
	; wave barrier
	v_min_u32_e32 v21, v19, v2
	v_add_nc_u32_e32 v2, 16, v21
	v_sub_nc_u32_e32 v24, v21, v1
	v_min_u32_e32 v22, v19, v2
	v_min_u32_e32 v2, v19, v23
	v_sub_nc_u32_e32 v23, v22, v21
	v_min_u32_e32 v25, v2, v24
	v_lshl_add_u32 v24, v1, 3, v17
	v_sub_nc_u32_e64 v23, v2, v23 clamp
	v_cmpx_lt_u32_e64 v23, v25
	s_cbranch_execz .LBB23_267
; %bb.264:
	v_lshlrev_b32_e32 v26, 3, v21
	v_lshlrev_b32_e32 v27, 3, v2
	s_mov_b32 s4, 0
	v_add3_u32 v26, v17, v26, v27
	s_inst_prefetch 0x1
	.p2align	6
.LBB23_265:                             ; =>This Inner Loop Header: Depth=1
	v_add_nc_u32_e32 v27, v25, v23
	v_lshrrev_b32_e32 v27, 1, v27
	v_not_b32_e32 v29, v27
	v_lshl_add_u32 v30, v27, 3, v24
	v_lshl_add_u32 v29, v29, 3, v26
	ds_read_b32 v30, v30
	ds_read_b32 v29, v29
	s_waitcnt lgkmcnt(1)
	v_mul_hi_i32 v30, 0x66666667, v30
	s_waitcnt lgkmcnt(0)
	v_mul_hi_i32 v29, 0x66666667, v29
	v_lshrrev_b32_e32 v31, 31, v30
	v_ashrrev_i32_e32 v30, 2, v30
	v_lshrrev_b32_e32 v32, 31, v29
	v_ashrrev_i32_e32 v29, 2, v29
	v_add_nc_u32_e32 v30, v30, v31
	v_add_nc_u32_e32 v31, 1, v27
	;; [unrolled: 1-line block ×3, first 2 shown]
	v_cmp_lt_i32_e64 s2, v29, v30
	v_cndmask_b32_e64 v25, v25, v27, s2
	v_cndmask_b32_e64 v23, v31, v23, s2
	v_cmp_ge_u32_e64 s2, v23, v25
	s_or_b32 s4, s2, s4
	s_andn2_b32 exec_lo, exec_lo, s4
	s_cbranch_execnz .LBB23_265
; %bb.266:
	s_inst_prefetch 0x2
	s_or_b32 exec_lo, exec_lo, s4
.LBB23_267:
	s_or_b32 exec_lo, exec_lo, s3
	v_add_nc_u32_e32 v2, v21, v2
	v_add_nc_u32_e32 v25, v23, v1
	v_sub_nc_u32_e32 v26, v2, v23
	v_cmp_le_u32_e64 s2, v25, v21
	v_cmp_le_u32_e64 s3, v26, v22
	s_or_b32 s2, s2, s3
	s_and_saveexec_b32 s4, s2
	s_cbranch_execz .LBB23_287
; %bb.268:
	v_cmp_ge_u32_e64 s2, v25, v21
	s_mov_b32 s5, exec_lo
                                        ; implicit-def: $vgpr1_vgpr2
	v_cmpx_lt_u32_e64 v25, v21
; %bb.269:
	v_lshl_add_u32 v1, v23, 3, v24
	ds_read_b64 v[1:2], v1
; %bb.270:
	s_or_b32 exec_lo, exec_lo, s5
	v_cmp_ge_u32_e64 s5, v26, v22
	s_mov_b32 s6, exec_lo
                                        ; implicit-def: $vgpr3_vgpr4
	v_cmpx_lt_u32_e64 v26, v22
; %bb.271:
	v_lshl_add_u32 v3, v26, 3, v17
	ds_read_b64 v[3:4], v3
; %bb.272:
	s_or_b32 exec_lo, exec_lo, s6
	s_nor_b32 s2, s2, s5
	s_and_saveexec_b32 s3, s2
	s_cbranch_execz .LBB23_274
; %bb.273:
	s_waitcnt lgkmcnt(0)
	v_mul_hi_i32 v5, 0x66666667, v3
	v_mul_hi_i32 v6, 0x66666667, v1
	s_andn2_b32 s5, s5, exec_lo
	v_lshrrev_b32_e32 v7, 31, v5
	v_ashrrev_i32_e32 v5, 2, v5
	v_lshrrev_b32_e32 v8, 31, v6
	v_ashrrev_i32_e32 v6, 2, v6
	v_add_nc_u32_e32 v5, v5, v7
	v_add_nc_u32_e32 v6, v6, v8
	v_cmp_ge_i32_e64 s2, v5, v6
	s_and_b32 s2, s2, exec_lo
	s_or_b32 s5, s5, s2
.LBB23_274:
	s_or_b32 exec_lo, exec_lo, s3
	v_cndmask_b32_e64 v5, v26, v25, s5
	v_cndmask_b32_e64 v6, v22, v21, s5
	s_mov_b32 s3, -1
	s_mov_b32 s6, -1
	s_mov_b32 s7, exec_lo
	v_add_nc_u32_e32 v9, 1, v5
	v_add_nc_u32_e32 v5, -1, v6
	v_cndmask_b32_e64 v6, v25, v9, s5
	v_min_u32_e32 v5, v9, v5
	v_lshl_add_u32 v5, v5, 3, v17
	ds_read_b64 v[7:8], v5
	v_cndmask_b32_e64 v5, v9, v26, s5
	s_waitcnt lgkmcnt(0)
	v_cndmask_b32_e64 v9, v8, v4, s5
	v_cndmask_b32_e64 v23, v7, v3, s5
	;; [unrolled: 1-line block ×4, first 2 shown]
	v_cmpx_lt_u32_e64 v5, v22
	s_cbranch_execz .LBB23_278
; %bb.275:
	s_mov_b32 s9, 0
	s_mov_b32 s6, exec_lo
	v_cmpx_lt_u32_e64 v6, v21
	s_cbranch_execz .LBB23_277
; %bb.276:
	v_mul_hi_i32 v7, 0x66666667, v23
	v_mul_hi_i32 v8, 0x66666667, v24
	v_lshrrev_b32_e32 v25, 31, v7
	v_ashrrev_i32_e32 v7, 2, v7
	v_lshrrev_b32_e32 v26, 31, v8
	v_ashrrev_i32_e32 v8, 2, v8
	v_add_nc_u32_e32 v7, v7, v25
	v_add_nc_u32_e32 v8, v8, v26
	v_cmp_ge_i32_e64 s2, v7, v8
	s_and_b32 s9, s2, exec_lo
.LBB23_277:
	s_or_b32 exec_lo, exec_lo, s6
	s_orn2_b32 s6, s9, exec_lo
.LBB23_278:
	s_or_b32 exec_lo, exec_lo, s7
	v_cndmask_b32_e64 v7, v5, v6, s6
	v_cndmask_b32_e64 v8, v22, v21, s6
	s_mov_b32 s7, exec_lo
	v_add_nc_u32_e32 v25, 1, v7
	v_add_nc_u32_e32 v7, -1, v8
	v_cndmask_b32_e64 v5, v25, v5, s6
	v_min_u32_e32 v7, v25, v7
	v_cndmask_b32_e64 v30, v6, v25, s6
	v_lshl_add_u32 v7, v7, 3, v17
	ds_read_b64 v[7:8], v7
	s_waitcnt lgkmcnt(0)
	v_cndmask_b32_e64 v25, v8, v9, s6
	v_cndmask_b32_e64 v26, v7, v23, s6
	;; [unrolled: 1-line block ×4, first 2 shown]
	v_cmpx_lt_u32_e64 v5, v22
	s_cbranch_execz .LBB23_282
; %bb.279:
	s_mov_b32 s9, 0
	s_mov_b32 s3, exec_lo
	v_cmpx_lt_u32_e64 v30, v21
	s_cbranch_execz .LBB23_281
; %bb.280:
	v_mul_hi_i32 v6, 0x66666667, v26
	v_mul_hi_i32 v7, 0x66666667, v29
	v_lshrrev_b32_e32 v8, 31, v6
	v_ashrrev_i32_e32 v6, 2, v6
	v_lshrrev_b32_e32 v31, 31, v7
	v_ashrrev_i32_e32 v7, 2, v7
	v_add_nc_u32_e32 v6, v6, v8
	v_add_nc_u32_e32 v7, v7, v31
	v_cmp_ge_i32_e64 s2, v6, v7
	s_and_b32 s9, s2, exec_lo
.LBB23_281:
	s_or_b32 exec_lo, exec_lo, s3
	s_orn2_b32 s3, s9, exec_lo
.LBB23_282:
	s_or_b32 exec_lo, exec_lo, s7
	v_cndmask_b32_e64 v6, v5, v30, s3
	v_cndmask_b32_e64 v7, v22, v21, s3
	s_mov_b32 s7, exec_lo
	v_add_nc_u32_e32 v31, 1, v6
	v_add_nc_u32_e32 v6, -1, v7
	v_cndmask_b32_e64 v32, v31, v5, s3
	v_min_u32_e32 v6, v31, v6
	v_lshl_add_u32 v6, v6, 3, v17
	ds_read_b64 v[7:8], v6
	s_waitcnt lgkmcnt(0)
	v_cndmask_b32_e64 v6, v27, v8, s3
	v_cndmask_b32_e64 v5, v29, v7, s3
	v_cmpx_lt_u32_e64 v32, v22
	s_cbranch_execz .LBB23_286
; %bb.283:
	v_cndmask_b32_e64 v22, v30, v31, s3
	v_cndmask_b32_e64 v8, v8, v25, s3
	;; [unrolled: 1-line block ×3, first 2 shown]
	s_mov_b32 s9, exec_lo
	v_cmpx_lt_u32_e64 v22, v21
	s_cbranch_execz .LBB23_285
; %bb.284:
	v_mul_hi_i32 v21, 0x66666667, v7
	v_mul_hi_i32 v22, 0x66666667, v5
	v_lshrrev_b32_e32 v30, 31, v21
	v_ashrrev_i32_e32 v21, 2, v21
	v_lshrrev_b32_e32 v31, 31, v22
	v_ashrrev_i32_e32 v22, 2, v22
	v_add_nc_u32_e32 v21, v21, v30
	v_add_nc_u32_e32 v22, v22, v31
	v_cmp_lt_i32_e64 s2, v21, v22
	v_cndmask_b32_e64 v8, v6, v8, s2
	v_cndmask_b32_e64 v7, v5, v7, s2
.LBB23_285:
	s_or_b32 exec_lo, exec_lo, s9
	v_mov_b32_e32 v5, v7
	v_mov_b32_e32 v6, v8
.LBB23_286:
	s_or_b32 exec_lo, exec_lo, s7
	v_cndmask_b32_e64 v8, v4, v2, s5
	v_cndmask_b32_e64 v7, v3, v1, s5
	;; [unrolled: 1-line block ×6, first 2 shown]
.LBB23_287:
	s_or_b32 exec_lo, exec_lo, s4
	v_and_b32_e32 v1, 64, v18
	v_and_b32_e32 v22, 60, v18
	s_mov_b32 s3, exec_lo
	; wave barrier
	v_or_b32_e32 v2, 32, v1
	ds_write_b128 v20, v[7:10]
	ds_write_b128 v20, v[3:6] offset:16
	; wave barrier
	v_min_u32_e32 v21, v19, v2
	v_add_nc_u32_e32 v2, 32, v21
	v_min_u32_e32 v18, v19, v2
	v_min_u32_e32 v2, v19, v22
	v_sub_nc_u32_e32 v22, v21, v1
	v_sub_nc_u32_e32 v19, v18, v21
	v_min_u32_e32 v23, v2, v22
	v_lshl_add_u32 v22, v1, 3, v17
	v_sub_nc_u32_e64 v19, v2, v19 clamp
	v_cmpx_lt_u32_e64 v19, v23
	s_cbranch_execz .LBB23_291
; %bb.288:
	v_lshlrev_b32_e32 v20, 3, v21
	v_lshlrev_b32_e32 v24, 3, v2
	s_mov_b32 s4, 0
	v_add3_u32 v20, v17, v20, v24
	s_inst_prefetch 0x1
	.p2align	6
.LBB23_289:                             ; =>This Inner Loop Header: Depth=1
	v_add_nc_u32_e32 v24, v23, v19
	v_lshrrev_b32_e32 v24, 1, v24
	v_not_b32_e32 v25, v24
	v_lshl_add_u32 v26, v24, 3, v22
	v_lshl_add_u32 v25, v25, 3, v20
	ds_read_b32 v26, v26
	ds_read_b32 v25, v25
	s_waitcnt lgkmcnt(1)
	v_mul_hi_i32 v26, 0x66666667, v26
	s_waitcnt lgkmcnt(0)
	v_mul_hi_i32 v25, 0x66666667, v25
	v_lshrrev_b32_e32 v27, 31, v26
	v_ashrrev_i32_e32 v26, 2, v26
	v_lshrrev_b32_e32 v29, 31, v25
	v_ashrrev_i32_e32 v25, 2, v25
	v_add_nc_u32_e32 v26, v26, v27
	v_add_nc_u32_e32 v27, 1, v24
	;; [unrolled: 1-line block ×3, first 2 shown]
	v_cmp_lt_i32_e64 s2, v25, v26
	v_cndmask_b32_e64 v23, v23, v24, s2
	v_cndmask_b32_e64 v19, v27, v19, s2
	v_cmp_ge_u32_e64 s2, v19, v23
	s_or_b32 s4, s2, s4
	s_andn2_b32 exec_lo, exec_lo, s4
	s_cbranch_execnz .LBB23_289
; %bb.290:
	s_inst_prefetch 0x2
	s_or_b32 exec_lo, exec_lo, s4
.LBB23_291:
	s_or_b32 exec_lo, exec_lo, s3
	v_add_nc_u32_e32 v2, v21, v2
	v_add_nc_u32_e32 v20, v19, v1
	v_sub_nc_u32_e32 v23, v2, v19
	v_cmp_le_u32_e64 s2, v20, v21
	v_cmp_le_u32_e64 s3, v23, v18
	s_or_b32 s2, s2, s3
	s_and_saveexec_b32 s4, s2
	s_cbranch_execz .LBB23_311
; %bb.292:
	v_cmp_ge_u32_e64 s2, v20, v21
	s_mov_b32 s5, exec_lo
                                        ; implicit-def: $vgpr1_vgpr2
	v_cmpx_lt_u32_e64 v20, v21
; %bb.293:
	v_lshl_add_u32 v1, v19, 3, v22
	ds_read_b64 v[1:2], v1
; %bb.294:
	s_or_b32 exec_lo, exec_lo, s5
	v_cmp_ge_u32_e64 s5, v23, v18
	s_mov_b32 s6, exec_lo
                                        ; implicit-def: $vgpr3_vgpr4
	v_cmpx_lt_u32_e64 v23, v18
; %bb.295:
	v_lshl_add_u32 v3, v23, 3, v17
	ds_read_b64 v[3:4], v3
; %bb.296:
	s_or_b32 exec_lo, exec_lo, s6
	s_nor_b32 s2, s2, s5
	s_and_saveexec_b32 s3, s2
	s_cbranch_execz .LBB23_298
; %bb.297:
	s_waitcnt lgkmcnt(0)
	v_mul_hi_i32 v5, 0x66666667, v3
	v_mul_hi_i32 v6, 0x66666667, v1
	s_andn2_b32 s5, s5, exec_lo
	v_lshrrev_b32_e32 v7, 31, v5
	v_ashrrev_i32_e32 v5, 2, v5
	v_lshrrev_b32_e32 v8, 31, v6
	v_ashrrev_i32_e32 v6, 2, v6
	v_add_nc_u32_e32 v5, v5, v7
	v_add_nc_u32_e32 v6, v6, v8
	v_cmp_ge_i32_e64 s2, v5, v6
	s_and_b32 s2, s2, exec_lo
	s_or_b32 s5, s5, s2
.LBB23_298:
	s_or_b32 exec_lo, exec_lo, s3
	v_cndmask_b32_e64 v5, v23, v20, s5
	v_cndmask_b32_e64 v6, v18, v21, s5
	s_mov_b32 s3, -1
	s_mov_b32 s6, -1
	s_mov_b32 s7, exec_lo
	v_add_nc_u32_e32 v9, 1, v5
	v_add_nc_u32_e32 v5, -1, v6
	v_cndmask_b32_e64 v6, v20, v9, s5
	v_min_u32_e32 v5, v9, v5
	v_lshl_add_u32 v5, v5, 3, v17
	ds_read_b64 v[7:8], v5
	v_cndmask_b32_e64 v5, v9, v23, s5
	s_waitcnt lgkmcnt(0)
	v_cndmask_b32_e64 v9, v8, v4, s5
	v_cndmask_b32_e64 v19, v7, v3, s5
	v_cndmask_b32_e64 v10, v2, v8, s5
	v_cndmask_b32_e64 v20, v1, v7, s5
	v_cmpx_lt_u32_e64 v5, v18
	s_cbranch_execz .LBB23_302
; %bb.299:
	s_mov_b32 s9, 0
	s_mov_b32 s6, exec_lo
	v_cmpx_lt_u32_e64 v6, v21
	s_cbranch_execz .LBB23_301
; %bb.300:
	v_mul_hi_i32 v7, 0x66666667, v19
	v_mul_hi_i32 v8, 0x66666667, v20
	v_lshrrev_b32_e32 v22, 31, v7
	v_ashrrev_i32_e32 v7, 2, v7
	v_lshrrev_b32_e32 v23, 31, v8
	v_ashrrev_i32_e32 v8, 2, v8
	v_add_nc_u32_e32 v7, v7, v22
	v_add_nc_u32_e32 v8, v8, v23
	v_cmp_ge_i32_e64 s2, v7, v8
	s_and_b32 s9, s2, exec_lo
.LBB23_301:
	s_or_b32 exec_lo, exec_lo, s6
	s_orn2_b32 s6, s9, exec_lo
.LBB23_302:
	s_or_b32 exec_lo, exec_lo, s7
	v_cndmask_b32_e64 v7, v5, v6, s6
	v_cndmask_b32_e64 v8, v18, v21, s6
	s_mov_b32 s7, exec_lo
	v_add_nc_u32_e32 v22, 1, v7
	v_add_nc_u32_e32 v7, -1, v8
	v_cndmask_b32_e64 v5, v22, v5, s6
	v_min_u32_e32 v7, v22, v7
	v_cndmask_b32_e64 v26, v6, v22, s6
	v_lshl_add_u32 v7, v7, 3, v17
	ds_read_b64 v[7:8], v7
	s_waitcnt lgkmcnt(0)
	v_cndmask_b32_e64 v22, v8, v9, s6
	v_cndmask_b32_e64 v23, v7, v19, s6
	;; [unrolled: 1-line block ×4, first 2 shown]
	v_cmpx_lt_u32_e64 v5, v18
	s_cbranch_execz .LBB23_306
; %bb.303:
	s_mov_b32 s9, 0
	s_mov_b32 s3, exec_lo
	v_cmpx_lt_u32_e64 v26, v21
	s_cbranch_execz .LBB23_305
; %bb.304:
	v_mul_hi_i32 v6, 0x66666667, v23
	v_mul_hi_i32 v7, 0x66666667, v25
	v_lshrrev_b32_e32 v8, 31, v6
	v_ashrrev_i32_e32 v6, 2, v6
	v_lshrrev_b32_e32 v27, 31, v7
	v_ashrrev_i32_e32 v7, 2, v7
	v_add_nc_u32_e32 v6, v6, v8
	v_add_nc_u32_e32 v7, v7, v27
	v_cmp_ge_i32_e64 s2, v6, v7
	s_and_b32 s9, s2, exec_lo
.LBB23_305:
	s_or_b32 exec_lo, exec_lo, s3
	s_orn2_b32 s3, s9, exec_lo
.LBB23_306:
	s_or_b32 exec_lo, exec_lo, s7
	v_cndmask_b32_e64 v6, v5, v26, s3
	v_cndmask_b32_e64 v7, v18, v21, s3
	s_mov_b32 s7, exec_lo
	v_add_nc_u32_e32 v27, 1, v6
	v_add_nc_u32_e32 v6, -1, v7
	v_min_u32_e32 v6, v27, v6
	v_lshl_add_u32 v6, v6, 3, v17
	v_cndmask_b32_e64 v17, v27, v5, s3
	ds_read_b64 v[7:8], v6
	s_waitcnt lgkmcnt(0)
	v_cndmask_b32_e64 v6, v24, v8, s3
	v_cndmask_b32_e64 v5, v25, v7, s3
	v_cmpx_lt_u32_e64 v17, v18
	s_cbranch_execz .LBB23_310
; %bb.307:
	v_cndmask_b32_e64 v17, v26, v27, s3
	v_cndmask_b32_e64 v8, v8, v22, s3
	;; [unrolled: 1-line block ×3, first 2 shown]
	s_mov_b32 s9, exec_lo
	v_cmpx_lt_u32_e64 v17, v21
	s_cbranch_execz .LBB23_309
; %bb.308:
	v_mul_hi_i32 v17, 0x66666667, v7
	v_mul_hi_i32 v18, 0x66666667, v5
	v_lshrrev_b32_e32 v21, 31, v17
	v_ashrrev_i32_e32 v17, 2, v17
	v_lshrrev_b32_e32 v26, 31, v18
	v_ashrrev_i32_e32 v18, 2, v18
	v_add_nc_u32_e32 v17, v17, v21
	v_add_nc_u32_e32 v18, v18, v26
	v_cmp_lt_i32_e64 s2, v17, v18
	v_cndmask_b32_e64 v8, v6, v8, s2
	v_cndmask_b32_e64 v7, v5, v7, s2
.LBB23_309:
	s_or_b32 exec_lo, exec_lo, s9
	v_mov_b32_e32 v5, v7
	v_mov_b32_e32 v6, v8
.LBB23_310:
	s_or_b32 exec_lo, exec_lo, s7
	v_cndmask_b32_e64 v8, v4, v2, s5
	v_cndmask_b32_e64 v7, v3, v1, s5
	;; [unrolled: 1-line block ×6, first 2 shown]
.LBB23_311:
	s_or_b32 exec_lo, exec_lo, s4
	s_cmpk_lt_u32 s8, 0x41
	; wave barrier
	s_waitcnt lgkmcnt(0)
	s_barrier
	buffer_gl0_inv
	s_cbranch_scc1 .LBB23_338
; %bb.312:
	v_lshlrev_b32_e32 v17, 3, v11
	s_mov_b32 s4, 64
	s_branch .LBB23_316
.LBB23_313:                             ;   in Loop: Header=BB23_316 Depth=1
	s_or_b32 exec_lo, exec_lo, s10
	v_mov_b32_e32 v5, v7
	v_mov_b32_e32 v6, v8
.LBB23_314:                             ;   in Loop: Header=BB23_316 Depth=1
	s_or_b32 exec_lo, exec_lo, s9
	v_cndmask_b32_e64 v8, v4, v2, s6
	v_cndmask_b32_e64 v7, v3, v1, s6
	;; [unrolled: 1-line block ×6, first 2 shown]
.LBB23_315:                             ;   in Loop: Header=BB23_316 Depth=1
	s_or_b32 exec_lo, exec_lo, s5
	s_cmp_lt_u32 s4, s8
	s_barrier
	buffer_gl0_inv
	s_cbranch_scc0 .LBB23_338
.LBB23_316:                             ; =>This Loop Header: Depth=1
                                        ;     Child Loop BB23_318 Depth 2
	s_mov_b32 s2, s4
	s_lshl_b32 s4, s4, 1
	ds_write_b128 v17, v[7:10]
	s_sub_i32 s3, 0, s4
	ds_write_b128 v17, v[3:6] offset:16
	v_and_b32_e32 v1, s3, v11
	s_mov_b32 s3, exec_lo
	s_waitcnt lgkmcnt(0)
	s_barrier
	buffer_gl0_inv
	v_add_nc_u32_e32 v2, s2, v1
	v_min_u32_e32 v18, s8, v2
	v_add_nc_u32_e32 v2, s2, v18
	s_add_i32 s2, s4, -1
	v_sub_nc_u32_e32 v21, v18, v1
	v_and_b32_e32 v20, s2, v11
	v_min_u32_e32 v19, s8, v2
	v_min_u32_e32 v2, s8, v20
	v_sub_nc_u32_e32 v20, v19, v18
	v_min_u32_e32 v22, v2, v21
	v_lshlrev_b32_e32 v21, 3, v1
	v_sub_nc_u32_e64 v20, v2, v20 clamp
	v_cmpx_lt_u32_e64 v20, v22
	s_cbranch_execz .LBB23_320
; %bb.317:                              ;   in Loop: Header=BB23_316 Depth=1
	v_lshlrev_b32_e32 v23, 3, v2
	s_mov_b32 s5, 0
	v_lshl_add_u32 v23, v18, 3, v23
	s_inst_prefetch 0x1
	.p2align	6
.LBB23_318:                             ;   Parent Loop BB23_316 Depth=1
                                        ; =>  This Inner Loop Header: Depth=2
	v_add_nc_u32_e32 v24, v22, v20
	v_lshrrev_b32_e32 v24, 1, v24
	v_not_b32_e32 v25, v24
	v_lshl_add_u32 v26, v24, 3, v21
	v_lshl_add_u32 v25, v25, 3, v23
	ds_read_b32 v26, v26
	ds_read_b32 v25, v25
	s_waitcnt lgkmcnt(1)
	v_mul_hi_i32 v26, 0x66666667, v26
	s_waitcnt lgkmcnt(0)
	v_mul_hi_i32 v25, 0x66666667, v25
	v_lshrrev_b32_e32 v27, 31, v26
	v_ashrrev_i32_e32 v26, 2, v26
	v_lshrrev_b32_e32 v29, 31, v25
	v_ashrrev_i32_e32 v25, 2, v25
	v_add_nc_u32_e32 v26, v26, v27
	v_add_nc_u32_e32 v27, 1, v24
	;; [unrolled: 1-line block ×3, first 2 shown]
	v_cmp_lt_i32_e64 s2, v25, v26
	v_cndmask_b32_e64 v22, v22, v24, s2
	v_cndmask_b32_e64 v20, v27, v20, s2
	v_cmp_ge_u32_e64 s2, v20, v22
	s_or_b32 s5, s2, s5
	s_andn2_b32 exec_lo, exec_lo, s5
	s_cbranch_execnz .LBB23_318
; %bb.319:                              ;   in Loop: Header=BB23_316 Depth=1
	s_inst_prefetch 0x2
	s_or_b32 exec_lo, exec_lo, s5
.LBB23_320:                             ;   in Loop: Header=BB23_316 Depth=1
	s_or_b32 exec_lo, exec_lo, s3
	v_sub_nc_u32_e32 v2, v2, v20
	v_add_nc_u32_e32 v22, v20, v1
	v_add_nc_u32_e32 v23, v2, v18
	v_cmp_le_u32_e64 s2, v22, v18
	v_cmp_le_u32_e64 s3, v23, v19
	s_or_b32 s2, s2, s3
	s_and_saveexec_b32 s5, s2
	s_cbranch_execz .LBB23_315
; %bb.321:                              ;   in Loop: Header=BB23_316 Depth=1
	v_cmp_ge_u32_e64 s2, v22, v18
	s_mov_b32 s6, exec_lo
                                        ; implicit-def: $vgpr1_vgpr2
	v_cmpx_lt_u32_e64 v22, v18
; %bb.322:                              ;   in Loop: Header=BB23_316 Depth=1
	v_lshl_add_u32 v1, v20, 3, v21
	ds_read_b64 v[1:2], v1
; %bb.323:                              ;   in Loop: Header=BB23_316 Depth=1
	s_or_b32 exec_lo, exec_lo, s6
	v_cmp_ge_u32_e64 s6, v23, v19
	s_mov_b32 s7, exec_lo
                                        ; implicit-def: $vgpr3_vgpr4
	v_cmpx_lt_u32_e64 v23, v19
; %bb.324:                              ;   in Loop: Header=BB23_316 Depth=1
	v_lshlrev_b32_e32 v3, 3, v23
	ds_read_b64 v[3:4], v3
; %bb.325:                              ;   in Loop: Header=BB23_316 Depth=1
	s_or_b32 exec_lo, exec_lo, s7
	s_nor_b32 s2, s2, s6
	s_and_saveexec_b32 s3, s2
	s_cbranch_execz .LBB23_327
; %bb.326:                              ;   in Loop: Header=BB23_316 Depth=1
	s_waitcnt lgkmcnt(0)
	v_mul_hi_i32 v5, 0x66666667, v3
	v_mul_hi_i32 v6, 0x66666667, v1
	s_andn2_b32 s6, s6, exec_lo
	v_lshrrev_b32_e32 v7, 31, v5
	v_ashrrev_i32_e32 v5, 2, v5
	v_lshrrev_b32_e32 v8, 31, v6
	v_ashrrev_i32_e32 v6, 2, v6
	v_add_nc_u32_e32 v5, v5, v7
	v_add_nc_u32_e32 v6, v6, v8
	v_cmp_ge_i32_e64 s2, v5, v6
	s_and_b32 s2, s2, exec_lo
	s_or_b32 s6, s6, s2
.LBB23_327:                             ;   in Loop: Header=BB23_316 Depth=1
	s_or_b32 exec_lo, exec_lo, s3
	v_cndmask_b32_e64 v5, v23, v22, s6
	v_cndmask_b32_e64 v6, v19, v18, s6
	s_mov_b32 s3, -1
	s_mov_b32 s7, -1
	s_mov_b32 s9, exec_lo
	v_add_nc_u32_e32 v9, 1, v5
	v_add_nc_u32_e32 v5, -1, v6
	v_cndmask_b32_e64 v6, v22, v9, s6
	v_min_u32_e32 v5, v9, v5
	v_lshlrev_b32_e32 v5, 3, v5
	ds_read_b64 v[7:8], v5
	v_cndmask_b32_e64 v5, v9, v23, s6
	s_waitcnt lgkmcnt(0)
	v_cndmask_b32_e64 v9, v8, v4, s6
	v_cndmask_b32_e64 v20, v7, v3, s6
	;; [unrolled: 1-line block ×4, first 2 shown]
	v_cmpx_lt_u32_e64 v5, v19
	s_cbranch_execz .LBB23_331
; %bb.328:                              ;   in Loop: Header=BB23_316 Depth=1
	s_mov_b32 s10, 0
	s_mov_b32 s7, exec_lo
	v_cmpx_lt_u32_e64 v6, v18
	s_cbranch_execz .LBB23_330
; %bb.329:                              ;   in Loop: Header=BB23_316 Depth=1
	v_mul_hi_i32 v7, 0x66666667, v20
	v_mul_hi_i32 v8, 0x66666667, v21
	v_lshrrev_b32_e32 v22, 31, v7
	v_ashrrev_i32_e32 v7, 2, v7
	v_lshrrev_b32_e32 v23, 31, v8
	v_ashrrev_i32_e32 v8, 2, v8
	v_add_nc_u32_e32 v7, v7, v22
	v_add_nc_u32_e32 v8, v8, v23
	v_cmp_ge_i32_e64 s2, v7, v8
	s_and_b32 s10, s2, exec_lo
.LBB23_330:                             ;   in Loop: Header=BB23_316 Depth=1
	s_or_b32 exec_lo, exec_lo, s7
	s_orn2_b32 s7, s10, exec_lo
.LBB23_331:                             ;   in Loop: Header=BB23_316 Depth=1
	s_or_b32 exec_lo, exec_lo, s9
	v_cndmask_b32_e64 v7, v5, v6, s7
	v_cndmask_b32_e64 v8, v19, v18, s7
	s_mov_b32 s9, exec_lo
	v_add_nc_u32_e32 v22, 1, v7
	v_add_nc_u32_e32 v7, -1, v8
	v_cndmask_b32_e64 v5, v22, v5, s7
	v_min_u32_e32 v7, v22, v7
	v_cndmask_b32_e64 v26, v6, v22, s7
	v_lshlrev_b32_e32 v7, 3, v7
	ds_read_b64 v[7:8], v7
	s_waitcnt lgkmcnt(0)
	v_cndmask_b32_e64 v22, v8, v9, s7
	v_cndmask_b32_e64 v23, v7, v20, s7
	;; [unrolled: 1-line block ×4, first 2 shown]
	v_cmpx_lt_u32_e64 v5, v19
	s_cbranch_execz .LBB23_335
; %bb.332:                              ;   in Loop: Header=BB23_316 Depth=1
	s_mov_b32 s10, 0
	s_mov_b32 s3, exec_lo
	v_cmpx_lt_u32_e64 v26, v18
	s_cbranch_execz .LBB23_334
; %bb.333:                              ;   in Loop: Header=BB23_316 Depth=1
	v_mul_hi_i32 v6, 0x66666667, v23
	v_mul_hi_i32 v7, 0x66666667, v25
	v_lshrrev_b32_e32 v8, 31, v6
	v_ashrrev_i32_e32 v6, 2, v6
	v_lshrrev_b32_e32 v27, 31, v7
	v_ashrrev_i32_e32 v7, 2, v7
	v_add_nc_u32_e32 v6, v6, v8
	v_add_nc_u32_e32 v7, v7, v27
	v_cmp_ge_i32_e64 s2, v6, v7
	s_and_b32 s10, s2, exec_lo
.LBB23_334:                             ;   in Loop: Header=BB23_316 Depth=1
	s_or_b32 exec_lo, exec_lo, s3
	s_orn2_b32 s3, s10, exec_lo
.LBB23_335:                             ;   in Loop: Header=BB23_316 Depth=1
	s_or_b32 exec_lo, exec_lo, s9
	v_cndmask_b32_e64 v6, v5, v26, s3
	v_cndmask_b32_e64 v7, v19, v18, s3
	s_mov_b32 s9, exec_lo
	v_add_nc_u32_e32 v27, 1, v6
	v_add_nc_u32_e32 v6, -1, v7
	v_cndmask_b32_e64 v29, v27, v5, s3
	v_min_u32_e32 v6, v27, v6
	v_lshlrev_b32_e32 v6, 3, v6
	ds_read_b64 v[7:8], v6
	s_waitcnt lgkmcnt(0)
	v_cndmask_b32_e64 v6, v24, v8, s3
	v_cndmask_b32_e64 v5, v25, v7, s3
	v_cmpx_lt_u32_e64 v29, v19
	s_cbranch_execz .LBB23_314
; %bb.336:                              ;   in Loop: Header=BB23_316 Depth=1
	v_cndmask_b32_e64 v19, v26, v27, s3
	v_cndmask_b32_e64 v8, v8, v22, s3
	;; [unrolled: 1-line block ×3, first 2 shown]
	s_mov_b32 s10, exec_lo
	v_cmpx_lt_u32_e64 v19, v18
	s_cbranch_execz .LBB23_313
; %bb.337:                              ;   in Loop: Header=BB23_316 Depth=1
	v_mul_hi_i32 v18, 0x66666667, v7
	v_mul_hi_i32 v19, 0x66666667, v5
	v_lshrrev_b32_e32 v26, 31, v18
	v_ashrrev_i32_e32 v18, 2, v18
	v_lshrrev_b32_e32 v27, 31, v19
	v_ashrrev_i32_e32 v19, 2, v19
	v_add_nc_u32_e32 v18, v18, v26
	v_add_nc_u32_e32 v19, v19, v27
	v_cmp_lt_i32_e64 s2, v18, v19
	v_cndmask_b32_e64 v8, v6, v8, s2
	v_cndmask_b32_e64 v7, v5, v7, s2
	s_branch .LBB23_313
.LBB23_338:
	s_barrier
	buffer_gl0_inv
	ds_write2_b64 v16, v[7:8], v[9:10] offset1:1
	ds_write2_b64 v16, v[3:4], v[5:6] offset0:2 offset1:3
	s_waitcnt lgkmcnt(0)
	s_barrier
	buffer_gl0_inv
	ds_read_b64 v[8:9], v13 offset:2048
	ds_read_b64 v[2:3], v14 offset:4096
	;; [unrolled: 1-line block ×3, first 2 shown]
	v_add_co_u32 v6, s2, s11, v28
	v_mov_b32_e32 v1, 0
	v_add_co_ci_u32_e64 v7, null, s13, 0, s2
	s_and_saveexec_b32 s2, vcc_lo
	s_cbranch_execnz .LBB23_349
; %bb.339:
	s_or_b32 exec_lo, exec_lo, s2
	s_and_saveexec_b32 s2, s0
	s_cbranch_execnz .LBB23_350
.LBB23_340:
	s_or_b32 exec_lo, exec_lo, s2
	s_and_saveexec_b32 s0, s1
	s_cbranch_execz .LBB23_342
.LBB23_341:
	v_add_co_u32 v6, vcc_lo, 0x1000, v6
	v_add_co_ci_u32_e64 v7, null, 0, v7, vcc_lo
	s_waitcnt lgkmcnt(1)
	flat_store_dwordx2 v[6:7], v[2:3]
.LBB23_342:
	s_or_b32 exec_lo, exec_lo, s0
.LBB23_343:
	s_and_saveexec_b32 s0, s14
	s_cbranch_execz .LBB23_345
; %bb.344:
	v_lshlrev_b64 v[0:1], 3, v[0:1]
	v_add_co_u32 v0, vcc_lo, s11, v0
	v_add_co_ci_u32_e64 v1, null, s13, v1, vcc_lo
	v_add_co_u32 v0, vcc_lo, 0x1800, v0
	v_add_co_ci_u32_e64 v1, null, 0, v1, vcc_lo
	s_waitcnt lgkmcnt(0)
	flat_store_dwordx2 v[0:1], v[4:5]
.LBB23_345:
	s_endpgm
.LBB23_346:
	v_add_co_u32 v5, s1, s4, v28
	v_add_co_ci_u32_e64 v6, null, s5, 0, s1
	v_mov_b32_e32 v12, v4
	v_mov_b32_e32 v7, v4
	;; [unrolled: 1-line block ×3, first 2 shown]
	flat_load_dwordx2 v[5:6], v[5:6]
	v_mov_b32_e32 v9, v4
	v_mov_b32_e32 v10, v4
	;; [unrolled: 1-line block ×3, first 2 shown]
	s_waitcnt vmcnt(0) lgkmcnt(0)
	v_mov_b32_e32 v4, v5
	v_mov_b32_e32 v5, v6
	;; [unrolled: 1-line block ×8, first 2 shown]
	s_or_b32 exec_lo, exec_lo, s0
	v_cmp_gt_u32_e64 s0, s8, v33
	s_and_saveexec_b32 s1, s0
	s_cbranch_execz .LBB23_208
.LBB23_347:
	v_lshlrev_b32_e32 v1, 3, v33
	v_add_co_u32 v6, s7, s4, v1
	v_add_co_ci_u32_e64 v7, null, s5, 0, s7
	flat_load_dwordx2 v[6:7], v[6:7]
	s_or_b32 exec_lo, exec_lo, s1
	v_cmp_gt_u32_e64 s1, s8, v32
	s_and_saveexec_b32 s7, s1
	s_cbranch_execz .LBB23_209
.LBB23_348:
	v_lshlrev_b32_e32 v1, 3, v32
	v_add_co_u32 v8, s9, s4, v1
	v_add_co_ci_u32_e64 v9, null, s5, 0, s9
	flat_load_dwordx2 v[8:9], v[8:9]
	s_or_b32 exec_lo, exec_lo, s7
	v_cmp_gt_u32_e64 s14, s8, v31
	s_and_saveexec_b32 s7, s14
	s_cbranch_execnz .LBB23_210
	s_branch .LBB23_211
.LBB23_349:
	ds_read_b64 v[10:11], v12
	s_waitcnt lgkmcnt(0)
	flat_store_dwordx2 v[6:7], v[10:11]
	s_or_b32 exec_lo, exec_lo, s2
	s_and_saveexec_b32 s2, s0
	s_cbranch_execz .LBB23_340
.LBB23_350:
	v_add_co_u32 v10, vcc_lo, 0x800, v6
	v_add_co_ci_u32_e64 v11, null, 0, v7, vcc_lo
	s_waitcnt lgkmcnt(2)
	flat_store_dwordx2 v[10:11], v[8:9]
	s_or_b32 exec_lo, exec_lo, s2
	s_and_saveexec_b32 s0, s1
	s_cbranch_execnz .LBB23_341
	s_branch .LBB23_342
	.section	.rodata,"a",@progbits
	.p2align	6, 0x0
	.amdhsa_kernel _ZN7rocprim17ROCPRIM_400000_NS6detail17trampoline_kernelINS0_14default_configENS1_37merge_sort_block_sort_config_selectorIyNS0_10empty_typeEEEZNS1_21merge_sort_block_sortIS3_N6thrust23THRUST_200600_302600_NS6detail15normal_iteratorINS9_10device_ptrIyEEEESE_PS5_SF_11less_div_10IyEEE10hipError_tT0_T1_T2_T3_mRjT4_P12ihipStream_tbNS1_7vsmem_tEEUlT_E_NS1_11comp_targetILNS1_3genE8ELNS1_11target_archE1030ELNS1_3gpuE2ELNS1_3repE0EEENS1_30default_config_static_selectorELNS0_4arch9wavefront6targetE0EEEvSK_
		.amdhsa_group_segment_fixed_size 8448
		.amdhsa_private_segment_fixed_size 0
		.amdhsa_kernarg_size 320
		.amdhsa_user_sgpr_count 6
		.amdhsa_user_sgpr_private_segment_buffer 1
		.amdhsa_user_sgpr_dispatch_ptr 0
		.amdhsa_user_sgpr_queue_ptr 0
		.amdhsa_user_sgpr_kernarg_segment_ptr 1
		.amdhsa_user_sgpr_dispatch_id 0
		.amdhsa_user_sgpr_flat_scratch_init 0
		.amdhsa_user_sgpr_private_segment_size 0
		.amdhsa_wavefront_size32 1
		.amdhsa_uses_dynamic_stack 0
		.amdhsa_system_sgpr_private_segment_wavefront_offset 0
		.amdhsa_system_sgpr_workgroup_id_x 1
		.amdhsa_system_sgpr_workgroup_id_y 1
		.amdhsa_system_sgpr_workgroup_id_z 1
		.amdhsa_system_sgpr_workgroup_info 0
		.amdhsa_system_vgpr_workitem_id 2
		.amdhsa_next_free_vgpr 42
		.amdhsa_next_free_sgpr 20
		.amdhsa_reserve_vcc 1
		.amdhsa_reserve_flat_scratch 1
		.amdhsa_float_round_mode_32 0
		.amdhsa_float_round_mode_16_64 0
		.amdhsa_float_denorm_mode_32 3
		.amdhsa_float_denorm_mode_16_64 3
		.amdhsa_dx10_clamp 1
		.amdhsa_ieee_mode 1
		.amdhsa_fp16_overflow 0
		.amdhsa_workgroup_processor_mode 1
		.amdhsa_memory_ordered 1
		.amdhsa_forward_progress 1
		.amdhsa_shared_vgpr_count 0
		.amdhsa_exception_fp_ieee_invalid_op 0
		.amdhsa_exception_fp_denorm_src 0
		.amdhsa_exception_fp_ieee_div_zero 0
		.amdhsa_exception_fp_ieee_overflow 0
		.amdhsa_exception_fp_ieee_underflow 0
		.amdhsa_exception_fp_ieee_inexact 0
		.amdhsa_exception_int_div_zero 0
	.end_amdhsa_kernel
	.section	.text._ZN7rocprim17ROCPRIM_400000_NS6detail17trampoline_kernelINS0_14default_configENS1_37merge_sort_block_sort_config_selectorIyNS0_10empty_typeEEEZNS1_21merge_sort_block_sortIS3_N6thrust23THRUST_200600_302600_NS6detail15normal_iteratorINS9_10device_ptrIyEEEESE_PS5_SF_11less_div_10IyEEE10hipError_tT0_T1_T2_T3_mRjT4_P12ihipStream_tbNS1_7vsmem_tEEUlT_E_NS1_11comp_targetILNS1_3genE8ELNS1_11target_archE1030ELNS1_3gpuE2ELNS1_3repE0EEENS1_30default_config_static_selectorELNS0_4arch9wavefront6targetE0EEEvSK_,"axG",@progbits,_ZN7rocprim17ROCPRIM_400000_NS6detail17trampoline_kernelINS0_14default_configENS1_37merge_sort_block_sort_config_selectorIyNS0_10empty_typeEEEZNS1_21merge_sort_block_sortIS3_N6thrust23THRUST_200600_302600_NS6detail15normal_iteratorINS9_10device_ptrIyEEEESE_PS5_SF_11less_div_10IyEEE10hipError_tT0_T1_T2_T3_mRjT4_P12ihipStream_tbNS1_7vsmem_tEEUlT_E_NS1_11comp_targetILNS1_3genE8ELNS1_11target_archE1030ELNS1_3gpuE2ELNS1_3repE0EEENS1_30default_config_static_selectorELNS0_4arch9wavefront6targetE0EEEvSK_,comdat
.Lfunc_end23:
	.size	_ZN7rocprim17ROCPRIM_400000_NS6detail17trampoline_kernelINS0_14default_configENS1_37merge_sort_block_sort_config_selectorIyNS0_10empty_typeEEEZNS1_21merge_sort_block_sortIS3_N6thrust23THRUST_200600_302600_NS6detail15normal_iteratorINS9_10device_ptrIyEEEESE_PS5_SF_11less_div_10IyEEE10hipError_tT0_T1_T2_T3_mRjT4_P12ihipStream_tbNS1_7vsmem_tEEUlT_E_NS1_11comp_targetILNS1_3genE8ELNS1_11target_archE1030ELNS1_3gpuE2ELNS1_3repE0EEENS1_30default_config_static_selectorELNS0_4arch9wavefront6targetE0EEEvSK_, .Lfunc_end23-_ZN7rocprim17ROCPRIM_400000_NS6detail17trampoline_kernelINS0_14default_configENS1_37merge_sort_block_sort_config_selectorIyNS0_10empty_typeEEEZNS1_21merge_sort_block_sortIS3_N6thrust23THRUST_200600_302600_NS6detail15normal_iteratorINS9_10device_ptrIyEEEESE_PS5_SF_11less_div_10IyEEE10hipError_tT0_T1_T2_T3_mRjT4_P12ihipStream_tbNS1_7vsmem_tEEUlT_E_NS1_11comp_targetILNS1_3genE8ELNS1_11target_archE1030ELNS1_3gpuE2ELNS1_3repE0EEENS1_30default_config_static_selectorELNS0_4arch9wavefront6targetE0EEEvSK_
                                        ; -- End function
	.set _ZN7rocprim17ROCPRIM_400000_NS6detail17trampoline_kernelINS0_14default_configENS1_37merge_sort_block_sort_config_selectorIyNS0_10empty_typeEEEZNS1_21merge_sort_block_sortIS3_N6thrust23THRUST_200600_302600_NS6detail15normal_iteratorINS9_10device_ptrIyEEEESE_PS5_SF_11less_div_10IyEEE10hipError_tT0_T1_T2_T3_mRjT4_P12ihipStream_tbNS1_7vsmem_tEEUlT_E_NS1_11comp_targetILNS1_3genE8ELNS1_11target_archE1030ELNS1_3gpuE2ELNS1_3repE0EEENS1_30default_config_static_selectorELNS0_4arch9wavefront6targetE0EEEvSK_.num_vgpr, 42
	.set _ZN7rocprim17ROCPRIM_400000_NS6detail17trampoline_kernelINS0_14default_configENS1_37merge_sort_block_sort_config_selectorIyNS0_10empty_typeEEEZNS1_21merge_sort_block_sortIS3_N6thrust23THRUST_200600_302600_NS6detail15normal_iteratorINS9_10device_ptrIyEEEESE_PS5_SF_11less_div_10IyEEE10hipError_tT0_T1_T2_T3_mRjT4_P12ihipStream_tbNS1_7vsmem_tEEUlT_E_NS1_11comp_targetILNS1_3genE8ELNS1_11target_archE1030ELNS1_3gpuE2ELNS1_3repE0EEENS1_30default_config_static_selectorELNS0_4arch9wavefront6targetE0EEEvSK_.num_agpr, 0
	.set _ZN7rocprim17ROCPRIM_400000_NS6detail17trampoline_kernelINS0_14default_configENS1_37merge_sort_block_sort_config_selectorIyNS0_10empty_typeEEEZNS1_21merge_sort_block_sortIS3_N6thrust23THRUST_200600_302600_NS6detail15normal_iteratorINS9_10device_ptrIyEEEESE_PS5_SF_11less_div_10IyEEE10hipError_tT0_T1_T2_T3_mRjT4_P12ihipStream_tbNS1_7vsmem_tEEUlT_E_NS1_11comp_targetILNS1_3genE8ELNS1_11target_archE1030ELNS1_3gpuE2ELNS1_3repE0EEENS1_30default_config_static_selectorELNS0_4arch9wavefront6targetE0EEEvSK_.numbered_sgpr, 20
	.set _ZN7rocprim17ROCPRIM_400000_NS6detail17trampoline_kernelINS0_14default_configENS1_37merge_sort_block_sort_config_selectorIyNS0_10empty_typeEEEZNS1_21merge_sort_block_sortIS3_N6thrust23THRUST_200600_302600_NS6detail15normal_iteratorINS9_10device_ptrIyEEEESE_PS5_SF_11less_div_10IyEEE10hipError_tT0_T1_T2_T3_mRjT4_P12ihipStream_tbNS1_7vsmem_tEEUlT_E_NS1_11comp_targetILNS1_3genE8ELNS1_11target_archE1030ELNS1_3gpuE2ELNS1_3repE0EEENS1_30default_config_static_selectorELNS0_4arch9wavefront6targetE0EEEvSK_.num_named_barrier, 0
	.set _ZN7rocprim17ROCPRIM_400000_NS6detail17trampoline_kernelINS0_14default_configENS1_37merge_sort_block_sort_config_selectorIyNS0_10empty_typeEEEZNS1_21merge_sort_block_sortIS3_N6thrust23THRUST_200600_302600_NS6detail15normal_iteratorINS9_10device_ptrIyEEEESE_PS5_SF_11less_div_10IyEEE10hipError_tT0_T1_T2_T3_mRjT4_P12ihipStream_tbNS1_7vsmem_tEEUlT_E_NS1_11comp_targetILNS1_3genE8ELNS1_11target_archE1030ELNS1_3gpuE2ELNS1_3repE0EEENS1_30default_config_static_selectorELNS0_4arch9wavefront6targetE0EEEvSK_.private_seg_size, 0
	.set _ZN7rocprim17ROCPRIM_400000_NS6detail17trampoline_kernelINS0_14default_configENS1_37merge_sort_block_sort_config_selectorIyNS0_10empty_typeEEEZNS1_21merge_sort_block_sortIS3_N6thrust23THRUST_200600_302600_NS6detail15normal_iteratorINS9_10device_ptrIyEEEESE_PS5_SF_11less_div_10IyEEE10hipError_tT0_T1_T2_T3_mRjT4_P12ihipStream_tbNS1_7vsmem_tEEUlT_E_NS1_11comp_targetILNS1_3genE8ELNS1_11target_archE1030ELNS1_3gpuE2ELNS1_3repE0EEENS1_30default_config_static_selectorELNS0_4arch9wavefront6targetE0EEEvSK_.uses_vcc, 1
	.set _ZN7rocprim17ROCPRIM_400000_NS6detail17trampoline_kernelINS0_14default_configENS1_37merge_sort_block_sort_config_selectorIyNS0_10empty_typeEEEZNS1_21merge_sort_block_sortIS3_N6thrust23THRUST_200600_302600_NS6detail15normal_iteratorINS9_10device_ptrIyEEEESE_PS5_SF_11less_div_10IyEEE10hipError_tT0_T1_T2_T3_mRjT4_P12ihipStream_tbNS1_7vsmem_tEEUlT_E_NS1_11comp_targetILNS1_3genE8ELNS1_11target_archE1030ELNS1_3gpuE2ELNS1_3repE0EEENS1_30default_config_static_selectorELNS0_4arch9wavefront6targetE0EEEvSK_.uses_flat_scratch, 1
	.set _ZN7rocprim17ROCPRIM_400000_NS6detail17trampoline_kernelINS0_14default_configENS1_37merge_sort_block_sort_config_selectorIyNS0_10empty_typeEEEZNS1_21merge_sort_block_sortIS3_N6thrust23THRUST_200600_302600_NS6detail15normal_iteratorINS9_10device_ptrIyEEEESE_PS5_SF_11less_div_10IyEEE10hipError_tT0_T1_T2_T3_mRjT4_P12ihipStream_tbNS1_7vsmem_tEEUlT_E_NS1_11comp_targetILNS1_3genE8ELNS1_11target_archE1030ELNS1_3gpuE2ELNS1_3repE0EEENS1_30default_config_static_selectorELNS0_4arch9wavefront6targetE0EEEvSK_.has_dyn_sized_stack, 0
	.set _ZN7rocprim17ROCPRIM_400000_NS6detail17trampoline_kernelINS0_14default_configENS1_37merge_sort_block_sort_config_selectorIyNS0_10empty_typeEEEZNS1_21merge_sort_block_sortIS3_N6thrust23THRUST_200600_302600_NS6detail15normal_iteratorINS9_10device_ptrIyEEEESE_PS5_SF_11less_div_10IyEEE10hipError_tT0_T1_T2_T3_mRjT4_P12ihipStream_tbNS1_7vsmem_tEEUlT_E_NS1_11comp_targetILNS1_3genE8ELNS1_11target_archE1030ELNS1_3gpuE2ELNS1_3repE0EEENS1_30default_config_static_selectorELNS0_4arch9wavefront6targetE0EEEvSK_.has_recursion, 0
	.set _ZN7rocprim17ROCPRIM_400000_NS6detail17trampoline_kernelINS0_14default_configENS1_37merge_sort_block_sort_config_selectorIyNS0_10empty_typeEEEZNS1_21merge_sort_block_sortIS3_N6thrust23THRUST_200600_302600_NS6detail15normal_iteratorINS9_10device_ptrIyEEEESE_PS5_SF_11less_div_10IyEEE10hipError_tT0_T1_T2_T3_mRjT4_P12ihipStream_tbNS1_7vsmem_tEEUlT_E_NS1_11comp_targetILNS1_3genE8ELNS1_11target_archE1030ELNS1_3gpuE2ELNS1_3repE0EEENS1_30default_config_static_selectorELNS0_4arch9wavefront6targetE0EEEvSK_.has_indirect_call, 0
	.section	.AMDGPU.csdata,"",@progbits
; Kernel info:
; codeLenInByte = 18248
; TotalNumSgprs: 22
; NumVgprs: 42
; ScratchSize: 0
; MemoryBound: 0
; FloatMode: 240
; IeeeMode: 1
; LDSByteSize: 8448 bytes/workgroup (compile time only)
; SGPRBlocks: 0
; VGPRBlocks: 5
; NumSGPRsForWavesPerEU: 22
; NumVGPRsForWavesPerEU: 42
; Occupancy: 16
; WaveLimiterHint : 1
; COMPUTE_PGM_RSRC2:SCRATCH_EN: 0
; COMPUTE_PGM_RSRC2:USER_SGPR: 6
; COMPUTE_PGM_RSRC2:TRAP_HANDLER: 0
; COMPUTE_PGM_RSRC2:TGID_X_EN: 1
; COMPUTE_PGM_RSRC2:TGID_Y_EN: 1
; COMPUTE_PGM_RSRC2:TGID_Z_EN: 1
; COMPUTE_PGM_RSRC2:TIDIG_COMP_CNT: 2
	.section	.text._ZN7rocprim17ROCPRIM_400000_NS6detail17trampoline_kernelINS0_14default_configENS1_38merge_sort_block_merge_config_selectorIyNS0_10empty_typeEEEZZNS1_27merge_sort_block_merge_implIS3_N6thrust23THRUST_200600_302600_NS6detail15normal_iteratorINS9_10device_ptrIyEEEEPS5_m11less_div_10IyEEE10hipError_tT0_T1_T2_jT3_P12ihipStream_tbPNSt15iterator_traitsISJ_E10value_typeEPNSP_ISK_E10value_typeEPSL_NS1_7vsmem_tEENKUlT_SJ_SK_SL_E_clIPySE_SF_SF_EESI_SY_SJ_SK_SL_EUlSY_E_NS1_11comp_targetILNS1_3genE0ELNS1_11target_archE4294967295ELNS1_3gpuE0ELNS1_3repE0EEENS1_48merge_mergepath_partition_config_static_selectorELNS0_4arch9wavefront6targetE0EEEvSK_,"axG",@progbits,_ZN7rocprim17ROCPRIM_400000_NS6detail17trampoline_kernelINS0_14default_configENS1_38merge_sort_block_merge_config_selectorIyNS0_10empty_typeEEEZZNS1_27merge_sort_block_merge_implIS3_N6thrust23THRUST_200600_302600_NS6detail15normal_iteratorINS9_10device_ptrIyEEEEPS5_m11less_div_10IyEEE10hipError_tT0_T1_T2_jT3_P12ihipStream_tbPNSt15iterator_traitsISJ_E10value_typeEPNSP_ISK_E10value_typeEPSL_NS1_7vsmem_tEENKUlT_SJ_SK_SL_E_clIPySE_SF_SF_EESI_SY_SJ_SK_SL_EUlSY_E_NS1_11comp_targetILNS1_3genE0ELNS1_11target_archE4294967295ELNS1_3gpuE0ELNS1_3repE0EEENS1_48merge_mergepath_partition_config_static_selectorELNS0_4arch9wavefront6targetE0EEEvSK_,comdat
	.protected	_ZN7rocprim17ROCPRIM_400000_NS6detail17trampoline_kernelINS0_14default_configENS1_38merge_sort_block_merge_config_selectorIyNS0_10empty_typeEEEZZNS1_27merge_sort_block_merge_implIS3_N6thrust23THRUST_200600_302600_NS6detail15normal_iteratorINS9_10device_ptrIyEEEEPS5_m11less_div_10IyEEE10hipError_tT0_T1_T2_jT3_P12ihipStream_tbPNSt15iterator_traitsISJ_E10value_typeEPNSP_ISK_E10value_typeEPSL_NS1_7vsmem_tEENKUlT_SJ_SK_SL_E_clIPySE_SF_SF_EESI_SY_SJ_SK_SL_EUlSY_E_NS1_11comp_targetILNS1_3genE0ELNS1_11target_archE4294967295ELNS1_3gpuE0ELNS1_3repE0EEENS1_48merge_mergepath_partition_config_static_selectorELNS0_4arch9wavefront6targetE0EEEvSK_ ; -- Begin function _ZN7rocprim17ROCPRIM_400000_NS6detail17trampoline_kernelINS0_14default_configENS1_38merge_sort_block_merge_config_selectorIyNS0_10empty_typeEEEZZNS1_27merge_sort_block_merge_implIS3_N6thrust23THRUST_200600_302600_NS6detail15normal_iteratorINS9_10device_ptrIyEEEEPS5_m11less_div_10IyEEE10hipError_tT0_T1_T2_jT3_P12ihipStream_tbPNSt15iterator_traitsISJ_E10value_typeEPNSP_ISK_E10value_typeEPSL_NS1_7vsmem_tEENKUlT_SJ_SK_SL_E_clIPySE_SF_SF_EESI_SY_SJ_SK_SL_EUlSY_E_NS1_11comp_targetILNS1_3genE0ELNS1_11target_archE4294967295ELNS1_3gpuE0ELNS1_3repE0EEENS1_48merge_mergepath_partition_config_static_selectorELNS0_4arch9wavefront6targetE0EEEvSK_
	.globl	_ZN7rocprim17ROCPRIM_400000_NS6detail17trampoline_kernelINS0_14default_configENS1_38merge_sort_block_merge_config_selectorIyNS0_10empty_typeEEEZZNS1_27merge_sort_block_merge_implIS3_N6thrust23THRUST_200600_302600_NS6detail15normal_iteratorINS9_10device_ptrIyEEEEPS5_m11less_div_10IyEEE10hipError_tT0_T1_T2_jT3_P12ihipStream_tbPNSt15iterator_traitsISJ_E10value_typeEPNSP_ISK_E10value_typeEPSL_NS1_7vsmem_tEENKUlT_SJ_SK_SL_E_clIPySE_SF_SF_EESI_SY_SJ_SK_SL_EUlSY_E_NS1_11comp_targetILNS1_3genE0ELNS1_11target_archE4294967295ELNS1_3gpuE0ELNS1_3repE0EEENS1_48merge_mergepath_partition_config_static_selectorELNS0_4arch9wavefront6targetE0EEEvSK_
	.p2align	8
	.type	_ZN7rocprim17ROCPRIM_400000_NS6detail17trampoline_kernelINS0_14default_configENS1_38merge_sort_block_merge_config_selectorIyNS0_10empty_typeEEEZZNS1_27merge_sort_block_merge_implIS3_N6thrust23THRUST_200600_302600_NS6detail15normal_iteratorINS9_10device_ptrIyEEEEPS5_m11less_div_10IyEEE10hipError_tT0_T1_T2_jT3_P12ihipStream_tbPNSt15iterator_traitsISJ_E10value_typeEPNSP_ISK_E10value_typeEPSL_NS1_7vsmem_tEENKUlT_SJ_SK_SL_E_clIPySE_SF_SF_EESI_SY_SJ_SK_SL_EUlSY_E_NS1_11comp_targetILNS1_3genE0ELNS1_11target_archE4294967295ELNS1_3gpuE0ELNS1_3repE0EEENS1_48merge_mergepath_partition_config_static_selectorELNS0_4arch9wavefront6targetE0EEEvSK_,@function
_ZN7rocprim17ROCPRIM_400000_NS6detail17trampoline_kernelINS0_14default_configENS1_38merge_sort_block_merge_config_selectorIyNS0_10empty_typeEEEZZNS1_27merge_sort_block_merge_implIS3_N6thrust23THRUST_200600_302600_NS6detail15normal_iteratorINS9_10device_ptrIyEEEEPS5_m11less_div_10IyEEE10hipError_tT0_T1_T2_jT3_P12ihipStream_tbPNSt15iterator_traitsISJ_E10value_typeEPNSP_ISK_E10value_typeEPSL_NS1_7vsmem_tEENKUlT_SJ_SK_SL_E_clIPySE_SF_SF_EESI_SY_SJ_SK_SL_EUlSY_E_NS1_11comp_targetILNS1_3genE0ELNS1_11target_archE4294967295ELNS1_3gpuE0ELNS1_3repE0EEENS1_48merge_mergepath_partition_config_static_selectorELNS0_4arch9wavefront6targetE0EEEvSK_: ; @_ZN7rocprim17ROCPRIM_400000_NS6detail17trampoline_kernelINS0_14default_configENS1_38merge_sort_block_merge_config_selectorIyNS0_10empty_typeEEEZZNS1_27merge_sort_block_merge_implIS3_N6thrust23THRUST_200600_302600_NS6detail15normal_iteratorINS9_10device_ptrIyEEEEPS5_m11less_div_10IyEEE10hipError_tT0_T1_T2_jT3_P12ihipStream_tbPNSt15iterator_traitsISJ_E10value_typeEPNSP_ISK_E10value_typeEPSL_NS1_7vsmem_tEENKUlT_SJ_SK_SL_E_clIPySE_SF_SF_EESI_SY_SJ_SK_SL_EUlSY_E_NS1_11comp_targetILNS1_3genE0ELNS1_11target_archE4294967295ELNS1_3gpuE0ELNS1_3repE0EEENS1_48merge_mergepath_partition_config_static_selectorELNS0_4arch9wavefront6targetE0EEEvSK_
; %bb.0:
	.section	.rodata,"a",@progbits
	.p2align	6, 0x0
	.amdhsa_kernel _ZN7rocprim17ROCPRIM_400000_NS6detail17trampoline_kernelINS0_14default_configENS1_38merge_sort_block_merge_config_selectorIyNS0_10empty_typeEEEZZNS1_27merge_sort_block_merge_implIS3_N6thrust23THRUST_200600_302600_NS6detail15normal_iteratorINS9_10device_ptrIyEEEEPS5_m11less_div_10IyEEE10hipError_tT0_T1_T2_jT3_P12ihipStream_tbPNSt15iterator_traitsISJ_E10value_typeEPNSP_ISK_E10value_typeEPSL_NS1_7vsmem_tEENKUlT_SJ_SK_SL_E_clIPySE_SF_SF_EESI_SY_SJ_SK_SL_EUlSY_E_NS1_11comp_targetILNS1_3genE0ELNS1_11target_archE4294967295ELNS1_3gpuE0ELNS1_3repE0EEENS1_48merge_mergepath_partition_config_static_selectorELNS0_4arch9wavefront6targetE0EEEvSK_
		.amdhsa_group_segment_fixed_size 0
		.amdhsa_private_segment_fixed_size 0
		.amdhsa_kernarg_size 48
		.amdhsa_user_sgpr_count 6
		.amdhsa_user_sgpr_private_segment_buffer 1
		.amdhsa_user_sgpr_dispatch_ptr 0
		.amdhsa_user_sgpr_queue_ptr 0
		.amdhsa_user_sgpr_kernarg_segment_ptr 1
		.amdhsa_user_sgpr_dispatch_id 0
		.amdhsa_user_sgpr_flat_scratch_init 0
		.amdhsa_user_sgpr_private_segment_size 0
		.amdhsa_wavefront_size32 1
		.amdhsa_uses_dynamic_stack 0
		.amdhsa_system_sgpr_private_segment_wavefront_offset 0
		.amdhsa_system_sgpr_workgroup_id_x 1
		.amdhsa_system_sgpr_workgroup_id_y 0
		.amdhsa_system_sgpr_workgroup_id_z 0
		.amdhsa_system_sgpr_workgroup_info 0
		.amdhsa_system_vgpr_workitem_id 0
		.amdhsa_next_free_vgpr 1
		.amdhsa_next_free_sgpr 1
		.amdhsa_reserve_vcc 0
		.amdhsa_reserve_flat_scratch 0
		.amdhsa_float_round_mode_32 0
		.amdhsa_float_round_mode_16_64 0
		.amdhsa_float_denorm_mode_32 3
		.amdhsa_float_denorm_mode_16_64 3
		.amdhsa_dx10_clamp 1
		.amdhsa_ieee_mode 1
		.amdhsa_fp16_overflow 0
		.amdhsa_workgroup_processor_mode 1
		.amdhsa_memory_ordered 1
		.amdhsa_forward_progress 1
		.amdhsa_shared_vgpr_count 0
		.amdhsa_exception_fp_ieee_invalid_op 0
		.amdhsa_exception_fp_denorm_src 0
		.amdhsa_exception_fp_ieee_div_zero 0
		.amdhsa_exception_fp_ieee_overflow 0
		.amdhsa_exception_fp_ieee_underflow 0
		.amdhsa_exception_fp_ieee_inexact 0
		.amdhsa_exception_int_div_zero 0
	.end_amdhsa_kernel
	.section	.text._ZN7rocprim17ROCPRIM_400000_NS6detail17trampoline_kernelINS0_14default_configENS1_38merge_sort_block_merge_config_selectorIyNS0_10empty_typeEEEZZNS1_27merge_sort_block_merge_implIS3_N6thrust23THRUST_200600_302600_NS6detail15normal_iteratorINS9_10device_ptrIyEEEEPS5_m11less_div_10IyEEE10hipError_tT0_T1_T2_jT3_P12ihipStream_tbPNSt15iterator_traitsISJ_E10value_typeEPNSP_ISK_E10value_typeEPSL_NS1_7vsmem_tEENKUlT_SJ_SK_SL_E_clIPySE_SF_SF_EESI_SY_SJ_SK_SL_EUlSY_E_NS1_11comp_targetILNS1_3genE0ELNS1_11target_archE4294967295ELNS1_3gpuE0ELNS1_3repE0EEENS1_48merge_mergepath_partition_config_static_selectorELNS0_4arch9wavefront6targetE0EEEvSK_,"axG",@progbits,_ZN7rocprim17ROCPRIM_400000_NS6detail17trampoline_kernelINS0_14default_configENS1_38merge_sort_block_merge_config_selectorIyNS0_10empty_typeEEEZZNS1_27merge_sort_block_merge_implIS3_N6thrust23THRUST_200600_302600_NS6detail15normal_iteratorINS9_10device_ptrIyEEEEPS5_m11less_div_10IyEEE10hipError_tT0_T1_T2_jT3_P12ihipStream_tbPNSt15iterator_traitsISJ_E10value_typeEPNSP_ISK_E10value_typeEPSL_NS1_7vsmem_tEENKUlT_SJ_SK_SL_E_clIPySE_SF_SF_EESI_SY_SJ_SK_SL_EUlSY_E_NS1_11comp_targetILNS1_3genE0ELNS1_11target_archE4294967295ELNS1_3gpuE0ELNS1_3repE0EEENS1_48merge_mergepath_partition_config_static_selectorELNS0_4arch9wavefront6targetE0EEEvSK_,comdat
.Lfunc_end24:
	.size	_ZN7rocprim17ROCPRIM_400000_NS6detail17trampoline_kernelINS0_14default_configENS1_38merge_sort_block_merge_config_selectorIyNS0_10empty_typeEEEZZNS1_27merge_sort_block_merge_implIS3_N6thrust23THRUST_200600_302600_NS6detail15normal_iteratorINS9_10device_ptrIyEEEEPS5_m11less_div_10IyEEE10hipError_tT0_T1_T2_jT3_P12ihipStream_tbPNSt15iterator_traitsISJ_E10value_typeEPNSP_ISK_E10value_typeEPSL_NS1_7vsmem_tEENKUlT_SJ_SK_SL_E_clIPySE_SF_SF_EESI_SY_SJ_SK_SL_EUlSY_E_NS1_11comp_targetILNS1_3genE0ELNS1_11target_archE4294967295ELNS1_3gpuE0ELNS1_3repE0EEENS1_48merge_mergepath_partition_config_static_selectorELNS0_4arch9wavefront6targetE0EEEvSK_, .Lfunc_end24-_ZN7rocprim17ROCPRIM_400000_NS6detail17trampoline_kernelINS0_14default_configENS1_38merge_sort_block_merge_config_selectorIyNS0_10empty_typeEEEZZNS1_27merge_sort_block_merge_implIS3_N6thrust23THRUST_200600_302600_NS6detail15normal_iteratorINS9_10device_ptrIyEEEEPS5_m11less_div_10IyEEE10hipError_tT0_T1_T2_jT3_P12ihipStream_tbPNSt15iterator_traitsISJ_E10value_typeEPNSP_ISK_E10value_typeEPSL_NS1_7vsmem_tEENKUlT_SJ_SK_SL_E_clIPySE_SF_SF_EESI_SY_SJ_SK_SL_EUlSY_E_NS1_11comp_targetILNS1_3genE0ELNS1_11target_archE4294967295ELNS1_3gpuE0ELNS1_3repE0EEENS1_48merge_mergepath_partition_config_static_selectorELNS0_4arch9wavefront6targetE0EEEvSK_
                                        ; -- End function
	.set _ZN7rocprim17ROCPRIM_400000_NS6detail17trampoline_kernelINS0_14default_configENS1_38merge_sort_block_merge_config_selectorIyNS0_10empty_typeEEEZZNS1_27merge_sort_block_merge_implIS3_N6thrust23THRUST_200600_302600_NS6detail15normal_iteratorINS9_10device_ptrIyEEEEPS5_m11less_div_10IyEEE10hipError_tT0_T1_T2_jT3_P12ihipStream_tbPNSt15iterator_traitsISJ_E10value_typeEPNSP_ISK_E10value_typeEPSL_NS1_7vsmem_tEENKUlT_SJ_SK_SL_E_clIPySE_SF_SF_EESI_SY_SJ_SK_SL_EUlSY_E_NS1_11comp_targetILNS1_3genE0ELNS1_11target_archE4294967295ELNS1_3gpuE0ELNS1_3repE0EEENS1_48merge_mergepath_partition_config_static_selectorELNS0_4arch9wavefront6targetE0EEEvSK_.num_vgpr, 0
	.set _ZN7rocprim17ROCPRIM_400000_NS6detail17trampoline_kernelINS0_14default_configENS1_38merge_sort_block_merge_config_selectorIyNS0_10empty_typeEEEZZNS1_27merge_sort_block_merge_implIS3_N6thrust23THRUST_200600_302600_NS6detail15normal_iteratorINS9_10device_ptrIyEEEEPS5_m11less_div_10IyEEE10hipError_tT0_T1_T2_jT3_P12ihipStream_tbPNSt15iterator_traitsISJ_E10value_typeEPNSP_ISK_E10value_typeEPSL_NS1_7vsmem_tEENKUlT_SJ_SK_SL_E_clIPySE_SF_SF_EESI_SY_SJ_SK_SL_EUlSY_E_NS1_11comp_targetILNS1_3genE0ELNS1_11target_archE4294967295ELNS1_3gpuE0ELNS1_3repE0EEENS1_48merge_mergepath_partition_config_static_selectorELNS0_4arch9wavefront6targetE0EEEvSK_.num_agpr, 0
	.set _ZN7rocprim17ROCPRIM_400000_NS6detail17trampoline_kernelINS0_14default_configENS1_38merge_sort_block_merge_config_selectorIyNS0_10empty_typeEEEZZNS1_27merge_sort_block_merge_implIS3_N6thrust23THRUST_200600_302600_NS6detail15normal_iteratorINS9_10device_ptrIyEEEEPS5_m11less_div_10IyEEE10hipError_tT0_T1_T2_jT3_P12ihipStream_tbPNSt15iterator_traitsISJ_E10value_typeEPNSP_ISK_E10value_typeEPSL_NS1_7vsmem_tEENKUlT_SJ_SK_SL_E_clIPySE_SF_SF_EESI_SY_SJ_SK_SL_EUlSY_E_NS1_11comp_targetILNS1_3genE0ELNS1_11target_archE4294967295ELNS1_3gpuE0ELNS1_3repE0EEENS1_48merge_mergepath_partition_config_static_selectorELNS0_4arch9wavefront6targetE0EEEvSK_.numbered_sgpr, 0
	.set _ZN7rocprim17ROCPRIM_400000_NS6detail17trampoline_kernelINS0_14default_configENS1_38merge_sort_block_merge_config_selectorIyNS0_10empty_typeEEEZZNS1_27merge_sort_block_merge_implIS3_N6thrust23THRUST_200600_302600_NS6detail15normal_iteratorINS9_10device_ptrIyEEEEPS5_m11less_div_10IyEEE10hipError_tT0_T1_T2_jT3_P12ihipStream_tbPNSt15iterator_traitsISJ_E10value_typeEPNSP_ISK_E10value_typeEPSL_NS1_7vsmem_tEENKUlT_SJ_SK_SL_E_clIPySE_SF_SF_EESI_SY_SJ_SK_SL_EUlSY_E_NS1_11comp_targetILNS1_3genE0ELNS1_11target_archE4294967295ELNS1_3gpuE0ELNS1_3repE0EEENS1_48merge_mergepath_partition_config_static_selectorELNS0_4arch9wavefront6targetE0EEEvSK_.num_named_barrier, 0
	.set _ZN7rocprim17ROCPRIM_400000_NS6detail17trampoline_kernelINS0_14default_configENS1_38merge_sort_block_merge_config_selectorIyNS0_10empty_typeEEEZZNS1_27merge_sort_block_merge_implIS3_N6thrust23THRUST_200600_302600_NS6detail15normal_iteratorINS9_10device_ptrIyEEEEPS5_m11less_div_10IyEEE10hipError_tT0_T1_T2_jT3_P12ihipStream_tbPNSt15iterator_traitsISJ_E10value_typeEPNSP_ISK_E10value_typeEPSL_NS1_7vsmem_tEENKUlT_SJ_SK_SL_E_clIPySE_SF_SF_EESI_SY_SJ_SK_SL_EUlSY_E_NS1_11comp_targetILNS1_3genE0ELNS1_11target_archE4294967295ELNS1_3gpuE0ELNS1_3repE0EEENS1_48merge_mergepath_partition_config_static_selectorELNS0_4arch9wavefront6targetE0EEEvSK_.private_seg_size, 0
	.set _ZN7rocprim17ROCPRIM_400000_NS6detail17trampoline_kernelINS0_14default_configENS1_38merge_sort_block_merge_config_selectorIyNS0_10empty_typeEEEZZNS1_27merge_sort_block_merge_implIS3_N6thrust23THRUST_200600_302600_NS6detail15normal_iteratorINS9_10device_ptrIyEEEEPS5_m11less_div_10IyEEE10hipError_tT0_T1_T2_jT3_P12ihipStream_tbPNSt15iterator_traitsISJ_E10value_typeEPNSP_ISK_E10value_typeEPSL_NS1_7vsmem_tEENKUlT_SJ_SK_SL_E_clIPySE_SF_SF_EESI_SY_SJ_SK_SL_EUlSY_E_NS1_11comp_targetILNS1_3genE0ELNS1_11target_archE4294967295ELNS1_3gpuE0ELNS1_3repE0EEENS1_48merge_mergepath_partition_config_static_selectorELNS0_4arch9wavefront6targetE0EEEvSK_.uses_vcc, 0
	.set _ZN7rocprim17ROCPRIM_400000_NS6detail17trampoline_kernelINS0_14default_configENS1_38merge_sort_block_merge_config_selectorIyNS0_10empty_typeEEEZZNS1_27merge_sort_block_merge_implIS3_N6thrust23THRUST_200600_302600_NS6detail15normal_iteratorINS9_10device_ptrIyEEEEPS5_m11less_div_10IyEEE10hipError_tT0_T1_T2_jT3_P12ihipStream_tbPNSt15iterator_traitsISJ_E10value_typeEPNSP_ISK_E10value_typeEPSL_NS1_7vsmem_tEENKUlT_SJ_SK_SL_E_clIPySE_SF_SF_EESI_SY_SJ_SK_SL_EUlSY_E_NS1_11comp_targetILNS1_3genE0ELNS1_11target_archE4294967295ELNS1_3gpuE0ELNS1_3repE0EEENS1_48merge_mergepath_partition_config_static_selectorELNS0_4arch9wavefront6targetE0EEEvSK_.uses_flat_scratch, 0
	.set _ZN7rocprim17ROCPRIM_400000_NS6detail17trampoline_kernelINS0_14default_configENS1_38merge_sort_block_merge_config_selectorIyNS0_10empty_typeEEEZZNS1_27merge_sort_block_merge_implIS3_N6thrust23THRUST_200600_302600_NS6detail15normal_iteratorINS9_10device_ptrIyEEEEPS5_m11less_div_10IyEEE10hipError_tT0_T1_T2_jT3_P12ihipStream_tbPNSt15iterator_traitsISJ_E10value_typeEPNSP_ISK_E10value_typeEPSL_NS1_7vsmem_tEENKUlT_SJ_SK_SL_E_clIPySE_SF_SF_EESI_SY_SJ_SK_SL_EUlSY_E_NS1_11comp_targetILNS1_3genE0ELNS1_11target_archE4294967295ELNS1_3gpuE0ELNS1_3repE0EEENS1_48merge_mergepath_partition_config_static_selectorELNS0_4arch9wavefront6targetE0EEEvSK_.has_dyn_sized_stack, 0
	.set _ZN7rocprim17ROCPRIM_400000_NS6detail17trampoline_kernelINS0_14default_configENS1_38merge_sort_block_merge_config_selectorIyNS0_10empty_typeEEEZZNS1_27merge_sort_block_merge_implIS3_N6thrust23THRUST_200600_302600_NS6detail15normal_iteratorINS9_10device_ptrIyEEEEPS5_m11less_div_10IyEEE10hipError_tT0_T1_T2_jT3_P12ihipStream_tbPNSt15iterator_traitsISJ_E10value_typeEPNSP_ISK_E10value_typeEPSL_NS1_7vsmem_tEENKUlT_SJ_SK_SL_E_clIPySE_SF_SF_EESI_SY_SJ_SK_SL_EUlSY_E_NS1_11comp_targetILNS1_3genE0ELNS1_11target_archE4294967295ELNS1_3gpuE0ELNS1_3repE0EEENS1_48merge_mergepath_partition_config_static_selectorELNS0_4arch9wavefront6targetE0EEEvSK_.has_recursion, 0
	.set _ZN7rocprim17ROCPRIM_400000_NS6detail17trampoline_kernelINS0_14default_configENS1_38merge_sort_block_merge_config_selectorIyNS0_10empty_typeEEEZZNS1_27merge_sort_block_merge_implIS3_N6thrust23THRUST_200600_302600_NS6detail15normal_iteratorINS9_10device_ptrIyEEEEPS5_m11less_div_10IyEEE10hipError_tT0_T1_T2_jT3_P12ihipStream_tbPNSt15iterator_traitsISJ_E10value_typeEPNSP_ISK_E10value_typeEPSL_NS1_7vsmem_tEENKUlT_SJ_SK_SL_E_clIPySE_SF_SF_EESI_SY_SJ_SK_SL_EUlSY_E_NS1_11comp_targetILNS1_3genE0ELNS1_11target_archE4294967295ELNS1_3gpuE0ELNS1_3repE0EEENS1_48merge_mergepath_partition_config_static_selectorELNS0_4arch9wavefront6targetE0EEEvSK_.has_indirect_call, 0
	.section	.AMDGPU.csdata,"",@progbits
; Kernel info:
; codeLenInByte = 0
; TotalNumSgprs: 0
; NumVgprs: 0
; ScratchSize: 0
; MemoryBound: 0
; FloatMode: 240
; IeeeMode: 1
; LDSByteSize: 0 bytes/workgroup (compile time only)
; SGPRBlocks: 0
; VGPRBlocks: 0
; NumSGPRsForWavesPerEU: 1
; NumVGPRsForWavesPerEU: 1
; Occupancy: 16
; WaveLimiterHint : 0
; COMPUTE_PGM_RSRC2:SCRATCH_EN: 0
; COMPUTE_PGM_RSRC2:USER_SGPR: 6
; COMPUTE_PGM_RSRC2:TRAP_HANDLER: 0
; COMPUTE_PGM_RSRC2:TGID_X_EN: 1
; COMPUTE_PGM_RSRC2:TGID_Y_EN: 0
; COMPUTE_PGM_RSRC2:TGID_Z_EN: 0
; COMPUTE_PGM_RSRC2:TIDIG_COMP_CNT: 0
	.section	.text._ZN7rocprim17ROCPRIM_400000_NS6detail17trampoline_kernelINS0_14default_configENS1_38merge_sort_block_merge_config_selectorIyNS0_10empty_typeEEEZZNS1_27merge_sort_block_merge_implIS3_N6thrust23THRUST_200600_302600_NS6detail15normal_iteratorINS9_10device_ptrIyEEEEPS5_m11less_div_10IyEEE10hipError_tT0_T1_T2_jT3_P12ihipStream_tbPNSt15iterator_traitsISJ_E10value_typeEPNSP_ISK_E10value_typeEPSL_NS1_7vsmem_tEENKUlT_SJ_SK_SL_E_clIPySE_SF_SF_EESI_SY_SJ_SK_SL_EUlSY_E_NS1_11comp_targetILNS1_3genE10ELNS1_11target_archE1201ELNS1_3gpuE5ELNS1_3repE0EEENS1_48merge_mergepath_partition_config_static_selectorELNS0_4arch9wavefront6targetE0EEEvSK_,"axG",@progbits,_ZN7rocprim17ROCPRIM_400000_NS6detail17trampoline_kernelINS0_14default_configENS1_38merge_sort_block_merge_config_selectorIyNS0_10empty_typeEEEZZNS1_27merge_sort_block_merge_implIS3_N6thrust23THRUST_200600_302600_NS6detail15normal_iteratorINS9_10device_ptrIyEEEEPS5_m11less_div_10IyEEE10hipError_tT0_T1_T2_jT3_P12ihipStream_tbPNSt15iterator_traitsISJ_E10value_typeEPNSP_ISK_E10value_typeEPSL_NS1_7vsmem_tEENKUlT_SJ_SK_SL_E_clIPySE_SF_SF_EESI_SY_SJ_SK_SL_EUlSY_E_NS1_11comp_targetILNS1_3genE10ELNS1_11target_archE1201ELNS1_3gpuE5ELNS1_3repE0EEENS1_48merge_mergepath_partition_config_static_selectorELNS0_4arch9wavefront6targetE0EEEvSK_,comdat
	.protected	_ZN7rocprim17ROCPRIM_400000_NS6detail17trampoline_kernelINS0_14default_configENS1_38merge_sort_block_merge_config_selectorIyNS0_10empty_typeEEEZZNS1_27merge_sort_block_merge_implIS3_N6thrust23THRUST_200600_302600_NS6detail15normal_iteratorINS9_10device_ptrIyEEEEPS5_m11less_div_10IyEEE10hipError_tT0_T1_T2_jT3_P12ihipStream_tbPNSt15iterator_traitsISJ_E10value_typeEPNSP_ISK_E10value_typeEPSL_NS1_7vsmem_tEENKUlT_SJ_SK_SL_E_clIPySE_SF_SF_EESI_SY_SJ_SK_SL_EUlSY_E_NS1_11comp_targetILNS1_3genE10ELNS1_11target_archE1201ELNS1_3gpuE5ELNS1_3repE0EEENS1_48merge_mergepath_partition_config_static_selectorELNS0_4arch9wavefront6targetE0EEEvSK_ ; -- Begin function _ZN7rocprim17ROCPRIM_400000_NS6detail17trampoline_kernelINS0_14default_configENS1_38merge_sort_block_merge_config_selectorIyNS0_10empty_typeEEEZZNS1_27merge_sort_block_merge_implIS3_N6thrust23THRUST_200600_302600_NS6detail15normal_iteratorINS9_10device_ptrIyEEEEPS5_m11less_div_10IyEEE10hipError_tT0_T1_T2_jT3_P12ihipStream_tbPNSt15iterator_traitsISJ_E10value_typeEPNSP_ISK_E10value_typeEPSL_NS1_7vsmem_tEENKUlT_SJ_SK_SL_E_clIPySE_SF_SF_EESI_SY_SJ_SK_SL_EUlSY_E_NS1_11comp_targetILNS1_3genE10ELNS1_11target_archE1201ELNS1_3gpuE5ELNS1_3repE0EEENS1_48merge_mergepath_partition_config_static_selectorELNS0_4arch9wavefront6targetE0EEEvSK_
	.globl	_ZN7rocprim17ROCPRIM_400000_NS6detail17trampoline_kernelINS0_14default_configENS1_38merge_sort_block_merge_config_selectorIyNS0_10empty_typeEEEZZNS1_27merge_sort_block_merge_implIS3_N6thrust23THRUST_200600_302600_NS6detail15normal_iteratorINS9_10device_ptrIyEEEEPS5_m11less_div_10IyEEE10hipError_tT0_T1_T2_jT3_P12ihipStream_tbPNSt15iterator_traitsISJ_E10value_typeEPNSP_ISK_E10value_typeEPSL_NS1_7vsmem_tEENKUlT_SJ_SK_SL_E_clIPySE_SF_SF_EESI_SY_SJ_SK_SL_EUlSY_E_NS1_11comp_targetILNS1_3genE10ELNS1_11target_archE1201ELNS1_3gpuE5ELNS1_3repE0EEENS1_48merge_mergepath_partition_config_static_selectorELNS0_4arch9wavefront6targetE0EEEvSK_
	.p2align	8
	.type	_ZN7rocprim17ROCPRIM_400000_NS6detail17trampoline_kernelINS0_14default_configENS1_38merge_sort_block_merge_config_selectorIyNS0_10empty_typeEEEZZNS1_27merge_sort_block_merge_implIS3_N6thrust23THRUST_200600_302600_NS6detail15normal_iteratorINS9_10device_ptrIyEEEEPS5_m11less_div_10IyEEE10hipError_tT0_T1_T2_jT3_P12ihipStream_tbPNSt15iterator_traitsISJ_E10value_typeEPNSP_ISK_E10value_typeEPSL_NS1_7vsmem_tEENKUlT_SJ_SK_SL_E_clIPySE_SF_SF_EESI_SY_SJ_SK_SL_EUlSY_E_NS1_11comp_targetILNS1_3genE10ELNS1_11target_archE1201ELNS1_3gpuE5ELNS1_3repE0EEENS1_48merge_mergepath_partition_config_static_selectorELNS0_4arch9wavefront6targetE0EEEvSK_,@function
_ZN7rocprim17ROCPRIM_400000_NS6detail17trampoline_kernelINS0_14default_configENS1_38merge_sort_block_merge_config_selectorIyNS0_10empty_typeEEEZZNS1_27merge_sort_block_merge_implIS3_N6thrust23THRUST_200600_302600_NS6detail15normal_iteratorINS9_10device_ptrIyEEEEPS5_m11less_div_10IyEEE10hipError_tT0_T1_T2_jT3_P12ihipStream_tbPNSt15iterator_traitsISJ_E10value_typeEPNSP_ISK_E10value_typeEPSL_NS1_7vsmem_tEENKUlT_SJ_SK_SL_E_clIPySE_SF_SF_EESI_SY_SJ_SK_SL_EUlSY_E_NS1_11comp_targetILNS1_3genE10ELNS1_11target_archE1201ELNS1_3gpuE5ELNS1_3repE0EEENS1_48merge_mergepath_partition_config_static_selectorELNS0_4arch9wavefront6targetE0EEEvSK_: ; @_ZN7rocprim17ROCPRIM_400000_NS6detail17trampoline_kernelINS0_14default_configENS1_38merge_sort_block_merge_config_selectorIyNS0_10empty_typeEEEZZNS1_27merge_sort_block_merge_implIS3_N6thrust23THRUST_200600_302600_NS6detail15normal_iteratorINS9_10device_ptrIyEEEEPS5_m11less_div_10IyEEE10hipError_tT0_T1_T2_jT3_P12ihipStream_tbPNSt15iterator_traitsISJ_E10value_typeEPNSP_ISK_E10value_typeEPSL_NS1_7vsmem_tEENKUlT_SJ_SK_SL_E_clIPySE_SF_SF_EESI_SY_SJ_SK_SL_EUlSY_E_NS1_11comp_targetILNS1_3genE10ELNS1_11target_archE1201ELNS1_3gpuE5ELNS1_3repE0EEENS1_48merge_mergepath_partition_config_static_selectorELNS0_4arch9wavefront6targetE0EEEvSK_
; %bb.0:
	.section	.rodata,"a",@progbits
	.p2align	6, 0x0
	.amdhsa_kernel _ZN7rocprim17ROCPRIM_400000_NS6detail17trampoline_kernelINS0_14default_configENS1_38merge_sort_block_merge_config_selectorIyNS0_10empty_typeEEEZZNS1_27merge_sort_block_merge_implIS3_N6thrust23THRUST_200600_302600_NS6detail15normal_iteratorINS9_10device_ptrIyEEEEPS5_m11less_div_10IyEEE10hipError_tT0_T1_T2_jT3_P12ihipStream_tbPNSt15iterator_traitsISJ_E10value_typeEPNSP_ISK_E10value_typeEPSL_NS1_7vsmem_tEENKUlT_SJ_SK_SL_E_clIPySE_SF_SF_EESI_SY_SJ_SK_SL_EUlSY_E_NS1_11comp_targetILNS1_3genE10ELNS1_11target_archE1201ELNS1_3gpuE5ELNS1_3repE0EEENS1_48merge_mergepath_partition_config_static_selectorELNS0_4arch9wavefront6targetE0EEEvSK_
		.amdhsa_group_segment_fixed_size 0
		.amdhsa_private_segment_fixed_size 0
		.amdhsa_kernarg_size 48
		.amdhsa_user_sgpr_count 6
		.amdhsa_user_sgpr_private_segment_buffer 1
		.amdhsa_user_sgpr_dispatch_ptr 0
		.amdhsa_user_sgpr_queue_ptr 0
		.amdhsa_user_sgpr_kernarg_segment_ptr 1
		.amdhsa_user_sgpr_dispatch_id 0
		.amdhsa_user_sgpr_flat_scratch_init 0
		.amdhsa_user_sgpr_private_segment_size 0
		.amdhsa_wavefront_size32 1
		.amdhsa_uses_dynamic_stack 0
		.amdhsa_system_sgpr_private_segment_wavefront_offset 0
		.amdhsa_system_sgpr_workgroup_id_x 1
		.amdhsa_system_sgpr_workgroup_id_y 0
		.amdhsa_system_sgpr_workgroup_id_z 0
		.amdhsa_system_sgpr_workgroup_info 0
		.amdhsa_system_vgpr_workitem_id 0
		.amdhsa_next_free_vgpr 1
		.amdhsa_next_free_sgpr 1
		.amdhsa_reserve_vcc 0
		.amdhsa_reserve_flat_scratch 0
		.amdhsa_float_round_mode_32 0
		.amdhsa_float_round_mode_16_64 0
		.amdhsa_float_denorm_mode_32 3
		.amdhsa_float_denorm_mode_16_64 3
		.amdhsa_dx10_clamp 1
		.amdhsa_ieee_mode 1
		.amdhsa_fp16_overflow 0
		.amdhsa_workgroup_processor_mode 1
		.amdhsa_memory_ordered 1
		.amdhsa_forward_progress 1
		.amdhsa_shared_vgpr_count 0
		.amdhsa_exception_fp_ieee_invalid_op 0
		.amdhsa_exception_fp_denorm_src 0
		.amdhsa_exception_fp_ieee_div_zero 0
		.amdhsa_exception_fp_ieee_overflow 0
		.amdhsa_exception_fp_ieee_underflow 0
		.amdhsa_exception_fp_ieee_inexact 0
		.amdhsa_exception_int_div_zero 0
	.end_amdhsa_kernel
	.section	.text._ZN7rocprim17ROCPRIM_400000_NS6detail17trampoline_kernelINS0_14default_configENS1_38merge_sort_block_merge_config_selectorIyNS0_10empty_typeEEEZZNS1_27merge_sort_block_merge_implIS3_N6thrust23THRUST_200600_302600_NS6detail15normal_iteratorINS9_10device_ptrIyEEEEPS5_m11less_div_10IyEEE10hipError_tT0_T1_T2_jT3_P12ihipStream_tbPNSt15iterator_traitsISJ_E10value_typeEPNSP_ISK_E10value_typeEPSL_NS1_7vsmem_tEENKUlT_SJ_SK_SL_E_clIPySE_SF_SF_EESI_SY_SJ_SK_SL_EUlSY_E_NS1_11comp_targetILNS1_3genE10ELNS1_11target_archE1201ELNS1_3gpuE5ELNS1_3repE0EEENS1_48merge_mergepath_partition_config_static_selectorELNS0_4arch9wavefront6targetE0EEEvSK_,"axG",@progbits,_ZN7rocprim17ROCPRIM_400000_NS6detail17trampoline_kernelINS0_14default_configENS1_38merge_sort_block_merge_config_selectorIyNS0_10empty_typeEEEZZNS1_27merge_sort_block_merge_implIS3_N6thrust23THRUST_200600_302600_NS6detail15normal_iteratorINS9_10device_ptrIyEEEEPS5_m11less_div_10IyEEE10hipError_tT0_T1_T2_jT3_P12ihipStream_tbPNSt15iterator_traitsISJ_E10value_typeEPNSP_ISK_E10value_typeEPSL_NS1_7vsmem_tEENKUlT_SJ_SK_SL_E_clIPySE_SF_SF_EESI_SY_SJ_SK_SL_EUlSY_E_NS1_11comp_targetILNS1_3genE10ELNS1_11target_archE1201ELNS1_3gpuE5ELNS1_3repE0EEENS1_48merge_mergepath_partition_config_static_selectorELNS0_4arch9wavefront6targetE0EEEvSK_,comdat
.Lfunc_end25:
	.size	_ZN7rocprim17ROCPRIM_400000_NS6detail17trampoline_kernelINS0_14default_configENS1_38merge_sort_block_merge_config_selectorIyNS0_10empty_typeEEEZZNS1_27merge_sort_block_merge_implIS3_N6thrust23THRUST_200600_302600_NS6detail15normal_iteratorINS9_10device_ptrIyEEEEPS5_m11less_div_10IyEEE10hipError_tT0_T1_T2_jT3_P12ihipStream_tbPNSt15iterator_traitsISJ_E10value_typeEPNSP_ISK_E10value_typeEPSL_NS1_7vsmem_tEENKUlT_SJ_SK_SL_E_clIPySE_SF_SF_EESI_SY_SJ_SK_SL_EUlSY_E_NS1_11comp_targetILNS1_3genE10ELNS1_11target_archE1201ELNS1_3gpuE5ELNS1_3repE0EEENS1_48merge_mergepath_partition_config_static_selectorELNS0_4arch9wavefront6targetE0EEEvSK_, .Lfunc_end25-_ZN7rocprim17ROCPRIM_400000_NS6detail17trampoline_kernelINS0_14default_configENS1_38merge_sort_block_merge_config_selectorIyNS0_10empty_typeEEEZZNS1_27merge_sort_block_merge_implIS3_N6thrust23THRUST_200600_302600_NS6detail15normal_iteratorINS9_10device_ptrIyEEEEPS5_m11less_div_10IyEEE10hipError_tT0_T1_T2_jT3_P12ihipStream_tbPNSt15iterator_traitsISJ_E10value_typeEPNSP_ISK_E10value_typeEPSL_NS1_7vsmem_tEENKUlT_SJ_SK_SL_E_clIPySE_SF_SF_EESI_SY_SJ_SK_SL_EUlSY_E_NS1_11comp_targetILNS1_3genE10ELNS1_11target_archE1201ELNS1_3gpuE5ELNS1_3repE0EEENS1_48merge_mergepath_partition_config_static_selectorELNS0_4arch9wavefront6targetE0EEEvSK_
                                        ; -- End function
	.set _ZN7rocprim17ROCPRIM_400000_NS6detail17trampoline_kernelINS0_14default_configENS1_38merge_sort_block_merge_config_selectorIyNS0_10empty_typeEEEZZNS1_27merge_sort_block_merge_implIS3_N6thrust23THRUST_200600_302600_NS6detail15normal_iteratorINS9_10device_ptrIyEEEEPS5_m11less_div_10IyEEE10hipError_tT0_T1_T2_jT3_P12ihipStream_tbPNSt15iterator_traitsISJ_E10value_typeEPNSP_ISK_E10value_typeEPSL_NS1_7vsmem_tEENKUlT_SJ_SK_SL_E_clIPySE_SF_SF_EESI_SY_SJ_SK_SL_EUlSY_E_NS1_11comp_targetILNS1_3genE10ELNS1_11target_archE1201ELNS1_3gpuE5ELNS1_3repE0EEENS1_48merge_mergepath_partition_config_static_selectorELNS0_4arch9wavefront6targetE0EEEvSK_.num_vgpr, 0
	.set _ZN7rocprim17ROCPRIM_400000_NS6detail17trampoline_kernelINS0_14default_configENS1_38merge_sort_block_merge_config_selectorIyNS0_10empty_typeEEEZZNS1_27merge_sort_block_merge_implIS3_N6thrust23THRUST_200600_302600_NS6detail15normal_iteratorINS9_10device_ptrIyEEEEPS5_m11less_div_10IyEEE10hipError_tT0_T1_T2_jT3_P12ihipStream_tbPNSt15iterator_traitsISJ_E10value_typeEPNSP_ISK_E10value_typeEPSL_NS1_7vsmem_tEENKUlT_SJ_SK_SL_E_clIPySE_SF_SF_EESI_SY_SJ_SK_SL_EUlSY_E_NS1_11comp_targetILNS1_3genE10ELNS1_11target_archE1201ELNS1_3gpuE5ELNS1_3repE0EEENS1_48merge_mergepath_partition_config_static_selectorELNS0_4arch9wavefront6targetE0EEEvSK_.num_agpr, 0
	.set _ZN7rocprim17ROCPRIM_400000_NS6detail17trampoline_kernelINS0_14default_configENS1_38merge_sort_block_merge_config_selectorIyNS0_10empty_typeEEEZZNS1_27merge_sort_block_merge_implIS3_N6thrust23THRUST_200600_302600_NS6detail15normal_iteratorINS9_10device_ptrIyEEEEPS5_m11less_div_10IyEEE10hipError_tT0_T1_T2_jT3_P12ihipStream_tbPNSt15iterator_traitsISJ_E10value_typeEPNSP_ISK_E10value_typeEPSL_NS1_7vsmem_tEENKUlT_SJ_SK_SL_E_clIPySE_SF_SF_EESI_SY_SJ_SK_SL_EUlSY_E_NS1_11comp_targetILNS1_3genE10ELNS1_11target_archE1201ELNS1_3gpuE5ELNS1_3repE0EEENS1_48merge_mergepath_partition_config_static_selectorELNS0_4arch9wavefront6targetE0EEEvSK_.numbered_sgpr, 0
	.set _ZN7rocprim17ROCPRIM_400000_NS6detail17trampoline_kernelINS0_14default_configENS1_38merge_sort_block_merge_config_selectorIyNS0_10empty_typeEEEZZNS1_27merge_sort_block_merge_implIS3_N6thrust23THRUST_200600_302600_NS6detail15normal_iteratorINS9_10device_ptrIyEEEEPS5_m11less_div_10IyEEE10hipError_tT0_T1_T2_jT3_P12ihipStream_tbPNSt15iterator_traitsISJ_E10value_typeEPNSP_ISK_E10value_typeEPSL_NS1_7vsmem_tEENKUlT_SJ_SK_SL_E_clIPySE_SF_SF_EESI_SY_SJ_SK_SL_EUlSY_E_NS1_11comp_targetILNS1_3genE10ELNS1_11target_archE1201ELNS1_3gpuE5ELNS1_3repE0EEENS1_48merge_mergepath_partition_config_static_selectorELNS0_4arch9wavefront6targetE0EEEvSK_.num_named_barrier, 0
	.set _ZN7rocprim17ROCPRIM_400000_NS6detail17trampoline_kernelINS0_14default_configENS1_38merge_sort_block_merge_config_selectorIyNS0_10empty_typeEEEZZNS1_27merge_sort_block_merge_implIS3_N6thrust23THRUST_200600_302600_NS6detail15normal_iteratorINS9_10device_ptrIyEEEEPS5_m11less_div_10IyEEE10hipError_tT0_T1_T2_jT3_P12ihipStream_tbPNSt15iterator_traitsISJ_E10value_typeEPNSP_ISK_E10value_typeEPSL_NS1_7vsmem_tEENKUlT_SJ_SK_SL_E_clIPySE_SF_SF_EESI_SY_SJ_SK_SL_EUlSY_E_NS1_11comp_targetILNS1_3genE10ELNS1_11target_archE1201ELNS1_3gpuE5ELNS1_3repE0EEENS1_48merge_mergepath_partition_config_static_selectorELNS0_4arch9wavefront6targetE0EEEvSK_.private_seg_size, 0
	.set _ZN7rocprim17ROCPRIM_400000_NS6detail17trampoline_kernelINS0_14default_configENS1_38merge_sort_block_merge_config_selectorIyNS0_10empty_typeEEEZZNS1_27merge_sort_block_merge_implIS3_N6thrust23THRUST_200600_302600_NS6detail15normal_iteratorINS9_10device_ptrIyEEEEPS5_m11less_div_10IyEEE10hipError_tT0_T1_T2_jT3_P12ihipStream_tbPNSt15iterator_traitsISJ_E10value_typeEPNSP_ISK_E10value_typeEPSL_NS1_7vsmem_tEENKUlT_SJ_SK_SL_E_clIPySE_SF_SF_EESI_SY_SJ_SK_SL_EUlSY_E_NS1_11comp_targetILNS1_3genE10ELNS1_11target_archE1201ELNS1_3gpuE5ELNS1_3repE0EEENS1_48merge_mergepath_partition_config_static_selectorELNS0_4arch9wavefront6targetE0EEEvSK_.uses_vcc, 0
	.set _ZN7rocprim17ROCPRIM_400000_NS6detail17trampoline_kernelINS0_14default_configENS1_38merge_sort_block_merge_config_selectorIyNS0_10empty_typeEEEZZNS1_27merge_sort_block_merge_implIS3_N6thrust23THRUST_200600_302600_NS6detail15normal_iteratorINS9_10device_ptrIyEEEEPS5_m11less_div_10IyEEE10hipError_tT0_T1_T2_jT3_P12ihipStream_tbPNSt15iterator_traitsISJ_E10value_typeEPNSP_ISK_E10value_typeEPSL_NS1_7vsmem_tEENKUlT_SJ_SK_SL_E_clIPySE_SF_SF_EESI_SY_SJ_SK_SL_EUlSY_E_NS1_11comp_targetILNS1_3genE10ELNS1_11target_archE1201ELNS1_3gpuE5ELNS1_3repE0EEENS1_48merge_mergepath_partition_config_static_selectorELNS0_4arch9wavefront6targetE0EEEvSK_.uses_flat_scratch, 0
	.set _ZN7rocprim17ROCPRIM_400000_NS6detail17trampoline_kernelINS0_14default_configENS1_38merge_sort_block_merge_config_selectorIyNS0_10empty_typeEEEZZNS1_27merge_sort_block_merge_implIS3_N6thrust23THRUST_200600_302600_NS6detail15normal_iteratorINS9_10device_ptrIyEEEEPS5_m11less_div_10IyEEE10hipError_tT0_T1_T2_jT3_P12ihipStream_tbPNSt15iterator_traitsISJ_E10value_typeEPNSP_ISK_E10value_typeEPSL_NS1_7vsmem_tEENKUlT_SJ_SK_SL_E_clIPySE_SF_SF_EESI_SY_SJ_SK_SL_EUlSY_E_NS1_11comp_targetILNS1_3genE10ELNS1_11target_archE1201ELNS1_3gpuE5ELNS1_3repE0EEENS1_48merge_mergepath_partition_config_static_selectorELNS0_4arch9wavefront6targetE0EEEvSK_.has_dyn_sized_stack, 0
	.set _ZN7rocprim17ROCPRIM_400000_NS6detail17trampoline_kernelINS0_14default_configENS1_38merge_sort_block_merge_config_selectorIyNS0_10empty_typeEEEZZNS1_27merge_sort_block_merge_implIS3_N6thrust23THRUST_200600_302600_NS6detail15normal_iteratorINS9_10device_ptrIyEEEEPS5_m11less_div_10IyEEE10hipError_tT0_T1_T2_jT3_P12ihipStream_tbPNSt15iterator_traitsISJ_E10value_typeEPNSP_ISK_E10value_typeEPSL_NS1_7vsmem_tEENKUlT_SJ_SK_SL_E_clIPySE_SF_SF_EESI_SY_SJ_SK_SL_EUlSY_E_NS1_11comp_targetILNS1_3genE10ELNS1_11target_archE1201ELNS1_3gpuE5ELNS1_3repE0EEENS1_48merge_mergepath_partition_config_static_selectorELNS0_4arch9wavefront6targetE0EEEvSK_.has_recursion, 0
	.set _ZN7rocprim17ROCPRIM_400000_NS6detail17trampoline_kernelINS0_14default_configENS1_38merge_sort_block_merge_config_selectorIyNS0_10empty_typeEEEZZNS1_27merge_sort_block_merge_implIS3_N6thrust23THRUST_200600_302600_NS6detail15normal_iteratorINS9_10device_ptrIyEEEEPS5_m11less_div_10IyEEE10hipError_tT0_T1_T2_jT3_P12ihipStream_tbPNSt15iterator_traitsISJ_E10value_typeEPNSP_ISK_E10value_typeEPSL_NS1_7vsmem_tEENKUlT_SJ_SK_SL_E_clIPySE_SF_SF_EESI_SY_SJ_SK_SL_EUlSY_E_NS1_11comp_targetILNS1_3genE10ELNS1_11target_archE1201ELNS1_3gpuE5ELNS1_3repE0EEENS1_48merge_mergepath_partition_config_static_selectorELNS0_4arch9wavefront6targetE0EEEvSK_.has_indirect_call, 0
	.section	.AMDGPU.csdata,"",@progbits
; Kernel info:
; codeLenInByte = 0
; TotalNumSgprs: 0
; NumVgprs: 0
; ScratchSize: 0
; MemoryBound: 0
; FloatMode: 240
; IeeeMode: 1
; LDSByteSize: 0 bytes/workgroup (compile time only)
; SGPRBlocks: 0
; VGPRBlocks: 0
; NumSGPRsForWavesPerEU: 1
; NumVGPRsForWavesPerEU: 1
; Occupancy: 16
; WaveLimiterHint : 0
; COMPUTE_PGM_RSRC2:SCRATCH_EN: 0
; COMPUTE_PGM_RSRC2:USER_SGPR: 6
; COMPUTE_PGM_RSRC2:TRAP_HANDLER: 0
; COMPUTE_PGM_RSRC2:TGID_X_EN: 1
; COMPUTE_PGM_RSRC2:TGID_Y_EN: 0
; COMPUTE_PGM_RSRC2:TGID_Z_EN: 0
; COMPUTE_PGM_RSRC2:TIDIG_COMP_CNT: 0
	.section	.text._ZN7rocprim17ROCPRIM_400000_NS6detail17trampoline_kernelINS0_14default_configENS1_38merge_sort_block_merge_config_selectorIyNS0_10empty_typeEEEZZNS1_27merge_sort_block_merge_implIS3_N6thrust23THRUST_200600_302600_NS6detail15normal_iteratorINS9_10device_ptrIyEEEEPS5_m11less_div_10IyEEE10hipError_tT0_T1_T2_jT3_P12ihipStream_tbPNSt15iterator_traitsISJ_E10value_typeEPNSP_ISK_E10value_typeEPSL_NS1_7vsmem_tEENKUlT_SJ_SK_SL_E_clIPySE_SF_SF_EESI_SY_SJ_SK_SL_EUlSY_E_NS1_11comp_targetILNS1_3genE5ELNS1_11target_archE942ELNS1_3gpuE9ELNS1_3repE0EEENS1_48merge_mergepath_partition_config_static_selectorELNS0_4arch9wavefront6targetE0EEEvSK_,"axG",@progbits,_ZN7rocprim17ROCPRIM_400000_NS6detail17trampoline_kernelINS0_14default_configENS1_38merge_sort_block_merge_config_selectorIyNS0_10empty_typeEEEZZNS1_27merge_sort_block_merge_implIS3_N6thrust23THRUST_200600_302600_NS6detail15normal_iteratorINS9_10device_ptrIyEEEEPS5_m11less_div_10IyEEE10hipError_tT0_T1_T2_jT3_P12ihipStream_tbPNSt15iterator_traitsISJ_E10value_typeEPNSP_ISK_E10value_typeEPSL_NS1_7vsmem_tEENKUlT_SJ_SK_SL_E_clIPySE_SF_SF_EESI_SY_SJ_SK_SL_EUlSY_E_NS1_11comp_targetILNS1_3genE5ELNS1_11target_archE942ELNS1_3gpuE9ELNS1_3repE0EEENS1_48merge_mergepath_partition_config_static_selectorELNS0_4arch9wavefront6targetE0EEEvSK_,comdat
	.protected	_ZN7rocprim17ROCPRIM_400000_NS6detail17trampoline_kernelINS0_14default_configENS1_38merge_sort_block_merge_config_selectorIyNS0_10empty_typeEEEZZNS1_27merge_sort_block_merge_implIS3_N6thrust23THRUST_200600_302600_NS6detail15normal_iteratorINS9_10device_ptrIyEEEEPS5_m11less_div_10IyEEE10hipError_tT0_T1_T2_jT3_P12ihipStream_tbPNSt15iterator_traitsISJ_E10value_typeEPNSP_ISK_E10value_typeEPSL_NS1_7vsmem_tEENKUlT_SJ_SK_SL_E_clIPySE_SF_SF_EESI_SY_SJ_SK_SL_EUlSY_E_NS1_11comp_targetILNS1_3genE5ELNS1_11target_archE942ELNS1_3gpuE9ELNS1_3repE0EEENS1_48merge_mergepath_partition_config_static_selectorELNS0_4arch9wavefront6targetE0EEEvSK_ ; -- Begin function _ZN7rocprim17ROCPRIM_400000_NS6detail17trampoline_kernelINS0_14default_configENS1_38merge_sort_block_merge_config_selectorIyNS0_10empty_typeEEEZZNS1_27merge_sort_block_merge_implIS3_N6thrust23THRUST_200600_302600_NS6detail15normal_iteratorINS9_10device_ptrIyEEEEPS5_m11less_div_10IyEEE10hipError_tT0_T1_T2_jT3_P12ihipStream_tbPNSt15iterator_traitsISJ_E10value_typeEPNSP_ISK_E10value_typeEPSL_NS1_7vsmem_tEENKUlT_SJ_SK_SL_E_clIPySE_SF_SF_EESI_SY_SJ_SK_SL_EUlSY_E_NS1_11comp_targetILNS1_3genE5ELNS1_11target_archE942ELNS1_3gpuE9ELNS1_3repE0EEENS1_48merge_mergepath_partition_config_static_selectorELNS0_4arch9wavefront6targetE0EEEvSK_
	.globl	_ZN7rocprim17ROCPRIM_400000_NS6detail17trampoline_kernelINS0_14default_configENS1_38merge_sort_block_merge_config_selectorIyNS0_10empty_typeEEEZZNS1_27merge_sort_block_merge_implIS3_N6thrust23THRUST_200600_302600_NS6detail15normal_iteratorINS9_10device_ptrIyEEEEPS5_m11less_div_10IyEEE10hipError_tT0_T1_T2_jT3_P12ihipStream_tbPNSt15iterator_traitsISJ_E10value_typeEPNSP_ISK_E10value_typeEPSL_NS1_7vsmem_tEENKUlT_SJ_SK_SL_E_clIPySE_SF_SF_EESI_SY_SJ_SK_SL_EUlSY_E_NS1_11comp_targetILNS1_3genE5ELNS1_11target_archE942ELNS1_3gpuE9ELNS1_3repE0EEENS1_48merge_mergepath_partition_config_static_selectorELNS0_4arch9wavefront6targetE0EEEvSK_
	.p2align	8
	.type	_ZN7rocprim17ROCPRIM_400000_NS6detail17trampoline_kernelINS0_14default_configENS1_38merge_sort_block_merge_config_selectorIyNS0_10empty_typeEEEZZNS1_27merge_sort_block_merge_implIS3_N6thrust23THRUST_200600_302600_NS6detail15normal_iteratorINS9_10device_ptrIyEEEEPS5_m11less_div_10IyEEE10hipError_tT0_T1_T2_jT3_P12ihipStream_tbPNSt15iterator_traitsISJ_E10value_typeEPNSP_ISK_E10value_typeEPSL_NS1_7vsmem_tEENKUlT_SJ_SK_SL_E_clIPySE_SF_SF_EESI_SY_SJ_SK_SL_EUlSY_E_NS1_11comp_targetILNS1_3genE5ELNS1_11target_archE942ELNS1_3gpuE9ELNS1_3repE0EEENS1_48merge_mergepath_partition_config_static_selectorELNS0_4arch9wavefront6targetE0EEEvSK_,@function
_ZN7rocprim17ROCPRIM_400000_NS6detail17trampoline_kernelINS0_14default_configENS1_38merge_sort_block_merge_config_selectorIyNS0_10empty_typeEEEZZNS1_27merge_sort_block_merge_implIS3_N6thrust23THRUST_200600_302600_NS6detail15normal_iteratorINS9_10device_ptrIyEEEEPS5_m11less_div_10IyEEE10hipError_tT0_T1_T2_jT3_P12ihipStream_tbPNSt15iterator_traitsISJ_E10value_typeEPNSP_ISK_E10value_typeEPSL_NS1_7vsmem_tEENKUlT_SJ_SK_SL_E_clIPySE_SF_SF_EESI_SY_SJ_SK_SL_EUlSY_E_NS1_11comp_targetILNS1_3genE5ELNS1_11target_archE942ELNS1_3gpuE9ELNS1_3repE0EEENS1_48merge_mergepath_partition_config_static_selectorELNS0_4arch9wavefront6targetE0EEEvSK_: ; @_ZN7rocprim17ROCPRIM_400000_NS6detail17trampoline_kernelINS0_14default_configENS1_38merge_sort_block_merge_config_selectorIyNS0_10empty_typeEEEZZNS1_27merge_sort_block_merge_implIS3_N6thrust23THRUST_200600_302600_NS6detail15normal_iteratorINS9_10device_ptrIyEEEEPS5_m11less_div_10IyEEE10hipError_tT0_T1_T2_jT3_P12ihipStream_tbPNSt15iterator_traitsISJ_E10value_typeEPNSP_ISK_E10value_typeEPSL_NS1_7vsmem_tEENKUlT_SJ_SK_SL_E_clIPySE_SF_SF_EESI_SY_SJ_SK_SL_EUlSY_E_NS1_11comp_targetILNS1_3genE5ELNS1_11target_archE942ELNS1_3gpuE9ELNS1_3repE0EEENS1_48merge_mergepath_partition_config_static_selectorELNS0_4arch9wavefront6targetE0EEEvSK_
; %bb.0:
	.section	.rodata,"a",@progbits
	.p2align	6, 0x0
	.amdhsa_kernel _ZN7rocprim17ROCPRIM_400000_NS6detail17trampoline_kernelINS0_14default_configENS1_38merge_sort_block_merge_config_selectorIyNS0_10empty_typeEEEZZNS1_27merge_sort_block_merge_implIS3_N6thrust23THRUST_200600_302600_NS6detail15normal_iteratorINS9_10device_ptrIyEEEEPS5_m11less_div_10IyEEE10hipError_tT0_T1_T2_jT3_P12ihipStream_tbPNSt15iterator_traitsISJ_E10value_typeEPNSP_ISK_E10value_typeEPSL_NS1_7vsmem_tEENKUlT_SJ_SK_SL_E_clIPySE_SF_SF_EESI_SY_SJ_SK_SL_EUlSY_E_NS1_11comp_targetILNS1_3genE5ELNS1_11target_archE942ELNS1_3gpuE9ELNS1_3repE0EEENS1_48merge_mergepath_partition_config_static_selectorELNS0_4arch9wavefront6targetE0EEEvSK_
		.amdhsa_group_segment_fixed_size 0
		.amdhsa_private_segment_fixed_size 0
		.amdhsa_kernarg_size 48
		.amdhsa_user_sgpr_count 6
		.amdhsa_user_sgpr_private_segment_buffer 1
		.amdhsa_user_sgpr_dispatch_ptr 0
		.amdhsa_user_sgpr_queue_ptr 0
		.amdhsa_user_sgpr_kernarg_segment_ptr 1
		.amdhsa_user_sgpr_dispatch_id 0
		.amdhsa_user_sgpr_flat_scratch_init 0
		.amdhsa_user_sgpr_private_segment_size 0
		.amdhsa_wavefront_size32 1
		.amdhsa_uses_dynamic_stack 0
		.amdhsa_system_sgpr_private_segment_wavefront_offset 0
		.amdhsa_system_sgpr_workgroup_id_x 1
		.amdhsa_system_sgpr_workgroup_id_y 0
		.amdhsa_system_sgpr_workgroup_id_z 0
		.amdhsa_system_sgpr_workgroup_info 0
		.amdhsa_system_vgpr_workitem_id 0
		.amdhsa_next_free_vgpr 1
		.amdhsa_next_free_sgpr 1
		.amdhsa_reserve_vcc 0
		.amdhsa_reserve_flat_scratch 0
		.amdhsa_float_round_mode_32 0
		.amdhsa_float_round_mode_16_64 0
		.amdhsa_float_denorm_mode_32 3
		.amdhsa_float_denorm_mode_16_64 3
		.amdhsa_dx10_clamp 1
		.amdhsa_ieee_mode 1
		.amdhsa_fp16_overflow 0
		.amdhsa_workgroup_processor_mode 1
		.amdhsa_memory_ordered 1
		.amdhsa_forward_progress 1
		.amdhsa_shared_vgpr_count 0
		.amdhsa_exception_fp_ieee_invalid_op 0
		.amdhsa_exception_fp_denorm_src 0
		.amdhsa_exception_fp_ieee_div_zero 0
		.amdhsa_exception_fp_ieee_overflow 0
		.amdhsa_exception_fp_ieee_underflow 0
		.amdhsa_exception_fp_ieee_inexact 0
		.amdhsa_exception_int_div_zero 0
	.end_amdhsa_kernel
	.section	.text._ZN7rocprim17ROCPRIM_400000_NS6detail17trampoline_kernelINS0_14default_configENS1_38merge_sort_block_merge_config_selectorIyNS0_10empty_typeEEEZZNS1_27merge_sort_block_merge_implIS3_N6thrust23THRUST_200600_302600_NS6detail15normal_iteratorINS9_10device_ptrIyEEEEPS5_m11less_div_10IyEEE10hipError_tT0_T1_T2_jT3_P12ihipStream_tbPNSt15iterator_traitsISJ_E10value_typeEPNSP_ISK_E10value_typeEPSL_NS1_7vsmem_tEENKUlT_SJ_SK_SL_E_clIPySE_SF_SF_EESI_SY_SJ_SK_SL_EUlSY_E_NS1_11comp_targetILNS1_3genE5ELNS1_11target_archE942ELNS1_3gpuE9ELNS1_3repE0EEENS1_48merge_mergepath_partition_config_static_selectorELNS0_4arch9wavefront6targetE0EEEvSK_,"axG",@progbits,_ZN7rocprim17ROCPRIM_400000_NS6detail17trampoline_kernelINS0_14default_configENS1_38merge_sort_block_merge_config_selectorIyNS0_10empty_typeEEEZZNS1_27merge_sort_block_merge_implIS3_N6thrust23THRUST_200600_302600_NS6detail15normal_iteratorINS9_10device_ptrIyEEEEPS5_m11less_div_10IyEEE10hipError_tT0_T1_T2_jT3_P12ihipStream_tbPNSt15iterator_traitsISJ_E10value_typeEPNSP_ISK_E10value_typeEPSL_NS1_7vsmem_tEENKUlT_SJ_SK_SL_E_clIPySE_SF_SF_EESI_SY_SJ_SK_SL_EUlSY_E_NS1_11comp_targetILNS1_3genE5ELNS1_11target_archE942ELNS1_3gpuE9ELNS1_3repE0EEENS1_48merge_mergepath_partition_config_static_selectorELNS0_4arch9wavefront6targetE0EEEvSK_,comdat
.Lfunc_end26:
	.size	_ZN7rocprim17ROCPRIM_400000_NS6detail17trampoline_kernelINS0_14default_configENS1_38merge_sort_block_merge_config_selectorIyNS0_10empty_typeEEEZZNS1_27merge_sort_block_merge_implIS3_N6thrust23THRUST_200600_302600_NS6detail15normal_iteratorINS9_10device_ptrIyEEEEPS5_m11less_div_10IyEEE10hipError_tT0_T1_T2_jT3_P12ihipStream_tbPNSt15iterator_traitsISJ_E10value_typeEPNSP_ISK_E10value_typeEPSL_NS1_7vsmem_tEENKUlT_SJ_SK_SL_E_clIPySE_SF_SF_EESI_SY_SJ_SK_SL_EUlSY_E_NS1_11comp_targetILNS1_3genE5ELNS1_11target_archE942ELNS1_3gpuE9ELNS1_3repE0EEENS1_48merge_mergepath_partition_config_static_selectorELNS0_4arch9wavefront6targetE0EEEvSK_, .Lfunc_end26-_ZN7rocprim17ROCPRIM_400000_NS6detail17trampoline_kernelINS0_14default_configENS1_38merge_sort_block_merge_config_selectorIyNS0_10empty_typeEEEZZNS1_27merge_sort_block_merge_implIS3_N6thrust23THRUST_200600_302600_NS6detail15normal_iteratorINS9_10device_ptrIyEEEEPS5_m11less_div_10IyEEE10hipError_tT0_T1_T2_jT3_P12ihipStream_tbPNSt15iterator_traitsISJ_E10value_typeEPNSP_ISK_E10value_typeEPSL_NS1_7vsmem_tEENKUlT_SJ_SK_SL_E_clIPySE_SF_SF_EESI_SY_SJ_SK_SL_EUlSY_E_NS1_11comp_targetILNS1_3genE5ELNS1_11target_archE942ELNS1_3gpuE9ELNS1_3repE0EEENS1_48merge_mergepath_partition_config_static_selectorELNS0_4arch9wavefront6targetE0EEEvSK_
                                        ; -- End function
	.set _ZN7rocprim17ROCPRIM_400000_NS6detail17trampoline_kernelINS0_14default_configENS1_38merge_sort_block_merge_config_selectorIyNS0_10empty_typeEEEZZNS1_27merge_sort_block_merge_implIS3_N6thrust23THRUST_200600_302600_NS6detail15normal_iteratorINS9_10device_ptrIyEEEEPS5_m11less_div_10IyEEE10hipError_tT0_T1_T2_jT3_P12ihipStream_tbPNSt15iterator_traitsISJ_E10value_typeEPNSP_ISK_E10value_typeEPSL_NS1_7vsmem_tEENKUlT_SJ_SK_SL_E_clIPySE_SF_SF_EESI_SY_SJ_SK_SL_EUlSY_E_NS1_11comp_targetILNS1_3genE5ELNS1_11target_archE942ELNS1_3gpuE9ELNS1_3repE0EEENS1_48merge_mergepath_partition_config_static_selectorELNS0_4arch9wavefront6targetE0EEEvSK_.num_vgpr, 0
	.set _ZN7rocprim17ROCPRIM_400000_NS6detail17trampoline_kernelINS0_14default_configENS1_38merge_sort_block_merge_config_selectorIyNS0_10empty_typeEEEZZNS1_27merge_sort_block_merge_implIS3_N6thrust23THRUST_200600_302600_NS6detail15normal_iteratorINS9_10device_ptrIyEEEEPS5_m11less_div_10IyEEE10hipError_tT0_T1_T2_jT3_P12ihipStream_tbPNSt15iterator_traitsISJ_E10value_typeEPNSP_ISK_E10value_typeEPSL_NS1_7vsmem_tEENKUlT_SJ_SK_SL_E_clIPySE_SF_SF_EESI_SY_SJ_SK_SL_EUlSY_E_NS1_11comp_targetILNS1_3genE5ELNS1_11target_archE942ELNS1_3gpuE9ELNS1_3repE0EEENS1_48merge_mergepath_partition_config_static_selectorELNS0_4arch9wavefront6targetE0EEEvSK_.num_agpr, 0
	.set _ZN7rocprim17ROCPRIM_400000_NS6detail17trampoline_kernelINS0_14default_configENS1_38merge_sort_block_merge_config_selectorIyNS0_10empty_typeEEEZZNS1_27merge_sort_block_merge_implIS3_N6thrust23THRUST_200600_302600_NS6detail15normal_iteratorINS9_10device_ptrIyEEEEPS5_m11less_div_10IyEEE10hipError_tT0_T1_T2_jT3_P12ihipStream_tbPNSt15iterator_traitsISJ_E10value_typeEPNSP_ISK_E10value_typeEPSL_NS1_7vsmem_tEENKUlT_SJ_SK_SL_E_clIPySE_SF_SF_EESI_SY_SJ_SK_SL_EUlSY_E_NS1_11comp_targetILNS1_3genE5ELNS1_11target_archE942ELNS1_3gpuE9ELNS1_3repE0EEENS1_48merge_mergepath_partition_config_static_selectorELNS0_4arch9wavefront6targetE0EEEvSK_.numbered_sgpr, 0
	.set _ZN7rocprim17ROCPRIM_400000_NS6detail17trampoline_kernelINS0_14default_configENS1_38merge_sort_block_merge_config_selectorIyNS0_10empty_typeEEEZZNS1_27merge_sort_block_merge_implIS3_N6thrust23THRUST_200600_302600_NS6detail15normal_iteratorINS9_10device_ptrIyEEEEPS5_m11less_div_10IyEEE10hipError_tT0_T1_T2_jT3_P12ihipStream_tbPNSt15iterator_traitsISJ_E10value_typeEPNSP_ISK_E10value_typeEPSL_NS1_7vsmem_tEENKUlT_SJ_SK_SL_E_clIPySE_SF_SF_EESI_SY_SJ_SK_SL_EUlSY_E_NS1_11comp_targetILNS1_3genE5ELNS1_11target_archE942ELNS1_3gpuE9ELNS1_3repE0EEENS1_48merge_mergepath_partition_config_static_selectorELNS0_4arch9wavefront6targetE0EEEvSK_.num_named_barrier, 0
	.set _ZN7rocprim17ROCPRIM_400000_NS6detail17trampoline_kernelINS0_14default_configENS1_38merge_sort_block_merge_config_selectorIyNS0_10empty_typeEEEZZNS1_27merge_sort_block_merge_implIS3_N6thrust23THRUST_200600_302600_NS6detail15normal_iteratorINS9_10device_ptrIyEEEEPS5_m11less_div_10IyEEE10hipError_tT0_T1_T2_jT3_P12ihipStream_tbPNSt15iterator_traitsISJ_E10value_typeEPNSP_ISK_E10value_typeEPSL_NS1_7vsmem_tEENKUlT_SJ_SK_SL_E_clIPySE_SF_SF_EESI_SY_SJ_SK_SL_EUlSY_E_NS1_11comp_targetILNS1_3genE5ELNS1_11target_archE942ELNS1_3gpuE9ELNS1_3repE0EEENS1_48merge_mergepath_partition_config_static_selectorELNS0_4arch9wavefront6targetE0EEEvSK_.private_seg_size, 0
	.set _ZN7rocprim17ROCPRIM_400000_NS6detail17trampoline_kernelINS0_14default_configENS1_38merge_sort_block_merge_config_selectorIyNS0_10empty_typeEEEZZNS1_27merge_sort_block_merge_implIS3_N6thrust23THRUST_200600_302600_NS6detail15normal_iteratorINS9_10device_ptrIyEEEEPS5_m11less_div_10IyEEE10hipError_tT0_T1_T2_jT3_P12ihipStream_tbPNSt15iterator_traitsISJ_E10value_typeEPNSP_ISK_E10value_typeEPSL_NS1_7vsmem_tEENKUlT_SJ_SK_SL_E_clIPySE_SF_SF_EESI_SY_SJ_SK_SL_EUlSY_E_NS1_11comp_targetILNS1_3genE5ELNS1_11target_archE942ELNS1_3gpuE9ELNS1_3repE0EEENS1_48merge_mergepath_partition_config_static_selectorELNS0_4arch9wavefront6targetE0EEEvSK_.uses_vcc, 0
	.set _ZN7rocprim17ROCPRIM_400000_NS6detail17trampoline_kernelINS0_14default_configENS1_38merge_sort_block_merge_config_selectorIyNS0_10empty_typeEEEZZNS1_27merge_sort_block_merge_implIS3_N6thrust23THRUST_200600_302600_NS6detail15normal_iteratorINS9_10device_ptrIyEEEEPS5_m11less_div_10IyEEE10hipError_tT0_T1_T2_jT3_P12ihipStream_tbPNSt15iterator_traitsISJ_E10value_typeEPNSP_ISK_E10value_typeEPSL_NS1_7vsmem_tEENKUlT_SJ_SK_SL_E_clIPySE_SF_SF_EESI_SY_SJ_SK_SL_EUlSY_E_NS1_11comp_targetILNS1_3genE5ELNS1_11target_archE942ELNS1_3gpuE9ELNS1_3repE0EEENS1_48merge_mergepath_partition_config_static_selectorELNS0_4arch9wavefront6targetE0EEEvSK_.uses_flat_scratch, 0
	.set _ZN7rocprim17ROCPRIM_400000_NS6detail17trampoline_kernelINS0_14default_configENS1_38merge_sort_block_merge_config_selectorIyNS0_10empty_typeEEEZZNS1_27merge_sort_block_merge_implIS3_N6thrust23THRUST_200600_302600_NS6detail15normal_iteratorINS9_10device_ptrIyEEEEPS5_m11less_div_10IyEEE10hipError_tT0_T1_T2_jT3_P12ihipStream_tbPNSt15iterator_traitsISJ_E10value_typeEPNSP_ISK_E10value_typeEPSL_NS1_7vsmem_tEENKUlT_SJ_SK_SL_E_clIPySE_SF_SF_EESI_SY_SJ_SK_SL_EUlSY_E_NS1_11comp_targetILNS1_3genE5ELNS1_11target_archE942ELNS1_3gpuE9ELNS1_3repE0EEENS1_48merge_mergepath_partition_config_static_selectorELNS0_4arch9wavefront6targetE0EEEvSK_.has_dyn_sized_stack, 0
	.set _ZN7rocprim17ROCPRIM_400000_NS6detail17trampoline_kernelINS0_14default_configENS1_38merge_sort_block_merge_config_selectorIyNS0_10empty_typeEEEZZNS1_27merge_sort_block_merge_implIS3_N6thrust23THRUST_200600_302600_NS6detail15normal_iteratorINS9_10device_ptrIyEEEEPS5_m11less_div_10IyEEE10hipError_tT0_T1_T2_jT3_P12ihipStream_tbPNSt15iterator_traitsISJ_E10value_typeEPNSP_ISK_E10value_typeEPSL_NS1_7vsmem_tEENKUlT_SJ_SK_SL_E_clIPySE_SF_SF_EESI_SY_SJ_SK_SL_EUlSY_E_NS1_11comp_targetILNS1_3genE5ELNS1_11target_archE942ELNS1_3gpuE9ELNS1_3repE0EEENS1_48merge_mergepath_partition_config_static_selectorELNS0_4arch9wavefront6targetE0EEEvSK_.has_recursion, 0
	.set _ZN7rocprim17ROCPRIM_400000_NS6detail17trampoline_kernelINS0_14default_configENS1_38merge_sort_block_merge_config_selectorIyNS0_10empty_typeEEEZZNS1_27merge_sort_block_merge_implIS3_N6thrust23THRUST_200600_302600_NS6detail15normal_iteratorINS9_10device_ptrIyEEEEPS5_m11less_div_10IyEEE10hipError_tT0_T1_T2_jT3_P12ihipStream_tbPNSt15iterator_traitsISJ_E10value_typeEPNSP_ISK_E10value_typeEPSL_NS1_7vsmem_tEENKUlT_SJ_SK_SL_E_clIPySE_SF_SF_EESI_SY_SJ_SK_SL_EUlSY_E_NS1_11comp_targetILNS1_3genE5ELNS1_11target_archE942ELNS1_3gpuE9ELNS1_3repE0EEENS1_48merge_mergepath_partition_config_static_selectorELNS0_4arch9wavefront6targetE0EEEvSK_.has_indirect_call, 0
	.section	.AMDGPU.csdata,"",@progbits
; Kernel info:
; codeLenInByte = 0
; TotalNumSgprs: 0
; NumVgprs: 0
; ScratchSize: 0
; MemoryBound: 0
; FloatMode: 240
; IeeeMode: 1
; LDSByteSize: 0 bytes/workgroup (compile time only)
; SGPRBlocks: 0
; VGPRBlocks: 0
; NumSGPRsForWavesPerEU: 1
; NumVGPRsForWavesPerEU: 1
; Occupancy: 16
; WaveLimiterHint : 0
; COMPUTE_PGM_RSRC2:SCRATCH_EN: 0
; COMPUTE_PGM_RSRC2:USER_SGPR: 6
; COMPUTE_PGM_RSRC2:TRAP_HANDLER: 0
; COMPUTE_PGM_RSRC2:TGID_X_EN: 1
; COMPUTE_PGM_RSRC2:TGID_Y_EN: 0
; COMPUTE_PGM_RSRC2:TGID_Z_EN: 0
; COMPUTE_PGM_RSRC2:TIDIG_COMP_CNT: 0
	.section	.text._ZN7rocprim17ROCPRIM_400000_NS6detail17trampoline_kernelINS0_14default_configENS1_38merge_sort_block_merge_config_selectorIyNS0_10empty_typeEEEZZNS1_27merge_sort_block_merge_implIS3_N6thrust23THRUST_200600_302600_NS6detail15normal_iteratorINS9_10device_ptrIyEEEEPS5_m11less_div_10IyEEE10hipError_tT0_T1_T2_jT3_P12ihipStream_tbPNSt15iterator_traitsISJ_E10value_typeEPNSP_ISK_E10value_typeEPSL_NS1_7vsmem_tEENKUlT_SJ_SK_SL_E_clIPySE_SF_SF_EESI_SY_SJ_SK_SL_EUlSY_E_NS1_11comp_targetILNS1_3genE4ELNS1_11target_archE910ELNS1_3gpuE8ELNS1_3repE0EEENS1_48merge_mergepath_partition_config_static_selectorELNS0_4arch9wavefront6targetE0EEEvSK_,"axG",@progbits,_ZN7rocprim17ROCPRIM_400000_NS6detail17trampoline_kernelINS0_14default_configENS1_38merge_sort_block_merge_config_selectorIyNS0_10empty_typeEEEZZNS1_27merge_sort_block_merge_implIS3_N6thrust23THRUST_200600_302600_NS6detail15normal_iteratorINS9_10device_ptrIyEEEEPS5_m11less_div_10IyEEE10hipError_tT0_T1_T2_jT3_P12ihipStream_tbPNSt15iterator_traitsISJ_E10value_typeEPNSP_ISK_E10value_typeEPSL_NS1_7vsmem_tEENKUlT_SJ_SK_SL_E_clIPySE_SF_SF_EESI_SY_SJ_SK_SL_EUlSY_E_NS1_11comp_targetILNS1_3genE4ELNS1_11target_archE910ELNS1_3gpuE8ELNS1_3repE0EEENS1_48merge_mergepath_partition_config_static_selectorELNS0_4arch9wavefront6targetE0EEEvSK_,comdat
	.protected	_ZN7rocprim17ROCPRIM_400000_NS6detail17trampoline_kernelINS0_14default_configENS1_38merge_sort_block_merge_config_selectorIyNS0_10empty_typeEEEZZNS1_27merge_sort_block_merge_implIS3_N6thrust23THRUST_200600_302600_NS6detail15normal_iteratorINS9_10device_ptrIyEEEEPS5_m11less_div_10IyEEE10hipError_tT0_T1_T2_jT3_P12ihipStream_tbPNSt15iterator_traitsISJ_E10value_typeEPNSP_ISK_E10value_typeEPSL_NS1_7vsmem_tEENKUlT_SJ_SK_SL_E_clIPySE_SF_SF_EESI_SY_SJ_SK_SL_EUlSY_E_NS1_11comp_targetILNS1_3genE4ELNS1_11target_archE910ELNS1_3gpuE8ELNS1_3repE0EEENS1_48merge_mergepath_partition_config_static_selectorELNS0_4arch9wavefront6targetE0EEEvSK_ ; -- Begin function _ZN7rocprim17ROCPRIM_400000_NS6detail17trampoline_kernelINS0_14default_configENS1_38merge_sort_block_merge_config_selectorIyNS0_10empty_typeEEEZZNS1_27merge_sort_block_merge_implIS3_N6thrust23THRUST_200600_302600_NS6detail15normal_iteratorINS9_10device_ptrIyEEEEPS5_m11less_div_10IyEEE10hipError_tT0_T1_T2_jT3_P12ihipStream_tbPNSt15iterator_traitsISJ_E10value_typeEPNSP_ISK_E10value_typeEPSL_NS1_7vsmem_tEENKUlT_SJ_SK_SL_E_clIPySE_SF_SF_EESI_SY_SJ_SK_SL_EUlSY_E_NS1_11comp_targetILNS1_3genE4ELNS1_11target_archE910ELNS1_3gpuE8ELNS1_3repE0EEENS1_48merge_mergepath_partition_config_static_selectorELNS0_4arch9wavefront6targetE0EEEvSK_
	.globl	_ZN7rocprim17ROCPRIM_400000_NS6detail17trampoline_kernelINS0_14default_configENS1_38merge_sort_block_merge_config_selectorIyNS0_10empty_typeEEEZZNS1_27merge_sort_block_merge_implIS3_N6thrust23THRUST_200600_302600_NS6detail15normal_iteratorINS9_10device_ptrIyEEEEPS5_m11less_div_10IyEEE10hipError_tT0_T1_T2_jT3_P12ihipStream_tbPNSt15iterator_traitsISJ_E10value_typeEPNSP_ISK_E10value_typeEPSL_NS1_7vsmem_tEENKUlT_SJ_SK_SL_E_clIPySE_SF_SF_EESI_SY_SJ_SK_SL_EUlSY_E_NS1_11comp_targetILNS1_3genE4ELNS1_11target_archE910ELNS1_3gpuE8ELNS1_3repE0EEENS1_48merge_mergepath_partition_config_static_selectorELNS0_4arch9wavefront6targetE0EEEvSK_
	.p2align	8
	.type	_ZN7rocprim17ROCPRIM_400000_NS6detail17trampoline_kernelINS0_14default_configENS1_38merge_sort_block_merge_config_selectorIyNS0_10empty_typeEEEZZNS1_27merge_sort_block_merge_implIS3_N6thrust23THRUST_200600_302600_NS6detail15normal_iteratorINS9_10device_ptrIyEEEEPS5_m11less_div_10IyEEE10hipError_tT0_T1_T2_jT3_P12ihipStream_tbPNSt15iterator_traitsISJ_E10value_typeEPNSP_ISK_E10value_typeEPSL_NS1_7vsmem_tEENKUlT_SJ_SK_SL_E_clIPySE_SF_SF_EESI_SY_SJ_SK_SL_EUlSY_E_NS1_11comp_targetILNS1_3genE4ELNS1_11target_archE910ELNS1_3gpuE8ELNS1_3repE0EEENS1_48merge_mergepath_partition_config_static_selectorELNS0_4arch9wavefront6targetE0EEEvSK_,@function
_ZN7rocprim17ROCPRIM_400000_NS6detail17trampoline_kernelINS0_14default_configENS1_38merge_sort_block_merge_config_selectorIyNS0_10empty_typeEEEZZNS1_27merge_sort_block_merge_implIS3_N6thrust23THRUST_200600_302600_NS6detail15normal_iteratorINS9_10device_ptrIyEEEEPS5_m11less_div_10IyEEE10hipError_tT0_T1_T2_jT3_P12ihipStream_tbPNSt15iterator_traitsISJ_E10value_typeEPNSP_ISK_E10value_typeEPSL_NS1_7vsmem_tEENKUlT_SJ_SK_SL_E_clIPySE_SF_SF_EESI_SY_SJ_SK_SL_EUlSY_E_NS1_11comp_targetILNS1_3genE4ELNS1_11target_archE910ELNS1_3gpuE8ELNS1_3repE0EEENS1_48merge_mergepath_partition_config_static_selectorELNS0_4arch9wavefront6targetE0EEEvSK_: ; @_ZN7rocprim17ROCPRIM_400000_NS6detail17trampoline_kernelINS0_14default_configENS1_38merge_sort_block_merge_config_selectorIyNS0_10empty_typeEEEZZNS1_27merge_sort_block_merge_implIS3_N6thrust23THRUST_200600_302600_NS6detail15normal_iteratorINS9_10device_ptrIyEEEEPS5_m11less_div_10IyEEE10hipError_tT0_T1_T2_jT3_P12ihipStream_tbPNSt15iterator_traitsISJ_E10value_typeEPNSP_ISK_E10value_typeEPSL_NS1_7vsmem_tEENKUlT_SJ_SK_SL_E_clIPySE_SF_SF_EESI_SY_SJ_SK_SL_EUlSY_E_NS1_11comp_targetILNS1_3genE4ELNS1_11target_archE910ELNS1_3gpuE8ELNS1_3repE0EEENS1_48merge_mergepath_partition_config_static_selectorELNS0_4arch9wavefront6targetE0EEEvSK_
; %bb.0:
	.section	.rodata,"a",@progbits
	.p2align	6, 0x0
	.amdhsa_kernel _ZN7rocprim17ROCPRIM_400000_NS6detail17trampoline_kernelINS0_14default_configENS1_38merge_sort_block_merge_config_selectorIyNS0_10empty_typeEEEZZNS1_27merge_sort_block_merge_implIS3_N6thrust23THRUST_200600_302600_NS6detail15normal_iteratorINS9_10device_ptrIyEEEEPS5_m11less_div_10IyEEE10hipError_tT0_T1_T2_jT3_P12ihipStream_tbPNSt15iterator_traitsISJ_E10value_typeEPNSP_ISK_E10value_typeEPSL_NS1_7vsmem_tEENKUlT_SJ_SK_SL_E_clIPySE_SF_SF_EESI_SY_SJ_SK_SL_EUlSY_E_NS1_11comp_targetILNS1_3genE4ELNS1_11target_archE910ELNS1_3gpuE8ELNS1_3repE0EEENS1_48merge_mergepath_partition_config_static_selectorELNS0_4arch9wavefront6targetE0EEEvSK_
		.amdhsa_group_segment_fixed_size 0
		.amdhsa_private_segment_fixed_size 0
		.amdhsa_kernarg_size 48
		.amdhsa_user_sgpr_count 6
		.amdhsa_user_sgpr_private_segment_buffer 1
		.amdhsa_user_sgpr_dispatch_ptr 0
		.amdhsa_user_sgpr_queue_ptr 0
		.amdhsa_user_sgpr_kernarg_segment_ptr 1
		.amdhsa_user_sgpr_dispatch_id 0
		.amdhsa_user_sgpr_flat_scratch_init 0
		.amdhsa_user_sgpr_private_segment_size 0
		.amdhsa_wavefront_size32 1
		.amdhsa_uses_dynamic_stack 0
		.amdhsa_system_sgpr_private_segment_wavefront_offset 0
		.amdhsa_system_sgpr_workgroup_id_x 1
		.amdhsa_system_sgpr_workgroup_id_y 0
		.amdhsa_system_sgpr_workgroup_id_z 0
		.amdhsa_system_sgpr_workgroup_info 0
		.amdhsa_system_vgpr_workitem_id 0
		.amdhsa_next_free_vgpr 1
		.amdhsa_next_free_sgpr 1
		.amdhsa_reserve_vcc 0
		.amdhsa_reserve_flat_scratch 0
		.amdhsa_float_round_mode_32 0
		.amdhsa_float_round_mode_16_64 0
		.amdhsa_float_denorm_mode_32 3
		.amdhsa_float_denorm_mode_16_64 3
		.amdhsa_dx10_clamp 1
		.amdhsa_ieee_mode 1
		.amdhsa_fp16_overflow 0
		.amdhsa_workgroup_processor_mode 1
		.amdhsa_memory_ordered 1
		.amdhsa_forward_progress 1
		.amdhsa_shared_vgpr_count 0
		.amdhsa_exception_fp_ieee_invalid_op 0
		.amdhsa_exception_fp_denorm_src 0
		.amdhsa_exception_fp_ieee_div_zero 0
		.amdhsa_exception_fp_ieee_overflow 0
		.amdhsa_exception_fp_ieee_underflow 0
		.amdhsa_exception_fp_ieee_inexact 0
		.amdhsa_exception_int_div_zero 0
	.end_amdhsa_kernel
	.section	.text._ZN7rocprim17ROCPRIM_400000_NS6detail17trampoline_kernelINS0_14default_configENS1_38merge_sort_block_merge_config_selectorIyNS0_10empty_typeEEEZZNS1_27merge_sort_block_merge_implIS3_N6thrust23THRUST_200600_302600_NS6detail15normal_iteratorINS9_10device_ptrIyEEEEPS5_m11less_div_10IyEEE10hipError_tT0_T1_T2_jT3_P12ihipStream_tbPNSt15iterator_traitsISJ_E10value_typeEPNSP_ISK_E10value_typeEPSL_NS1_7vsmem_tEENKUlT_SJ_SK_SL_E_clIPySE_SF_SF_EESI_SY_SJ_SK_SL_EUlSY_E_NS1_11comp_targetILNS1_3genE4ELNS1_11target_archE910ELNS1_3gpuE8ELNS1_3repE0EEENS1_48merge_mergepath_partition_config_static_selectorELNS0_4arch9wavefront6targetE0EEEvSK_,"axG",@progbits,_ZN7rocprim17ROCPRIM_400000_NS6detail17trampoline_kernelINS0_14default_configENS1_38merge_sort_block_merge_config_selectorIyNS0_10empty_typeEEEZZNS1_27merge_sort_block_merge_implIS3_N6thrust23THRUST_200600_302600_NS6detail15normal_iteratorINS9_10device_ptrIyEEEEPS5_m11less_div_10IyEEE10hipError_tT0_T1_T2_jT3_P12ihipStream_tbPNSt15iterator_traitsISJ_E10value_typeEPNSP_ISK_E10value_typeEPSL_NS1_7vsmem_tEENKUlT_SJ_SK_SL_E_clIPySE_SF_SF_EESI_SY_SJ_SK_SL_EUlSY_E_NS1_11comp_targetILNS1_3genE4ELNS1_11target_archE910ELNS1_3gpuE8ELNS1_3repE0EEENS1_48merge_mergepath_partition_config_static_selectorELNS0_4arch9wavefront6targetE0EEEvSK_,comdat
.Lfunc_end27:
	.size	_ZN7rocprim17ROCPRIM_400000_NS6detail17trampoline_kernelINS0_14default_configENS1_38merge_sort_block_merge_config_selectorIyNS0_10empty_typeEEEZZNS1_27merge_sort_block_merge_implIS3_N6thrust23THRUST_200600_302600_NS6detail15normal_iteratorINS9_10device_ptrIyEEEEPS5_m11less_div_10IyEEE10hipError_tT0_T1_T2_jT3_P12ihipStream_tbPNSt15iterator_traitsISJ_E10value_typeEPNSP_ISK_E10value_typeEPSL_NS1_7vsmem_tEENKUlT_SJ_SK_SL_E_clIPySE_SF_SF_EESI_SY_SJ_SK_SL_EUlSY_E_NS1_11comp_targetILNS1_3genE4ELNS1_11target_archE910ELNS1_3gpuE8ELNS1_3repE0EEENS1_48merge_mergepath_partition_config_static_selectorELNS0_4arch9wavefront6targetE0EEEvSK_, .Lfunc_end27-_ZN7rocprim17ROCPRIM_400000_NS6detail17trampoline_kernelINS0_14default_configENS1_38merge_sort_block_merge_config_selectorIyNS0_10empty_typeEEEZZNS1_27merge_sort_block_merge_implIS3_N6thrust23THRUST_200600_302600_NS6detail15normal_iteratorINS9_10device_ptrIyEEEEPS5_m11less_div_10IyEEE10hipError_tT0_T1_T2_jT3_P12ihipStream_tbPNSt15iterator_traitsISJ_E10value_typeEPNSP_ISK_E10value_typeEPSL_NS1_7vsmem_tEENKUlT_SJ_SK_SL_E_clIPySE_SF_SF_EESI_SY_SJ_SK_SL_EUlSY_E_NS1_11comp_targetILNS1_3genE4ELNS1_11target_archE910ELNS1_3gpuE8ELNS1_3repE0EEENS1_48merge_mergepath_partition_config_static_selectorELNS0_4arch9wavefront6targetE0EEEvSK_
                                        ; -- End function
	.set _ZN7rocprim17ROCPRIM_400000_NS6detail17trampoline_kernelINS0_14default_configENS1_38merge_sort_block_merge_config_selectorIyNS0_10empty_typeEEEZZNS1_27merge_sort_block_merge_implIS3_N6thrust23THRUST_200600_302600_NS6detail15normal_iteratorINS9_10device_ptrIyEEEEPS5_m11less_div_10IyEEE10hipError_tT0_T1_T2_jT3_P12ihipStream_tbPNSt15iterator_traitsISJ_E10value_typeEPNSP_ISK_E10value_typeEPSL_NS1_7vsmem_tEENKUlT_SJ_SK_SL_E_clIPySE_SF_SF_EESI_SY_SJ_SK_SL_EUlSY_E_NS1_11comp_targetILNS1_3genE4ELNS1_11target_archE910ELNS1_3gpuE8ELNS1_3repE0EEENS1_48merge_mergepath_partition_config_static_selectorELNS0_4arch9wavefront6targetE0EEEvSK_.num_vgpr, 0
	.set _ZN7rocprim17ROCPRIM_400000_NS6detail17trampoline_kernelINS0_14default_configENS1_38merge_sort_block_merge_config_selectorIyNS0_10empty_typeEEEZZNS1_27merge_sort_block_merge_implIS3_N6thrust23THRUST_200600_302600_NS6detail15normal_iteratorINS9_10device_ptrIyEEEEPS5_m11less_div_10IyEEE10hipError_tT0_T1_T2_jT3_P12ihipStream_tbPNSt15iterator_traitsISJ_E10value_typeEPNSP_ISK_E10value_typeEPSL_NS1_7vsmem_tEENKUlT_SJ_SK_SL_E_clIPySE_SF_SF_EESI_SY_SJ_SK_SL_EUlSY_E_NS1_11comp_targetILNS1_3genE4ELNS1_11target_archE910ELNS1_3gpuE8ELNS1_3repE0EEENS1_48merge_mergepath_partition_config_static_selectorELNS0_4arch9wavefront6targetE0EEEvSK_.num_agpr, 0
	.set _ZN7rocprim17ROCPRIM_400000_NS6detail17trampoline_kernelINS0_14default_configENS1_38merge_sort_block_merge_config_selectorIyNS0_10empty_typeEEEZZNS1_27merge_sort_block_merge_implIS3_N6thrust23THRUST_200600_302600_NS6detail15normal_iteratorINS9_10device_ptrIyEEEEPS5_m11less_div_10IyEEE10hipError_tT0_T1_T2_jT3_P12ihipStream_tbPNSt15iterator_traitsISJ_E10value_typeEPNSP_ISK_E10value_typeEPSL_NS1_7vsmem_tEENKUlT_SJ_SK_SL_E_clIPySE_SF_SF_EESI_SY_SJ_SK_SL_EUlSY_E_NS1_11comp_targetILNS1_3genE4ELNS1_11target_archE910ELNS1_3gpuE8ELNS1_3repE0EEENS1_48merge_mergepath_partition_config_static_selectorELNS0_4arch9wavefront6targetE0EEEvSK_.numbered_sgpr, 0
	.set _ZN7rocprim17ROCPRIM_400000_NS6detail17trampoline_kernelINS0_14default_configENS1_38merge_sort_block_merge_config_selectorIyNS0_10empty_typeEEEZZNS1_27merge_sort_block_merge_implIS3_N6thrust23THRUST_200600_302600_NS6detail15normal_iteratorINS9_10device_ptrIyEEEEPS5_m11less_div_10IyEEE10hipError_tT0_T1_T2_jT3_P12ihipStream_tbPNSt15iterator_traitsISJ_E10value_typeEPNSP_ISK_E10value_typeEPSL_NS1_7vsmem_tEENKUlT_SJ_SK_SL_E_clIPySE_SF_SF_EESI_SY_SJ_SK_SL_EUlSY_E_NS1_11comp_targetILNS1_3genE4ELNS1_11target_archE910ELNS1_3gpuE8ELNS1_3repE0EEENS1_48merge_mergepath_partition_config_static_selectorELNS0_4arch9wavefront6targetE0EEEvSK_.num_named_barrier, 0
	.set _ZN7rocprim17ROCPRIM_400000_NS6detail17trampoline_kernelINS0_14default_configENS1_38merge_sort_block_merge_config_selectorIyNS0_10empty_typeEEEZZNS1_27merge_sort_block_merge_implIS3_N6thrust23THRUST_200600_302600_NS6detail15normal_iteratorINS9_10device_ptrIyEEEEPS5_m11less_div_10IyEEE10hipError_tT0_T1_T2_jT3_P12ihipStream_tbPNSt15iterator_traitsISJ_E10value_typeEPNSP_ISK_E10value_typeEPSL_NS1_7vsmem_tEENKUlT_SJ_SK_SL_E_clIPySE_SF_SF_EESI_SY_SJ_SK_SL_EUlSY_E_NS1_11comp_targetILNS1_3genE4ELNS1_11target_archE910ELNS1_3gpuE8ELNS1_3repE0EEENS1_48merge_mergepath_partition_config_static_selectorELNS0_4arch9wavefront6targetE0EEEvSK_.private_seg_size, 0
	.set _ZN7rocprim17ROCPRIM_400000_NS6detail17trampoline_kernelINS0_14default_configENS1_38merge_sort_block_merge_config_selectorIyNS0_10empty_typeEEEZZNS1_27merge_sort_block_merge_implIS3_N6thrust23THRUST_200600_302600_NS6detail15normal_iteratorINS9_10device_ptrIyEEEEPS5_m11less_div_10IyEEE10hipError_tT0_T1_T2_jT3_P12ihipStream_tbPNSt15iterator_traitsISJ_E10value_typeEPNSP_ISK_E10value_typeEPSL_NS1_7vsmem_tEENKUlT_SJ_SK_SL_E_clIPySE_SF_SF_EESI_SY_SJ_SK_SL_EUlSY_E_NS1_11comp_targetILNS1_3genE4ELNS1_11target_archE910ELNS1_3gpuE8ELNS1_3repE0EEENS1_48merge_mergepath_partition_config_static_selectorELNS0_4arch9wavefront6targetE0EEEvSK_.uses_vcc, 0
	.set _ZN7rocprim17ROCPRIM_400000_NS6detail17trampoline_kernelINS0_14default_configENS1_38merge_sort_block_merge_config_selectorIyNS0_10empty_typeEEEZZNS1_27merge_sort_block_merge_implIS3_N6thrust23THRUST_200600_302600_NS6detail15normal_iteratorINS9_10device_ptrIyEEEEPS5_m11less_div_10IyEEE10hipError_tT0_T1_T2_jT3_P12ihipStream_tbPNSt15iterator_traitsISJ_E10value_typeEPNSP_ISK_E10value_typeEPSL_NS1_7vsmem_tEENKUlT_SJ_SK_SL_E_clIPySE_SF_SF_EESI_SY_SJ_SK_SL_EUlSY_E_NS1_11comp_targetILNS1_3genE4ELNS1_11target_archE910ELNS1_3gpuE8ELNS1_3repE0EEENS1_48merge_mergepath_partition_config_static_selectorELNS0_4arch9wavefront6targetE0EEEvSK_.uses_flat_scratch, 0
	.set _ZN7rocprim17ROCPRIM_400000_NS6detail17trampoline_kernelINS0_14default_configENS1_38merge_sort_block_merge_config_selectorIyNS0_10empty_typeEEEZZNS1_27merge_sort_block_merge_implIS3_N6thrust23THRUST_200600_302600_NS6detail15normal_iteratorINS9_10device_ptrIyEEEEPS5_m11less_div_10IyEEE10hipError_tT0_T1_T2_jT3_P12ihipStream_tbPNSt15iterator_traitsISJ_E10value_typeEPNSP_ISK_E10value_typeEPSL_NS1_7vsmem_tEENKUlT_SJ_SK_SL_E_clIPySE_SF_SF_EESI_SY_SJ_SK_SL_EUlSY_E_NS1_11comp_targetILNS1_3genE4ELNS1_11target_archE910ELNS1_3gpuE8ELNS1_3repE0EEENS1_48merge_mergepath_partition_config_static_selectorELNS0_4arch9wavefront6targetE0EEEvSK_.has_dyn_sized_stack, 0
	.set _ZN7rocprim17ROCPRIM_400000_NS6detail17trampoline_kernelINS0_14default_configENS1_38merge_sort_block_merge_config_selectorIyNS0_10empty_typeEEEZZNS1_27merge_sort_block_merge_implIS3_N6thrust23THRUST_200600_302600_NS6detail15normal_iteratorINS9_10device_ptrIyEEEEPS5_m11less_div_10IyEEE10hipError_tT0_T1_T2_jT3_P12ihipStream_tbPNSt15iterator_traitsISJ_E10value_typeEPNSP_ISK_E10value_typeEPSL_NS1_7vsmem_tEENKUlT_SJ_SK_SL_E_clIPySE_SF_SF_EESI_SY_SJ_SK_SL_EUlSY_E_NS1_11comp_targetILNS1_3genE4ELNS1_11target_archE910ELNS1_3gpuE8ELNS1_3repE0EEENS1_48merge_mergepath_partition_config_static_selectorELNS0_4arch9wavefront6targetE0EEEvSK_.has_recursion, 0
	.set _ZN7rocprim17ROCPRIM_400000_NS6detail17trampoline_kernelINS0_14default_configENS1_38merge_sort_block_merge_config_selectorIyNS0_10empty_typeEEEZZNS1_27merge_sort_block_merge_implIS3_N6thrust23THRUST_200600_302600_NS6detail15normal_iteratorINS9_10device_ptrIyEEEEPS5_m11less_div_10IyEEE10hipError_tT0_T1_T2_jT3_P12ihipStream_tbPNSt15iterator_traitsISJ_E10value_typeEPNSP_ISK_E10value_typeEPSL_NS1_7vsmem_tEENKUlT_SJ_SK_SL_E_clIPySE_SF_SF_EESI_SY_SJ_SK_SL_EUlSY_E_NS1_11comp_targetILNS1_3genE4ELNS1_11target_archE910ELNS1_3gpuE8ELNS1_3repE0EEENS1_48merge_mergepath_partition_config_static_selectorELNS0_4arch9wavefront6targetE0EEEvSK_.has_indirect_call, 0
	.section	.AMDGPU.csdata,"",@progbits
; Kernel info:
; codeLenInByte = 0
; TotalNumSgprs: 0
; NumVgprs: 0
; ScratchSize: 0
; MemoryBound: 0
; FloatMode: 240
; IeeeMode: 1
; LDSByteSize: 0 bytes/workgroup (compile time only)
; SGPRBlocks: 0
; VGPRBlocks: 0
; NumSGPRsForWavesPerEU: 1
; NumVGPRsForWavesPerEU: 1
; Occupancy: 16
; WaveLimiterHint : 0
; COMPUTE_PGM_RSRC2:SCRATCH_EN: 0
; COMPUTE_PGM_RSRC2:USER_SGPR: 6
; COMPUTE_PGM_RSRC2:TRAP_HANDLER: 0
; COMPUTE_PGM_RSRC2:TGID_X_EN: 1
; COMPUTE_PGM_RSRC2:TGID_Y_EN: 0
; COMPUTE_PGM_RSRC2:TGID_Z_EN: 0
; COMPUTE_PGM_RSRC2:TIDIG_COMP_CNT: 0
	.section	.text._ZN7rocprim17ROCPRIM_400000_NS6detail17trampoline_kernelINS0_14default_configENS1_38merge_sort_block_merge_config_selectorIyNS0_10empty_typeEEEZZNS1_27merge_sort_block_merge_implIS3_N6thrust23THRUST_200600_302600_NS6detail15normal_iteratorINS9_10device_ptrIyEEEEPS5_m11less_div_10IyEEE10hipError_tT0_T1_T2_jT3_P12ihipStream_tbPNSt15iterator_traitsISJ_E10value_typeEPNSP_ISK_E10value_typeEPSL_NS1_7vsmem_tEENKUlT_SJ_SK_SL_E_clIPySE_SF_SF_EESI_SY_SJ_SK_SL_EUlSY_E_NS1_11comp_targetILNS1_3genE3ELNS1_11target_archE908ELNS1_3gpuE7ELNS1_3repE0EEENS1_48merge_mergepath_partition_config_static_selectorELNS0_4arch9wavefront6targetE0EEEvSK_,"axG",@progbits,_ZN7rocprim17ROCPRIM_400000_NS6detail17trampoline_kernelINS0_14default_configENS1_38merge_sort_block_merge_config_selectorIyNS0_10empty_typeEEEZZNS1_27merge_sort_block_merge_implIS3_N6thrust23THRUST_200600_302600_NS6detail15normal_iteratorINS9_10device_ptrIyEEEEPS5_m11less_div_10IyEEE10hipError_tT0_T1_T2_jT3_P12ihipStream_tbPNSt15iterator_traitsISJ_E10value_typeEPNSP_ISK_E10value_typeEPSL_NS1_7vsmem_tEENKUlT_SJ_SK_SL_E_clIPySE_SF_SF_EESI_SY_SJ_SK_SL_EUlSY_E_NS1_11comp_targetILNS1_3genE3ELNS1_11target_archE908ELNS1_3gpuE7ELNS1_3repE0EEENS1_48merge_mergepath_partition_config_static_selectorELNS0_4arch9wavefront6targetE0EEEvSK_,comdat
	.protected	_ZN7rocprim17ROCPRIM_400000_NS6detail17trampoline_kernelINS0_14default_configENS1_38merge_sort_block_merge_config_selectorIyNS0_10empty_typeEEEZZNS1_27merge_sort_block_merge_implIS3_N6thrust23THRUST_200600_302600_NS6detail15normal_iteratorINS9_10device_ptrIyEEEEPS5_m11less_div_10IyEEE10hipError_tT0_T1_T2_jT3_P12ihipStream_tbPNSt15iterator_traitsISJ_E10value_typeEPNSP_ISK_E10value_typeEPSL_NS1_7vsmem_tEENKUlT_SJ_SK_SL_E_clIPySE_SF_SF_EESI_SY_SJ_SK_SL_EUlSY_E_NS1_11comp_targetILNS1_3genE3ELNS1_11target_archE908ELNS1_3gpuE7ELNS1_3repE0EEENS1_48merge_mergepath_partition_config_static_selectorELNS0_4arch9wavefront6targetE0EEEvSK_ ; -- Begin function _ZN7rocprim17ROCPRIM_400000_NS6detail17trampoline_kernelINS0_14default_configENS1_38merge_sort_block_merge_config_selectorIyNS0_10empty_typeEEEZZNS1_27merge_sort_block_merge_implIS3_N6thrust23THRUST_200600_302600_NS6detail15normal_iteratorINS9_10device_ptrIyEEEEPS5_m11less_div_10IyEEE10hipError_tT0_T1_T2_jT3_P12ihipStream_tbPNSt15iterator_traitsISJ_E10value_typeEPNSP_ISK_E10value_typeEPSL_NS1_7vsmem_tEENKUlT_SJ_SK_SL_E_clIPySE_SF_SF_EESI_SY_SJ_SK_SL_EUlSY_E_NS1_11comp_targetILNS1_3genE3ELNS1_11target_archE908ELNS1_3gpuE7ELNS1_3repE0EEENS1_48merge_mergepath_partition_config_static_selectorELNS0_4arch9wavefront6targetE0EEEvSK_
	.globl	_ZN7rocprim17ROCPRIM_400000_NS6detail17trampoline_kernelINS0_14default_configENS1_38merge_sort_block_merge_config_selectorIyNS0_10empty_typeEEEZZNS1_27merge_sort_block_merge_implIS3_N6thrust23THRUST_200600_302600_NS6detail15normal_iteratorINS9_10device_ptrIyEEEEPS5_m11less_div_10IyEEE10hipError_tT0_T1_T2_jT3_P12ihipStream_tbPNSt15iterator_traitsISJ_E10value_typeEPNSP_ISK_E10value_typeEPSL_NS1_7vsmem_tEENKUlT_SJ_SK_SL_E_clIPySE_SF_SF_EESI_SY_SJ_SK_SL_EUlSY_E_NS1_11comp_targetILNS1_3genE3ELNS1_11target_archE908ELNS1_3gpuE7ELNS1_3repE0EEENS1_48merge_mergepath_partition_config_static_selectorELNS0_4arch9wavefront6targetE0EEEvSK_
	.p2align	8
	.type	_ZN7rocprim17ROCPRIM_400000_NS6detail17trampoline_kernelINS0_14default_configENS1_38merge_sort_block_merge_config_selectorIyNS0_10empty_typeEEEZZNS1_27merge_sort_block_merge_implIS3_N6thrust23THRUST_200600_302600_NS6detail15normal_iteratorINS9_10device_ptrIyEEEEPS5_m11less_div_10IyEEE10hipError_tT0_T1_T2_jT3_P12ihipStream_tbPNSt15iterator_traitsISJ_E10value_typeEPNSP_ISK_E10value_typeEPSL_NS1_7vsmem_tEENKUlT_SJ_SK_SL_E_clIPySE_SF_SF_EESI_SY_SJ_SK_SL_EUlSY_E_NS1_11comp_targetILNS1_3genE3ELNS1_11target_archE908ELNS1_3gpuE7ELNS1_3repE0EEENS1_48merge_mergepath_partition_config_static_selectorELNS0_4arch9wavefront6targetE0EEEvSK_,@function
_ZN7rocprim17ROCPRIM_400000_NS6detail17trampoline_kernelINS0_14default_configENS1_38merge_sort_block_merge_config_selectorIyNS0_10empty_typeEEEZZNS1_27merge_sort_block_merge_implIS3_N6thrust23THRUST_200600_302600_NS6detail15normal_iteratorINS9_10device_ptrIyEEEEPS5_m11less_div_10IyEEE10hipError_tT0_T1_T2_jT3_P12ihipStream_tbPNSt15iterator_traitsISJ_E10value_typeEPNSP_ISK_E10value_typeEPSL_NS1_7vsmem_tEENKUlT_SJ_SK_SL_E_clIPySE_SF_SF_EESI_SY_SJ_SK_SL_EUlSY_E_NS1_11comp_targetILNS1_3genE3ELNS1_11target_archE908ELNS1_3gpuE7ELNS1_3repE0EEENS1_48merge_mergepath_partition_config_static_selectorELNS0_4arch9wavefront6targetE0EEEvSK_: ; @_ZN7rocprim17ROCPRIM_400000_NS6detail17trampoline_kernelINS0_14default_configENS1_38merge_sort_block_merge_config_selectorIyNS0_10empty_typeEEEZZNS1_27merge_sort_block_merge_implIS3_N6thrust23THRUST_200600_302600_NS6detail15normal_iteratorINS9_10device_ptrIyEEEEPS5_m11less_div_10IyEEE10hipError_tT0_T1_T2_jT3_P12ihipStream_tbPNSt15iterator_traitsISJ_E10value_typeEPNSP_ISK_E10value_typeEPSL_NS1_7vsmem_tEENKUlT_SJ_SK_SL_E_clIPySE_SF_SF_EESI_SY_SJ_SK_SL_EUlSY_E_NS1_11comp_targetILNS1_3genE3ELNS1_11target_archE908ELNS1_3gpuE7ELNS1_3repE0EEENS1_48merge_mergepath_partition_config_static_selectorELNS0_4arch9wavefront6targetE0EEEvSK_
; %bb.0:
	.section	.rodata,"a",@progbits
	.p2align	6, 0x0
	.amdhsa_kernel _ZN7rocprim17ROCPRIM_400000_NS6detail17trampoline_kernelINS0_14default_configENS1_38merge_sort_block_merge_config_selectorIyNS0_10empty_typeEEEZZNS1_27merge_sort_block_merge_implIS3_N6thrust23THRUST_200600_302600_NS6detail15normal_iteratorINS9_10device_ptrIyEEEEPS5_m11less_div_10IyEEE10hipError_tT0_T1_T2_jT3_P12ihipStream_tbPNSt15iterator_traitsISJ_E10value_typeEPNSP_ISK_E10value_typeEPSL_NS1_7vsmem_tEENKUlT_SJ_SK_SL_E_clIPySE_SF_SF_EESI_SY_SJ_SK_SL_EUlSY_E_NS1_11comp_targetILNS1_3genE3ELNS1_11target_archE908ELNS1_3gpuE7ELNS1_3repE0EEENS1_48merge_mergepath_partition_config_static_selectorELNS0_4arch9wavefront6targetE0EEEvSK_
		.amdhsa_group_segment_fixed_size 0
		.amdhsa_private_segment_fixed_size 0
		.amdhsa_kernarg_size 48
		.amdhsa_user_sgpr_count 6
		.amdhsa_user_sgpr_private_segment_buffer 1
		.amdhsa_user_sgpr_dispatch_ptr 0
		.amdhsa_user_sgpr_queue_ptr 0
		.amdhsa_user_sgpr_kernarg_segment_ptr 1
		.amdhsa_user_sgpr_dispatch_id 0
		.amdhsa_user_sgpr_flat_scratch_init 0
		.amdhsa_user_sgpr_private_segment_size 0
		.amdhsa_wavefront_size32 1
		.amdhsa_uses_dynamic_stack 0
		.amdhsa_system_sgpr_private_segment_wavefront_offset 0
		.amdhsa_system_sgpr_workgroup_id_x 1
		.amdhsa_system_sgpr_workgroup_id_y 0
		.amdhsa_system_sgpr_workgroup_id_z 0
		.amdhsa_system_sgpr_workgroup_info 0
		.amdhsa_system_vgpr_workitem_id 0
		.amdhsa_next_free_vgpr 1
		.amdhsa_next_free_sgpr 1
		.amdhsa_reserve_vcc 0
		.amdhsa_reserve_flat_scratch 0
		.amdhsa_float_round_mode_32 0
		.amdhsa_float_round_mode_16_64 0
		.amdhsa_float_denorm_mode_32 3
		.amdhsa_float_denorm_mode_16_64 3
		.amdhsa_dx10_clamp 1
		.amdhsa_ieee_mode 1
		.amdhsa_fp16_overflow 0
		.amdhsa_workgroup_processor_mode 1
		.amdhsa_memory_ordered 1
		.amdhsa_forward_progress 1
		.amdhsa_shared_vgpr_count 0
		.amdhsa_exception_fp_ieee_invalid_op 0
		.amdhsa_exception_fp_denorm_src 0
		.amdhsa_exception_fp_ieee_div_zero 0
		.amdhsa_exception_fp_ieee_overflow 0
		.amdhsa_exception_fp_ieee_underflow 0
		.amdhsa_exception_fp_ieee_inexact 0
		.amdhsa_exception_int_div_zero 0
	.end_amdhsa_kernel
	.section	.text._ZN7rocprim17ROCPRIM_400000_NS6detail17trampoline_kernelINS0_14default_configENS1_38merge_sort_block_merge_config_selectorIyNS0_10empty_typeEEEZZNS1_27merge_sort_block_merge_implIS3_N6thrust23THRUST_200600_302600_NS6detail15normal_iteratorINS9_10device_ptrIyEEEEPS5_m11less_div_10IyEEE10hipError_tT0_T1_T2_jT3_P12ihipStream_tbPNSt15iterator_traitsISJ_E10value_typeEPNSP_ISK_E10value_typeEPSL_NS1_7vsmem_tEENKUlT_SJ_SK_SL_E_clIPySE_SF_SF_EESI_SY_SJ_SK_SL_EUlSY_E_NS1_11comp_targetILNS1_3genE3ELNS1_11target_archE908ELNS1_3gpuE7ELNS1_3repE0EEENS1_48merge_mergepath_partition_config_static_selectorELNS0_4arch9wavefront6targetE0EEEvSK_,"axG",@progbits,_ZN7rocprim17ROCPRIM_400000_NS6detail17trampoline_kernelINS0_14default_configENS1_38merge_sort_block_merge_config_selectorIyNS0_10empty_typeEEEZZNS1_27merge_sort_block_merge_implIS3_N6thrust23THRUST_200600_302600_NS6detail15normal_iteratorINS9_10device_ptrIyEEEEPS5_m11less_div_10IyEEE10hipError_tT0_T1_T2_jT3_P12ihipStream_tbPNSt15iterator_traitsISJ_E10value_typeEPNSP_ISK_E10value_typeEPSL_NS1_7vsmem_tEENKUlT_SJ_SK_SL_E_clIPySE_SF_SF_EESI_SY_SJ_SK_SL_EUlSY_E_NS1_11comp_targetILNS1_3genE3ELNS1_11target_archE908ELNS1_3gpuE7ELNS1_3repE0EEENS1_48merge_mergepath_partition_config_static_selectorELNS0_4arch9wavefront6targetE0EEEvSK_,comdat
.Lfunc_end28:
	.size	_ZN7rocprim17ROCPRIM_400000_NS6detail17trampoline_kernelINS0_14default_configENS1_38merge_sort_block_merge_config_selectorIyNS0_10empty_typeEEEZZNS1_27merge_sort_block_merge_implIS3_N6thrust23THRUST_200600_302600_NS6detail15normal_iteratorINS9_10device_ptrIyEEEEPS5_m11less_div_10IyEEE10hipError_tT0_T1_T2_jT3_P12ihipStream_tbPNSt15iterator_traitsISJ_E10value_typeEPNSP_ISK_E10value_typeEPSL_NS1_7vsmem_tEENKUlT_SJ_SK_SL_E_clIPySE_SF_SF_EESI_SY_SJ_SK_SL_EUlSY_E_NS1_11comp_targetILNS1_3genE3ELNS1_11target_archE908ELNS1_3gpuE7ELNS1_3repE0EEENS1_48merge_mergepath_partition_config_static_selectorELNS0_4arch9wavefront6targetE0EEEvSK_, .Lfunc_end28-_ZN7rocprim17ROCPRIM_400000_NS6detail17trampoline_kernelINS0_14default_configENS1_38merge_sort_block_merge_config_selectorIyNS0_10empty_typeEEEZZNS1_27merge_sort_block_merge_implIS3_N6thrust23THRUST_200600_302600_NS6detail15normal_iteratorINS9_10device_ptrIyEEEEPS5_m11less_div_10IyEEE10hipError_tT0_T1_T2_jT3_P12ihipStream_tbPNSt15iterator_traitsISJ_E10value_typeEPNSP_ISK_E10value_typeEPSL_NS1_7vsmem_tEENKUlT_SJ_SK_SL_E_clIPySE_SF_SF_EESI_SY_SJ_SK_SL_EUlSY_E_NS1_11comp_targetILNS1_3genE3ELNS1_11target_archE908ELNS1_3gpuE7ELNS1_3repE0EEENS1_48merge_mergepath_partition_config_static_selectorELNS0_4arch9wavefront6targetE0EEEvSK_
                                        ; -- End function
	.set _ZN7rocprim17ROCPRIM_400000_NS6detail17trampoline_kernelINS0_14default_configENS1_38merge_sort_block_merge_config_selectorIyNS0_10empty_typeEEEZZNS1_27merge_sort_block_merge_implIS3_N6thrust23THRUST_200600_302600_NS6detail15normal_iteratorINS9_10device_ptrIyEEEEPS5_m11less_div_10IyEEE10hipError_tT0_T1_T2_jT3_P12ihipStream_tbPNSt15iterator_traitsISJ_E10value_typeEPNSP_ISK_E10value_typeEPSL_NS1_7vsmem_tEENKUlT_SJ_SK_SL_E_clIPySE_SF_SF_EESI_SY_SJ_SK_SL_EUlSY_E_NS1_11comp_targetILNS1_3genE3ELNS1_11target_archE908ELNS1_3gpuE7ELNS1_3repE0EEENS1_48merge_mergepath_partition_config_static_selectorELNS0_4arch9wavefront6targetE0EEEvSK_.num_vgpr, 0
	.set _ZN7rocprim17ROCPRIM_400000_NS6detail17trampoline_kernelINS0_14default_configENS1_38merge_sort_block_merge_config_selectorIyNS0_10empty_typeEEEZZNS1_27merge_sort_block_merge_implIS3_N6thrust23THRUST_200600_302600_NS6detail15normal_iteratorINS9_10device_ptrIyEEEEPS5_m11less_div_10IyEEE10hipError_tT0_T1_T2_jT3_P12ihipStream_tbPNSt15iterator_traitsISJ_E10value_typeEPNSP_ISK_E10value_typeEPSL_NS1_7vsmem_tEENKUlT_SJ_SK_SL_E_clIPySE_SF_SF_EESI_SY_SJ_SK_SL_EUlSY_E_NS1_11comp_targetILNS1_3genE3ELNS1_11target_archE908ELNS1_3gpuE7ELNS1_3repE0EEENS1_48merge_mergepath_partition_config_static_selectorELNS0_4arch9wavefront6targetE0EEEvSK_.num_agpr, 0
	.set _ZN7rocprim17ROCPRIM_400000_NS6detail17trampoline_kernelINS0_14default_configENS1_38merge_sort_block_merge_config_selectorIyNS0_10empty_typeEEEZZNS1_27merge_sort_block_merge_implIS3_N6thrust23THRUST_200600_302600_NS6detail15normal_iteratorINS9_10device_ptrIyEEEEPS5_m11less_div_10IyEEE10hipError_tT0_T1_T2_jT3_P12ihipStream_tbPNSt15iterator_traitsISJ_E10value_typeEPNSP_ISK_E10value_typeEPSL_NS1_7vsmem_tEENKUlT_SJ_SK_SL_E_clIPySE_SF_SF_EESI_SY_SJ_SK_SL_EUlSY_E_NS1_11comp_targetILNS1_3genE3ELNS1_11target_archE908ELNS1_3gpuE7ELNS1_3repE0EEENS1_48merge_mergepath_partition_config_static_selectorELNS0_4arch9wavefront6targetE0EEEvSK_.numbered_sgpr, 0
	.set _ZN7rocprim17ROCPRIM_400000_NS6detail17trampoline_kernelINS0_14default_configENS1_38merge_sort_block_merge_config_selectorIyNS0_10empty_typeEEEZZNS1_27merge_sort_block_merge_implIS3_N6thrust23THRUST_200600_302600_NS6detail15normal_iteratorINS9_10device_ptrIyEEEEPS5_m11less_div_10IyEEE10hipError_tT0_T1_T2_jT3_P12ihipStream_tbPNSt15iterator_traitsISJ_E10value_typeEPNSP_ISK_E10value_typeEPSL_NS1_7vsmem_tEENKUlT_SJ_SK_SL_E_clIPySE_SF_SF_EESI_SY_SJ_SK_SL_EUlSY_E_NS1_11comp_targetILNS1_3genE3ELNS1_11target_archE908ELNS1_3gpuE7ELNS1_3repE0EEENS1_48merge_mergepath_partition_config_static_selectorELNS0_4arch9wavefront6targetE0EEEvSK_.num_named_barrier, 0
	.set _ZN7rocprim17ROCPRIM_400000_NS6detail17trampoline_kernelINS0_14default_configENS1_38merge_sort_block_merge_config_selectorIyNS0_10empty_typeEEEZZNS1_27merge_sort_block_merge_implIS3_N6thrust23THRUST_200600_302600_NS6detail15normal_iteratorINS9_10device_ptrIyEEEEPS5_m11less_div_10IyEEE10hipError_tT0_T1_T2_jT3_P12ihipStream_tbPNSt15iterator_traitsISJ_E10value_typeEPNSP_ISK_E10value_typeEPSL_NS1_7vsmem_tEENKUlT_SJ_SK_SL_E_clIPySE_SF_SF_EESI_SY_SJ_SK_SL_EUlSY_E_NS1_11comp_targetILNS1_3genE3ELNS1_11target_archE908ELNS1_3gpuE7ELNS1_3repE0EEENS1_48merge_mergepath_partition_config_static_selectorELNS0_4arch9wavefront6targetE0EEEvSK_.private_seg_size, 0
	.set _ZN7rocprim17ROCPRIM_400000_NS6detail17trampoline_kernelINS0_14default_configENS1_38merge_sort_block_merge_config_selectorIyNS0_10empty_typeEEEZZNS1_27merge_sort_block_merge_implIS3_N6thrust23THRUST_200600_302600_NS6detail15normal_iteratorINS9_10device_ptrIyEEEEPS5_m11less_div_10IyEEE10hipError_tT0_T1_T2_jT3_P12ihipStream_tbPNSt15iterator_traitsISJ_E10value_typeEPNSP_ISK_E10value_typeEPSL_NS1_7vsmem_tEENKUlT_SJ_SK_SL_E_clIPySE_SF_SF_EESI_SY_SJ_SK_SL_EUlSY_E_NS1_11comp_targetILNS1_3genE3ELNS1_11target_archE908ELNS1_3gpuE7ELNS1_3repE0EEENS1_48merge_mergepath_partition_config_static_selectorELNS0_4arch9wavefront6targetE0EEEvSK_.uses_vcc, 0
	.set _ZN7rocprim17ROCPRIM_400000_NS6detail17trampoline_kernelINS0_14default_configENS1_38merge_sort_block_merge_config_selectorIyNS0_10empty_typeEEEZZNS1_27merge_sort_block_merge_implIS3_N6thrust23THRUST_200600_302600_NS6detail15normal_iteratorINS9_10device_ptrIyEEEEPS5_m11less_div_10IyEEE10hipError_tT0_T1_T2_jT3_P12ihipStream_tbPNSt15iterator_traitsISJ_E10value_typeEPNSP_ISK_E10value_typeEPSL_NS1_7vsmem_tEENKUlT_SJ_SK_SL_E_clIPySE_SF_SF_EESI_SY_SJ_SK_SL_EUlSY_E_NS1_11comp_targetILNS1_3genE3ELNS1_11target_archE908ELNS1_3gpuE7ELNS1_3repE0EEENS1_48merge_mergepath_partition_config_static_selectorELNS0_4arch9wavefront6targetE0EEEvSK_.uses_flat_scratch, 0
	.set _ZN7rocprim17ROCPRIM_400000_NS6detail17trampoline_kernelINS0_14default_configENS1_38merge_sort_block_merge_config_selectorIyNS0_10empty_typeEEEZZNS1_27merge_sort_block_merge_implIS3_N6thrust23THRUST_200600_302600_NS6detail15normal_iteratorINS9_10device_ptrIyEEEEPS5_m11less_div_10IyEEE10hipError_tT0_T1_T2_jT3_P12ihipStream_tbPNSt15iterator_traitsISJ_E10value_typeEPNSP_ISK_E10value_typeEPSL_NS1_7vsmem_tEENKUlT_SJ_SK_SL_E_clIPySE_SF_SF_EESI_SY_SJ_SK_SL_EUlSY_E_NS1_11comp_targetILNS1_3genE3ELNS1_11target_archE908ELNS1_3gpuE7ELNS1_3repE0EEENS1_48merge_mergepath_partition_config_static_selectorELNS0_4arch9wavefront6targetE0EEEvSK_.has_dyn_sized_stack, 0
	.set _ZN7rocprim17ROCPRIM_400000_NS6detail17trampoline_kernelINS0_14default_configENS1_38merge_sort_block_merge_config_selectorIyNS0_10empty_typeEEEZZNS1_27merge_sort_block_merge_implIS3_N6thrust23THRUST_200600_302600_NS6detail15normal_iteratorINS9_10device_ptrIyEEEEPS5_m11less_div_10IyEEE10hipError_tT0_T1_T2_jT3_P12ihipStream_tbPNSt15iterator_traitsISJ_E10value_typeEPNSP_ISK_E10value_typeEPSL_NS1_7vsmem_tEENKUlT_SJ_SK_SL_E_clIPySE_SF_SF_EESI_SY_SJ_SK_SL_EUlSY_E_NS1_11comp_targetILNS1_3genE3ELNS1_11target_archE908ELNS1_3gpuE7ELNS1_3repE0EEENS1_48merge_mergepath_partition_config_static_selectorELNS0_4arch9wavefront6targetE0EEEvSK_.has_recursion, 0
	.set _ZN7rocprim17ROCPRIM_400000_NS6detail17trampoline_kernelINS0_14default_configENS1_38merge_sort_block_merge_config_selectorIyNS0_10empty_typeEEEZZNS1_27merge_sort_block_merge_implIS3_N6thrust23THRUST_200600_302600_NS6detail15normal_iteratorINS9_10device_ptrIyEEEEPS5_m11less_div_10IyEEE10hipError_tT0_T1_T2_jT3_P12ihipStream_tbPNSt15iterator_traitsISJ_E10value_typeEPNSP_ISK_E10value_typeEPSL_NS1_7vsmem_tEENKUlT_SJ_SK_SL_E_clIPySE_SF_SF_EESI_SY_SJ_SK_SL_EUlSY_E_NS1_11comp_targetILNS1_3genE3ELNS1_11target_archE908ELNS1_3gpuE7ELNS1_3repE0EEENS1_48merge_mergepath_partition_config_static_selectorELNS0_4arch9wavefront6targetE0EEEvSK_.has_indirect_call, 0
	.section	.AMDGPU.csdata,"",@progbits
; Kernel info:
; codeLenInByte = 0
; TotalNumSgprs: 0
; NumVgprs: 0
; ScratchSize: 0
; MemoryBound: 0
; FloatMode: 240
; IeeeMode: 1
; LDSByteSize: 0 bytes/workgroup (compile time only)
; SGPRBlocks: 0
; VGPRBlocks: 0
; NumSGPRsForWavesPerEU: 1
; NumVGPRsForWavesPerEU: 1
; Occupancy: 16
; WaveLimiterHint : 0
; COMPUTE_PGM_RSRC2:SCRATCH_EN: 0
; COMPUTE_PGM_RSRC2:USER_SGPR: 6
; COMPUTE_PGM_RSRC2:TRAP_HANDLER: 0
; COMPUTE_PGM_RSRC2:TGID_X_EN: 1
; COMPUTE_PGM_RSRC2:TGID_Y_EN: 0
; COMPUTE_PGM_RSRC2:TGID_Z_EN: 0
; COMPUTE_PGM_RSRC2:TIDIG_COMP_CNT: 0
	.section	.text._ZN7rocprim17ROCPRIM_400000_NS6detail17trampoline_kernelINS0_14default_configENS1_38merge_sort_block_merge_config_selectorIyNS0_10empty_typeEEEZZNS1_27merge_sort_block_merge_implIS3_N6thrust23THRUST_200600_302600_NS6detail15normal_iteratorINS9_10device_ptrIyEEEEPS5_m11less_div_10IyEEE10hipError_tT0_T1_T2_jT3_P12ihipStream_tbPNSt15iterator_traitsISJ_E10value_typeEPNSP_ISK_E10value_typeEPSL_NS1_7vsmem_tEENKUlT_SJ_SK_SL_E_clIPySE_SF_SF_EESI_SY_SJ_SK_SL_EUlSY_E_NS1_11comp_targetILNS1_3genE2ELNS1_11target_archE906ELNS1_3gpuE6ELNS1_3repE0EEENS1_48merge_mergepath_partition_config_static_selectorELNS0_4arch9wavefront6targetE0EEEvSK_,"axG",@progbits,_ZN7rocprim17ROCPRIM_400000_NS6detail17trampoline_kernelINS0_14default_configENS1_38merge_sort_block_merge_config_selectorIyNS0_10empty_typeEEEZZNS1_27merge_sort_block_merge_implIS3_N6thrust23THRUST_200600_302600_NS6detail15normal_iteratorINS9_10device_ptrIyEEEEPS5_m11less_div_10IyEEE10hipError_tT0_T1_T2_jT3_P12ihipStream_tbPNSt15iterator_traitsISJ_E10value_typeEPNSP_ISK_E10value_typeEPSL_NS1_7vsmem_tEENKUlT_SJ_SK_SL_E_clIPySE_SF_SF_EESI_SY_SJ_SK_SL_EUlSY_E_NS1_11comp_targetILNS1_3genE2ELNS1_11target_archE906ELNS1_3gpuE6ELNS1_3repE0EEENS1_48merge_mergepath_partition_config_static_selectorELNS0_4arch9wavefront6targetE0EEEvSK_,comdat
	.protected	_ZN7rocprim17ROCPRIM_400000_NS6detail17trampoline_kernelINS0_14default_configENS1_38merge_sort_block_merge_config_selectorIyNS0_10empty_typeEEEZZNS1_27merge_sort_block_merge_implIS3_N6thrust23THRUST_200600_302600_NS6detail15normal_iteratorINS9_10device_ptrIyEEEEPS5_m11less_div_10IyEEE10hipError_tT0_T1_T2_jT3_P12ihipStream_tbPNSt15iterator_traitsISJ_E10value_typeEPNSP_ISK_E10value_typeEPSL_NS1_7vsmem_tEENKUlT_SJ_SK_SL_E_clIPySE_SF_SF_EESI_SY_SJ_SK_SL_EUlSY_E_NS1_11comp_targetILNS1_3genE2ELNS1_11target_archE906ELNS1_3gpuE6ELNS1_3repE0EEENS1_48merge_mergepath_partition_config_static_selectorELNS0_4arch9wavefront6targetE0EEEvSK_ ; -- Begin function _ZN7rocprim17ROCPRIM_400000_NS6detail17trampoline_kernelINS0_14default_configENS1_38merge_sort_block_merge_config_selectorIyNS0_10empty_typeEEEZZNS1_27merge_sort_block_merge_implIS3_N6thrust23THRUST_200600_302600_NS6detail15normal_iteratorINS9_10device_ptrIyEEEEPS5_m11less_div_10IyEEE10hipError_tT0_T1_T2_jT3_P12ihipStream_tbPNSt15iterator_traitsISJ_E10value_typeEPNSP_ISK_E10value_typeEPSL_NS1_7vsmem_tEENKUlT_SJ_SK_SL_E_clIPySE_SF_SF_EESI_SY_SJ_SK_SL_EUlSY_E_NS1_11comp_targetILNS1_3genE2ELNS1_11target_archE906ELNS1_3gpuE6ELNS1_3repE0EEENS1_48merge_mergepath_partition_config_static_selectorELNS0_4arch9wavefront6targetE0EEEvSK_
	.globl	_ZN7rocprim17ROCPRIM_400000_NS6detail17trampoline_kernelINS0_14default_configENS1_38merge_sort_block_merge_config_selectorIyNS0_10empty_typeEEEZZNS1_27merge_sort_block_merge_implIS3_N6thrust23THRUST_200600_302600_NS6detail15normal_iteratorINS9_10device_ptrIyEEEEPS5_m11less_div_10IyEEE10hipError_tT0_T1_T2_jT3_P12ihipStream_tbPNSt15iterator_traitsISJ_E10value_typeEPNSP_ISK_E10value_typeEPSL_NS1_7vsmem_tEENKUlT_SJ_SK_SL_E_clIPySE_SF_SF_EESI_SY_SJ_SK_SL_EUlSY_E_NS1_11comp_targetILNS1_3genE2ELNS1_11target_archE906ELNS1_3gpuE6ELNS1_3repE0EEENS1_48merge_mergepath_partition_config_static_selectorELNS0_4arch9wavefront6targetE0EEEvSK_
	.p2align	8
	.type	_ZN7rocprim17ROCPRIM_400000_NS6detail17trampoline_kernelINS0_14default_configENS1_38merge_sort_block_merge_config_selectorIyNS0_10empty_typeEEEZZNS1_27merge_sort_block_merge_implIS3_N6thrust23THRUST_200600_302600_NS6detail15normal_iteratorINS9_10device_ptrIyEEEEPS5_m11less_div_10IyEEE10hipError_tT0_T1_T2_jT3_P12ihipStream_tbPNSt15iterator_traitsISJ_E10value_typeEPNSP_ISK_E10value_typeEPSL_NS1_7vsmem_tEENKUlT_SJ_SK_SL_E_clIPySE_SF_SF_EESI_SY_SJ_SK_SL_EUlSY_E_NS1_11comp_targetILNS1_3genE2ELNS1_11target_archE906ELNS1_3gpuE6ELNS1_3repE0EEENS1_48merge_mergepath_partition_config_static_selectorELNS0_4arch9wavefront6targetE0EEEvSK_,@function
_ZN7rocprim17ROCPRIM_400000_NS6detail17trampoline_kernelINS0_14default_configENS1_38merge_sort_block_merge_config_selectorIyNS0_10empty_typeEEEZZNS1_27merge_sort_block_merge_implIS3_N6thrust23THRUST_200600_302600_NS6detail15normal_iteratorINS9_10device_ptrIyEEEEPS5_m11less_div_10IyEEE10hipError_tT0_T1_T2_jT3_P12ihipStream_tbPNSt15iterator_traitsISJ_E10value_typeEPNSP_ISK_E10value_typeEPSL_NS1_7vsmem_tEENKUlT_SJ_SK_SL_E_clIPySE_SF_SF_EESI_SY_SJ_SK_SL_EUlSY_E_NS1_11comp_targetILNS1_3genE2ELNS1_11target_archE906ELNS1_3gpuE6ELNS1_3repE0EEENS1_48merge_mergepath_partition_config_static_selectorELNS0_4arch9wavefront6targetE0EEEvSK_: ; @_ZN7rocprim17ROCPRIM_400000_NS6detail17trampoline_kernelINS0_14default_configENS1_38merge_sort_block_merge_config_selectorIyNS0_10empty_typeEEEZZNS1_27merge_sort_block_merge_implIS3_N6thrust23THRUST_200600_302600_NS6detail15normal_iteratorINS9_10device_ptrIyEEEEPS5_m11less_div_10IyEEE10hipError_tT0_T1_T2_jT3_P12ihipStream_tbPNSt15iterator_traitsISJ_E10value_typeEPNSP_ISK_E10value_typeEPSL_NS1_7vsmem_tEENKUlT_SJ_SK_SL_E_clIPySE_SF_SF_EESI_SY_SJ_SK_SL_EUlSY_E_NS1_11comp_targetILNS1_3genE2ELNS1_11target_archE906ELNS1_3gpuE6ELNS1_3repE0EEENS1_48merge_mergepath_partition_config_static_selectorELNS0_4arch9wavefront6targetE0EEEvSK_
; %bb.0:
	.section	.rodata,"a",@progbits
	.p2align	6, 0x0
	.amdhsa_kernel _ZN7rocprim17ROCPRIM_400000_NS6detail17trampoline_kernelINS0_14default_configENS1_38merge_sort_block_merge_config_selectorIyNS0_10empty_typeEEEZZNS1_27merge_sort_block_merge_implIS3_N6thrust23THRUST_200600_302600_NS6detail15normal_iteratorINS9_10device_ptrIyEEEEPS5_m11less_div_10IyEEE10hipError_tT0_T1_T2_jT3_P12ihipStream_tbPNSt15iterator_traitsISJ_E10value_typeEPNSP_ISK_E10value_typeEPSL_NS1_7vsmem_tEENKUlT_SJ_SK_SL_E_clIPySE_SF_SF_EESI_SY_SJ_SK_SL_EUlSY_E_NS1_11comp_targetILNS1_3genE2ELNS1_11target_archE906ELNS1_3gpuE6ELNS1_3repE0EEENS1_48merge_mergepath_partition_config_static_selectorELNS0_4arch9wavefront6targetE0EEEvSK_
		.amdhsa_group_segment_fixed_size 0
		.amdhsa_private_segment_fixed_size 0
		.amdhsa_kernarg_size 48
		.amdhsa_user_sgpr_count 6
		.amdhsa_user_sgpr_private_segment_buffer 1
		.amdhsa_user_sgpr_dispatch_ptr 0
		.amdhsa_user_sgpr_queue_ptr 0
		.amdhsa_user_sgpr_kernarg_segment_ptr 1
		.amdhsa_user_sgpr_dispatch_id 0
		.amdhsa_user_sgpr_flat_scratch_init 0
		.amdhsa_user_sgpr_private_segment_size 0
		.amdhsa_wavefront_size32 1
		.amdhsa_uses_dynamic_stack 0
		.amdhsa_system_sgpr_private_segment_wavefront_offset 0
		.amdhsa_system_sgpr_workgroup_id_x 1
		.amdhsa_system_sgpr_workgroup_id_y 0
		.amdhsa_system_sgpr_workgroup_id_z 0
		.amdhsa_system_sgpr_workgroup_info 0
		.amdhsa_system_vgpr_workitem_id 0
		.amdhsa_next_free_vgpr 1
		.amdhsa_next_free_sgpr 1
		.amdhsa_reserve_vcc 0
		.amdhsa_reserve_flat_scratch 0
		.amdhsa_float_round_mode_32 0
		.amdhsa_float_round_mode_16_64 0
		.amdhsa_float_denorm_mode_32 3
		.amdhsa_float_denorm_mode_16_64 3
		.amdhsa_dx10_clamp 1
		.amdhsa_ieee_mode 1
		.amdhsa_fp16_overflow 0
		.amdhsa_workgroup_processor_mode 1
		.amdhsa_memory_ordered 1
		.amdhsa_forward_progress 1
		.amdhsa_shared_vgpr_count 0
		.amdhsa_exception_fp_ieee_invalid_op 0
		.amdhsa_exception_fp_denorm_src 0
		.amdhsa_exception_fp_ieee_div_zero 0
		.amdhsa_exception_fp_ieee_overflow 0
		.amdhsa_exception_fp_ieee_underflow 0
		.amdhsa_exception_fp_ieee_inexact 0
		.amdhsa_exception_int_div_zero 0
	.end_amdhsa_kernel
	.section	.text._ZN7rocprim17ROCPRIM_400000_NS6detail17trampoline_kernelINS0_14default_configENS1_38merge_sort_block_merge_config_selectorIyNS0_10empty_typeEEEZZNS1_27merge_sort_block_merge_implIS3_N6thrust23THRUST_200600_302600_NS6detail15normal_iteratorINS9_10device_ptrIyEEEEPS5_m11less_div_10IyEEE10hipError_tT0_T1_T2_jT3_P12ihipStream_tbPNSt15iterator_traitsISJ_E10value_typeEPNSP_ISK_E10value_typeEPSL_NS1_7vsmem_tEENKUlT_SJ_SK_SL_E_clIPySE_SF_SF_EESI_SY_SJ_SK_SL_EUlSY_E_NS1_11comp_targetILNS1_3genE2ELNS1_11target_archE906ELNS1_3gpuE6ELNS1_3repE0EEENS1_48merge_mergepath_partition_config_static_selectorELNS0_4arch9wavefront6targetE0EEEvSK_,"axG",@progbits,_ZN7rocprim17ROCPRIM_400000_NS6detail17trampoline_kernelINS0_14default_configENS1_38merge_sort_block_merge_config_selectorIyNS0_10empty_typeEEEZZNS1_27merge_sort_block_merge_implIS3_N6thrust23THRUST_200600_302600_NS6detail15normal_iteratorINS9_10device_ptrIyEEEEPS5_m11less_div_10IyEEE10hipError_tT0_T1_T2_jT3_P12ihipStream_tbPNSt15iterator_traitsISJ_E10value_typeEPNSP_ISK_E10value_typeEPSL_NS1_7vsmem_tEENKUlT_SJ_SK_SL_E_clIPySE_SF_SF_EESI_SY_SJ_SK_SL_EUlSY_E_NS1_11comp_targetILNS1_3genE2ELNS1_11target_archE906ELNS1_3gpuE6ELNS1_3repE0EEENS1_48merge_mergepath_partition_config_static_selectorELNS0_4arch9wavefront6targetE0EEEvSK_,comdat
.Lfunc_end29:
	.size	_ZN7rocprim17ROCPRIM_400000_NS6detail17trampoline_kernelINS0_14default_configENS1_38merge_sort_block_merge_config_selectorIyNS0_10empty_typeEEEZZNS1_27merge_sort_block_merge_implIS3_N6thrust23THRUST_200600_302600_NS6detail15normal_iteratorINS9_10device_ptrIyEEEEPS5_m11less_div_10IyEEE10hipError_tT0_T1_T2_jT3_P12ihipStream_tbPNSt15iterator_traitsISJ_E10value_typeEPNSP_ISK_E10value_typeEPSL_NS1_7vsmem_tEENKUlT_SJ_SK_SL_E_clIPySE_SF_SF_EESI_SY_SJ_SK_SL_EUlSY_E_NS1_11comp_targetILNS1_3genE2ELNS1_11target_archE906ELNS1_3gpuE6ELNS1_3repE0EEENS1_48merge_mergepath_partition_config_static_selectorELNS0_4arch9wavefront6targetE0EEEvSK_, .Lfunc_end29-_ZN7rocprim17ROCPRIM_400000_NS6detail17trampoline_kernelINS0_14default_configENS1_38merge_sort_block_merge_config_selectorIyNS0_10empty_typeEEEZZNS1_27merge_sort_block_merge_implIS3_N6thrust23THRUST_200600_302600_NS6detail15normal_iteratorINS9_10device_ptrIyEEEEPS5_m11less_div_10IyEEE10hipError_tT0_T1_T2_jT3_P12ihipStream_tbPNSt15iterator_traitsISJ_E10value_typeEPNSP_ISK_E10value_typeEPSL_NS1_7vsmem_tEENKUlT_SJ_SK_SL_E_clIPySE_SF_SF_EESI_SY_SJ_SK_SL_EUlSY_E_NS1_11comp_targetILNS1_3genE2ELNS1_11target_archE906ELNS1_3gpuE6ELNS1_3repE0EEENS1_48merge_mergepath_partition_config_static_selectorELNS0_4arch9wavefront6targetE0EEEvSK_
                                        ; -- End function
	.set _ZN7rocprim17ROCPRIM_400000_NS6detail17trampoline_kernelINS0_14default_configENS1_38merge_sort_block_merge_config_selectorIyNS0_10empty_typeEEEZZNS1_27merge_sort_block_merge_implIS3_N6thrust23THRUST_200600_302600_NS6detail15normal_iteratorINS9_10device_ptrIyEEEEPS5_m11less_div_10IyEEE10hipError_tT0_T1_T2_jT3_P12ihipStream_tbPNSt15iterator_traitsISJ_E10value_typeEPNSP_ISK_E10value_typeEPSL_NS1_7vsmem_tEENKUlT_SJ_SK_SL_E_clIPySE_SF_SF_EESI_SY_SJ_SK_SL_EUlSY_E_NS1_11comp_targetILNS1_3genE2ELNS1_11target_archE906ELNS1_3gpuE6ELNS1_3repE0EEENS1_48merge_mergepath_partition_config_static_selectorELNS0_4arch9wavefront6targetE0EEEvSK_.num_vgpr, 0
	.set _ZN7rocprim17ROCPRIM_400000_NS6detail17trampoline_kernelINS0_14default_configENS1_38merge_sort_block_merge_config_selectorIyNS0_10empty_typeEEEZZNS1_27merge_sort_block_merge_implIS3_N6thrust23THRUST_200600_302600_NS6detail15normal_iteratorINS9_10device_ptrIyEEEEPS5_m11less_div_10IyEEE10hipError_tT0_T1_T2_jT3_P12ihipStream_tbPNSt15iterator_traitsISJ_E10value_typeEPNSP_ISK_E10value_typeEPSL_NS1_7vsmem_tEENKUlT_SJ_SK_SL_E_clIPySE_SF_SF_EESI_SY_SJ_SK_SL_EUlSY_E_NS1_11comp_targetILNS1_3genE2ELNS1_11target_archE906ELNS1_3gpuE6ELNS1_3repE0EEENS1_48merge_mergepath_partition_config_static_selectorELNS0_4arch9wavefront6targetE0EEEvSK_.num_agpr, 0
	.set _ZN7rocprim17ROCPRIM_400000_NS6detail17trampoline_kernelINS0_14default_configENS1_38merge_sort_block_merge_config_selectorIyNS0_10empty_typeEEEZZNS1_27merge_sort_block_merge_implIS3_N6thrust23THRUST_200600_302600_NS6detail15normal_iteratorINS9_10device_ptrIyEEEEPS5_m11less_div_10IyEEE10hipError_tT0_T1_T2_jT3_P12ihipStream_tbPNSt15iterator_traitsISJ_E10value_typeEPNSP_ISK_E10value_typeEPSL_NS1_7vsmem_tEENKUlT_SJ_SK_SL_E_clIPySE_SF_SF_EESI_SY_SJ_SK_SL_EUlSY_E_NS1_11comp_targetILNS1_3genE2ELNS1_11target_archE906ELNS1_3gpuE6ELNS1_3repE0EEENS1_48merge_mergepath_partition_config_static_selectorELNS0_4arch9wavefront6targetE0EEEvSK_.numbered_sgpr, 0
	.set _ZN7rocprim17ROCPRIM_400000_NS6detail17trampoline_kernelINS0_14default_configENS1_38merge_sort_block_merge_config_selectorIyNS0_10empty_typeEEEZZNS1_27merge_sort_block_merge_implIS3_N6thrust23THRUST_200600_302600_NS6detail15normal_iteratorINS9_10device_ptrIyEEEEPS5_m11less_div_10IyEEE10hipError_tT0_T1_T2_jT3_P12ihipStream_tbPNSt15iterator_traitsISJ_E10value_typeEPNSP_ISK_E10value_typeEPSL_NS1_7vsmem_tEENKUlT_SJ_SK_SL_E_clIPySE_SF_SF_EESI_SY_SJ_SK_SL_EUlSY_E_NS1_11comp_targetILNS1_3genE2ELNS1_11target_archE906ELNS1_3gpuE6ELNS1_3repE0EEENS1_48merge_mergepath_partition_config_static_selectorELNS0_4arch9wavefront6targetE0EEEvSK_.num_named_barrier, 0
	.set _ZN7rocprim17ROCPRIM_400000_NS6detail17trampoline_kernelINS0_14default_configENS1_38merge_sort_block_merge_config_selectorIyNS0_10empty_typeEEEZZNS1_27merge_sort_block_merge_implIS3_N6thrust23THRUST_200600_302600_NS6detail15normal_iteratorINS9_10device_ptrIyEEEEPS5_m11less_div_10IyEEE10hipError_tT0_T1_T2_jT3_P12ihipStream_tbPNSt15iterator_traitsISJ_E10value_typeEPNSP_ISK_E10value_typeEPSL_NS1_7vsmem_tEENKUlT_SJ_SK_SL_E_clIPySE_SF_SF_EESI_SY_SJ_SK_SL_EUlSY_E_NS1_11comp_targetILNS1_3genE2ELNS1_11target_archE906ELNS1_3gpuE6ELNS1_3repE0EEENS1_48merge_mergepath_partition_config_static_selectorELNS0_4arch9wavefront6targetE0EEEvSK_.private_seg_size, 0
	.set _ZN7rocprim17ROCPRIM_400000_NS6detail17trampoline_kernelINS0_14default_configENS1_38merge_sort_block_merge_config_selectorIyNS0_10empty_typeEEEZZNS1_27merge_sort_block_merge_implIS3_N6thrust23THRUST_200600_302600_NS6detail15normal_iteratorINS9_10device_ptrIyEEEEPS5_m11less_div_10IyEEE10hipError_tT0_T1_T2_jT3_P12ihipStream_tbPNSt15iterator_traitsISJ_E10value_typeEPNSP_ISK_E10value_typeEPSL_NS1_7vsmem_tEENKUlT_SJ_SK_SL_E_clIPySE_SF_SF_EESI_SY_SJ_SK_SL_EUlSY_E_NS1_11comp_targetILNS1_3genE2ELNS1_11target_archE906ELNS1_3gpuE6ELNS1_3repE0EEENS1_48merge_mergepath_partition_config_static_selectorELNS0_4arch9wavefront6targetE0EEEvSK_.uses_vcc, 0
	.set _ZN7rocprim17ROCPRIM_400000_NS6detail17trampoline_kernelINS0_14default_configENS1_38merge_sort_block_merge_config_selectorIyNS0_10empty_typeEEEZZNS1_27merge_sort_block_merge_implIS3_N6thrust23THRUST_200600_302600_NS6detail15normal_iteratorINS9_10device_ptrIyEEEEPS5_m11less_div_10IyEEE10hipError_tT0_T1_T2_jT3_P12ihipStream_tbPNSt15iterator_traitsISJ_E10value_typeEPNSP_ISK_E10value_typeEPSL_NS1_7vsmem_tEENKUlT_SJ_SK_SL_E_clIPySE_SF_SF_EESI_SY_SJ_SK_SL_EUlSY_E_NS1_11comp_targetILNS1_3genE2ELNS1_11target_archE906ELNS1_3gpuE6ELNS1_3repE0EEENS1_48merge_mergepath_partition_config_static_selectorELNS0_4arch9wavefront6targetE0EEEvSK_.uses_flat_scratch, 0
	.set _ZN7rocprim17ROCPRIM_400000_NS6detail17trampoline_kernelINS0_14default_configENS1_38merge_sort_block_merge_config_selectorIyNS0_10empty_typeEEEZZNS1_27merge_sort_block_merge_implIS3_N6thrust23THRUST_200600_302600_NS6detail15normal_iteratorINS9_10device_ptrIyEEEEPS5_m11less_div_10IyEEE10hipError_tT0_T1_T2_jT3_P12ihipStream_tbPNSt15iterator_traitsISJ_E10value_typeEPNSP_ISK_E10value_typeEPSL_NS1_7vsmem_tEENKUlT_SJ_SK_SL_E_clIPySE_SF_SF_EESI_SY_SJ_SK_SL_EUlSY_E_NS1_11comp_targetILNS1_3genE2ELNS1_11target_archE906ELNS1_3gpuE6ELNS1_3repE0EEENS1_48merge_mergepath_partition_config_static_selectorELNS0_4arch9wavefront6targetE0EEEvSK_.has_dyn_sized_stack, 0
	.set _ZN7rocprim17ROCPRIM_400000_NS6detail17trampoline_kernelINS0_14default_configENS1_38merge_sort_block_merge_config_selectorIyNS0_10empty_typeEEEZZNS1_27merge_sort_block_merge_implIS3_N6thrust23THRUST_200600_302600_NS6detail15normal_iteratorINS9_10device_ptrIyEEEEPS5_m11less_div_10IyEEE10hipError_tT0_T1_T2_jT3_P12ihipStream_tbPNSt15iterator_traitsISJ_E10value_typeEPNSP_ISK_E10value_typeEPSL_NS1_7vsmem_tEENKUlT_SJ_SK_SL_E_clIPySE_SF_SF_EESI_SY_SJ_SK_SL_EUlSY_E_NS1_11comp_targetILNS1_3genE2ELNS1_11target_archE906ELNS1_3gpuE6ELNS1_3repE0EEENS1_48merge_mergepath_partition_config_static_selectorELNS0_4arch9wavefront6targetE0EEEvSK_.has_recursion, 0
	.set _ZN7rocprim17ROCPRIM_400000_NS6detail17trampoline_kernelINS0_14default_configENS1_38merge_sort_block_merge_config_selectorIyNS0_10empty_typeEEEZZNS1_27merge_sort_block_merge_implIS3_N6thrust23THRUST_200600_302600_NS6detail15normal_iteratorINS9_10device_ptrIyEEEEPS5_m11less_div_10IyEEE10hipError_tT0_T1_T2_jT3_P12ihipStream_tbPNSt15iterator_traitsISJ_E10value_typeEPNSP_ISK_E10value_typeEPSL_NS1_7vsmem_tEENKUlT_SJ_SK_SL_E_clIPySE_SF_SF_EESI_SY_SJ_SK_SL_EUlSY_E_NS1_11comp_targetILNS1_3genE2ELNS1_11target_archE906ELNS1_3gpuE6ELNS1_3repE0EEENS1_48merge_mergepath_partition_config_static_selectorELNS0_4arch9wavefront6targetE0EEEvSK_.has_indirect_call, 0
	.section	.AMDGPU.csdata,"",@progbits
; Kernel info:
; codeLenInByte = 0
; TotalNumSgprs: 0
; NumVgprs: 0
; ScratchSize: 0
; MemoryBound: 0
; FloatMode: 240
; IeeeMode: 1
; LDSByteSize: 0 bytes/workgroup (compile time only)
; SGPRBlocks: 0
; VGPRBlocks: 0
; NumSGPRsForWavesPerEU: 1
; NumVGPRsForWavesPerEU: 1
; Occupancy: 16
; WaveLimiterHint : 0
; COMPUTE_PGM_RSRC2:SCRATCH_EN: 0
; COMPUTE_PGM_RSRC2:USER_SGPR: 6
; COMPUTE_PGM_RSRC2:TRAP_HANDLER: 0
; COMPUTE_PGM_RSRC2:TGID_X_EN: 1
; COMPUTE_PGM_RSRC2:TGID_Y_EN: 0
; COMPUTE_PGM_RSRC2:TGID_Z_EN: 0
; COMPUTE_PGM_RSRC2:TIDIG_COMP_CNT: 0
	.section	.text._ZN7rocprim17ROCPRIM_400000_NS6detail17trampoline_kernelINS0_14default_configENS1_38merge_sort_block_merge_config_selectorIyNS0_10empty_typeEEEZZNS1_27merge_sort_block_merge_implIS3_N6thrust23THRUST_200600_302600_NS6detail15normal_iteratorINS9_10device_ptrIyEEEEPS5_m11less_div_10IyEEE10hipError_tT0_T1_T2_jT3_P12ihipStream_tbPNSt15iterator_traitsISJ_E10value_typeEPNSP_ISK_E10value_typeEPSL_NS1_7vsmem_tEENKUlT_SJ_SK_SL_E_clIPySE_SF_SF_EESI_SY_SJ_SK_SL_EUlSY_E_NS1_11comp_targetILNS1_3genE9ELNS1_11target_archE1100ELNS1_3gpuE3ELNS1_3repE0EEENS1_48merge_mergepath_partition_config_static_selectorELNS0_4arch9wavefront6targetE0EEEvSK_,"axG",@progbits,_ZN7rocprim17ROCPRIM_400000_NS6detail17trampoline_kernelINS0_14default_configENS1_38merge_sort_block_merge_config_selectorIyNS0_10empty_typeEEEZZNS1_27merge_sort_block_merge_implIS3_N6thrust23THRUST_200600_302600_NS6detail15normal_iteratorINS9_10device_ptrIyEEEEPS5_m11less_div_10IyEEE10hipError_tT0_T1_T2_jT3_P12ihipStream_tbPNSt15iterator_traitsISJ_E10value_typeEPNSP_ISK_E10value_typeEPSL_NS1_7vsmem_tEENKUlT_SJ_SK_SL_E_clIPySE_SF_SF_EESI_SY_SJ_SK_SL_EUlSY_E_NS1_11comp_targetILNS1_3genE9ELNS1_11target_archE1100ELNS1_3gpuE3ELNS1_3repE0EEENS1_48merge_mergepath_partition_config_static_selectorELNS0_4arch9wavefront6targetE0EEEvSK_,comdat
	.protected	_ZN7rocprim17ROCPRIM_400000_NS6detail17trampoline_kernelINS0_14default_configENS1_38merge_sort_block_merge_config_selectorIyNS0_10empty_typeEEEZZNS1_27merge_sort_block_merge_implIS3_N6thrust23THRUST_200600_302600_NS6detail15normal_iteratorINS9_10device_ptrIyEEEEPS5_m11less_div_10IyEEE10hipError_tT0_T1_T2_jT3_P12ihipStream_tbPNSt15iterator_traitsISJ_E10value_typeEPNSP_ISK_E10value_typeEPSL_NS1_7vsmem_tEENKUlT_SJ_SK_SL_E_clIPySE_SF_SF_EESI_SY_SJ_SK_SL_EUlSY_E_NS1_11comp_targetILNS1_3genE9ELNS1_11target_archE1100ELNS1_3gpuE3ELNS1_3repE0EEENS1_48merge_mergepath_partition_config_static_selectorELNS0_4arch9wavefront6targetE0EEEvSK_ ; -- Begin function _ZN7rocprim17ROCPRIM_400000_NS6detail17trampoline_kernelINS0_14default_configENS1_38merge_sort_block_merge_config_selectorIyNS0_10empty_typeEEEZZNS1_27merge_sort_block_merge_implIS3_N6thrust23THRUST_200600_302600_NS6detail15normal_iteratorINS9_10device_ptrIyEEEEPS5_m11less_div_10IyEEE10hipError_tT0_T1_T2_jT3_P12ihipStream_tbPNSt15iterator_traitsISJ_E10value_typeEPNSP_ISK_E10value_typeEPSL_NS1_7vsmem_tEENKUlT_SJ_SK_SL_E_clIPySE_SF_SF_EESI_SY_SJ_SK_SL_EUlSY_E_NS1_11comp_targetILNS1_3genE9ELNS1_11target_archE1100ELNS1_3gpuE3ELNS1_3repE0EEENS1_48merge_mergepath_partition_config_static_selectorELNS0_4arch9wavefront6targetE0EEEvSK_
	.globl	_ZN7rocprim17ROCPRIM_400000_NS6detail17trampoline_kernelINS0_14default_configENS1_38merge_sort_block_merge_config_selectorIyNS0_10empty_typeEEEZZNS1_27merge_sort_block_merge_implIS3_N6thrust23THRUST_200600_302600_NS6detail15normal_iteratorINS9_10device_ptrIyEEEEPS5_m11less_div_10IyEEE10hipError_tT0_T1_T2_jT3_P12ihipStream_tbPNSt15iterator_traitsISJ_E10value_typeEPNSP_ISK_E10value_typeEPSL_NS1_7vsmem_tEENKUlT_SJ_SK_SL_E_clIPySE_SF_SF_EESI_SY_SJ_SK_SL_EUlSY_E_NS1_11comp_targetILNS1_3genE9ELNS1_11target_archE1100ELNS1_3gpuE3ELNS1_3repE0EEENS1_48merge_mergepath_partition_config_static_selectorELNS0_4arch9wavefront6targetE0EEEvSK_
	.p2align	8
	.type	_ZN7rocprim17ROCPRIM_400000_NS6detail17trampoline_kernelINS0_14default_configENS1_38merge_sort_block_merge_config_selectorIyNS0_10empty_typeEEEZZNS1_27merge_sort_block_merge_implIS3_N6thrust23THRUST_200600_302600_NS6detail15normal_iteratorINS9_10device_ptrIyEEEEPS5_m11less_div_10IyEEE10hipError_tT0_T1_T2_jT3_P12ihipStream_tbPNSt15iterator_traitsISJ_E10value_typeEPNSP_ISK_E10value_typeEPSL_NS1_7vsmem_tEENKUlT_SJ_SK_SL_E_clIPySE_SF_SF_EESI_SY_SJ_SK_SL_EUlSY_E_NS1_11comp_targetILNS1_3genE9ELNS1_11target_archE1100ELNS1_3gpuE3ELNS1_3repE0EEENS1_48merge_mergepath_partition_config_static_selectorELNS0_4arch9wavefront6targetE0EEEvSK_,@function
_ZN7rocprim17ROCPRIM_400000_NS6detail17trampoline_kernelINS0_14default_configENS1_38merge_sort_block_merge_config_selectorIyNS0_10empty_typeEEEZZNS1_27merge_sort_block_merge_implIS3_N6thrust23THRUST_200600_302600_NS6detail15normal_iteratorINS9_10device_ptrIyEEEEPS5_m11less_div_10IyEEE10hipError_tT0_T1_T2_jT3_P12ihipStream_tbPNSt15iterator_traitsISJ_E10value_typeEPNSP_ISK_E10value_typeEPSL_NS1_7vsmem_tEENKUlT_SJ_SK_SL_E_clIPySE_SF_SF_EESI_SY_SJ_SK_SL_EUlSY_E_NS1_11comp_targetILNS1_3genE9ELNS1_11target_archE1100ELNS1_3gpuE3ELNS1_3repE0EEENS1_48merge_mergepath_partition_config_static_selectorELNS0_4arch9wavefront6targetE0EEEvSK_: ; @_ZN7rocprim17ROCPRIM_400000_NS6detail17trampoline_kernelINS0_14default_configENS1_38merge_sort_block_merge_config_selectorIyNS0_10empty_typeEEEZZNS1_27merge_sort_block_merge_implIS3_N6thrust23THRUST_200600_302600_NS6detail15normal_iteratorINS9_10device_ptrIyEEEEPS5_m11less_div_10IyEEE10hipError_tT0_T1_T2_jT3_P12ihipStream_tbPNSt15iterator_traitsISJ_E10value_typeEPNSP_ISK_E10value_typeEPSL_NS1_7vsmem_tEENKUlT_SJ_SK_SL_E_clIPySE_SF_SF_EESI_SY_SJ_SK_SL_EUlSY_E_NS1_11comp_targetILNS1_3genE9ELNS1_11target_archE1100ELNS1_3gpuE3ELNS1_3repE0EEENS1_48merge_mergepath_partition_config_static_selectorELNS0_4arch9wavefront6targetE0EEEvSK_
; %bb.0:
	.section	.rodata,"a",@progbits
	.p2align	6, 0x0
	.amdhsa_kernel _ZN7rocprim17ROCPRIM_400000_NS6detail17trampoline_kernelINS0_14default_configENS1_38merge_sort_block_merge_config_selectorIyNS0_10empty_typeEEEZZNS1_27merge_sort_block_merge_implIS3_N6thrust23THRUST_200600_302600_NS6detail15normal_iteratorINS9_10device_ptrIyEEEEPS5_m11less_div_10IyEEE10hipError_tT0_T1_T2_jT3_P12ihipStream_tbPNSt15iterator_traitsISJ_E10value_typeEPNSP_ISK_E10value_typeEPSL_NS1_7vsmem_tEENKUlT_SJ_SK_SL_E_clIPySE_SF_SF_EESI_SY_SJ_SK_SL_EUlSY_E_NS1_11comp_targetILNS1_3genE9ELNS1_11target_archE1100ELNS1_3gpuE3ELNS1_3repE0EEENS1_48merge_mergepath_partition_config_static_selectorELNS0_4arch9wavefront6targetE0EEEvSK_
		.amdhsa_group_segment_fixed_size 0
		.amdhsa_private_segment_fixed_size 0
		.amdhsa_kernarg_size 48
		.amdhsa_user_sgpr_count 6
		.amdhsa_user_sgpr_private_segment_buffer 1
		.amdhsa_user_sgpr_dispatch_ptr 0
		.amdhsa_user_sgpr_queue_ptr 0
		.amdhsa_user_sgpr_kernarg_segment_ptr 1
		.amdhsa_user_sgpr_dispatch_id 0
		.amdhsa_user_sgpr_flat_scratch_init 0
		.amdhsa_user_sgpr_private_segment_size 0
		.amdhsa_wavefront_size32 1
		.amdhsa_uses_dynamic_stack 0
		.amdhsa_system_sgpr_private_segment_wavefront_offset 0
		.amdhsa_system_sgpr_workgroup_id_x 1
		.amdhsa_system_sgpr_workgroup_id_y 0
		.amdhsa_system_sgpr_workgroup_id_z 0
		.amdhsa_system_sgpr_workgroup_info 0
		.amdhsa_system_vgpr_workitem_id 0
		.amdhsa_next_free_vgpr 1
		.amdhsa_next_free_sgpr 1
		.amdhsa_reserve_vcc 0
		.amdhsa_reserve_flat_scratch 0
		.amdhsa_float_round_mode_32 0
		.amdhsa_float_round_mode_16_64 0
		.amdhsa_float_denorm_mode_32 3
		.amdhsa_float_denorm_mode_16_64 3
		.amdhsa_dx10_clamp 1
		.amdhsa_ieee_mode 1
		.amdhsa_fp16_overflow 0
		.amdhsa_workgroup_processor_mode 1
		.amdhsa_memory_ordered 1
		.amdhsa_forward_progress 1
		.amdhsa_shared_vgpr_count 0
		.amdhsa_exception_fp_ieee_invalid_op 0
		.amdhsa_exception_fp_denorm_src 0
		.amdhsa_exception_fp_ieee_div_zero 0
		.amdhsa_exception_fp_ieee_overflow 0
		.amdhsa_exception_fp_ieee_underflow 0
		.amdhsa_exception_fp_ieee_inexact 0
		.amdhsa_exception_int_div_zero 0
	.end_amdhsa_kernel
	.section	.text._ZN7rocprim17ROCPRIM_400000_NS6detail17trampoline_kernelINS0_14default_configENS1_38merge_sort_block_merge_config_selectorIyNS0_10empty_typeEEEZZNS1_27merge_sort_block_merge_implIS3_N6thrust23THRUST_200600_302600_NS6detail15normal_iteratorINS9_10device_ptrIyEEEEPS5_m11less_div_10IyEEE10hipError_tT0_T1_T2_jT3_P12ihipStream_tbPNSt15iterator_traitsISJ_E10value_typeEPNSP_ISK_E10value_typeEPSL_NS1_7vsmem_tEENKUlT_SJ_SK_SL_E_clIPySE_SF_SF_EESI_SY_SJ_SK_SL_EUlSY_E_NS1_11comp_targetILNS1_3genE9ELNS1_11target_archE1100ELNS1_3gpuE3ELNS1_3repE0EEENS1_48merge_mergepath_partition_config_static_selectorELNS0_4arch9wavefront6targetE0EEEvSK_,"axG",@progbits,_ZN7rocprim17ROCPRIM_400000_NS6detail17trampoline_kernelINS0_14default_configENS1_38merge_sort_block_merge_config_selectorIyNS0_10empty_typeEEEZZNS1_27merge_sort_block_merge_implIS3_N6thrust23THRUST_200600_302600_NS6detail15normal_iteratorINS9_10device_ptrIyEEEEPS5_m11less_div_10IyEEE10hipError_tT0_T1_T2_jT3_P12ihipStream_tbPNSt15iterator_traitsISJ_E10value_typeEPNSP_ISK_E10value_typeEPSL_NS1_7vsmem_tEENKUlT_SJ_SK_SL_E_clIPySE_SF_SF_EESI_SY_SJ_SK_SL_EUlSY_E_NS1_11comp_targetILNS1_3genE9ELNS1_11target_archE1100ELNS1_3gpuE3ELNS1_3repE0EEENS1_48merge_mergepath_partition_config_static_selectorELNS0_4arch9wavefront6targetE0EEEvSK_,comdat
.Lfunc_end30:
	.size	_ZN7rocprim17ROCPRIM_400000_NS6detail17trampoline_kernelINS0_14default_configENS1_38merge_sort_block_merge_config_selectorIyNS0_10empty_typeEEEZZNS1_27merge_sort_block_merge_implIS3_N6thrust23THRUST_200600_302600_NS6detail15normal_iteratorINS9_10device_ptrIyEEEEPS5_m11less_div_10IyEEE10hipError_tT0_T1_T2_jT3_P12ihipStream_tbPNSt15iterator_traitsISJ_E10value_typeEPNSP_ISK_E10value_typeEPSL_NS1_7vsmem_tEENKUlT_SJ_SK_SL_E_clIPySE_SF_SF_EESI_SY_SJ_SK_SL_EUlSY_E_NS1_11comp_targetILNS1_3genE9ELNS1_11target_archE1100ELNS1_3gpuE3ELNS1_3repE0EEENS1_48merge_mergepath_partition_config_static_selectorELNS0_4arch9wavefront6targetE0EEEvSK_, .Lfunc_end30-_ZN7rocprim17ROCPRIM_400000_NS6detail17trampoline_kernelINS0_14default_configENS1_38merge_sort_block_merge_config_selectorIyNS0_10empty_typeEEEZZNS1_27merge_sort_block_merge_implIS3_N6thrust23THRUST_200600_302600_NS6detail15normal_iteratorINS9_10device_ptrIyEEEEPS5_m11less_div_10IyEEE10hipError_tT0_T1_T2_jT3_P12ihipStream_tbPNSt15iterator_traitsISJ_E10value_typeEPNSP_ISK_E10value_typeEPSL_NS1_7vsmem_tEENKUlT_SJ_SK_SL_E_clIPySE_SF_SF_EESI_SY_SJ_SK_SL_EUlSY_E_NS1_11comp_targetILNS1_3genE9ELNS1_11target_archE1100ELNS1_3gpuE3ELNS1_3repE0EEENS1_48merge_mergepath_partition_config_static_selectorELNS0_4arch9wavefront6targetE0EEEvSK_
                                        ; -- End function
	.set _ZN7rocprim17ROCPRIM_400000_NS6detail17trampoline_kernelINS0_14default_configENS1_38merge_sort_block_merge_config_selectorIyNS0_10empty_typeEEEZZNS1_27merge_sort_block_merge_implIS3_N6thrust23THRUST_200600_302600_NS6detail15normal_iteratorINS9_10device_ptrIyEEEEPS5_m11less_div_10IyEEE10hipError_tT0_T1_T2_jT3_P12ihipStream_tbPNSt15iterator_traitsISJ_E10value_typeEPNSP_ISK_E10value_typeEPSL_NS1_7vsmem_tEENKUlT_SJ_SK_SL_E_clIPySE_SF_SF_EESI_SY_SJ_SK_SL_EUlSY_E_NS1_11comp_targetILNS1_3genE9ELNS1_11target_archE1100ELNS1_3gpuE3ELNS1_3repE0EEENS1_48merge_mergepath_partition_config_static_selectorELNS0_4arch9wavefront6targetE0EEEvSK_.num_vgpr, 0
	.set _ZN7rocprim17ROCPRIM_400000_NS6detail17trampoline_kernelINS0_14default_configENS1_38merge_sort_block_merge_config_selectorIyNS0_10empty_typeEEEZZNS1_27merge_sort_block_merge_implIS3_N6thrust23THRUST_200600_302600_NS6detail15normal_iteratorINS9_10device_ptrIyEEEEPS5_m11less_div_10IyEEE10hipError_tT0_T1_T2_jT3_P12ihipStream_tbPNSt15iterator_traitsISJ_E10value_typeEPNSP_ISK_E10value_typeEPSL_NS1_7vsmem_tEENKUlT_SJ_SK_SL_E_clIPySE_SF_SF_EESI_SY_SJ_SK_SL_EUlSY_E_NS1_11comp_targetILNS1_3genE9ELNS1_11target_archE1100ELNS1_3gpuE3ELNS1_3repE0EEENS1_48merge_mergepath_partition_config_static_selectorELNS0_4arch9wavefront6targetE0EEEvSK_.num_agpr, 0
	.set _ZN7rocprim17ROCPRIM_400000_NS6detail17trampoline_kernelINS0_14default_configENS1_38merge_sort_block_merge_config_selectorIyNS0_10empty_typeEEEZZNS1_27merge_sort_block_merge_implIS3_N6thrust23THRUST_200600_302600_NS6detail15normal_iteratorINS9_10device_ptrIyEEEEPS5_m11less_div_10IyEEE10hipError_tT0_T1_T2_jT3_P12ihipStream_tbPNSt15iterator_traitsISJ_E10value_typeEPNSP_ISK_E10value_typeEPSL_NS1_7vsmem_tEENKUlT_SJ_SK_SL_E_clIPySE_SF_SF_EESI_SY_SJ_SK_SL_EUlSY_E_NS1_11comp_targetILNS1_3genE9ELNS1_11target_archE1100ELNS1_3gpuE3ELNS1_3repE0EEENS1_48merge_mergepath_partition_config_static_selectorELNS0_4arch9wavefront6targetE0EEEvSK_.numbered_sgpr, 0
	.set _ZN7rocprim17ROCPRIM_400000_NS6detail17trampoline_kernelINS0_14default_configENS1_38merge_sort_block_merge_config_selectorIyNS0_10empty_typeEEEZZNS1_27merge_sort_block_merge_implIS3_N6thrust23THRUST_200600_302600_NS6detail15normal_iteratorINS9_10device_ptrIyEEEEPS5_m11less_div_10IyEEE10hipError_tT0_T1_T2_jT3_P12ihipStream_tbPNSt15iterator_traitsISJ_E10value_typeEPNSP_ISK_E10value_typeEPSL_NS1_7vsmem_tEENKUlT_SJ_SK_SL_E_clIPySE_SF_SF_EESI_SY_SJ_SK_SL_EUlSY_E_NS1_11comp_targetILNS1_3genE9ELNS1_11target_archE1100ELNS1_3gpuE3ELNS1_3repE0EEENS1_48merge_mergepath_partition_config_static_selectorELNS0_4arch9wavefront6targetE0EEEvSK_.num_named_barrier, 0
	.set _ZN7rocprim17ROCPRIM_400000_NS6detail17trampoline_kernelINS0_14default_configENS1_38merge_sort_block_merge_config_selectorIyNS0_10empty_typeEEEZZNS1_27merge_sort_block_merge_implIS3_N6thrust23THRUST_200600_302600_NS6detail15normal_iteratorINS9_10device_ptrIyEEEEPS5_m11less_div_10IyEEE10hipError_tT0_T1_T2_jT3_P12ihipStream_tbPNSt15iterator_traitsISJ_E10value_typeEPNSP_ISK_E10value_typeEPSL_NS1_7vsmem_tEENKUlT_SJ_SK_SL_E_clIPySE_SF_SF_EESI_SY_SJ_SK_SL_EUlSY_E_NS1_11comp_targetILNS1_3genE9ELNS1_11target_archE1100ELNS1_3gpuE3ELNS1_3repE0EEENS1_48merge_mergepath_partition_config_static_selectorELNS0_4arch9wavefront6targetE0EEEvSK_.private_seg_size, 0
	.set _ZN7rocprim17ROCPRIM_400000_NS6detail17trampoline_kernelINS0_14default_configENS1_38merge_sort_block_merge_config_selectorIyNS0_10empty_typeEEEZZNS1_27merge_sort_block_merge_implIS3_N6thrust23THRUST_200600_302600_NS6detail15normal_iteratorINS9_10device_ptrIyEEEEPS5_m11less_div_10IyEEE10hipError_tT0_T1_T2_jT3_P12ihipStream_tbPNSt15iterator_traitsISJ_E10value_typeEPNSP_ISK_E10value_typeEPSL_NS1_7vsmem_tEENKUlT_SJ_SK_SL_E_clIPySE_SF_SF_EESI_SY_SJ_SK_SL_EUlSY_E_NS1_11comp_targetILNS1_3genE9ELNS1_11target_archE1100ELNS1_3gpuE3ELNS1_3repE0EEENS1_48merge_mergepath_partition_config_static_selectorELNS0_4arch9wavefront6targetE0EEEvSK_.uses_vcc, 0
	.set _ZN7rocprim17ROCPRIM_400000_NS6detail17trampoline_kernelINS0_14default_configENS1_38merge_sort_block_merge_config_selectorIyNS0_10empty_typeEEEZZNS1_27merge_sort_block_merge_implIS3_N6thrust23THRUST_200600_302600_NS6detail15normal_iteratorINS9_10device_ptrIyEEEEPS5_m11less_div_10IyEEE10hipError_tT0_T1_T2_jT3_P12ihipStream_tbPNSt15iterator_traitsISJ_E10value_typeEPNSP_ISK_E10value_typeEPSL_NS1_7vsmem_tEENKUlT_SJ_SK_SL_E_clIPySE_SF_SF_EESI_SY_SJ_SK_SL_EUlSY_E_NS1_11comp_targetILNS1_3genE9ELNS1_11target_archE1100ELNS1_3gpuE3ELNS1_3repE0EEENS1_48merge_mergepath_partition_config_static_selectorELNS0_4arch9wavefront6targetE0EEEvSK_.uses_flat_scratch, 0
	.set _ZN7rocprim17ROCPRIM_400000_NS6detail17trampoline_kernelINS0_14default_configENS1_38merge_sort_block_merge_config_selectorIyNS0_10empty_typeEEEZZNS1_27merge_sort_block_merge_implIS3_N6thrust23THRUST_200600_302600_NS6detail15normal_iteratorINS9_10device_ptrIyEEEEPS5_m11less_div_10IyEEE10hipError_tT0_T1_T2_jT3_P12ihipStream_tbPNSt15iterator_traitsISJ_E10value_typeEPNSP_ISK_E10value_typeEPSL_NS1_7vsmem_tEENKUlT_SJ_SK_SL_E_clIPySE_SF_SF_EESI_SY_SJ_SK_SL_EUlSY_E_NS1_11comp_targetILNS1_3genE9ELNS1_11target_archE1100ELNS1_3gpuE3ELNS1_3repE0EEENS1_48merge_mergepath_partition_config_static_selectorELNS0_4arch9wavefront6targetE0EEEvSK_.has_dyn_sized_stack, 0
	.set _ZN7rocprim17ROCPRIM_400000_NS6detail17trampoline_kernelINS0_14default_configENS1_38merge_sort_block_merge_config_selectorIyNS0_10empty_typeEEEZZNS1_27merge_sort_block_merge_implIS3_N6thrust23THRUST_200600_302600_NS6detail15normal_iteratorINS9_10device_ptrIyEEEEPS5_m11less_div_10IyEEE10hipError_tT0_T1_T2_jT3_P12ihipStream_tbPNSt15iterator_traitsISJ_E10value_typeEPNSP_ISK_E10value_typeEPSL_NS1_7vsmem_tEENKUlT_SJ_SK_SL_E_clIPySE_SF_SF_EESI_SY_SJ_SK_SL_EUlSY_E_NS1_11comp_targetILNS1_3genE9ELNS1_11target_archE1100ELNS1_3gpuE3ELNS1_3repE0EEENS1_48merge_mergepath_partition_config_static_selectorELNS0_4arch9wavefront6targetE0EEEvSK_.has_recursion, 0
	.set _ZN7rocprim17ROCPRIM_400000_NS6detail17trampoline_kernelINS0_14default_configENS1_38merge_sort_block_merge_config_selectorIyNS0_10empty_typeEEEZZNS1_27merge_sort_block_merge_implIS3_N6thrust23THRUST_200600_302600_NS6detail15normal_iteratorINS9_10device_ptrIyEEEEPS5_m11less_div_10IyEEE10hipError_tT0_T1_T2_jT3_P12ihipStream_tbPNSt15iterator_traitsISJ_E10value_typeEPNSP_ISK_E10value_typeEPSL_NS1_7vsmem_tEENKUlT_SJ_SK_SL_E_clIPySE_SF_SF_EESI_SY_SJ_SK_SL_EUlSY_E_NS1_11comp_targetILNS1_3genE9ELNS1_11target_archE1100ELNS1_3gpuE3ELNS1_3repE0EEENS1_48merge_mergepath_partition_config_static_selectorELNS0_4arch9wavefront6targetE0EEEvSK_.has_indirect_call, 0
	.section	.AMDGPU.csdata,"",@progbits
; Kernel info:
; codeLenInByte = 0
; TotalNumSgprs: 0
; NumVgprs: 0
; ScratchSize: 0
; MemoryBound: 0
; FloatMode: 240
; IeeeMode: 1
; LDSByteSize: 0 bytes/workgroup (compile time only)
; SGPRBlocks: 0
; VGPRBlocks: 0
; NumSGPRsForWavesPerEU: 1
; NumVGPRsForWavesPerEU: 1
; Occupancy: 16
; WaveLimiterHint : 0
; COMPUTE_PGM_RSRC2:SCRATCH_EN: 0
; COMPUTE_PGM_RSRC2:USER_SGPR: 6
; COMPUTE_PGM_RSRC2:TRAP_HANDLER: 0
; COMPUTE_PGM_RSRC2:TGID_X_EN: 1
; COMPUTE_PGM_RSRC2:TGID_Y_EN: 0
; COMPUTE_PGM_RSRC2:TGID_Z_EN: 0
; COMPUTE_PGM_RSRC2:TIDIG_COMP_CNT: 0
	.section	.text._ZN7rocprim17ROCPRIM_400000_NS6detail17trampoline_kernelINS0_14default_configENS1_38merge_sort_block_merge_config_selectorIyNS0_10empty_typeEEEZZNS1_27merge_sort_block_merge_implIS3_N6thrust23THRUST_200600_302600_NS6detail15normal_iteratorINS9_10device_ptrIyEEEEPS5_m11less_div_10IyEEE10hipError_tT0_T1_T2_jT3_P12ihipStream_tbPNSt15iterator_traitsISJ_E10value_typeEPNSP_ISK_E10value_typeEPSL_NS1_7vsmem_tEENKUlT_SJ_SK_SL_E_clIPySE_SF_SF_EESI_SY_SJ_SK_SL_EUlSY_E_NS1_11comp_targetILNS1_3genE8ELNS1_11target_archE1030ELNS1_3gpuE2ELNS1_3repE0EEENS1_48merge_mergepath_partition_config_static_selectorELNS0_4arch9wavefront6targetE0EEEvSK_,"axG",@progbits,_ZN7rocprim17ROCPRIM_400000_NS6detail17trampoline_kernelINS0_14default_configENS1_38merge_sort_block_merge_config_selectorIyNS0_10empty_typeEEEZZNS1_27merge_sort_block_merge_implIS3_N6thrust23THRUST_200600_302600_NS6detail15normal_iteratorINS9_10device_ptrIyEEEEPS5_m11less_div_10IyEEE10hipError_tT0_T1_T2_jT3_P12ihipStream_tbPNSt15iterator_traitsISJ_E10value_typeEPNSP_ISK_E10value_typeEPSL_NS1_7vsmem_tEENKUlT_SJ_SK_SL_E_clIPySE_SF_SF_EESI_SY_SJ_SK_SL_EUlSY_E_NS1_11comp_targetILNS1_3genE8ELNS1_11target_archE1030ELNS1_3gpuE2ELNS1_3repE0EEENS1_48merge_mergepath_partition_config_static_selectorELNS0_4arch9wavefront6targetE0EEEvSK_,comdat
	.protected	_ZN7rocprim17ROCPRIM_400000_NS6detail17trampoline_kernelINS0_14default_configENS1_38merge_sort_block_merge_config_selectorIyNS0_10empty_typeEEEZZNS1_27merge_sort_block_merge_implIS3_N6thrust23THRUST_200600_302600_NS6detail15normal_iteratorINS9_10device_ptrIyEEEEPS5_m11less_div_10IyEEE10hipError_tT0_T1_T2_jT3_P12ihipStream_tbPNSt15iterator_traitsISJ_E10value_typeEPNSP_ISK_E10value_typeEPSL_NS1_7vsmem_tEENKUlT_SJ_SK_SL_E_clIPySE_SF_SF_EESI_SY_SJ_SK_SL_EUlSY_E_NS1_11comp_targetILNS1_3genE8ELNS1_11target_archE1030ELNS1_3gpuE2ELNS1_3repE0EEENS1_48merge_mergepath_partition_config_static_selectorELNS0_4arch9wavefront6targetE0EEEvSK_ ; -- Begin function _ZN7rocprim17ROCPRIM_400000_NS6detail17trampoline_kernelINS0_14default_configENS1_38merge_sort_block_merge_config_selectorIyNS0_10empty_typeEEEZZNS1_27merge_sort_block_merge_implIS3_N6thrust23THRUST_200600_302600_NS6detail15normal_iteratorINS9_10device_ptrIyEEEEPS5_m11less_div_10IyEEE10hipError_tT0_T1_T2_jT3_P12ihipStream_tbPNSt15iterator_traitsISJ_E10value_typeEPNSP_ISK_E10value_typeEPSL_NS1_7vsmem_tEENKUlT_SJ_SK_SL_E_clIPySE_SF_SF_EESI_SY_SJ_SK_SL_EUlSY_E_NS1_11comp_targetILNS1_3genE8ELNS1_11target_archE1030ELNS1_3gpuE2ELNS1_3repE0EEENS1_48merge_mergepath_partition_config_static_selectorELNS0_4arch9wavefront6targetE0EEEvSK_
	.globl	_ZN7rocprim17ROCPRIM_400000_NS6detail17trampoline_kernelINS0_14default_configENS1_38merge_sort_block_merge_config_selectorIyNS0_10empty_typeEEEZZNS1_27merge_sort_block_merge_implIS3_N6thrust23THRUST_200600_302600_NS6detail15normal_iteratorINS9_10device_ptrIyEEEEPS5_m11less_div_10IyEEE10hipError_tT0_T1_T2_jT3_P12ihipStream_tbPNSt15iterator_traitsISJ_E10value_typeEPNSP_ISK_E10value_typeEPSL_NS1_7vsmem_tEENKUlT_SJ_SK_SL_E_clIPySE_SF_SF_EESI_SY_SJ_SK_SL_EUlSY_E_NS1_11comp_targetILNS1_3genE8ELNS1_11target_archE1030ELNS1_3gpuE2ELNS1_3repE0EEENS1_48merge_mergepath_partition_config_static_selectorELNS0_4arch9wavefront6targetE0EEEvSK_
	.p2align	8
	.type	_ZN7rocprim17ROCPRIM_400000_NS6detail17trampoline_kernelINS0_14default_configENS1_38merge_sort_block_merge_config_selectorIyNS0_10empty_typeEEEZZNS1_27merge_sort_block_merge_implIS3_N6thrust23THRUST_200600_302600_NS6detail15normal_iteratorINS9_10device_ptrIyEEEEPS5_m11less_div_10IyEEE10hipError_tT0_T1_T2_jT3_P12ihipStream_tbPNSt15iterator_traitsISJ_E10value_typeEPNSP_ISK_E10value_typeEPSL_NS1_7vsmem_tEENKUlT_SJ_SK_SL_E_clIPySE_SF_SF_EESI_SY_SJ_SK_SL_EUlSY_E_NS1_11comp_targetILNS1_3genE8ELNS1_11target_archE1030ELNS1_3gpuE2ELNS1_3repE0EEENS1_48merge_mergepath_partition_config_static_selectorELNS0_4arch9wavefront6targetE0EEEvSK_,@function
_ZN7rocprim17ROCPRIM_400000_NS6detail17trampoline_kernelINS0_14default_configENS1_38merge_sort_block_merge_config_selectorIyNS0_10empty_typeEEEZZNS1_27merge_sort_block_merge_implIS3_N6thrust23THRUST_200600_302600_NS6detail15normal_iteratorINS9_10device_ptrIyEEEEPS5_m11less_div_10IyEEE10hipError_tT0_T1_T2_jT3_P12ihipStream_tbPNSt15iterator_traitsISJ_E10value_typeEPNSP_ISK_E10value_typeEPSL_NS1_7vsmem_tEENKUlT_SJ_SK_SL_E_clIPySE_SF_SF_EESI_SY_SJ_SK_SL_EUlSY_E_NS1_11comp_targetILNS1_3genE8ELNS1_11target_archE1030ELNS1_3gpuE2ELNS1_3repE0EEENS1_48merge_mergepath_partition_config_static_selectorELNS0_4arch9wavefront6targetE0EEEvSK_: ; @_ZN7rocprim17ROCPRIM_400000_NS6detail17trampoline_kernelINS0_14default_configENS1_38merge_sort_block_merge_config_selectorIyNS0_10empty_typeEEEZZNS1_27merge_sort_block_merge_implIS3_N6thrust23THRUST_200600_302600_NS6detail15normal_iteratorINS9_10device_ptrIyEEEEPS5_m11less_div_10IyEEE10hipError_tT0_T1_T2_jT3_P12ihipStream_tbPNSt15iterator_traitsISJ_E10value_typeEPNSP_ISK_E10value_typeEPSL_NS1_7vsmem_tEENKUlT_SJ_SK_SL_E_clIPySE_SF_SF_EESI_SY_SJ_SK_SL_EUlSY_E_NS1_11comp_targetILNS1_3genE8ELNS1_11target_archE1030ELNS1_3gpuE2ELNS1_3repE0EEENS1_48merge_mergepath_partition_config_static_selectorELNS0_4arch9wavefront6targetE0EEEvSK_
; %bb.0:
	s_load_dword s0, s[4:5], 0x0
	v_lshl_or_b32 v0, s6, 7, v0
	s_waitcnt lgkmcnt(0)
	v_cmp_gt_u32_e32 vcc_lo, s0, v0
	s_and_saveexec_b32 s0, vcc_lo
	s_cbranch_execz .LBB31_6
; %bb.1:
	s_load_dwordx4 s[0:3], s[4:5], 0x8
	v_mov_b32_e32 v2, 0
	v_mov_b32_e32 v11, v2
	s_waitcnt lgkmcnt(0)
	s_lshr_b64 s[6:7], s[0:1], 9
	s_and_b32 s6, s6, -2
	s_sub_i32 s7, 0, s6
	s_add_i32 s6, s6, -1
	v_and_b32_e32 v1, s7, v0
	v_and_b32_e32 v10, s6, v0
	v_lshlrev_b64 v[4:5], 10, v[1:2]
	v_add_co_u32 v6, vcc_lo, v4, s0
	v_add_co_ci_u32_e64 v7, null, s1, v5, vcc_lo
	v_cmp_lt_u64_e32 vcc_lo, s[2:3], v[6:7]
	v_cndmask_b32_e64 v8, v6, s2, vcc_lo
	v_cndmask_b32_e64 v9, v7, s3, vcc_lo
	v_add_co_u32 v6, vcc_lo, v8, s0
	v_add_co_ci_u32_e64 v7, null, s1, v9, vcc_lo
	v_cmp_lt_u64_e32 vcc_lo, s[2:3], v[4:5]
	s_mov_b32 s1, 0
	v_cmp_lt_u64_e64 s0, s[2:3], v[6:7]
	v_cndmask_b32_e64 v2, v4, s2, vcc_lo
	v_cndmask_b32_e64 v3, v5, s3, vcc_lo
	v_lshlrev_b64 v[4:5], 10, v[10:11]
	v_cndmask_b32_e64 v12, v6, s2, s0
	v_cndmask_b32_e64 v1, v7, s3, s0
	s_load_dwordx2 s[2:3], s[4:5], 0x28
	v_sub_co_u32 v6, vcc_lo, v12, v2
	v_sub_co_ci_u32_e64 v7, null, v1, v3, vcc_lo
	v_cmp_lt_u64_e32 vcc_lo, v[6:7], v[4:5]
	v_cndmask_b32_e32 v11, v5, v7, vcc_lo
	v_cndmask_b32_e32 v10, v4, v6, vcc_lo
	v_sub_co_u32 v4, vcc_lo, v8, v12
	v_sub_co_ci_u32_e64 v1, null, v9, v1, vcc_lo
	v_add_co_u32 v4, vcc_lo, v10, v4
	v_add_co_ci_u32_e64 v5, null, v11, v1, vcc_lo
	v_sub_co_u32 v6, vcc_lo, v8, v2
	v_sub_co_ci_u32_e64 v7, null, v9, v3, vcc_lo
	v_cmp_gt_u64_e32 vcc_lo, v[4:5], v[10:11]
	v_cmp_lt_u64_e64 s0, v[10:11], v[6:7]
	v_cndmask_b32_e64 v5, v5, 0, vcc_lo
	v_cndmask_b32_e64 v4, v4, 0, vcc_lo
	v_cndmask_b32_e64 v7, v7, v11, s0
	v_cndmask_b32_e64 v6, v6, v10, s0
	s_mov_b32 s0, exec_lo
	v_cmpx_lt_u64_e64 v[4:5], v[6:7]
	s_cbranch_execz .LBB31_5
; %bb.2:
	s_load_dwordx2 s[4:5], s[4:5], 0x18
	v_lshlrev_b64 v[8:9], 3, v[8:9]
	v_lshlrev_b64 v[12:13], 3, v[2:3]
	;; [unrolled: 1-line block ×3, first 2 shown]
	s_waitcnt lgkmcnt(0)
	v_add_co_u32 v14, vcc_lo, s4, v8
	v_add_co_ci_u32_e64 v15, null, s5, v9, vcc_lo
	v_add_co_u32 v1, vcc_lo, s4, v12
	v_add_co_ci_u32_e64 v8, null, s5, v13, vcc_lo
	;; [unrolled: 2-line block ×3, first 2 shown]
	s_inst_prefetch 0x1
	.p2align	6
.LBB31_3:                               ; =>This Inner Loop Header: Depth=1
	v_add_co_u32 v11, vcc_lo, v6, v4
	v_add_co_ci_u32_e64 v12, null, v7, v5, vcc_lo
	v_lshrrev_b64 v[11:12], 1, v[11:12]
	v_lshlrev_b64 v[13:14], 3, v[11:12]
	v_xor_b32_e32 v15, -8, v13
	v_xor_b32_e32 v16, -1, v14
	v_add_co_u32 v13, vcc_lo, v1, v13
	v_add_co_ci_u32_e64 v14, null, v8, v14, vcc_lo
	v_add_co_u32 v15, vcc_lo, v9, v15
	v_add_co_ci_u32_e64 v16, null, v10, v16, vcc_lo
	v_add_co_u32 v17, vcc_lo, v11, 1
	s_clause 0x1
	global_load_dword v13, v[13:14], off
	global_load_dword v14, v[15:16], off
	s_waitcnt vmcnt(1)
	v_mul_hi_i32 v13, 0x66666667, v13
	s_waitcnt vmcnt(0)
	v_mul_hi_i32 v14, 0x66666667, v14
	v_lshrrev_b32_e32 v15, 31, v13
	v_ashrrev_i32_e32 v13, 2, v13
	v_lshrrev_b32_e32 v16, 31, v14
	v_ashrrev_i32_e32 v14, 2, v14
	v_add_nc_u32_e32 v13, v13, v15
	v_add_co_ci_u32_e64 v15, null, 0, v12, vcc_lo
	v_add_nc_u32_e32 v14, v14, v16
	v_cmp_lt_i32_e32 vcc_lo, v14, v13
	v_cndmask_b32_e32 v7, v7, v12, vcc_lo
	v_cndmask_b32_e32 v6, v6, v11, vcc_lo
	;; [unrolled: 1-line block ×4, first 2 shown]
	v_cmp_ge_u64_e32 vcc_lo, v[4:5], v[6:7]
	s_or_b32 s1, vcc_lo, s1
	s_andn2_b32 exec_lo, exec_lo, s1
	s_cbranch_execnz .LBB31_3
; %bb.4:
	s_inst_prefetch 0x2
	s_or_b32 exec_lo, exec_lo, s1
.LBB31_5:
	s_or_b32 exec_lo, exec_lo, s0
	v_mov_b32_e32 v1, 0
	v_add_co_u32 v2, vcc_lo, v4, v2
	v_add_co_ci_u32_e64 v3, null, v5, v3, vcc_lo
	v_lshlrev_b64 v[0:1], 3, v[0:1]
	s_waitcnt lgkmcnt(0)
	v_add_co_u32 v0, vcc_lo, s2, v0
	v_add_co_ci_u32_e64 v1, null, s3, v1, vcc_lo
	global_store_dwordx2 v[0:1], v[2:3], off
.LBB31_6:
	s_endpgm
	.section	.rodata,"a",@progbits
	.p2align	6, 0x0
	.amdhsa_kernel _ZN7rocprim17ROCPRIM_400000_NS6detail17trampoline_kernelINS0_14default_configENS1_38merge_sort_block_merge_config_selectorIyNS0_10empty_typeEEEZZNS1_27merge_sort_block_merge_implIS3_N6thrust23THRUST_200600_302600_NS6detail15normal_iteratorINS9_10device_ptrIyEEEEPS5_m11less_div_10IyEEE10hipError_tT0_T1_T2_jT3_P12ihipStream_tbPNSt15iterator_traitsISJ_E10value_typeEPNSP_ISK_E10value_typeEPSL_NS1_7vsmem_tEENKUlT_SJ_SK_SL_E_clIPySE_SF_SF_EESI_SY_SJ_SK_SL_EUlSY_E_NS1_11comp_targetILNS1_3genE8ELNS1_11target_archE1030ELNS1_3gpuE2ELNS1_3repE0EEENS1_48merge_mergepath_partition_config_static_selectorELNS0_4arch9wavefront6targetE0EEEvSK_
		.amdhsa_group_segment_fixed_size 0
		.amdhsa_private_segment_fixed_size 0
		.amdhsa_kernarg_size 48
		.amdhsa_user_sgpr_count 6
		.amdhsa_user_sgpr_private_segment_buffer 1
		.amdhsa_user_sgpr_dispatch_ptr 0
		.amdhsa_user_sgpr_queue_ptr 0
		.amdhsa_user_sgpr_kernarg_segment_ptr 1
		.amdhsa_user_sgpr_dispatch_id 0
		.amdhsa_user_sgpr_flat_scratch_init 0
		.amdhsa_user_sgpr_private_segment_size 0
		.amdhsa_wavefront_size32 1
		.amdhsa_uses_dynamic_stack 0
		.amdhsa_system_sgpr_private_segment_wavefront_offset 0
		.amdhsa_system_sgpr_workgroup_id_x 1
		.amdhsa_system_sgpr_workgroup_id_y 0
		.amdhsa_system_sgpr_workgroup_id_z 0
		.amdhsa_system_sgpr_workgroup_info 0
		.amdhsa_system_vgpr_workitem_id 0
		.amdhsa_next_free_vgpr 18
		.amdhsa_next_free_sgpr 8
		.amdhsa_reserve_vcc 1
		.amdhsa_reserve_flat_scratch 0
		.amdhsa_float_round_mode_32 0
		.amdhsa_float_round_mode_16_64 0
		.amdhsa_float_denorm_mode_32 3
		.amdhsa_float_denorm_mode_16_64 3
		.amdhsa_dx10_clamp 1
		.amdhsa_ieee_mode 1
		.amdhsa_fp16_overflow 0
		.amdhsa_workgroup_processor_mode 1
		.amdhsa_memory_ordered 1
		.amdhsa_forward_progress 1
		.amdhsa_shared_vgpr_count 0
		.amdhsa_exception_fp_ieee_invalid_op 0
		.amdhsa_exception_fp_denorm_src 0
		.amdhsa_exception_fp_ieee_div_zero 0
		.amdhsa_exception_fp_ieee_overflow 0
		.amdhsa_exception_fp_ieee_underflow 0
		.amdhsa_exception_fp_ieee_inexact 0
		.amdhsa_exception_int_div_zero 0
	.end_amdhsa_kernel
	.section	.text._ZN7rocprim17ROCPRIM_400000_NS6detail17trampoline_kernelINS0_14default_configENS1_38merge_sort_block_merge_config_selectorIyNS0_10empty_typeEEEZZNS1_27merge_sort_block_merge_implIS3_N6thrust23THRUST_200600_302600_NS6detail15normal_iteratorINS9_10device_ptrIyEEEEPS5_m11less_div_10IyEEE10hipError_tT0_T1_T2_jT3_P12ihipStream_tbPNSt15iterator_traitsISJ_E10value_typeEPNSP_ISK_E10value_typeEPSL_NS1_7vsmem_tEENKUlT_SJ_SK_SL_E_clIPySE_SF_SF_EESI_SY_SJ_SK_SL_EUlSY_E_NS1_11comp_targetILNS1_3genE8ELNS1_11target_archE1030ELNS1_3gpuE2ELNS1_3repE0EEENS1_48merge_mergepath_partition_config_static_selectorELNS0_4arch9wavefront6targetE0EEEvSK_,"axG",@progbits,_ZN7rocprim17ROCPRIM_400000_NS6detail17trampoline_kernelINS0_14default_configENS1_38merge_sort_block_merge_config_selectorIyNS0_10empty_typeEEEZZNS1_27merge_sort_block_merge_implIS3_N6thrust23THRUST_200600_302600_NS6detail15normal_iteratorINS9_10device_ptrIyEEEEPS5_m11less_div_10IyEEE10hipError_tT0_T1_T2_jT3_P12ihipStream_tbPNSt15iterator_traitsISJ_E10value_typeEPNSP_ISK_E10value_typeEPSL_NS1_7vsmem_tEENKUlT_SJ_SK_SL_E_clIPySE_SF_SF_EESI_SY_SJ_SK_SL_EUlSY_E_NS1_11comp_targetILNS1_3genE8ELNS1_11target_archE1030ELNS1_3gpuE2ELNS1_3repE0EEENS1_48merge_mergepath_partition_config_static_selectorELNS0_4arch9wavefront6targetE0EEEvSK_,comdat
.Lfunc_end31:
	.size	_ZN7rocprim17ROCPRIM_400000_NS6detail17trampoline_kernelINS0_14default_configENS1_38merge_sort_block_merge_config_selectorIyNS0_10empty_typeEEEZZNS1_27merge_sort_block_merge_implIS3_N6thrust23THRUST_200600_302600_NS6detail15normal_iteratorINS9_10device_ptrIyEEEEPS5_m11less_div_10IyEEE10hipError_tT0_T1_T2_jT3_P12ihipStream_tbPNSt15iterator_traitsISJ_E10value_typeEPNSP_ISK_E10value_typeEPSL_NS1_7vsmem_tEENKUlT_SJ_SK_SL_E_clIPySE_SF_SF_EESI_SY_SJ_SK_SL_EUlSY_E_NS1_11comp_targetILNS1_3genE8ELNS1_11target_archE1030ELNS1_3gpuE2ELNS1_3repE0EEENS1_48merge_mergepath_partition_config_static_selectorELNS0_4arch9wavefront6targetE0EEEvSK_, .Lfunc_end31-_ZN7rocprim17ROCPRIM_400000_NS6detail17trampoline_kernelINS0_14default_configENS1_38merge_sort_block_merge_config_selectorIyNS0_10empty_typeEEEZZNS1_27merge_sort_block_merge_implIS3_N6thrust23THRUST_200600_302600_NS6detail15normal_iteratorINS9_10device_ptrIyEEEEPS5_m11less_div_10IyEEE10hipError_tT0_T1_T2_jT3_P12ihipStream_tbPNSt15iterator_traitsISJ_E10value_typeEPNSP_ISK_E10value_typeEPSL_NS1_7vsmem_tEENKUlT_SJ_SK_SL_E_clIPySE_SF_SF_EESI_SY_SJ_SK_SL_EUlSY_E_NS1_11comp_targetILNS1_3genE8ELNS1_11target_archE1030ELNS1_3gpuE2ELNS1_3repE0EEENS1_48merge_mergepath_partition_config_static_selectorELNS0_4arch9wavefront6targetE0EEEvSK_
                                        ; -- End function
	.set _ZN7rocprim17ROCPRIM_400000_NS6detail17trampoline_kernelINS0_14default_configENS1_38merge_sort_block_merge_config_selectorIyNS0_10empty_typeEEEZZNS1_27merge_sort_block_merge_implIS3_N6thrust23THRUST_200600_302600_NS6detail15normal_iteratorINS9_10device_ptrIyEEEEPS5_m11less_div_10IyEEE10hipError_tT0_T1_T2_jT3_P12ihipStream_tbPNSt15iterator_traitsISJ_E10value_typeEPNSP_ISK_E10value_typeEPSL_NS1_7vsmem_tEENKUlT_SJ_SK_SL_E_clIPySE_SF_SF_EESI_SY_SJ_SK_SL_EUlSY_E_NS1_11comp_targetILNS1_3genE8ELNS1_11target_archE1030ELNS1_3gpuE2ELNS1_3repE0EEENS1_48merge_mergepath_partition_config_static_selectorELNS0_4arch9wavefront6targetE0EEEvSK_.num_vgpr, 18
	.set _ZN7rocprim17ROCPRIM_400000_NS6detail17trampoline_kernelINS0_14default_configENS1_38merge_sort_block_merge_config_selectorIyNS0_10empty_typeEEEZZNS1_27merge_sort_block_merge_implIS3_N6thrust23THRUST_200600_302600_NS6detail15normal_iteratorINS9_10device_ptrIyEEEEPS5_m11less_div_10IyEEE10hipError_tT0_T1_T2_jT3_P12ihipStream_tbPNSt15iterator_traitsISJ_E10value_typeEPNSP_ISK_E10value_typeEPSL_NS1_7vsmem_tEENKUlT_SJ_SK_SL_E_clIPySE_SF_SF_EESI_SY_SJ_SK_SL_EUlSY_E_NS1_11comp_targetILNS1_3genE8ELNS1_11target_archE1030ELNS1_3gpuE2ELNS1_3repE0EEENS1_48merge_mergepath_partition_config_static_selectorELNS0_4arch9wavefront6targetE0EEEvSK_.num_agpr, 0
	.set _ZN7rocprim17ROCPRIM_400000_NS6detail17trampoline_kernelINS0_14default_configENS1_38merge_sort_block_merge_config_selectorIyNS0_10empty_typeEEEZZNS1_27merge_sort_block_merge_implIS3_N6thrust23THRUST_200600_302600_NS6detail15normal_iteratorINS9_10device_ptrIyEEEEPS5_m11less_div_10IyEEE10hipError_tT0_T1_T2_jT3_P12ihipStream_tbPNSt15iterator_traitsISJ_E10value_typeEPNSP_ISK_E10value_typeEPSL_NS1_7vsmem_tEENKUlT_SJ_SK_SL_E_clIPySE_SF_SF_EESI_SY_SJ_SK_SL_EUlSY_E_NS1_11comp_targetILNS1_3genE8ELNS1_11target_archE1030ELNS1_3gpuE2ELNS1_3repE0EEENS1_48merge_mergepath_partition_config_static_selectorELNS0_4arch9wavefront6targetE0EEEvSK_.numbered_sgpr, 8
	.set _ZN7rocprim17ROCPRIM_400000_NS6detail17trampoline_kernelINS0_14default_configENS1_38merge_sort_block_merge_config_selectorIyNS0_10empty_typeEEEZZNS1_27merge_sort_block_merge_implIS3_N6thrust23THRUST_200600_302600_NS6detail15normal_iteratorINS9_10device_ptrIyEEEEPS5_m11less_div_10IyEEE10hipError_tT0_T1_T2_jT3_P12ihipStream_tbPNSt15iterator_traitsISJ_E10value_typeEPNSP_ISK_E10value_typeEPSL_NS1_7vsmem_tEENKUlT_SJ_SK_SL_E_clIPySE_SF_SF_EESI_SY_SJ_SK_SL_EUlSY_E_NS1_11comp_targetILNS1_3genE8ELNS1_11target_archE1030ELNS1_3gpuE2ELNS1_3repE0EEENS1_48merge_mergepath_partition_config_static_selectorELNS0_4arch9wavefront6targetE0EEEvSK_.num_named_barrier, 0
	.set _ZN7rocprim17ROCPRIM_400000_NS6detail17trampoline_kernelINS0_14default_configENS1_38merge_sort_block_merge_config_selectorIyNS0_10empty_typeEEEZZNS1_27merge_sort_block_merge_implIS3_N6thrust23THRUST_200600_302600_NS6detail15normal_iteratorINS9_10device_ptrIyEEEEPS5_m11less_div_10IyEEE10hipError_tT0_T1_T2_jT3_P12ihipStream_tbPNSt15iterator_traitsISJ_E10value_typeEPNSP_ISK_E10value_typeEPSL_NS1_7vsmem_tEENKUlT_SJ_SK_SL_E_clIPySE_SF_SF_EESI_SY_SJ_SK_SL_EUlSY_E_NS1_11comp_targetILNS1_3genE8ELNS1_11target_archE1030ELNS1_3gpuE2ELNS1_3repE0EEENS1_48merge_mergepath_partition_config_static_selectorELNS0_4arch9wavefront6targetE0EEEvSK_.private_seg_size, 0
	.set _ZN7rocprim17ROCPRIM_400000_NS6detail17trampoline_kernelINS0_14default_configENS1_38merge_sort_block_merge_config_selectorIyNS0_10empty_typeEEEZZNS1_27merge_sort_block_merge_implIS3_N6thrust23THRUST_200600_302600_NS6detail15normal_iteratorINS9_10device_ptrIyEEEEPS5_m11less_div_10IyEEE10hipError_tT0_T1_T2_jT3_P12ihipStream_tbPNSt15iterator_traitsISJ_E10value_typeEPNSP_ISK_E10value_typeEPSL_NS1_7vsmem_tEENKUlT_SJ_SK_SL_E_clIPySE_SF_SF_EESI_SY_SJ_SK_SL_EUlSY_E_NS1_11comp_targetILNS1_3genE8ELNS1_11target_archE1030ELNS1_3gpuE2ELNS1_3repE0EEENS1_48merge_mergepath_partition_config_static_selectorELNS0_4arch9wavefront6targetE0EEEvSK_.uses_vcc, 1
	.set _ZN7rocprim17ROCPRIM_400000_NS6detail17trampoline_kernelINS0_14default_configENS1_38merge_sort_block_merge_config_selectorIyNS0_10empty_typeEEEZZNS1_27merge_sort_block_merge_implIS3_N6thrust23THRUST_200600_302600_NS6detail15normal_iteratorINS9_10device_ptrIyEEEEPS5_m11less_div_10IyEEE10hipError_tT0_T1_T2_jT3_P12ihipStream_tbPNSt15iterator_traitsISJ_E10value_typeEPNSP_ISK_E10value_typeEPSL_NS1_7vsmem_tEENKUlT_SJ_SK_SL_E_clIPySE_SF_SF_EESI_SY_SJ_SK_SL_EUlSY_E_NS1_11comp_targetILNS1_3genE8ELNS1_11target_archE1030ELNS1_3gpuE2ELNS1_3repE0EEENS1_48merge_mergepath_partition_config_static_selectorELNS0_4arch9wavefront6targetE0EEEvSK_.uses_flat_scratch, 0
	.set _ZN7rocprim17ROCPRIM_400000_NS6detail17trampoline_kernelINS0_14default_configENS1_38merge_sort_block_merge_config_selectorIyNS0_10empty_typeEEEZZNS1_27merge_sort_block_merge_implIS3_N6thrust23THRUST_200600_302600_NS6detail15normal_iteratorINS9_10device_ptrIyEEEEPS5_m11less_div_10IyEEE10hipError_tT0_T1_T2_jT3_P12ihipStream_tbPNSt15iterator_traitsISJ_E10value_typeEPNSP_ISK_E10value_typeEPSL_NS1_7vsmem_tEENKUlT_SJ_SK_SL_E_clIPySE_SF_SF_EESI_SY_SJ_SK_SL_EUlSY_E_NS1_11comp_targetILNS1_3genE8ELNS1_11target_archE1030ELNS1_3gpuE2ELNS1_3repE0EEENS1_48merge_mergepath_partition_config_static_selectorELNS0_4arch9wavefront6targetE0EEEvSK_.has_dyn_sized_stack, 0
	.set _ZN7rocprim17ROCPRIM_400000_NS6detail17trampoline_kernelINS0_14default_configENS1_38merge_sort_block_merge_config_selectorIyNS0_10empty_typeEEEZZNS1_27merge_sort_block_merge_implIS3_N6thrust23THRUST_200600_302600_NS6detail15normal_iteratorINS9_10device_ptrIyEEEEPS5_m11less_div_10IyEEE10hipError_tT0_T1_T2_jT3_P12ihipStream_tbPNSt15iterator_traitsISJ_E10value_typeEPNSP_ISK_E10value_typeEPSL_NS1_7vsmem_tEENKUlT_SJ_SK_SL_E_clIPySE_SF_SF_EESI_SY_SJ_SK_SL_EUlSY_E_NS1_11comp_targetILNS1_3genE8ELNS1_11target_archE1030ELNS1_3gpuE2ELNS1_3repE0EEENS1_48merge_mergepath_partition_config_static_selectorELNS0_4arch9wavefront6targetE0EEEvSK_.has_recursion, 0
	.set _ZN7rocprim17ROCPRIM_400000_NS6detail17trampoline_kernelINS0_14default_configENS1_38merge_sort_block_merge_config_selectorIyNS0_10empty_typeEEEZZNS1_27merge_sort_block_merge_implIS3_N6thrust23THRUST_200600_302600_NS6detail15normal_iteratorINS9_10device_ptrIyEEEEPS5_m11less_div_10IyEEE10hipError_tT0_T1_T2_jT3_P12ihipStream_tbPNSt15iterator_traitsISJ_E10value_typeEPNSP_ISK_E10value_typeEPSL_NS1_7vsmem_tEENKUlT_SJ_SK_SL_E_clIPySE_SF_SF_EESI_SY_SJ_SK_SL_EUlSY_E_NS1_11comp_targetILNS1_3genE8ELNS1_11target_archE1030ELNS1_3gpuE2ELNS1_3repE0EEENS1_48merge_mergepath_partition_config_static_selectorELNS0_4arch9wavefront6targetE0EEEvSK_.has_indirect_call, 0
	.section	.AMDGPU.csdata,"",@progbits
; Kernel info:
; codeLenInByte = 720
; TotalNumSgprs: 10
; NumVgprs: 18
; ScratchSize: 0
; MemoryBound: 0
; FloatMode: 240
; IeeeMode: 1
; LDSByteSize: 0 bytes/workgroup (compile time only)
; SGPRBlocks: 0
; VGPRBlocks: 2
; NumSGPRsForWavesPerEU: 10
; NumVGPRsForWavesPerEU: 18
; Occupancy: 16
; WaveLimiterHint : 0
; COMPUTE_PGM_RSRC2:SCRATCH_EN: 0
; COMPUTE_PGM_RSRC2:USER_SGPR: 6
; COMPUTE_PGM_RSRC2:TRAP_HANDLER: 0
; COMPUTE_PGM_RSRC2:TGID_X_EN: 1
; COMPUTE_PGM_RSRC2:TGID_Y_EN: 0
; COMPUTE_PGM_RSRC2:TGID_Z_EN: 0
; COMPUTE_PGM_RSRC2:TIDIG_COMP_CNT: 0
	.section	.text._ZN7rocprim17ROCPRIM_400000_NS6detail17trampoline_kernelINS0_14default_configENS1_38merge_sort_block_merge_config_selectorIyNS0_10empty_typeEEEZZNS1_27merge_sort_block_merge_implIS3_N6thrust23THRUST_200600_302600_NS6detail15normal_iteratorINS9_10device_ptrIyEEEEPS5_m11less_div_10IyEEE10hipError_tT0_T1_T2_jT3_P12ihipStream_tbPNSt15iterator_traitsISJ_E10value_typeEPNSP_ISK_E10value_typeEPSL_NS1_7vsmem_tEENKUlT_SJ_SK_SL_E_clIPySE_SF_SF_EESI_SY_SJ_SK_SL_EUlSY_E0_NS1_11comp_targetILNS1_3genE0ELNS1_11target_archE4294967295ELNS1_3gpuE0ELNS1_3repE0EEENS1_38merge_mergepath_config_static_selectorELNS0_4arch9wavefront6targetE0EEEvSK_,"axG",@progbits,_ZN7rocprim17ROCPRIM_400000_NS6detail17trampoline_kernelINS0_14default_configENS1_38merge_sort_block_merge_config_selectorIyNS0_10empty_typeEEEZZNS1_27merge_sort_block_merge_implIS3_N6thrust23THRUST_200600_302600_NS6detail15normal_iteratorINS9_10device_ptrIyEEEEPS5_m11less_div_10IyEEE10hipError_tT0_T1_T2_jT3_P12ihipStream_tbPNSt15iterator_traitsISJ_E10value_typeEPNSP_ISK_E10value_typeEPSL_NS1_7vsmem_tEENKUlT_SJ_SK_SL_E_clIPySE_SF_SF_EESI_SY_SJ_SK_SL_EUlSY_E0_NS1_11comp_targetILNS1_3genE0ELNS1_11target_archE4294967295ELNS1_3gpuE0ELNS1_3repE0EEENS1_38merge_mergepath_config_static_selectorELNS0_4arch9wavefront6targetE0EEEvSK_,comdat
	.protected	_ZN7rocprim17ROCPRIM_400000_NS6detail17trampoline_kernelINS0_14default_configENS1_38merge_sort_block_merge_config_selectorIyNS0_10empty_typeEEEZZNS1_27merge_sort_block_merge_implIS3_N6thrust23THRUST_200600_302600_NS6detail15normal_iteratorINS9_10device_ptrIyEEEEPS5_m11less_div_10IyEEE10hipError_tT0_T1_T2_jT3_P12ihipStream_tbPNSt15iterator_traitsISJ_E10value_typeEPNSP_ISK_E10value_typeEPSL_NS1_7vsmem_tEENKUlT_SJ_SK_SL_E_clIPySE_SF_SF_EESI_SY_SJ_SK_SL_EUlSY_E0_NS1_11comp_targetILNS1_3genE0ELNS1_11target_archE4294967295ELNS1_3gpuE0ELNS1_3repE0EEENS1_38merge_mergepath_config_static_selectorELNS0_4arch9wavefront6targetE0EEEvSK_ ; -- Begin function _ZN7rocprim17ROCPRIM_400000_NS6detail17trampoline_kernelINS0_14default_configENS1_38merge_sort_block_merge_config_selectorIyNS0_10empty_typeEEEZZNS1_27merge_sort_block_merge_implIS3_N6thrust23THRUST_200600_302600_NS6detail15normal_iteratorINS9_10device_ptrIyEEEEPS5_m11less_div_10IyEEE10hipError_tT0_T1_T2_jT3_P12ihipStream_tbPNSt15iterator_traitsISJ_E10value_typeEPNSP_ISK_E10value_typeEPSL_NS1_7vsmem_tEENKUlT_SJ_SK_SL_E_clIPySE_SF_SF_EESI_SY_SJ_SK_SL_EUlSY_E0_NS1_11comp_targetILNS1_3genE0ELNS1_11target_archE4294967295ELNS1_3gpuE0ELNS1_3repE0EEENS1_38merge_mergepath_config_static_selectorELNS0_4arch9wavefront6targetE0EEEvSK_
	.globl	_ZN7rocprim17ROCPRIM_400000_NS6detail17trampoline_kernelINS0_14default_configENS1_38merge_sort_block_merge_config_selectorIyNS0_10empty_typeEEEZZNS1_27merge_sort_block_merge_implIS3_N6thrust23THRUST_200600_302600_NS6detail15normal_iteratorINS9_10device_ptrIyEEEEPS5_m11less_div_10IyEEE10hipError_tT0_T1_T2_jT3_P12ihipStream_tbPNSt15iterator_traitsISJ_E10value_typeEPNSP_ISK_E10value_typeEPSL_NS1_7vsmem_tEENKUlT_SJ_SK_SL_E_clIPySE_SF_SF_EESI_SY_SJ_SK_SL_EUlSY_E0_NS1_11comp_targetILNS1_3genE0ELNS1_11target_archE4294967295ELNS1_3gpuE0ELNS1_3repE0EEENS1_38merge_mergepath_config_static_selectorELNS0_4arch9wavefront6targetE0EEEvSK_
	.p2align	8
	.type	_ZN7rocprim17ROCPRIM_400000_NS6detail17trampoline_kernelINS0_14default_configENS1_38merge_sort_block_merge_config_selectorIyNS0_10empty_typeEEEZZNS1_27merge_sort_block_merge_implIS3_N6thrust23THRUST_200600_302600_NS6detail15normal_iteratorINS9_10device_ptrIyEEEEPS5_m11less_div_10IyEEE10hipError_tT0_T1_T2_jT3_P12ihipStream_tbPNSt15iterator_traitsISJ_E10value_typeEPNSP_ISK_E10value_typeEPSL_NS1_7vsmem_tEENKUlT_SJ_SK_SL_E_clIPySE_SF_SF_EESI_SY_SJ_SK_SL_EUlSY_E0_NS1_11comp_targetILNS1_3genE0ELNS1_11target_archE4294967295ELNS1_3gpuE0ELNS1_3repE0EEENS1_38merge_mergepath_config_static_selectorELNS0_4arch9wavefront6targetE0EEEvSK_,@function
_ZN7rocprim17ROCPRIM_400000_NS6detail17trampoline_kernelINS0_14default_configENS1_38merge_sort_block_merge_config_selectorIyNS0_10empty_typeEEEZZNS1_27merge_sort_block_merge_implIS3_N6thrust23THRUST_200600_302600_NS6detail15normal_iteratorINS9_10device_ptrIyEEEEPS5_m11less_div_10IyEEE10hipError_tT0_T1_T2_jT3_P12ihipStream_tbPNSt15iterator_traitsISJ_E10value_typeEPNSP_ISK_E10value_typeEPSL_NS1_7vsmem_tEENKUlT_SJ_SK_SL_E_clIPySE_SF_SF_EESI_SY_SJ_SK_SL_EUlSY_E0_NS1_11comp_targetILNS1_3genE0ELNS1_11target_archE4294967295ELNS1_3gpuE0ELNS1_3repE0EEENS1_38merge_mergepath_config_static_selectorELNS0_4arch9wavefront6targetE0EEEvSK_: ; @_ZN7rocprim17ROCPRIM_400000_NS6detail17trampoline_kernelINS0_14default_configENS1_38merge_sort_block_merge_config_selectorIyNS0_10empty_typeEEEZZNS1_27merge_sort_block_merge_implIS3_N6thrust23THRUST_200600_302600_NS6detail15normal_iteratorINS9_10device_ptrIyEEEEPS5_m11less_div_10IyEEE10hipError_tT0_T1_T2_jT3_P12ihipStream_tbPNSt15iterator_traitsISJ_E10value_typeEPNSP_ISK_E10value_typeEPSL_NS1_7vsmem_tEENKUlT_SJ_SK_SL_E_clIPySE_SF_SF_EESI_SY_SJ_SK_SL_EUlSY_E0_NS1_11comp_targetILNS1_3genE0ELNS1_11target_archE4294967295ELNS1_3gpuE0ELNS1_3repE0EEENS1_38merge_mergepath_config_static_selectorELNS0_4arch9wavefront6targetE0EEEvSK_
; %bb.0:
	.section	.rodata,"a",@progbits
	.p2align	6, 0x0
	.amdhsa_kernel _ZN7rocprim17ROCPRIM_400000_NS6detail17trampoline_kernelINS0_14default_configENS1_38merge_sort_block_merge_config_selectorIyNS0_10empty_typeEEEZZNS1_27merge_sort_block_merge_implIS3_N6thrust23THRUST_200600_302600_NS6detail15normal_iteratorINS9_10device_ptrIyEEEEPS5_m11less_div_10IyEEE10hipError_tT0_T1_T2_jT3_P12ihipStream_tbPNSt15iterator_traitsISJ_E10value_typeEPNSP_ISK_E10value_typeEPSL_NS1_7vsmem_tEENKUlT_SJ_SK_SL_E_clIPySE_SF_SF_EESI_SY_SJ_SK_SL_EUlSY_E0_NS1_11comp_targetILNS1_3genE0ELNS1_11target_archE4294967295ELNS1_3gpuE0ELNS1_3repE0EEENS1_38merge_mergepath_config_static_selectorELNS0_4arch9wavefront6targetE0EEEvSK_
		.amdhsa_group_segment_fixed_size 0
		.amdhsa_private_segment_fixed_size 0
		.amdhsa_kernarg_size 72
		.amdhsa_user_sgpr_count 6
		.amdhsa_user_sgpr_private_segment_buffer 1
		.amdhsa_user_sgpr_dispatch_ptr 0
		.amdhsa_user_sgpr_queue_ptr 0
		.amdhsa_user_sgpr_kernarg_segment_ptr 1
		.amdhsa_user_sgpr_dispatch_id 0
		.amdhsa_user_sgpr_flat_scratch_init 0
		.amdhsa_user_sgpr_private_segment_size 0
		.amdhsa_wavefront_size32 1
		.amdhsa_uses_dynamic_stack 0
		.amdhsa_system_sgpr_private_segment_wavefront_offset 0
		.amdhsa_system_sgpr_workgroup_id_x 1
		.amdhsa_system_sgpr_workgroup_id_y 0
		.amdhsa_system_sgpr_workgroup_id_z 0
		.amdhsa_system_sgpr_workgroup_info 0
		.amdhsa_system_vgpr_workitem_id 0
		.amdhsa_next_free_vgpr 1
		.amdhsa_next_free_sgpr 1
		.amdhsa_reserve_vcc 0
		.amdhsa_reserve_flat_scratch 0
		.amdhsa_float_round_mode_32 0
		.amdhsa_float_round_mode_16_64 0
		.amdhsa_float_denorm_mode_32 3
		.amdhsa_float_denorm_mode_16_64 3
		.amdhsa_dx10_clamp 1
		.amdhsa_ieee_mode 1
		.amdhsa_fp16_overflow 0
		.amdhsa_workgroup_processor_mode 1
		.amdhsa_memory_ordered 1
		.amdhsa_forward_progress 1
		.amdhsa_shared_vgpr_count 0
		.amdhsa_exception_fp_ieee_invalid_op 0
		.amdhsa_exception_fp_denorm_src 0
		.amdhsa_exception_fp_ieee_div_zero 0
		.amdhsa_exception_fp_ieee_overflow 0
		.amdhsa_exception_fp_ieee_underflow 0
		.amdhsa_exception_fp_ieee_inexact 0
		.amdhsa_exception_int_div_zero 0
	.end_amdhsa_kernel
	.section	.text._ZN7rocprim17ROCPRIM_400000_NS6detail17trampoline_kernelINS0_14default_configENS1_38merge_sort_block_merge_config_selectorIyNS0_10empty_typeEEEZZNS1_27merge_sort_block_merge_implIS3_N6thrust23THRUST_200600_302600_NS6detail15normal_iteratorINS9_10device_ptrIyEEEEPS5_m11less_div_10IyEEE10hipError_tT0_T1_T2_jT3_P12ihipStream_tbPNSt15iterator_traitsISJ_E10value_typeEPNSP_ISK_E10value_typeEPSL_NS1_7vsmem_tEENKUlT_SJ_SK_SL_E_clIPySE_SF_SF_EESI_SY_SJ_SK_SL_EUlSY_E0_NS1_11comp_targetILNS1_3genE0ELNS1_11target_archE4294967295ELNS1_3gpuE0ELNS1_3repE0EEENS1_38merge_mergepath_config_static_selectorELNS0_4arch9wavefront6targetE0EEEvSK_,"axG",@progbits,_ZN7rocprim17ROCPRIM_400000_NS6detail17trampoline_kernelINS0_14default_configENS1_38merge_sort_block_merge_config_selectorIyNS0_10empty_typeEEEZZNS1_27merge_sort_block_merge_implIS3_N6thrust23THRUST_200600_302600_NS6detail15normal_iteratorINS9_10device_ptrIyEEEEPS5_m11less_div_10IyEEE10hipError_tT0_T1_T2_jT3_P12ihipStream_tbPNSt15iterator_traitsISJ_E10value_typeEPNSP_ISK_E10value_typeEPSL_NS1_7vsmem_tEENKUlT_SJ_SK_SL_E_clIPySE_SF_SF_EESI_SY_SJ_SK_SL_EUlSY_E0_NS1_11comp_targetILNS1_3genE0ELNS1_11target_archE4294967295ELNS1_3gpuE0ELNS1_3repE0EEENS1_38merge_mergepath_config_static_selectorELNS0_4arch9wavefront6targetE0EEEvSK_,comdat
.Lfunc_end32:
	.size	_ZN7rocprim17ROCPRIM_400000_NS6detail17trampoline_kernelINS0_14default_configENS1_38merge_sort_block_merge_config_selectorIyNS0_10empty_typeEEEZZNS1_27merge_sort_block_merge_implIS3_N6thrust23THRUST_200600_302600_NS6detail15normal_iteratorINS9_10device_ptrIyEEEEPS5_m11less_div_10IyEEE10hipError_tT0_T1_T2_jT3_P12ihipStream_tbPNSt15iterator_traitsISJ_E10value_typeEPNSP_ISK_E10value_typeEPSL_NS1_7vsmem_tEENKUlT_SJ_SK_SL_E_clIPySE_SF_SF_EESI_SY_SJ_SK_SL_EUlSY_E0_NS1_11comp_targetILNS1_3genE0ELNS1_11target_archE4294967295ELNS1_3gpuE0ELNS1_3repE0EEENS1_38merge_mergepath_config_static_selectorELNS0_4arch9wavefront6targetE0EEEvSK_, .Lfunc_end32-_ZN7rocprim17ROCPRIM_400000_NS6detail17trampoline_kernelINS0_14default_configENS1_38merge_sort_block_merge_config_selectorIyNS0_10empty_typeEEEZZNS1_27merge_sort_block_merge_implIS3_N6thrust23THRUST_200600_302600_NS6detail15normal_iteratorINS9_10device_ptrIyEEEEPS5_m11less_div_10IyEEE10hipError_tT0_T1_T2_jT3_P12ihipStream_tbPNSt15iterator_traitsISJ_E10value_typeEPNSP_ISK_E10value_typeEPSL_NS1_7vsmem_tEENKUlT_SJ_SK_SL_E_clIPySE_SF_SF_EESI_SY_SJ_SK_SL_EUlSY_E0_NS1_11comp_targetILNS1_3genE0ELNS1_11target_archE4294967295ELNS1_3gpuE0ELNS1_3repE0EEENS1_38merge_mergepath_config_static_selectorELNS0_4arch9wavefront6targetE0EEEvSK_
                                        ; -- End function
	.set _ZN7rocprim17ROCPRIM_400000_NS6detail17trampoline_kernelINS0_14default_configENS1_38merge_sort_block_merge_config_selectorIyNS0_10empty_typeEEEZZNS1_27merge_sort_block_merge_implIS3_N6thrust23THRUST_200600_302600_NS6detail15normal_iteratorINS9_10device_ptrIyEEEEPS5_m11less_div_10IyEEE10hipError_tT0_T1_T2_jT3_P12ihipStream_tbPNSt15iterator_traitsISJ_E10value_typeEPNSP_ISK_E10value_typeEPSL_NS1_7vsmem_tEENKUlT_SJ_SK_SL_E_clIPySE_SF_SF_EESI_SY_SJ_SK_SL_EUlSY_E0_NS1_11comp_targetILNS1_3genE0ELNS1_11target_archE4294967295ELNS1_3gpuE0ELNS1_3repE0EEENS1_38merge_mergepath_config_static_selectorELNS0_4arch9wavefront6targetE0EEEvSK_.num_vgpr, 0
	.set _ZN7rocprim17ROCPRIM_400000_NS6detail17trampoline_kernelINS0_14default_configENS1_38merge_sort_block_merge_config_selectorIyNS0_10empty_typeEEEZZNS1_27merge_sort_block_merge_implIS3_N6thrust23THRUST_200600_302600_NS6detail15normal_iteratorINS9_10device_ptrIyEEEEPS5_m11less_div_10IyEEE10hipError_tT0_T1_T2_jT3_P12ihipStream_tbPNSt15iterator_traitsISJ_E10value_typeEPNSP_ISK_E10value_typeEPSL_NS1_7vsmem_tEENKUlT_SJ_SK_SL_E_clIPySE_SF_SF_EESI_SY_SJ_SK_SL_EUlSY_E0_NS1_11comp_targetILNS1_3genE0ELNS1_11target_archE4294967295ELNS1_3gpuE0ELNS1_3repE0EEENS1_38merge_mergepath_config_static_selectorELNS0_4arch9wavefront6targetE0EEEvSK_.num_agpr, 0
	.set _ZN7rocprim17ROCPRIM_400000_NS6detail17trampoline_kernelINS0_14default_configENS1_38merge_sort_block_merge_config_selectorIyNS0_10empty_typeEEEZZNS1_27merge_sort_block_merge_implIS3_N6thrust23THRUST_200600_302600_NS6detail15normal_iteratorINS9_10device_ptrIyEEEEPS5_m11less_div_10IyEEE10hipError_tT0_T1_T2_jT3_P12ihipStream_tbPNSt15iterator_traitsISJ_E10value_typeEPNSP_ISK_E10value_typeEPSL_NS1_7vsmem_tEENKUlT_SJ_SK_SL_E_clIPySE_SF_SF_EESI_SY_SJ_SK_SL_EUlSY_E0_NS1_11comp_targetILNS1_3genE0ELNS1_11target_archE4294967295ELNS1_3gpuE0ELNS1_3repE0EEENS1_38merge_mergepath_config_static_selectorELNS0_4arch9wavefront6targetE0EEEvSK_.numbered_sgpr, 0
	.set _ZN7rocprim17ROCPRIM_400000_NS6detail17trampoline_kernelINS0_14default_configENS1_38merge_sort_block_merge_config_selectorIyNS0_10empty_typeEEEZZNS1_27merge_sort_block_merge_implIS3_N6thrust23THRUST_200600_302600_NS6detail15normal_iteratorINS9_10device_ptrIyEEEEPS5_m11less_div_10IyEEE10hipError_tT0_T1_T2_jT3_P12ihipStream_tbPNSt15iterator_traitsISJ_E10value_typeEPNSP_ISK_E10value_typeEPSL_NS1_7vsmem_tEENKUlT_SJ_SK_SL_E_clIPySE_SF_SF_EESI_SY_SJ_SK_SL_EUlSY_E0_NS1_11comp_targetILNS1_3genE0ELNS1_11target_archE4294967295ELNS1_3gpuE0ELNS1_3repE0EEENS1_38merge_mergepath_config_static_selectorELNS0_4arch9wavefront6targetE0EEEvSK_.num_named_barrier, 0
	.set _ZN7rocprim17ROCPRIM_400000_NS6detail17trampoline_kernelINS0_14default_configENS1_38merge_sort_block_merge_config_selectorIyNS0_10empty_typeEEEZZNS1_27merge_sort_block_merge_implIS3_N6thrust23THRUST_200600_302600_NS6detail15normal_iteratorINS9_10device_ptrIyEEEEPS5_m11less_div_10IyEEE10hipError_tT0_T1_T2_jT3_P12ihipStream_tbPNSt15iterator_traitsISJ_E10value_typeEPNSP_ISK_E10value_typeEPSL_NS1_7vsmem_tEENKUlT_SJ_SK_SL_E_clIPySE_SF_SF_EESI_SY_SJ_SK_SL_EUlSY_E0_NS1_11comp_targetILNS1_3genE0ELNS1_11target_archE4294967295ELNS1_3gpuE0ELNS1_3repE0EEENS1_38merge_mergepath_config_static_selectorELNS0_4arch9wavefront6targetE0EEEvSK_.private_seg_size, 0
	.set _ZN7rocprim17ROCPRIM_400000_NS6detail17trampoline_kernelINS0_14default_configENS1_38merge_sort_block_merge_config_selectorIyNS0_10empty_typeEEEZZNS1_27merge_sort_block_merge_implIS3_N6thrust23THRUST_200600_302600_NS6detail15normal_iteratorINS9_10device_ptrIyEEEEPS5_m11less_div_10IyEEE10hipError_tT0_T1_T2_jT3_P12ihipStream_tbPNSt15iterator_traitsISJ_E10value_typeEPNSP_ISK_E10value_typeEPSL_NS1_7vsmem_tEENKUlT_SJ_SK_SL_E_clIPySE_SF_SF_EESI_SY_SJ_SK_SL_EUlSY_E0_NS1_11comp_targetILNS1_3genE0ELNS1_11target_archE4294967295ELNS1_3gpuE0ELNS1_3repE0EEENS1_38merge_mergepath_config_static_selectorELNS0_4arch9wavefront6targetE0EEEvSK_.uses_vcc, 0
	.set _ZN7rocprim17ROCPRIM_400000_NS6detail17trampoline_kernelINS0_14default_configENS1_38merge_sort_block_merge_config_selectorIyNS0_10empty_typeEEEZZNS1_27merge_sort_block_merge_implIS3_N6thrust23THRUST_200600_302600_NS6detail15normal_iteratorINS9_10device_ptrIyEEEEPS5_m11less_div_10IyEEE10hipError_tT0_T1_T2_jT3_P12ihipStream_tbPNSt15iterator_traitsISJ_E10value_typeEPNSP_ISK_E10value_typeEPSL_NS1_7vsmem_tEENKUlT_SJ_SK_SL_E_clIPySE_SF_SF_EESI_SY_SJ_SK_SL_EUlSY_E0_NS1_11comp_targetILNS1_3genE0ELNS1_11target_archE4294967295ELNS1_3gpuE0ELNS1_3repE0EEENS1_38merge_mergepath_config_static_selectorELNS0_4arch9wavefront6targetE0EEEvSK_.uses_flat_scratch, 0
	.set _ZN7rocprim17ROCPRIM_400000_NS6detail17trampoline_kernelINS0_14default_configENS1_38merge_sort_block_merge_config_selectorIyNS0_10empty_typeEEEZZNS1_27merge_sort_block_merge_implIS3_N6thrust23THRUST_200600_302600_NS6detail15normal_iteratorINS9_10device_ptrIyEEEEPS5_m11less_div_10IyEEE10hipError_tT0_T1_T2_jT3_P12ihipStream_tbPNSt15iterator_traitsISJ_E10value_typeEPNSP_ISK_E10value_typeEPSL_NS1_7vsmem_tEENKUlT_SJ_SK_SL_E_clIPySE_SF_SF_EESI_SY_SJ_SK_SL_EUlSY_E0_NS1_11comp_targetILNS1_3genE0ELNS1_11target_archE4294967295ELNS1_3gpuE0ELNS1_3repE0EEENS1_38merge_mergepath_config_static_selectorELNS0_4arch9wavefront6targetE0EEEvSK_.has_dyn_sized_stack, 0
	.set _ZN7rocprim17ROCPRIM_400000_NS6detail17trampoline_kernelINS0_14default_configENS1_38merge_sort_block_merge_config_selectorIyNS0_10empty_typeEEEZZNS1_27merge_sort_block_merge_implIS3_N6thrust23THRUST_200600_302600_NS6detail15normal_iteratorINS9_10device_ptrIyEEEEPS5_m11less_div_10IyEEE10hipError_tT0_T1_T2_jT3_P12ihipStream_tbPNSt15iterator_traitsISJ_E10value_typeEPNSP_ISK_E10value_typeEPSL_NS1_7vsmem_tEENKUlT_SJ_SK_SL_E_clIPySE_SF_SF_EESI_SY_SJ_SK_SL_EUlSY_E0_NS1_11comp_targetILNS1_3genE0ELNS1_11target_archE4294967295ELNS1_3gpuE0ELNS1_3repE0EEENS1_38merge_mergepath_config_static_selectorELNS0_4arch9wavefront6targetE0EEEvSK_.has_recursion, 0
	.set _ZN7rocprim17ROCPRIM_400000_NS6detail17trampoline_kernelINS0_14default_configENS1_38merge_sort_block_merge_config_selectorIyNS0_10empty_typeEEEZZNS1_27merge_sort_block_merge_implIS3_N6thrust23THRUST_200600_302600_NS6detail15normal_iteratorINS9_10device_ptrIyEEEEPS5_m11less_div_10IyEEE10hipError_tT0_T1_T2_jT3_P12ihipStream_tbPNSt15iterator_traitsISJ_E10value_typeEPNSP_ISK_E10value_typeEPSL_NS1_7vsmem_tEENKUlT_SJ_SK_SL_E_clIPySE_SF_SF_EESI_SY_SJ_SK_SL_EUlSY_E0_NS1_11comp_targetILNS1_3genE0ELNS1_11target_archE4294967295ELNS1_3gpuE0ELNS1_3repE0EEENS1_38merge_mergepath_config_static_selectorELNS0_4arch9wavefront6targetE0EEEvSK_.has_indirect_call, 0
	.section	.AMDGPU.csdata,"",@progbits
; Kernel info:
; codeLenInByte = 0
; TotalNumSgprs: 0
; NumVgprs: 0
; ScratchSize: 0
; MemoryBound: 0
; FloatMode: 240
; IeeeMode: 1
; LDSByteSize: 0 bytes/workgroup (compile time only)
; SGPRBlocks: 0
; VGPRBlocks: 0
; NumSGPRsForWavesPerEU: 1
; NumVGPRsForWavesPerEU: 1
; Occupancy: 16
; WaveLimiterHint : 0
; COMPUTE_PGM_RSRC2:SCRATCH_EN: 0
; COMPUTE_PGM_RSRC2:USER_SGPR: 6
; COMPUTE_PGM_RSRC2:TRAP_HANDLER: 0
; COMPUTE_PGM_RSRC2:TGID_X_EN: 1
; COMPUTE_PGM_RSRC2:TGID_Y_EN: 0
; COMPUTE_PGM_RSRC2:TGID_Z_EN: 0
; COMPUTE_PGM_RSRC2:TIDIG_COMP_CNT: 0
	.section	.text._ZN7rocprim17ROCPRIM_400000_NS6detail17trampoline_kernelINS0_14default_configENS1_38merge_sort_block_merge_config_selectorIyNS0_10empty_typeEEEZZNS1_27merge_sort_block_merge_implIS3_N6thrust23THRUST_200600_302600_NS6detail15normal_iteratorINS9_10device_ptrIyEEEEPS5_m11less_div_10IyEEE10hipError_tT0_T1_T2_jT3_P12ihipStream_tbPNSt15iterator_traitsISJ_E10value_typeEPNSP_ISK_E10value_typeEPSL_NS1_7vsmem_tEENKUlT_SJ_SK_SL_E_clIPySE_SF_SF_EESI_SY_SJ_SK_SL_EUlSY_E0_NS1_11comp_targetILNS1_3genE10ELNS1_11target_archE1201ELNS1_3gpuE5ELNS1_3repE0EEENS1_38merge_mergepath_config_static_selectorELNS0_4arch9wavefront6targetE0EEEvSK_,"axG",@progbits,_ZN7rocprim17ROCPRIM_400000_NS6detail17trampoline_kernelINS0_14default_configENS1_38merge_sort_block_merge_config_selectorIyNS0_10empty_typeEEEZZNS1_27merge_sort_block_merge_implIS3_N6thrust23THRUST_200600_302600_NS6detail15normal_iteratorINS9_10device_ptrIyEEEEPS5_m11less_div_10IyEEE10hipError_tT0_T1_T2_jT3_P12ihipStream_tbPNSt15iterator_traitsISJ_E10value_typeEPNSP_ISK_E10value_typeEPSL_NS1_7vsmem_tEENKUlT_SJ_SK_SL_E_clIPySE_SF_SF_EESI_SY_SJ_SK_SL_EUlSY_E0_NS1_11comp_targetILNS1_3genE10ELNS1_11target_archE1201ELNS1_3gpuE5ELNS1_3repE0EEENS1_38merge_mergepath_config_static_selectorELNS0_4arch9wavefront6targetE0EEEvSK_,comdat
	.protected	_ZN7rocprim17ROCPRIM_400000_NS6detail17trampoline_kernelINS0_14default_configENS1_38merge_sort_block_merge_config_selectorIyNS0_10empty_typeEEEZZNS1_27merge_sort_block_merge_implIS3_N6thrust23THRUST_200600_302600_NS6detail15normal_iteratorINS9_10device_ptrIyEEEEPS5_m11less_div_10IyEEE10hipError_tT0_T1_T2_jT3_P12ihipStream_tbPNSt15iterator_traitsISJ_E10value_typeEPNSP_ISK_E10value_typeEPSL_NS1_7vsmem_tEENKUlT_SJ_SK_SL_E_clIPySE_SF_SF_EESI_SY_SJ_SK_SL_EUlSY_E0_NS1_11comp_targetILNS1_3genE10ELNS1_11target_archE1201ELNS1_3gpuE5ELNS1_3repE0EEENS1_38merge_mergepath_config_static_selectorELNS0_4arch9wavefront6targetE0EEEvSK_ ; -- Begin function _ZN7rocprim17ROCPRIM_400000_NS6detail17trampoline_kernelINS0_14default_configENS1_38merge_sort_block_merge_config_selectorIyNS0_10empty_typeEEEZZNS1_27merge_sort_block_merge_implIS3_N6thrust23THRUST_200600_302600_NS6detail15normal_iteratorINS9_10device_ptrIyEEEEPS5_m11less_div_10IyEEE10hipError_tT0_T1_T2_jT3_P12ihipStream_tbPNSt15iterator_traitsISJ_E10value_typeEPNSP_ISK_E10value_typeEPSL_NS1_7vsmem_tEENKUlT_SJ_SK_SL_E_clIPySE_SF_SF_EESI_SY_SJ_SK_SL_EUlSY_E0_NS1_11comp_targetILNS1_3genE10ELNS1_11target_archE1201ELNS1_3gpuE5ELNS1_3repE0EEENS1_38merge_mergepath_config_static_selectorELNS0_4arch9wavefront6targetE0EEEvSK_
	.globl	_ZN7rocprim17ROCPRIM_400000_NS6detail17trampoline_kernelINS0_14default_configENS1_38merge_sort_block_merge_config_selectorIyNS0_10empty_typeEEEZZNS1_27merge_sort_block_merge_implIS3_N6thrust23THRUST_200600_302600_NS6detail15normal_iteratorINS9_10device_ptrIyEEEEPS5_m11less_div_10IyEEE10hipError_tT0_T1_T2_jT3_P12ihipStream_tbPNSt15iterator_traitsISJ_E10value_typeEPNSP_ISK_E10value_typeEPSL_NS1_7vsmem_tEENKUlT_SJ_SK_SL_E_clIPySE_SF_SF_EESI_SY_SJ_SK_SL_EUlSY_E0_NS1_11comp_targetILNS1_3genE10ELNS1_11target_archE1201ELNS1_3gpuE5ELNS1_3repE0EEENS1_38merge_mergepath_config_static_selectorELNS0_4arch9wavefront6targetE0EEEvSK_
	.p2align	8
	.type	_ZN7rocprim17ROCPRIM_400000_NS6detail17trampoline_kernelINS0_14default_configENS1_38merge_sort_block_merge_config_selectorIyNS0_10empty_typeEEEZZNS1_27merge_sort_block_merge_implIS3_N6thrust23THRUST_200600_302600_NS6detail15normal_iteratorINS9_10device_ptrIyEEEEPS5_m11less_div_10IyEEE10hipError_tT0_T1_T2_jT3_P12ihipStream_tbPNSt15iterator_traitsISJ_E10value_typeEPNSP_ISK_E10value_typeEPSL_NS1_7vsmem_tEENKUlT_SJ_SK_SL_E_clIPySE_SF_SF_EESI_SY_SJ_SK_SL_EUlSY_E0_NS1_11comp_targetILNS1_3genE10ELNS1_11target_archE1201ELNS1_3gpuE5ELNS1_3repE0EEENS1_38merge_mergepath_config_static_selectorELNS0_4arch9wavefront6targetE0EEEvSK_,@function
_ZN7rocprim17ROCPRIM_400000_NS6detail17trampoline_kernelINS0_14default_configENS1_38merge_sort_block_merge_config_selectorIyNS0_10empty_typeEEEZZNS1_27merge_sort_block_merge_implIS3_N6thrust23THRUST_200600_302600_NS6detail15normal_iteratorINS9_10device_ptrIyEEEEPS5_m11less_div_10IyEEE10hipError_tT0_T1_T2_jT3_P12ihipStream_tbPNSt15iterator_traitsISJ_E10value_typeEPNSP_ISK_E10value_typeEPSL_NS1_7vsmem_tEENKUlT_SJ_SK_SL_E_clIPySE_SF_SF_EESI_SY_SJ_SK_SL_EUlSY_E0_NS1_11comp_targetILNS1_3genE10ELNS1_11target_archE1201ELNS1_3gpuE5ELNS1_3repE0EEENS1_38merge_mergepath_config_static_selectorELNS0_4arch9wavefront6targetE0EEEvSK_: ; @_ZN7rocprim17ROCPRIM_400000_NS6detail17trampoline_kernelINS0_14default_configENS1_38merge_sort_block_merge_config_selectorIyNS0_10empty_typeEEEZZNS1_27merge_sort_block_merge_implIS3_N6thrust23THRUST_200600_302600_NS6detail15normal_iteratorINS9_10device_ptrIyEEEEPS5_m11less_div_10IyEEE10hipError_tT0_T1_T2_jT3_P12ihipStream_tbPNSt15iterator_traitsISJ_E10value_typeEPNSP_ISK_E10value_typeEPSL_NS1_7vsmem_tEENKUlT_SJ_SK_SL_E_clIPySE_SF_SF_EESI_SY_SJ_SK_SL_EUlSY_E0_NS1_11comp_targetILNS1_3genE10ELNS1_11target_archE1201ELNS1_3gpuE5ELNS1_3repE0EEENS1_38merge_mergepath_config_static_selectorELNS0_4arch9wavefront6targetE0EEEvSK_
; %bb.0:
	.section	.rodata,"a",@progbits
	.p2align	6, 0x0
	.amdhsa_kernel _ZN7rocprim17ROCPRIM_400000_NS6detail17trampoline_kernelINS0_14default_configENS1_38merge_sort_block_merge_config_selectorIyNS0_10empty_typeEEEZZNS1_27merge_sort_block_merge_implIS3_N6thrust23THRUST_200600_302600_NS6detail15normal_iteratorINS9_10device_ptrIyEEEEPS5_m11less_div_10IyEEE10hipError_tT0_T1_T2_jT3_P12ihipStream_tbPNSt15iterator_traitsISJ_E10value_typeEPNSP_ISK_E10value_typeEPSL_NS1_7vsmem_tEENKUlT_SJ_SK_SL_E_clIPySE_SF_SF_EESI_SY_SJ_SK_SL_EUlSY_E0_NS1_11comp_targetILNS1_3genE10ELNS1_11target_archE1201ELNS1_3gpuE5ELNS1_3repE0EEENS1_38merge_mergepath_config_static_selectorELNS0_4arch9wavefront6targetE0EEEvSK_
		.amdhsa_group_segment_fixed_size 0
		.amdhsa_private_segment_fixed_size 0
		.amdhsa_kernarg_size 72
		.amdhsa_user_sgpr_count 6
		.amdhsa_user_sgpr_private_segment_buffer 1
		.amdhsa_user_sgpr_dispatch_ptr 0
		.amdhsa_user_sgpr_queue_ptr 0
		.amdhsa_user_sgpr_kernarg_segment_ptr 1
		.amdhsa_user_sgpr_dispatch_id 0
		.amdhsa_user_sgpr_flat_scratch_init 0
		.amdhsa_user_sgpr_private_segment_size 0
		.amdhsa_wavefront_size32 1
		.amdhsa_uses_dynamic_stack 0
		.amdhsa_system_sgpr_private_segment_wavefront_offset 0
		.amdhsa_system_sgpr_workgroup_id_x 1
		.amdhsa_system_sgpr_workgroup_id_y 0
		.amdhsa_system_sgpr_workgroup_id_z 0
		.amdhsa_system_sgpr_workgroup_info 0
		.amdhsa_system_vgpr_workitem_id 0
		.amdhsa_next_free_vgpr 1
		.amdhsa_next_free_sgpr 1
		.amdhsa_reserve_vcc 0
		.amdhsa_reserve_flat_scratch 0
		.amdhsa_float_round_mode_32 0
		.amdhsa_float_round_mode_16_64 0
		.amdhsa_float_denorm_mode_32 3
		.amdhsa_float_denorm_mode_16_64 3
		.amdhsa_dx10_clamp 1
		.amdhsa_ieee_mode 1
		.amdhsa_fp16_overflow 0
		.amdhsa_workgroup_processor_mode 1
		.amdhsa_memory_ordered 1
		.amdhsa_forward_progress 1
		.amdhsa_shared_vgpr_count 0
		.amdhsa_exception_fp_ieee_invalid_op 0
		.amdhsa_exception_fp_denorm_src 0
		.amdhsa_exception_fp_ieee_div_zero 0
		.amdhsa_exception_fp_ieee_overflow 0
		.amdhsa_exception_fp_ieee_underflow 0
		.amdhsa_exception_fp_ieee_inexact 0
		.amdhsa_exception_int_div_zero 0
	.end_amdhsa_kernel
	.section	.text._ZN7rocprim17ROCPRIM_400000_NS6detail17trampoline_kernelINS0_14default_configENS1_38merge_sort_block_merge_config_selectorIyNS0_10empty_typeEEEZZNS1_27merge_sort_block_merge_implIS3_N6thrust23THRUST_200600_302600_NS6detail15normal_iteratorINS9_10device_ptrIyEEEEPS5_m11less_div_10IyEEE10hipError_tT0_T1_T2_jT3_P12ihipStream_tbPNSt15iterator_traitsISJ_E10value_typeEPNSP_ISK_E10value_typeEPSL_NS1_7vsmem_tEENKUlT_SJ_SK_SL_E_clIPySE_SF_SF_EESI_SY_SJ_SK_SL_EUlSY_E0_NS1_11comp_targetILNS1_3genE10ELNS1_11target_archE1201ELNS1_3gpuE5ELNS1_3repE0EEENS1_38merge_mergepath_config_static_selectorELNS0_4arch9wavefront6targetE0EEEvSK_,"axG",@progbits,_ZN7rocprim17ROCPRIM_400000_NS6detail17trampoline_kernelINS0_14default_configENS1_38merge_sort_block_merge_config_selectorIyNS0_10empty_typeEEEZZNS1_27merge_sort_block_merge_implIS3_N6thrust23THRUST_200600_302600_NS6detail15normal_iteratorINS9_10device_ptrIyEEEEPS5_m11less_div_10IyEEE10hipError_tT0_T1_T2_jT3_P12ihipStream_tbPNSt15iterator_traitsISJ_E10value_typeEPNSP_ISK_E10value_typeEPSL_NS1_7vsmem_tEENKUlT_SJ_SK_SL_E_clIPySE_SF_SF_EESI_SY_SJ_SK_SL_EUlSY_E0_NS1_11comp_targetILNS1_3genE10ELNS1_11target_archE1201ELNS1_3gpuE5ELNS1_3repE0EEENS1_38merge_mergepath_config_static_selectorELNS0_4arch9wavefront6targetE0EEEvSK_,comdat
.Lfunc_end33:
	.size	_ZN7rocprim17ROCPRIM_400000_NS6detail17trampoline_kernelINS0_14default_configENS1_38merge_sort_block_merge_config_selectorIyNS0_10empty_typeEEEZZNS1_27merge_sort_block_merge_implIS3_N6thrust23THRUST_200600_302600_NS6detail15normal_iteratorINS9_10device_ptrIyEEEEPS5_m11less_div_10IyEEE10hipError_tT0_T1_T2_jT3_P12ihipStream_tbPNSt15iterator_traitsISJ_E10value_typeEPNSP_ISK_E10value_typeEPSL_NS1_7vsmem_tEENKUlT_SJ_SK_SL_E_clIPySE_SF_SF_EESI_SY_SJ_SK_SL_EUlSY_E0_NS1_11comp_targetILNS1_3genE10ELNS1_11target_archE1201ELNS1_3gpuE5ELNS1_3repE0EEENS1_38merge_mergepath_config_static_selectorELNS0_4arch9wavefront6targetE0EEEvSK_, .Lfunc_end33-_ZN7rocprim17ROCPRIM_400000_NS6detail17trampoline_kernelINS0_14default_configENS1_38merge_sort_block_merge_config_selectorIyNS0_10empty_typeEEEZZNS1_27merge_sort_block_merge_implIS3_N6thrust23THRUST_200600_302600_NS6detail15normal_iteratorINS9_10device_ptrIyEEEEPS5_m11less_div_10IyEEE10hipError_tT0_T1_T2_jT3_P12ihipStream_tbPNSt15iterator_traitsISJ_E10value_typeEPNSP_ISK_E10value_typeEPSL_NS1_7vsmem_tEENKUlT_SJ_SK_SL_E_clIPySE_SF_SF_EESI_SY_SJ_SK_SL_EUlSY_E0_NS1_11comp_targetILNS1_3genE10ELNS1_11target_archE1201ELNS1_3gpuE5ELNS1_3repE0EEENS1_38merge_mergepath_config_static_selectorELNS0_4arch9wavefront6targetE0EEEvSK_
                                        ; -- End function
	.set _ZN7rocprim17ROCPRIM_400000_NS6detail17trampoline_kernelINS0_14default_configENS1_38merge_sort_block_merge_config_selectorIyNS0_10empty_typeEEEZZNS1_27merge_sort_block_merge_implIS3_N6thrust23THRUST_200600_302600_NS6detail15normal_iteratorINS9_10device_ptrIyEEEEPS5_m11less_div_10IyEEE10hipError_tT0_T1_T2_jT3_P12ihipStream_tbPNSt15iterator_traitsISJ_E10value_typeEPNSP_ISK_E10value_typeEPSL_NS1_7vsmem_tEENKUlT_SJ_SK_SL_E_clIPySE_SF_SF_EESI_SY_SJ_SK_SL_EUlSY_E0_NS1_11comp_targetILNS1_3genE10ELNS1_11target_archE1201ELNS1_3gpuE5ELNS1_3repE0EEENS1_38merge_mergepath_config_static_selectorELNS0_4arch9wavefront6targetE0EEEvSK_.num_vgpr, 0
	.set _ZN7rocprim17ROCPRIM_400000_NS6detail17trampoline_kernelINS0_14default_configENS1_38merge_sort_block_merge_config_selectorIyNS0_10empty_typeEEEZZNS1_27merge_sort_block_merge_implIS3_N6thrust23THRUST_200600_302600_NS6detail15normal_iteratorINS9_10device_ptrIyEEEEPS5_m11less_div_10IyEEE10hipError_tT0_T1_T2_jT3_P12ihipStream_tbPNSt15iterator_traitsISJ_E10value_typeEPNSP_ISK_E10value_typeEPSL_NS1_7vsmem_tEENKUlT_SJ_SK_SL_E_clIPySE_SF_SF_EESI_SY_SJ_SK_SL_EUlSY_E0_NS1_11comp_targetILNS1_3genE10ELNS1_11target_archE1201ELNS1_3gpuE5ELNS1_3repE0EEENS1_38merge_mergepath_config_static_selectorELNS0_4arch9wavefront6targetE0EEEvSK_.num_agpr, 0
	.set _ZN7rocprim17ROCPRIM_400000_NS6detail17trampoline_kernelINS0_14default_configENS1_38merge_sort_block_merge_config_selectorIyNS0_10empty_typeEEEZZNS1_27merge_sort_block_merge_implIS3_N6thrust23THRUST_200600_302600_NS6detail15normal_iteratorINS9_10device_ptrIyEEEEPS5_m11less_div_10IyEEE10hipError_tT0_T1_T2_jT3_P12ihipStream_tbPNSt15iterator_traitsISJ_E10value_typeEPNSP_ISK_E10value_typeEPSL_NS1_7vsmem_tEENKUlT_SJ_SK_SL_E_clIPySE_SF_SF_EESI_SY_SJ_SK_SL_EUlSY_E0_NS1_11comp_targetILNS1_3genE10ELNS1_11target_archE1201ELNS1_3gpuE5ELNS1_3repE0EEENS1_38merge_mergepath_config_static_selectorELNS0_4arch9wavefront6targetE0EEEvSK_.numbered_sgpr, 0
	.set _ZN7rocprim17ROCPRIM_400000_NS6detail17trampoline_kernelINS0_14default_configENS1_38merge_sort_block_merge_config_selectorIyNS0_10empty_typeEEEZZNS1_27merge_sort_block_merge_implIS3_N6thrust23THRUST_200600_302600_NS6detail15normal_iteratorINS9_10device_ptrIyEEEEPS5_m11less_div_10IyEEE10hipError_tT0_T1_T2_jT3_P12ihipStream_tbPNSt15iterator_traitsISJ_E10value_typeEPNSP_ISK_E10value_typeEPSL_NS1_7vsmem_tEENKUlT_SJ_SK_SL_E_clIPySE_SF_SF_EESI_SY_SJ_SK_SL_EUlSY_E0_NS1_11comp_targetILNS1_3genE10ELNS1_11target_archE1201ELNS1_3gpuE5ELNS1_3repE0EEENS1_38merge_mergepath_config_static_selectorELNS0_4arch9wavefront6targetE0EEEvSK_.num_named_barrier, 0
	.set _ZN7rocprim17ROCPRIM_400000_NS6detail17trampoline_kernelINS0_14default_configENS1_38merge_sort_block_merge_config_selectorIyNS0_10empty_typeEEEZZNS1_27merge_sort_block_merge_implIS3_N6thrust23THRUST_200600_302600_NS6detail15normal_iteratorINS9_10device_ptrIyEEEEPS5_m11less_div_10IyEEE10hipError_tT0_T1_T2_jT3_P12ihipStream_tbPNSt15iterator_traitsISJ_E10value_typeEPNSP_ISK_E10value_typeEPSL_NS1_7vsmem_tEENKUlT_SJ_SK_SL_E_clIPySE_SF_SF_EESI_SY_SJ_SK_SL_EUlSY_E0_NS1_11comp_targetILNS1_3genE10ELNS1_11target_archE1201ELNS1_3gpuE5ELNS1_3repE0EEENS1_38merge_mergepath_config_static_selectorELNS0_4arch9wavefront6targetE0EEEvSK_.private_seg_size, 0
	.set _ZN7rocprim17ROCPRIM_400000_NS6detail17trampoline_kernelINS0_14default_configENS1_38merge_sort_block_merge_config_selectorIyNS0_10empty_typeEEEZZNS1_27merge_sort_block_merge_implIS3_N6thrust23THRUST_200600_302600_NS6detail15normal_iteratorINS9_10device_ptrIyEEEEPS5_m11less_div_10IyEEE10hipError_tT0_T1_T2_jT3_P12ihipStream_tbPNSt15iterator_traitsISJ_E10value_typeEPNSP_ISK_E10value_typeEPSL_NS1_7vsmem_tEENKUlT_SJ_SK_SL_E_clIPySE_SF_SF_EESI_SY_SJ_SK_SL_EUlSY_E0_NS1_11comp_targetILNS1_3genE10ELNS1_11target_archE1201ELNS1_3gpuE5ELNS1_3repE0EEENS1_38merge_mergepath_config_static_selectorELNS0_4arch9wavefront6targetE0EEEvSK_.uses_vcc, 0
	.set _ZN7rocprim17ROCPRIM_400000_NS6detail17trampoline_kernelINS0_14default_configENS1_38merge_sort_block_merge_config_selectorIyNS0_10empty_typeEEEZZNS1_27merge_sort_block_merge_implIS3_N6thrust23THRUST_200600_302600_NS6detail15normal_iteratorINS9_10device_ptrIyEEEEPS5_m11less_div_10IyEEE10hipError_tT0_T1_T2_jT3_P12ihipStream_tbPNSt15iterator_traitsISJ_E10value_typeEPNSP_ISK_E10value_typeEPSL_NS1_7vsmem_tEENKUlT_SJ_SK_SL_E_clIPySE_SF_SF_EESI_SY_SJ_SK_SL_EUlSY_E0_NS1_11comp_targetILNS1_3genE10ELNS1_11target_archE1201ELNS1_3gpuE5ELNS1_3repE0EEENS1_38merge_mergepath_config_static_selectorELNS0_4arch9wavefront6targetE0EEEvSK_.uses_flat_scratch, 0
	.set _ZN7rocprim17ROCPRIM_400000_NS6detail17trampoline_kernelINS0_14default_configENS1_38merge_sort_block_merge_config_selectorIyNS0_10empty_typeEEEZZNS1_27merge_sort_block_merge_implIS3_N6thrust23THRUST_200600_302600_NS6detail15normal_iteratorINS9_10device_ptrIyEEEEPS5_m11less_div_10IyEEE10hipError_tT0_T1_T2_jT3_P12ihipStream_tbPNSt15iterator_traitsISJ_E10value_typeEPNSP_ISK_E10value_typeEPSL_NS1_7vsmem_tEENKUlT_SJ_SK_SL_E_clIPySE_SF_SF_EESI_SY_SJ_SK_SL_EUlSY_E0_NS1_11comp_targetILNS1_3genE10ELNS1_11target_archE1201ELNS1_3gpuE5ELNS1_3repE0EEENS1_38merge_mergepath_config_static_selectorELNS0_4arch9wavefront6targetE0EEEvSK_.has_dyn_sized_stack, 0
	.set _ZN7rocprim17ROCPRIM_400000_NS6detail17trampoline_kernelINS0_14default_configENS1_38merge_sort_block_merge_config_selectorIyNS0_10empty_typeEEEZZNS1_27merge_sort_block_merge_implIS3_N6thrust23THRUST_200600_302600_NS6detail15normal_iteratorINS9_10device_ptrIyEEEEPS5_m11less_div_10IyEEE10hipError_tT0_T1_T2_jT3_P12ihipStream_tbPNSt15iterator_traitsISJ_E10value_typeEPNSP_ISK_E10value_typeEPSL_NS1_7vsmem_tEENKUlT_SJ_SK_SL_E_clIPySE_SF_SF_EESI_SY_SJ_SK_SL_EUlSY_E0_NS1_11comp_targetILNS1_3genE10ELNS1_11target_archE1201ELNS1_3gpuE5ELNS1_3repE0EEENS1_38merge_mergepath_config_static_selectorELNS0_4arch9wavefront6targetE0EEEvSK_.has_recursion, 0
	.set _ZN7rocprim17ROCPRIM_400000_NS6detail17trampoline_kernelINS0_14default_configENS1_38merge_sort_block_merge_config_selectorIyNS0_10empty_typeEEEZZNS1_27merge_sort_block_merge_implIS3_N6thrust23THRUST_200600_302600_NS6detail15normal_iteratorINS9_10device_ptrIyEEEEPS5_m11less_div_10IyEEE10hipError_tT0_T1_T2_jT3_P12ihipStream_tbPNSt15iterator_traitsISJ_E10value_typeEPNSP_ISK_E10value_typeEPSL_NS1_7vsmem_tEENKUlT_SJ_SK_SL_E_clIPySE_SF_SF_EESI_SY_SJ_SK_SL_EUlSY_E0_NS1_11comp_targetILNS1_3genE10ELNS1_11target_archE1201ELNS1_3gpuE5ELNS1_3repE0EEENS1_38merge_mergepath_config_static_selectorELNS0_4arch9wavefront6targetE0EEEvSK_.has_indirect_call, 0
	.section	.AMDGPU.csdata,"",@progbits
; Kernel info:
; codeLenInByte = 0
; TotalNumSgprs: 0
; NumVgprs: 0
; ScratchSize: 0
; MemoryBound: 0
; FloatMode: 240
; IeeeMode: 1
; LDSByteSize: 0 bytes/workgroup (compile time only)
; SGPRBlocks: 0
; VGPRBlocks: 0
; NumSGPRsForWavesPerEU: 1
; NumVGPRsForWavesPerEU: 1
; Occupancy: 16
; WaveLimiterHint : 0
; COMPUTE_PGM_RSRC2:SCRATCH_EN: 0
; COMPUTE_PGM_RSRC2:USER_SGPR: 6
; COMPUTE_PGM_RSRC2:TRAP_HANDLER: 0
; COMPUTE_PGM_RSRC2:TGID_X_EN: 1
; COMPUTE_PGM_RSRC2:TGID_Y_EN: 0
; COMPUTE_PGM_RSRC2:TGID_Z_EN: 0
; COMPUTE_PGM_RSRC2:TIDIG_COMP_CNT: 0
	.section	.text._ZN7rocprim17ROCPRIM_400000_NS6detail17trampoline_kernelINS0_14default_configENS1_38merge_sort_block_merge_config_selectorIyNS0_10empty_typeEEEZZNS1_27merge_sort_block_merge_implIS3_N6thrust23THRUST_200600_302600_NS6detail15normal_iteratorINS9_10device_ptrIyEEEEPS5_m11less_div_10IyEEE10hipError_tT0_T1_T2_jT3_P12ihipStream_tbPNSt15iterator_traitsISJ_E10value_typeEPNSP_ISK_E10value_typeEPSL_NS1_7vsmem_tEENKUlT_SJ_SK_SL_E_clIPySE_SF_SF_EESI_SY_SJ_SK_SL_EUlSY_E0_NS1_11comp_targetILNS1_3genE5ELNS1_11target_archE942ELNS1_3gpuE9ELNS1_3repE0EEENS1_38merge_mergepath_config_static_selectorELNS0_4arch9wavefront6targetE0EEEvSK_,"axG",@progbits,_ZN7rocprim17ROCPRIM_400000_NS6detail17trampoline_kernelINS0_14default_configENS1_38merge_sort_block_merge_config_selectorIyNS0_10empty_typeEEEZZNS1_27merge_sort_block_merge_implIS3_N6thrust23THRUST_200600_302600_NS6detail15normal_iteratorINS9_10device_ptrIyEEEEPS5_m11less_div_10IyEEE10hipError_tT0_T1_T2_jT3_P12ihipStream_tbPNSt15iterator_traitsISJ_E10value_typeEPNSP_ISK_E10value_typeEPSL_NS1_7vsmem_tEENKUlT_SJ_SK_SL_E_clIPySE_SF_SF_EESI_SY_SJ_SK_SL_EUlSY_E0_NS1_11comp_targetILNS1_3genE5ELNS1_11target_archE942ELNS1_3gpuE9ELNS1_3repE0EEENS1_38merge_mergepath_config_static_selectorELNS0_4arch9wavefront6targetE0EEEvSK_,comdat
	.protected	_ZN7rocprim17ROCPRIM_400000_NS6detail17trampoline_kernelINS0_14default_configENS1_38merge_sort_block_merge_config_selectorIyNS0_10empty_typeEEEZZNS1_27merge_sort_block_merge_implIS3_N6thrust23THRUST_200600_302600_NS6detail15normal_iteratorINS9_10device_ptrIyEEEEPS5_m11less_div_10IyEEE10hipError_tT0_T1_T2_jT3_P12ihipStream_tbPNSt15iterator_traitsISJ_E10value_typeEPNSP_ISK_E10value_typeEPSL_NS1_7vsmem_tEENKUlT_SJ_SK_SL_E_clIPySE_SF_SF_EESI_SY_SJ_SK_SL_EUlSY_E0_NS1_11comp_targetILNS1_3genE5ELNS1_11target_archE942ELNS1_3gpuE9ELNS1_3repE0EEENS1_38merge_mergepath_config_static_selectorELNS0_4arch9wavefront6targetE0EEEvSK_ ; -- Begin function _ZN7rocprim17ROCPRIM_400000_NS6detail17trampoline_kernelINS0_14default_configENS1_38merge_sort_block_merge_config_selectorIyNS0_10empty_typeEEEZZNS1_27merge_sort_block_merge_implIS3_N6thrust23THRUST_200600_302600_NS6detail15normal_iteratorINS9_10device_ptrIyEEEEPS5_m11less_div_10IyEEE10hipError_tT0_T1_T2_jT3_P12ihipStream_tbPNSt15iterator_traitsISJ_E10value_typeEPNSP_ISK_E10value_typeEPSL_NS1_7vsmem_tEENKUlT_SJ_SK_SL_E_clIPySE_SF_SF_EESI_SY_SJ_SK_SL_EUlSY_E0_NS1_11comp_targetILNS1_3genE5ELNS1_11target_archE942ELNS1_3gpuE9ELNS1_3repE0EEENS1_38merge_mergepath_config_static_selectorELNS0_4arch9wavefront6targetE0EEEvSK_
	.globl	_ZN7rocprim17ROCPRIM_400000_NS6detail17trampoline_kernelINS0_14default_configENS1_38merge_sort_block_merge_config_selectorIyNS0_10empty_typeEEEZZNS1_27merge_sort_block_merge_implIS3_N6thrust23THRUST_200600_302600_NS6detail15normal_iteratorINS9_10device_ptrIyEEEEPS5_m11less_div_10IyEEE10hipError_tT0_T1_T2_jT3_P12ihipStream_tbPNSt15iterator_traitsISJ_E10value_typeEPNSP_ISK_E10value_typeEPSL_NS1_7vsmem_tEENKUlT_SJ_SK_SL_E_clIPySE_SF_SF_EESI_SY_SJ_SK_SL_EUlSY_E0_NS1_11comp_targetILNS1_3genE5ELNS1_11target_archE942ELNS1_3gpuE9ELNS1_3repE0EEENS1_38merge_mergepath_config_static_selectorELNS0_4arch9wavefront6targetE0EEEvSK_
	.p2align	8
	.type	_ZN7rocprim17ROCPRIM_400000_NS6detail17trampoline_kernelINS0_14default_configENS1_38merge_sort_block_merge_config_selectorIyNS0_10empty_typeEEEZZNS1_27merge_sort_block_merge_implIS3_N6thrust23THRUST_200600_302600_NS6detail15normal_iteratorINS9_10device_ptrIyEEEEPS5_m11less_div_10IyEEE10hipError_tT0_T1_T2_jT3_P12ihipStream_tbPNSt15iterator_traitsISJ_E10value_typeEPNSP_ISK_E10value_typeEPSL_NS1_7vsmem_tEENKUlT_SJ_SK_SL_E_clIPySE_SF_SF_EESI_SY_SJ_SK_SL_EUlSY_E0_NS1_11comp_targetILNS1_3genE5ELNS1_11target_archE942ELNS1_3gpuE9ELNS1_3repE0EEENS1_38merge_mergepath_config_static_selectorELNS0_4arch9wavefront6targetE0EEEvSK_,@function
_ZN7rocprim17ROCPRIM_400000_NS6detail17trampoline_kernelINS0_14default_configENS1_38merge_sort_block_merge_config_selectorIyNS0_10empty_typeEEEZZNS1_27merge_sort_block_merge_implIS3_N6thrust23THRUST_200600_302600_NS6detail15normal_iteratorINS9_10device_ptrIyEEEEPS5_m11less_div_10IyEEE10hipError_tT0_T1_T2_jT3_P12ihipStream_tbPNSt15iterator_traitsISJ_E10value_typeEPNSP_ISK_E10value_typeEPSL_NS1_7vsmem_tEENKUlT_SJ_SK_SL_E_clIPySE_SF_SF_EESI_SY_SJ_SK_SL_EUlSY_E0_NS1_11comp_targetILNS1_3genE5ELNS1_11target_archE942ELNS1_3gpuE9ELNS1_3repE0EEENS1_38merge_mergepath_config_static_selectorELNS0_4arch9wavefront6targetE0EEEvSK_: ; @_ZN7rocprim17ROCPRIM_400000_NS6detail17trampoline_kernelINS0_14default_configENS1_38merge_sort_block_merge_config_selectorIyNS0_10empty_typeEEEZZNS1_27merge_sort_block_merge_implIS3_N6thrust23THRUST_200600_302600_NS6detail15normal_iteratorINS9_10device_ptrIyEEEEPS5_m11less_div_10IyEEE10hipError_tT0_T1_T2_jT3_P12ihipStream_tbPNSt15iterator_traitsISJ_E10value_typeEPNSP_ISK_E10value_typeEPSL_NS1_7vsmem_tEENKUlT_SJ_SK_SL_E_clIPySE_SF_SF_EESI_SY_SJ_SK_SL_EUlSY_E0_NS1_11comp_targetILNS1_3genE5ELNS1_11target_archE942ELNS1_3gpuE9ELNS1_3repE0EEENS1_38merge_mergepath_config_static_selectorELNS0_4arch9wavefront6targetE0EEEvSK_
; %bb.0:
	.section	.rodata,"a",@progbits
	.p2align	6, 0x0
	.amdhsa_kernel _ZN7rocprim17ROCPRIM_400000_NS6detail17trampoline_kernelINS0_14default_configENS1_38merge_sort_block_merge_config_selectorIyNS0_10empty_typeEEEZZNS1_27merge_sort_block_merge_implIS3_N6thrust23THRUST_200600_302600_NS6detail15normal_iteratorINS9_10device_ptrIyEEEEPS5_m11less_div_10IyEEE10hipError_tT0_T1_T2_jT3_P12ihipStream_tbPNSt15iterator_traitsISJ_E10value_typeEPNSP_ISK_E10value_typeEPSL_NS1_7vsmem_tEENKUlT_SJ_SK_SL_E_clIPySE_SF_SF_EESI_SY_SJ_SK_SL_EUlSY_E0_NS1_11comp_targetILNS1_3genE5ELNS1_11target_archE942ELNS1_3gpuE9ELNS1_3repE0EEENS1_38merge_mergepath_config_static_selectorELNS0_4arch9wavefront6targetE0EEEvSK_
		.amdhsa_group_segment_fixed_size 0
		.amdhsa_private_segment_fixed_size 0
		.amdhsa_kernarg_size 72
		.amdhsa_user_sgpr_count 6
		.amdhsa_user_sgpr_private_segment_buffer 1
		.amdhsa_user_sgpr_dispatch_ptr 0
		.amdhsa_user_sgpr_queue_ptr 0
		.amdhsa_user_sgpr_kernarg_segment_ptr 1
		.amdhsa_user_sgpr_dispatch_id 0
		.amdhsa_user_sgpr_flat_scratch_init 0
		.amdhsa_user_sgpr_private_segment_size 0
		.amdhsa_wavefront_size32 1
		.amdhsa_uses_dynamic_stack 0
		.amdhsa_system_sgpr_private_segment_wavefront_offset 0
		.amdhsa_system_sgpr_workgroup_id_x 1
		.amdhsa_system_sgpr_workgroup_id_y 0
		.amdhsa_system_sgpr_workgroup_id_z 0
		.amdhsa_system_sgpr_workgroup_info 0
		.amdhsa_system_vgpr_workitem_id 0
		.amdhsa_next_free_vgpr 1
		.amdhsa_next_free_sgpr 1
		.amdhsa_reserve_vcc 0
		.amdhsa_reserve_flat_scratch 0
		.amdhsa_float_round_mode_32 0
		.amdhsa_float_round_mode_16_64 0
		.amdhsa_float_denorm_mode_32 3
		.amdhsa_float_denorm_mode_16_64 3
		.amdhsa_dx10_clamp 1
		.amdhsa_ieee_mode 1
		.amdhsa_fp16_overflow 0
		.amdhsa_workgroup_processor_mode 1
		.amdhsa_memory_ordered 1
		.amdhsa_forward_progress 1
		.amdhsa_shared_vgpr_count 0
		.amdhsa_exception_fp_ieee_invalid_op 0
		.amdhsa_exception_fp_denorm_src 0
		.amdhsa_exception_fp_ieee_div_zero 0
		.amdhsa_exception_fp_ieee_overflow 0
		.amdhsa_exception_fp_ieee_underflow 0
		.amdhsa_exception_fp_ieee_inexact 0
		.amdhsa_exception_int_div_zero 0
	.end_amdhsa_kernel
	.section	.text._ZN7rocprim17ROCPRIM_400000_NS6detail17trampoline_kernelINS0_14default_configENS1_38merge_sort_block_merge_config_selectorIyNS0_10empty_typeEEEZZNS1_27merge_sort_block_merge_implIS3_N6thrust23THRUST_200600_302600_NS6detail15normal_iteratorINS9_10device_ptrIyEEEEPS5_m11less_div_10IyEEE10hipError_tT0_T1_T2_jT3_P12ihipStream_tbPNSt15iterator_traitsISJ_E10value_typeEPNSP_ISK_E10value_typeEPSL_NS1_7vsmem_tEENKUlT_SJ_SK_SL_E_clIPySE_SF_SF_EESI_SY_SJ_SK_SL_EUlSY_E0_NS1_11comp_targetILNS1_3genE5ELNS1_11target_archE942ELNS1_3gpuE9ELNS1_3repE0EEENS1_38merge_mergepath_config_static_selectorELNS0_4arch9wavefront6targetE0EEEvSK_,"axG",@progbits,_ZN7rocprim17ROCPRIM_400000_NS6detail17trampoline_kernelINS0_14default_configENS1_38merge_sort_block_merge_config_selectorIyNS0_10empty_typeEEEZZNS1_27merge_sort_block_merge_implIS3_N6thrust23THRUST_200600_302600_NS6detail15normal_iteratorINS9_10device_ptrIyEEEEPS5_m11less_div_10IyEEE10hipError_tT0_T1_T2_jT3_P12ihipStream_tbPNSt15iterator_traitsISJ_E10value_typeEPNSP_ISK_E10value_typeEPSL_NS1_7vsmem_tEENKUlT_SJ_SK_SL_E_clIPySE_SF_SF_EESI_SY_SJ_SK_SL_EUlSY_E0_NS1_11comp_targetILNS1_3genE5ELNS1_11target_archE942ELNS1_3gpuE9ELNS1_3repE0EEENS1_38merge_mergepath_config_static_selectorELNS0_4arch9wavefront6targetE0EEEvSK_,comdat
.Lfunc_end34:
	.size	_ZN7rocprim17ROCPRIM_400000_NS6detail17trampoline_kernelINS0_14default_configENS1_38merge_sort_block_merge_config_selectorIyNS0_10empty_typeEEEZZNS1_27merge_sort_block_merge_implIS3_N6thrust23THRUST_200600_302600_NS6detail15normal_iteratorINS9_10device_ptrIyEEEEPS5_m11less_div_10IyEEE10hipError_tT0_T1_T2_jT3_P12ihipStream_tbPNSt15iterator_traitsISJ_E10value_typeEPNSP_ISK_E10value_typeEPSL_NS1_7vsmem_tEENKUlT_SJ_SK_SL_E_clIPySE_SF_SF_EESI_SY_SJ_SK_SL_EUlSY_E0_NS1_11comp_targetILNS1_3genE5ELNS1_11target_archE942ELNS1_3gpuE9ELNS1_3repE0EEENS1_38merge_mergepath_config_static_selectorELNS0_4arch9wavefront6targetE0EEEvSK_, .Lfunc_end34-_ZN7rocprim17ROCPRIM_400000_NS6detail17trampoline_kernelINS0_14default_configENS1_38merge_sort_block_merge_config_selectorIyNS0_10empty_typeEEEZZNS1_27merge_sort_block_merge_implIS3_N6thrust23THRUST_200600_302600_NS6detail15normal_iteratorINS9_10device_ptrIyEEEEPS5_m11less_div_10IyEEE10hipError_tT0_T1_T2_jT3_P12ihipStream_tbPNSt15iterator_traitsISJ_E10value_typeEPNSP_ISK_E10value_typeEPSL_NS1_7vsmem_tEENKUlT_SJ_SK_SL_E_clIPySE_SF_SF_EESI_SY_SJ_SK_SL_EUlSY_E0_NS1_11comp_targetILNS1_3genE5ELNS1_11target_archE942ELNS1_3gpuE9ELNS1_3repE0EEENS1_38merge_mergepath_config_static_selectorELNS0_4arch9wavefront6targetE0EEEvSK_
                                        ; -- End function
	.set _ZN7rocprim17ROCPRIM_400000_NS6detail17trampoline_kernelINS0_14default_configENS1_38merge_sort_block_merge_config_selectorIyNS0_10empty_typeEEEZZNS1_27merge_sort_block_merge_implIS3_N6thrust23THRUST_200600_302600_NS6detail15normal_iteratorINS9_10device_ptrIyEEEEPS5_m11less_div_10IyEEE10hipError_tT0_T1_T2_jT3_P12ihipStream_tbPNSt15iterator_traitsISJ_E10value_typeEPNSP_ISK_E10value_typeEPSL_NS1_7vsmem_tEENKUlT_SJ_SK_SL_E_clIPySE_SF_SF_EESI_SY_SJ_SK_SL_EUlSY_E0_NS1_11comp_targetILNS1_3genE5ELNS1_11target_archE942ELNS1_3gpuE9ELNS1_3repE0EEENS1_38merge_mergepath_config_static_selectorELNS0_4arch9wavefront6targetE0EEEvSK_.num_vgpr, 0
	.set _ZN7rocprim17ROCPRIM_400000_NS6detail17trampoline_kernelINS0_14default_configENS1_38merge_sort_block_merge_config_selectorIyNS0_10empty_typeEEEZZNS1_27merge_sort_block_merge_implIS3_N6thrust23THRUST_200600_302600_NS6detail15normal_iteratorINS9_10device_ptrIyEEEEPS5_m11less_div_10IyEEE10hipError_tT0_T1_T2_jT3_P12ihipStream_tbPNSt15iterator_traitsISJ_E10value_typeEPNSP_ISK_E10value_typeEPSL_NS1_7vsmem_tEENKUlT_SJ_SK_SL_E_clIPySE_SF_SF_EESI_SY_SJ_SK_SL_EUlSY_E0_NS1_11comp_targetILNS1_3genE5ELNS1_11target_archE942ELNS1_3gpuE9ELNS1_3repE0EEENS1_38merge_mergepath_config_static_selectorELNS0_4arch9wavefront6targetE0EEEvSK_.num_agpr, 0
	.set _ZN7rocprim17ROCPRIM_400000_NS6detail17trampoline_kernelINS0_14default_configENS1_38merge_sort_block_merge_config_selectorIyNS0_10empty_typeEEEZZNS1_27merge_sort_block_merge_implIS3_N6thrust23THRUST_200600_302600_NS6detail15normal_iteratorINS9_10device_ptrIyEEEEPS5_m11less_div_10IyEEE10hipError_tT0_T1_T2_jT3_P12ihipStream_tbPNSt15iterator_traitsISJ_E10value_typeEPNSP_ISK_E10value_typeEPSL_NS1_7vsmem_tEENKUlT_SJ_SK_SL_E_clIPySE_SF_SF_EESI_SY_SJ_SK_SL_EUlSY_E0_NS1_11comp_targetILNS1_3genE5ELNS1_11target_archE942ELNS1_3gpuE9ELNS1_3repE0EEENS1_38merge_mergepath_config_static_selectorELNS0_4arch9wavefront6targetE0EEEvSK_.numbered_sgpr, 0
	.set _ZN7rocprim17ROCPRIM_400000_NS6detail17trampoline_kernelINS0_14default_configENS1_38merge_sort_block_merge_config_selectorIyNS0_10empty_typeEEEZZNS1_27merge_sort_block_merge_implIS3_N6thrust23THRUST_200600_302600_NS6detail15normal_iteratorINS9_10device_ptrIyEEEEPS5_m11less_div_10IyEEE10hipError_tT0_T1_T2_jT3_P12ihipStream_tbPNSt15iterator_traitsISJ_E10value_typeEPNSP_ISK_E10value_typeEPSL_NS1_7vsmem_tEENKUlT_SJ_SK_SL_E_clIPySE_SF_SF_EESI_SY_SJ_SK_SL_EUlSY_E0_NS1_11comp_targetILNS1_3genE5ELNS1_11target_archE942ELNS1_3gpuE9ELNS1_3repE0EEENS1_38merge_mergepath_config_static_selectorELNS0_4arch9wavefront6targetE0EEEvSK_.num_named_barrier, 0
	.set _ZN7rocprim17ROCPRIM_400000_NS6detail17trampoline_kernelINS0_14default_configENS1_38merge_sort_block_merge_config_selectorIyNS0_10empty_typeEEEZZNS1_27merge_sort_block_merge_implIS3_N6thrust23THRUST_200600_302600_NS6detail15normal_iteratorINS9_10device_ptrIyEEEEPS5_m11less_div_10IyEEE10hipError_tT0_T1_T2_jT3_P12ihipStream_tbPNSt15iterator_traitsISJ_E10value_typeEPNSP_ISK_E10value_typeEPSL_NS1_7vsmem_tEENKUlT_SJ_SK_SL_E_clIPySE_SF_SF_EESI_SY_SJ_SK_SL_EUlSY_E0_NS1_11comp_targetILNS1_3genE5ELNS1_11target_archE942ELNS1_3gpuE9ELNS1_3repE0EEENS1_38merge_mergepath_config_static_selectorELNS0_4arch9wavefront6targetE0EEEvSK_.private_seg_size, 0
	.set _ZN7rocprim17ROCPRIM_400000_NS6detail17trampoline_kernelINS0_14default_configENS1_38merge_sort_block_merge_config_selectorIyNS0_10empty_typeEEEZZNS1_27merge_sort_block_merge_implIS3_N6thrust23THRUST_200600_302600_NS6detail15normal_iteratorINS9_10device_ptrIyEEEEPS5_m11less_div_10IyEEE10hipError_tT0_T1_T2_jT3_P12ihipStream_tbPNSt15iterator_traitsISJ_E10value_typeEPNSP_ISK_E10value_typeEPSL_NS1_7vsmem_tEENKUlT_SJ_SK_SL_E_clIPySE_SF_SF_EESI_SY_SJ_SK_SL_EUlSY_E0_NS1_11comp_targetILNS1_3genE5ELNS1_11target_archE942ELNS1_3gpuE9ELNS1_3repE0EEENS1_38merge_mergepath_config_static_selectorELNS0_4arch9wavefront6targetE0EEEvSK_.uses_vcc, 0
	.set _ZN7rocprim17ROCPRIM_400000_NS6detail17trampoline_kernelINS0_14default_configENS1_38merge_sort_block_merge_config_selectorIyNS0_10empty_typeEEEZZNS1_27merge_sort_block_merge_implIS3_N6thrust23THRUST_200600_302600_NS6detail15normal_iteratorINS9_10device_ptrIyEEEEPS5_m11less_div_10IyEEE10hipError_tT0_T1_T2_jT3_P12ihipStream_tbPNSt15iterator_traitsISJ_E10value_typeEPNSP_ISK_E10value_typeEPSL_NS1_7vsmem_tEENKUlT_SJ_SK_SL_E_clIPySE_SF_SF_EESI_SY_SJ_SK_SL_EUlSY_E0_NS1_11comp_targetILNS1_3genE5ELNS1_11target_archE942ELNS1_3gpuE9ELNS1_3repE0EEENS1_38merge_mergepath_config_static_selectorELNS0_4arch9wavefront6targetE0EEEvSK_.uses_flat_scratch, 0
	.set _ZN7rocprim17ROCPRIM_400000_NS6detail17trampoline_kernelINS0_14default_configENS1_38merge_sort_block_merge_config_selectorIyNS0_10empty_typeEEEZZNS1_27merge_sort_block_merge_implIS3_N6thrust23THRUST_200600_302600_NS6detail15normal_iteratorINS9_10device_ptrIyEEEEPS5_m11less_div_10IyEEE10hipError_tT0_T1_T2_jT3_P12ihipStream_tbPNSt15iterator_traitsISJ_E10value_typeEPNSP_ISK_E10value_typeEPSL_NS1_7vsmem_tEENKUlT_SJ_SK_SL_E_clIPySE_SF_SF_EESI_SY_SJ_SK_SL_EUlSY_E0_NS1_11comp_targetILNS1_3genE5ELNS1_11target_archE942ELNS1_3gpuE9ELNS1_3repE0EEENS1_38merge_mergepath_config_static_selectorELNS0_4arch9wavefront6targetE0EEEvSK_.has_dyn_sized_stack, 0
	.set _ZN7rocprim17ROCPRIM_400000_NS6detail17trampoline_kernelINS0_14default_configENS1_38merge_sort_block_merge_config_selectorIyNS0_10empty_typeEEEZZNS1_27merge_sort_block_merge_implIS3_N6thrust23THRUST_200600_302600_NS6detail15normal_iteratorINS9_10device_ptrIyEEEEPS5_m11less_div_10IyEEE10hipError_tT0_T1_T2_jT3_P12ihipStream_tbPNSt15iterator_traitsISJ_E10value_typeEPNSP_ISK_E10value_typeEPSL_NS1_7vsmem_tEENKUlT_SJ_SK_SL_E_clIPySE_SF_SF_EESI_SY_SJ_SK_SL_EUlSY_E0_NS1_11comp_targetILNS1_3genE5ELNS1_11target_archE942ELNS1_3gpuE9ELNS1_3repE0EEENS1_38merge_mergepath_config_static_selectorELNS0_4arch9wavefront6targetE0EEEvSK_.has_recursion, 0
	.set _ZN7rocprim17ROCPRIM_400000_NS6detail17trampoline_kernelINS0_14default_configENS1_38merge_sort_block_merge_config_selectorIyNS0_10empty_typeEEEZZNS1_27merge_sort_block_merge_implIS3_N6thrust23THRUST_200600_302600_NS6detail15normal_iteratorINS9_10device_ptrIyEEEEPS5_m11less_div_10IyEEE10hipError_tT0_T1_T2_jT3_P12ihipStream_tbPNSt15iterator_traitsISJ_E10value_typeEPNSP_ISK_E10value_typeEPSL_NS1_7vsmem_tEENKUlT_SJ_SK_SL_E_clIPySE_SF_SF_EESI_SY_SJ_SK_SL_EUlSY_E0_NS1_11comp_targetILNS1_3genE5ELNS1_11target_archE942ELNS1_3gpuE9ELNS1_3repE0EEENS1_38merge_mergepath_config_static_selectorELNS0_4arch9wavefront6targetE0EEEvSK_.has_indirect_call, 0
	.section	.AMDGPU.csdata,"",@progbits
; Kernel info:
; codeLenInByte = 0
; TotalNumSgprs: 0
; NumVgprs: 0
; ScratchSize: 0
; MemoryBound: 0
; FloatMode: 240
; IeeeMode: 1
; LDSByteSize: 0 bytes/workgroup (compile time only)
; SGPRBlocks: 0
; VGPRBlocks: 0
; NumSGPRsForWavesPerEU: 1
; NumVGPRsForWavesPerEU: 1
; Occupancy: 16
; WaveLimiterHint : 0
; COMPUTE_PGM_RSRC2:SCRATCH_EN: 0
; COMPUTE_PGM_RSRC2:USER_SGPR: 6
; COMPUTE_PGM_RSRC2:TRAP_HANDLER: 0
; COMPUTE_PGM_RSRC2:TGID_X_EN: 1
; COMPUTE_PGM_RSRC2:TGID_Y_EN: 0
; COMPUTE_PGM_RSRC2:TGID_Z_EN: 0
; COMPUTE_PGM_RSRC2:TIDIG_COMP_CNT: 0
	.section	.text._ZN7rocprim17ROCPRIM_400000_NS6detail17trampoline_kernelINS0_14default_configENS1_38merge_sort_block_merge_config_selectorIyNS0_10empty_typeEEEZZNS1_27merge_sort_block_merge_implIS3_N6thrust23THRUST_200600_302600_NS6detail15normal_iteratorINS9_10device_ptrIyEEEEPS5_m11less_div_10IyEEE10hipError_tT0_T1_T2_jT3_P12ihipStream_tbPNSt15iterator_traitsISJ_E10value_typeEPNSP_ISK_E10value_typeEPSL_NS1_7vsmem_tEENKUlT_SJ_SK_SL_E_clIPySE_SF_SF_EESI_SY_SJ_SK_SL_EUlSY_E0_NS1_11comp_targetILNS1_3genE4ELNS1_11target_archE910ELNS1_3gpuE8ELNS1_3repE0EEENS1_38merge_mergepath_config_static_selectorELNS0_4arch9wavefront6targetE0EEEvSK_,"axG",@progbits,_ZN7rocprim17ROCPRIM_400000_NS6detail17trampoline_kernelINS0_14default_configENS1_38merge_sort_block_merge_config_selectorIyNS0_10empty_typeEEEZZNS1_27merge_sort_block_merge_implIS3_N6thrust23THRUST_200600_302600_NS6detail15normal_iteratorINS9_10device_ptrIyEEEEPS5_m11less_div_10IyEEE10hipError_tT0_T1_T2_jT3_P12ihipStream_tbPNSt15iterator_traitsISJ_E10value_typeEPNSP_ISK_E10value_typeEPSL_NS1_7vsmem_tEENKUlT_SJ_SK_SL_E_clIPySE_SF_SF_EESI_SY_SJ_SK_SL_EUlSY_E0_NS1_11comp_targetILNS1_3genE4ELNS1_11target_archE910ELNS1_3gpuE8ELNS1_3repE0EEENS1_38merge_mergepath_config_static_selectorELNS0_4arch9wavefront6targetE0EEEvSK_,comdat
	.protected	_ZN7rocprim17ROCPRIM_400000_NS6detail17trampoline_kernelINS0_14default_configENS1_38merge_sort_block_merge_config_selectorIyNS0_10empty_typeEEEZZNS1_27merge_sort_block_merge_implIS3_N6thrust23THRUST_200600_302600_NS6detail15normal_iteratorINS9_10device_ptrIyEEEEPS5_m11less_div_10IyEEE10hipError_tT0_T1_T2_jT3_P12ihipStream_tbPNSt15iterator_traitsISJ_E10value_typeEPNSP_ISK_E10value_typeEPSL_NS1_7vsmem_tEENKUlT_SJ_SK_SL_E_clIPySE_SF_SF_EESI_SY_SJ_SK_SL_EUlSY_E0_NS1_11comp_targetILNS1_3genE4ELNS1_11target_archE910ELNS1_3gpuE8ELNS1_3repE0EEENS1_38merge_mergepath_config_static_selectorELNS0_4arch9wavefront6targetE0EEEvSK_ ; -- Begin function _ZN7rocprim17ROCPRIM_400000_NS6detail17trampoline_kernelINS0_14default_configENS1_38merge_sort_block_merge_config_selectorIyNS0_10empty_typeEEEZZNS1_27merge_sort_block_merge_implIS3_N6thrust23THRUST_200600_302600_NS6detail15normal_iteratorINS9_10device_ptrIyEEEEPS5_m11less_div_10IyEEE10hipError_tT0_T1_T2_jT3_P12ihipStream_tbPNSt15iterator_traitsISJ_E10value_typeEPNSP_ISK_E10value_typeEPSL_NS1_7vsmem_tEENKUlT_SJ_SK_SL_E_clIPySE_SF_SF_EESI_SY_SJ_SK_SL_EUlSY_E0_NS1_11comp_targetILNS1_3genE4ELNS1_11target_archE910ELNS1_3gpuE8ELNS1_3repE0EEENS1_38merge_mergepath_config_static_selectorELNS0_4arch9wavefront6targetE0EEEvSK_
	.globl	_ZN7rocprim17ROCPRIM_400000_NS6detail17trampoline_kernelINS0_14default_configENS1_38merge_sort_block_merge_config_selectorIyNS0_10empty_typeEEEZZNS1_27merge_sort_block_merge_implIS3_N6thrust23THRUST_200600_302600_NS6detail15normal_iteratorINS9_10device_ptrIyEEEEPS5_m11less_div_10IyEEE10hipError_tT0_T1_T2_jT3_P12ihipStream_tbPNSt15iterator_traitsISJ_E10value_typeEPNSP_ISK_E10value_typeEPSL_NS1_7vsmem_tEENKUlT_SJ_SK_SL_E_clIPySE_SF_SF_EESI_SY_SJ_SK_SL_EUlSY_E0_NS1_11comp_targetILNS1_3genE4ELNS1_11target_archE910ELNS1_3gpuE8ELNS1_3repE0EEENS1_38merge_mergepath_config_static_selectorELNS0_4arch9wavefront6targetE0EEEvSK_
	.p2align	8
	.type	_ZN7rocprim17ROCPRIM_400000_NS6detail17trampoline_kernelINS0_14default_configENS1_38merge_sort_block_merge_config_selectorIyNS0_10empty_typeEEEZZNS1_27merge_sort_block_merge_implIS3_N6thrust23THRUST_200600_302600_NS6detail15normal_iteratorINS9_10device_ptrIyEEEEPS5_m11less_div_10IyEEE10hipError_tT0_T1_T2_jT3_P12ihipStream_tbPNSt15iterator_traitsISJ_E10value_typeEPNSP_ISK_E10value_typeEPSL_NS1_7vsmem_tEENKUlT_SJ_SK_SL_E_clIPySE_SF_SF_EESI_SY_SJ_SK_SL_EUlSY_E0_NS1_11comp_targetILNS1_3genE4ELNS1_11target_archE910ELNS1_3gpuE8ELNS1_3repE0EEENS1_38merge_mergepath_config_static_selectorELNS0_4arch9wavefront6targetE0EEEvSK_,@function
_ZN7rocprim17ROCPRIM_400000_NS6detail17trampoline_kernelINS0_14default_configENS1_38merge_sort_block_merge_config_selectorIyNS0_10empty_typeEEEZZNS1_27merge_sort_block_merge_implIS3_N6thrust23THRUST_200600_302600_NS6detail15normal_iteratorINS9_10device_ptrIyEEEEPS5_m11less_div_10IyEEE10hipError_tT0_T1_T2_jT3_P12ihipStream_tbPNSt15iterator_traitsISJ_E10value_typeEPNSP_ISK_E10value_typeEPSL_NS1_7vsmem_tEENKUlT_SJ_SK_SL_E_clIPySE_SF_SF_EESI_SY_SJ_SK_SL_EUlSY_E0_NS1_11comp_targetILNS1_3genE4ELNS1_11target_archE910ELNS1_3gpuE8ELNS1_3repE0EEENS1_38merge_mergepath_config_static_selectorELNS0_4arch9wavefront6targetE0EEEvSK_: ; @_ZN7rocprim17ROCPRIM_400000_NS6detail17trampoline_kernelINS0_14default_configENS1_38merge_sort_block_merge_config_selectorIyNS0_10empty_typeEEEZZNS1_27merge_sort_block_merge_implIS3_N6thrust23THRUST_200600_302600_NS6detail15normal_iteratorINS9_10device_ptrIyEEEEPS5_m11less_div_10IyEEE10hipError_tT0_T1_T2_jT3_P12ihipStream_tbPNSt15iterator_traitsISJ_E10value_typeEPNSP_ISK_E10value_typeEPSL_NS1_7vsmem_tEENKUlT_SJ_SK_SL_E_clIPySE_SF_SF_EESI_SY_SJ_SK_SL_EUlSY_E0_NS1_11comp_targetILNS1_3genE4ELNS1_11target_archE910ELNS1_3gpuE8ELNS1_3repE0EEENS1_38merge_mergepath_config_static_selectorELNS0_4arch9wavefront6targetE0EEEvSK_
; %bb.0:
	.section	.rodata,"a",@progbits
	.p2align	6, 0x0
	.amdhsa_kernel _ZN7rocprim17ROCPRIM_400000_NS6detail17trampoline_kernelINS0_14default_configENS1_38merge_sort_block_merge_config_selectorIyNS0_10empty_typeEEEZZNS1_27merge_sort_block_merge_implIS3_N6thrust23THRUST_200600_302600_NS6detail15normal_iteratorINS9_10device_ptrIyEEEEPS5_m11less_div_10IyEEE10hipError_tT0_T1_T2_jT3_P12ihipStream_tbPNSt15iterator_traitsISJ_E10value_typeEPNSP_ISK_E10value_typeEPSL_NS1_7vsmem_tEENKUlT_SJ_SK_SL_E_clIPySE_SF_SF_EESI_SY_SJ_SK_SL_EUlSY_E0_NS1_11comp_targetILNS1_3genE4ELNS1_11target_archE910ELNS1_3gpuE8ELNS1_3repE0EEENS1_38merge_mergepath_config_static_selectorELNS0_4arch9wavefront6targetE0EEEvSK_
		.amdhsa_group_segment_fixed_size 0
		.amdhsa_private_segment_fixed_size 0
		.amdhsa_kernarg_size 72
		.amdhsa_user_sgpr_count 6
		.amdhsa_user_sgpr_private_segment_buffer 1
		.amdhsa_user_sgpr_dispatch_ptr 0
		.amdhsa_user_sgpr_queue_ptr 0
		.amdhsa_user_sgpr_kernarg_segment_ptr 1
		.amdhsa_user_sgpr_dispatch_id 0
		.amdhsa_user_sgpr_flat_scratch_init 0
		.amdhsa_user_sgpr_private_segment_size 0
		.amdhsa_wavefront_size32 1
		.amdhsa_uses_dynamic_stack 0
		.amdhsa_system_sgpr_private_segment_wavefront_offset 0
		.amdhsa_system_sgpr_workgroup_id_x 1
		.amdhsa_system_sgpr_workgroup_id_y 0
		.amdhsa_system_sgpr_workgroup_id_z 0
		.amdhsa_system_sgpr_workgroup_info 0
		.amdhsa_system_vgpr_workitem_id 0
		.amdhsa_next_free_vgpr 1
		.amdhsa_next_free_sgpr 1
		.amdhsa_reserve_vcc 0
		.amdhsa_reserve_flat_scratch 0
		.amdhsa_float_round_mode_32 0
		.amdhsa_float_round_mode_16_64 0
		.amdhsa_float_denorm_mode_32 3
		.amdhsa_float_denorm_mode_16_64 3
		.amdhsa_dx10_clamp 1
		.amdhsa_ieee_mode 1
		.amdhsa_fp16_overflow 0
		.amdhsa_workgroup_processor_mode 1
		.amdhsa_memory_ordered 1
		.amdhsa_forward_progress 1
		.amdhsa_shared_vgpr_count 0
		.amdhsa_exception_fp_ieee_invalid_op 0
		.amdhsa_exception_fp_denorm_src 0
		.amdhsa_exception_fp_ieee_div_zero 0
		.amdhsa_exception_fp_ieee_overflow 0
		.amdhsa_exception_fp_ieee_underflow 0
		.amdhsa_exception_fp_ieee_inexact 0
		.amdhsa_exception_int_div_zero 0
	.end_amdhsa_kernel
	.section	.text._ZN7rocprim17ROCPRIM_400000_NS6detail17trampoline_kernelINS0_14default_configENS1_38merge_sort_block_merge_config_selectorIyNS0_10empty_typeEEEZZNS1_27merge_sort_block_merge_implIS3_N6thrust23THRUST_200600_302600_NS6detail15normal_iteratorINS9_10device_ptrIyEEEEPS5_m11less_div_10IyEEE10hipError_tT0_T1_T2_jT3_P12ihipStream_tbPNSt15iterator_traitsISJ_E10value_typeEPNSP_ISK_E10value_typeEPSL_NS1_7vsmem_tEENKUlT_SJ_SK_SL_E_clIPySE_SF_SF_EESI_SY_SJ_SK_SL_EUlSY_E0_NS1_11comp_targetILNS1_3genE4ELNS1_11target_archE910ELNS1_3gpuE8ELNS1_3repE0EEENS1_38merge_mergepath_config_static_selectorELNS0_4arch9wavefront6targetE0EEEvSK_,"axG",@progbits,_ZN7rocprim17ROCPRIM_400000_NS6detail17trampoline_kernelINS0_14default_configENS1_38merge_sort_block_merge_config_selectorIyNS0_10empty_typeEEEZZNS1_27merge_sort_block_merge_implIS3_N6thrust23THRUST_200600_302600_NS6detail15normal_iteratorINS9_10device_ptrIyEEEEPS5_m11less_div_10IyEEE10hipError_tT0_T1_T2_jT3_P12ihipStream_tbPNSt15iterator_traitsISJ_E10value_typeEPNSP_ISK_E10value_typeEPSL_NS1_7vsmem_tEENKUlT_SJ_SK_SL_E_clIPySE_SF_SF_EESI_SY_SJ_SK_SL_EUlSY_E0_NS1_11comp_targetILNS1_3genE4ELNS1_11target_archE910ELNS1_3gpuE8ELNS1_3repE0EEENS1_38merge_mergepath_config_static_selectorELNS0_4arch9wavefront6targetE0EEEvSK_,comdat
.Lfunc_end35:
	.size	_ZN7rocprim17ROCPRIM_400000_NS6detail17trampoline_kernelINS0_14default_configENS1_38merge_sort_block_merge_config_selectorIyNS0_10empty_typeEEEZZNS1_27merge_sort_block_merge_implIS3_N6thrust23THRUST_200600_302600_NS6detail15normal_iteratorINS9_10device_ptrIyEEEEPS5_m11less_div_10IyEEE10hipError_tT0_T1_T2_jT3_P12ihipStream_tbPNSt15iterator_traitsISJ_E10value_typeEPNSP_ISK_E10value_typeEPSL_NS1_7vsmem_tEENKUlT_SJ_SK_SL_E_clIPySE_SF_SF_EESI_SY_SJ_SK_SL_EUlSY_E0_NS1_11comp_targetILNS1_3genE4ELNS1_11target_archE910ELNS1_3gpuE8ELNS1_3repE0EEENS1_38merge_mergepath_config_static_selectorELNS0_4arch9wavefront6targetE0EEEvSK_, .Lfunc_end35-_ZN7rocprim17ROCPRIM_400000_NS6detail17trampoline_kernelINS0_14default_configENS1_38merge_sort_block_merge_config_selectorIyNS0_10empty_typeEEEZZNS1_27merge_sort_block_merge_implIS3_N6thrust23THRUST_200600_302600_NS6detail15normal_iteratorINS9_10device_ptrIyEEEEPS5_m11less_div_10IyEEE10hipError_tT0_T1_T2_jT3_P12ihipStream_tbPNSt15iterator_traitsISJ_E10value_typeEPNSP_ISK_E10value_typeEPSL_NS1_7vsmem_tEENKUlT_SJ_SK_SL_E_clIPySE_SF_SF_EESI_SY_SJ_SK_SL_EUlSY_E0_NS1_11comp_targetILNS1_3genE4ELNS1_11target_archE910ELNS1_3gpuE8ELNS1_3repE0EEENS1_38merge_mergepath_config_static_selectorELNS0_4arch9wavefront6targetE0EEEvSK_
                                        ; -- End function
	.set _ZN7rocprim17ROCPRIM_400000_NS6detail17trampoline_kernelINS0_14default_configENS1_38merge_sort_block_merge_config_selectorIyNS0_10empty_typeEEEZZNS1_27merge_sort_block_merge_implIS3_N6thrust23THRUST_200600_302600_NS6detail15normal_iteratorINS9_10device_ptrIyEEEEPS5_m11less_div_10IyEEE10hipError_tT0_T1_T2_jT3_P12ihipStream_tbPNSt15iterator_traitsISJ_E10value_typeEPNSP_ISK_E10value_typeEPSL_NS1_7vsmem_tEENKUlT_SJ_SK_SL_E_clIPySE_SF_SF_EESI_SY_SJ_SK_SL_EUlSY_E0_NS1_11comp_targetILNS1_3genE4ELNS1_11target_archE910ELNS1_3gpuE8ELNS1_3repE0EEENS1_38merge_mergepath_config_static_selectorELNS0_4arch9wavefront6targetE0EEEvSK_.num_vgpr, 0
	.set _ZN7rocprim17ROCPRIM_400000_NS6detail17trampoline_kernelINS0_14default_configENS1_38merge_sort_block_merge_config_selectorIyNS0_10empty_typeEEEZZNS1_27merge_sort_block_merge_implIS3_N6thrust23THRUST_200600_302600_NS6detail15normal_iteratorINS9_10device_ptrIyEEEEPS5_m11less_div_10IyEEE10hipError_tT0_T1_T2_jT3_P12ihipStream_tbPNSt15iterator_traitsISJ_E10value_typeEPNSP_ISK_E10value_typeEPSL_NS1_7vsmem_tEENKUlT_SJ_SK_SL_E_clIPySE_SF_SF_EESI_SY_SJ_SK_SL_EUlSY_E0_NS1_11comp_targetILNS1_3genE4ELNS1_11target_archE910ELNS1_3gpuE8ELNS1_3repE0EEENS1_38merge_mergepath_config_static_selectorELNS0_4arch9wavefront6targetE0EEEvSK_.num_agpr, 0
	.set _ZN7rocprim17ROCPRIM_400000_NS6detail17trampoline_kernelINS0_14default_configENS1_38merge_sort_block_merge_config_selectorIyNS0_10empty_typeEEEZZNS1_27merge_sort_block_merge_implIS3_N6thrust23THRUST_200600_302600_NS6detail15normal_iteratorINS9_10device_ptrIyEEEEPS5_m11less_div_10IyEEE10hipError_tT0_T1_T2_jT3_P12ihipStream_tbPNSt15iterator_traitsISJ_E10value_typeEPNSP_ISK_E10value_typeEPSL_NS1_7vsmem_tEENKUlT_SJ_SK_SL_E_clIPySE_SF_SF_EESI_SY_SJ_SK_SL_EUlSY_E0_NS1_11comp_targetILNS1_3genE4ELNS1_11target_archE910ELNS1_3gpuE8ELNS1_3repE0EEENS1_38merge_mergepath_config_static_selectorELNS0_4arch9wavefront6targetE0EEEvSK_.numbered_sgpr, 0
	.set _ZN7rocprim17ROCPRIM_400000_NS6detail17trampoline_kernelINS0_14default_configENS1_38merge_sort_block_merge_config_selectorIyNS0_10empty_typeEEEZZNS1_27merge_sort_block_merge_implIS3_N6thrust23THRUST_200600_302600_NS6detail15normal_iteratorINS9_10device_ptrIyEEEEPS5_m11less_div_10IyEEE10hipError_tT0_T1_T2_jT3_P12ihipStream_tbPNSt15iterator_traitsISJ_E10value_typeEPNSP_ISK_E10value_typeEPSL_NS1_7vsmem_tEENKUlT_SJ_SK_SL_E_clIPySE_SF_SF_EESI_SY_SJ_SK_SL_EUlSY_E0_NS1_11comp_targetILNS1_3genE4ELNS1_11target_archE910ELNS1_3gpuE8ELNS1_3repE0EEENS1_38merge_mergepath_config_static_selectorELNS0_4arch9wavefront6targetE0EEEvSK_.num_named_barrier, 0
	.set _ZN7rocprim17ROCPRIM_400000_NS6detail17trampoline_kernelINS0_14default_configENS1_38merge_sort_block_merge_config_selectorIyNS0_10empty_typeEEEZZNS1_27merge_sort_block_merge_implIS3_N6thrust23THRUST_200600_302600_NS6detail15normal_iteratorINS9_10device_ptrIyEEEEPS5_m11less_div_10IyEEE10hipError_tT0_T1_T2_jT3_P12ihipStream_tbPNSt15iterator_traitsISJ_E10value_typeEPNSP_ISK_E10value_typeEPSL_NS1_7vsmem_tEENKUlT_SJ_SK_SL_E_clIPySE_SF_SF_EESI_SY_SJ_SK_SL_EUlSY_E0_NS1_11comp_targetILNS1_3genE4ELNS1_11target_archE910ELNS1_3gpuE8ELNS1_3repE0EEENS1_38merge_mergepath_config_static_selectorELNS0_4arch9wavefront6targetE0EEEvSK_.private_seg_size, 0
	.set _ZN7rocprim17ROCPRIM_400000_NS6detail17trampoline_kernelINS0_14default_configENS1_38merge_sort_block_merge_config_selectorIyNS0_10empty_typeEEEZZNS1_27merge_sort_block_merge_implIS3_N6thrust23THRUST_200600_302600_NS6detail15normal_iteratorINS9_10device_ptrIyEEEEPS5_m11less_div_10IyEEE10hipError_tT0_T1_T2_jT3_P12ihipStream_tbPNSt15iterator_traitsISJ_E10value_typeEPNSP_ISK_E10value_typeEPSL_NS1_7vsmem_tEENKUlT_SJ_SK_SL_E_clIPySE_SF_SF_EESI_SY_SJ_SK_SL_EUlSY_E0_NS1_11comp_targetILNS1_3genE4ELNS1_11target_archE910ELNS1_3gpuE8ELNS1_3repE0EEENS1_38merge_mergepath_config_static_selectorELNS0_4arch9wavefront6targetE0EEEvSK_.uses_vcc, 0
	.set _ZN7rocprim17ROCPRIM_400000_NS6detail17trampoline_kernelINS0_14default_configENS1_38merge_sort_block_merge_config_selectorIyNS0_10empty_typeEEEZZNS1_27merge_sort_block_merge_implIS3_N6thrust23THRUST_200600_302600_NS6detail15normal_iteratorINS9_10device_ptrIyEEEEPS5_m11less_div_10IyEEE10hipError_tT0_T1_T2_jT3_P12ihipStream_tbPNSt15iterator_traitsISJ_E10value_typeEPNSP_ISK_E10value_typeEPSL_NS1_7vsmem_tEENKUlT_SJ_SK_SL_E_clIPySE_SF_SF_EESI_SY_SJ_SK_SL_EUlSY_E0_NS1_11comp_targetILNS1_3genE4ELNS1_11target_archE910ELNS1_3gpuE8ELNS1_3repE0EEENS1_38merge_mergepath_config_static_selectorELNS0_4arch9wavefront6targetE0EEEvSK_.uses_flat_scratch, 0
	.set _ZN7rocprim17ROCPRIM_400000_NS6detail17trampoline_kernelINS0_14default_configENS1_38merge_sort_block_merge_config_selectorIyNS0_10empty_typeEEEZZNS1_27merge_sort_block_merge_implIS3_N6thrust23THRUST_200600_302600_NS6detail15normal_iteratorINS9_10device_ptrIyEEEEPS5_m11less_div_10IyEEE10hipError_tT0_T1_T2_jT3_P12ihipStream_tbPNSt15iterator_traitsISJ_E10value_typeEPNSP_ISK_E10value_typeEPSL_NS1_7vsmem_tEENKUlT_SJ_SK_SL_E_clIPySE_SF_SF_EESI_SY_SJ_SK_SL_EUlSY_E0_NS1_11comp_targetILNS1_3genE4ELNS1_11target_archE910ELNS1_3gpuE8ELNS1_3repE0EEENS1_38merge_mergepath_config_static_selectorELNS0_4arch9wavefront6targetE0EEEvSK_.has_dyn_sized_stack, 0
	.set _ZN7rocprim17ROCPRIM_400000_NS6detail17trampoline_kernelINS0_14default_configENS1_38merge_sort_block_merge_config_selectorIyNS0_10empty_typeEEEZZNS1_27merge_sort_block_merge_implIS3_N6thrust23THRUST_200600_302600_NS6detail15normal_iteratorINS9_10device_ptrIyEEEEPS5_m11less_div_10IyEEE10hipError_tT0_T1_T2_jT3_P12ihipStream_tbPNSt15iterator_traitsISJ_E10value_typeEPNSP_ISK_E10value_typeEPSL_NS1_7vsmem_tEENKUlT_SJ_SK_SL_E_clIPySE_SF_SF_EESI_SY_SJ_SK_SL_EUlSY_E0_NS1_11comp_targetILNS1_3genE4ELNS1_11target_archE910ELNS1_3gpuE8ELNS1_3repE0EEENS1_38merge_mergepath_config_static_selectorELNS0_4arch9wavefront6targetE0EEEvSK_.has_recursion, 0
	.set _ZN7rocprim17ROCPRIM_400000_NS6detail17trampoline_kernelINS0_14default_configENS1_38merge_sort_block_merge_config_selectorIyNS0_10empty_typeEEEZZNS1_27merge_sort_block_merge_implIS3_N6thrust23THRUST_200600_302600_NS6detail15normal_iteratorINS9_10device_ptrIyEEEEPS5_m11less_div_10IyEEE10hipError_tT0_T1_T2_jT3_P12ihipStream_tbPNSt15iterator_traitsISJ_E10value_typeEPNSP_ISK_E10value_typeEPSL_NS1_7vsmem_tEENKUlT_SJ_SK_SL_E_clIPySE_SF_SF_EESI_SY_SJ_SK_SL_EUlSY_E0_NS1_11comp_targetILNS1_3genE4ELNS1_11target_archE910ELNS1_3gpuE8ELNS1_3repE0EEENS1_38merge_mergepath_config_static_selectorELNS0_4arch9wavefront6targetE0EEEvSK_.has_indirect_call, 0
	.section	.AMDGPU.csdata,"",@progbits
; Kernel info:
; codeLenInByte = 0
; TotalNumSgprs: 0
; NumVgprs: 0
; ScratchSize: 0
; MemoryBound: 0
; FloatMode: 240
; IeeeMode: 1
; LDSByteSize: 0 bytes/workgroup (compile time only)
; SGPRBlocks: 0
; VGPRBlocks: 0
; NumSGPRsForWavesPerEU: 1
; NumVGPRsForWavesPerEU: 1
; Occupancy: 16
; WaveLimiterHint : 0
; COMPUTE_PGM_RSRC2:SCRATCH_EN: 0
; COMPUTE_PGM_RSRC2:USER_SGPR: 6
; COMPUTE_PGM_RSRC2:TRAP_HANDLER: 0
; COMPUTE_PGM_RSRC2:TGID_X_EN: 1
; COMPUTE_PGM_RSRC2:TGID_Y_EN: 0
; COMPUTE_PGM_RSRC2:TGID_Z_EN: 0
; COMPUTE_PGM_RSRC2:TIDIG_COMP_CNT: 0
	.section	.text._ZN7rocprim17ROCPRIM_400000_NS6detail17trampoline_kernelINS0_14default_configENS1_38merge_sort_block_merge_config_selectorIyNS0_10empty_typeEEEZZNS1_27merge_sort_block_merge_implIS3_N6thrust23THRUST_200600_302600_NS6detail15normal_iteratorINS9_10device_ptrIyEEEEPS5_m11less_div_10IyEEE10hipError_tT0_T1_T2_jT3_P12ihipStream_tbPNSt15iterator_traitsISJ_E10value_typeEPNSP_ISK_E10value_typeEPSL_NS1_7vsmem_tEENKUlT_SJ_SK_SL_E_clIPySE_SF_SF_EESI_SY_SJ_SK_SL_EUlSY_E0_NS1_11comp_targetILNS1_3genE3ELNS1_11target_archE908ELNS1_3gpuE7ELNS1_3repE0EEENS1_38merge_mergepath_config_static_selectorELNS0_4arch9wavefront6targetE0EEEvSK_,"axG",@progbits,_ZN7rocprim17ROCPRIM_400000_NS6detail17trampoline_kernelINS0_14default_configENS1_38merge_sort_block_merge_config_selectorIyNS0_10empty_typeEEEZZNS1_27merge_sort_block_merge_implIS3_N6thrust23THRUST_200600_302600_NS6detail15normal_iteratorINS9_10device_ptrIyEEEEPS5_m11less_div_10IyEEE10hipError_tT0_T1_T2_jT3_P12ihipStream_tbPNSt15iterator_traitsISJ_E10value_typeEPNSP_ISK_E10value_typeEPSL_NS1_7vsmem_tEENKUlT_SJ_SK_SL_E_clIPySE_SF_SF_EESI_SY_SJ_SK_SL_EUlSY_E0_NS1_11comp_targetILNS1_3genE3ELNS1_11target_archE908ELNS1_3gpuE7ELNS1_3repE0EEENS1_38merge_mergepath_config_static_selectorELNS0_4arch9wavefront6targetE0EEEvSK_,comdat
	.protected	_ZN7rocprim17ROCPRIM_400000_NS6detail17trampoline_kernelINS0_14default_configENS1_38merge_sort_block_merge_config_selectorIyNS0_10empty_typeEEEZZNS1_27merge_sort_block_merge_implIS3_N6thrust23THRUST_200600_302600_NS6detail15normal_iteratorINS9_10device_ptrIyEEEEPS5_m11less_div_10IyEEE10hipError_tT0_T1_T2_jT3_P12ihipStream_tbPNSt15iterator_traitsISJ_E10value_typeEPNSP_ISK_E10value_typeEPSL_NS1_7vsmem_tEENKUlT_SJ_SK_SL_E_clIPySE_SF_SF_EESI_SY_SJ_SK_SL_EUlSY_E0_NS1_11comp_targetILNS1_3genE3ELNS1_11target_archE908ELNS1_3gpuE7ELNS1_3repE0EEENS1_38merge_mergepath_config_static_selectorELNS0_4arch9wavefront6targetE0EEEvSK_ ; -- Begin function _ZN7rocprim17ROCPRIM_400000_NS6detail17trampoline_kernelINS0_14default_configENS1_38merge_sort_block_merge_config_selectorIyNS0_10empty_typeEEEZZNS1_27merge_sort_block_merge_implIS3_N6thrust23THRUST_200600_302600_NS6detail15normal_iteratorINS9_10device_ptrIyEEEEPS5_m11less_div_10IyEEE10hipError_tT0_T1_T2_jT3_P12ihipStream_tbPNSt15iterator_traitsISJ_E10value_typeEPNSP_ISK_E10value_typeEPSL_NS1_7vsmem_tEENKUlT_SJ_SK_SL_E_clIPySE_SF_SF_EESI_SY_SJ_SK_SL_EUlSY_E0_NS1_11comp_targetILNS1_3genE3ELNS1_11target_archE908ELNS1_3gpuE7ELNS1_3repE0EEENS1_38merge_mergepath_config_static_selectorELNS0_4arch9wavefront6targetE0EEEvSK_
	.globl	_ZN7rocprim17ROCPRIM_400000_NS6detail17trampoline_kernelINS0_14default_configENS1_38merge_sort_block_merge_config_selectorIyNS0_10empty_typeEEEZZNS1_27merge_sort_block_merge_implIS3_N6thrust23THRUST_200600_302600_NS6detail15normal_iteratorINS9_10device_ptrIyEEEEPS5_m11less_div_10IyEEE10hipError_tT0_T1_T2_jT3_P12ihipStream_tbPNSt15iterator_traitsISJ_E10value_typeEPNSP_ISK_E10value_typeEPSL_NS1_7vsmem_tEENKUlT_SJ_SK_SL_E_clIPySE_SF_SF_EESI_SY_SJ_SK_SL_EUlSY_E0_NS1_11comp_targetILNS1_3genE3ELNS1_11target_archE908ELNS1_3gpuE7ELNS1_3repE0EEENS1_38merge_mergepath_config_static_selectorELNS0_4arch9wavefront6targetE0EEEvSK_
	.p2align	8
	.type	_ZN7rocprim17ROCPRIM_400000_NS6detail17trampoline_kernelINS0_14default_configENS1_38merge_sort_block_merge_config_selectorIyNS0_10empty_typeEEEZZNS1_27merge_sort_block_merge_implIS3_N6thrust23THRUST_200600_302600_NS6detail15normal_iteratorINS9_10device_ptrIyEEEEPS5_m11less_div_10IyEEE10hipError_tT0_T1_T2_jT3_P12ihipStream_tbPNSt15iterator_traitsISJ_E10value_typeEPNSP_ISK_E10value_typeEPSL_NS1_7vsmem_tEENKUlT_SJ_SK_SL_E_clIPySE_SF_SF_EESI_SY_SJ_SK_SL_EUlSY_E0_NS1_11comp_targetILNS1_3genE3ELNS1_11target_archE908ELNS1_3gpuE7ELNS1_3repE0EEENS1_38merge_mergepath_config_static_selectorELNS0_4arch9wavefront6targetE0EEEvSK_,@function
_ZN7rocprim17ROCPRIM_400000_NS6detail17trampoline_kernelINS0_14default_configENS1_38merge_sort_block_merge_config_selectorIyNS0_10empty_typeEEEZZNS1_27merge_sort_block_merge_implIS3_N6thrust23THRUST_200600_302600_NS6detail15normal_iteratorINS9_10device_ptrIyEEEEPS5_m11less_div_10IyEEE10hipError_tT0_T1_T2_jT3_P12ihipStream_tbPNSt15iterator_traitsISJ_E10value_typeEPNSP_ISK_E10value_typeEPSL_NS1_7vsmem_tEENKUlT_SJ_SK_SL_E_clIPySE_SF_SF_EESI_SY_SJ_SK_SL_EUlSY_E0_NS1_11comp_targetILNS1_3genE3ELNS1_11target_archE908ELNS1_3gpuE7ELNS1_3repE0EEENS1_38merge_mergepath_config_static_selectorELNS0_4arch9wavefront6targetE0EEEvSK_: ; @_ZN7rocprim17ROCPRIM_400000_NS6detail17trampoline_kernelINS0_14default_configENS1_38merge_sort_block_merge_config_selectorIyNS0_10empty_typeEEEZZNS1_27merge_sort_block_merge_implIS3_N6thrust23THRUST_200600_302600_NS6detail15normal_iteratorINS9_10device_ptrIyEEEEPS5_m11less_div_10IyEEE10hipError_tT0_T1_T2_jT3_P12ihipStream_tbPNSt15iterator_traitsISJ_E10value_typeEPNSP_ISK_E10value_typeEPSL_NS1_7vsmem_tEENKUlT_SJ_SK_SL_E_clIPySE_SF_SF_EESI_SY_SJ_SK_SL_EUlSY_E0_NS1_11comp_targetILNS1_3genE3ELNS1_11target_archE908ELNS1_3gpuE7ELNS1_3repE0EEENS1_38merge_mergepath_config_static_selectorELNS0_4arch9wavefront6targetE0EEEvSK_
; %bb.0:
	.section	.rodata,"a",@progbits
	.p2align	6, 0x0
	.amdhsa_kernel _ZN7rocprim17ROCPRIM_400000_NS6detail17trampoline_kernelINS0_14default_configENS1_38merge_sort_block_merge_config_selectorIyNS0_10empty_typeEEEZZNS1_27merge_sort_block_merge_implIS3_N6thrust23THRUST_200600_302600_NS6detail15normal_iteratorINS9_10device_ptrIyEEEEPS5_m11less_div_10IyEEE10hipError_tT0_T1_T2_jT3_P12ihipStream_tbPNSt15iterator_traitsISJ_E10value_typeEPNSP_ISK_E10value_typeEPSL_NS1_7vsmem_tEENKUlT_SJ_SK_SL_E_clIPySE_SF_SF_EESI_SY_SJ_SK_SL_EUlSY_E0_NS1_11comp_targetILNS1_3genE3ELNS1_11target_archE908ELNS1_3gpuE7ELNS1_3repE0EEENS1_38merge_mergepath_config_static_selectorELNS0_4arch9wavefront6targetE0EEEvSK_
		.amdhsa_group_segment_fixed_size 0
		.amdhsa_private_segment_fixed_size 0
		.amdhsa_kernarg_size 72
		.amdhsa_user_sgpr_count 6
		.amdhsa_user_sgpr_private_segment_buffer 1
		.amdhsa_user_sgpr_dispatch_ptr 0
		.amdhsa_user_sgpr_queue_ptr 0
		.amdhsa_user_sgpr_kernarg_segment_ptr 1
		.amdhsa_user_sgpr_dispatch_id 0
		.amdhsa_user_sgpr_flat_scratch_init 0
		.amdhsa_user_sgpr_private_segment_size 0
		.amdhsa_wavefront_size32 1
		.amdhsa_uses_dynamic_stack 0
		.amdhsa_system_sgpr_private_segment_wavefront_offset 0
		.amdhsa_system_sgpr_workgroup_id_x 1
		.amdhsa_system_sgpr_workgroup_id_y 0
		.amdhsa_system_sgpr_workgroup_id_z 0
		.amdhsa_system_sgpr_workgroup_info 0
		.amdhsa_system_vgpr_workitem_id 0
		.amdhsa_next_free_vgpr 1
		.amdhsa_next_free_sgpr 1
		.amdhsa_reserve_vcc 0
		.amdhsa_reserve_flat_scratch 0
		.amdhsa_float_round_mode_32 0
		.amdhsa_float_round_mode_16_64 0
		.amdhsa_float_denorm_mode_32 3
		.amdhsa_float_denorm_mode_16_64 3
		.amdhsa_dx10_clamp 1
		.amdhsa_ieee_mode 1
		.amdhsa_fp16_overflow 0
		.amdhsa_workgroup_processor_mode 1
		.amdhsa_memory_ordered 1
		.amdhsa_forward_progress 1
		.amdhsa_shared_vgpr_count 0
		.amdhsa_exception_fp_ieee_invalid_op 0
		.amdhsa_exception_fp_denorm_src 0
		.amdhsa_exception_fp_ieee_div_zero 0
		.amdhsa_exception_fp_ieee_overflow 0
		.amdhsa_exception_fp_ieee_underflow 0
		.amdhsa_exception_fp_ieee_inexact 0
		.amdhsa_exception_int_div_zero 0
	.end_amdhsa_kernel
	.section	.text._ZN7rocprim17ROCPRIM_400000_NS6detail17trampoline_kernelINS0_14default_configENS1_38merge_sort_block_merge_config_selectorIyNS0_10empty_typeEEEZZNS1_27merge_sort_block_merge_implIS3_N6thrust23THRUST_200600_302600_NS6detail15normal_iteratorINS9_10device_ptrIyEEEEPS5_m11less_div_10IyEEE10hipError_tT0_T1_T2_jT3_P12ihipStream_tbPNSt15iterator_traitsISJ_E10value_typeEPNSP_ISK_E10value_typeEPSL_NS1_7vsmem_tEENKUlT_SJ_SK_SL_E_clIPySE_SF_SF_EESI_SY_SJ_SK_SL_EUlSY_E0_NS1_11comp_targetILNS1_3genE3ELNS1_11target_archE908ELNS1_3gpuE7ELNS1_3repE0EEENS1_38merge_mergepath_config_static_selectorELNS0_4arch9wavefront6targetE0EEEvSK_,"axG",@progbits,_ZN7rocprim17ROCPRIM_400000_NS6detail17trampoline_kernelINS0_14default_configENS1_38merge_sort_block_merge_config_selectorIyNS0_10empty_typeEEEZZNS1_27merge_sort_block_merge_implIS3_N6thrust23THRUST_200600_302600_NS6detail15normal_iteratorINS9_10device_ptrIyEEEEPS5_m11less_div_10IyEEE10hipError_tT0_T1_T2_jT3_P12ihipStream_tbPNSt15iterator_traitsISJ_E10value_typeEPNSP_ISK_E10value_typeEPSL_NS1_7vsmem_tEENKUlT_SJ_SK_SL_E_clIPySE_SF_SF_EESI_SY_SJ_SK_SL_EUlSY_E0_NS1_11comp_targetILNS1_3genE3ELNS1_11target_archE908ELNS1_3gpuE7ELNS1_3repE0EEENS1_38merge_mergepath_config_static_selectorELNS0_4arch9wavefront6targetE0EEEvSK_,comdat
.Lfunc_end36:
	.size	_ZN7rocprim17ROCPRIM_400000_NS6detail17trampoline_kernelINS0_14default_configENS1_38merge_sort_block_merge_config_selectorIyNS0_10empty_typeEEEZZNS1_27merge_sort_block_merge_implIS3_N6thrust23THRUST_200600_302600_NS6detail15normal_iteratorINS9_10device_ptrIyEEEEPS5_m11less_div_10IyEEE10hipError_tT0_T1_T2_jT3_P12ihipStream_tbPNSt15iterator_traitsISJ_E10value_typeEPNSP_ISK_E10value_typeEPSL_NS1_7vsmem_tEENKUlT_SJ_SK_SL_E_clIPySE_SF_SF_EESI_SY_SJ_SK_SL_EUlSY_E0_NS1_11comp_targetILNS1_3genE3ELNS1_11target_archE908ELNS1_3gpuE7ELNS1_3repE0EEENS1_38merge_mergepath_config_static_selectorELNS0_4arch9wavefront6targetE0EEEvSK_, .Lfunc_end36-_ZN7rocprim17ROCPRIM_400000_NS6detail17trampoline_kernelINS0_14default_configENS1_38merge_sort_block_merge_config_selectorIyNS0_10empty_typeEEEZZNS1_27merge_sort_block_merge_implIS3_N6thrust23THRUST_200600_302600_NS6detail15normal_iteratorINS9_10device_ptrIyEEEEPS5_m11less_div_10IyEEE10hipError_tT0_T1_T2_jT3_P12ihipStream_tbPNSt15iterator_traitsISJ_E10value_typeEPNSP_ISK_E10value_typeEPSL_NS1_7vsmem_tEENKUlT_SJ_SK_SL_E_clIPySE_SF_SF_EESI_SY_SJ_SK_SL_EUlSY_E0_NS1_11comp_targetILNS1_3genE3ELNS1_11target_archE908ELNS1_3gpuE7ELNS1_3repE0EEENS1_38merge_mergepath_config_static_selectorELNS0_4arch9wavefront6targetE0EEEvSK_
                                        ; -- End function
	.set _ZN7rocprim17ROCPRIM_400000_NS6detail17trampoline_kernelINS0_14default_configENS1_38merge_sort_block_merge_config_selectorIyNS0_10empty_typeEEEZZNS1_27merge_sort_block_merge_implIS3_N6thrust23THRUST_200600_302600_NS6detail15normal_iteratorINS9_10device_ptrIyEEEEPS5_m11less_div_10IyEEE10hipError_tT0_T1_T2_jT3_P12ihipStream_tbPNSt15iterator_traitsISJ_E10value_typeEPNSP_ISK_E10value_typeEPSL_NS1_7vsmem_tEENKUlT_SJ_SK_SL_E_clIPySE_SF_SF_EESI_SY_SJ_SK_SL_EUlSY_E0_NS1_11comp_targetILNS1_3genE3ELNS1_11target_archE908ELNS1_3gpuE7ELNS1_3repE0EEENS1_38merge_mergepath_config_static_selectorELNS0_4arch9wavefront6targetE0EEEvSK_.num_vgpr, 0
	.set _ZN7rocprim17ROCPRIM_400000_NS6detail17trampoline_kernelINS0_14default_configENS1_38merge_sort_block_merge_config_selectorIyNS0_10empty_typeEEEZZNS1_27merge_sort_block_merge_implIS3_N6thrust23THRUST_200600_302600_NS6detail15normal_iteratorINS9_10device_ptrIyEEEEPS5_m11less_div_10IyEEE10hipError_tT0_T1_T2_jT3_P12ihipStream_tbPNSt15iterator_traitsISJ_E10value_typeEPNSP_ISK_E10value_typeEPSL_NS1_7vsmem_tEENKUlT_SJ_SK_SL_E_clIPySE_SF_SF_EESI_SY_SJ_SK_SL_EUlSY_E0_NS1_11comp_targetILNS1_3genE3ELNS1_11target_archE908ELNS1_3gpuE7ELNS1_3repE0EEENS1_38merge_mergepath_config_static_selectorELNS0_4arch9wavefront6targetE0EEEvSK_.num_agpr, 0
	.set _ZN7rocprim17ROCPRIM_400000_NS6detail17trampoline_kernelINS0_14default_configENS1_38merge_sort_block_merge_config_selectorIyNS0_10empty_typeEEEZZNS1_27merge_sort_block_merge_implIS3_N6thrust23THRUST_200600_302600_NS6detail15normal_iteratorINS9_10device_ptrIyEEEEPS5_m11less_div_10IyEEE10hipError_tT0_T1_T2_jT3_P12ihipStream_tbPNSt15iterator_traitsISJ_E10value_typeEPNSP_ISK_E10value_typeEPSL_NS1_7vsmem_tEENKUlT_SJ_SK_SL_E_clIPySE_SF_SF_EESI_SY_SJ_SK_SL_EUlSY_E0_NS1_11comp_targetILNS1_3genE3ELNS1_11target_archE908ELNS1_3gpuE7ELNS1_3repE0EEENS1_38merge_mergepath_config_static_selectorELNS0_4arch9wavefront6targetE0EEEvSK_.numbered_sgpr, 0
	.set _ZN7rocprim17ROCPRIM_400000_NS6detail17trampoline_kernelINS0_14default_configENS1_38merge_sort_block_merge_config_selectorIyNS0_10empty_typeEEEZZNS1_27merge_sort_block_merge_implIS3_N6thrust23THRUST_200600_302600_NS6detail15normal_iteratorINS9_10device_ptrIyEEEEPS5_m11less_div_10IyEEE10hipError_tT0_T1_T2_jT3_P12ihipStream_tbPNSt15iterator_traitsISJ_E10value_typeEPNSP_ISK_E10value_typeEPSL_NS1_7vsmem_tEENKUlT_SJ_SK_SL_E_clIPySE_SF_SF_EESI_SY_SJ_SK_SL_EUlSY_E0_NS1_11comp_targetILNS1_3genE3ELNS1_11target_archE908ELNS1_3gpuE7ELNS1_3repE0EEENS1_38merge_mergepath_config_static_selectorELNS0_4arch9wavefront6targetE0EEEvSK_.num_named_barrier, 0
	.set _ZN7rocprim17ROCPRIM_400000_NS6detail17trampoline_kernelINS0_14default_configENS1_38merge_sort_block_merge_config_selectorIyNS0_10empty_typeEEEZZNS1_27merge_sort_block_merge_implIS3_N6thrust23THRUST_200600_302600_NS6detail15normal_iteratorINS9_10device_ptrIyEEEEPS5_m11less_div_10IyEEE10hipError_tT0_T1_T2_jT3_P12ihipStream_tbPNSt15iterator_traitsISJ_E10value_typeEPNSP_ISK_E10value_typeEPSL_NS1_7vsmem_tEENKUlT_SJ_SK_SL_E_clIPySE_SF_SF_EESI_SY_SJ_SK_SL_EUlSY_E0_NS1_11comp_targetILNS1_3genE3ELNS1_11target_archE908ELNS1_3gpuE7ELNS1_3repE0EEENS1_38merge_mergepath_config_static_selectorELNS0_4arch9wavefront6targetE0EEEvSK_.private_seg_size, 0
	.set _ZN7rocprim17ROCPRIM_400000_NS6detail17trampoline_kernelINS0_14default_configENS1_38merge_sort_block_merge_config_selectorIyNS0_10empty_typeEEEZZNS1_27merge_sort_block_merge_implIS3_N6thrust23THRUST_200600_302600_NS6detail15normal_iteratorINS9_10device_ptrIyEEEEPS5_m11less_div_10IyEEE10hipError_tT0_T1_T2_jT3_P12ihipStream_tbPNSt15iterator_traitsISJ_E10value_typeEPNSP_ISK_E10value_typeEPSL_NS1_7vsmem_tEENKUlT_SJ_SK_SL_E_clIPySE_SF_SF_EESI_SY_SJ_SK_SL_EUlSY_E0_NS1_11comp_targetILNS1_3genE3ELNS1_11target_archE908ELNS1_3gpuE7ELNS1_3repE0EEENS1_38merge_mergepath_config_static_selectorELNS0_4arch9wavefront6targetE0EEEvSK_.uses_vcc, 0
	.set _ZN7rocprim17ROCPRIM_400000_NS6detail17trampoline_kernelINS0_14default_configENS1_38merge_sort_block_merge_config_selectorIyNS0_10empty_typeEEEZZNS1_27merge_sort_block_merge_implIS3_N6thrust23THRUST_200600_302600_NS6detail15normal_iteratorINS9_10device_ptrIyEEEEPS5_m11less_div_10IyEEE10hipError_tT0_T1_T2_jT3_P12ihipStream_tbPNSt15iterator_traitsISJ_E10value_typeEPNSP_ISK_E10value_typeEPSL_NS1_7vsmem_tEENKUlT_SJ_SK_SL_E_clIPySE_SF_SF_EESI_SY_SJ_SK_SL_EUlSY_E0_NS1_11comp_targetILNS1_3genE3ELNS1_11target_archE908ELNS1_3gpuE7ELNS1_3repE0EEENS1_38merge_mergepath_config_static_selectorELNS0_4arch9wavefront6targetE0EEEvSK_.uses_flat_scratch, 0
	.set _ZN7rocprim17ROCPRIM_400000_NS6detail17trampoline_kernelINS0_14default_configENS1_38merge_sort_block_merge_config_selectorIyNS0_10empty_typeEEEZZNS1_27merge_sort_block_merge_implIS3_N6thrust23THRUST_200600_302600_NS6detail15normal_iteratorINS9_10device_ptrIyEEEEPS5_m11less_div_10IyEEE10hipError_tT0_T1_T2_jT3_P12ihipStream_tbPNSt15iterator_traitsISJ_E10value_typeEPNSP_ISK_E10value_typeEPSL_NS1_7vsmem_tEENKUlT_SJ_SK_SL_E_clIPySE_SF_SF_EESI_SY_SJ_SK_SL_EUlSY_E0_NS1_11comp_targetILNS1_3genE3ELNS1_11target_archE908ELNS1_3gpuE7ELNS1_3repE0EEENS1_38merge_mergepath_config_static_selectorELNS0_4arch9wavefront6targetE0EEEvSK_.has_dyn_sized_stack, 0
	.set _ZN7rocprim17ROCPRIM_400000_NS6detail17trampoline_kernelINS0_14default_configENS1_38merge_sort_block_merge_config_selectorIyNS0_10empty_typeEEEZZNS1_27merge_sort_block_merge_implIS3_N6thrust23THRUST_200600_302600_NS6detail15normal_iteratorINS9_10device_ptrIyEEEEPS5_m11less_div_10IyEEE10hipError_tT0_T1_T2_jT3_P12ihipStream_tbPNSt15iterator_traitsISJ_E10value_typeEPNSP_ISK_E10value_typeEPSL_NS1_7vsmem_tEENKUlT_SJ_SK_SL_E_clIPySE_SF_SF_EESI_SY_SJ_SK_SL_EUlSY_E0_NS1_11comp_targetILNS1_3genE3ELNS1_11target_archE908ELNS1_3gpuE7ELNS1_3repE0EEENS1_38merge_mergepath_config_static_selectorELNS0_4arch9wavefront6targetE0EEEvSK_.has_recursion, 0
	.set _ZN7rocprim17ROCPRIM_400000_NS6detail17trampoline_kernelINS0_14default_configENS1_38merge_sort_block_merge_config_selectorIyNS0_10empty_typeEEEZZNS1_27merge_sort_block_merge_implIS3_N6thrust23THRUST_200600_302600_NS6detail15normal_iteratorINS9_10device_ptrIyEEEEPS5_m11less_div_10IyEEE10hipError_tT0_T1_T2_jT3_P12ihipStream_tbPNSt15iterator_traitsISJ_E10value_typeEPNSP_ISK_E10value_typeEPSL_NS1_7vsmem_tEENKUlT_SJ_SK_SL_E_clIPySE_SF_SF_EESI_SY_SJ_SK_SL_EUlSY_E0_NS1_11comp_targetILNS1_3genE3ELNS1_11target_archE908ELNS1_3gpuE7ELNS1_3repE0EEENS1_38merge_mergepath_config_static_selectorELNS0_4arch9wavefront6targetE0EEEvSK_.has_indirect_call, 0
	.section	.AMDGPU.csdata,"",@progbits
; Kernel info:
; codeLenInByte = 0
; TotalNumSgprs: 0
; NumVgprs: 0
; ScratchSize: 0
; MemoryBound: 0
; FloatMode: 240
; IeeeMode: 1
; LDSByteSize: 0 bytes/workgroup (compile time only)
; SGPRBlocks: 0
; VGPRBlocks: 0
; NumSGPRsForWavesPerEU: 1
; NumVGPRsForWavesPerEU: 1
; Occupancy: 16
; WaveLimiterHint : 0
; COMPUTE_PGM_RSRC2:SCRATCH_EN: 0
; COMPUTE_PGM_RSRC2:USER_SGPR: 6
; COMPUTE_PGM_RSRC2:TRAP_HANDLER: 0
; COMPUTE_PGM_RSRC2:TGID_X_EN: 1
; COMPUTE_PGM_RSRC2:TGID_Y_EN: 0
; COMPUTE_PGM_RSRC2:TGID_Z_EN: 0
; COMPUTE_PGM_RSRC2:TIDIG_COMP_CNT: 0
	.section	.text._ZN7rocprim17ROCPRIM_400000_NS6detail17trampoline_kernelINS0_14default_configENS1_38merge_sort_block_merge_config_selectorIyNS0_10empty_typeEEEZZNS1_27merge_sort_block_merge_implIS3_N6thrust23THRUST_200600_302600_NS6detail15normal_iteratorINS9_10device_ptrIyEEEEPS5_m11less_div_10IyEEE10hipError_tT0_T1_T2_jT3_P12ihipStream_tbPNSt15iterator_traitsISJ_E10value_typeEPNSP_ISK_E10value_typeEPSL_NS1_7vsmem_tEENKUlT_SJ_SK_SL_E_clIPySE_SF_SF_EESI_SY_SJ_SK_SL_EUlSY_E0_NS1_11comp_targetILNS1_3genE2ELNS1_11target_archE906ELNS1_3gpuE6ELNS1_3repE0EEENS1_38merge_mergepath_config_static_selectorELNS0_4arch9wavefront6targetE0EEEvSK_,"axG",@progbits,_ZN7rocprim17ROCPRIM_400000_NS6detail17trampoline_kernelINS0_14default_configENS1_38merge_sort_block_merge_config_selectorIyNS0_10empty_typeEEEZZNS1_27merge_sort_block_merge_implIS3_N6thrust23THRUST_200600_302600_NS6detail15normal_iteratorINS9_10device_ptrIyEEEEPS5_m11less_div_10IyEEE10hipError_tT0_T1_T2_jT3_P12ihipStream_tbPNSt15iterator_traitsISJ_E10value_typeEPNSP_ISK_E10value_typeEPSL_NS1_7vsmem_tEENKUlT_SJ_SK_SL_E_clIPySE_SF_SF_EESI_SY_SJ_SK_SL_EUlSY_E0_NS1_11comp_targetILNS1_3genE2ELNS1_11target_archE906ELNS1_3gpuE6ELNS1_3repE0EEENS1_38merge_mergepath_config_static_selectorELNS0_4arch9wavefront6targetE0EEEvSK_,comdat
	.protected	_ZN7rocprim17ROCPRIM_400000_NS6detail17trampoline_kernelINS0_14default_configENS1_38merge_sort_block_merge_config_selectorIyNS0_10empty_typeEEEZZNS1_27merge_sort_block_merge_implIS3_N6thrust23THRUST_200600_302600_NS6detail15normal_iteratorINS9_10device_ptrIyEEEEPS5_m11less_div_10IyEEE10hipError_tT0_T1_T2_jT3_P12ihipStream_tbPNSt15iterator_traitsISJ_E10value_typeEPNSP_ISK_E10value_typeEPSL_NS1_7vsmem_tEENKUlT_SJ_SK_SL_E_clIPySE_SF_SF_EESI_SY_SJ_SK_SL_EUlSY_E0_NS1_11comp_targetILNS1_3genE2ELNS1_11target_archE906ELNS1_3gpuE6ELNS1_3repE0EEENS1_38merge_mergepath_config_static_selectorELNS0_4arch9wavefront6targetE0EEEvSK_ ; -- Begin function _ZN7rocprim17ROCPRIM_400000_NS6detail17trampoline_kernelINS0_14default_configENS1_38merge_sort_block_merge_config_selectorIyNS0_10empty_typeEEEZZNS1_27merge_sort_block_merge_implIS3_N6thrust23THRUST_200600_302600_NS6detail15normal_iteratorINS9_10device_ptrIyEEEEPS5_m11less_div_10IyEEE10hipError_tT0_T1_T2_jT3_P12ihipStream_tbPNSt15iterator_traitsISJ_E10value_typeEPNSP_ISK_E10value_typeEPSL_NS1_7vsmem_tEENKUlT_SJ_SK_SL_E_clIPySE_SF_SF_EESI_SY_SJ_SK_SL_EUlSY_E0_NS1_11comp_targetILNS1_3genE2ELNS1_11target_archE906ELNS1_3gpuE6ELNS1_3repE0EEENS1_38merge_mergepath_config_static_selectorELNS0_4arch9wavefront6targetE0EEEvSK_
	.globl	_ZN7rocprim17ROCPRIM_400000_NS6detail17trampoline_kernelINS0_14default_configENS1_38merge_sort_block_merge_config_selectorIyNS0_10empty_typeEEEZZNS1_27merge_sort_block_merge_implIS3_N6thrust23THRUST_200600_302600_NS6detail15normal_iteratorINS9_10device_ptrIyEEEEPS5_m11less_div_10IyEEE10hipError_tT0_T1_T2_jT3_P12ihipStream_tbPNSt15iterator_traitsISJ_E10value_typeEPNSP_ISK_E10value_typeEPSL_NS1_7vsmem_tEENKUlT_SJ_SK_SL_E_clIPySE_SF_SF_EESI_SY_SJ_SK_SL_EUlSY_E0_NS1_11comp_targetILNS1_3genE2ELNS1_11target_archE906ELNS1_3gpuE6ELNS1_3repE0EEENS1_38merge_mergepath_config_static_selectorELNS0_4arch9wavefront6targetE0EEEvSK_
	.p2align	8
	.type	_ZN7rocprim17ROCPRIM_400000_NS6detail17trampoline_kernelINS0_14default_configENS1_38merge_sort_block_merge_config_selectorIyNS0_10empty_typeEEEZZNS1_27merge_sort_block_merge_implIS3_N6thrust23THRUST_200600_302600_NS6detail15normal_iteratorINS9_10device_ptrIyEEEEPS5_m11less_div_10IyEEE10hipError_tT0_T1_T2_jT3_P12ihipStream_tbPNSt15iterator_traitsISJ_E10value_typeEPNSP_ISK_E10value_typeEPSL_NS1_7vsmem_tEENKUlT_SJ_SK_SL_E_clIPySE_SF_SF_EESI_SY_SJ_SK_SL_EUlSY_E0_NS1_11comp_targetILNS1_3genE2ELNS1_11target_archE906ELNS1_3gpuE6ELNS1_3repE0EEENS1_38merge_mergepath_config_static_selectorELNS0_4arch9wavefront6targetE0EEEvSK_,@function
_ZN7rocprim17ROCPRIM_400000_NS6detail17trampoline_kernelINS0_14default_configENS1_38merge_sort_block_merge_config_selectorIyNS0_10empty_typeEEEZZNS1_27merge_sort_block_merge_implIS3_N6thrust23THRUST_200600_302600_NS6detail15normal_iteratorINS9_10device_ptrIyEEEEPS5_m11less_div_10IyEEE10hipError_tT0_T1_T2_jT3_P12ihipStream_tbPNSt15iterator_traitsISJ_E10value_typeEPNSP_ISK_E10value_typeEPSL_NS1_7vsmem_tEENKUlT_SJ_SK_SL_E_clIPySE_SF_SF_EESI_SY_SJ_SK_SL_EUlSY_E0_NS1_11comp_targetILNS1_3genE2ELNS1_11target_archE906ELNS1_3gpuE6ELNS1_3repE0EEENS1_38merge_mergepath_config_static_selectorELNS0_4arch9wavefront6targetE0EEEvSK_: ; @_ZN7rocprim17ROCPRIM_400000_NS6detail17trampoline_kernelINS0_14default_configENS1_38merge_sort_block_merge_config_selectorIyNS0_10empty_typeEEEZZNS1_27merge_sort_block_merge_implIS3_N6thrust23THRUST_200600_302600_NS6detail15normal_iteratorINS9_10device_ptrIyEEEEPS5_m11less_div_10IyEEE10hipError_tT0_T1_T2_jT3_P12ihipStream_tbPNSt15iterator_traitsISJ_E10value_typeEPNSP_ISK_E10value_typeEPSL_NS1_7vsmem_tEENKUlT_SJ_SK_SL_E_clIPySE_SF_SF_EESI_SY_SJ_SK_SL_EUlSY_E0_NS1_11comp_targetILNS1_3genE2ELNS1_11target_archE906ELNS1_3gpuE6ELNS1_3repE0EEENS1_38merge_mergepath_config_static_selectorELNS0_4arch9wavefront6targetE0EEEvSK_
; %bb.0:
	.section	.rodata,"a",@progbits
	.p2align	6, 0x0
	.amdhsa_kernel _ZN7rocprim17ROCPRIM_400000_NS6detail17trampoline_kernelINS0_14default_configENS1_38merge_sort_block_merge_config_selectorIyNS0_10empty_typeEEEZZNS1_27merge_sort_block_merge_implIS3_N6thrust23THRUST_200600_302600_NS6detail15normal_iteratorINS9_10device_ptrIyEEEEPS5_m11less_div_10IyEEE10hipError_tT0_T1_T2_jT3_P12ihipStream_tbPNSt15iterator_traitsISJ_E10value_typeEPNSP_ISK_E10value_typeEPSL_NS1_7vsmem_tEENKUlT_SJ_SK_SL_E_clIPySE_SF_SF_EESI_SY_SJ_SK_SL_EUlSY_E0_NS1_11comp_targetILNS1_3genE2ELNS1_11target_archE906ELNS1_3gpuE6ELNS1_3repE0EEENS1_38merge_mergepath_config_static_selectorELNS0_4arch9wavefront6targetE0EEEvSK_
		.amdhsa_group_segment_fixed_size 0
		.amdhsa_private_segment_fixed_size 0
		.amdhsa_kernarg_size 72
		.amdhsa_user_sgpr_count 6
		.amdhsa_user_sgpr_private_segment_buffer 1
		.amdhsa_user_sgpr_dispatch_ptr 0
		.amdhsa_user_sgpr_queue_ptr 0
		.amdhsa_user_sgpr_kernarg_segment_ptr 1
		.amdhsa_user_sgpr_dispatch_id 0
		.amdhsa_user_sgpr_flat_scratch_init 0
		.amdhsa_user_sgpr_private_segment_size 0
		.amdhsa_wavefront_size32 1
		.amdhsa_uses_dynamic_stack 0
		.amdhsa_system_sgpr_private_segment_wavefront_offset 0
		.amdhsa_system_sgpr_workgroup_id_x 1
		.amdhsa_system_sgpr_workgroup_id_y 0
		.amdhsa_system_sgpr_workgroup_id_z 0
		.amdhsa_system_sgpr_workgroup_info 0
		.amdhsa_system_vgpr_workitem_id 0
		.amdhsa_next_free_vgpr 1
		.amdhsa_next_free_sgpr 1
		.amdhsa_reserve_vcc 0
		.amdhsa_reserve_flat_scratch 0
		.amdhsa_float_round_mode_32 0
		.amdhsa_float_round_mode_16_64 0
		.amdhsa_float_denorm_mode_32 3
		.amdhsa_float_denorm_mode_16_64 3
		.amdhsa_dx10_clamp 1
		.amdhsa_ieee_mode 1
		.amdhsa_fp16_overflow 0
		.amdhsa_workgroup_processor_mode 1
		.amdhsa_memory_ordered 1
		.amdhsa_forward_progress 1
		.amdhsa_shared_vgpr_count 0
		.amdhsa_exception_fp_ieee_invalid_op 0
		.amdhsa_exception_fp_denorm_src 0
		.amdhsa_exception_fp_ieee_div_zero 0
		.amdhsa_exception_fp_ieee_overflow 0
		.amdhsa_exception_fp_ieee_underflow 0
		.amdhsa_exception_fp_ieee_inexact 0
		.amdhsa_exception_int_div_zero 0
	.end_amdhsa_kernel
	.section	.text._ZN7rocprim17ROCPRIM_400000_NS6detail17trampoline_kernelINS0_14default_configENS1_38merge_sort_block_merge_config_selectorIyNS0_10empty_typeEEEZZNS1_27merge_sort_block_merge_implIS3_N6thrust23THRUST_200600_302600_NS6detail15normal_iteratorINS9_10device_ptrIyEEEEPS5_m11less_div_10IyEEE10hipError_tT0_T1_T2_jT3_P12ihipStream_tbPNSt15iterator_traitsISJ_E10value_typeEPNSP_ISK_E10value_typeEPSL_NS1_7vsmem_tEENKUlT_SJ_SK_SL_E_clIPySE_SF_SF_EESI_SY_SJ_SK_SL_EUlSY_E0_NS1_11comp_targetILNS1_3genE2ELNS1_11target_archE906ELNS1_3gpuE6ELNS1_3repE0EEENS1_38merge_mergepath_config_static_selectorELNS0_4arch9wavefront6targetE0EEEvSK_,"axG",@progbits,_ZN7rocprim17ROCPRIM_400000_NS6detail17trampoline_kernelINS0_14default_configENS1_38merge_sort_block_merge_config_selectorIyNS0_10empty_typeEEEZZNS1_27merge_sort_block_merge_implIS3_N6thrust23THRUST_200600_302600_NS6detail15normal_iteratorINS9_10device_ptrIyEEEEPS5_m11less_div_10IyEEE10hipError_tT0_T1_T2_jT3_P12ihipStream_tbPNSt15iterator_traitsISJ_E10value_typeEPNSP_ISK_E10value_typeEPSL_NS1_7vsmem_tEENKUlT_SJ_SK_SL_E_clIPySE_SF_SF_EESI_SY_SJ_SK_SL_EUlSY_E0_NS1_11comp_targetILNS1_3genE2ELNS1_11target_archE906ELNS1_3gpuE6ELNS1_3repE0EEENS1_38merge_mergepath_config_static_selectorELNS0_4arch9wavefront6targetE0EEEvSK_,comdat
.Lfunc_end37:
	.size	_ZN7rocprim17ROCPRIM_400000_NS6detail17trampoline_kernelINS0_14default_configENS1_38merge_sort_block_merge_config_selectorIyNS0_10empty_typeEEEZZNS1_27merge_sort_block_merge_implIS3_N6thrust23THRUST_200600_302600_NS6detail15normal_iteratorINS9_10device_ptrIyEEEEPS5_m11less_div_10IyEEE10hipError_tT0_T1_T2_jT3_P12ihipStream_tbPNSt15iterator_traitsISJ_E10value_typeEPNSP_ISK_E10value_typeEPSL_NS1_7vsmem_tEENKUlT_SJ_SK_SL_E_clIPySE_SF_SF_EESI_SY_SJ_SK_SL_EUlSY_E0_NS1_11comp_targetILNS1_3genE2ELNS1_11target_archE906ELNS1_3gpuE6ELNS1_3repE0EEENS1_38merge_mergepath_config_static_selectorELNS0_4arch9wavefront6targetE0EEEvSK_, .Lfunc_end37-_ZN7rocprim17ROCPRIM_400000_NS6detail17trampoline_kernelINS0_14default_configENS1_38merge_sort_block_merge_config_selectorIyNS0_10empty_typeEEEZZNS1_27merge_sort_block_merge_implIS3_N6thrust23THRUST_200600_302600_NS6detail15normal_iteratorINS9_10device_ptrIyEEEEPS5_m11less_div_10IyEEE10hipError_tT0_T1_T2_jT3_P12ihipStream_tbPNSt15iterator_traitsISJ_E10value_typeEPNSP_ISK_E10value_typeEPSL_NS1_7vsmem_tEENKUlT_SJ_SK_SL_E_clIPySE_SF_SF_EESI_SY_SJ_SK_SL_EUlSY_E0_NS1_11comp_targetILNS1_3genE2ELNS1_11target_archE906ELNS1_3gpuE6ELNS1_3repE0EEENS1_38merge_mergepath_config_static_selectorELNS0_4arch9wavefront6targetE0EEEvSK_
                                        ; -- End function
	.set _ZN7rocprim17ROCPRIM_400000_NS6detail17trampoline_kernelINS0_14default_configENS1_38merge_sort_block_merge_config_selectorIyNS0_10empty_typeEEEZZNS1_27merge_sort_block_merge_implIS3_N6thrust23THRUST_200600_302600_NS6detail15normal_iteratorINS9_10device_ptrIyEEEEPS5_m11less_div_10IyEEE10hipError_tT0_T1_T2_jT3_P12ihipStream_tbPNSt15iterator_traitsISJ_E10value_typeEPNSP_ISK_E10value_typeEPSL_NS1_7vsmem_tEENKUlT_SJ_SK_SL_E_clIPySE_SF_SF_EESI_SY_SJ_SK_SL_EUlSY_E0_NS1_11comp_targetILNS1_3genE2ELNS1_11target_archE906ELNS1_3gpuE6ELNS1_3repE0EEENS1_38merge_mergepath_config_static_selectorELNS0_4arch9wavefront6targetE0EEEvSK_.num_vgpr, 0
	.set _ZN7rocprim17ROCPRIM_400000_NS6detail17trampoline_kernelINS0_14default_configENS1_38merge_sort_block_merge_config_selectorIyNS0_10empty_typeEEEZZNS1_27merge_sort_block_merge_implIS3_N6thrust23THRUST_200600_302600_NS6detail15normal_iteratorINS9_10device_ptrIyEEEEPS5_m11less_div_10IyEEE10hipError_tT0_T1_T2_jT3_P12ihipStream_tbPNSt15iterator_traitsISJ_E10value_typeEPNSP_ISK_E10value_typeEPSL_NS1_7vsmem_tEENKUlT_SJ_SK_SL_E_clIPySE_SF_SF_EESI_SY_SJ_SK_SL_EUlSY_E0_NS1_11comp_targetILNS1_3genE2ELNS1_11target_archE906ELNS1_3gpuE6ELNS1_3repE0EEENS1_38merge_mergepath_config_static_selectorELNS0_4arch9wavefront6targetE0EEEvSK_.num_agpr, 0
	.set _ZN7rocprim17ROCPRIM_400000_NS6detail17trampoline_kernelINS0_14default_configENS1_38merge_sort_block_merge_config_selectorIyNS0_10empty_typeEEEZZNS1_27merge_sort_block_merge_implIS3_N6thrust23THRUST_200600_302600_NS6detail15normal_iteratorINS9_10device_ptrIyEEEEPS5_m11less_div_10IyEEE10hipError_tT0_T1_T2_jT3_P12ihipStream_tbPNSt15iterator_traitsISJ_E10value_typeEPNSP_ISK_E10value_typeEPSL_NS1_7vsmem_tEENKUlT_SJ_SK_SL_E_clIPySE_SF_SF_EESI_SY_SJ_SK_SL_EUlSY_E0_NS1_11comp_targetILNS1_3genE2ELNS1_11target_archE906ELNS1_3gpuE6ELNS1_3repE0EEENS1_38merge_mergepath_config_static_selectorELNS0_4arch9wavefront6targetE0EEEvSK_.numbered_sgpr, 0
	.set _ZN7rocprim17ROCPRIM_400000_NS6detail17trampoline_kernelINS0_14default_configENS1_38merge_sort_block_merge_config_selectorIyNS0_10empty_typeEEEZZNS1_27merge_sort_block_merge_implIS3_N6thrust23THRUST_200600_302600_NS6detail15normal_iteratorINS9_10device_ptrIyEEEEPS5_m11less_div_10IyEEE10hipError_tT0_T1_T2_jT3_P12ihipStream_tbPNSt15iterator_traitsISJ_E10value_typeEPNSP_ISK_E10value_typeEPSL_NS1_7vsmem_tEENKUlT_SJ_SK_SL_E_clIPySE_SF_SF_EESI_SY_SJ_SK_SL_EUlSY_E0_NS1_11comp_targetILNS1_3genE2ELNS1_11target_archE906ELNS1_3gpuE6ELNS1_3repE0EEENS1_38merge_mergepath_config_static_selectorELNS0_4arch9wavefront6targetE0EEEvSK_.num_named_barrier, 0
	.set _ZN7rocprim17ROCPRIM_400000_NS6detail17trampoline_kernelINS0_14default_configENS1_38merge_sort_block_merge_config_selectorIyNS0_10empty_typeEEEZZNS1_27merge_sort_block_merge_implIS3_N6thrust23THRUST_200600_302600_NS6detail15normal_iteratorINS9_10device_ptrIyEEEEPS5_m11less_div_10IyEEE10hipError_tT0_T1_T2_jT3_P12ihipStream_tbPNSt15iterator_traitsISJ_E10value_typeEPNSP_ISK_E10value_typeEPSL_NS1_7vsmem_tEENKUlT_SJ_SK_SL_E_clIPySE_SF_SF_EESI_SY_SJ_SK_SL_EUlSY_E0_NS1_11comp_targetILNS1_3genE2ELNS1_11target_archE906ELNS1_3gpuE6ELNS1_3repE0EEENS1_38merge_mergepath_config_static_selectorELNS0_4arch9wavefront6targetE0EEEvSK_.private_seg_size, 0
	.set _ZN7rocprim17ROCPRIM_400000_NS6detail17trampoline_kernelINS0_14default_configENS1_38merge_sort_block_merge_config_selectorIyNS0_10empty_typeEEEZZNS1_27merge_sort_block_merge_implIS3_N6thrust23THRUST_200600_302600_NS6detail15normal_iteratorINS9_10device_ptrIyEEEEPS5_m11less_div_10IyEEE10hipError_tT0_T1_T2_jT3_P12ihipStream_tbPNSt15iterator_traitsISJ_E10value_typeEPNSP_ISK_E10value_typeEPSL_NS1_7vsmem_tEENKUlT_SJ_SK_SL_E_clIPySE_SF_SF_EESI_SY_SJ_SK_SL_EUlSY_E0_NS1_11comp_targetILNS1_3genE2ELNS1_11target_archE906ELNS1_3gpuE6ELNS1_3repE0EEENS1_38merge_mergepath_config_static_selectorELNS0_4arch9wavefront6targetE0EEEvSK_.uses_vcc, 0
	.set _ZN7rocprim17ROCPRIM_400000_NS6detail17trampoline_kernelINS0_14default_configENS1_38merge_sort_block_merge_config_selectorIyNS0_10empty_typeEEEZZNS1_27merge_sort_block_merge_implIS3_N6thrust23THRUST_200600_302600_NS6detail15normal_iteratorINS9_10device_ptrIyEEEEPS5_m11less_div_10IyEEE10hipError_tT0_T1_T2_jT3_P12ihipStream_tbPNSt15iterator_traitsISJ_E10value_typeEPNSP_ISK_E10value_typeEPSL_NS1_7vsmem_tEENKUlT_SJ_SK_SL_E_clIPySE_SF_SF_EESI_SY_SJ_SK_SL_EUlSY_E0_NS1_11comp_targetILNS1_3genE2ELNS1_11target_archE906ELNS1_3gpuE6ELNS1_3repE0EEENS1_38merge_mergepath_config_static_selectorELNS0_4arch9wavefront6targetE0EEEvSK_.uses_flat_scratch, 0
	.set _ZN7rocprim17ROCPRIM_400000_NS6detail17trampoline_kernelINS0_14default_configENS1_38merge_sort_block_merge_config_selectorIyNS0_10empty_typeEEEZZNS1_27merge_sort_block_merge_implIS3_N6thrust23THRUST_200600_302600_NS6detail15normal_iteratorINS9_10device_ptrIyEEEEPS5_m11less_div_10IyEEE10hipError_tT0_T1_T2_jT3_P12ihipStream_tbPNSt15iterator_traitsISJ_E10value_typeEPNSP_ISK_E10value_typeEPSL_NS1_7vsmem_tEENKUlT_SJ_SK_SL_E_clIPySE_SF_SF_EESI_SY_SJ_SK_SL_EUlSY_E0_NS1_11comp_targetILNS1_3genE2ELNS1_11target_archE906ELNS1_3gpuE6ELNS1_3repE0EEENS1_38merge_mergepath_config_static_selectorELNS0_4arch9wavefront6targetE0EEEvSK_.has_dyn_sized_stack, 0
	.set _ZN7rocprim17ROCPRIM_400000_NS6detail17trampoline_kernelINS0_14default_configENS1_38merge_sort_block_merge_config_selectorIyNS0_10empty_typeEEEZZNS1_27merge_sort_block_merge_implIS3_N6thrust23THRUST_200600_302600_NS6detail15normal_iteratorINS9_10device_ptrIyEEEEPS5_m11less_div_10IyEEE10hipError_tT0_T1_T2_jT3_P12ihipStream_tbPNSt15iterator_traitsISJ_E10value_typeEPNSP_ISK_E10value_typeEPSL_NS1_7vsmem_tEENKUlT_SJ_SK_SL_E_clIPySE_SF_SF_EESI_SY_SJ_SK_SL_EUlSY_E0_NS1_11comp_targetILNS1_3genE2ELNS1_11target_archE906ELNS1_3gpuE6ELNS1_3repE0EEENS1_38merge_mergepath_config_static_selectorELNS0_4arch9wavefront6targetE0EEEvSK_.has_recursion, 0
	.set _ZN7rocprim17ROCPRIM_400000_NS6detail17trampoline_kernelINS0_14default_configENS1_38merge_sort_block_merge_config_selectorIyNS0_10empty_typeEEEZZNS1_27merge_sort_block_merge_implIS3_N6thrust23THRUST_200600_302600_NS6detail15normal_iteratorINS9_10device_ptrIyEEEEPS5_m11less_div_10IyEEE10hipError_tT0_T1_T2_jT3_P12ihipStream_tbPNSt15iterator_traitsISJ_E10value_typeEPNSP_ISK_E10value_typeEPSL_NS1_7vsmem_tEENKUlT_SJ_SK_SL_E_clIPySE_SF_SF_EESI_SY_SJ_SK_SL_EUlSY_E0_NS1_11comp_targetILNS1_3genE2ELNS1_11target_archE906ELNS1_3gpuE6ELNS1_3repE0EEENS1_38merge_mergepath_config_static_selectorELNS0_4arch9wavefront6targetE0EEEvSK_.has_indirect_call, 0
	.section	.AMDGPU.csdata,"",@progbits
; Kernel info:
; codeLenInByte = 0
; TotalNumSgprs: 0
; NumVgprs: 0
; ScratchSize: 0
; MemoryBound: 0
; FloatMode: 240
; IeeeMode: 1
; LDSByteSize: 0 bytes/workgroup (compile time only)
; SGPRBlocks: 0
; VGPRBlocks: 0
; NumSGPRsForWavesPerEU: 1
; NumVGPRsForWavesPerEU: 1
; Occupancy: 16
; WaveLimiterHint : 0
; COMPUTE_PGM_RSRC2:SCRATCH_EN: 0
; COMPUTE_PGM_RSRC2:USER_SGPR: 6
; COMPUTE_PGM_RSRC2:TRAP_HANDLER: 0
; COMPUTE_PGM_RSRC2:TGID_X_EN: 1
; COMPUTE_PGM_RSRC2:TGID_Y_EN: 0
; COMPUTE_PGM_RSRC2:TGID_Z_EN: 0
; COMPUTE_PGM_RSRC2:TIDIG_COMP_CNT: 0
	.section	.text._ZN7rocprim17ROCPRIM_400000_NS6detail17trampoline_kernelINS0_14default_configENS1_38merge_sort_block_merge_config_selectorIyNS0_10empty_typeEEEZZNS1_27merge_sort_block_merge_implIS3_N6thrust23THRUST_200600_302600_NS6detail15normal_iteratorINS9_10device_ptrIyEEEEPS5_m11less_div_10IyEEE10hipError_tT0_T1_T2_jT3_P12ihipStream_tbPNSt15iterator_traitsISJ_E10value_typeEPNSP_ISK_E10value_typeEPSL_NS1_7vsmem_tEENKUlT_SJ_SK_SL_E_clIPySE_SF_SF_EESI_SY_SJ_SK_SL_EUlSY_E0_NS1_11comp_targetILNS1_3genE9ELNS1_11target_archE1100ELNS1_3gpuE3ELNS1_3repE0EEENS1_38merge_mergepath_config_static_selectorELNS0_4arch9wavefront6targetE0EEEvSK_,"axG",@progbits,_ZN7rocprim17ROCPRIM_400000_NS6detail17trampoline_kernelINS0_14default_configENS1_38merge_sort_block_merge_config_selectorIyNS0_10empty_typeEEEZZNS1_27merge_sort_block_merge_implIS3_N6thrust23THRUST_200600_302600_NS6detail15normal_iteratorINS9_10device_ptrIyEEEEPS5_m11less_div_10IyEEE10hipError_tT0_T1_T2_jT3_P12ihipStream_tbPNSt15iterator_traitsISJ_E10value_typeEPNSP_ISK_E10value_typeEPSL_NS1_7vsmem_tEENKUlT_SJ_SK_SL_E_clIPySE_SF_SF_EESI_SY_SJ_SK_SL_EUlSY_E0_NS1_11comp_targetILNS1_3genE9ELNS1_11target_archE1100ELNS1_3gpuE3ELNS1_3repE0EEENS1_38merge_mergepath_config_static_selectorELNS0_4arch9wavefront6targetE0EEEvSK_,comdat
	.protected	_ZN7rocprim17ROCPRIM_400000_NS6detail17trampoline_kernelINS0_14default_configENS1_38merge_sort_block_merge_config_selectorIyNS0_10empty_typeEEEZZNS1_27merge_sort_block_merge_implIS3_N6thrust23THRUST_200600_302600_NS6detail15normal_iteratorINS9_10device_ptrIyEEEEPS5_m11less_div_10IyEEE10hipError_tT0_T1_T2_jT3_P12ihipStream_tbPNSt15iterator_traitsISJ_E10value_typeEPNSP_ISK_E10value_typeEPSL_NS1_7vsmem_tEENKUlT_SJ_SK_SL_E_clIPySE_SF_SF_EESI_SY_SJ_SK_SL_EUlSY_E0_NS1_11comp_targetILNS1_3genE9ELNS1_11target_archE1100ELNS1_3gpuE3ELNS1_3repE0EEENS1_38merge_mergepath_config_static_selectorELNS0_4arch9wavefront6targetE0EEEvSK_ ; -- Begin function _ZN7rocprim17ROCPRIM_400000_NS6detail17trampoline_kernelINS0_14default_configENS1_38merge_sort_block_merge_config_selectorIyNS0_10empty_typeEEEZZNS1_27merge_sort_block_merge_implIS3_N6thrust23THRUST_200600_302600_NS6detail15normal_iteratorINS9_10device_ptrIyEEEEPS5_m11less_div_10IyEEE10hipError_tT0_T1_T2_jT3_P12ihipStream_tbPNSt15iterator_traitsISJ_E10value_typeEPNSP_ISK_E10value_typeEPSL_NS1_7vsmem_tEENKUlT_SJ_SK_SL_E_clIPySE_SF_SF_EESI_SY_SJ_SK_SL_EUlSY_E0_NS1_11comp_targetILNS1_3genE9ELNS1_11target_archE1100ELNS1_3gpuE3ELNS1_3repE0EEENS1_38merge_mergepath_config_static_selectorELNS0_4arch9wavefront6targetE0EEEvSK_
	.globl	_ZN7rocprim17ROCPRIM_400000_NS6detail17trampoline_kernelINS0_14default_configENS1_38merge_sort_block_merge_config_selectorIyNS0_10empty_typeEEEZZNS1_27merge_sort_block_merge_implIS3_N6thrust23THRUST_200600_302600_NS6detail15normal_iteratorINS9_10device_ptrIyEEEEPS5_m11less_div_10IyEEE10hipError_tT0_T1_T2_jT3_P12ihipStream_tbPNSt15iterator_traitsISJ_E10value_typeEPNSP_ISK_E10value_typeEPSL_NS1_7vsmem_tEENKUlT_SJ_SK_SL_E_clIPySE_SF_SF_EESI_SY_SJ_SK_SL_EUlSY_E0_NS1_11comp_targetILNS1_3genE9ELNS1_11target_archE1100ELNS1_3gpuE3ELNS1_3repE0EEENS1_38merge_mergepath_config_static_selectorELNS0_4arch9wavefront6targetE0EEEvSK_
	.p2align	8
	.type	_ZN7rocprim17ROCPRIM_400000_NS6detail17trampoline_kernelINS0_14default_configENS1_38merge_sort_block_merge_config_selectorIyNS0_10empty_typeEEEZZNS1_27merge_sort_block_merge_implIS3_N6thrust23THRUST_200600_302600_NS6detail15normal_iteratorINS9_10device_ptrIyEEEEPS5_m11less_div_10IyEEE10hipError_tT0_T1_T2_jT3_P12ihipStream_tbPNSt15iterator_traitsISJ_E10value_typeEPNSP_ISK_E10value_typeEPSL_NS1_7vsmem_tEENKUlT_SJ_SK_SL_E_clIPySE_SF_SF_EESI_SY_SJ_SK_SL_EUlSY_E0_NS1_11comp_targetILNS1_3genE9ELNS1_11target_archE1100ELNS1_3gpuE3ELNS1_3repE0EEENS1_38merge_mergepath_config_static_selectorELNS0_4arch9wavefront6targetE0EEEvSK_,@function
_ZN7rocprim17ROCPRIM_400000_NS6detail17trampoline_kernelINS0_14default_configENS1_38merge_sort_block_merge_config_selectorIyNS0_10empty_typeEEEZZNS1_27merge_sort_block_merge_implIS3_N6thrust23THRUST_200600_302600_NS6detail15normal_iteratorINS9_10device_ptrIyEEEEPS5_m11less_div_10IyEEE10hipError_tT0_T1_T2_jT3_P12ihipStream_tbPNSt15iterator_traitsISJ_E10value_typeEPNSP_ISK_E10value_typeEPSL_NS1_7vsmem_tEENKUlT_SJ_SK_SL_E_clIPySE_SF_SF_EESI_SY_SJ_SK_SL_EUlSY_E0_NS1_11comp_targetILNS1_3genE9ELNS1_11target_archE1100ELNS1_3gpuE3ELNS1_3repE0EEENS1_38merge_mergepath_config_static_selectorELNS0_4arch9wavefront6targetE0EEEvSK_: ; @_ZN7rocprim17ROCPRIM_400000_NS6detail17trampoline_kernelINS0_14default_configENS1_38merge_sort_block_merge_config_selectorIyNS0_10empty_typeEEEZZNS1_27merge_sort_block_merge_implIS3_N6thrust23THRUST_200600_302600_NS6detail15normal_iteratorINS9_10device_ptrIyEEEEPS5_m11less_div_10IyEEE10hipError_tT0_T1_T2_jT3_P12ihipStream_tbPNSt15iterator_traitsISJ_E10value_typeEPNSP_ISK_E10value_typeEPSL_NS1_7vsmem_tEENKUlT_SJ_SK_SL_E_clIPySE_SF_SF_EESI_SY_SJ_SK_SL_EUlSY_E0_NS1_11comp_targetILNS1_3genE9ELNS1_11target_archE1100ELNS1_3gpuE3ELNS1_3repE0EEENS1_38merge_mergepath_config_static_selectorELNS0_4arch9wavefront6targetE0EEEvSK_
; %bb.0:
	.section	.rodata,"a",@progbits
	.p2align	6, 0x0
	.amdhsa_kernel _ZN7rocprim17ROCPRIM_400000_NS6detail17trampoline_kernelINS0_14default_configENS1_38merge_sort_block_merge_config_selectorIyNS0_10empty_typeEEEZZNS1_27merge_sort_block_merge_implIS3_N6thrust23THRUST_200600_302600_NS6detail15normal_iteratorINS9_10device_ptrIyEEEEPS5_m11less_div_10IyEEE10hipError_tT0_T1_T2_jT3_P12ihipStream_tbPNSt15iterator_traitsISJ_E10value_typeEPNSP_ISK_E10value_typeEPSL_NS1_7vsmem_tEENKUlT_SJ_SK_SL_E_clIPySE_SF_SF_EESI_SY_SJ_SK_SL_EUlSY_E0_NS1_11comp_targetILNS1_3genE9ELNS1_11target_archE1100ELNS1_3gpuE3ELNS1_3repE0EEENS1_38merge_mergepath_config_static_selectorELNS0_4arch9wavefront6targetE0EEEvSK_
		.amdhsa_group_segment_fixed_size 0
		.amdhsa_private_segment_fixed_size 0
		.amdhsa_kernarg_size 72
		.amdhsa_user_sgpr_count 6
		.amdhsa_user_sgpr_private_segment_buffer 1
		.amdhsa_user_sgpr_dispatch_ptr 0
		.amdhsa_user_sgpr_queue_ptr 0
		.amdhsa_user_sgpr_kernarg_segment_ptr 1
		.amdhsa_user_sgpr_dispatch_id 0
		.amdhsa_user_sgpr_flat_scratch_init 0
		.amdhsa_user_sgpr_private_segment_size 0
		.amdhsa_wavefront_size32 1
		.amdhsa_uses_dynamic_stack 0
		.amdhsa_system_sgpr_private_segment_wavefront_offset 0
		.amdhsa_system_sgpr_workgroup_id_x 1
		.amdhsa_system_sgpr_workgroup_id_y 0
		.amdhsa_system_sgpr_workgroup_id_z 0
		.amdhsa_system_sgpr_workgroup_info 0
		.amdhsa_system_vgpr_workitem_id 0
		.amdhsa_next_free_vgpr 1
		.amdhsa_next_free_sgpr 1
		.amdhsa_reserve_vcc 0
		.amdhsa_reserve_flat_scratch 0
		.amdhsa_float_round_mode_32 0
		.amdhsa_float_round_mode_16_64 0
		.amdhsa_float_denorm_mode_32 3
		.amdhsa_float_denorm_mode_16_64 3
		.amdhsa_dx10_clamp 1
		.amdhsa_ieee_mode 1
		.amdhsa_fp16_overflow 0
		.amdhsa_workgroup_processor_mode 1
		.amdhsa_memory_ordered 1
		.amdhsa_forward_progress 1
		.amdhsa_shared_vgpr_count 0
		.amdhsa_exception_fp_ieee_invalid_op 0
		.amdhsa_exception_fp_denorm_src 0
		.amdhsa_exception_fp_ieee_div_zero 0
		.amdhsa_exception_fp_ieee_overflow 0
		.amdhsa_exception_fp_ieee_underflow 0
		.amdhsa_exception_fp_ieee_inexact 0
		.amdhsa_exception_int_div_zero 0
	.end_amdhsa_kernel
	.section	.text._ZN7rocprim17ROCPRIM_400000_NS6detail17trampoline_kernelINS0_14default_configENS1_38merge_sort_block_merge_config_selectorIyNS0_10empty_typeEEEZZNS1_27merge_sort_block_merge_implIS3_N6thrust23THRUST_200600_302600_NS6detail15normal_iteratorINS9_10device_ptrIyEEEEPS5_m11less_div_10IyEEE10hipError_tT0_T1_T2_jT3_P12ihipStream_tbPNSt15iterator_traitsISJ_E10value_typeEPNSP_ISK_E10value_typeEPSL_NS1_7vsmem_tEENKUlT_SJ_SK_SL_E_clIPySE_SF_SF_EESI_SY_SJ_SK_SL_EUlSY_E0_NS1_11comp_targetILNS1_3genE9ELNS1_11target_archE1100ELNS1_3gpuE3ELNS1_3repE0EEENS1_38merge_mergepath_config_static_selectorELNS0_4arch9wavefront6targetE0EEEvSK_,"axG",@progbits,_ZN7rocprim17ROCPRIM_400000_NS6detail17trampoline_kernelINS0_14default_configENS1_38merge_sort_block_merge_config_selectorIyNS0_10empty_typeEEEZZNS1_27merge_sort_block_merge_implIS3_N6thrust23THRUST_200600_302600_NS6detail15normal_iteratorINS9_10device_ptrIyEEEEPS5_m11less_div_10IyEEE10hipError_tT0_T1_T2_jT3_P12ihipStream_tbPNSt15iterator_traitsISJ_E10value_typeEPNSP_ISK_E10value_typeEPSL_NS1_7vsmem_tEENKUlT_SJ_SK_SL_E_clIPySE_SF_SF_EESI_SY_SJ_SK_SL_EUlSY_E0_NS1_11comp_targetILNS1_3genE9ELNS1_11target_archE1100ELNS1_3gpuE3ELNS1_3repE0EEENS1_38merge_mergepath_config_static_selectorELNS0_4arch9wavefront6targetE0EEEvSK_,comdat
.Lfunc_end38:
	.size	_ZN7rocprim17ROCPRIM_400000_NS6detail17trampoline_kernelINS0_14default_configENS1_38merge_sort_block_merge_config_selectorIyNS0_10empty_typeEEEZZNS1_27merge_sort_block_merge_implIS3_N6thrust23THRUST_200600_302600_NS6detail15normal_iteratorINS9_10device_ptrIyEEEEPS5_m11less_div_10IyEEE10hipError_tT0_T1_T2_jT3_P12ihipStream_tbPNSt15iterator_traitsISJ_E10value_typeEPNSP_ISK_E10value_typeEPSL_NS1_7vsmem_tEENKUlT_SJ_SK_SL_E_clIPySE_SF_SF_EESI_SY_SJ_SK_SL_EUlSY_E0_NS1_11comp_targetILNS1_3genE9ELNS1_11target_archE1100ELNS1_3gpuE3ELNS1_3repE0EEENS1_38merge_mergepath_config_static_selectorELNS0_4arch9wavefront6targetE0EEEvSK_, .Lfunc_end38-_ZN7rocprim17ROCPRIM_400000_NS6detail17trampoline_kernelINS0_14default_configENS1_38merge_sort_block_merge_config_selectorIyNS0_10empty_typeEEEZZNS1_27merge_sort_block_merge_implIS3_N6thrust23THRUST_200600_302600_NS6detail15normal_iteratorINS9_10device_ptrIyEEEEPS5_m11less_div_10IyEEE10hipError_tT0_T1_T2_jT3_P12ihipStream_tbPNSt15iterator_traitsISJ_E10value_typeEPNSP_ISK_E10value_typeEPSL_NS1_7vsmem_tEENKUlT_SJ_SK_SL_E_clIPySE_SF_SF_EESI_SY_SJ_SK_SL_EUlSY_E0_NS1_11comp_targetILNS1_3genE9ELNS1_11target_archE1100ELNS1_3gpuE3ELNS1_3repE0EEENS1_38merge_mergepath_config_static_selectorELNS0_4arch9wavefront6targetE0EEEvSK_
                                        ; -- End function
	.set _ZN7rocprim17ROCPRIM_400000_NS6detail17trampoline_kernelINS0_14default_configENS1_38merge_sort_block_merge_config_selectorIyNS0_10empty_typeEEEZZNS1_27merge_sort_block_merge_implIS3_N6thrust23THRUST_200600_302600_NS6detail15normal_iteratorINS9_10device_ptrIyEEEEPS5_m11less_div_10IyEEE10hipError_tT0_T1_T2_jT3_P12ihipStream_tbPNSt15iterator_traitsISJ_E10value_typeEPNSP_ISK_E10value_typeEPSL_NS1_7vsmem_tEENKUlT_SJ_SK_SL_E_clIPySE_SF_SF_EESI_SY_SJ_SK_SL_EUlSY_E0_NS1_11comp_targetILNS1_3genE9ELNS1_11target_archE1100ELNS1_3gpuE3ELNS1_3repE0EEENS1_38merge_mergepath_config_static_selectorELNS0_4arch9wavefront6targetE0EEEvSK_.num_vgpr, 0
	.set _ZN7rocprim17ROCPRIM_400000_NS6detail17trampoline_kernelINS0_14default_configENS1_38merge_sort_block_merge_config_selectorIyNS0_10empty_typeEEEZZNS1_27merge_sort_block_merge_implIS3_N6thrust23THRUST_200600_302600_NS6detail15normal_iteratorINS9_10device_ptrIyEEEEPS5_m11less_div_10IyEEE10hipError_tT0_T1_T2_jT3_P12ihipStream_tbPNSt15iterator_traitsISJ_E10value_typeEPNSP_ISK_E10value_typeEPSL_NS1_7vsmem_tEENKUlT_SJ_SK_SL_E_clIPySE_SF_SF_EESI_SY_SJ_SK_SL_EUlSY_E0_NS1_11comp_targetILNS1_3genE9ELNS1_11target_archE1100ELNS1_3gpuE3ELNS1_3repE0EEENS1_38merge_mergepath_config_static_selectorELNS0_4arch9wavefront6targetE0EEEvSK_.num_agpr, 0
	.set _ZN7rocprim17ROCPRIM_400000_NS6detail17trampoline_kernelINS0_14default_configENS1_38merge_sort_block_merge_config_selectorIyNS0_10empty_typeEEEZZNS1_27merge_sort_block_merge_implIS3_N6thrust23THRUST_200600_302600_NS6detail15normal_iteratorINS9_10device_ptrIyEEEEPS5_m11less_div_10IyEEE10hipError_tT0_T1_T2_jT3_P12ihipStream_tbPNSt15iterator_traitsISJ_E10value_typeEPNSP_ISK_E10value_typeEPSL_NS1_7vsmem_tEENKUlT_SJ_SK_SL_E_clIPySE_SF_SF_EESI_SY_SJ_SK_SL_EUlSY_E0_NS1_11comp_targetILNS1_3genE9ELNS1_11target_archE1100ELNS1_3gpuE3ELNS1_3repE0EEENS1_38merge_mergepath_config_static_selectorELNS0_4arch9wavefront6targetE0EEEvSK_.numbered_sgpr, 0
	.set _ZN7rocprim17ROCPRIM_400000_NS6detail17trampoline_kernelINS0_14default_configENS1_38merge_sort_block_merge_config_selectorIyNS0_10empty_typeEEEZZNS1_27merge_sort_block_merge_implIS3_N6thrust23THRUST_200600_302600_NS6detail15normal_iteratorINS9_10device_ptrIyEEEEPS5_m11less_div_10IyEEE10hipError_tT0_T1_T2_jT3_P12ihipStream_tbPNSt15iterator_traitsISJ_E10value_typeEPNSP_ISK_E10value_typeEPSL_NS1_7vsmem_tEENKUlT_SJ_SK_SL_E_clIPySE_SF_SF_EESI_SY_SJ_SK_SL_EUlSY_E0_NS1_11comp_targetILNS1_3genE9ELNS1_11target_archE1100ELNS1_3gpuE3ELNS1_3repE0EEENS1_38merge_mergepath_config_static_selectorELNS0_4arch9wavefront6targetE0EEEvSK_.num_named_barrier, 0
	.set _ZN7rocprim17ROCPRIM_400000_NS6detail17trampoline_kernelINS0_14default_configENS1_38merge_sort_block_merge_config_selectorIyNS0_10empty_typeEEEZZNS1_27merge_sort_block_merge_implIS3_N6thrust23THRUST_200600_302600_NS6detail15normal_iteratorINS9_10device_ptrIyEEEEPS5_m11less_div_10IyEEE10hipError_tT0_T1_T2_jT3_P12ihipStream_tbPNSt15iterator_traitsISJ_E10value_typeEPNSP_ISK_E10value_typeEPSL_NS1_7vsmem_tEENKUlT_SJ_SK_SL_E_clIPySE_SF_SF_EESI_SY_SJ_SK_SL_EUlSY_E0_NS1_11comp_targetILNS1_3genE9ELNS1_11target_archE1100ELNS1_3gpuE3ELNS1_3repE0EEENS1_38merge_mergepath_config_static_selectorELNS0_4arch9wavefront6targetE0EEEvSK_.private_seg_size, 0
	.set _ZN7rocprim17ROCPRIM_400000_NS6detail17trampoline_kernelINS0_14default_configENS1_38merge_sort_block_merge_config_selectorIyNS0_10empty_typeEEEZZNS1_27merge_sort_block_merge_implIS3_N6thrust23THRUST_200600_302600_NS6detail15normal_iteratorINS9_10device_ptrIyEEEEPS5_m11less_div_10IyEEE10hipError_tT0_T1_T2_jT3_P12ihipStream_tbPNSt15iterator_traitsISJ_E10value_typeEPNSP_ISK_E10value_typeEPSL_NS1_7vsmem_tEENKUlT_SJ_SK_SL_E_clIPySE_SF_SF_EESI_SY_SJ_SK_SL_EUlSY_E0_NS1_11comp_targetILNS1_3genE9ELNS1_11target_archE1100ELNS1_3gpuE3ELNS1_3repE0EEENS1_38merge_mergepath_config_static_selectorELNS0_4arch9wavefront6targetE0EEEvSK_.uses_vcc, 0
	.set _ZN7rocprim17ROCPRIM_400000_NS6detail17trampoline_kernelINS0_14default_configENS1_38merge_sort_block_merge_config_selectorIyNS0_10empty_typeEEEZZNS1_27merge_sort_block_merge_implIS3_N6thrust23THRUST_200600_302600_NS6detail15normal_iteratorINS9_10device_ptrIyEEEEPS5_m11less_div_10IyEEE10hipError_tT0_T1_T2_jT3_P12ihipStream_tbPNSt15iterator_traitsISJ_E10value_typeEPNSP_ISK_E10value_typeEPSL_NS1_7vsmem_tEENKUlT_SJ_SK_SL_E_clIPySE_SF_SF_EESI_SY_SJ_SK_SL_EUlSY_E0_NS1_11comp_targetILNS1_3genE9ELNS1_11target_archE1100ELNS1_3gpuE3ELNS1_3repE0EEENS1_38merge_mergepath_config_static_selectorELNS0_4arch9wavefront6targetE0EEEvSK_.uses_flat_scratch, 0
	.set _ZN7rocprim17ROCPRIM_400000_NS6detail17trampoline_kernelINS0_14default_configENS1_38merge_sort_block_merge_config_selectorIyNS0_10empty_typeEEEZZNS1_27merge_sort_block_merge_implIS3_N6thrust23THRUST_200600_302600_NS6detail15normal_iteratorINS9_10device_ptrIyEEEEPS5_m11less_div_10IyEEE10hipError_tT0_T1_T2_jT3_P12ihipStream_tbPNSt15iterator_traitsISJ_E10value_typeEPNSP_ISK_E10value_typeEPSL_NS1_7vsmem_tEENKUlT_SJ_SK_SL_E_clIPySE_SF_SF_EESI_SY_SJ_SK_SL_EUlSY_E0_NS1_11comp_targetILNS1_3genE9ELNS1_11target_archE1100ELNS1_3gpuE3ELNS1_3repE0EEENS1_38merge_mergepath_config_static_selectorELNS0_4arch9wavefront6targetE0EEEvSK_.has_dyn_sized_stack, 0
	.set _ZN7rocprim17ROCPRIM_400000_NS6detail17trampoline_kernelINS0_14default_configENS1_38merge_sort_block_merge_config_selectorIyNS0_10empty_typeEEEZZNS1_27merge_sort_block_merge_implIS3_N6thrust23THRUST_200600_302600_NS6detail15normal_iteratorINS9_10device_ptrIyEEEEPS5_m11less_div_10IyEEE10hipError_tT0_T1_T2_jT3_P12ihipStream_tbPNSt15iterator_traitsISJ_E10value_typeEPNSP_ISK_E10value_typeEPSL_NS1_7vsmem_tEENKUlT_SJ_SK_SL_E_clIPySE_SF_SF_EESI_SY_SJ_SK_SL_EUlSY_E0_NS1_11comp_targetILNS1_3genE9ELNS1_11target_archE1100ELNS1_3gpuE3ELNS1_3repE0EEENS1_38merge_mergepath_config_static_selectorELNS0_4arch9wavefront6targetE0EEEvSK_.has_recursion, 0
	.set _ZN7rocprim17ROCPRIM_400000_NS6detail17trampoline_kernelINS0_14default_configENS1_38merge_sort_block_merge_config_selectorIyNS0_10empty_typeEEEZZNS1_27merge_sort_block_merge_implIS3_N6thrust23THRUST_200600_302600_NS6detail15normal_iteratorINS9_10device_ptrIyEEEEPS5_m11less_div_10IyEEE10hipError_tT0_T1_T2_jT3_P12ihipStream_tbPNSt15iterator_traitsISJ_E10value_typeEPNSP_ISK_E10value_typeEPSL_NS1_7vsmem_tEENKUlT_SJ_SK_SL_E_clIPySE_SF_SF_EESI_SY_SJ_SK_SL_EUlSY_E0_NS1_11comp_targetILNS1_3genE9ELNS1_11target_archE1100ELNS1_3gpuE3ELNS1_3repE0EEENS1_38merge_mergepath_config_static_selectorELNS0_4arch9wavefront6targetE0EEEvSK_.has_indirect_call, 0
	.section	.AMDGPU.csdata,"",@progbits
; Kernel info:
; codeLenInByte = 0
; TotalNumSgprs: 0
; NumVgprs: 0
; ScratchSize: 0
; MemoryBound: 0
; FloatMode: 240
; IeeeMode: 1
; LDSByteSize: 0 bytes/workgroup (compile time only)
; SGPRBlocks: 0
; VGPRBlocks: 0
; NumSGPRsForWavesPerEU: 1
; NumVGPRsForWavesPerEU: 1
; Occupancy: 16
; WaveLimiterHint : 0
; COMPUTE_PGM_RSRC2:SCRATCH_EN: 0
; COMPUTE_PGM_RSRC2:USER_SGPR: 6
; COMPUTE_PGM_RSRC2:TRAP_HANDLER: 0
; COMPUTE_PGM_RSRC2:TGID_X_EN: 1
; COMPUTE_PGM_RSRC2:TGID_Y_EN: 0
; COMPUTE_PGM_RSRC2:TGID_Z_EN: 0
; COMPUTE_PGM_RSRC2:TIDIG_COMP_CNT: 0
	.section	.text._ZN7rocprim17ROCPRIM_400000_NS6detail17trampoline_kernelINS0_14default_configENS1_38merge_sort_block_merge_config_selectorIyNS0_10empty_typeEEEZZNS1_27merge_sort_block_merge_implIS3_N6thrust23THRUST_200600_302600_NS6detail15normal_iteratorINS9_10device_ptrIyEEEEPS5_m11less_div_10IyEEE10hipError_tT0_T1_T2_jT3_P12ihipStream_tbPNSt15iterator_traitsISJ_E10value_typeEPNSP_ISK_E10value_typeEPSL_NS1_7vsmem_tEENKUlT_SJ_SK_SL_E_clIPySE_SF_SF_EESI_SY_SJ_SK_SL_EUlSY_E0_NS1_11comp_targetILNS1_3genE8ELNS1_11target_archE1030ELNS1_3gpuE2ELNS1_3repE0EEENS1_38merge_mergepath_config_static_selectorELNS0_4arch9wavefront6targetE0EEEvSK_,"axG",@progbits,_ZN7rocprim17ROCPRIM_400000_NS6detail17trampoline_kernelINS0_14default_configENS1_38merge_sort_block_merge_config_selectorIyNS0_10empty_typeEEEZZNS1_27merge_sort_block_merge_implIS3_N6thrust23THRUST_200600_302600_NS6detail15normal_iteratorINS9_10device_ptrIyEEEEPS5_m11less_div_10IyEEE10hipError_tT0_T1_T2_jT3_P12ihipStream_tbPNSt15iterator_traitsISJ_E10value_typeEPNSP_ISK_E10value_typeEPSL_NS1_7vsmem_tEENKUlT_SJ_SK_SL_E_clIPySE_SF_SF_EESI_SY_SJ_SK_SL_EUlSY_E0_NS1_11comp_targetILNS1_3genE8ELNS1_11target_archE1030ELNS1_3gpuE2ELNS1_3repE0EEENS1_38merge_mergepath_config_static_selectorELNS0_4arch9wavefront6targetE0EEEvSK_,comdat
	.protected	_ZN7rocprim17ROCPRIM_400000_NS6detail17trampoline_kernelINS0_14default_configENS1_38merge_sort_block_merge_config_selectorIyNS0_10empty_typeEEEZZNS1_27merge_sort_block_merge_implIS3_N6thrust23THRUST_200600_302600_NS6detail15normal_iteratorINS9_10device_ptrIyEEEEPS5_m11less_div_10IyEEE10hipError_tT0_T1_T2_jT3_P12ihipStream_tbPNSt15iterator_traitsISJ_E10value_typeEPNSP_ISK_E10value_typeEPSL_NS1_7vsmem_tEENKUlT_SJ_SK_SL_E_clIPySE_SF_SF_EESI_SY_SJ_SK_SL_EUlSY_E0_NS1_11comp_targetILNS1_3genE8ELNS1_11target_archE1030ELNS1_3gpuE2ELNS1_3repE0EEENS1_38merge_mergepath_config_static_selectorELNS0_4arch9wavefront6targetE0EEEvSK_ ; -- Begin function _ZN7rocprim17ROCPRIM_400000_NS6detail17trampoline_kernelINS0_14default_configENS1_38merge_sort_block_merge_config_selectorIyNS0_10empty_typeEEEZZNS1_27merge_sort_block_merge_implIS3_N6thrust23THRUST_200600_302600_NS6detail15normal_iteratorINS9_10device_ptrIyEEEEPS5_m11less_div_10IyEEE10hipError_tT0_T1_T2_jT3_P12ihipStream_tbPNSt15iterator_traitsISJ_E10value_typeEPNSP_ISK_E10value_typeEPSL_NS1_7vsmem_tEENKUlT_SJ_SK_SL_E_clIPySE_SF_SF_EESI_SY_SJ_SK_SL_EUlSY_E0_NS1_11comp_targetILNS1_3genE8ELNS1_11target_archE1030ELNS1_3gpuE2ELNS1_3repE0EEENS1_38merge_mergepath_config_static_selectorELNS0_4arch9wavefront6targetE0EEEvSK_
	.globl	_ZN7rocprim17ROCPRIM_400000_NS6detail17trampoline_kernelINS0_14default_configENS1_38merge_sort_block_merge_config_selectorIyNS0_10empty_typeEEEZZNS1_27merge_sort_block_merge_implIS3_N6thrust23THRUST_200600_302600_NS6detail15normal_iteratorINS9_10device_ptrIyEEEEPS5_m11less_div_10IyEEE10hipError_tT0_T1_T2_jT3_P12ihipStream_tbPNSt15iterator_traitsISJ_E10value_typeEPNSP_ISK_E10value_typeEPSL_NS1_7vsmem_tEENKUlT_SJ_SK_SL_E_clIPySE_SF_SF_EESI_SY_SJ_SK_SL_EUlSY_E0_NS1_11comp_targetILNS1_3genE8ELNS1_11target_archE1030ELNS1_3gpuE2ELNS1_3repE0EEENS1_38merge_mergepath_config_static_selectorELNS0_4arch9wavefront6targetE0EEEvSK_
	.p2align	8
	.type	_ZN7rocprim17ROCPRIM_400000_NS6detail17trampoline_kernelINS0_14default_configENS1_38merge_sort_block_merge_config_selectorIyNS0_10empty_typeEEEZZNS1_27merge_sort_block_merge_implIS3_N6thrust23THRUST_200600_302600_NS6detail15normal_iteratorINS9_10device_ptrIyEEEEPS5_m11less_div_10IyEEE10hipError_tT0_T1_T2_jT3_P12ihipStream_tbPNSt15iterator_traitsISJ_E10value_typeEPNSP_ISK_E10value_typeEPSL_NS1_7vsmem_tEENKUlT_SJ_SK_SL_E_clIPySE_SF_SF_EESI_SY_SJ_SK_SL_EUlSY_E0_NS1_11comp_targetILNS1_3genE8ELNS1_11target_archE1030ELNS1_3gpuE2ELNS1_3repE0EEENS1_38merge_mergepath_config_static_selectorELNS0_4arch9wavefront6targetE0EEEvSK_,@function
_ZN7rocprim17ROCPRIM_400000_NS6detail17trampoline_kernelINS0_14default_configENS1_38merge_sort_block_merge_config_selectorIyNS0_10empty_typeEEEZZNS1_27merge_sort_block_merge_implIS3_N6thrust23THRUST_200600_302600_NS6detail15normal_iteratorINS9_10device_ptrIyEEEEPS5_m11less_div_10IyEEE10hipError_tT0_T1_T2_jT3_P12ihipStream_tbPNSt15iterator_traitsISJ_E10value_typeEPNSP_ISK_E10value_typeEPSL_NS1_7vsmem_tEENKUlT_SJ_SK_SL_E_clIPySE_SF_SF_EESI_SY_SJ_SK_SL_EUlSY_E0_NS1_11comp_targetILNS1_3genE8ELNS1_11target_archE1030ELNS1_3gpuE2ELNS1_3repE0EEENS1_38merge_mergepath_config_static_selectorELNS0_4arch9wavefront6targetE0EEEvSK_: ; @_ZN7rocprim17ROCPRIM_400000_NS6detail17trampoline_kernelINS0_14default_configENS1_38merge_sort_block_merge_config_selectorIyNS0_10empty_typeEEEZZNS1_27merge_sort_block_merge_implIS3_N6thrust23THRUST_200600_302600_NS6detail15normal_iteratorINS9_10device_ptrIyEEEEPS5_m11less_div_10IyEEE10hipError_tT0_T1_T2_jT3_P12ihipStream_tbPNSt15iterator_traitsISJ_E10value_typeEPNSP_ISK_E10value_typeEPSL_NS1_7vsmem_tEENKUlT_SJ_SK_SL_E_clIPySE_SF_SF_EESI_SY_SJ_SK_SL_EUlSY_E0_NS1_11comp_targetILNS1_3genE8ELNS1_11target_archE1030ELNS1_3gpuE2ELNS1_3repE0EEENS1_38merge_mergepath_config_static_selectorELNS0_4arch9wavefront6targetE0EEEvSK_
; %bb.0:
	s_clause 0x1
	s_load_dwordx2 s[0:1], s[4:5], 0x48
	s_load_dword s2, s[4:5], 0x38
	s_waitcnt lgkmcnt(0)
	s_mul_i32 s1, s1, s8
	s_add_i32 s1, s1, s7
	s_mul_i32 s0, s1, s0
	s_add_i32 s0, s0, s6
	s_cmp_ge_u32 s0, s2
	s_cbranch_scc1 .LBB39_24
; %bb.1:
	s_clause 0x1
	s_load_dwordx2 s[2:3], s[4:5], 0x40
	s_load_dwordx4 s[8:11], s[4:5], 0x28
	s_mov_b32 s1, 0
	s_lshl_b64 s[6:7], s[0:1], 3
	s_mov_b32 s17, s1
	s_waitcnt lgkmcnt(0)
	s_add_u32 s2, s2, s6
	s_addc_u32 s3, s3, s7
	s_lshl_b64 s[6:7], s[0:1], 10
	s_load_dwordx4 s[12:15], s[2:3], 0x0
	s_lshr_b64 s[2:3], s[10:11], 9
	s_and_b32 s2, s2, -2
	s_sub_i32 s22, 0, s2
	s_and_b32 s16, s0, s22
	s_lshl_b64 s[2:3], s[16:17], 10
	s_sub_u32 s20, s6, s2
	s_subb_u32 s21, s7, s3
	s_lshl_b64 s[16:17], s[16:17], 11
	s_add_u32 s18, s16, s10
	s_addc_u32 s19, s17, s11
	s_add_u32 s16, s18, s20
	s_addc_u32 s17, s19, s21
	s_waitcnt lgkmcnt(0)
	s_sub_u32 s20, s16, s14
	s_subb_u32 s15, s17, s15
	s_add_u32 s20, s20, 0x400
	s_addc_u32 s21, s15, 0
	v_cmp_lt_u64_e64 s15, s[8:9], s[20:21]
	s_and_b32 s15, s15, exec_lo
	s_cselect_b32 s15, s8, s20
	s_or_b32 s20, s0, s22
	s_cmp_lg_u32 s20, -1
	s_cbranch_scc1 .LBB39_3
; %bb.2:
	s_sub_u32 s2, s18, s2
	s_subb_u32 s3, s19, s3
	v_cmp_lt_u64_e64 s14, s[8:9], s[2:3]
	s_and_b32 s14, s14, exec_lo
	s_cselect_b32 s14, s8, s2
	s_add_u32 s2, s2, s10
	s_addc_u32 s3, s3, s11
	v_cmp_lt_u64_e64 s3, s[8:9], s[2:3]
	s_and_b32 s3, s3, exec_lo
	s_cselect_b32 s15, s8, s2
.LBB39_3:
	s_lshr_b64 s[2:3], s[8:9], 10
	v_mov_b32_e32 v3, 0
	s_cmp_lg_u64 s[2:3], s[0:1]
	s_load_dwordx4 s[0:3], s[4:5], 0x8
	s_cselect_b32 s10, -1, 0
	s_sub_u32 s16, s16, s12
	s_subb_u32 s17, s17, s13
                                        ; implicit-def: $vgpr1_vgpr2
	v_cmp_lt_u64_e64 s11, s[8:9], s[16:17]
	s_and_b32 s4, s11, exec_lo
	s_cselect_b32 s4, s8, s16
	s_cselect_b32 s5, s9, s17
	s_sub_i32 s11, s14, s12
	s_sub_i32 s14, s15, s4
	s_add_i32 s9, s11, s14
	v_cmp_gt_u32_e32 vcc_lo, s9, v0
	s_or_b32 s15, s10, vcc_lo
	s_and_saveexec_b32 s16, s15
	s_xor_b32 s15, exec_lo, s16
	s_cbranch_execz .LBB39_5
; %bb.4:
	v_lshlrev_b32_e32 v1, 3, v0
	v_sub_co_u32 v2, vcc_lo, v0, s11
	s_lshl_b64 s[12:13], s[12:13], 3
	s_waitcnt lgkmcnt(0)
	s_add_u32 s12, s0, s12
	s_addc_u32 s13, s1, s13
	v_add_co_u32 v4, s12, s12, v1
	v_lshlrev_b64 v[1:2], 3, v[2:3]
	s_lshl_b64 s[4:5], s[4:5], 3
	v_add_co_ci_u32_e64 v5, null, s13, 0, s12
	s_add_u32 s0, s0, s4
	s_addc_u32 s1, s1, s5
	v_add_co_u32 v1, s0, s0, v1
	v_add_co_ci_u32_e64 v2, null, s1, v2, s0
	v_cndmask_b32_e32 v1, v1, v4, vcc_lo
	v_cndmask_b32_e32 v2, v2, v5, vcc_lo
	global_load_dwordx2 v[1:2], v[1:2], off
.LBB39_5:
	s_waitcnt lgkmcnt(0)
	s_andn2_saveexec_b32 s0, s15
; %bb.6:
                                        ; implicit-def: $vgpr1_vgpr2
; %bb.7:
	s_or_b32 exec_lo, exec_lo, s0
	v_min_u32_e32 v4, s9, v0
	v_lshlrev_b32_e32 v5, 3, v0
	s_mov_b32 s0, exec_lo
	v_sub_nc_u32_e64 v3, v4, s14 clamp
	v_min_u32_e32 v6, s11, v4
	s_waitcnt vmcnt(0)
	ds_write_b64 v5, v[1:2]
	s_waitcnt lgkmcnt(0)
	s_barrier
	buffer_gl0_inv
	v_cmpx_lt_u32_e64 v3, v6
	s_cbranch_execz .LBB39_11
; %bb.8:
	v_lshlrev_b32_e32 v7, 3, v4
	s_mov_b32 s1, 0
	v_lshl_add_u32 v7, s11, 3, v7
	.p2align	6
.LBB39_9:                               ; =>This Inner Loop Header: Depth=1
	v_add_nc_u32_e32 v8, v6, v3
	v_lshrrev_b32_e32 v8, 1, v8
	v_not_b32_e32 v9, v8
	v_lshlrev_b32_e32 v10, 3, v8
	v_lshl_add_u32 v9, v9, 3, v7
	ds_read_b32 v10, v10
	ds_read_b32 v9, v9
	s_waitcnt lgkmcnt(1)
	v_mul_hi_i32 v10, 0x66666667, v10
	s_waitcnt lgkmcnt(0)
	v_mul_hi_i32 v9, 0x66666667, v9
	v_lshrrev_b32_e32 v11, 31, v10
	v_ashrrev_i32_e32 v10, 2, v10
	v_lshrrev_b32_e32 v12, 31, v9
	v_ashrrev_i32_e32 v9, 2, v9
	v_add_nc_u32_e32 v10, v10, v11
	v_add_nc_u32_e32 v11, 1, v8
	;; [unrolled: 1-line block ×3, first 2 shown]
	v_cmp_lt_i32_e32 vcc_lo, v9, v10
	v_cndmask_b32_e32 v6, v6, v8, vcc_lo
	v_cndmask_b32_e32 v3, v11, v3, vcc_lo
	v_cmp_ge_u32_e32 vcc_lo, v3, v6
	s_or_b32 s1, vcc_lo, s1
	s_andn2_b32 exec_lo, exec_lo, s1
	s_cbranch_execnz .LBB39_9
; %bb.10:
	s_or_b32 exec_lo, exec_lo, s1
.LBB39_11:
	s_or_b32 exec_lo, exec_lo, s0
	v_sub_nc_u32_e32 v4, v4, v3
	v_cmp_ge_u32_e32 vcc_lo, s11, v3
	v_add_nc_u32_e32 v6, s11, v4
	v_cmp_ge_u32_e64 s0, s9, v6
	s_or_b32 s0, vcc_lo, s0
	s_and_saveexec_b32 s1, s0
	s_cbranch_execz .LBB39_19
; %bb.12:
	s_mov_b32 s4, exec_lo
	v_cmp_le_u32_e32 vcc_lo, s11, v3
                                        ; implicit-def: $vgpr1_vgpr2
	v_cmpx_gt_u32_e64 s11, v3
; %bb.13:
	v_lshlrev_b32_e32 v1, 3, v3
	ds_read_b64 v[1:2], v1
; %bb.14:
	s_or_b32 exec_lo, exec_lo, s4
	v_cmp_le_u32_e64 s4, s9, v6
	s_mov_b32 s5, exec_lo
                                        ; implicit-def: $vgpr3_vgpr4
	v_cmpx_gt_u32_e64 s9, v6
; %bb.15:
	v_lshlrev_b32_e32 v3, 3, v6
	ds_read_b64 v[3:4], v3
; %bb.16:
	s_or_b32 exec_lo, exec_lo, s5
	s_nor_b32 s5, vcc_lo, s4
	s_and_saveexec_b32 s0, s5
	s_cbranch_execz .LBB39_18
; %bb.17:
	s_waitcnt lgkmcnt(0)
	v_mul_hi_i32 v6, 0x66666667, v3
	v_mul_hi_i32 v7, 0x66666667, v1
	s_andn2_b32 s4, s4, exec_lo
	v_lshrrev_b32_e32 v8, 31, v6
	v_ashrrev_i32_e32 v6, 2, v6
	v_lshrrev_b32_e32 v9, 31, v7
	v_ashrrev_i32_e32 v7, 2, v7
	v_add_nc_u32_e32 v6, v6, v8
	v_add_nc_u32_e32 v7, v7, v9
	v_cmp_ge_i32_e32 vcc_lo, v6, v7
	s_and_b32 s5, vcc_lo, exec_lo
	s_or_b32 s4, s4, s5
.LBB39_18:
	s_or_b32 exec_lo, exec_lo, s0
	s_waitcnt lgkmcnt(0)
	v_cndmask_b32_e64 v2, v4, v2, s4
	v_cndmask_b32_e64 v1, v3, v1, s4
.LBB39_19:
	s_or_b32 exec_lo, exec_lo, s1
	s_and_b32 vcc_lo, exec_lo, s10
	s_mov_b32 s0, -1
	s_barrier
	buffer_gl0_inv
	s_barrier
	buffer_gl0_inv
	s_cbranch_vccz .LBB39_21
; %bb.20:
	ds_write_b64 v5, v[1:2]
	s_waitcnt lgkmcnt(0)
	s_barrier
	buffer_gl0_inv
	ds_read_b64 v[3:4], v5
	s_lshl_b64 s[0:1], s[6:7], 3
	s_add_u32 s4, s2, s0
	s_addc_u32 s5, s3, s1
	s_mov_b32 s0, 0
	s_waitcnt lgkmcnt(0)
	global_store_dwordx2 v5, v[3:4], s[4:5]
.LBB39_21:
	s_andn2_b32 vcc_lo, exec_lo, s0
	s_cbranch_vccnz .LBB39_24
; %bb.22:
	s_sub_i32 s0, s8, s6
	ds_write_b64 v5, v[1:2]
	v_cmp_gt_u32_e32 vcc_lo, s0, v0
	s_waitcnt lgkmcnt(0)
	s_waitcnt_vscnt null, 0x0
	s_barrier
	buffer_gl0_inv
	s_and_saveexec_b32 s0, vcc_lo
	s_cbranch_execz .LBB39_24
; %bb.23:
	ds_read_b64 v[0:1], v5
	s_lshl_b64 s[0:1], s[6:7], 3
	s_add_u32 s0, s2, s0
	s_addc_u32 s1, s3, s1
	s_waitcnt lgkmcnt(0)
	global_store_dwordx2 v5, v[0:1], s[0:1]
.LBB39_24:
	s_endpgm
	.section	.rodata,"a",@progbits
	.p2align	6, 0x0
	.amdhsa_kernel _ZN7rocprim17ROCPRIM_400000_NS6detail17trampoline_kernelINS0_14default_configENS1_38merge_sort_block_merge_config_selectorIyNS0_10empty_typeEEEZZNS1_27merge_sort_block_merge_implIS3_N6thrust23THRUST_200600_302600_NS6detail15normal_iteratorINS9_10device_ptrIyEEEEPS5_m11less_div_10IyEEE10hipError_tT0_T1_T2_jT3_P12ihipStream_tbPNSt15iterator_traitsISJ_E10value_typeEPNSP_ISK_E10value_typeEPSL_NS1_7vsmem_tEENKUlT_SJ_SK_SL_E_clIPySE_SF_SF_EESI_SY_SJ_SK_SL_EUlSY_E0_NS1_11comp_targetILNS1_3genE8ELNS1_11target_archE1030ELNS1_3gpuE2ELNS1_3repE0EEENS1_38merge_mergepath_config_static_selectorELNS0_4arch9wavefront6targetE0EEEvSK_
		.amdhsa_group_segment_fixed_size 8208
		.amdhsa_private_segment_fixed_size 0
		.amdhsa_kernarg_size 328
		.amdhsa_user_sgpr_count 6
		.amdhsa_user_sgpr_private_segment_buffer 1
		.amdhsa_user_sgpr_dispatch_ptr 0
		.amdhsa_user_sgpr_queue_ptr 0
		.amdhsa_user_sgpr_kernarg_segment_ptr 1
		.amdhsa_user_sgpr_dispatch_id 0
		.amdhsa_user_sgpr_flat_scratch_init 0
		.amdhsa_user_sgpr_private_segment_size 0
		.amdhsa_wavefront_size32 1
		.amdhsa_uses_dynamic_stack 0
		.amdhsa_system_sgpr_private_segment_wavefront_offset 0
		.amdhsa_system_sgpr_workgroup_id_x 1
		.amdhsa_system_sgpr_workgroup_id_y 1
		.amdhsa_system_sgpr_workgroup_id_z 1
		.amdhsa_system_sgpr_workgroup_info 0
		.amdhsa_system_vgpr_workitem_id 0
		.amdhsa_next_free_vgpr 13
		.amdhsa_next_free_sgpr 23
		.amdhsa_reserve_vcc 1
		.amdhsa_reserve_flat_scratch 0
		.amdhsa_float_round_mode_32 0
		.amdhsa_float_round_mode_16_64 0
		.amdhsa_float_denorm_mode_32 3
		.amdhsa_float_denorm_mode_16_64 3
		.amdhsa_dx10_clamp 1
		.amdhsa_ieee_mode 1
		.amdhsa_fp16_overflow 0
		.amdhsa_workgroup_processor_mode 1
		.amdhsa_memory_ordered 1
		.amdhsa_forward_progress 1
		.amdhsa_shared_vgpr_count 0
		.amdhsa_exception_fp_ieee_invalid_op 0
		.amdhsa_exception_fp_denorm_src 0
		.amdhsa_exception_fp_ieee_div_zero 0
		.amdhsa_exception_fp_ieee_overflow 0
		.amdhsa_exception_fp_ieee_underflow 0
		.amdhsa_exception_fp_ieee_inexact 0
		.amdhsa_exception_int_div_zero 0
	.end_amdhsa_kernel
	.section	.text._ZN7rocprim17ROCPRIM_400000_NS6detail17trampoline_kernelINS0_14default_configENS1_38merge_sort_block_merge_config_selectorIyNS0_10empty_typeEEEZZNS1_27merge_sort_block_merge_implIS3_N6thrust23THRUST_200600_302600_NS6detail15normal_iteratorINS9_10device_ptrIyEEEEPS5_m11less_div_10IyEEE10hipError_tT0_T1_T2_jT3_P12ihipStream_tbPNSt15iterator_traitsISJ_E10value_typeEPNSP_ISK_E10value_typeEPSL_NS1_7vsmem_tEENKUlT_SJ_SK_SL_E_clIPySE_SF_SF_EESI_SY_SJ_SK_SL_EUlSY_E0_NS1_11comp_targetILNS1_3genE8ELNS1_11target_archE1030ELNS1_3gpuE2ELNS1_3repE0EEENS1_38merge_mergepath_config_static_selectorELNS0_4arch9wavefront6targetE0EEEvSK_,"axG",@progbits,_ZN7rocprim17ROCPRIM_400000_NS6detail17trampoline_kernelINS0_14default_configENS1_38merge_sort_block_merge_config_selectorIyNS0_10empty_typeEEEZZNS1_27merge_sort_block_merge_implIS3_N6thrust23THRUST_200600_302600_NS6detail15normal_iteratorINS9_10device_ptrIyEEEEPS5_m11less_div_10IyEEE10hipError_tT0_T1_T2_jT3_P12ihipStream_tbPNSt15iterator_traitsISJ_E10value_typeEPNSP_ISK_E10value_typeEPSL_NS1_7vsmem_tEENKUlT_SJ_SK_SL_E_clIPySE_SF_SF_EESI_SY_SJ_SK_SL_EUlSY_E0_NS1_11comp_targetILNS1_3genE8ELNS1_11target_archE1030ELNS1_3gpuE2ELNS1_3repE0EEENS1_38merge_mergepath_config_static_selectorELNS0_4arch9wavefront6targetE0EEEvSK_,comdat
.Lfunc_end39:
	.size	_ZN7rocprim17ROCPRIM_400000_NS6detail17trampoline_kernelINS0_14default_configENS1_38merge_sort_block_merge_config_selectorIyNS0_10empty_typeEEEZZNS1_27merge_sort_block_merge_implIS3_N6thrust23THRUST_200600_302600_NS6detail15normal_iteratorINS9_10device_ptrIyEEEEPS5_m11less_div_10IyEEE10hipError_tT0_T1_T2_jT3_P12ihipStream_tbPNSt15iterator_traitsISJ_E10value_typeEPNSP_ISK_E10value_typeEPSL_NS1_7vsmem_tEENKUlT_SJ_SK_SL_E_clIPySE_SF_SF_EESI_SY_SJ_SK_SL_EUlSY_E0_NS1_11comp_targetILNS1_3genE8ELNS1_11target_archE1030ELNS1_3gpuE2ELNS1_3repE0EEENS1_38merge_mergepath_config_static_selectorELNS0_4arch9wavefront6targetE0EEEvSK_, .Lfunc_end39-_ZN7rocprim17ROCPRIM_400000_NS6detail17trampoline_kernelINS0_14default_configENS1_38merge_sort_block_merge_config_selectorIyNS0_10empty_typeEEEZZNS1_27merge_sort_block_merge_implIS3_N6thrust23THRUST_200600_302600_NS6detail15normal_iteratorINS9_10device_ptrIyEEEEPS5_m11less_div_10IyEEE10hipError_tT0_T1_T2_jT3_P12ihipStream_tbPNSt15iterator_traitsISJ_E10value_typeEPNSP_ISK_E10value_typeEPSL_NS1_7vsmem_tEENKUlT_SJ_SK_SL_E_clIPySE_SF_SF_EESI_SY_SJ_SK_SL_EUlSY_E0_NS1_11comp_targetILNS1_3genE8ELNS1_11target_archE1030ELNS1_3gpuE2ELNS1_3repE0EEENS1_38merge_mergepath_config_static_selectorELNS0_4arch9wavefront6targetE0EEEvSK_
                                        ; -- End function
	.set _ZN7rocprim17ROCPRIM_400000_NS6detail17trampoline_kernelINS0_14default_configENS1_38merge_sort_block_merge_config_selectorIyNS0_10empty_typeEEEZZNS1_27merge_sort_block_merge_implIS3_N6thrust23THRUST_200600_302600_NS6detail15normal_iteratorINS9_10device_ptrIyEEEEPS5_m11less_div_10IyEEE10hipError_tT0_T1_T2_jT3_P12ihipStream_tbPNSt15iterator_traitsISJ_E10value_typeEPNSP_ISK_E10value_typeEPSL_NS1_7vsmem_tEENKUlT_SJ_SK_SL_E_clIPySE_SF_SF_EESI_SY_SJ_SK_SL_EUlSY_E0_NS1_11comp_targetILNS1_3genE8ELNS1_11target_archE1030ELNS1_3gpuE2ELNS1_3repE0EEENS1_38merge_mergepath_config_static_selectorELNS0_4arch9wavefront6targetE0EEEvSK_.num_vgpr, 13
	.set _ZN7rocprim17ROCPRIM_400000_NS6detail17trampoline_kernelINS0_14default_configENS1_38merge_sort_block_merge_config_selectorIyNS0_10empty_typeEEEZZNS1_27merge_sort_block_merge_implIS3_N6thrust23THRUST_200600_302600_NS6detail15normal_iteratorINS9_10device_ptrIyEEEEPS5_m11less_div_10IyEEE10hipError_tT0_T1_T2_jT3_P12ihipStream_tbPNSt15iterator_traitsISJ_E10value_typeEPNSP_ISK_E10value_typeEPSL_NS1_7vsmem_tEENKUlT_SJ_SK_SL_E_clIPySE_SF_SF_EESI_SY_SJ_SK_SL_EUlSY_E0_NS1_11comp_targetILNS1_3genE8ELNS1_11target_archE1030ELNS1_3gpuE2ELNS1_3repE0EEENS1_38merge_mergepath_config_static_selectorELNS0_4arch9wavefront6targetE0EEEvSK_.num_agpr, 0
	.set _ZN7rocprim17ROCPRIM_400000_NS6detail17trampoline_kernelINS0_14default_configENS1_38merge_sort_block_merge_config_selectorIyNS0_10empty_typeEEEZZNS1_27merge_sort_block_merge_implIS3_N6thrust23THRUST_200600_302600_NS6detail15normal_iteratorINS9_10device_ptrIyEEEEPS5_m11less_div_10IyEEE10hipError_tT0_T1_T2_jT3_P12ihipStream_tbPNSt15iterator_traitsISJ_E10value_typeEPNSP_ISK_E10value_typeEPSL_NS1_7vsmem_tEENKUlT_SJ_SK_SL_E_clIPySE_SF_SF_EESI_SY_SJ_SK_SL_EUlSY_E0_NS1_11comp_targetILNS1_3genE8ELNS1_11target_archE1030ELNS1_3gpuE2ELNS1_3repE0EEENS1_38merge_mergepath_config_static_selectorELNS0_4arch9wavefront6targetE0EEEvSK_.numbered_sgpr, 23
	.set _ZN7rocprim17ROCPRIM_400000_NS6detail17trampoline_kernelINS0_14default_configENS1_38merge_sort_block_merge_config_selectorIyNS0_10empty_typeEEEZZNS1_27merge_sort_block_merge_implIS3_N6thrust23THRUST_200600_302600_NS6detail15normal_iteratorINS9_10device_ptrIyEEEEPS5_m11less_div_10IyEEE10hipError_tT0_T1_T2_jT3_P12ihipStream_tbPNSt15iterator_traitsISJ_E10value_typeEPNSP_ISK_E10value_typeEPSL_NS1_7vsmem_tEENKUlT_SJ_SK_SL_E_clIPySE_SF_SF_EESI_SY_SJ_SK_SL_EUlSY_E0_NS1_11comp_targetILNS1_3genE8ELNS1_11target_archE1030ELNS1_3gpuE2ELNS1_3repE0EEENS1_38merge_mergepath_config_static_selectorELNS0_4arch9wavefront6targetE0EEEvSK_.num_named_barrier, 0
	.set _ZN7rocprim17ROCPRIM_400000_NS6detail17trampoline_kernelINS0_14default_configENS1_38merge_sort_block_merge_config_selectorIyNS0_10empty_typeEEEZZNS1_27merge_sort_block_merge_implIS3_N6thrust23THRUST_200600_302600_NS6detail15normal_iteratorINS9_10device_ptrIyEEEEPS5_m11less_div_10IyEEE10hipError_tT0_T1_T2_jT3_P12ihipStream_tbPNSt15iterator_traitsISJ_E10value_typeEPNSP_ISK_E10value_typeEPSL_NS1_7vsmem_tEENKUlT_SJ_SK_SL_E_clIPySE_SF_SF_EESI_SY_SJ_SK_SL_EUlSY_E0_NS1_11comp_targetILNS1_3genE8ELNS1_11target_archE1030ELNS1_3gpuE2ELNS1_3repE0EEENS1_38merge_mergepath_config_static_selectorELNS0_4arch9wavefront6targetE0EEEvSK_.private_seg_size, 0
	.set _ZN7rocprim17ROCPRIM_400000_NS6detail17trampoline_kernelINS0_14default_configENS1_38merge_sort_block_merge_config_selectorIyNS0_10empty_typeEEEZZNS1_27merge_sort_block_merge_implIS3_N6thrust23THRUST_200600_302600_NS6detail15normal_iteratorINS9_10device_ptrIyEEEEPS5_m11less_div_10IyEEE10hipError_tT0_T1_T2_jT3_P12ihipStream_tbPNSt15iterator_traitsISJ_E10value_typeEPNSP_ISK_E10value_typeEPSL_NS1_7vsmem_tEENKUlT_SJ_SK_SL_E_clIPySE_SF_SF_EESI_SY_SJ_SK_SL_EUlSY_E0_NS1_11comp_targetILNS1_3genE8ELNS1_11target_archE1030ELNS1_3gpuE2ELNS1_3repE0EEENS1_38merge_mergepath_config_static_selectorELNS0_4arch9wavefront6targetE0EEEvSK_.uses_vcc, 1
	.set _ZN7rocprim17ROCPRIM_400000_NS6detail17trampoline_kernelINS0_14default_configENS1_38merge_sort_block_merge_config_selectorIyNS0_10empty_typeEEEZZNS1_27merge_sort_block_merge_implIS3_N6thrust23THRUST_200600_302600_NS6detail15normal_iteratorINS9_10device_ptrIyEEEEPS5_m11less_div_10IyEEE10hipError_tT0_T1_T2_jT3_P12ihipStream_tbPNSt15iterator_traitsISJ_E10value_typeEPNSP_ISK_E10value_typeEPSL_NS1_7vsmem_tEENKUlT_SJ_SK_SL_E_clIPySE_SF_SF_EESI_SY_SJ_SK_SL_EUlSY_E0_NS1_11comp_targetILNS1_3genE8ELNS1_11target_archE1030ELNS1_3gpuE2ELNS1_3repE0EEENS1_38merge_mergepath_config_static_selectorELNS0_4arch9wavefront6targetE0EEEvSK_.uses_flat_scratch, 0
	.set _ZN7rocprim17ROCPRIM_400000_NS6detail17trampoline_kernelINS0_14default_configENS1_38merge_sort_block_merge_config_selectorIyNS0_10empty_typeEEEZZNS1_27merge_sort_block_merge_implIS3_N6thrust23THRUST_200600_302600_NS6detail15normal_iteratorINS9_10device_ptrIyEEEEPS5_m11less_div_10IyEEE10hipError_tT0_T1_T2_jT3_P12ihipStream_tbPNSt15iterator_traitsISJ_E10value_typeEPNSP_ISK_E10value_typeEPSL_NS1_7vsmem_tEENKUlT_SJ_SK_SL_E_clIPySE_SF_SF_EESI_SY_SJ_SK_SL_EUlSY_E0_NS1_11comp_targetILNS1_3genE8ELNS1_11target_archE1030ELNS1_3gpuE2ELNS1_3repE0EEENS1_38merge_mergepath_config_static_selectorELNS0_4arch9wavefront6targetE0EEEvSK_.has_dyn_sized_stack, 0
	.set _ZN7rocprim17ROCPRIM_400000_NS6detail17trampoline_kernelINS0_14default_configENS1_38merge_sort_block_merge_config_selectorIyNS0_10empty_typeEEEZZNS1_27merge_sort_block_merge_implIS3_N6thrust23THRUST_200600_302600_NS6detail15normal_iteratorINS9_10device_ptrIyEEEEPS5_m11less_div_10IyEEE10hipError_tT0_T1_T2_jT3_P12ihipStream_tbPNSt15iterator_traitsISJ_E10value_typeEPNSP_ISK_E10value_typeEPSL_NS1_7vsmem_tEENKUlT_SJ_SK_SL_E_clIPySE_SF_SF_EESI_SY_SJ_SK_SL_EUlSY_E0_NS1_11comp_targetILNS1_3genE8ELNS1_11target_archE1030ELNS1_3gpuE2ELNS1_3repE0EEENS1_38merge_mergepath_config_static_selectorELNS0_4arch9wavefront6targetE0EEEvSK_.has_recursion, 0
	.set _ZN7rocprim17ROCPRIM_400000_NS6detail17trampoline_kernelINS0_14default_configENS1_38merge_sort_block_merge_config_selectorIyNS0_10empty_typeEEEZZNS1_27merge_sort_block_merge_implIS3_N6thrust23THRUST_200600_302600_NS6detail15normal_iteratorINS9_10device_ptrIyEEEEPS5_m11less_div_10IyEEE10hipError_tT0_T1_T2_jT3_P12ihipStream_tbPNSt15iterator_traitsISJ_E10value_typeEPNSP_ISK_E10value_typeEPSL_NS1_7vsmem_tEENKUlT_SJ_SK_SL_E_clIPySE_SF_SF_EESI_SY_SJ_SK_SL_EUlSY_E0_NS1_11comp_targetILNS1_3genE8ELNS1_11target_archE1030ELNS1_3gpuE2ELNS1_3repE0EEENS1_38merge_mergepath_config_static_selectorELNS0_4arch9wavefront6targetE0EEEvSK_.has_indirect_call, 0
	.section	.AMDGPU.csdata,"",@progbits
; Kernel info:
; codeLenInByte = 1104
; TotalNumSgprs: 25
; NumVgprs: 13
; ScratchSize: 0
; MemoryBound: 0
; FloatMode: 240
; IeeeMode: 1
; LDSByteSize: 8208 bytes/workgroup (compile time only)
; SGPRBlocks: 0
; VGPRBlocks: 1
; NumSGPRsForWavesPerEU: 25
; NumVGPRsForWavesPerEU: 13
; Occupancy: 16
; WaveLimiterHint : 1
; COMPUTE_PGM_RSRC2:SCRATCH_EN: 0
; COMPUTE_PGM_RSRC2:USER_SGPR: 6
; COMPUTE_PGM_RSRC2:TRAP_HANDLER: 0
; COMPUTE_PGM_RSRC2:TGID_X_EN: 1
; COMPUTE_PGM_RSRC2:TGID_Y_EN: 1
; COMPUTE_PGM_RSRC2:TGID_Z_EN: 1
; COMPUTE_PGM_RSRC2:TIDIG_COMP_CNT: 0
	.section	.text._ZN7rocprim17ROCPRIM_400000_NS6detail17trampoline_kernelINS0_14default_configENS1_38merge_sort_block_merge_config_selectorIyNS0_10empty_typeEEEZZNS1_27merge_sort_block_merge_implIS3_N6thrust23THRUST_200600_302600_NS6detail15normal_iteratorINS9_10device_ptrIyEEEEPS5_m11less_div_10IyEEE10hipError_tT0_T1_T2_jT3_P12ihipStream_tbPNSt15iterator_traitsISJ_E10value_typeEPNSP_ISK_E10value_typeEPSL_NS1_7vsmem_tEENKUlT_SJ_SK_SL_E_clIPySE_SF_SF_EESI_SY_SJ_SK_SL_EUlSY_E1_NS1_11comp_targetILNS1_3genE0ELNS1_11target_archE4294967295ELNS1_3gpuE0ELNS1_3repE0EEENS1_36merge_oddeven_config_static_selectorELNS0_4arch9wavefront6targetE0EEEvSK_,"axG",@progbits,_ZN7rocprim17ROCPRIM_400000_NS6detail17trampoline_kernelINS0_14default_configENS1_38merge_sort_block_merge_config_selectorIyNS0_10empty_typeEEEZZNS1_27merge_sort_block_merge_implIS3_N6thrust23THRUST_200600_302600_NS6detail15normal_iteratorINS9_10device_ptrIyEEEEPS5_m11less_div_10IyEEE10hipError_tT0_T1_T2_jT3_P12ihipStream_tbPNSt15iterator_traitsISJ_E10value_typeEPNSP_ISK_E10value_typeEPSL_NS1_7vsmem_tEENKUlT_SJ_SK_SL_E_clIPySE_SF_SF_EESI_SY_SJ_SK_SL_EUlSY_E1_NS1_11comp_targetILNS1_3genE0ELNS1_11target_archE4294967295ELNS1_3gpuE0ELNS1_3repE0EEENS1_36merge_oddeven_config_static_selectorELNS0_4arch9wavefront6targetE0EEEvSK_,comdat
	.protected	_ZN7rocprim17ROCPRIM_400000_NS6detail17trampoline_kernelINS0_14default_configENS1_38merge_sort_block_merge_config_selectorIyNS0_10empty_typeEEEZZNS1_27merge_sort_block_merge_implIS3_N6thrust23THRUST_200600_302600_NS6detail15normal_iteratorINS9_10device_ptrIyEEEEPS5_m11less_div_10IyEEE10hipError_tT0_T1_T2_jT3_P12ihipStream_tbPNSt15iterator_traitsISJ_E10value_typeEPNSP_ISK_E10value_typeEPSL_NS1_7vsmem_tEENKUlT_SJ_SK_SL_E_clIPySE_SF_SF_EESI_SY_SJ_SK_SL_EUlSY_E1_NS1_11comp_targetILNS1_3genE0ELNS1_11target_archE4294967295ELNS1_3gpuE0ELNS1_3repE0EEENS1_36merge_oddeven_config_static_selectorELNS0_4arch9wavefront6targetE0EEEvSK_ ; -- Begin function _ZN7rocprim17ROCPRIM_400000_NS6detail17trampoline_kernelINS0_14default_configENS1_38merge_sort_block_merge_config_selectorIyNS0_10empty_typeEEEZZNS1_27merge_sort_block_merge_implIS3_N6thrust23THRUST_200600_302600_NS6detail15normal_iteratorINS9_10device_ptrIyEEEEPS5_m11less_div_10IyEEE10hipError_tT0_T1_T2_jT3_P12ihipStream_tbPNSt15iterator_traitsISJ_E10value_typeEPNSP_ISK_E10value_typeEPSL_NS1_7vsmem_tEENKUlT_SJ_SK_SL_E_clIPySE_SF_SF_EESI_SY_SJ_SK_SL_EUlSY_E1_NS1_11comp_targetILNS1_3genE0ELNS1_11target_archE4294967295ELNS1_3gpuE0ELNS1_3repE0EEENS1_36merge_oddeven_config_static_selectorELNS0_4arch9wavefront6targetE0EEEvSK_
	.globl	_ZN7rocprim17ROCPRIM_400000_NS6detail17trampoline_kernelINS0_14default_configENS1_38merge_sort_block_merge_config_selectorIyNS0_10empty_typeEEEZZNS1_27merge_sort_block_merge_implIS3_N6thrust23THRUST_200600_302600_NS6detail15normal_iteratorINS9_10device_ptrIyEEEEPS5_m11less_div_10IyEEE10hipError_tT0_T1_T2_jT3_P12ihipStream_tbPNSt15iterator_traitsISJ_E10value_typeEPNSP_ISK_E10value_typeEPSL_NS1_7vsmem_tEENKUlT_SJ_SK_SL_E_clIPySE_SF_SF_EESI_SY_SJ_SK_SL_EUlSY_E1_NS1_11comp_targetILNS1_3genE0ELNS1_11target_archE4294967295ELNS1_3gpuE0ELNS1_3repE0EEENS1_36merge_oddeven_config_static_selectorELNS0_4arch9wavefront6targetE0EEEvSK_
	.p2align	8
	.type	_ZN7rocprim17ROCPRIM_400000_NS6detail17trampoline_kernelINS0_14default_configENS1_38merge_sort_block_merge_config_selectorIyNS0_10empty_typeEEEZZNS1_27merge_sort_block_merge_implIS3_N6thrust23THRUST_200600_302600_NS6detail15normal_iteratorINS9_10device_ptrIyEEEEPS5_m11less_div_10IyEEE10hipError_tT0_T1_T2_jT3_P12ihipStream_tbPNSt15iterator_traitsISJ_E10value_typeEPNSP_ISK_E10value_typeEPSL_NS1_7vsmem_tEENKUlT_SJ_SK_SL_E_clIPySE_SF_SF_EESI_SY_SJ_SK_SL_EUlSY_E1_NS1_11comp_targetILNS1_3genE0ELNS1_11target_archE4294967295ELNS1_3gpuE0ELNS1_3repE0EEENS1_36merge_oddeven_config_static_selectorELNS0_4arch9wavefront6targetE0EEEvSK_,@function
_ZN7rocprim17ROCPRIM_400000_NS6detail17trampoline_kernelINS0_14default_configENS1_38merge_sort_block_merge_config_selectorIyNS0_10empty_typeEEEZZNS1_27merge_sort_block_merge_implIS3_N6thrust23THRUST_200600_302600_NS6detail15normal_iteratorINS9_10device_ptrIyEEEEPS5_m11less_div_10IyEEE10hipError_tT0_T1_T2_jT3_P12ihipStream_tbPNSt15iterator_traitsISJ_E10value_typeEPNSP_ISK_E10value_typeEPSL_NS1_7vsmem_tEENKUlT_SJ_SK_SL_E_clIPySE_SF_SF_EESI_SY_SJ_SK_SL_EUlSY_E1_NS1_11comp_targetILNS1_3genE0ELNS1_11target_archE4294967295ELNS1_3gpuE0ELNS1_3repE0EEENS1_36merge_oddeven_config_static_selectorELNS0_4arch9wavefront6targetE0EEEvSK_: ; @_ZN7rocprim17ROCPRIM_400000_NS6detail17trampoline_kernelINS0_14default_configENS1_38merge_sort_block_merge_config_selectorIyNS0_10empty_typeEEEZZNS1_27merge_sort_block_merge_implIS3_N6thrust23THRUST_200600_302600_NS6detail15normal_iteratorINS9_10device_ptrIyEEEEPS5_m11less_div_10IyEEE10hipError_tT0_T1_T2_jT3_P12ihipStream_tbPNSt15iterator_traitsISJ_E10value_typeEPNSP_ISK_E10value_typeEPSL_NS1_7vsmem_tEENKUlT_SJ_SK_SL_E_clIPySE_SF_SF_EESI_SY_SJ_SK_SL_EUlSY_E1_NS1_11comp_targetILNS1_3genE0ELNS1_11target_archE4294967295ELNS1_3gpuE0ELNS1_3repE0EEENS1_36merge_oddeven_config_static_selectorELNS0_4arch9wavefront6targetE0EEEvSK_
; %bb.0:
	.section	.rodata,"a",@progbits
	.p2align	6, 0x0
	.amdhsa_kernel _ZN7rocprim17ROCPRIM_400000_NS6detail17trampoline_kernelINS0_14default_configENS1_38merge_sort_block_merge_config_selectorIyNS0_10empty_typeEEEZZNS1_27merge_sort_block_merge_implIS3_N6thrust23THRUST_200600_302600_NS6detail15normal_iteratorINS9_10device_ptrIyEEEEPS5_m11less_div_10IyEEE10hipError_tT0_T1_T2_jT3_P12ihipStream_tbPNSt15iterator_traitsISJ_E10value_typeEPNSP_ISK_E10value_typeEPSL_NS1_7vsmem_tEENKUlT_SJ_SK_SL_E_clIPySE_SF_SF_EESI_SY_SJ_SK_SL_EUlSY_E1_NS1_11comp_targetILNS1_3genE0ELNS1_11target_archE4294967295ELNS1_3gpuE0ELNS1_3repE0EEENS1_36merge_oddeven_config_static_selectorELNS0_4arch9wavefront6targetE0EEEvSK_
		.amdhsa_group_segment_fixed_size 0
		.amdhsa_private_segment_fixed_size 0
		.amdhsa_kernarg_size 56
		.amdhsa_user_sgpr_count 6
		.amdhsa_user_sgpr_private_segment_buffer 1
		.amdhsa_user_sgpr_dispatch_ptr 0
		.amdhsa_user_sgpr_queue_ptr 0
		.amdhsa_user_sgpr_kernarg_segment_ptr 1
		.amdhsa_user_sgpr_dispatch_id 0
		.amdhsa_user_sgpr_flat_scratch_init 0
		.amdhsa_user_sgpr_private_segment_size 0
		.amdhsa_wavefront_size32 1
		.amdhsa_uses_dynamic_stack 0
		.amdhsa_system_sgpr_private_segment_wavefront_offset 0
		.amdhsa_system_sgpr_workgroup_id_x 1
		.amdhsa_system_sgpr_workgroup_id_y 0
		.amdhsa_system_sgpr_workgroup_id_z 0
		.amdhsa_system_sgpr_workgroup_info 0
		.amdhsa_system_vgpr_workitem_id 0
		.amdhsa_next_free_vgpr 1
		.amdhsa_next_free_sgpr 1
		.amdhsa_reserve_vcc 0
		.amdhsa_reserve_flat_scratch 0
		.amdhsa_float_round_mode_32 0
		.amdhsa_float_round_mode_16_64 0
		.amdhsa_float_denorm_mode_32 3
		.amdhsa_float_denorm_mode_16_64 3
		.amdhsa_dx10_clamp 1
		.amdhsa_ieee_mode 1
		.amdhsa_fp16_overflow 0
		.amdhsa_workgroup_processor_mode 1
		.amdhsa_memory_ordered 1
		.amdhsa_forward_progress 1
		.amdhsa_shared_vgpr_count 0
		.amdhsa_exception_fp_ieee_invalid_op 0
		.amdhsa_exception_fp_denorm_src 0
		.amdhsa_exception_fp_ieee_div_zero 0
		.amdhsa_exception_fp_ieee_overflow 0
		.amdhsa_exception_fp_ieee_underflow 0
		.amdhsa_exception_fp_ieee_inexact 0
		.amdhsa_exception_int_div_zero 0
	.end_amdhsa_kernel
	.section	.text._ZN7rocprim17ROCPRIM_400000_NS6detail17trampoline_kernelINS0_14default_configENS1_38merge_sort_block_merge_config_selectorIyNS0_10empty_typeEEEZZNS1_27merge_sort_block_merge_implIS3_N6thrust23THRUST_200600_302600_NS6detail15normal_iteratorINS9_10device_ptrIyEEEEPS5_m11less_div_10IyEEE10hipError_tT0_T1_T2_jT3_P12ihipStream_tbPNSt15iterator_traitsISJ_E10value_typeEPNSP_ISK_E10value_typeEPSL_NS1_7vsmem_tEENKUlT_SJ_SK_SL_E_clIPySE_SF_SF_EESI_SY_SJ_SK_SL_EUlSY_E1_NS1_11comp_targetILNS1_3genE0ELNS1_11target_archE4294967295ELNS1_3gpuE0ELNS1_3repE0EEENS1_36merge_oddeven_config_static_selectorELNS0_4arch9wavefront6targetE0EEEvSK_,"axG",@progbits,_ZN7rocprim17ROCPRIM_400000_NS6detail17trampoline_kernelINS0_14default_configENS1_38merge_sort_block_merge_config_selectorIyNS0_10empty_typeEEEZZNS1_27merge_sort_block_merge_implIS3_N6thrust23THRUST_200600_302600_NS6detail15normal_iteratorINS9_10device_ptrIyEEEEPS5_m11less_div_10IyEEE10hipError_tT0_T1_T2_jT3_P12ihipStream_tbPNSt15iterator_traitsISJ_E10value_typeEPNSP_ISK_E10value_typeEPSL_NS1_7vsmem_tEENKUlT_SJ_SK_SL_E_clIPySE_SF_SF_EESI_SY_SJ_SK_SL_EUlSY_E1_NS1_11comp_targetILNS1_3genE0ELNS1_11target_archE4294967295ELNS1_3gpuE0ELNS1_3repE0EEENS1_36merge_oddeven_config_static_selectorELNS0_4arch9wavefront6targetE0EEEvSK_,comdat
.Lfunc_end40:
	.size	_ZN7rocprim17ROCPRIM_400000_NS6detail17trampoline_kernelINS0_14default_configENS1_38merge_sort_block_merge_config_selectorIyNS0_10empty_typeEEEZZNS1_27merge_sort_block_merge_implIS3_N6thrust23THRUST_200600_302600_NS6detail15normal_iteratorINS9_10device_ptrIyEEEEPS5_m11less_div_10IyEEE10hipError_tT0_T1_T2_jT3_P12ihipStream_tbPNSt15iterator_traitsISJ_E10value_typeEPNSP_ISK_E10value_typeEPSL_NS1_7vsmem_tEENKUlT_SJ_SK_SL_E_clIPySE_SF_SF_EESI_SY_SJ_SK_SL_EUlSY_E1_NS1_11comp_targetILNS1_3genE0ELNS1_11target_archE4294967295ELNS1_3gpuE0ELNS1_3repE0EEENS1_36merge_oddeven_config_static_selectorELNS0_4arch9wavefront6targetE0EEEvSK_, .Lfunc_end40-_ZN7rocprim17ROCPRIM_400000_NS6detail17trampoline_kernelINS0_14default_configENS1_38merge_sort_block_merge_config_selectorIyNS0_10empty_typeEEEZZNS1_27merge_sort_block_merge_implIS3_N6thrust23THRUST_200600_302600_NS6detail15normal_iteratorINS9_10device_ptrIyEEEEPS5_m11less_div_10IyEEE10hipError_tT0_T1_T2_jT3_P12ihipStream_tbPNSt15iterator_traitsISJ_E10value_typeEPNSP_ISK_E10value_typeEPSL_NS1_7vsmem_tEENKUlT_SJ_SK_SL_E_clIPySE_SF_SF_EESI_SY_SJ_SK_SL_EUlSY_E1_NS1_11comp_targetILNS1_3genE0ELNS1_11target_archE4294967295ELNS1_3gpuE0ELNS1_3repE0EEENS1_36merge_oddeven_config_static_selectorELNS0_4arch9wavefront6targetE0EEEvSK_
                                        ; -- End function
	.set _ZN7rocprim17ROCPRIM_400000_NS6detail17trampoline_kernelINS0_14default_configENS1_38merge_sort_block_merge_config_selectorIyNS0_10empty_typeEEEZZNS1_27merge_sort_block_merge_implIS3_N6thrust23THRUST_200600_302600_NS6detail15normal_iteratorINS9_10device_ptrIyEEEEPS5_m11less_div_10IyEEE10hipError_tT0_T1_T2_jT3_P12ihipStream_tbPNSt15iterator_traitsISJ_E10value_typeEPNSP_ISK_E10value_typeEPSL_NS1_7vsmem_tEENKUlT_SJ_SK_SL_E_clIPySE_SF_SF_EESI_SY_SJ_SK_SL_EUlSY_E1_NS1_11comp_targetILNS1_3genE0ELNS1_11target_archE4294967295ELNS1_3gpuE0ELNS1_3repE0EEENS1_36merge_oddeven_config_static_selectorELNS0_4arch9wavefront6targetE0EEEvSK_.num_vgpr, 0
	.set _ZN7rocprim17ROCPRIM_400000_NS6detail17trampoline_kernelINS0_14default_configENS1_38merge_sort_block_merge_config_selectorIyNS0_10empty_typeEEEZZNS1_27merge_sort_block_merge_implIS3_N6thrust23THRUST_200600_302600_NS6detail15normal_iteratorINS9_10device_ptrIyEEEEPS5_m11less_div_10IyEEE10hipError_tT0_T1_T2_jT3_P12ihipStream_tbPNSt15iterator_traitsISJ_E10value_typeEPNSP_ISK_E10value_typeEPSL_NS1_7vsmem_tEENKUlT_SJ_SK_SL_E_clIPySE_SF_SF_EESI_SY_SJ_SK_SL_EUlSY_E1_NS1_11comp_targetILNS1_3genE0ELNS1_11target_archE4294967295ELNS1_3gpuE0ELNS1_3repE0EEENS1_36merge_oddeven_config_static_selectorELNS0_4arch9wavefront6targetE0EEEvSK_.num_agpr, 0
	.set _ZN7rocprim17ROCPRIM_400000_NS6detail17trampoline_kernelINS0_14default_configENS1_38merge_sort_block_merge_config_selectorIyNS0_10empty_typeEEEZZNS1_27merge_sort_block_merge_implIS3_N6thrust23THRUST_200600_302600_NS6detail15normal_iteratorINS9_10device_ptrIyEEEEPS5_m11less_div_10IyEEE10hipError_tT0_T1_T2_jT3_P12ihipStream_tbPNSt15iterator_traitsISJ_E10value_typeEPNSP_ISK_E10value_typeEPSL_NS1_7vsmem_tEENKUlT_SJ_SK_SL_E_clIPySE_SF_SF_EESI_SY_SJ_SK_SL_EUlSY_E1_NS1_11comp_targetILNS1_3genE0ELNS1_11target_archE4294967295ELNS1_3gpuE0ELNS1_3repE0EEENS1_36merge_oddeven_config_static_selectorELNS0_4arch9wavefront6targetE0EEEvSK_.numbered_sgpr, 0
	.set _ZN7rocprim17ROCPRIM_400000_NS6detail17trampoline_kernelINS0_14default_configENS1_38merge_sort_block_merge_config_selectorIyNS0_10empty_typeEEEZZNS1_27merge_sort_block_merge_implIS3_N6thrust23THRUST_200600_302600_NS6detail15normal_iteratorINS9_10device_ptrIyEEEEPS5_m11less_div_10IyEEE10hipError_tT0_T1_T2_jT3_P12ihipStream_tbPNSt15iterator_traitsISJ_E10value_typeEPNSP_ISK_E10value_typeEPSL_NS1_7vsmem_tEENKUlT_SJ_SK_SL_E_clIPySE_SF_SF_EESI_SY_SJ_SK_SL_EUlSY_E1_NS1_11comp_targetILNS1_3genE0ELNS1_11target_archE4294967295ELNS1_3gpuE0ELNS1_3repE0EEENS1_36merge_oddeven_config_static_selectorELNS0_4arch9wavefront6targetE0EEEvSK_.num_named_barrier, 0
	.set _ZN7rocprim17ROCPRIM_400000_NS6detail17trampoline_kernelINS0_14default_configENS1_38merge_sort_block_merge_config_selectorIyNS0_10empty_typeEEEZZNS1_27merge_sort_block_merge_implIS3_N6thrust23THRUST_200600_302600_NS6detail15normal_iteratorINS9_10device_ptrIyEEEEPS5_m11less_div_10IyEEE10hipError_tT0_T1_T2_jT3_P12ihipStream_tbPNSt15iterator_traitsISJ_E10value_typeEPNSP_ISK_E10value_typeEPSL_NS1_7vsmem_tEENKUlT_SJ_SK_SL_E_clIPySE_SF_SF_EESI_SY_SJ_SK_SL_EUlSY_E1_NS1_11comp_targetILNS1_3genE0ELNS1_11target_archE4294967295ELNS1_3gpuE0ELNS1_3repE0EEENS1_36merge_oddeven_config_static_selectorELNS0_4arch9wavefront6targetE0EEEvSK_.private_seg_size, 0
	.set _ZN7rocprim17ROCPRIM_400000_NS6detail17trampoline_kernelINS0_14default_configENS1_38merge_sort_block_merge_config_selectorIyNS0_10empty_typeEEEZZNS1_27merge_sort_block_merge_implIS3_N6thrust23THRUST_200600_302600_NS6detail15normal_iteratorINS9_10device_ptrIyEEEEPS5_m11less_div_10IyEEE10hipError_tT0_T1_T2_jT3_P12ihipStream_tbPNSt15iterator_traitsISJ_E10value_typeEPNSP_ISK_E10value_typeEPSL_NS1_7vsmem_tEENKUlT_SJ_SK_SL_E_clIPySE_SF_SF_EESI_SY_SJ_SK_SL_EUlSY_E1_NS1_11comp_targetILNS1_3genE0ELNS1_11target_archE4294967295ELNS1_3gpuE0ELNS1_3repE0EEENS1_36merge_oddeven_config_static_selectorELNS0_4arch9wavefront6targetE0EEEvSK_.uses_vcc, 0
	.set _ZN7rocprim17ROCPRIM_400000_NS6detail17trampoline_kernelINS0_14default_configENS1_38merge_sort_block_merge_config_selectorIyNS0_10empty_typeEEEZZNS1_27merge_sort_block_merge_implIS3_N6thrust23THRUST_200600_302600_NS6detail15normal_iteratorINS9_10device_ptrIyEEEEPS5_m11less_div_10IyEEE10hipError_tT0_T1_T2_jT3_P12ihipStream_tbPNSt15iterator_traitsISJ_E10value_typeEPNSP_ISK_E10value_typeEPSL_NS1_7vsmem_tEENKUlT_SJ_SK_SL_E_clIPySE_SF_SF_EESI_SY_SJ_SK_SL_EUlSY_E1_NS1_11comp_targetILNS1_3genE0ELNS1_11target_archE4294967295ELNS1_3gpuE0ELNS1_3repE0EEENS1_36merge_oddeven_config_static_selectorELNS0_4arch9wavefront6targetE0EEEvSK_.uses_flat_scratch, 0
	.set _ZN7rocprim17ROCPRIM_400000_NS6detail17trampoline_kernelINS0_14default_configENS1_38merge_sort_block_merge_config_selectorIyNS0_10empty_typeEEEZZNS1_27merge_sort_block_merge_implIS3_N6thrust23THRUST_200600_302600_NS6detail15normal_iteratorINS9_10device_ptrIyEEEEPS5_m11less_div_10IyEEE10hipError_tT0_T1_T2_jT3_P12ihipStream_tbPNSt15iterator_traitsISJ_E10value_typeEPNSP_ISK_E10value_typeEPSL_NS1_7vsmem_tEENKUlT_SJ_SK_SL_E_clIPySE_SF_SF_EESI_SY_SJ_SK_SL_EUlSY_E1_NS1_11comp_targetILNS1_3genE0ELNS1_11target_archE4294967295ELNS1_3gpuE0ELNS1_3repE0EEENS1_36merge_oddeven_config_static_selectorELNS0_4arch9wavefront6targetE0EEEvSK_.has_dyn_sized_stack, 0
	.set _ZN7rocprim17ROCPRIM_400000_NS6detail17trampoline_kernelINS0_14default_configENS1_38merge_sort_block_merge_config_selectorIyNS0_10empty_typeEEEZZNS1_27merge_sort_block_merge_implIS3_N6thrust23THRUST_200600_302600_NS6detail15normal_iteratorINS9_10device_ptrIyEEEEPS5_m11less_div_10IyEEE10hipError_tT0_T1_T2_jT3_P12ihipStream_tbPNSt15iterator_traitsISJ_E10value_typeEPNSP_ISK_E10value_typeEPSL_NS1_7vsmem_tEENKUlT_SJ_SK_SL_E_clIPySE_SF_SF_EESI_SY_SJ_SK_SL_EUlSY_E1_NS1_11comp_targetILNS1_3genE0ELNS1_11target_archE4294967295ELNS1_3gpuE0ELNS1_3repE0EEENS1_36merge_oddeven_config_static_selectorELNS0_4arch9wavefront6targetE0EEEvSK_.has_recursion, 0
	.set _ZN7rocprim17ROCPRIM_400000_NS6detail17trampoline_kernelINS0_14default_configENS1_38merge_sort_block_merge_config_selectorIyNS0_10empty_typeEEEZZNS1_27merge_sort_block_merge_implIS3_N6thrust23THRUST_200600_302600_NS6detail15normal_iteratorINS9_10device_ptrIyEEEEPS5_m11less_div_10IyEEE10hipError_tT0_T1_T2_jT3_P12ihipStream_tbPNSt15iterator_traitsISJ_E10value_typeEPNSP_ISK_E10value_typeEPSL_NS1_7vsmem_tEENKUlT_SJ_SK_SL_E_clIPySE_SF_SF_EESI_SY_SJ_SK_SL_EUlSY_E1_NS1_11comp_targetILNS1_3genE0ELNS1_11target_archE4294967295ELNS1_3gpuE0ELNS1_3repE0EEENS1_36merge_oddeven_config_static_selectorELNS0_4arch9wavefront6targetE0EEEvSK_.has_indirect_call, 0
	.section	.AMDGPU.csdata,"",@progbits
; Kernel info:
; codeLenInByte = 0
; TotalNumSgprs: 0
; NumVgprs: 0
; ScratchSize: 0
; MemoryBound: 0
; FloatMode: 240
; IeeeMode: 1
; LDSByteSize: 0 bytes/workgroup (compile time only)
; SGPRBlocks: 0
; VGPRBlocks: 0
; NumSGPRsForWavesPerEU: 1
; NumVGPRsForWavesPerEU: 1
; Occupancy: 16
; WaveLimiterHint : 0
; COMPUTE_PGM_RSRC2:SCRATCH_EN: 0
; COMPUTE_PGM_RSRC2:USER_SGPR: 6
; COMPUTE_PGM_RSRC2:TRAP_HANDLER: 0
; COMPUTE_PGM_RSRC2:TGID_X_EN: 1
; COMPUTE_PGM_RSRC2:TGID_Y_EN: 0
; COMPUTE_PGM_RSRC2:TGID_Z_EN: 0
; COMPUTE_PGM_RSRC2:TIDIG_COMP_CNT: 0
	.section	.text._ZN7rocprim17ROCPRIM_400000_NS6detail17trampoline_kernelINS0_14default_configENS1_38merge_sort_block_merge_config_selectorIyNS0_10empty_typeEEEZZNS1_27merge_sort_block_merge_implIS3_N6thrust23THRUST_200600_302600_NS6detail15normal_iteratorINS9_10device_ptrIyEEEEPS5_m11less_div_10IyEEE10hipError_tT0_T1_T2_jT3_P12ihipStream_tbPNSt15iterator_traitsISJ_E10value_typeEPNSP_ISK_E10value_typeEPSL_NS1_7vsmem_tEENKUlT_SJ_SK_SL_E_clIPySE_SF_SF_EESI_SY_SJ_SK_SL_EUlSY_E1_NS1_11comp_targetILNS1_3genE10ELNS1_11target_archE1201ELNS1_3gpuE5ELNS1_3repE0EEENS1_36merge_oddeven_config_static_selectorELNS0_4arch9wavefront6targetE0EEEvSK_,"axG",@progbits,_ZN7rocprim17ROCPRIM_400000_NS6detail17trampoline_kernelINS0_14default_configENS1_38merge_sort_block_merge_config_selectorIyNS0_10empty_typeEEEZZNS1_27merge_sort_block_merge_implIS3_N6thrust23THRUST_200600_302600_NS6detail15normal_iteratorINS9_10device_ptrIyEEEEPS5_m11less_div_10IyEEE10hipError_tT0_T1_T2_jT3_P12ihipStream_tbPNSt15iterator_traitsISJ_E10value_typeEPNSP_ISK_E10value_typeEPSL_NS1_7vsmem_tEENKUlT_SJ_SK_SL_E_clIPySE_SF_SF_EESI_SY_SJ_SK_SL_EUlSY_E1_NS1_11comp_targetILNS1_3genE10ELNS1_11target_archE1201ELNS1_3gpuE5ELNS1_3repE0EEENS1_36merge_oddeven_config_static_selectorELNS0_4arch9wavefront6targetE0EEEvSK_,comdat
	.protected	_ZN7rocprim17ROCPRIM_400000_NS6detail17trampoline_kernelINS0_14default_configENS1_38merge_sort_block_merge_config_selectorIyNS0_10empty_typeEEEZZNS1_27merge_sort_block_merge_implIS3_N6thrust23THRUST_200600_302600_NS6detail15normal_iteratorINS9_10device_ptrIyEEEEPS5_m11less_div_10IyEEE10hipError_tT0_T1_T2_jT3_P12ihipStream_tbPNSt15iterator_traitsISJ_E10value_typeEPNSP_ISK_E10value_typeEPSL_NS1_7vsmem_tEENKUlT_SJ_SK_SL_E_clIPySE_SF_SF_EESI_SY_SJ_SK_SL_EUlSY_E1_NS1_11comp_targetILNS1_3genE10ELNS1_11target_archE1201ELNS1_3gpuE5ELNS1_3repE0EEENS1_36merge_oddeven_config_static_selectorELNS0_4arch9wavefront6targetE0EEEvSK_ ; -- Begin function _ZN7rocprim17ROCPRIM_400000_NS6detail17trampoline_kernelINS0_14default_configENS1_38merge_sort_block_merge_config_selectorIyNS0_10empty_typeEEEZZNS1_27merge_sort_block_merge_implIS3_N6thrust23THRUST_200600_302600_NS6detail15normal_iteratorINS9_10device_ptrIyEEEEPS5_m11less_div_10IyEEE10hipError_tT0_T1_T2_jT3_P12ihipStream_tbPNSt15iterator_traitsISJ_E10value_typeEPNSP_ISK_E10value_typeEPSL_NS1_7vsmem_tEENKUlT_SJ_SK_SL_E_clIPySE_SF_SF_EESI_SY_SJ_SK_SL_EUlSY_E1_NS1_11comp_targetILNS1_3genE10ELNS1_11target_archE1201ELNS1_3gpuE5ELNS1_3repE0EEENS1_36merge_oddeven_config_static_selectorELNS0_4arch9wavefront6targetE0EEEvSK_
	.globl	_ZN7rocprim17ROCPRIM_400000_NS6detail17trampoline_kernelINS0_14default_configENS1_38merge_sort_block_merge_config_selectorIyNS0_10empty_typeEEEZZNS1_27merge_sort_block_merge_implIS3_N6thrust23THRUST_200600_302600_NS6detail15normal_iteratorINS9_10device_ptrIyEEEEPS5_m11less_div_10IyEEE10hipError_tT0_T1_T2_jT3_P12ihipStream_tbPNSt15iterator_traitsISJ_E10value_typeEPNSP_ISK_E10value_typeEPSL_NS1_7vsmem_tEENKUlT_SJ_SK_SL_E_clIPySE_SF_SF_EESI_SY_SJ_SK_SL_EUlSY_E1_NS1_11comp_targetILNS1_3genE10ELNS1_11target_archE1201ELNS1_3gpuE5ELNS1_3repE0EEENS1_36merge_oddeven_config_static_selectorELNS0_4arch9wavefront6targetE0EEEvSK_
	.p2align	8
	.type	_ZN7rocprim17ROCPRIM_400000_NS6detail17trampoline_kernelINS0_14default_configENS1_38merge_sort_block_merge_config_selectorIyNS0_10empty_typeEEEZZNS1_27merge_sort_block_merge_implIS3_N6thrust23THRUST_200600_302600_NS6detail15normal_iteratorINS9_10device_ptrIyEEEEPS5_m11less_div_10IyEEE10hipError_tT0_T1_T2_jT3_P12ihipStream_tbPNSt15iterator_traitsISJ_E10value_typeEPNSP_ISK_E10value_typeEPSL_NS1_7vsmem_tEENKUlT_SJ_SK_SL_E_clIPySE_SF_SF_EESI_SY_SJ_SK_SL_EUlSY_E1_NS1_11comp_targetILNS1_3genE10ELNS1_11target_archE1201ELNS1_3gpuE5ELNS1_3repE0EEENS1_36merge_oddeven_config_static_selectorELNS0_4arch9wavefront6targetE0EEEvSK_,@function
_ZN7rocprim17ROCPRIM_400000_NS6detail17trampoline_kernelINS0_14default_configENS1_38merge_sort_block_merge_config_selectorIyNS0_10empty_typeEEEZZNS1_27merge_sort_block_merge_implIS3_N6thrust23THRUST_200600_302600_NS6detail15normal_iteratorINS9_10device_ptrIyEEEEPS5_m11less_div_10IyEEE10hipError_tT0_T1_T2_jT3_P12ihipStream_tbPNSt15iterator_traitsISJ_E10value_typeEPNSP_ISK_E10value_typeEPSL_NS1_7vsmem_tEENKUlT_SJ_SK_SL_E_clIPySE_SF_SF_EESI_SY_SJ_SK_SL_EUlSY_E1_NS1_11comp_targetILNS1_3genE10ELNS1_11target_archE1201ELNS1_3gpuE5ELNS1_3repE0EEENS1_36merge_oddeven_config_static_selectorELNS0_4arch9wavefront6targetE0EEEvSK_: ; @_ZN7rocprim17ROCPRIM_400000_NS6detail17trampoline_kernelINS0_14default_configENS1_38merge_sort_block_merge_config_selectorIyNS0_10empty_typeEEEZZNS1_27merge_sort_block_merge_implIS3_N6thrust23THRUST_200600_302600_NS6detail15normal_iteratorINS9_10device_ptrIyEEEEPS5_m11less_div_10IyEEE10hipError_tT0_T1_T2_jT3_P12ihipStream_tbPNSt15iterator_traitsISJ_E10value_typeEPNSP_ISK_E10value_typeEPSL_NS1_7vsmem_tEENKUlT_SJ_SK_SL_E_clIPySE_SF_SF_EESI_SY_SJ_SK_SL_EUlSY_E1_NS1_11comp_targetILNS1_3genE10ELNS1_11target_archE1201ELNS1_3gpuE5ELNS1_3repE0EEENS1_36merge_oddeven_config_static_selectorELNS0_4arch9wavefront6targetE0EEEvSK_
; %bb.0:
	.section	.rodata,"a",@progbits
	.p2align	6, 0x0
	.amdhsa_kernel _ZN7rocprim17ROCPRIM_400000_NS6detail17trampoline_kernelINS0_14default_configENS1_38merge_sort_block_merge_config_selectorIyNS0_10empty_typeEEEZZNS1_27merge_sort_block_merge_implIS3_N6thrust23THRUST_200600_302600_NS6detail15normal_iteratorINS9_10device_ptrIyEEEEPS5_m11less_div_10IyEEE10hipError_tT0_T1_T2_jT3_P12ihipStream_tbPNSt15iterator_traitsISJ_E10value_typeEPNSP_ISK_E10value_typeEPSL_NS1_7vsmem_tEENKUlT_SJ_SK_SL_E_clIPySE_SF_SF_EESI_SY_SJ_SK_SL_EUlSY_E1_NS1_11comp_targetILNS1_3genE10ELNS1_11target_archE1201ELNS1_3gpuE5ELNS1_3repE0EEENS1_36merge_oddeven_config_static_selectorELNS0_4arch9wavefront6targetE0EEEvSK_
		.amdhsa_group_segment_fixed_size 0
		.amdhsa_private_segment_fixed_size 0
		.amdhsa_kernarg_size 56
		.amdhsa_user_sgpr_count 6
		.amdhsa_user_sgpr_private_segment_buffer 1
		.amdhsa_user_sgpr_dispatch_ptr 0
		.amdhsa_user_sgpr_queue_ptr 0
		.amdhsa_user_sgpr_kernarg_segment_ptr 1
		.amdhsa_user_sgpr_dispatch_id 0
		.amdhsa_user_sgpr_flat_scratch_init 0
		.amdhsa_user_sgpr_private_segment_size 0
		.amdhsa_wavefront_size32 1
		.amdhsa_uses_dynamic_stack 0
		.amdhsa_system_sgpr_private_segment_wavefront_offset 0
		.amdhsa_system_sgpr_workgroup_id_x 1
		.amdhsa_system_sgpr_workgroup_id_y 0
		.amdhsa_system_sgpr_workgroup_id_z 0
		.amdhsa_system_sgpr_workgroup_info 0
		.amdhsa_system_vgpr_workitem_id 0
		.amdhsa_next_free_vgpr 1
		.amdhsa_next_free_sgpr 1
		.amdhsa_reserve_vcc 0
		.amdhsa_reserve_flat_scratch 0
		.amdhsa_float_round_mode_32 0
		.amdhsa_float_round_mode_16_64 0
		.amdhsa_float_denorm_mode_32 3
		.amdhsa_float_denorm_mode_16_64 3
		.amdhsa_dx10_clamp 1
		.amdhsa_ieee_mode 1
		.amdhsa_fp16_overflow 0
		.amdhsa_workgroup_processor_mode 1
		.amdhsa_memory_ordered 1
		.amdhsa_forward_progress 1
		.amdhsa_shared_vgpr_count 0
		.amdhsa_exception_fp_ieee_invalid_op 0
		.amdhsa_exception_fp_denorm_src 0
		.amdhsa_exception_fp_ieee_div_zero 0
		.amdhsa_exception_fp_ieee_overflow 0
		.amdhsa_exception_fp_ieee_underflow 0
		.amdhsa_exception_fp_ieee_inexact 0
		.amdhsa_exception_int_div_zero 0
	.end_amdhsa_kernel
	.section	.text._ZN7rocprim17ROCPRIM_400000_NS6detail17trampoline_kernelINS0_14default_configENS1_38merge_sort_block_merge_config_selectorIyNS0_10empty_typeEEEZZNS1_27merge_sort_block_merge_implIS3_N6thrust23THRUST_200600_302600_NS6detail15normal_iteratorINS9_10device_ptrIyEEEEPS5_m11less_div_10IyEEE10hipError_tT0_T1_T2_jT3_P12ihipStream_tbPNSt15iterator_traitsISJ_E10value_typeEPNSP_ISK_E10value_typeEPSL_NS1_7vsmem_tEENKUlT_SJ_SK_SL_E_clIPySE_SF_SF_EESI_SY_SJ_SK_SL_EUlSY_E1_NS1_11comp_targetILNS1_3genE10ELNS1_11target_archE1201ELNS1_3gpuE5ELNS1_3repE0EEENS1_36merge_oddeven_config_static_selectorELNS0_4arch9wavefront6targetE0EEEvSK_,"axG",@progbits,_ZN7rocprim17ROCPRIM_400000_NS6detail17trampoline_kernelINS0_14default_configENS1_38merge_sort_block_merge_config_selectorIyNS0_10empty_typeEEEZZNS1_27merge_sort_block_merge_implIS3_N6thrust23THRUST_200600_302600_NS6detail15normal_iteratorINS9_10device_ptrIyEEEEPS5_m11less_div_10IyEEE10hipError_tT0_T1_T2_jT3_P12ihipStream_tbPNSt15iterator_traitsISJ_E10value_typeEPNSP_ISK_E10value_typeEPSL_NS1_7vsmem_tEENKUlT_SJ_SK_SL_E_clIPySE_SF_SF_EESI_SY_SJ_SK_SL_EUlSY_E1_NS1_11comp_targetILNS1_3genE10ELNS1_11target_archE1201ELNS1_3gpuE5ELNS1_3repE0EEENS1_36merge_oddeven_config_static_selectorELNS0_4arch9wavefront6targetE0EEEvSK_,comdat
.Lfunc_end41:
	.size	_ZN7rocprim17ROCPRIM_400000_NS6detail17trampoline_kernelINS0_14default_configENS1_38merge_sort_block_merge_config_selectorIyNS0_10empty_typeEEEZZNS1_27merge_sort_block_merge_implIS3_N6thrust23THRUST_200600_302600_NS6detail15normal_iteratorINS9_10device_ptrIyEEEEPS5_m11less_div_10IyEEE10hipError_tT0_T1_T2_jT3_P12ihipStream_tbPNSt15iterator_traitsISJ_E10value_typeEPNSP_ISK_E10value_typeEPSL_NS1_7vsmem_tEENKUlT_SJ_SK_SL_E_clIPySE_SF_SF_EESI_SY_SJ_SK_SL_EUlSY_E1_NS1_11comp_targetILNS1_3genE10ELNS1_11target_archE1201ELNS1_3gpuE5ELNS1_3repE0EEENS1_36merge_oddeven_config_static_selectorELNS0_4arch9wavefront6targetE0EEEvSK_, .Lfunc_end41-_ZN7rocprim17ROCPRIM_400000_NS6detail17trampoline_kernelINS0_14default_configENS1_38merge_sort_block_merge_config_selectorIyNS0_10empty_typeEEEZZNS1_27merge_sort_block_merge_implIS3_N6thrust23THRUST_200600_302600_NS6detail15normal_iteratorINS9_10device_ptrIyEEEEPS5_m11less_div_10IyEEE10hipError_tT0_T1_T2_jT3_P12ihipStream_tbPNSt15iterator_traitsISJ_E10value_typeEPNSP_ISK_E10value_typeEPSL_NS1_7vsmem_tEENKUlT_SJ_SK_SL_E_clIPySE_SF_SF_EESI_SY_SJ_SK_SL_EUlSY_E1_NS1_11comp_targetILNS1_3genE10ELNS1_11target_archE1201ELNS1_3gpuE5ELNS1_3repE0EEENS1_36merge_oddeven_config_static_selectorELNS0_4arch9wavefront6targetE0EEEvSK_
                                        ; -- End function
	.set _ZN7rocprim17ROCPRIM_400000_NS6detail17trampoline_kernelINS0_14default_configENS1_38merge_sort_block_merge_config_selectorIyNS0_10empty_typeEEEZZNS1_27merge_sort_block_merge_implIS3_N6thrust23THRUST_200600_302600_NS6detail15normal_iteratorINS9_10device_ptrIyEEEEPS5_m11less_div_10IyEEE10hipError_tT0_T1_T2_jT3_P12ihipStream_tbPNSt15iterator_traitsISJ_E10value_typeEPNSP_ISK_E10value_typeEPSL_NS1_7vsmem_tEENKUlT_SJ_SK_SL_E_clIPySE_SF_SF_EESI_SY_SJ_SK_SL_EUlSY_E1_NS1_11comp_targetILNS1_3genE10ELNS1_11target_archE1201ELNS1_3gpuE5ELNS1_3repE0EEENS1_36merge_oddeven_config_static_selectorELNS0_4arch9wavefront6targetE0EEEvSK_.num_vgpr, 0
	.set _ZN7rocprim17ROCPRIM_400000_NS6detail17trampoline_kernelINS0_14default_configENS1_38merge_sort_block_merge_config_selectorIyNS0_10empty_typeEEEZZNS1_27merge_sort_block_merge_implIS3_N6thrust23THRUST_200600_302600_NS6detail15normal_iteratorINS9_10device_ptrIyEEEEPS5_m11less_div_10IyEEE10hipError_tT0_T1_T2_jT3_P12ihipStream_tbPNSt15iterator_traitsISJ_E10value_typeEPNSP_ISK_E10value_typeEPSL_NS1_7vsmem_tEENKUlT_SJ_SK_SL_E_clIPySE_SF_SF_EESI_SY_SJ_SK_SL_EUlSY_E1_NS1_11comp_targetILNS1_3genE10ELNS1_11target_archE1201ELNS1_3gpuE5ELNS1_3repE0EEENS1_36merge_oddeven_config_static_selectorELNS0_4arch9wavefront6targetE0EEEvSK_.num_agpr, 0
	.set _ZN7rocprim17ROCPRIM_400000_NS6detail17trampoline_kernelINS0_14default_configENS1_38merge_sort_block_merge_config_selectorIyNS0_10empty_typeEEEZZNS1_27merge_sort_block_merge_implIS3_N6thrust23THRUST_200600_302600_NS6detail15normal_iteratorINS9_10device_ptrIyEEEEPS5_m11less_div_10IyEEE10hipError_tT0_T1_T2_jT3_P12ihipStream_tbPNSt15iterator_traitsISJ_E10value_typeEPNSP_ISK_E10value_typeEPSL_NS1_7vsmem_tEENKUlT_SJ_SK_SL_E_clIPySE_SF_SF_EESI_SY_SJ_SK_SL_EUlSY_E1_NS1_11comp_targetILNS1_3genE10ELNS1_11target_archE1201ELNS1_3gpuE5ELNS1_3repE0EEENS1_36merge_oddeven_config_static_selectorELNS0_4arch9wavefront6targetE0EEEvSK_.numbered_sgpr, 0
	.set _ZN7rocprim17ROCPRIM_400000_NS6detail17trampoline_kernelINS0_14default_configENS1_38merge_sort_block_merge_config_selectorIyNS0_10empty_typeEEEZZNS1_27merge_sort_block_merge_implIS3_N6thrust23THRUST_200600_302600_NS6detail15normal_iteratorINS9_10device_ptrIyEEEEPS5_m11less_div_10IyEEE10hipError_tT0_T1_T2_jT3_P12ihipStream_tbPNSt15iterator_traitsISJ_E10value_typeEPNSP_ISK_E10value_typeEPSL_NS1_7vsmem_tEENKUlT_SJ_SK_SL_E_clIPySE_SF_SF_EESI_SY_SJ_SK_SL_EUlSY_E1_NS1_11comp_targetILNS1_3genE10ELNS1_11target_archE1201ELNS1_3gpuE5ELNS1_3repE0EEENS1_36merge_oddeven_config_static_selectorELNS0_4arch9wavefront6targetE0EEEvSK_.num_named_barrier, 0
	.set _ZN7rocprim17ROCPRIM_400000_NS6detail17trampoline_kernelINS0_14default_configENS1_38merge_sort_block_merge_config_selectorIyNS0_10empty_typeEEEZZNS1_27merge_sort_block_merge_implIS3_N6thrust23THRUST_200600_302600_NS6detail15normal_iteratorINS9_10device_ptrIyEEEEPS5_m11less_div_10IyEEE10hipError_tT0_T1_T2_jT3_P12ihipStream_tbPNSt15iterator_traitsISJ_E10value_typeEPNSP_ISK_E10value_typeEPSL_NS1_7vsmem_tEENKUlT_SJ_SK_SL_E_clIPySE_SF_SF_EESI_SY_SJ_SK_SL_EUlSY_E1_NS1_11comp_targetILNS1_3genE10ELNS1_11target_archE1201ELNS1_3gpuE5ELNS1_3repE0EEENS1_36merge_oddeven_config_static_selectorELNS0_4arch9wavefront6targetE0EEEvSK_.private_seg_size, 0
	.set _ZN7rocprim17ROCPRIM_400000_NS6detail17trampoline_kernelINS0_14default_configENS1_38merge_sort_block_merge_config_selectorIyNS0_10empty_typeEEEZZNS1_27merge_sort_block_merge_implIS3_N6thrust23THRUST_200600_302600_NS6detail15normal_iteratorINS9_10device_ptrIyEEEEPS5_m11less_div_10IyEEE10hipError_tT0_T1_T2_jT3_P12ihipStream_tbPNSt15iterator_traitsISJ_E10value_typeEPNSP_ISK_E10value_typeEPSL_NS1_7vsmem_tEENKUlT_SJ_SK_SL_E_clIPySE_SF_SF_EESI_SY_SJ_SK_SL_EUlSY_E1_NS1_11comp_targetILNS1_3genE10ELNS1_11target_archE1201ELNS1_3gpuE5ELNS1_3repE0EEENS1_36merge_oddeven_config_static_selectorELNS0_4arch9wavefront6targetE0EEEvSK_.uses_vcc, 0
	.set _ZN7rocprim17ROCPRIM_400000_NS6detail17trampoline_kernelINS0_14default_configENS1_38merge_sort_block_merge_config_selectorIyNS0_10empty_typeEEEZZNS1_27merge_sort_block_merge_implIS3_N6thrust23THRUST_200600_302600_NS6detail15normal_iteratorINS9_10device_ptrIyEEEEPS5_m11less_div_10IyEEE10hipError_tT0_T1_T2_jT3_P12ihipStream_tbPNSt15iterator_traitsISJ_E10value_typeEPNSP_ISK_E10value_typeEPSL_NS1_7vsmem_tEENKUlT_SJ_SK_SL_E_clIPySE_SF_SF_EESI_SY_SJ_SK_SL_EUlSY_E1_NS1_11comp_targetILNS1_3genE10ELNS1_11target_archE1201ELNS1_3gpuE5ELNS1_3repE0EEENS1_36merge_oddeven_config_static_selectorELNS0_4arch9wavefront6targetE0EEEvSK_.uses_flat_scratch, 0
	.set _ZN7rocprim17ROCPRIM_400000_NS6detail17trampoline_kernelINS0_14default_configENS1_38merge_sort_block_merge_config_selectorIyNS0_10empty_typeEEEZZNS1_27merge_sort_block_merge_implIS3_N6thrust23THRUST_200600_302600_NS6detail15normal_iteratorINS9_10device_ptrIyEEEEPS5_m11less_div_10IyEEE10hipError_tT0_T1_T2_jT3_P12ihipStream_tbPNSt15iterator_traitsISJ_E10value_typeEPNSP_ISK_E10value_typeEPSL_NS1_7vsmem_tEENKUlT_SJ_SK_SL_E_clIPySE_SF_SF_EESI_SY_SJ_SK_SL_EUlSY_E1_NS1_11comp_targetILNS1_3genE10ELNS1_11target_archE1201ELNS1_3gpuE5ELNS1_3repE0EEENS1_36merge_oddeven_config_static_selectorELNS0_4arch9wavefront6targetE0EEEvSK_.has_dyn_sized_stack, 0
	.set _ZN7rocprim17ROCPRIM_400000_NS6detail17trampoline_kernelINS0_14default_configENS1_38merge_sort_block_merge_config_selectorIyNS0_10empty_typeEEEZZNS1_27merge_sort_block_merge_implIS3_N6thrust23THRUST_200600_302600_NS6detail15normal_iteratorINS9_10device_ptrIyEEEEPS5_m11less_div_10IyEEE10hipError_tT0_T1_T2_jT3_P12ihipStream_tbPNSt15iterator_traitsISJ_E10value_typeEPNSP_ISK_E10value_typeEPSL_NS1_7vsmem_tEENKUlT_SJ_SK_SL_E_clIPySE_SF_SF_EESI_SY_SJ_SK_SL_EUlSY_E1_NS1_11comp_targetILNS1_3genE10ELNS1_11target_archE1201ELNS1_3gpuE5ELNS1_3repE0EEENS1_36merge_oddeven_config_static_selectorELNS0_4arch9wavefront6targetE0EEEvSK_.has_recursion, 0
	.set _ZN7rocprim17ROCPRIM_400000_NS6detail17trampoline_kernelINS0_14default_configENS1_38merge_sort_block_merge_config_selectorIyNS0_10empty_typeEEEZZNS1_27merge_sort_block_merge_implIS3_N6thrust23THRUST_200600_302600_NS6detail15normal_iteratorINS9_10device_ptrIyEEEEPS5_m11less_div_10IyEEE10hipError_tT0_T1_T2_jT3_P12ihipStream_tbPNSt15iterator_traitsISJ_E10value_typeEPNSP_ISK_E10value_typeEPSL_NS1_7vsmem_tEENKUlT_SJ_SK_SL_E_clIPySE_SF_SF_EESI_SY_SJ_SK_SL_EUlSY_E1_NS1_11comp_targetILNS1_3genE10ELNS1_11target_archE1201ELNS1_3gpuE5ELNS1_3repE0EEENS1_36merge_oddeven_config_static_selectorELNS0_4arch9wavefront6targetE0EEEvSK_.has_indirect_call, 0
	.section	.AMDGPU.csdata,"",@progbits
; Kernel info:
; codeLenInByte = 0
; TotalNumSgprs: 0
; NumVgprs: 0
; ScratchSize: 0
; MemoryBound: 0
; FloatMode: 240
; IeeeMode: 1
; LDSByteSize: 0 bytes/workgroup (compile time only)
; SGPRBlocks: 0
; VGPRBlocks: 0
; NumSGPRsForWavesPerEU: 1
; NumVGPRsForWavesPerEU: 1
; Occupancy: 16
; WaveLimiterHint : 0
; COMPUTE_PGM_RSRC2:SCRATCH_EN: 0
; COMPUTE_PGM_RSRC2:USER_SGPR: 6
; COMPUTE_PGM_RSRC2:TRAP_HANDLER: 0
; COMPUTE_PGM_RSRC2:TGID_X_EN: 1
; COMPUTE_PGM_RSRC2:TGID_Y_EN: 0
; COMPUTE_PGM_RSRC2:TGID_Z_EN: 0
; COMPUTE_PGM_RSRC2:TIDIG_COMP_CNT: 0
	.section	.text._ZN7rocprim17ROCPRIM_400000_NS6detail17trampoline_kernelINS0_14default_configENS1_38merge_sort_block_merge_config_selectorIyNS0_10empty_typeEEEZZNS1_27merge_sort_block_merge_implIS3_N6thrust23THRUST_200600_302600_NS6detail15normal_iteratorINS9_10device_ptrIyEEEEPS5_m11less_div_10IyEEE10hipError_tT0_T1_T2_jT3_P12ihipStream_tbPNSt15iterator_traitsISJ_E10value_typeEPNSP_ISK_E10value_typeEPSL_NS1_7vsmem_tEENKUlT_SJ_SK_SL_E_clIPySE_SF_SF_EESI_SY_SJ_SK_SL_EUlSY_E1_NS1_11comp_targetILNS1_3genE5ELNS1_11target_archE942ELNS1_3gpuE9ELNS1_3repE0EEENS1_36merge_oddeven_config_static_selectorELNS0_4arch9wavefront6targetE0EEEvSK_,"axG",@progbits,_ZN7rocprim17ROCPRIM_400000_NS6detail17trampoline_kernelINS0_14default_configENS1_38merge_sort_block_merge_config_selectorIyNS0_10empty_typeEEEZZNS1_27merge_sort_block_merge_implIS3_N6thrust23THRUST_200600_302600_NS6detail15normal_iteratorINS9_10device_ptrIyEEEEPS5_m11less_div_10IyEEE10hipError_tT0_T1_T2_jT3_P12ihipStream_tbPNSt15iterator_traitsISJ_E10value_typeEPNSP_ISK_E10value_typeEPSL_NS1_7vsmem_tEENKUlT_SJ_SK_SL_E_clIPySE_SF_SF_EESI_SY_SJ_SK_SL_EUlSY_E1_NS1_11comp_targetILNS1_3genE5ELNS1_11target_archE942ELNS1_3gpuE9ELNS1_3repE0EEENS1_36merge_oddeven_config_static_selectorELNS0_4arch9wavefront6targetE0EEEvSK_,comdat
	.protected	_ZN7rocprim17ROCPRIM_400000_NS6detail17trampoline_kernelINS0_14default_configENS1_38merge_sort_block_merge_config_selectorIyNS0_10empty_typeEEEZZNS1_27merge_sort_block_merge_implIS3_N6thrust23THRUST_200600_302600_NS6detail15normal_iteratorINS9_10device_ptrIyEEEEPS5_m11less_div_10IyEEE10hipError_tT0_T1_T2_jT3_P12ihipStream_tbPNSt15iterator_traitsISJ_E10value_typeEPNSP_ISK_E10value_typeEPSL_NS1_7vsmem_tEENKUlT_SJ_SK_SL_E_clIPySE_SF_SF_EESI_SY_SJ_SK_SL_EUlSY_E1_NS1_11comp_targetILNS1_3genE5ELNS1_11target_archE942ELNS1_3gpuE9ELNS1_3repE0EEENS1_36merge_oddeven_config_static_selectorELNS0_4arch9wavefront6targetE0EEEvSK_ ; -- Begin function _ZN7rocprim17ROCPRIM_400000_NS6detail17trampoline_kernelINS0_14default_configENS1_38merge_sort_block_merge_config_selectorIyNS0_10empty_typeEEEZZNS1_27merge_sort_block_merge_implIS3_N6thrust23THRUST_200600_302600_NS6detail15normal_iteratorINS9_10device_ptrIyEEEEPS5_m11less_div_10IyEEE10hipError_tT0_T1_T2_jT3_P12ihipStream_tbPNSt15iterator_traitsISJ_E10value_typeEPNSP_ISK_E10value_typeEPSL_NS1_7vsmem_tEENKUlT_SJ_SK_SL_E_clIPySE_SF_SF_EESI_SY_SJ_SK_SL_EUlSY_E1_NS1_11comp_targetILNS1_3genE5ELNS1_11target_archE942ELNS1_3gpuE9ELNS1_3repE0EEENS1_36merge_oddeven_config_static_selectorELNS0_4arch9wavefront6targetE0EEEvSK_
	.globl	_ZN7rocprim17ROCPRIM_400000_NS6detail17trampoline_kernelINS0_14default_configENS1_38merge_sort_block_merge_config_selectorIyNS0_10empty_typeEEEZZNS1_27merge_sort_block_merge_implIS3_N6thrust23THRUST_200600_302600_NS6detail15normal_iteratorINS9_10device_ptrIyEEEEPS5_m11less_div_10IyEEE10hipError_tT0_T1_T2_jT3_P12ihipStream_tbPNSt15iterator_traitsISJ_E10value_typeEPNSP_ISK_E10value_typeEPSL_NS1_7vsmem_tEENKUlT_SJ_SK_SL_E_clIPySE_SF_SF_EESI_SY_SJ_SK_SL_EUlSY_E1_NS1_11comp_targetILNS1_3genE5ELNS1_11target_archE942ELNS1_3gpuE9ELNS1_3repE0EEENS1_36merge_oddeven_config_static_selectorELNS0_4arch9wavefront6targetE0EEEvSK_
	.p2align	8
	.type	_ZN7rocprim17ROCPRIM_400000_NS6detail17trampoline_kernelINS0_14default_configENS1_38merge_sort_block_merge_config_selectorIyNS0_10empty_typeEEEZZNS1_27merge_sort_block_merge_implIS3_N6thrust23THRUST_200600_302600_NS6detail15normal_iteratorINS9_10device_ptrIyEEEEPS5_m11less_div_10IyEEE10hipError_tT0_T1_T2_jT3_P12ihipStream_tbPNSt15iterator_traitsISJ_E10value_typeEPNSP_ISK_E10value_typeEPSL_NS1_7vsmem_tEENKUlT_SJ_SK_SL_E_clIPySE_SF_SF_EESI_SY_SJ_SK_SL_EUlSY_E1_NS1_11comp_targetILNS1_3genE5ELNS1_11target_archE942ELNS1_3gpuE9ELNS1_3repE0EEENS1_36merge_oddeven_config_static_selectorELNS0_4arch9wavefront6targetE0EEEvSK_,@function
_ZN7rocprim17ROCPRIM_400000_NS6detail17trampoline_kernelINS0_14default_configENS1_38merge_sort_block_merge_config_selectorIyNS0_10empty_typeEEEZZNS1_27merge_sort_block_merge_implIS3_N6thrust23THRUST_200600_302600_NS6detail15normal_iteratorINS9_10device_ptrIyEEEEPS5_m11less_div_10IyEEE10hipError_tT0_T1_T2_jT3_P12ihipStream_tbPNSt15iterator_traitsISJ_E10value_typeEPNSP_ISK_E10value_typeEPSL_NS1_7vsmem_tEENKUlT_SJ_SK_SL_E_clIPySE_SF_SF_EESI_SY_SJ_SK_SL_EUlSY_E1_NS1_11comp_targetILNS1_3genE5ELNS1_11target_archE942ELNS1_3gpuE9ELNS1_3repE0EEENS1_36merge_oddeven_config_static_selectorELNS0_4arch9wavefront6targetE0EEEvSK_: ; @_ZN7rocprim17ROCPRIM_400000_NS6detail17trampoline_kernelINS0_14default_configENS1_38merge_sort_block_merge_config_selectorIyNS0_10empty_typeEEEZZNS1_27merge_sort_block_merge_implIS3_N6thrust23THRUST_200600_302600_NS6detail15normal_iteratorINS9_10device_ptrIyEEEEPS5_m11less_div_10IyEEE10hipError_tT0_T1_T2_jT3_P12ihipStream_tbPNSt15iterator_traitsISJ_E10value_typeEPNSP_ISK_E10value_typeEPSL_NS1_7vsmem_tEENKUlT_SJ_SK_SL_E_clIPySE_SF_SF_EESI_SY_SJ_SK_SL_EUlSY_E1_NS1_11comp_targetILNS1_3genE5ELNS1_11target_archE942ELNS1_3gpuE9ELNS1_3repE0EEENS1_36merge_oddeven_config_static_selectorELNS0_4arch9wavefront6targetE0EEEvSK_
; %bb.0:
	.section	.rodata,"a",@progbits
	.p2align	6, 0x0
	.amdhsa_kernel _ZN7rocprim17ROCPRIM_400000_NS6detail17trampoline_kernelINS0_14default_configENS1_38merge_sort_block_merge_config_selectorIyNS0_10empty_typeEEEZZNS1_27merge_sort_block_merge_implIS3_N6thrust23THRUST_200600_302600_NS6detail15normal_iteratorINS9_10device_ptrIyEEEEPS5_m11less_div_10IyEEE10hipError_tT0_T1_T2_jT3_P12ihipStream_tbPNSt15iterator_traitsISJ_E10value_typeEPNSP_ISK_E10value_typeEPSL_NS1_7vsmem_tEENKUlT_SJ_SK_SL_E_clIPySE_SF_SF_EESI_SY_SJ_SK_SL_EUlSY_E1_NS1_11comp_targetILNS1_3genE5ELNS1_11target_archE942ELNS1_3gpuE9ELNS1_3repE0EEENS1_36merge_oddeven_config_static_selectorELNS0_4arch9wavefront6targetE0EEEvSK_
		.amdhsa_group_segment_fixed_size 0
		.amdhsa_private_segment_fixed_size 0
		.amdhsa_kernarg_size 56
		.amdhsa_user_sgpr_count 6
		.amdhsa_user_sgpr_private_segment_buffer 1
		.amdhsa_user_sgpr_dispatch_ptr 0
		.amdhsa_user_sgpr_queue_ptr 0
		.amdhsa_user_sgpr_kernarg_segment_ptr 1
		.amdhsa_user_sgpr_dispatch_id 0
		.amdhsa_user_sgpr_flat_scratch_init 0
		.amdhsa_user_sgpr_private_segment_size 0
		.amdhsa_wavefront_size32 1
		.amdhsa_uses_dynamic_stack 0
		.amdhsa_system_sgpr_private_segment_wavefront_offset 0
		.amdhsa_system_sgpr_workgroup_id_x 1
		.amdhsa_system_sgpr_workgroup_id_y 0
		.amdhsa_system_sgpr_workgroup_id_z 0
		.amdhsa_system_sgpr_workgroup_info 0
		.amdhsa_system_vgpr_workitem_id 0
		.amdhsa_next_free_vgpr 1
		.amdhsa_next_free_sgpr 1
		.amdhsa_reserve_vcc 0
		.amdhsa_reserve_flat_scratch 0
		.amdhsa_float_round_mode_32 0
		.amdhsa_float_round_mode_16_64 0
		.amdhsa_float_denorm_mode_32 3
		.amdhsa_float_denorm_mode_16_64 3
		.amdhsa_dx10_clamp 1
		.amdhsa_ieee_mode 1
		.amdhsa_fp16_overflow 0
		.amdhsa_workgroup_processor_mode 1
		.amdhsa_memory_ordered 1
		.amdhsa_forward_progress 1
		.amdhsa_shared_vgpr_count 0
		.amdhsa_exception_fp_ieee_invalid_op 0
		.amdhsa_exception_fp_denorm_src 0
		.amdhsa_exception_fp_ieee_div_zero 0
		.amdhsa_exception_fp_ieee_overflow 0
		.amdhsa_exception_fp_ieee_underflow 0
		.amdhsa_exception_fp_ieee_inexact 0
		.amdhsa_exception_int_div_zero 0
	.end_amdhsa_kernel
	.section	.text._ZN7rocprim17ROCPRIM_400000_NS6detail17trampoline_kernelINS0_14default_configENS1_38merge_sort_block_merge_config_selectorIyNS0_10empty_typeEEEZZNS1_27merge_sort_block_merge_implIS3_N6thrust23THRUST_200600_302600_NS6detail15normal_iteratorINS9_10device_ptrIyEEEEPS5_m11less_div_10IyEEE10hipError_tT0_T1_T2_jT3_P12ihipStream_tbPNSt15iterator_traitsISJ_E10value_typeEPNSP_ISK_E10value_typeEPSL_NS1_7vsmem_tEENKUlT_SJ_SK_SL_E_clIPySE_SF_SF_EESI_SY_SJ_SK_SL_EUlSY_E1_NS1_11comp_targetILNS1_3genE5ELNS1_11target_archE942ELNS1_3gpuE9ELNS1_3repE0EEENS1_36merge_oddeven_config_static_selectorELNS0_4arch9wavefront6targetE0EEEvSK_,"axG",@progbits,_ZN7rocprim17ROCPRIM_400000_NS6detail17trampoline_kernelINS0_14default_configENS1_38merge_sort_block_merge_config_selectorIyNS0_10empty_typeEEEZZNS1_27merge_sort_block_merge_implIS3_N6thrust23THRUST_200600_302600_NS6detail15normal_iteratorINS9_10device_ptrIyEEEEPS5_m11less_div_10IyEEE10hipError_tT0_T1_T2_jT3_P12ihipStream_tbPNSt15iterator_traitsISJ_E10value_typeEPNSP_ISK_E10value_typeEPSL_NS1_7vsmem_tEENKUlT_SJ_SK_SL_E_clIPySE_SF_SF_EESI_SY_SJ_SK_SL_EUlSY_E1_NS1_11comp_targetILNS1_3genE5ELNS1_11target_archE942ELNS1_3gpuE9ELNS1_3repE0EEENS1_36merge_oddeven_config_static_selectorELNS0_4arch9wavefront6targetE0EEEvSK_,comdat
.Lfunc_end42:
	.size	_ZN7rocprim17ROCPRIM_400000_NS6detail17trampoline_kernelINS0_14default_configENS1_38merge_sort_block_merge_config_selectorIyNS0_10empty_typeEEEZZNS1_27merge_sort_block_merge_implIS3_N6thrust23THRUST_200600_302600_NS6detail15normal_iteratorINS9_10device_ptrIyEEEEPS5_m11less_div_10IyEEE10hipError_tT0_T1_T2_jT3_P12ihipStream_tbPNSt15iterator_traitsISJ_E10value_typeEPNSP_ISK_E10value_typeEPSL_NS1_7vsmem_tEENKUlT_SJ_SK_SL_E_clIPySE_SF_SF_EESI_SY_SJ_SK_SL_EUlSY_E1_NS1_11comp_targetILNS1_3genE5ELNS1_11target_archE942ELNS1_3gpuE9ELNS1_3repE0EEENS1_36merge_oddeven_config_static_selectorELNS0_4arch9wavefront6targetE0EEEvSK_, .Lfunc_end42-_ZN7rocprim17ROCPRIM_400000_NS6detail17trampoline_kernelINS0_14default_configENS1_38merge_sort_block_merge_config_selectorIyNS0_10empty_typeEEEZZNS1_27merge_sort_block_merge_implIS3_N6thrust23THRUST_200600_302600_NS6detail15normal_iteratorINS9_10device_ptrIyEEEEPS5_m11less_div_10IyEEE10hipError_tT0_T1_T2_jT3_P12ihipStream_tbPNSt15iterator_traitsISJ_E10value_typeEPNSP_ISK_E10value_typeEPSL_NS1_7vsmem_tEENKUlT_SJ_SK_SL_E_clIPySE_SF_SF_EESI_SY_SJ_SK_SL_EUlSY_E1_NS1_11comp_targetILNS1_3genE5ELNS1_11target_archE942ELNS1_3gpuE9ELNS1_3repE0EEENS1_36merge_oddeven_config_static_selectorELNS0_4arch9wavefront6targetE0EEEvSK_
                                        ; -- End function
	.set _ZN7rocprim17ROCPRIM_400000_NS6detail17trampoline_kernelINS0_14default_configENS1_38merge_sort_block_merge_config_selectorIyNS0_10empty_typeEEEZZNS1_27merge_sort_block_merge_implIS3_N6thrust23THRUST_200600_302600_NS6detail15normal_iteratorINS9_10device_ptrIyEEEEPS5_m11less_div_10IyEEE10hipError_tT0_T1_T2_jT3_P12ihipStream_tbPNSt15iterator_traitsISJ_E10value_typeEPNSP_ISK_E10value_typeEPSL_NS1_7vsmem_tEENKUlT_SJ_SK_SL_E_clIPySE_SF_SF_EESI_SY_SJ_SK_SL_EUlSY_E1_NS1_11comp_targetILNS1_3genE5ELNS1_11target_archE942ELNS1_3gpuE9ELNS1_3repE0EEENS1_36merge_oddeven_config_static_selectorELNS0_4arch9wavefront6targetE0EEEvSK_.num_vgpr, 0
	.set _ZN7rocprim17ROCPRIM_400000_NS6detail17trampoline_kernelINS0_14default_configENS1_38merge_sort_block_merge_config_selectorIyNS0_10empty_typeEEEZZNS1_27merge_sort_block_merge_implIS3_N6thrust23THRUST_200600_302600_NS6detail15normal_iteratorINS9_10device_ptrIyEEEEPS5_m11less_div_10IyEEE10hipError_tT0_T1_T2_jT3_P12ihipStream_tbPNSt15iterator_traitsISJ_E10value_typeEPNSP_ISK_E10value_typeEPSL_NS1_7vsmem_tEENKUlT_SJ_SK_SL_E_clIPySE_SF_SF_EESI_SY_SJ_SK_SL_EUlSY_E1_NS1_11comp_targetILNS1_3genE5ELNS1_11target_archE942ELNS1_3gpuE9ELNS1_3repE0EEENS1_36merge_oddeven_config_static_selectorELNS0_4arch9wavefront6targetE0EEEvSK_.num_agpr, 0
	.set _ZN7rocprim17ROCPRIM_400000_NS6detail17trampoline_kernelINS0_14default_configENS1_38merge_sort_block_merge_config_selectorIyNS0_10empty_typeEEEZZNS1_27merge_sort_block_merge_implIS3_N6thrust23THRUST_200600_302600_NS6detail15normal_iteratorINS9_10device_ptrIyEEEEPS5_m11less_div_10IyEEE10hipError_tT0_T1_T2_jT3_P12ihipStream_tbPNSt15iterator_traitsISJ_E10value_typeEPNSP_ISK_E10value_typeEPSL_NS1_7vsmem_tEENKUlT_SJ_SK_SL_E_clIPySE_SF_SF_EESI_SY_SJ_SK_SL_EUlSY_E1_NS1_11comp_targetILNS1_3genE5ELNS1_11target_archE942ELNS1_3gpuE9ELNS1_3repE0EEENS1_36merge_oddeven_config_static_selectorELNS0_4arch9wavefront6targetE0EEEvSK_.numbered_sgpr, 0
	.set _ZN7rocprim17ROCPRIM_400000_NS6detail17trampoline_kernelINS0_14default_configENS1_38merge_sort_block_merge_config_selectorIyNS0_10empty_typeEEEZZNS1_27merge_sort_block_merge_implIS3_N6thrust23THRUST_200600_302600_NS6detail15normal_iteratorINS9_10device_ptrIyEEEEPS5_m11less_div_10IyEEE10hipError_tT0_T1_T2_jT3_P12ihipStream_tbPNSt15iterator_traitsISJ_E10value_typeEPNSP_ISK_E10value_typeEPSL_NS1_7vsmem_tEENKUlT_SJ_SK_SL_E_clIPySE_SF_SF_EESI_SY_SJ_SK_SL_EUlSY_E1_NS1_11comp_targetILNS1_3genE5ELNS1_11target_archE942ELNS1_3gpuE9ELNS1_3repE0EEENS1_36merge_oddeven_config_static_selectorELNS0_4arch9wavefront6targetE0EEEvSK_.num_named_barrier, 0
	.set _ZN7rocprim17ROCPRIM_400000_NS6detail17trampoline_kernelINS0_14default_configENS1_38merge_sort_block_merge_config_selectorIyNS0_10empty_typeEEEZZNS1_27merge_sort_block_merge_implIS3_N6thrust23THRUST_200600_302600_NS6detail15normal_iteratorINS9_10device_ptrIyEEEEPS5_m11less_div_10IyEEE10hipError_tT0_T1_T2_jT3_P12ihipStream_tbPNSt15iterator_traitsISJ_E10value_typeEPNSP_ISK_E10value_typeEPSL_NS1_7vsmem_tEENKUlT_SJ_SK_SL_E_clIPySE_SF_SF_EESI_SY_SJ_SK_SL_EUlSY_E1_NS1_11comp_targetILNS1_3genE5ELNS1_11target_archE942ELNS1_3gpuE9ELNS1_3repE0EEENS1_36merge_oddeven_config_static_selectorELNS0_4arch9wavefront6targetE0EEEvSK_.private_seg_size, 0
	.set _ZN7rocprim17ROCPRIM_400000_NS6detail17trampoline_kernelINS0_14default_configENS1_38merge_sort_block_merge_config_selectorIyNS0_10empty_typeEEEZZNS1_27merge_sort_block_merge_implIS3_N6thrust23THRUST_200600_302600_NS6detail15normal_iteratorINS9_10device_ptrIyEEEEPS5_m11less_div_10IyEEE10hipError_tT0_T1_T2_jT3_P12ihipStream_tbPNSt15iterator_traitsISJ_E10value_typeEPNSP_ISK_E10value_typeEPSL_NS1_7vsmem_tEENKUlT_SJ_SK_SL_E_clIPySE_SF_SF_EESI_SY_SJ_SK_SL_EUlSY_E1_NS1_11comp_targetILNS1_3genE5ELNS1_11target_archE942ELNS1_3gpuE9ELNS1_3repE0EEENS1_36merge_oddeven_config_static_selectorELNS0_4arch9wavefront6targetE0EEEvSK_.uses_vcc, 0
	.set _ZN7rocprim17ROCPRIM_400000_NS6detail17trampoline_kernelINS0_14default_configENS1_38merge_sort_block_merge_config_selectorIyNS0_10empty_typeEEEZZNS1_27merge_sort_block_merge_implIS3_N6thrust23THRUST_200600_302600_NS6detail15normal_iteratorINS9_10device_ptrIyEEEEPS5_m11less_div_10IyEEE10hipError_tT0_T1_T2_jT3_P12ihipStream_tbPNSt15iterator_traitsISJ_E10value_typeEPNSP_ISK_E10value_typeEPSL_NS1_7vsmem_tEENKUlT_SJ_SK_SL_E_clIPySE_SF_SF_EESI_SY_SJ_SK_SL_EUlSY_E1_NS1_11comp_targetILNS1_3genE5ELNS1_11target_archE942ELNS1_3gpuE9ELNS1_3repE0EEENS1_36merge_oddeven_config_static_selectorELNS0_4arch9wavefront6targetE0EEEvSK_.uses_flat_scratch, 0
	.set _ZN7rocprim17ROCPRIM_400000_NS6detail17trampoline_kernelINS0_14default_configENS1_38merge_sort_block_merge_config_selectorIyNS0_10empty_typeEEEZZNS1_27merge_sort_block_merge_implIS3_N6thrust23THRUST_200600_302600_NS6detail15normal_iteratorINS9_10device_ptrIyEEEEPS5_m11less_div_10IyEEE10hipError_tT0_T1_T2_jT3_P12ihipStream_tbPNSt15iterator_traitsISJ_E10value_typeEPNSP_ISK_E10value_typeEPSL_NS1_7vsmem_tEENKUlT_SJ_SK_SL_E_clIPySE_SF_SF_EESI_SY_SJ_SK_SL_EUlSY_E1_NS1_11comp_targetILNS1_3genE5ELNS1_11target_archE942ELNS1_3gpuE9ELNS1_3repE0EEENS1_36merge_oddeven_config_static_selectorELNS0_4arch9wavefront6targetE0EEEvSK_.has_dyn_sized_stack, 0
	.set _ZN7rocprim17ROCPRIM_400000_NS6detail17trampoline_kernelINS0_14default_configENS1_38merge_sort_block_merge_config_selectorIyNS0_10empty_typeEEEZZNS1_27merge_sort_block_merge_implIS3_N6thrust23THRUST_200600_302600_NS6detail15normal_iteratorINS9_10device_ptrIyEEEEPS5_m11less_div_10IyEEE10hipError_tT0_T1_T2_jT3_P12ihipStream_tbPNSt15iterator_traitsISJ_E10value_typeEPNSP_ISK_E10value_typeEPSL_NS1_7vsmem_tEENKUlT_SJ_SK_SL_E_clIPySE_SF_SF_EESI_SY_SJ_SK_SL_EUlSY_E1_NS1_11comp_targetILNS1_3genE5ELNS1_11target_archE942ELNS1_3gpuE9ELNS1_3repE0EEENS1_36merge_oddeven_config_static_selectorELNS0_4arch9wavefront6targetE0EEEvSK_.has_recursion, 0
	.set _ZN7rocprim17ROCPRIM_400000_NS6detail17trampoline_kernelINS0_14default_configENS1_38merge_sort_block_merge_config_selectorIyNS0_10empty_typeEEEZZNS1_27merge_sort_block_merge_implIS3_N6thrust23THRUST_200600_302600_NS6detail15normal_iteratorINS9_10device_ptrIyEEEEPS5_m11less_div_10IyEEE10hipError_tT0_T1_T2_jT3_P12ihipStream_tbPNSt15iterator_traitsISJ_E10value_typeEPNSP_ISK_E10value_typeEPSL_NS1_7vsmem_tEENKUlT_SJ_SK_SL_E_clIPySE_SF_SF_EESI_SY_SJ_SK_SL_EUlSY_E1_NS1_11comp_targetILNS1_3genE5ELNS1_11target_archE942ELNS1_3gpuE9ELNS1_3repE0EEENS1_36merge_oddeven_config_static_selectorELNS0_4arch9wavefront6targetE0EEEvSK_.has_indirect_call, 0
	.section	.AMDGPU.csdata,"",@progbits
; Kernel info:
; codeLenInByte = 0
; TotalNumSgprs: 0
; NumVgprs: 0
; ScratchSize: 0
; MemoryBound: 0
; FloatMode: 240
; IeeeMode: 1
; LDSByteSize: 0 bytes/workgroup (compile time only)
; SGPRBlocks: 0
; VGPRBlocks: 0
; NumSGPRsForWavesPerEU: 1
; NumVGPRsForWavesPerEU: 1
; Occupancy: 16
; WaveLimiterHint : 0
; COMPUTE_PGM_RSRC2:SCRATCH_EN: 0
; COMPUTE_PGM_RSRC2:USER_SGPR: 6
; COMPUTE_PGM_RSRC2:TRAP_HANDLER: 0
; COMPUTE_PGM_RSRC2:TGID_X_EN: 1
; COMPUTE_PGM_RSRC2:TGID_Y_EN: 0
; COMPUTE_PGM_RSRC2:TGID_Z_EN: 0
; COMPUTE_PGM_RSRC2:TIDIG_COMP_CNT: 0
	.section	.text._ZN7rocprim17ROCPRIM_400000_NS6detail17trampoline_kernelINS0_14default_configENS1_38merge_sort_block_merge_config_selectorIyNS0_10empty_typeEEEZZNS1_27merge_sort_block_merge_implIS3_N6thrust23THRUST_200600_302600_NS6detail15normal_iteratorINS9_10device_ptrIyEEEEPS5_m11less_div_10IyEEE10hipError_tT0_T1_T2_jT3_P12ihipStream_tbPNSt15iterator_traitsISJ_E10value_typeEPNSP_ISK_E10value_typeEPSL_NS1_7vsmem_tEENKUlT_SJ_SK_SL_E_clIPySE_SF_SF_EESI_SY_SJ_SK_SL_EUlSY_E1_NS1_11comp_targetILNS1_3genE4ELNS1_11target_archE910ELNS1_3gpuE8ELNS1_3repE0EEENS1_36merge_oddeven_config_static_selectorELNS0_4arch9wavefront6targetE0EEEvSK_,"axG",@progbits,_ZN7rocprim17ROCPRIM_400000_NS6detail17trampoline_kernelINS0_14default_configENS1_38merge_sort_block_merge_config_selectorIyNS0_10empty_typeEEEZZNS1_27merge_sort_block_merge_implIS3_N6thrust23THRUST_200600_302600_NS6detail15normal_iteratorINS9_10device_ptrIyEEEEPS5_m11less_div_10IyEEE10hipError_tT0_T1_T2_jT3_P12ihipStream_tbPNSt15iterator_traitsISJ_E10value_typeEPNSP_ISK_E10value_typeEPSL_NS1_7vsmem_tEENKUlT_SJ_SK_SL_E_clIPySE_SF_SF_EESI_SY_SJ_SK_SL_EUlSY_E1_NS1_11comp_targetILNS1_3genE4ELNS1_11target_archE910ELNS1_3gpuE8ELNS1_3repE0EEENS1_36merge_oddeven_config_static_selectorELNS0_4arch9wavefront6targetE0EEEvSK_,comdat
	.protected	_ZN7rocprim17ROCPRIM_400000_NS6detail17trampoline_kernelINS0_14default_configENS1_38merge_sort_block_merge_config_selectorIyNS0_10empty_typeEEEZZNS1_27merge_sort_block_merge_implIS3_N6thrust23THRUST_200600_302600_NS6detail15normal_iteratorINS9_10device_ptrIyEEEEPS5_m11less_div_10IyEEE10hipError_tT0_T1_T2_jT3_P12ihipStream_tbPNSt15iterator_traitsISJ_E10value_typeEPNSP_ISK_E10value_typeEPSL_NS1_7vsmem_tEENKUlT_SJ_SK_SL_E_clIPySE_SF_SF_EESI_SY_SJ_SK_SL_EUlSY_E1_NS1_11comp_targetILNS1_3genE4ELNS1_11target_archE910ELNS1_3gpuE8ELNS1_3repE0EEENS1_36merge_oddeven_config_static_selectorELNS0_4arch9wavefront6targetE0EEEvSK_ ; -- Begin function _ZN7rocprim17ROCPRIM_400000_NS6detail17trampoline_kernelINS0_14default_configENS1_38merge_sort_block_merge_config_selectorIyNS0_10empty_typeEEEZZNS1_27merge_sort_block_merge_implIS3_N6thrust23THRUST_200600_302600_NS6detail15normal_iteratorINS9_10device_ptrIyEEEEPS5_m11less_div_10IyEEE10hipError_tT0_T1_T2_jT3_P12ihipStream_tbPNSt15iterator_traitsISJ_E10value_typeEPNSP_ISK_E10value_typeEPSL_NS1_7vsmem_tEENKUlT_SJ_SK_SL_E_clIPySE_SF_SF_EESI_SY_SJ_SK_SL_EUlSY_E1_NS1_11comp_targetILNS1_3genE4ELNS1_11target_archE910ELNS1_3gpuE8ELNS1_3repE0EEENS1_36merge_oddeven_config_static_selectorELNS0_4arch9wavefront6targetE0EEEvSK_
	.globl	_ZN7rocprim17ROCPRIM_400000_NS6detail17trampoline_kernelINS0_14default_configENS1_38merge_sort_block_merge_config_selectorIyNS0_10empty_typeEEEZZNS1_27merge_sort_block_merge_implIS3_N6thrust23THRUST_200600_302600_NS6detail15normal_iteratorINS9_10device_ptrIyEEEEPS5_m11less_div_10IyEEE10hipError_tT0_T1_T2_jT3_P12ihipStream_tbPNSt15iterator_traitsISJ_E10value_typeEPNSP_ISK_E10value_typeEPSL_NS1_7vsmem_tEENKUlT_SJ_SK_SL_E_clIPySE_SF_SF_EESI_SY_SJ_SK_SL_EUlSY_E1_NS1_11comp_targetILNS1_3genE4ELNS1_11target_archE910ELNS1_3gpuE8ELNS1_3repE0EEENS1_36merge_oddeven_config_static_selectorELNS0_4arch9wavefront6targetE0EEEvSK_
	.p2align	8
	.type	_ZN7rocprim17ROCPRIM_400000_NS6detail17trampoline_kernelINS0_14default_configENS1_38merge_sort_block_merge_config_selectorIyNS0_10empty_typeEEEZZNS1_27merge_sort_block_merge_implIS3_N6thrust23THRUST_200600_302600_NS6detail15normal_iteratorINS9_10device_ptrIyEEEEPS5_m11less_div_10IyEEE10hipError_tT0_T1_T2_jT3_P12ihipStream_tbPNSt15iterator_traitsISJ_E10value_typeEPNSP_ISK_E10value_typeEPSL_NS1_7vsmem_tEENKUlT_SJ_SK_SL_E_clIPySE_SF_SF_EESI_SY_SJ_SK_SL_EUlSY_E1_NS1_11comp_targetILNS1_3genE4ELNS1_11target_archE910ELNS1_3gpuE8ELNS1_3repE0EEENS1_36merge_oddeven_config_static_selectorELNS0_4arch9wavefront6targetE0EEEvSK_,@function
_ZN7rocprim17ROCPRIM_400000_NS6detail17trampoline_kernelINS0_14default_configENS1_38merge_sort_block_merge_config_selectorIyNS0_10empty_typeEEEZZNS1_27merge_sort_block_merge_implIS3_N6thrust23THRUST_200600_302600_NS6detail15normal_iteratorINS9_10device_ptrIyEEEEPS5_m11less_div_10IyEEE10hipError_tT0_T1_T2_jT3_P12ihipStream_tbPNSt15iterator_traitsISJ_E10value_typeEPNSP_ISK_E10value_typeEPSL_NS1_7vsmem_tEENKUlT_SJ_SK_SL_E_clIPySE_SF_SF_EESI_SY_SJ_SK_SL_EUlSY_E1_NS1_11comp_targetILNS1_3genE4ELNS1_11target_archE910ELNS1_3gpuE8ELNS1_3repE0EEENS1_36merge_oddeven_config_static_selectorELNS0_4arch9wavefront6targetE0EEEvSK_: ; @_ZN7rocprim17ROCPRIM_400000_NS6detail17trampoline_kernelINS0_14default_configENS1_38merge_sort_block_merge_config_selectorIyNS0_10empty_typeEEEZZNS1_27merge_sort_block_merge_implIS3_N6thrust23THRUST_200600_302600_NS6detail15normal_iteratorINS9_10device_ptrIyEEEEPS5_m11less_div_10IyEEE10hipError_tT0_T1_T2_jT3_P12ihipStream_tbPNSt15iterator_traitsISJ_E10value_typeEPNSP_ISK_E10value_typeEPSL_NS1_7vsmem_tEENKUlT_SJ_SK_SL_E_clIPySE_SF_SF_EESI_SY_SJ_SK_SL_EUlSY_E1_NS1_11comp_targetILNS1_3genE4ELNS1_11target_archE910ELNS1_3gpuE8ELNS1_3repE0EEENS1_36merge_oddeven_config_static_selectorELNS0_4arch9wavefront6targetE0EEEvSK_
; %bb.0:
	.section	.rodata,"a",@progbits
	.p2align	6, 0x0
	.amdhsa_kernel _ZN7rocprim17ROCPRIM_400000_NS6detail17trampoline_kernelINS0_14default_configENS1_38merge_sort_block_merge_config_selectorIyNS0_10empty_typeEEEZZNS1_27merge_sort_block_merge_implIS3_N6thrust23THRUST_200600_302600_NS6detail15normal_iteratorINS9_10device_ptrIyEEEEPS5_m11less_div_10IyEEE10hipError_tT0_T1_T2_jT3_P12ihipStream_tbPNSt15iterator_traitsISJ_E10value_typeEPNSP_ISK_E10value_typeEPSL_NS1_7vsmem_tEENKUlT_SJ_SK_SL_E_clIPySE_SF_SF_EESI_SY_SJ_SK_SL_EUlSY_E1_NS1_11comp_targetILNS1_3genE4ELNS1_11target_archE910ELNS1_3gpuE8ELNS1_3repE0EEENS1_36merge_oddeven_config_static_selectorELNS0_4arch9wavefront6targetE0EEEvSK_
		.amdhsa_group_segment_fixed_size 0
		.amdhsa_private_segment_fixed_size 0
		.amdhsa_kernarg_size 56
		.amdhsa_user_sgpr_count 6
		.amdhsa_user_sgpr_private_segment_buffer 1
		.amdhsa_user_sgpr_dispatch_ptr 0
		.amdhsa_user_sgpr_queue_ptr 0
		.amdhsa_user_sgpr_kernarg_segment_ptr 1
		.amdhsa_user_sgpr_dispatch_id 0
		.amdhsa_user_sgpr_flat_scratch_init 0
		.amdhsa_user_sgpr_private_segment_size 0
		.amdhsa_wavefront_size32 1
		.amdhsa_uses_dynamic_stack 0
		.amdhsa_system_sgpr_private_segment_wavefront_offset 0
		.amdhsa_system_sgpr_workgroup_id_x 1
		.amdhsa_system_sgpr_workgroup_id_y 0
		.amdhsa_system_sgpr_workgroup_id_z 0
		.amdhsa_system_sgpr_workgroup_info 0
		.amdhsa_system_vgpr_workitem_id 0
		.amdhsa_next_free_vgpr 1
		.amdhsa_next_free_sgpr 1
		.amdhsa_reserve_vcc 0
		.amdhsa_reserve_flat_scratch 0
		.amdhsa_float_round_mode_32 0
		.amdhsa_float_round_mode_16_64 0
		.amdhsa_float_denorm_mode_32 3
		.amdhsa_float_denorm_mode_16_64 3
		.amdhsa_dx10_clamp 1
		.amdhsa_ieee_mode 1
		.amdhsa_fp16_overflow 0
		.amdhsa_workgroup_processor_mode 1
		.amdhsa_memory_ordered 1
		.amdhsa_forward_progress 1
		.amdhsa_shared_vgpr_count 0
		.amdhsa_exception_fp_ieee_invalid_op 0
		.amdhsa_exception_fp_denorm_src 0
		.amdhsa_exception_fp_ieee_div_zero 0
		.amdhsa_exception_fp_ieee_overflow 0
		.amdhsa_exception_fp_ieee_underflow 0
		.amdhsa_exception_fp_ieee_inexact 0
		.amdhsa_exception_int_div_zero 0
	.end_amdhsa_kernel
	.section	.text._ZN7rocprim17ROCPRIM_400000_NS6detail17trampoline_kernelINS0_14default_configENS1_38merge_sort_block_merge_config_selectorIyNS0_10empty_typeEEEZZNS1_27merge_sort_block_merge_implIS3_N6thrust23THRUST_200600_302600_NS6detail15normal_iteratorINS9_10device_ptrIyEEEEPS5_m11less_div_10IyEEE10hipError_tT0_T1_T2_jT3_P12ihipStream_tbPNSt15iterator_traitsISJ_E10value_typeEPNSP_ISK_E10value_typeEPSL_NS1_7vsmem_tEENKUlT_SJ_SK_SL_E_clIPySE_SF_SF_EESI_SY_SJ_SK_SL_EUlSY_E1_NS1_11comp_targetILNS1_3genE4ELNS1_11target_archE910ELNS1_3gpuE8ELNS1_3repE0EEENS1_36merge_oddeven_config_static_selectorELNS0_4arch9wavefront6targetE0EEEvSK_,"axG",@progbits,_ZN7rocprim17ROCPRIM_400000_NS6detail17trampoline_kernelINS0_14default_configENS1_38merge_sort_block_merge_config_selectorIyNS0_10empty_typeEEEZZNS1_27merge_sort_block_merge_implIS3_N6thrust23THRUST_200600_302600_NS6detail15normal_iteratorINS9_10device_ptrIyEEEEPS5_m11less_div_10IyEEE10hipError_tT0_T1_T2_jT3_P12ihipStream_tbPNSt15iterator_traitsISJ_E10value_typeEPNSP_ISK_E10value_typeEPSL_NS1_7vsmem_tEENKUlT_SJ_SK_SL_E_clIPySE_SF_SF_EESI_SY_SJ_SK_SL_EUlSY_E1_NS1_11comp_targetILNS1_3genE4ELNS1_11target_archE910ELNS1_3gpuE8ELNS1_3repE0EEENS1_36merge_oddeven_config_static_selectorELNS0_4arch9wavefront6targetE0EEEvSK_,comdat
.Lfunc_end43:
	.size	_ZN7rocprim17ROCPRIM_400000_NS6detail17trampoline_kernelINS0_14default_configENS1_38merge_sort_block_merge_config_selectorIyNS0_10empty_typeEEEZZNS1_27merge_sort_block_merge_implIS3_N6thrust23THRUST_200600_302600_NS6detail15normal_iteratorINS9_10device_ptrIyEEEEPS5_m11less_div_10IyEEE10hipError_tT0_T1_T2_jT3_P12ihipStream_tbPNSt15iterator_traitsISJ_E10value_typeEPNSP_ISK_E10value_typeEPSL_NS1_7vsmem_tEENKUlT_SJ_SK_SL_E_clIPySE_SF_SF_EESI_SY_SJ_SK_SL_EUlSY_E1_NS1_11comp_targetILNS1_3genE4ELNS1_11target_archE910ELNS1_3gpuE8ELNS1_3repE0EEENS1_36merge_oddeven_config_static_selectorELNS0_4arch9wavefront6targetE0EEEvSK_, .Lfunc_end43-_ZN7rocprim17ROCPRIM_400000_NS6detail17trampoline_kernelINS0_14default_configENS1_38merge_sort_block_merge_config_selectorIyNS0_10empty_typeEEEZZNS1_27merge_sort_block_merge_implIS3_N6thrust23THRUST_200600_302600_NS6detail15normal_iteratorINS9_10device_ptrIyEEEEPS5_m11less_div_10IyEEE10hipError_tT0_T1_T2_jT3_P12ihipStream_tbPNSt15iterator_traitsISJ_E10value_typeEPNSP_ISK_E10value_typeEPSL_NS1_7vsmem_tEENKUlT_SJ_SK_SL_E_clIPySE_SF_SF_EESI_SY_SJ_SK_SL_EUlSY_E1_NS1_11comp_targetILNS1_3genE4ELNS1_11target_archE910ELNS1_3gpuE8ELNS1_3repE0EEENS1_36merge_oddeven_config_static_selectorELNS0_4arch9wavefront6targetE0EEEvSK_
                                        ; -- End function
	.set _ZN7rocprim17ROCPRIM_400000_NS6detail17trampoline_kernelINS0_14default_configENS1_38merge_sort_block_merge_config_selectorIyNS0_10empty_typeEEEZZNS1_27merge_sort_block_merge_implIS3_N6thrust23THRUST_200600_302600_NS6detail15normal_iteratorINS9_10device_ptrIyEEEEPS5_m11less_div_10IyEEE10hipError_tT0_T1_T2_jT3_P12ihipStream_tbPNSt15iterator_traitsISJ_E10value_typeEPNSP_ISK_E10value_typeEPSL_NS1_7vsmem_tEENKUlT_SJ_SK_SL_E_clIPySE_SF_SF_EESI_SY_SJ_SK_SL_EUlSY_E1_NS1_11comp_targetILNS1_3genE4ELNS1_11target_archE910ELNS1_3gpuE8ELNS1_3repE0EEENS1_36merge_oddeven_config_static_selectorELNS0_4arch9wavefront6targetE0EEEvSK_.num_vgpr, 0
	.set _ZN7rocprim17ROCPRIM_400000_NS6detail17trampoline_kernelINS0_14default_configENS1_38merge_sort_block_merge_config_selectorIyNS0_10empty_typeEEEZZNS1_27merge_sort_block_merge_implIS3_N6thrust23THRUST_200600_302600_NS6detail15normal_iteratorINS9_10device_ptrIyEEEEPS5_m11less_div_10IyEEE10hipError_tT0_T1_T2_jT3_P12ihipStream_tbPNSt15iterator_traitsISJ_E10value_typeEPNSP_ISK_E10value_typeEPSL_NS1_7vsmem_tEENKUlT_SJ_SK_SL_E_clIPySE_SF_SF_EESI_SY_SJ_SK_SL_EUlSY_E1_NS1_11comp_targetILNS1_3genE4ELNS1_11target_archE910ELNS1_3gpuE8ELNS1_3repE0EEENS1_36merge_oddeven_config_static_selectorELNS0_4arch9wavefront6targetE0EEEvSK_.num_agpr, 0
	.set _ZN7rocprim17ROCPRIM_400000_NS6detail17trampoline_kernelINS0_14default_configENS1_38merge_sort_block_merge_config_selectorIyNS0_10empty_typeEEEZZNS1_27merge_sort_block_merge_implIS3_N6thrust23THRUST_200600_302600_NS6detail15normal_iteratorINS9_10device_ptrIyEEEEPS5_m11less_div_10IyEEE10hipError_tT0_T1_T2_jT3_P12ihipStream_tbPNSt15iterator_traitsISJ_E10value_typeEPNSP_ISK_E10value_typeEPSL_NS1_7vsmem_tEENKUlT_SJ_SK_SL_E_clIPySE_SF_SF_EESI_SY_SJ_SK_SL_EUlSY_E1_NS1_11comp_targetILNS1_3genE4ELNS1_11target_archE910ELNS1_3gpuE8ELNS1_3repE0EEENS1_36merge_oddeven_config_static_selectorELNS0_4arch9wavefront6targetE0EEEvSK_.numbered_sgpr, 0
	.set _ZN7rocprim17ROCPRIM_400000_NS6detail17trampoline_kernelINS0_14default_configENS1_38merge_sort_block_merge_config_selectorIyNS0_10empty_typeEEEZZNS1_27merge_sort_block_merge_implIS3_N6thrust23THRUST_200600_302600_NS6detail15normal_iteratorINS9_10device_ptrIyEEEEPS5_m11less_div_10IyEEE10hipError_tT0_T1_T2_jT3_P12ihipStream_tbPNSt15iterator_traitsISJ_E10value_typeEPNSP_ISK_E10value_typeEPSL_NS1_7vsmem_tEENKUlT_SJ_SK_SL_E_clIPySE_SF_SF_EESI_SY_SJ_SK_SL_EUlSY_E1_NS1_11comp_targetILNS1_3genE4ELNS1_11target_archE910ELNS1_3gpuE8ELNS1_3repE0EEENS1_36merge_oddeven_config_static_selectorELNS0_4arch9wavefront6targetE0EEEvSK_.num_named_barrier, 0
	.set _ZN7rocprim17ROCPRIM_400000_NS6detail17trampoline_kernelINS0_14default_configENS1_38merge_sort_block_merge_config_selectorIyNS0_10empty_typeEEEZZNS1_27merge_sort_block_merge_implIS3_N6thrust23THRUST_200600_302600_NS6detail15normal_iteratorINS9_10device_ptrIyEEEEPS5_m11less_div_10IyEEE10hipError_tT0_T1_T2_jT3_P12ihipStream_tbPNSt15iterator_traitsISJ_E10value_typeEPNSP_ISK_E10value_typeEPSL_NS1_7vsmem_tEENKUlT_SJ_SK_SL_E_clIPySE_SF_SF_EESI_SY_SJ_SK_SL_EUlSY_E1_NS1_11comp_targetILNS1_3genE4ELNS1_11target_archE910ELNS1_3gpuE8ELNS1_3repE0EEENS1_36merge_oddeven_config_static_selectorELNS0_4arch9wavefront6targetE0EEEvSK_.private_seg_size, 0
	.set _ZN7rocprim17ROCPRIM_400000_NS6detail17trampoline_kernelINS0_14default_configENS1_38merge_sort_block_merge_config_selectorIyNS0_10empty_typeEEEZZNS1_27merge_sort_block_merge_implIS3_N6thrust23THRUST_200600_302600_NS6detail15normal_iteratorINS9_10device_ptrIyEEEEPS5_m11less_div_10IyEEE10hipError_tT0_T1_T2_jT3_P12ihipStream_tbPNSt15iterator_traitsISJ_E10value_typeEPNSP_ISK_E10value_typeEPSL_NS1_7vsmem_tEENKUlT_SJ_SK_SL_E_clIPySE_SF_SF_EESI_SY_SJ_SK_SL_EUlSY_E1_NS1_11comp_targetILNS1_3genE4ELNS1_11target_archE910ELNS1_3gpuE8ELNS1_3repE0EEENS1_36merge_oddeven_config_static_selectorELNS0_4arch9wavefront6targetE0EEEvSK_.uses_vcc, 0
	.set _ZN7rocprim17ROCPRIM_400000_NS6detail17trampoline_kernelINS0_14default_configENS1_38merge_sort_block_merge_config_selectorIyNS0_10empty_typeEEEZZNS1_27merge_sort_block_merge_implIS3_N6thrust23THRUST_200600_302600_NS6detail15normal_iteratorINS9_10device_ptrIyEEEEPS5_m11less_div_10IyEEE10hipError_tT0_T1_T2_jT3_P12ihipStream_tbPNSt15iterator_traitsISJ_E10value_typeEPNSP_ISK_E10value_typeEPSL_NS1_7vsmem_tEENKUlT_SJ_SK_SL_E_clIPySE_SF_SF_EESI_SY_SJ_SK_SL_EUlSY_E1_NS1_11comp_targetILNS1_3genE4ELNS1_11target_archE910ELNS1_3gpuE8ELNS1_3repE0EEENS1_36merge_oddeven_config_static_selectorELNS0_4arch9wavefront6targetE0EEEvSK_.uses_flat_scratch, 0
	.set _ZN7rocprim17ROCPRIM_400000_NS6detail17trampoline_kernelINS0_14default_configENS1_38merge_sort_block_merge_config_selectorIyNS0_10empty_typeEEEZZNS1_27merge_sort_block_merge_implIS3_N6thrust23THRUST_200600_302600_NS6detail15normal_iteratorINS9_10device_ptrIyEEEEPS5_m11less_div_10IyEEE10hipError_tT0_T1_T2_jT3_P12ihipStream_tbPNSt15iterator_traitsISJ_E10value_typeEPNSP_ISK_E10value_typeEPSL_NS1_7vsmem_tEENKUlT_SJ_SK_SL_E_clIPySE_SF_SF_EESI_SY_SJ_SK_SL_EUlSY_E1_NS1_11comp_targetILNS1_3genE4ELNS1_11target_archE910ELNS1_3gpuE8ELNS1_3repE0EEENS1_36merge_oddeven_config_static_selectorELNS0_4arch9wavefront6targetE0EEEvSK_.has_dyn_sized_stack, 0
	.set _ZN7rocprim17ROCPRIM_400000_NS6detail17trampoline_kernelINS0_14default_configENS1_38merge_sort_block_merge_config_selectorIyNS0_10empty_typeEEEZZNS1_27merge_sort_block_merge_implIS3_N6thrust23THRUST_200600_302600_NS6detail15normal_iteratorINS9_10device_ptrIyEEEEPS5_m11less_div_10IyEEE10hipError_tT0_T1_T2_jT3_P12ihipStream_tbPNSt15iterator_traitsISJ_E10value_typeEPNSP_ISK_E10value_typeEPSL_NS1_7vsmem_tEENKUlT_SJ_SK_SL_E_clIPySE_SF_SF_EESI_SY_SJ_SK_SL_EUlSY_E1_NS1_11comp_targetILNS1_3genE4ELNS1_11target_archE910ELNS1_3gpuE8ELNS1_3repE0EEENS1_36merge_oddeven_config_static_selectorELNS0_4arch9wavefront6targetE0EEEvSK_.has_recursion, 0
	.set _ZN7rocprim17ROCPRIM_400000_NS6detail17trampoline_kernelINS0_14default_configENS1_38merge_sort_block_merge_config_selectorIyNS0_10empty_typeEEEZZNS1_27merge_sort_block_merge_implIS3_N6thrust23THRUST_200600_302600_NS6detail15normal_iteratorINS9_10device_ptrIyEEEEPS5_m11less_div_10IyEEE10hipError_tT0_T1_T2_jT3_P12ihipStream_tbPNSt15iterator_traitsISJ_E10value_typeEPNSP_ISK_E10value_typeEPSL_NS1_7vsmem_tEENKUlT_SJ_SK_SL_E_clIPySE_SF_SF_EESI_SY_SJ_SK_SL_EUlSY_E1_NS1_11comp_targetILNS1_3genE4ELNS1_11target_archE910ELNS1_3gpuE8ELNS1_3repE0EEENS1_36merge_oddeven_config_static_selectorELNS0_4arch9wavefront6targetE0EEEvSK_.has_indirect_call, 0
	.section	.AMDGPU.csdata,"",@progbits
; Kernel info:
; codeLenInByte = 0
; TotalNumSgprs: 0
; NumVgprs: 0
; ScratchSize: 0
; MemoryBound: 0
; FloatMode: 240
; IeeeMode: 1
; LDSByteSize: 0 bytes/workgroup (compile time only)
; SGPRBlocks: 0
; VGPRBlocks: 0
; NumSGPRsForWavesPerEU: 1
; NumVGPRsForWavesPerEU: 1
; Occupancy: 16
; WaveLimiterHint : 0
; COMPUTE_PGM_RSRC2:SCRATCH_EN: 0
; COMPUTE_PGM_RSRC2:USER_SGPR: 6
; COMPUTE_PGM_RSRC2:TRAP_HANDLER: 0
; COMPUTE_PGM_RSRC2:TGID_X_EN: 1
; COMPUTE_PGM_RSRC2:TGID_Y_EN: 0
; COMPUTE_PGM_RSRC2:TGID_Z_EN: 0
; COMPUTE_PGM_RSRC2:TIDIG_COMP_CNT: 0
	.section	.text._ZN7rocprim17ROCPRIM_400000_NS6detail17trampoline_kernelINS0_14default_configENS1_38merge_sort_block_merge_config_selectorIyNS0_10empty_typeEEEZZNS1_27merge_sort_block_merge_implIS3_N6thrust23THRUST_200600_302600_NS6detail15normal_iteratorINS9_10device_ptrIyEEEEPS5_m11less_div_10IyEEE10hipError_tT0_T1_T2_jT3_P12ihipStream_tbPNSt15iterator_traitsISJ_E10value_typeEPNSP_ISK_E10value_typeEPSL_NS1_7vsmem_tEENKUlT_SJ_SK_SL_E_clIPySE_SF_SF_EESI_SY_SJ_SK_SL_EUlSY_E1_NS1_11comp_targetILNS1_3genE3ELNS1_11target_archE908ELNS1_3gpuE7ELNS1_3repE0EEENS1_36merge_oddeven_config_static_selectorELNS0_4arch9wavefront6targetE0EEEvSK_,"axG",@progbits,_ZN7rocprim17ROCPRIM_400000_NS6detail17trampoline_kernelINS0_14default_configENS1_38merge_sort_block_merge_config_selectorIyNS0_10empty_typeEEEZZNS1_27merge_sort_block_merge_implIS3_N6thrust23THRUST_200600_302600_NS6detail15normal_iteratorINS9_10device_ptrIyEEEEPS5_m11less_div_10IyEEE10hipError_tT0_T1_T2_jT3_P12ihipStream_tbPNSt15iterator_traitsISJ_E10value_typeEPNSP_ISK_E10value_typeEPSL_NS1_7vsmem_tEENKUlT_SJ_SK_SL_E_clIPySE_SF_SF_EESI_SY_SJ_SK_SL_EUlSY_E1_NS1_11comp_targetILNS1_3genE3ELNS1_11target_archE908ELNS1_3gpuE7ELNS1_3repE0EEENS1_36merge_oddeven_config_static_selectorELNS0_4arch9wavefront6targetE0EEEvSK_,comdat
	.protected	_ZN7rocprim17ROCPRIM_400000_NS6detail17trampoline_kernelINS0_14default_configENS1_38merge_sort_block_merge_config_selectorIyNS0_10empty_typeEEEZZNS1_27merge_sort_block_merge_implIS3_N6thrust23THRUST_200600_302600_NS6detail15normal_iteratorINS9_10device_ptrIyEEEEPS5_m11less_div_10IyEEE10hipError_tT0_T1_T2_jT3_P12ihipStream_tbPNSt15iterator_traitsISJ_E10value_typeEPNSP_ISK_E10value_typeEPSL_NS1_7vsmem_tEENKUlT_SJ_SK_SL_E_clIPySE_SF_SF_EESI_SY_SJ_SK_SL_EUlSY_E1_NS1_11comp_targetILNS1_3genE3ELNS1_11target_archE908ELNS1_3gpuE7ELNS1_3repE0EEENS1_36merge_oddeven_config_static_selectorELNS0_4arch9wavefront6targetE0EEEvSK_ ; -- Begin function _ZN7rocprim17ROCPRIM_400000_NS6detail17trampoline_kernelINS0_14default_configENS1_38merge_sort_block_merge_config_selectorIyNS0_10empty_typeEEEZZNS1_27merge_sort_block_merge_implIS3_N6thrust23THRUST_200600_302600_NS6detail15normal_iteratorINS9_10device_ptrIyEEEEPS5_m11less_div_10IyEEE10hipError_tT0_T1_T2_jT3_P12ihipStream_tbPNSt15iterator_traitsISJ_E10value_typeEPNSP_ISK_E10value_typeEPSL_NS1_7vsmem_tEENKUlT_SJ_SK_SL_E_clIPySE_SF_SF_EESI_SY_SJ_SK_SL_EUlSY_E1_NS1_11comp_targetILNS1_3genE3ELNS1_11target_archE908ELNS1_3gpuE7ELNS1_3repE0EEENS1_36merge_oddeven_config_static_selectorELNS0_4arch9wavefront6targetE0EEEvSK_
	.globl	_ZN7rocprim17ROCPRIM_400000_NS6detail17trampoline_kernelINS0_14default_configENS1_38merge_sort_block_merge_config_selectorIyNS0_10empty_typeEEEZZNS1_27merge_sort_block_merge_implIS3_N6thrust23THRUST_200600_302600_NS6detail15normal_iteratorINS9_10device_ptrIyEEEEPS5_m11less_div_10IyEEE10hipError_tT0_T1_T2_jT3_P12ihipStream_tbPNSt15iterator_traitsISJ_E10value_typeEPNSP_ISK_E10value_typeEPSL_NS1_7vsmem_tEENKUlT_SJ_SK_SL_E_clIPySE_SF_SF_EESI_SY_SJ_SK_SL_EUlSY_E1_NS1_11comp_targetILNS1_3genE3ELNS1_11target_archE908ELNS1_3gpuE7ELNS1_3repE0EEENS1_36merge_oddeven_config_static_selectorELNS0_4arch9wavefront6targetE0EEEvSK_
	.p2align	8
	.type	_ZN7rocprim17ROCPRIM_400000_NS6detail17trampoline_kernelINS0_14default_configENS1_38merge_sort_block_merge_config_selectorIyNS0_10empty_typeEEEZZNS1_27merge_sort_block_merge_implIS3_N6thrust23THRUST_200600_302600_NS6detail15normal_iteratorINS9_10device_ptrIyEEEEPS5_m11less_div_10IyEEE10hipError_tT0_T1_T2_jT3_P12ihipStream_tbPNSt15iterator_traitsISJ_E10value_typeEPNSP_ISK_E10value_typeEPSL_NS1_7vsmem_tEENKUlT_SJ_SK_SL_E_clIPySE_SF_SF_EESI_SY_SJ_SK_SL_EUlSY_E1_NS1_11comp_targetILNS1_3genE3ELNS1_11target_archE908ELNS1_3gpuE7ELNS1_3repE0EEENS1_36merge_oddeven_config_static_selectorELNS0_4arch9wavefront6targetE0EEEvSK_,@function
_ZN7rocprim17ROCPRIM_400000_NS6detail17trampoline_kernelINS0_14default_configENS1_38merge_sort_block_merge_config_selectorIyNS0_10empty_typeEEEZZNS1_27merge_sort_block_merge_implIS3_N6thrust23THRUST_200600_302600_NS6detail15normal_iteratorINS9_10device_ptrIyEEEEPS5_m11less_div_10IyEEE10hipError_tT0_T1_T2_jT3_P12ihipStream_tbPNSt15iterator_traitsISJ_E10value_typeEPNSP_ISK_E10value_typeEPSL_NS1_7vsmem_tEENKUlT_SJ_SK_SL_E_clIPySE_SF_SF_EESI_SY_SJ_SK_SL_EUlSY_E1_NS1_11comp_targetILNS1_3genE3ELNS1_11target_archE908ELNS1_3gpuE7ELNS1_3repE0EEENS1_36merge_oddeven_config_static_selectorELNS0_4arch9wavefront6targetE0EEEvSK_: ; @_ZN7rocprim17ROCPRIM_400000_NS6detail17trampoline_kernelINS0_14default_configENS1_38merge_sort_block_merge_config_selectorIyNS0_10empty_typeEEEZZNS1_27merge_sort_block_merge_implIS3_N6thrust23THRUST_200600_302600_NS6detail15normal_iteratorINS9_10device_ptrIyEEEEPS5_m11less_div_10IyEEE10hipError_tT0_T1_T2_jT3_P12ihipStream_tbPNSt15iterator_traitsISJ_E10value_typeEPNSP_ISK_E10value_typeEPSL_NS1_7vsmem_tEENKUlT_SJ_SK_SL_E_clIPySE_SF_SF_EESI_SY_SJ_SK_SL_EUlSY_E1_NS1_11comp_targetILNS1_3genE3ELNS1_11target_archE908ELNS1_3gpuE7ELNS1_3repE0EEENS1_36merge_oddeven_config_static_selectorELNS0_4arch9wavefront6targetE0EEEvSK_
; %bb.0:
	.section	.rodata,"a",@progbits
	.p2align	6, 0x0
	.amdhsa_kernel _ZN7rocprim17ROCPRIM_400000_NS6detail17trampoline_kernelINS0_14default_configENS1_38merge_sort_block_merge_config_selectorIyNS0_10empty_typeEEEZZNS1_27merge_sort_block_merge_implIS3_N6thrust23THRUST_200600_302600_NS6detail15normal_iteratorINS9_10device_ptrIyEEEEPS5_m11less_div_10IyEEE10hipError_tT0_T1_T2_jT3_P12ihipStream_tbPNSt15iterator_traitsISJ_E10value_typeEPNSP_ISK_E10value_typeEPSL_NS1_7vsmem_tEENKUlT_SJ_SK_SL_E_clIPySE_SF_SF_EESI_SY_SJ_SK_SL_EUlSY_E1_NS1_11comp_targetILNS1_3genE3ELNS1_11target_archE908ELNS1_3gpuE7ELNS1_3repE0EEENS1_36merge_oddeven_config_static_selectorELNS0_4arch9wavefront6targetE0EEEvSK_
		.amdhsa_group_segment_fixed_size 0
		.amdhsa_private_segment_fixed_size 0
		.amdhsa_kernarg_size 56
		.amdhsa_user_sgpr_count 6
		.amdhsa_user_sgpr_private_segment_buffer 1
		.amdhsa_user_sgpr_dispatch_ptr 0
		.amdhsa_user_sgpr_queue_ptr 0
		.amdhsa_user_sgpr_kernarg_segment_ptr 1
		.amdhsa_user_sgpr_dispatch_id 0
		.amdhsa_user_sgpr_flat_scratch_init 0
		.amdhsa_user_sgpr_private_segment_size 0
		.amdhsa_wavefront_size32 1
		.amdhsa_uses_dynamic_stack 0
		.amdhsa_system_sgpr_private_segment_wavefront_offset 0
		.amdhsa_system_sgpr_workgroup_id_x 1
		.amdhsa_system_sgpr_workgroup_id_y 0
		.amdhsa_system_sgpr_workgroup_id_z 0
		.amdhsa_system_sgpr_workgroup_info 0
		.amdhsa_system_vgpr_workitem_id 0
		.amdhsa_next_free_vgpr 1
		.amdhsa_next_free_sgpr 1
		.amdhsa_reserve_vcc 0
		.amdhsa_reserve_flat_scratch 0
		.amdhsa_float_round_mode_32 0
		.amdhsa_float_round_mode_16_64 0
		.amdhsa_float_denorm_mode_32 3
		.amdhsa_float_denorm_mode_16_64 3
		.amdhsa_dx10_clamp 1
		.amdhsa_ieee_mode 1
		.amdhsa_fp16_overflow 0
		.amdhsa_workgroup_processor_mode 1
		.amdhsa_memory_ordered 1
		.amdhsa_forward_progress 1
		.amdhsa_shared_vgpr_count 0
		.amdhsa_exception_fp_ieee_invalid_op 0
		.amdhsa_exception_fp_denorm_src 0
		.amdhsa_exception_fp_ieee_div_zero 0
		.amdhsa_exception_fp_ieee_overflow 0
		.amdhsa_exception_fp_ieee_underflow 0
		.amdhsa_exception_fp_ieee_inexact 0
		.amdhsa_exception_int_div_zero 0
	.end_amdhsa_kernel
	.section	.text._ZN7rocprim17ROCPRIM_400000_NS6detail17trampoline_kernelINS0_14default_configENS1_38merge_sort_block_merge_config_selectorIyNS0_10empty_typeEEEZZNS1_27merge_sort_block_merge_implIS3_N6thrust23THRUST_200600_302600_NS6detail15normal_iteratorINS9_10device_ptrIyEEEEPS5_m11less_div_10IyEEE10hipError_tT0_T1_T2_jT3_P12ihipStream_tbPNSt15iterator_traitsISJ_E10value_typeEPNSP_ISK_E10value_typeEPSL_NS1_7vsmem_tEENKUlT_SJ_SK_SL_E_clIPySE_SF_SF_EESI_SY_SJ_SK_SL_EUlSY_E1_NS1_11comp_targetILNS1_3genE3ELNS1_11target_archE908ELNS1_3gpuE7ELNS1_3repE0EEENS1_36merge_oddeven_config_static_selectorELNS0_4arch9wavefront6targetE0EEEvSK_,"axG",@progbits,_ZN7rocprim17ROCPRIM_400000_NS6detail17trampoline_kernelINS0_14default_configENS1_38merge_sort_block_merge_config_selectorIyNS0_10empty_typeEEEZZNS1_27merge_sort_block_merge_implIS3_N6thrust23THRUST_200600_302600_NS6detail15normal_iteratorINS9_10device_ptrIyEEEEPS5_m11less_div_10IyEEE10hipError_tT0_T1_T2_jT3_P12ihipStream_tbPNSt15iterator_traitsISJ_E10value_typeEPNSP_ISK_E10value_typeEPSL_NS1_7vsmem_tEENKUlT_SJ_SK_SL_E_clIPySE_SF_SF_EESI_SY_SJ_SK_SL_EUlSY_E1_NS1_11comp_targetILNS1_3genE3ELNS1_11target_archE908ELNS1_3gpuE7ELNS1_3repE0EEENS1_36merge_oddeven_config_static_selectorELNS0_4arch9wavefront6targetE0EEEvSK_,comdat
.Lfunc_end44:
	.size	_ZN7rocprim17ROCPRIM_400000_NS6detail17trampoline_kernelINS0_14default_configENS1_38merge_sort_block_merge_config_selectorIyNS0_10empty_typeEEEZZNS1_27merge_sort_block_merge_implIS3_N6thrust23THRUST_200600_302600_NS6detail15normal_iteratorINS9_10device_ptrIyEEEEPS5_m11less_div_10IyEEE10hipError_tT0_T1_T2_jT3_P12ihipStream_tbPNSt15iterator_traitsISJ_E10value_typeEPNSP_ISK_E10value_typeEPSL_NS1_7vsmem_tEENKUlT_SJ_SK_SL_E_clIPySE_SF_SF_EESI_SY_SJ_SK_SL_EUlSY_E1_NS1_11comp_targetILNS1_3genE3ELNS1_11target_archE908ELNS1_3gpuE7ELNS1_3repE0EEENS1_36merge_oddeven_config_static_selectorELNS0_4arch9wavefront6targetE0EEEvSK_, .Lfunc_end44-_ZN7rocprim17ROCPRIM_400000_NS6detail17trampoline_kernelINS0_14default_configENS1_38merge_sort_block_merge_config_selectorIyNS0_10empty_typeEEEZZNS1_27merge_sort_block_merge_implIS3_N6thrust23THRUST_200600_302600_NS6detail15normal_iteratorINS9_10device_ptrIyEEEEPS5_m11less_div_10IyEEE10hipError_tT0_T1_T2_jT3_P12ihipStream_tbPNSt15iterator_traitsISJ_E10value_typeEPNSP_ISK_E10value_typeEPSL_NS1_7vsmem_tEENKUlT_SJ_SK_SL_E_clIPySE_SF_SF_EESI_SY_SJ_SK_SL_EUlSY_E1_NS1_11comp_targetILNS1_3genE3ELNS1_11target_archE908ELNS1_3gpuE7ELNS1_3repE0EEENS1_36merge_oddeven_config_static_selectorELNS0_4arch9wavefront6targetE0EEEvSK_
                                        ; -- End function
	.set _ZN7rocprim17ROCPRIM_400000_NS6detail17trampoline_kernelINS0_14default_configENS1_38merge_sort_block_merge_config_selectorIyNS0_10empty_typeEEEZZNS1_27merge_sort_block_merge_implIS3_N6thrust23THRUST_200600_302600_NS6detail15normal_iteratorINS9_10device_ptrIyEEEEPS5_m11less_div_10IyEEE10hipError_tT0_T1_T2_jT3_P12ihipStream_tbPNSt15iterator_traitsISJ_E10value_typeEPNSP_ISK_E10value_typeEPSL_NS1_7vsmem_tEENKUlT_SJ_SK_SL_E_clIPySE_SF_SF_EESI_SY_SJ_SK_SL_EUlSY_E1_NS1_11comp_targetILNS1_3genE3ELNS1_11target_archE908ELNS1_3gpuE7ELNS1_3repE0EEENS1_36merge_oddeven_config_static_selectorELNS0_4arch9wavefront6targetE0EEEvSK_.num_vgpr, 0
	.set _ZN7rocprim17ROCPRIM_400000_NS6detail17trampoline_kernelINS0_14default_configENS1_38merge_sort_block_merge_config_selectorIyNS0_10empty_typeEEEZZNS1_27merge_sort_block_merge_implIS3_N6thrust23THRUST_200600_302600_NS6detail15normal_iteratorINS9_10device_ptrIyEEEEPS5_m11less_div_10IyEEE10hipError_tT0_T1_T2_jT3_P12ihipStream_tbPNSt15iterator_traitsISJ_E10value_typeEPNSP_ISK_E10value_typeEPSL_NS1_7vsmem_tEENKUlT_SJ_SK_SL_E_clIPySE_SF_SF_EESI_SY_SJ_SK_SL_EUlSY_E1_NS1_11comp_targetILNS1_3genE3ELNS1_11target_archE908ELNS1_3gpuE7ELNS1_3repE0EEENS1_36merge_oddeven_config_static_selectorELNS0_4arch9wavefront6targetE0EEEvSK_.num_agpr, 0
	.set _ZN7rocprim17ROCPRIM_400000_NS6detail17trampoline_kernelINS0_14default_configENS1_38merge_sort_block_merge_config_selectorIyNS0_10empty_typeEEEZZNS1_27merge_sort_block_merge_implIS3_N6thrust23THRUST_200600_302600_NS6detail15normal_iteratorINS9_10device_ptrIyEEEEPS5_m11less_div_10IyEEE10hipError_tT0_T1_T2_jT3_P12ihipStream_tbPNSt15iterator_traitsISJ_E10value_typeEPNSP_ISK_E10value_typeEPSL_NS1_7vsmem_tEENKUlT_SJ_SK_SL_E_clIPySE_SF_SF_EESI_SY_SJ_SK_SL_EUlSY_E1_NS1_11comp_targetILNS1_3genE3ELNS1_11target_archE908ELNS1_3gpuE7ELNS1_3repE0EEENS1_36merge_oddeven_config_static_selectorELNS0_4arch9wavefront6targetE0EEEvSK_.numbered_sgpr, 0
	.set _ZN7rocprim17ROCPRIM_400000_NS6detail17trampoline_kernelINS0_14default_configENS1_38merge_sort_block_merge_config_selectorIyNS0_10empty_typeEEEZZNS1_27merge_sort_block_merge_implIS3_N6thrust23THRUST_200600_302600_NS6detail15normal_iteratorINS9_10device_ptrIyEEEEPS5_m11less_div_10IyEEE10hipError_tT0_T1_T2_jT3_P12ihipStream_tbPNSt15iterator_traitsISJ_E10value_typeEPNSP_ISK_E10value_typeEPSL_NS1_7vsmem_tEENKUlT_SJ_SK_SL_E_clIPySE_SF_SF_EESI_SY_SJ_SK_SL_EUlSY_E1_NS1_11comp_targetILNS1_3genE3ELNS1_11target_archE908ELNS1_3gpuE7ELNS1_3repE0EEENS1_36merge_oddeven_config_static_selectorELNS0_4arch9wavefront6targetE0EEEvSK_.num_named_barrier, 0
	.set _ZN7rocprim17ROCPRIM_400000_NS6detail17trampoline_kernelINS0_14default_configENS1_38merge_sort_block_merge_config_selectorIyNS0_10empty_typeEEEZZNS1_27merge_sort_block_merge_implIS3_N6thrust23THRUST_200600_302600_NS6detail15normal_iteratorINS9_10device_ptrIyEEEEPS5_m11less_div_10IyEEE10hipError_tT0_T1_T2_jT3_P12ihipStream_tbPNSt15iterator_traitsISJ_E10value_typeEPNSP_ISK_E10value_typeEPSL_NS1_7vsmem_tEENKUlT_SJ_SK_SL_E_clIPySE_SF_SF_EESI_SY_SJ_SK_SL_EUlSY_E1_NS1_11comp_targetILNS1_3genE3ELNS1_11target_archE908ELNS1_3gpuE7ELNS1_3repE0EEENS1_36merge_oddeven_config_static_selectorELNS0_4arch9wavefront6targetE0EEEvSK_.private_seg_size, 0
	.set _ZN7rocprim17ROCPRIM_400000_NS6detail17trampoline_kernelINS0_14default_configENS1_38merge_sort_block_merge_config_selectorIyNS0_10empty_typeEEEZZNS1_27merge_sort_block_merge_implIS3_N6thrust23THRUST_200600_302600_NS6detail15normal_iteratorINS9_10device_ptrIyEEEEPS5_m11less_div_10IyEEE10hipError_tT0_T1_T2_jT3_P12ihipStream_tbPNSt15iterator_traitsISJ_E10value_typeEPNSP_ISK_E10value_typeEPSL_NS1_7vsmem_tEENKUlT_SJ_SK_SL_E_clIPySE_SF_SF_EESI_SY_SJ_SK_SL_EUlSY_E1_NS1_11comp_targetILNS1_3genE3ELNS1_11target_archE908ELNS1_3gpuE7ELNS1_3repE0EEENS1_36merge_oddeven_config_static_selectorELNS0_4arch9wavefront6targetE0EEEvSK_.uses_vcc, 0
	.set _ZN7rocprim17ROCPRIM_400000_NS6detail17trampoline_kernelINS0_14default_configENS1_38merge_sort_block_merge_config_selectorIyNS0_10empty_typeEEEZZNS1_27merge_sort_block_merge_implIS3_N6thrust23THRUST_200600_302600_NS6detail15normal_iteratorINS9_10device_ptrIyEEEEPS5_m11less_div_10IyEEE10hipError_tT0_T1_T2_jT3_P12ihipStream_tbPNSt15iterator_traitsISJ_E10value_typeEPNSP_ISK_E10value_typeEPSL_NS1_7vsmem_tEENKUlT_SJ_SK_SL_E_clIPySE_SF_SF_EESI_SY_SJ_SK_SL_EUlSY_E1_NS1_11comp_targetILNS1_3genE3ELNS1_11target_archE908ELNS1_3gpuE7ELNS1_3repE0EEENS1_36merge_oddeven_config_static_selectorELNS0_4arch9wavefront6targetE0EEEvSK_.uses_flat_scratch, 0
	.set _ZN7rocprim17ROCPRIM_400000_NS6detail17trampoline_kernelINS0_14default_configENS1_38merge_sort_block_merge_config_selectorIyNS0_10empty_typeEEEZZNS1_27merge_sort_block_merge_implIS3_N6thrust23THRUST_200600_302600_NS6detail15normal_iteratorINS9_10device_ptrIyEEEEPS5_m11less_div_10IyEEE10hipError_tT0_T1_T2_jT3_P12ihipStream_tbPNSt15iterator_traitsISJ_E10value_typeEPNSP_ISK_E10value_typeEPSL_NS1_7vsmem_tEENKUlT_SJ_SK_SL_E_clIPySE_SF_SF_EESI_SY_SJ_SK_SL_EUlSY_E1_NS1_11comp_targetILNS1_3genE3ELNS1_11target_archE908ELNS1_3gpuE7ELNS1_3repE0EEENS1_36merge_oddeven_config_static_selectorELNS0_4arch9wavefront6targetE0EEEvSK_.has_dyn_sized_stack, 0
	.set _ZN7rocprim17ROCPRIM_400000_NS6detail17trampoline_kernelINS0_14default_configENS1_38merge_sort_block_merge_config_selectorIyNS0_10empty_typeEEEZZNS1_27merge_sort_block_merge_implIS3_N6thrust23THRUST_200600_302600_NS6detail15normal_iteratorINS9_10device_ptrIyEEEEPS5_m11less_div_10IyEEE10hipError_tT0_T1_T2_jT3_P12ihipStream_tbPNSt15iterator_traitsISJ_E10value_typeEPNSP_ISK_E10value_typeEPSL_NS1_7vsmem_tEENKUlT_SJ_SK_SL_E_clIPySE_SF_SF_EESI_SY_SJ_SK_SL_EUlSY_E1_NS1_11comp_targetILNS1_3genE3ELNS1_11target_archE908ELNS1_3gpuE7ELNS1_3repE0EEENS1_36merge_oddeven_config_static_selectorELNS0_4arch9wavefront6targetE0EEEvSK_.has_recursion, 0
	.set _ZN7rocprim17ROCPRIM_400000_NS6detail17trampoline_kernelINS0_14default_configENS1_38merge_sort_block_merge_config_selectorIyNS0_10empty_typeEEEZZNS1_27merge_sort_block_merge_implIS3_N6thrust23THRUST_200600_302600_NS6detail15normal_iteratorINS9_10device_ptrIyEEEEPS5_m11less_div_10IyEEE10hipError_tT0_T1_T2_jT3_P12ihipStream_tbPNSt15iterator_traitsISJ_E10value_typeEPNSP_ISK_E10value_typeEPSL_NS1_7vsmem_tEENKUlT_SJ_SK_SL_E_clIPySE_SF_SF_EESI_SY_SJ_SK_SL_EUlSY_E1_NS1_11comp_targetILNS1_3genE3ELNS1_11target_archE908ELNS1_3gpuE7ELNS1_3repE0EEENS1_36merge_oddeven_config_static_selectorELNS0_4arch9wavefront6targetE0EEEvSK_.has_indirect_call, 0
	.section	.AMDGPU.csdata,"",@progbits
; Kernel info:
; codeLenInByte = 0
; TotalNumSgprs: 0
; NumVgprs: 0
; ScratchSize: 0
; MemoryBound: 0
; FloatMode: 240
; IeeeMode: 1
; LDSByteSize: 0 bytes/workgroup (compile time only)
; SGPRBlocks: 0
; VGPRBlocks: 0
; NumSGPRsForWavesPerEU: 1
; NumVGPRsForWavesPerEU: 1
; Occupancy: 16
; WaveLimiterHint : 0
; COMPUTE_PGM_RSRC2:SCRATCH_EN: 0
; COMPUTE_PGM_RSRC2:USER_SGPR: 6
; COMPUTE_PGM_RSRC2:TRAP_HANDLER: 0
; COMPUTE_PGM_RSRC2:TGID_X_EN: 1
; COMPUTE_PGM_RSRC2:TGID_Y_EN: 0
; COMPUTE_PGM_RSRC2:TGID_Z_EN: 0
; COMPUTE_PGM_RSRC2:TIDIG_COMP_CNT: 0
	.section	.text._ZN7rocprim17ROCPRIM_400000_NS6detail17trampoline_kernelINS0_14default_configENS1_38merge_sort_block_merge_config_selectorIyNS0_10empty_typeEEEZZNS1_27merge_sort_block_merge_implIS3_N6thrust23THRUST_200600_302600_NS6detail15normal_iteratorINS9_10device_ptrIyEEEEPS5_m11less_div_10IyEEE10hipError_tT0_T1_T2_jT3_P12ihipStream_tbPNSt15iterator_traitsISJ_E10value_typeEPNSP_ISK_E10value_typeEPSL_NS1_7vsmem_tEENKUlT_SJ_SK_SL_E_clIPySE_SF_SF_EESI_SY_SJ_SK_SL_EUlSY_E1_NS1_11comp_targetILNS1_3genE2ELNS1_11target_archE906ELNS1_3gpuE6ELNS1_3repE0EEENS1_36merge_oddeven_config_static_selectorELNS0_4arch9wavefront6targetE0EEEvSK_,"axG",@progbits,_ZN7rocprim17ROCPRIM_400000_NS6detail17trampoline_kernelINS0_14default_configENS1_38merge_sort_block_merge_config_selectorIyNS0_10empty_typeEEEZZNS1_27merge_sort_block_merge_implIS3_N6thrust23THRUST_200600_302600_NS6detail15normal_iteratorINS9_10device_ptrIyEEEEPS5_m11less_div_10IyEEE10hipError_tT0_T1_T2_jT3_P12ihipStream_tbPNSt15iterator_traitsISJ_E10value_typeEPNSP_ISK_E10value_typeEPSL_NS1_7vsmem_tEENKUlT_SJ_SK_SL_E_clIPySE_SF_SF_EESI_SY_SJ_SK_SL_EUlSY_E1_NS1_11comp_targetILNS1_3genE2ELNS1_11target_archE906ELNS1_3gpuE6ELNS1_3repE0EEENS1_36merge_oddeven_config_static_selectorELNS0_4arch9wavefront6targetE0EEEvSK_,comdat
	.protected	_ZN7rocprim17ROCPRIM_400000_NS6detail17trampoline_kernelINS0_14default_configENS1_38merge_sort_block_merge_config_selectorIyNS0_10empty_typeEEEZZNS1_27merge_sort_block_merge_implIS3_N6thrust23THRUST_200600_302600_NS6detail15normal_iteratorINS9_10device_ptrIyEEEEPS5_m11less_div_10IyEEE10hipError_tT0_T1_T2_jT3_P12ihipStream_tbPNSt15iterator_traitsISJ_E10value_typeEPNSP_ISK_E10value_typeEPSL_NS1_7vsmem_tEENKUlT_SJ_SK_SL_E_clIPySE_SF_SF_EESI_SY_SJ_SK_SL_EUlSY_E1_NS1_11comp_targetILNS1_3genE2ELNS1_11target_archE906ELNS1_3gpuE6ELNS1_3repE0EEENS1_36merge_oddeven_config_static_selectorELNS0_4arch9wavefront6targetE0EEEvSK_ ; -- Begin function _ZN7rocprim17ROCPRIM_400000_NS6detail17trampoline_kernelINS0_14default_configENS1_38merge_sort_block_merge_config_selectorIyNS0_10empty_typeEEEZZNS1_27merge_sort_block_merge_implIS3_N6thrust23THRUST_200600_302600_NS6detail15normal_iteratorINS9_10device_ptrIyEEEEPS5_m11less_div_10IyEEE10hipError_tT0_T1_T2_jT3_P12ihipStream_tbPNSt15iterator_traitsISJ_E10value_typeEPNSP_ISK_E10value_typeEPSL_NS1_7vsmem_tEENKUlT_SJ_SK_SL_E_clIPySE_SF_SF_EESI_SY_SJ_SK_SL_EUlSY_E1_NS1_11comp_targetILNS1_3genE2ELNS1_11target_archE906ELNS1_3gpuE6ELNS1_3repE0EEENS1_36merge_oddeven_config_static_selectorELNS0_4arch9wavefront6targetE0EEEvSK_
	.globl	_ZN7rocprim17ROCPRIM_400000_NS6detail17trampoline_kernelINS0_14default_configENS1_38merge_sort_block_merge_config_selectorIyNS0_10empty_typeEEEZZNS1_27merge_sort_block_merge_implIS3_N6thrust23THRUST_200600_302600_NS6detail15normal_iteratorINS9_10device_ptrIyEEEEPS5_m11less_div_10IyEEE10hipError_tT0_T1_T2_jT3_P12ihipStream_tbPNSt15iterator_traitsISJ_E10value_typeEPNSP_ISK_E10value_typeEPSL_NS1_7vsmem_tEENKUlT_SJ_SK_SL_E_clIPySE_SF_SF_EESI_SY_SJ_SK_SL_EUlSY_E1_NS1_11comp_targetILNS1_3genE2ELNS1_11target_archE906ELNS1_3gpuE6ELNS1_3repE0EEENS1_36merge_oddeven_config_static_selectorELNS0_4arch9wavefront6targetE0EEEvSK_
	.p2align	8
	.type	_ZN7rocprim17ROCPRIM_400000_NS6detail17trampoline_kernelINS0_14default_configENS1_38merge_sort_block_merge_config_selectorIyNS0_10empty_typeEEEZZNS1_27merge_sort_block_merge_implIS3_N6thrust23THRUST_200600_302600_NS6detail15normal_iteratorINS9_10device_ptrIyEEEEPS5_m11less_div_10IyEEE10hipError_tT0_T1_T2_jT3_P12ihipStream_tbPNSt15iterator_traitsISJ_E10value_typeEPNSP_ISK_E10value_typeEPSL_NS1_7vsmem_tEENKUlT_SJ_SK_SL_E_clIPySE_SF_SF_EESI_SY_SJ_SK_SL_EUlSY_E1_NS1_11comp_targetILNS1_3genE2ELNS1_11target_archE906ELNS1_3gpuE6ELNS1_3repE0EEENS1_36merge_oddeven_config_static_selectorELNS0_4arch9wavefront6targetE0EEEvSK_,@function
_ZN7rocprim17ROCPRIM_400000_NS6detail17trampoline_kernelINS0_14default_configENS1_38merge_sort_block_merge_config_selectorIyNS0_10empty_typeEEEZZNS1_27merge_sort_block_merge_implIS3_N6thrust23THRUST_200600_302600_NS6detail15normal_iteratorINS9_10device_ptrIyEEEEPS5_m11less_div_10IyEEE10hipError_tT0_T1_T2_jT3_P12ihipStream_tbPNSt15iterator_traitsISJ_E10value_typeEPNSP_ISK_E10value_typeEPSL_NS1_7vsmem_tEENKUlT_SJ_SK_SL_E_clIPySE_SF_SF_EESI_SY_SJ_SK_SL_EUlSY_E1_NS1_11comp_targetILNS1_3genE2ELNS1_11target_archE906ELNS1_3gpuE6ELNS1_3repE0EEENS1_36merge_oddeven_config_static_selectorELNS0_4arch9wavefront6targetE0EEEvSK_: ; @_ZN7rocprim17ROCPRIM_400000_NS6detail17trampoline_kernelINS0_14default_configENS1_38merge_sort_block_merge_config_selectorIyNS0_10empty_typeEEEZZNS1_27merge_sort_block_merge_implIS3_N6thrust23THRUST_200600_302600_NS6detail15normal_iteratorINS9_10device_ptrIyEEEEPS5_m11less_div_10IyEEE10hipError_tT0_T1_T2_jT3_P12ihipStream_tbPNSt15iterator_traitsISJ_E10value_typeEPNSP_ISK_E10value_typeEPSL_NS1_7vsmem_tEENKUlT_SJ_SK_SL_E_clIPySE_SF_SF_EESI_SY_SJ_SK_SL_EUlSY_E1_NS1_11comp_targetILNS1_3genE2ELNS1_11target_archE906ELNS1_3gpuE6ELNS1_3repE0EEENS1_36merge_oddeven_config_static_selectorELNS0_4arch9wavefront6targetE0EEEvSK_
; %bb.0:
	.section	.rodata,"a",@progbits
	.p2align	6, 0x0
	.amdhsa_kernel _ZN7rocprim17ROCPRIM_400000_NS6detail17trampoline_kernelINS0_14default_configENS1_38merge_sort_block_merge_config_selectorIyNS0_10empty_typeEEEZZNS1_27merge_sort_block_merge_implIS3_N6thrust23THRUST_200600_302600_NS6detail15normal_iteratorINS9_10device_ptrIyEEEEPS5_m11less_div_10IyEEE10hipError_tT0_T1_T2_jT3_P12ihipStream_tbPNSt15iterator_traitsISJ_E10value_typeEPNSP_ISK_E10value_typeEPSL_NS1_7vsmem_tEENKUlT_SJ_SK_SL_E_clIPySE_SF_SF_EESI_SY_SJ_SK_SL_EUlSY_E1_NS1_11comp_targetILNS1_3genE2ELNS1_11target_archE906ELNS1_3gpuE6ELNS1_3repE0EEENS1_36merge_oddeven_config_static_selectorELNS0_4arch9wavefront6targetE0EEEvSK_
		.amdhsa_group_segment_fixed_size 0
		.amdhsa_private_segment_fixed_size 0
		.amdhsa_kernarg_size 56
		.amdhsa_user_sgpr_count 6
		.amdhsa_user_sgpr_private_segment_buffer 1
		.amdhsa_user_sgpr_dispatch_ptr 0
		.amdhsa_user_sgpr_queue_ptr 0
		.amdhsa_user_sgpr_kernarg_segment_ptr 1
		.amdhsa_user_sgpr_dispatch_id 0
		.amdhsa_user_sgpr_flat_scratch_init 0
		.amdhsa_user_sgpr_private_segment_size 0
		.amdhsa_wavefront_size32 1
		.amdhsa_uses_dynamic_stack 0
		.amdhsa_system_sgpr_private_segment_wavefront_offset 0
		.amdhsa_system_sgpr_workgroup_id_x 1
		.amdhsa_system_sgpr_workgroup_id_y 0
		.amdhsa_system_sgpr_workgroup_id_z 0
		.amdhsa_system_sgpr_workgroup_info 0
		.amdhsa_system_vgpr_workitem_id 0
		.amdhsa_next_free_vgpr 1
		.amdhsa_next_free_sgpr 1
		.amdhsa_reserve_vcc 0
		.amdhsa_reserve_flat_scratch 0
		.amdhsa_float_round_mode_32 0
		.amdhsa_float_round_mode_16_64 0
		.amdhsa_float_denorm_mode_32 3
		.amdhsa_float_denorm_mode_16_64 3
		.amdhsa_dx10_clamp 1
		.amdhsa_ieee_mode 1
		.amdhsa_fp16_overflow 0
		.amdhsa_workgroup_processor_mode 1
		.amdhsa_memory_ordered 1
		.amdhsa_forward_progress 1
		.amdhsa_shared_vgpr_count 0
		.amdhsa_exception_fp_ieee_invalid_op 0
		.amdhsa_exception_fp_denorm_src 0
		.amdhsa_exception_fp_ieee_div_zero 0
		.amdhsa_exception_fp_ieee_overflow 0
		.amdhsa_exception_fp_ieee_underflow 0
		.amdhsa_exception_fp_ieee_inexact 0
		.amdhsa_exception_int_div_zero 0
	.end_amdhsa_kernel
	.section	.text._ZN7rocprim17ROCPRIM_400000_NS6detail17trampoline_kernelINS0_14default_configENS1_38merge_sort_block_merge_config_selectorIyNS0_10empty_typeEEEZZNS1_27merge_sort_block_merge_implIS3_N6thrust23THRUST_200600_302600_NS6detail15normal_iteratorINS9_10device_ptrIyEEEEPS5_m11less_div_10IyEEE10hipError_tT0_T1_T2_jT3_P12ihipStream_tbPNSt15iterator_traitsISJ_E10value_typeEPNSP_ISK_E10value_typeEPSL_NS1_7vsmem_tEENKUlT_SJ_SK_SL_E_clIPySE_SF_SF_EESI_SY_SJ_SK_SL_EUlSY_E1_NS1_11comp_targetILNS1_3genE2ELNS1_11target_archE906ELNS1_3gpuE6ELNS1_3repE0EEENS1_36merge_oddeven_config_static_selectorELNS0_4arch9wavefront6targetE0EEEvSK_,"axG",@progbits,_ZN7rocprim17ROCPRIM_400000_NS6detail17trampoline_kernelINS0_14default_configENS1_38merge_sort_block_merge_config_selectorIyNS0_10empty_typeEEEZZNS1_27merge_sort_block_merge_implIS3_N6thrust23THRUST_200600_302600_NS6detail15normal_iteratorINS9_10device_ptrIyEEEEPS5_m11less_div_10IyEEE10hipError_tT0_T1_T2_jT3_P12ihipStream_tbPNSt15iterator_traitsISJ_E10value_typeEPNSP_ISK_E10value_typeEPSL_NS1_7vsmem_tEENKUlT_SJ_SK_SL_E_clIPySE_SF_SF_EESI_SY_SJ_SK_SL_EUlSY_E1_NS1_11comp_targetILNS1_3genE2ELNS1_11target_archE906ELNS1_3gpuE6ELNS1_3repE0EEENS1_36merge_oddeven_config_static_selectorELNS0_4arch9wavefront6targetE0EEEvSK_,comdat
.Lfunc_end45:
	.size	_ZN7rocprim17ROCPRIM_400000_NS6detail17trampoline_kernelINS0_14default_configENS1_38merge_sort_block_merge_config_selectorIyNS0_10empty_typeEEEZZNS1_27merge_sort_block_merge_implIS3_N6thrust23THRUST_200600_302600_NS6detail15normal_iteratorINS9_10device_ptrIyEEEEPS5_m11less_div_10IyEEE10hipError_tT0_T1_T2_jT3_P12ihipStream_tbPNSt15iterator_traitsISJ_E10value_typeEPNSP_ISK_E10value_typeEPSL_NS1_7vsmem_tEENKUlT_SJ_SK_SL_E_clIPySE_SF_SF_EESI_SY_SJ_SK_SL_EUlSY_E1_NS1_11comp_targetILNS1_3genE2ELNS1_11target_archE906ELNS1_3gpuE6ELNS1_3repE0EEENS1_36merge_oddeven_config_static_selectorELNS0_4arch9wavefront6targetE0EEEvSK_, .Lfunc_end45-_ZN7rocprim17ROCPRIM_400000_NS6detail17trampoline_kernelINS0_14default_configENS1_38merge_sort_block_merge_config_selectorIyNS0_10empty_typeEEEZZNS1_27merge_sort_block_merge_implIS3_N6thrust23THRUST_200600_302600_NS6detail15normal_iteratorINS9_10device_ptrIyEEEEPS5_m11less_div_10IyEEE10hipError_tT0_T1_T2_jT3_P12ihipStream_tbPNSt15iterator_traitsISJ_E10value_typeEPNSP_ISK_E10value_typeEPSL_NS1_7vsmem_tEENKUlT_SJ_SK_SL_E_clIPySE_SF_SF_EESI_SY_SJ_SK_SL_EUlSY_E1_NS1_11comp_targetILNS1_3genE2ELNS1_11target_archE906ELNS1_3gpuE6ELNS1_3repE0EEENS1_36merge_oddeven_config_static_selectorELNS0_4arch9wavefront6targetE0EEEvSK_
                                        ; -- End function
	.set _ZN7rocprim17ROCPRIM_400000_NS6detail17trampoline_kernelINS0_14default_configENS1_38merge_sort_block_merge_config_selectorIyNS0_10empty_typeEEEZZNS1_27merge_sort_block_merge_implIS3_N6thrust23THRUST_200600_302600_NS6detail15normal_iteratorINS9_10device_ptrIyEEEEPS5_m11less_div_10IyEEE10hipError_tT0_T1_T2_jT3_P12ihipStream_tbPNSt15iterator_traitsISJ_E10value_typeEPNSP_ISK_E10value_typeEPSL_NS1_7vsmem_tEENKUlT_SJ_SK_SL_E_clIPySE_SF_SF_EESI_SY_SJ_SK_SL_EUlSY_E1_NS1_11comp_targetILNS1_3genE2ELNS1_11target_archE906ELNS1_3gpuE6ELNS1_3repE0EEENS1_36merge_oddeven_config_static_selectorELNS0_4arch9wavefront6targetE0EEEvSK_.num_vgpr, 0
	.set _ZN7rocprim17ROCPRIM_400000_NS6detail17trampoline_kernelINS0_14default_configENS1_38merge_sort_block_merge_config_selectorIyNS0_10empty_typeEEEZZNS1_27merge_sort_block_merge_implIS3_N6thrust23THRUST_200600_302600_NS6detail15normal_iteratorINS9_10device_ptrIyEEEEPS5_m11less_div_10IyEEE10hipError_tT0_T1_T2_jT3_P12ihipStream_tbPNSt15iterator_traitsISJ_E10value_typeEPNSP_ISK_E10value_typeEPSL_NS1_7vsmem_tEENKUlT_SJ_SK_SL_E_clIPySE_SF_SF_EESI_SY_SJ_SK_SL_EUlSY_E1_NS1_11comp_targetILNS1_3genE2ELNS1_11target_archE906ELNS1_3gpuE6ELNS1_3repE0EEENS1_36merge_oddeven_config_static_selectorELNS0_4arch9wavefront6targetE0EEEvSK_.num_agpr, 0
	.set _ZN7rocprim17ROCPRIM_400000_NS6detail17trampoline_kernelINS0_14default_configENS1_38merge_sort_block_merge_config_selectorIyNS0_10empty_typeEEEZZNS1_27merge_sort_block_merge_implIS3_N6thrust23THRUST_200600_302600_NS6detail15normal_iteratorINS9_10device_ptrIyEEEEPS5_m11less_div_10IyEEE10hipError_tT0_T1_T2_jT3_P12ihipStream_tbPNSt15iterator_traitsISJ_E10value_typeEPNSP_ISK_E10value_typeEPSL_NS1_7vsmem_tEENKUlT_SJ_SK_SL_E_clIPySE_SF_SF_EESI_SY_SJ_SK_SL_EUlSY_E1_NS1_11comp_targetILNS1_3genE2ELNS1_11target_archE906ELNS1_3gpuE6ELNS1_3repE0EEENS1_36merge_oddeven_config_static_selectorELNS0_4arch9wavefront6targetE0EEEvSK_.numbered_sgpr, 0
	.set _ZN7rocprim17ROCPRIM_400000_NS6detail17trampoline_kernelINS0_14default_configENS1_38merge_sort_block_merge_config_selectorIyNS0_10empty_typeEEEZZNS1_27merge_sort_block_merge_implIS3_N6thrust23THRUST_200600_302600_NS6detail15normal_iteratorINS9_10device_ptrIyEEEEPS5_m11less_div_10IyEEE10hipError_tT0_T1_T2_jT3_P12ihipStream_tbPNSt15iterator_traitsISJ_E10value_typeEPNSP_ISK_E10value_typeEPSL_NS1_7vsmem_tEENKUlT_SJ_SK_SL_E_clIPySE_SF_SF_EESI_SY_SJ_SK_SL_EUlSY_E1_NS1_11comp_targetILNS1_3genE2ELNS1_11target_archE906ELNS1_3gpuE6ELNS1_3repE0EEENS1_36merge_oddeven_config_static_selectorELNS0_4arch9wavefront6targetE0EEEvSK_.num_named_barrier, 0
	.set _ZN7rocprim17ROCPRIM_400000_NS6detail17trampoline_kernelINS0_14default_configENS1_38merge_sort_block_merge_config_selectorIyNS0_10empty_typeEEEZZNS1_27merge_sort_block_merge_implIS3_N6thrust23THRUST_200600_302600_NS6detail15normal_iteratorINS9_10device_ptrIyEEEEPS5_m11less_div_10IyEEE10hipError_tT0_T1_T2_jT3_P12ihipStream_tbPNSt15iterator_traitsISJ_E10value_typeEPNSP_ISK_E10value_typeEPSL_NS1_7vsmem_tEENKUlT_SJ_SK_SL_E_clIPySE_SF_SF_EESI_SY_SJ_SK_SL_EUlSY_E1_NS1_11comp_targetILNS1_3genE2ELNS1_11target_archE906ELNS1_3gpuE6ELNS1_3repE0EEENS1_36merge_oddeven_config_static_selectorELNS0_4arch9wavefront6targetE0EEEvSK_.private_seg_size, 0
	.set _ZN7rocprim17ROCPRIM_400000_NS6detail17trampoline_kernelINS0_14default_configENS1_38merge_sort_block_merge_config_selectorIyNS0_10empty_typeEEEZZNS1_27merge_sort_block_merge_implIS3_N6thrust23THRUST_200600_302600_NS6detail15normal_iteratorINS9_10device_ptrIyEEEEPS5_m11less_div_10IyEEE10hipError_tT0_T1_T2_jT3_P12ihipStream_tbPNSt15iterator_traitsISJ_E10value_typeEPNSP_ISK_E10value_typeEPSL_NS1_7vsmem_tEENKUlT_SJ_SK_SL_E_clIPySE_SF_SF_EESI_SY_SJ_SK_SL_EUlSY_E1_NS1_11comp_targetILNS1_3genE2ELNS1_11target_archE906ELNS1_3gpuE6ELNS1_3repE0EEENS1_36merge_oddeven_config_static_selectorELNS0_4arch9wavefront6targetE0EEEvSK_.uses_vcc, 0
	.set _ZN7rocprim17ROCPRIM_400000_NS6detail17trampoline_kernelINS0_14default_configENS1_38merge_sort_block_merge_config_selectorIyNS0_10empty_typeEEEZZNS1_27merge_sort_block_merge_implIS3_N6thrust23THRUST_200600_302600_NS6detail15normal_iteratorINS9_10device_ptrIyEEEEPS5_m11less_div_10IyEEE10hipError_tT0_T1_T2_jT3_P12ihipStream_tbPNSt15iterator_traitsISJ_E10value_typeEPNSP_ISK_E10value_typeEPSL_NS1_7vsmem_tEENKUlT_SJ_SK_SL_E_clIPySE_SF_SF_EESI_SY_SJ_SK_SL_EUlSY_E1_NS1_11comp_targetILNS1_3genE2ELNS1_11target_archE906ELNS1_3gpuE6ELNS1_3repE0EEENS1_36merge_oddeven_config_static_selectorELNS0_4arch9wavefront6targetE0EEEvSK_.uses_flat_scratch, 0
	.set _ZN7rocprim17ROCPRIM_400000_NS6detail17trampoline_kernelINS0_14default_configENS1_38merge_sort_block_merge_config_selectorIyNS0_10empty_typeEEEZZNS1_27merge_sort_block_merge_implIS3_N6thrust23THRUST_200600_302600_NS6detail15normal_iteratorINS9_10device_ptrIyEEEEPS5_m11less_div_10IyEEE10hipError_tT0_T1_T2_jT3_P12ihipStream_tbPNSt15iterator_traitsISJ_E10value_typeEPNSP_ISK_E10value_typeEPSL_NS1_7vsmem_tEENKUlT_SJ_SK_SL_E_clIPySE_SF_SF_EESI_SY_SJ_SK_SL_EUlSY_E1_NS1_11comp_targetILNS1_3genE2ELNS1_11target_archE906ELNS1_3gpuE6ELNS1_3repE0EEENS1_36merge_oddeven_config_static_selectorELNS0_4arch9wavefront6targetE0EEEvSK_.has_dyn_sized_stack, 0
	.set _ZN7rocprim17ROCPRIM_400000_NS6detail17trampoline_kernelINS0_14default_configENS1_38merge_sort_block_merge_config_selectorIyNS0_10empty_typeEEEZZNS1_27merge_sort_block_merge_implIS3_N6thrust23THRUST_200600_302600_NS6detail15normal_iteratorINS9_10device_ptrIyEEEEPS5_m11less_div_10IyEEE10hipError_tT0_T1_T2_jT3_P12ihipStream_tbPNSt15iterator_traitsISJ_E10value_typeEPNSP_ISK_E10value_typeEPSL_NS1_7vsmem_tEENKUlT_SJ_SK_SL_E_clIPySE_SF_SF_EESI_SY_SJ_SK_SL_EUlSY_E1_NS1_11comp_targetILNS1_3genE2ELNS1_11target_archE906ELNS1_3gpuE6ELNS1_3repE0EEENS1_36merge_oddeven_config_static_selectorELNS0_4arch9wavefront6targetE0EEEvSK_.has_recursion, 0
	.set _ZN7rocprim17ROCPRIM_400000_NS6detail17trampoline_kernelINS0_14default_configENS1_38merge_sort_block_merge_config_selectorIyNS0_10empty_typeEEEZZNS1_27merge_sort_block_merge_implIS3_N6thrust23THRUST_200600_302600_NS6detail15normal_iteratorINS9_10device_ptrIyEEEEPS5_m11less_div_10IyEEE10hipError_tT0_T1_T2_jT3_P12ihipStream_tbPNSt15iterator_traitsISJ_E10value_typeEPNSP_ISK_E10value_typeEPSL_NS1_7vsmem_tEENKUlT_SJ_SK_SL_E_clIPySE_SF_SF_EESI_SY_SJ_SK_SL_EUlSY_E1_NS1_11comp_targetILNS1_3genE2ELNS1_11target_archE906ELNS1_3gpuE6ELNS1_3repE0EEENS1_36merge_oddeven_config_static_selectorELNS0_4arch9wavefront6targetE0EEEvSK_.has_indirect_call, 0
	.section	.AMDGPU.csdata,"",@progbits
; Kernel info:
; codeLenInByte = 0
; TotalNumSgprs: 0
; NumVgprs: 0
; ScratchSize: 0
; MemoryBound: 0
; FloatMode: 240
; IeeeMode: 1
; LDSByteSize: 0 bytes/workgroup (compile time only)
; SGPRBlocks: 0
; VGPRBlocks: 0
; NumSGPRsForWavesPerEU: 1
; NumVGPRsForWavesPerEU: 1
; Occupancy: 16
; WaveLimiterHint : 0
; COMPUTE_PGM_RSRC2:SCRATCH_EN: 0
; COMPUTE_PGM_RSRC2:USER_SGPR: 6
; COMPUTE_PGM_RSRC2:TRAP_HANDLER: 0
; COMPUTE_PGM_RSRC2:TGID_X_EN: 1
; COMPUTE_PGM_RSRC2:TGID_Y_EN: 0
; COMPUTE_PGM_RSRC2:TGID_Z_EN: 0
; COMPUTE_PGM_RSRC2:TIDIG_COMP_CNT: 0
	.section	.text._ZN7rocprim17ROCPRIM_400000_NS6detail17trampoline_kernelINS0_14default_configENS1_38merge_sort_block_merge_config_selectorIyNS0_10empty_typeEEEZZNS1_27merge_sort_block_merge_implIS3_N6thrust23THRUST_200600_302600_NS6detail15normal_iteratorINS9_10device_ptrIyEEEEPS5_m11less_div_10IyEEE10hipError_tT0_T1_T2_jT3_P12ihipStream_tbPNSt15iterator_traitsISJ_E10value_typeEPNSP_ISK_E10value_typeEPSL_NS1_7vsmem_tEENKUlT_SJ_SK_SL_E_clIPySE_SF_SF_EESI_SY_SJ_SK_SL_EUlSY_E1_NS1_11comp_targetILNS1_3genE9ELNS1_11target_archE1100ELNS1_3gpuE3ELNS1_3repE0EEENS1_36merge_oddeven_config_static_selectorELNS0_4arch9wavefront6targetE0EEEvSK_,"axG",@progbits,_ZN7rocprim17ROCPRIM_400000_NS6detail17trampoline_kernelINS0_14default_configENS1_38merge_sort_block_merge_config_selectorIyNS0_10empty_typeEEEZZNS1_27merge_sort_block_merge_implIS3_N6thrust23THRUST_200600_302600_NS6detail15normal_iteratorINS9_10device_ptrIyEEEEPS5_m11less_div_10IyEEE10hipError_tT0_T1_T2_jT3_P12ihipStream_tbPNSt15iterator_traitsISJ_E10value_typeEPNSP_ISK_E10value_typeEPSL_NS1_7vsmem_tEENKUlT_SJ_SK_SL_E_clIPySE_SF_SF_EESI_SY_SJ_SK_SL_EUlSY_E1_NS1_11comp_targetILNS1_3genE9ELNS1_11target_archE1100ELNS1_3gpuE3ELNS1_3repE0EEENS1_36merge_oddeven_config_static_selectorELNS0_4arch9wavefront6targetE0EEEvSK_,comdat
	.protected	_ZN7rocprim17ROCPRIM_400000_NS6detail17trampoline_kernelINS0_14default_configENS1_38merge_sort_block_merge_config_selectorIyNS0_10empty_typeEEEZZNS1_27merge_sort_block_merge_implIS3_N6thrust23THRUST_200600_302600_NS6detail15normal_iteratorINS9_10device_ptrIyEEEEPS5_m11less_div_10IyEEE10hipError_tT0_T1_T2_jT3_P12ihipStream_tbPNSt15iterator_traitsISJ_E10value_typeEPNSP_ISK_E10value_typeEPSL_NS1_7vsmem_tEENKUlT_SJ_SK_SL_E_clIPySE_SF_SF_EESI_SY_SJ_SK_SL_EUlSY_E1_NS1_11comp_targetILNS1_3genE9ELNS1_11target_archE1100ELNS1_3gpuE3ELNS1_3repE0EEENS1_36merge_oddeven_config_static_selectorELNS0_4arch9wavefront6targetE0EEEvSK_ ; -- Begin function _ZN7rocprim17ROCPRIM_400000_NS6detail17trampoline_kernelINS0_14default_configENS1_38merge_sort_block_merge_config_selectorIyNS0_10empty_typeEEEZZNS1_27merge_sort_block_merge_implIS3_N6thrust23THRUST_200600_302600_NS6detail15normal_iteratorINS9_10device_ptrIyEEEEPS5_m11less_div_10IyEEE10hipError_tT0_T1_T2_jT3_P12ihipStream_tbPNSt15iterator_traitsISJ_E10value_typeEPNSP_ISK_E10value_typeEPSL_NS1_7vsmem_tEENKUlT_SJ_SK_SL_E_clIPySE_SF_SF_EESI_SY_SJ_SK_SL_EUlSY_E1_NS1_11comp_targetILNS1_3genE9ELNS1_11target_archE1100ELNS1_3gpuE3ELNS1_3repE0EEENS1_36merge_oddeven_config_static_selectorELNS0_4arch9wavefront6targetE0EEEvSK_
	.globl	_ZN7rocprim17ROCPRIM_400000_NS6detail17trampoline_kernelINS0_14default_configENS1_38merge_sort_block_merge_config_selectorIyNS0_10empty_typeEEEZZNS1_27merge_sort_block_merge_implIS3_N6thrust23THRUST_200600_302600_NS6detail15normal_iteratorINS9_10device_ptrIyEEEEPS5_m11less_div_10IyEEE10hipError_tT0_T1_T2_jT3_P12ihipStream_tbPNSt15iterator_traitsISJ_E10value_typeEPNSP_ISK_E10value_typeEPSL_NS1_7vsmem_tEENKUlT_SJ_SK_SL_E_clIPySE_SF_SF_EESI_SY_SJ_SK_SL_EUlSY_E1_NS1_11comp_targetILNS1_3genE9ELNS1_11target_archE1100ELNS1_3gpuE3ELNS1_3repE0EEENS1_36merge_oddeven_config_static_selectorELNS0_4arch9wavefront6targetE0EEEvSK_
	.p2align	8
	.type	_ZN7rocprim17ROCPRIM_400000_NS6detail17trampoline_kernelINS0_14default_configENS1_38merge_sort_block_merge_config_selectorIyNS0_10empty_typeEEEZZNS1_27merge_sort_block_merge_implIS3_N6thrust23THRUST_200600_302600_NS6detail15normal_iteratorINS9_10device_ptrIyEEEEPS5_m11less_div_10IyEEE10hipError_tT0_T1_T2_jT3_P12ihipStream_tbPNSt15iterator_traitsISJ_E10value_typeEPNSP_ISK_E10value_typeEPSL_NS1_7vsmem_tEENKUlT_SJ_SK_SL_E_clIPySE_SF_SF_EESI_SY_SJ_SK_SL_EUlSY_E1_NS1_11comp_targetILNS1_3genE9ELNS1_11target_archE1100ELNS1_3gpuE3ELNS1_3repE0EEENS1_36merge_oddeven_config_static_selectorELNS0_4arch9wavefront6targetE0EEEvSK_,@function
_ZN7rocprim17ROCPRIM_400000_NS6detail17trampoline_kernelINS0_14default_configENS1_38merge_sort_block_merge_config_selectorIyNS0_10empty_typeEEEZZNS1_27merge_sort_block_merge_implIS3_N6thrust23THRUST_200600_302600_NS6detail15normal_iteratorINS9_10device_ptrIyEEEEPS5_m11less_div_10IyEEE10hipError_tT0_T1_T2_jT3_P12ihipStream_tbPNSt15iterator_traitsISJ_E10value_typeEPNSP_ISK_E10value_typeEPSL_NS1_7vsmem_tEENKUlT_SJ_SK_SL_E_clIPySE_SF_SF_EESI_SY_SJ_SK_SL_EUlSY_E1_NS1_11comp_targetILNS1_3genE9ELNS1_11target_archE1100ELNS1_3gpuE3ELNS1_3repE0EEENS1_36merge_oddeven_config_static_selectorELNS0_4arch9wavefront6targetE0EEEvSK_: ; @_ZN7rocprim17ROCPRIM_400000_NS6detail17trampoline_kernelINS0_14default_configENS1_38merge_sort_block_merge_config_selectorIyNS0_10empty_typeEEEZZNS1_27merge_sort_block_merge_implIS3_N6thrust23THRUST_200600_302600_NS6detail15normal_iteratorINS9_10device_ptrIyEEEEPS5_m11less_div_10IyEEE10hipError_tT0_T1_T2_jT3_P12ihipStream_tbPNSt15iterator_traitsISJ_E10value_typeEPNSP_ISK_E10value_typeEPSL_NS1_7vsmem_tEENKUlT_SJ_SK_SL_E_clIPySE_SF_SF_EESI_SY_SJ_SK_SL_EUlSY_E1_NS1_11comp_targetILNS1_3genE9ELNS1_11target_archE1100ELNS1_3gpuE3ELNS1_3repE0EEENS1_36merge_oddeven_config_static_selectorELNS0_4arch9wavefront6targetE0EEEvSK_
; %bb.0:
	.section	.rodata,"a",@progbits
	.p2align	6, 0x0
	.amdhsa_kernel _ZN7rocprim17ROCPRIM_400000_NS6detail17trampoline_kernelINS0_14default_configENS1_38merge_sort_block_merge_config_selectorIyNS0_10empty_typeEEEZZNS1_27merge_sort_block_merge_implIS3_N6thrust23THRUST_200600_302600_NS6detail15normal_iteratorINS9_10device_ptrIyEEEEPS5_m11less_div_10IyEEE10hipError_tT0_T1_T2_jT3_P12ihipStream_tbPNSt15iterator_traitsISJ_E10value_typeEPNSP_ISK_E10value_typeEPSL_NS1_7vsmem_tEENKUlT_SJ_SK_SL_E_clIPySE_SF_SF_EESI_SY_SJ_SK_SL_EUlSY_E1_NS1_11comp_targetILNS1_3genE9ELNS1_11target_archE1100ELNS1_3gpuE3ELNS1_3repE0EEENS1_36merge_oddeven_config_static_selectorELNS0_4arch9wavefront6targetE0EEEvSK_
		.amdhsa_group_segment_fixed_size 0
		.amdhsa_private_segment_fixed_size 0
		.amdhsa_kernarg_size 56
		.amdhsa_user_sgpr_count 6
		.amdhsa_user_sgpr_private_segment_buffer 1
		.amdhsa_user_sgpr_dispatch_ptr 0
		.amdhsa_user_sgpr_queue_ptr 0
		.amdhsa_user_sgpr_kernarg_segment_ptr 1
		.amdhsa_user_sgpr_dispatch_id 0
		.amdhsa_user_sgpr_flat_scratch_init 0
		.amdhsa_user_sgpr_private_segment_size 0
		.amdhsa_wavefront_size32 1
		.amdhsa_uses_dynamic_stack 0
		.amdhsa_system_sgpr_private_segment_wavefront_offset 0
		.amdhsa_system_sgpr_workgroup_id_x 1
		.amdhsa_system_sgpr_workgroup_id_y 0
		.amdhsa_system_sgpr_workgroup_id_z 0
		.amdhsa_system_sgpr_workgroup_info 0
		.amdhsa_system_vgpr_workitem_id 0
		.amdhsa_next_free_vgpr 1
		.amdhsa_next_free_sgpr 1
		.amdhsa_reserve_vcc 0
		.amdhsa_reserve_flat_scratch 0
		.amdhsa_float_round_mode_32 0
		.amdhsa_float_round_mode_16_64 0
		.amdhsa_float_denorm_mode_32 3
		.amdhsa_float_denorm_mode_16_64 3
		.amdhsa_dx10_clamp 1
		.amdhsa_ieee_mode 1
		.amdhsa_fp16_overflow 0
		.amdhsa_workgroup_processor_mode 1
		.amdhsa_memory_ordered 1
		.amdhsa_forward_progress 1
		.amdhsa_shared_vgpr_count 0
		.amdhsa_exception_fp_ieee_invalid_op 0
		.amdhsa_exception_fp_denorm_src 0
		.amdhsa_exception_fp_ieee_div_zero 0
		.amdhsa_exception_fp_ieee_overflow 0
		.amdhsa_exception_fp_ieee_underflow 0
		.amdhsa_exception_fp_ieee_inexact 0
		.amdhsa_exception_int_div_zero 0
	.end_amdhsa_kernel
	.section	.text._ZN7rocprim17ROCPRIM_400000_NS6detail17trampoline_kernelINS0_14default_configENS1_38merge_sort_block_merge_config_selectorIyNS0_10empty_typeEEEZZNS1_27merge_sort_block_merge_implIS3_N6thrust23THRUST_200600_302600_NS6detail15normal_iteratorINS9_10device_ptrIyEEEEPS5_m11less_div_10IyEEE10hipError_tT0_T1_T2_jT3_P12ihipStream_tbPNSt15iterator_traitsISJ_E10value_typeEPNSP_ISK_E10value_typeEPSL_NS1_7vsmem_tEENKUlT_SJ_SK_SL_E_clIPySE_SF_SF_EESI_SY_SJ_SK_SL_EUlSY_E1_NS1_11comp_targetILNS1_3genE9ELNS1_11target_archE1100ELNS1_3gpuE3ELNS1_3repE0EEENS1_36merge_oddeven_config_static_selectorELNS0_4arch9wavefront6targetE0EEEvSK_,"axG",@progbits,_ZN7rocprim17ROCPRIM_400000_NS6detail17trampoline_kernelINS0_14default_configENS1_38merge_sort_block_merge_config_selectorIyNS0_10empty_typeEEEZZNS1_27merge_sort_block_merge_implIS3_N6thrust23THRUST_200600_302600_NS6detail15normal_iteratorINS9_10device_ptrIyEEEEPS5_m11less_div_10IyEEE10hipError_tT0_T1_T2_jT3_P12ihipStream_tbPNSt15iterator_traitsISJ_E10value_typeEPNSP_ISK_E10value_typeEPSL_NS1_7vsmem_tEENKUlT_SJ_SK_SL_E_clIPySE_SF_SF_EESI_SY_SJ_SK_SL_EUlSY_E1_NS1_11comp_targetILNS1_3genE9ELNS1_11target_archE1100ELNS1_3gpuE3ELNS1_3repE0EEENS1_36merge_oddeven_config_static_selectorELNS0_4arch9wavefront6targetE0EEEvSK_,comdat
.Lfunc_end46:
	.size	_ZN7rocprim17ROCPRIM_400000_NS6detail17trampoline_kernelINS0_14default_configENS1_38merge_sort_block_merge_config_selectorIyNS0_10empty_typeEEEZZNS1_27merge_sort_block_merge_implIS3_N6thrust23THRUST_200600_302600_NS6detail15normal_iteratorINS9_10device_ptrIyEEEEPS5_m11less_div_10IyEEE10hipError_tT0_T1_T2_jT3_P12ihipStream_tbPNSt15iterator_traitsISJ_E10value_typeEPNSP_ISK_E10value_typeEPSL_NS1_7vsmem_tEENKUlT_SJ_SK_SL_E_clIPySE_SF_SF_EESI_SY_SJ_SK_SL_EUlSY_E1_NS1_11comp_targetILNS1_3genE9ELNS1_11target_archE1100ELNS1_3gpuE3ELNS1_3repE0EEENS1_36merge_oddeven_config_static_selectorELNS0_4arch9wavefront6targetE0EEEvSK_, .Lfunc_end46-_ZN7rocprim17ROCPRIM_400000_NS6detail17trampoline_kernelINS0_14default_configENS1_38merge_sort_block_merge_config_selectorIyNS0_10empty_typeEEEZZNS1_27merge_sort_block_merge_implIS3_N6thrust23THRUST_200600_302600_NS6detail15normal_iteratorINS9_10device_ptrIyEEEEPS5_m11less_div_10IyEEE10hipError_tT0_T1_T2_jT3_P12ihipStream_tbPNSt15iterator_traitsISJ_E10value_typeEPNSP_ISK_E10value_typeEPSL_NS1_7vsmem_tEENKUlT_SJ_SK_SL_E_clIPySE_SF_SF_EESI_SY_SJ_SK_SL_EUlSY_E1_NS1_11comp_targetILNS1_3genE9ELNS1_11target_archE1100ELNS1_3gpuE3ELNS1_3repE0EEENS1_36merge_oddeven_config_static_selectorELNS0_4arch9wavefront6targetE0EEEvSK_
                                        ; -- End function
	.set _ZN7rocprim17ROCPRIM_400000_NS6detail17trampoline_kernelINS0_14default_configENS1_38merge_sort_block_merge_config_selectorIyNS0_10empty_typeEEEZZNS1_27merge_sort_block_merge_implIS3_N6thrust23THRUST_200600_302600_NS6detail15normal_iteratorINS9_10device_ptrIyEEEEPS5_m11less_div_10IyEEE10hipError_tT0_T1_T2_jT3_P12ihipStream_tbPNSt15iterator_traitsISJ_E10value_typeEPNSP_ISK_E10value_typeEPSL_NS1_7vsmem_tEENKUlT_SJ_SK_SL_E_clIPySE_SF_SF_EESI_SY_SJ_SK_SL_EUlSY_E1_NS1_11comp_targetILNS1_3genE9ELNS1_11target_archE1100ELNS1_3gpuE3ELNS1_3repE0EEENS1_36merge_oddeven_config_static_selectorELNS0_4arch9wavefront6targetE0EEEvSK_.num_vgpr, 0
	.set _ZN7rocprim17ROCPRIM_400000_NS6detail17trampoline_kernelINS0_14default_configENS1_38merge_sort_block_merge_config_selectorIyNS0_10empty_typeEEEZZNS1_27merge_sort_block_merge_implIS3_N6thrust23THRUST_200600_302600_NS6detail15normal_iteratorINS9_10device_ptrIyEEEEPS5_m11less_div_10IyEEE10hipError_tT0_T1_T2_jT3_P12ihipStream_tbPNSt15iterator_traitsISJ_E10value_typeEPNSP_ISK_E10value_typeEPSL_NS1_7vsmem_tEENKUlT_SJ_SK_SL_E_clIPySE_SF_SF_EESI_SY_SJ_SK_SL_EUlSY_E1_NS1_11comp_targetILNS1_3genE9ELNS1_11target_archE1100ELNS1_3gpuE3ELNS1_3repE0EEENS1_36merge_oddeven_config_static_selectorELNS0_4arch9wavefront6targetE0EEEvSK_.num_agpr, 0
	.set _ZN7rocprim17ROCPRIM_400000_NS6detail17trampoline_kernelINS0_14default_configENS1_38merge_sort_block_merge_config_selectorIyNS0_10empty_typeEEEZZNS1_27merge_sort_block_merge_implIS3_N6thrust23THRUST_200600_302600_NS6detail15normal_iteratorINS9_10device_ptrIyEEEEPS5_m11less_div_10IyEEE10hipError_tT0_T1_T2_jT3_P12ihipStream_tbPNSt15iterator_traitsISJ_E10value_typeEPNSP_ISK_E10value_typeEPSL_NS1_7vsmem_tEENKUlT_SJ_SK_SL_E_clIPySE_SF_SF_EESI_SY_SJ_SK_SL_EUlSY_E1_NS1_11comp_targetILNS1_3genE9ELNS1_11target_archE1100ELNS1_3gpuE3ELNS1_3repE0EEENS1_36merge_oddeven_config_static_selectorELNS0_4arch9wavefront6targetE0EEEvSK_.numbered_sgpr, 0
	.set _ZN7rocprim17ROCPRIM_400000_NS6detail17trampoline_kernelINS0_14default_configENS1_38merge_sort_block_merge_config_selectorIyNS0_10empty_typeEEEZZNS1_27merge_sort_block_merge_implIS3_N6thrust23THRUST_200600_302600_NS6detail15normal_iteratorINS9_10device_ptrIyEEEEPS5_m11less_div_10IyEEE10hipError_tT0_T1_T2_jT3_P12ihipStream_tbPNSt15iterator_traitsISJ_E10value_typeEPNSP_ISK_E10value_typeEPSL_NS1_7vsmem_tEENKUlT_SJ_SK_SL_E_clIPySE_SF_SF_EESI_SY_SJ_SK_SL_EUlSY_E1_NS1_11comp_targetILNS1_3genE9ELNS1_11target_archE1100ELNS1_3gpuE3ELNS1_3repE0EEENS1_36merge_oddeven_config_static_selectorELNS0_4arch9wavefront6targetE0EEEvSK_.num_named_barrier, 0
	.set _ZN7rocprim17ROCPRIM_400000_NS6detail17trampoline_kernelINS0_14default_configENS1_38merge_sort_block_merge_config_selectorIyNS0_10empty_typeEEEZZNS1_27merge_sort_block_merge_implIS3_N6thrust23THRUST_200600_302600_NS6detail15normal_iteratorINS9_10device_ptrIyEEEEPS5_m11less_div_10IyEEE10hipError_tT0_T1_T2_jT3_P12ihipStream_tbPNSt15iterator_traitsISJ_E10value_typeEPNSP_ISK_E10value_typeEPSL_NS1_7vsmem_tEENKUlT_SJ_SK_SL_E_clIPySE_SF_SF_EESI_SY_SJ_SK_SL_EUlSY_E1_NS1_11comp_targetILNS1_3genE9ELNS1_11target_archE1100ELNS1_3gpuE3ELNS1_3repE0EEENS1_36merge_oddeven_config_static_selectorELNS0_4arch9wavefront6targetE0EEEvSK_.private_seg_size, 0
	.set _ZN7rocprim17ROCPRIM_400000_NS6detail17trampoline_kernelINS0_14default_configENS1_38merge_sort_block_merge_config_selectorIyNS0_10empty_typeEEEZZNS1_27merge_sort_block_merge_implIS3_N6thrust23THRUST_200600_302600_NS6detail15normal_iteratorINS9_10device_ptrIyEEEEPS5_m11less_div_10IyEEE10hipError_tT0_T1_T2_jT3_P12ihipStream_tbPNSt15iterator_traitsISJ_E10value_typeEPNSP_ISK_E10value_typeEPSL_NS1_7vsmem_tEENKUlT_SJ_SK_SL_E_clIPySE_SF_SF_EESI_SY_SJ_SK_SL_EUlSY_E1_NS1_11comp_targetILNS1_3genE9ELNS1_11target_archE1100ELNS1_3gpuE3ELNS1_3repE0EEENS1_36merge_oddeven_config_static_selectorELNS0_4arch9wavefront6targetE0EEEvSK_.uses_vcc, 0
	.set _ZN7rocprim17ROCPRIM_400000_NS6detail17trampoline_kernelINS0_14default_configENS1_38merge_sort_block_merge_config_selectorIyNS0_10empty_typeEEEZZNS1_27merge_sort_block_merge_implIS3_N6thrust23THRUST_200600_302600_NS6detail15normal_iteratorINS9_10device_ptrIyEEEEPS5_m11less_div_10IyEEE10hipError_tT0_T1_T2_jT3_P12ihipStream_tbPNSt15iterator_traitsISJ_E10value_typeEPNSP_ISK_E10value_typeEPSL_NS1_7vsmem_tEENKUlT_SJ_SK_SL_E_clIPySE_SF_SF_EESI_SY_SJ_SK_SL_EUlSY_E1_NS1_11comp_targetILNS1_3genE9ELNS1_11target_archE1100ELNS1_3gpuE3ELNS1_3repE0EEENS1_36merge_oddeven_config_static_selectorELNS0_4arch9wavefront6targetE0EEEvSK_.uses_flat_scratch, 0
	.set _ZN7rocprim17ROCPRIM_400000_NS6detail17trampoline_kernelINS0_14default_configENS1_38merge_sort_block_merge_config_selectorIyNS0_10empty_typeEEEZZNS1_27merge_sort_block_merge_implIS3_N6thrust23THRUST_200600_302600_NS6detail15normal_iteratorINS9_10device_ptrIyEEEEPS5_m11less_div_10IyEEE10hipError_tT0_T1_T2_jT3_P12ihipStream_tbPNSt15iterator_traitsISJ_E10value_typeEPNSP_ISK_E10value_typeEPSL_NS1_7vsmem_tEENKUlT_SJ_SK_SL_E_clIPySE_SF_SF_EESI_SY_SJ_SK_SL_EUlSY_E1_NS1_11comp_targetILNS1_3genE9ELNS1_11target_archE1100ELNS1_3gpuE3ELNS1_3repE0EEENS1_36merge_oddeven_config_static_selectorELNS0_4arch9wavefront6targetE0EEEvSK_.has_dyn_sized_stack, 0
	.set _ZN7rocprim17ROCPRIM_400000_NS6detail17trampoline_kernelINS0_14default_configENS1_38merge_sort_block_merge_config_selectorIyNS0_10empty_typeEEEZZNS1_27merge_sort_block_merge_implIS3_N6thrust23THRUST_200600_302600_NS6detail15normal_iteratorINS9_10device_ptrIyEEEEPS5_m11less_div_10IyEEE10hipError_tT0_T1_T2_jT3_P12ihipStream_tbPNSt15iterator_traitsISJ_E10value_typeEPNSP_ISK_E10value_typeEPSL_NS1_7vsmem_tEENKUlT_SJ_SK_SL_E_clIPySE_SF_SF_EESI_SY_SJ_SK_SL_EUlSY_E1_NS1_11comp_targetILNS1_3genE9ELNS1_11target_archE1100ELNS1_3gpuE3ELNS1_3repE0EEENS1_36merge_oddeven_config_static_selectorELNS0_4arch9wavefront6targetE0EEEvSK_.has_recursion, 0
	.set _ZN7rocprim17ROCPRIM_400000_NS6detail17trampoline_kernelINS0_14default_configENS1_38merge_sort_block_merge_config_selectorIyNS0_10empty_typeEEEZZNS1_27merge_sort_block_merge_implIS3_N6thrust23THRUST_200600_302600_NS6detail15normal_iteratorINS9_10device_ptrIyEEEEPS5_m11less_div_10IyEEE10hipError_tT0_T1_T2_jT3_P12ihipStream_tbPNSt15iterator_traitsISJ_E10value_typeEPNSP_ISK_E10value_typeEPSL_NS1_7vsmem_tEENKUlT_SJ_SK_SL_E_clIPySE_SF_SF_EESI_SY_SJ_SK_SL_EUlSY_E1_NS1_11comp_targetILNS1_3genE9ELNS1_11target_archE1100ELNS1_3gpuE3ELNS1_3repE0EEENS1_36merge_oddeven_config_static_selectorELNS0_4arch9wavefront6targetE0EEEvSK_.has_indirect_call, 0
	.section	.AMDGPU.csdata,"",@progbits
; Kernel info:
; codeLenInByte = 0
; TotalNumSgprs: 0
; NumVgprs: 0
; ScratchSize: 0
; MemoryBound: 0
; FloatMode: 240
; IeeeMode: 1
; LDSByteSize: 0 bytes/workgroup (compile time only)
; SGPRBlocks: 0
; VGPRBlocks: 0
; NumSGPRsForWavesPerEU: 1
; NumVGPRsForWavesPerEU: 1
; Occupancy: 16
; WaveLimiterHint : 0
; COMPUTE_PGM_RSRC2:SCRATCH_EN: 0
; COMPUTE_PGM_RSRC2:USER_SGPR: 6
; COMPUTE_PGM_RSRC2:TRAP_HANDLER: 0
; COMPUTE_PGM_RSRC2:TGID_X_EN: 1
; COMPUTE_PGM_RSRC2:TGID_Y_EN: 0
; COMPUTE_PGM_RSRC2:TGID_Z_EN: 0
; COMPUTE_PGM_RSRC2:TIDIG_COMP_CNT: 0
	.section	.text._ZN7rocprim17ROCPRIM_400000_NS6detail17trampoline_kernelINS0_14default_configENS1_38merge_sort_block_merge_config_selectorIyNS0_10empty_typeEEEZZNS1_27merge_sort_block_merge_implIS3_N6thrust23THRUST_200600_302600_NS6detail15normal_iteratorINS9_10device_ptrIyEEEEPS5_m11less_div_10IyEEE10hipError_tT0_T1_T2_jT3_P12ihipStream_tbPNSt15iterator_traitsISJ_E10value_typeEPNSP_ISK_E10value_typeEPSL_NS1_7vsmem_tEENKUlT_SJ_SK_SL_E_clIPySE_SF_SF_EESI_SY_SJ_SK_SL_EUlSY_E1_NS1_11comp_targetILNS1_3genE8ELNS1_11target_archE1030ELNS1_3gpuE2ELNS1_3repE0EEENS1_36merge_oddeven_config_static_selectorELNS0_4arch9wavefront6targetE0EEEvSK_,"axG",@progbits,_ZN7rocprim17ROCPRIM_400000_NS6detail17trampoline_kernelINS0_14default_configENS1_38merge_sort_block_merge_config_selectorIyNS0_10empty_typeEEEZZNS1_27merge_sort_block_merge_implIS3_N6thrust23THRUST_200600_302600_NS6detail15normal_iteratorINS9_10device_ptrIyEEEEPS5_m11less_div_10IyEEE10hipError_tT0_T1_T2_jT3_P12ihipStream_tbPNSt15iterator_traitsISJ_E10value_typeEPNSP_ISK_E10value_typeEPSL_NS1_7vsmem_tEENKUlT_SJ_SK_SL_E_clIPySE_SF_SF_EESI_SY_SJ_SK_SL_EUlSY_E1_NS1_11comp_targetILNS1_3genE8ELNS1_11target_archE1030ELNS1_3gpuE2ELNS1_3repE0EEENS1_36merge_oddeven_config_static_selectorELNS0_4arch9wavefront6targetE0EEEvSK_,comdat
	.protected	_ZN7rocprim17ROCPRIM_400000_NS6detail17trampoline_kernelINS0_14default_configENS1_38merge_sort_block_merge_config_selectorIyNS0_10empty_typeEEEZZNS1_27merge_sort_block_merge_implIS3_N6thrust23THRUST_200600_302600_NS6detail15normal_iteratorINS9_10device_ptrIyEEEEPS5_m11less_div_10IyEEE10hipError_tT0_T1_T2_jT3_P12ihipStream_tbPNSt15iterator_traitsISJ_E10value_typeEPNSP_ISK_E10value_typeEPSL_NS1_7vsmem_tEENKUlT_SJ_SK_SL_E_clIPySE_SF_SF_EESI_SY_SJ_SK_SL_EUlSY_E1_NS1_11comp_targetILNS1_3genE8ELNS1_11target_archE1030ELNS1_3gpuE2ELNS1_3repE0EEENS1_36merge_oddeven_config_static_selectorELNS0_4arch9wavefront6targetE0EEEvSK_ ; -- Begin function _ZN7rocprim17ROCPRIM_400000_NS6detail17trampoline_kernelINS0_14default_configENS1_38merge_sort_block_merge_config_selectorIyNS0_10empty_typeEEEZZNS1_27merge_sort_block_merge_implIS3_N6thrust23THRUST_200600_302600_NS6detail15normal_iteratorINS9_10device_ptrIyEEEEPS5_m11less_div_10IyEEE10hipError_tT0_T1_T2_jT3_P12ihipStream_tbPNSt15iterator_traitsISJ_E10value_typeEPNSP_ISK_E10value_typeEPSL_NS1_7vsmem_tEENKUlT_SJ_SK_SL_E_clIPySE_SF_SF_EESI_SY_SJ_SK_SL_EUlSY_E1_NS1_11comp_targetILNS1_3genE8ELNS1_11target_archE1030ELNS1_3gpuE2ELNS1_3repE0EEENS1_36merge_oddeven_config_static_selectorELNS0_4arch9wavefront6targetE0EEEvSK_
	.globl	_ZN7rocprim17ROCPRIM_400000_NS6detail17trampoline_kernelINS0_14default_configENS1_38merge_sort_block_merge_config_selectorIyNS0_10empty_typeEEEZZNS1_27merge_sort_block_merge_implIS3_N6thrust23THRUST_200600_302600_NS6detail15normal_iteratorINS9_10device_ptrIyEEEEPS5_m11less_div_10IyEEE10hipError_tT0_T1_T2_jT3_P12ihipStream_tbPNSt15iterator_traitsISJ_E10value_typeEPNSP_ISK_E10value_typeEPSL_NS1_7vsmem_tEENKUlT_SJ_SK_SL_E_clIPySE_SF_SF_EESI_SY_SJ_SK_SL_EUlSY_E1_NS1_11comp_targetILNS1_3genE8ELNS1_11target_archE1030ELNS1_3gpuE2ELNS1_3repE0EEENS1_36merge_oddeven_config_static_selectorELNS0_4arch9wavefront6targetE0EEEvSK_
	.p2align	8
	.type	_ZN7rocprim17ROCPRIM_400000_NS6detail17trampoline_kernelINS0_14default_configENS1_38merge_sort_block_merge_config_selectorIyNS0_10empty_typeEEEZZNS1_27merge_sort_block_merge_implIS3_N6thrust23THRUST_200600_302600_NS6detail15normal_iteratorINS9_10device_ptrIyEEEEPS5_m11less_div_10IyEEE10hipError_tT0_T1_T2_jT3_P12ihipStream_tbPNSt15iterator_traitsISJ_E10value_typeEPNSP_ISK_E10value_typeEPSL_NS1_7vsmem_tEENKUlT_SJ_SK_SL_E_clIPySE_SF_SF_EESI_SY_SJ_SK_SL_EUlSY_E1_NS1_11comp_targetILNS1_3genE8ELNS1_11target_archE1030ELNS1_3gpuE2ELNS1_3repE0EEENS1_36merge_oddeven_config_static_selectorELNS0_4arch9wavefront6targetE0EEEvSK_,@function
_ZN7rocprim17ROCPRIM_400000_NS6detail17trampoline_kernelINS0_14default_configENS1_38merge_sort_block_merge_config_selectorIyNS0_10empty_typeEEEZZNS1_27merge_sort_block_merge_implIS3_N6thrust23THRUST_200600_302600_NS6detail15normal_iteratorINS9_10device_ptrIyEEEEPS5_m11less_div_10IyEEE10hipError_tT0_T1_T2_jT3_P12ihipStream_tbPNSt15iterator_traitsISJ_E10value_typeEPNSP_ISK_E10value_typeEPSL_NS1_7vsmem_tEENKUlT_SJ_SK_SL_E_clIPySE_SF_SF_EESI_SY_SJ_SK_SL_EUlSY_E1_NS1_11comp_targetILNS1_3genE8ELNS1_11target_archE1030ELNS1_3gpuE2ELNS1_3repE0EEENS1_36merge_oddeven_config_static_selectorELNS0_4arch9wavefront6targetE0EEEvSK_: ; @_ZN7rocprim17ROCPRIM_400000_NS6detail17trampoline_kernelINS0_14default_configENS1_38merge_sort_block_merge_config_selectorIyNS0_10empty_typeEEEZZNS1_27merge_sort_block_merge_implIS3_N6thrust23THRUST_200600_302600_NS6detail15normal_iteratorINS9_10device_ptrIyEEEEPS5_m11less_div_10IyEEE10hipError_tT0_T1_T2_jT3_P12ihipStream_tbPNSt15iterator_traitsISJ_E10value_typeEPNSP_ISK_E10value_typeEPSL_NS1_7vsmem_tEENKUlT_SJ_SK_SL_E_clIPySE_SF_SF_EESI_SY_SJ_SK_SL_EUlSY_E1_NS1_11comp_targetILNS1_3genE8ELNS1_11target_archE1030ELNS1_3gpuE2ELNS1_3repE0EEENS1_36merge_oddeven_config_static_selectorELNS0_4arch9wavefront6targetE0EEEvSK_
; %bb.0:
	s_load_dword s7, s[4:5], 0x20
	s_waitcnt lgkmcnt(0)
	s_lshr_b32 s0, s7, 8
	s_cmp_lg_u32 s6, s0
	s_cselect_b32 s13, -1, 0
	s_cmp_eq_u32 s6, s0
	s_cselect_b32 s12, -1, 0
	s_lshl_b32 s2, s6, 8
	s_sub_i32 s0, s7, s2
	v_cmp_gt_u32_e64 s1, s0, v0
	s_or_b32 s0, s13, s1
	s_and_saveexec_b32 s3, s0
	s_cbranch_execz .LBB47_20
; %bb.1:
	s_load_dwordx4 s[8:11], s[4:5], 0x0
	s_mov_b32 s3, 0
	v_lshlrev_b32_e32 v1, 3, v0
	s_lshl_b64 s[14:15], s[2:3], 3
	s_load_dword s5, s[4:5], 0x28
	v_add_nc_u32_e32 v3, s2, v0
	s_waitcnt lgkmcnt(0)
	s_add_u32 s14, s8, s14
	s_addc_u32 s15, s9, s15
	global_load_dwordx2 v[1:2], v1, s[14:15]
	s_lshr_b32 s0, s5, 8
	s_sub_i32 s4, 0, s0
	s_and_b32 s4, s6, s4
	s_and_b32 s0, s4, s0
	s_lshl_b32 s6, s4, 8
	s_sub_i32 s4, 0, s5
	s_cmp_eq_u32 s0, 0
	s_cselect_b32 s0, -1, 0
	s_and_b32 s14, s0, exec_lo
	s_cselect_b32 s4, s5, s4
	s_add_i32 s4, s4, s6
	s_cmp_lt_u32 s4, s7
	s_cbranch_scc1 .LBB47_3
; %bb.2:
	v_cmp_gt_u32_e32 vcc_lo, s7, v3
	s_or_b32 s3, vcc_lo, s13
	s_and_b32 s3, s3, exec_lo
	s_cbranch_execz .LBB47_4
	s_branch .LBB47_18
.LBB47_3:
.LBB47_4:
	s_waitcnt vmcnt(0)
	v_mul_hi_i32 v0, 0x66666667, v1
	s_min_u32 s2, s4, s7
	s_and_b32 vcc_lo, exec_lo, s12
	s_add_i32 s13, s6, s2
	s_min_u32 s6, s6, s2
	v_subrev_nc_u32_e32 v3, s13, v3
	s_add_i32 s5, s2, s5
	s_min_u32 s5, s5, s7
	v_lshrrev_b32_e32 v4, 31, v0
	v_ashrrev_i32_e32 v5, 2, v0
	v_add_nc_u32_e32 v0, s6, v3
	v_add_nc_u32_e32 v5, v5, v4
	s_cbranch_vccz .LBB47_12
; %bb.5:
                                        ; implicit-def: $vgpr3
	s_and_saveexec_b32 s6, s1
	s_cbranch_execz .LBB47_11
; %bb.6:
	v_mov_b32_e32 v6, s2
	s_cmp_ge_u32 s4, s5
	s_cbranch_scc1 .LBB47_10
; %bb.7:
	v_mov_b32_e32 v7, s5
	v_mov_b32_e32 v6, s2
	;; [unrolled: 1-line block ×3, first 2 shown]
	s_mov_b32 s1, 0
	s_inst_prefetch 0x1
	.p2align	6
.LBB47_8:                               ; =>This Inner Loop Header: Depth=1
	v_add_nc_u32_e32 v3, v6, v7
	v_lshrrev_b32_e32 v3, 1, v3
	v_lshlrev_b64 v[8:9], 3, v[3:4]
	v_add_co_u32 v8, vcc_lo, s8, v8
	v_add_co_ci_u32_e64 v9, null, s9, v9, vcc_lo
	global_load_dword v8, v[8:9], off
	s_waitcnt vmcnt(0)
	v_mul_hi_i32 v8, 0x66666667, v8
	v_lshrrev_b32_e32 v9, 31, v8
	v_ashrrev_i32_e32 v8, 2, v8
	v_add_nc_u32_e32 v8, v8, v9
	v_cmp_lt_i32_e32 vcc_lo, v8, v5
	v_cndmask_b32_e64 v9, 0, 1, vcc_lo
	v_cmp_ge_i32_e32 vcc_lo, v5, v8
	v_cndmask_b32_e64 v8, 0, 1, vcc_lo
	v_cndmask_b32_e64 v8, v8, v9, s0
	v_add_nc_u32_e32 v9, 1, v3
	v_and_b32_e32 v8, 1, v8
	v_cmp_eq_u32_e32 vcc_lo, 1, v8
	v_cndmask_b32_e32 v7, v3, v7, vcc_lo
	v_cndmask_b32_e32 v6, v6, v9, vcc_lo
	v_cmp_ge_u32_e32 vcc_lo, v6, v7
	s_or_b32 s1, vcc_lo, s1
	s_andn2_b32 exec_lo, exec_lo, s1
	s_cbranch_execnz .LBB47_8
; %bb.9:
	s_inst_prefetch 0x2
	s_or_b32 exec_lo, exec_lo, s1
.LBB47_10:
	v_add_nc_u32_e32 v3, v6, v0
	s_or_b32 s3, s3, exec_lo
.LBB47_11:
	s_or_b32 exec_lo, exec_lo, s6
	s_branch .LBB47_18
.LBB47_12:
                                        ; implicit-def: $vgpr3
	s_cbranch_execz .LBB47_18
; %bb.13:
	v_mov_b32_e32 v6, s2
	s_cmp_ge_u32 s4, s5
	s_cbranch_scc1 .LBB47_17
; %bb.14:
	v_mov_b32_e32 v7, s5
	v_mov_b32_e32 v6, s2
	;; [unrolled: 1-line block ×3, first 2 shown]
	s_mov_b32 s1, 0
	s_inst_prefetch 0x1
	.p2align	6
.LBB47_15:                              ; =>This Inner Loop Header: Depth=1
	v_add_nc_u32_e32 v3, v6, v7
	v_lshrrev_b32_e32 v3, 1, v3
	v_lshlrev_b64 v[8:9], 3, v[3:4]
	v_add_co_u32 v8, vcc_lo, s8, v8
	v_add_co_ci_u32_e64 v9, null, s9, v9, vcc_lo
	global_load_dword v8, v[8:9], off
	s_waitcnt vmcnt(0)
	v_mul_hi_i32 v8, 0x66666667, v8
	v_lshrrev_b32_e32 v9, 31, v8
	v_ashrrev_i32_e32 v8, 2, v8
	v_add_nc_u32_e32 v8, v8, v9
	v_cmp_lt_i32_e32 vcc_lo, v8, v5
	v_cndmask_b32_e64 v9, 0, 1, vcc_lo
	v_cmp_ge_i32_e32 vcc_lo, v5, v8
	v_cndmask_b32_e64 v8, 0, 1, vcc_lo
	v_cndmask_b32_e64 v8, v8, v9, s0
	v_add_nc_u32_e32 v9, 1, v3
	v_and_b32_e32 v8, 1, v8
	v_cmp_eq_u32_e32 vcc_lo, 1, v8
	v_cndmask_b32_e32 v7, v3, v7, vcc_lo
	v_cndmask_b32_e32 v6, v6, v9, vcc_lo
	v_cmp_ge_u32_e32 vcc_lo, v6, v7
	s_or_b32 s1, vcc_lo, s1
	s_andn2_b32 exec_lo, exec_lo, s1
	s_cbranch_execnz .LBB47_15
; %bb.16:
	s_inst_prefetch 0x2
	s_or_b32 exec_lo, exec_lo, s1
.LBB47_17:
	v_add_nc_u32_e32 v3, v6, v0
	s_mov_b32 s3, -1
.LBB47_18:
	s_and_b32 exec_lo, exec_lo, s3
	s_cbranch_execz .LBB47_20
; %bb.19:
	v_mov_b32_e32 v4, 0
	v_lshlrev_b64 v[3:4], 3, v[3:4]
	v_add_co_u32 v3, vcc_lo, s10, v3
	v_add_co_ci_u32_e64 v4, null, s11, v4, vcc_lo
	s_waitcnt vmcnt(0)
	global_store_dwordx2 v[3:4], v[1:2], off
.LBB47_20:
	s_endpgm
	.section	.rodata,"a",@progbits
	.p2align	6, 0x0
	.amdhsa_kernel _ZN7rocprim17ROCPRIM_400000_NS6detail17trampoline_kernelINS0_14default_configENS1_38merge_sort_block_merge_config_selectorIyNS0_10empty_typeEEEZZNS1_27merge_sort_block_merge_implIS3_N6thrust23THRUST_200600_302600_NS6detail15normal_iteratorINS9_10device_ptrIyEEEEPS5_m11less_div_10IyEEE10hipError_tT0_T1_T2_jT3_P12ihipStream_tbPNSt15iterator_traitsISJ_E10value_typeEPNSP_ISK_E10value_typeEPSL_NS1_7vsmem_tEENKUlT_SJ_SK_SL_E_clIPySE_SF_SF_EESI_SY_SJ_SK_SL_EUlSY_E1_NS1_11comp_targetILNS1_3genE8ELNS1_11target_archE1030ELNS1_3gpuE2ELNS1_3repE0EEENS1_36merge_oddeven_config_static_selectorELNS0_4arch9wavefront6targetE0EEEvSK_
		.amdhsa_group_segment_fixed_size 0
		.amdhsa_private_segment_fixed_size 0
		.amdhsa_kernarg_size 56
		.amdhsa_user_sgpr_count 6
		.amdhsa_user_sgpr_private_segment_buffer 1
		.amdhsa_user_sgpr_dispatch_ptr 0
		.amdhsa_user_sgpr_queue_ptr 0
		.amdhsa_user_sgpr_kernarg_segment_ptr 1
		.amdhsa_user_sgpr_dispatch_id 0
		.amdhsa_user_sgpr_flat_scratch_init 0
		.amdhsa_user_sgpr_private_segment_size 0
		.amdhsa_wavefront_size32 1
		.amdhsa_uses_dynamic_stack 0
		.amdhsa_system_sgpr_private_segment_wavefront_offset 0
		.amdhsa_system_sgpr_workgroup_id_x 1
		.amdhsa_system_sgpr_workgroup_id_y 0
		.amdhsa_system_sgpr_workgroup_id_z 0
		.amdhsa_system_sgpr_workgroup_info 0
		.amdhsa_system_vgpr_workitem_id 0
		.amdhsa_next_free_vgpr 10
		.amdhsa_next_free_sgpr 16
		.amdhsa_reserve_vcc 1
		.amdhsa_reserve_flat_scratch 0
		.amdhsa_float_round_mode_32 0
		.amdhsa_float_round_mode_16_64 0
		.amdhsa_float_denorm_mode_32 3
		.amdhsa_float_denorm_mode_16_64 3
		.amdhsa_dx10_clamp 1
		.amdhsa_ieee_mode 1
		.amdhsa_fp16_overflow 0
		.amdhsa_workgroup_processor_mode 1
		.amdhsa_memory_ordered 1
		.amdhsa_forward_progress 1
		.amdhsa_shared_vgpr_count 0
		.amdhsa_exception_fp_ieee_invalid_op 0
		.amdhsa_exception_fp_denorm_src 0
		.amdhsa_exception_fp_ieee_div_zero 0
		.amdhsa_exception_fp_ieee_overflow 0
		.amdhsa_exception_fp_ieee_underflow 0
		.amdhsa_exception_fp_ieee_inexact 0
		.amdhsa_exception_int_div_zero 0
	.end_amdhsa_kernel
	.section	.text._ZN7rocprim17ROCPRIM_400000_NS6detail17trampoline_kernelINS0_14default_configENS1_38merge_sort_block_merge_config_selectorIyNS0_10empty_typeEEEZZNS1_27merge_sort_block_merge_implIS3_N6thrust23THRUST_200600_302600_NS6detail15normal_iteratorINS9_10device_ptrIyEEEEPS5_m11less_div_10IyEEE10hipError_tT0_T1_T2_jT3_P12ihipStream_tbPNSt15iterator_traitsISJ_E10value_typeEPNSP_ISK_E10value_typeEPSL_NS1_7vsmem_tEENKUlT_SJ_SK_SL_E_clIPySE_SF_SF_EESI_SY_SJ_SK_SL_EUlSY_E1_NS1_11comp_targetILNS1_3genE8ELNS1_11target_archE1030ELNS1_3gpuE2ELNS1_3repE0EEENS1_36merge_oddeven_config_static_selectorELNS0_4arch9wavefront6targetE0EEEvSK_,"axG",@progbits,_ZN7rocprim17ROCPRIM_400000_NS6detail17trampoline_kernelINS0_14default_configENS1_38merge_sort_block_merge_config_selectorIyNS0_10empty_typeEEEZZNS1_27merge_sort_block_merge_implIS3_N6thrust23THRUST_200600_302600_NS6detail15normal_iteratorINS9_10device_ptrIyEEEEPS5_m11less_div_10IyEEE10hipError_tT0_T1_T2_jT3_P12ihipStream_tbPNSt15iterator_traitsISJ_E10value_typeEPNSP_ISK_E10value_typeEPSL_NS1_7vsmem_tEENKUlT_SJ_SK_SL_E_clIPySE_SF_SF_EESI_SY_SJ_SK_SL_EUlSY_E1_NS1_11comp_targetILNS1_3genE8ELNS1_11target_archE1030ELNS1_3gpuE2ELNS1_3repE0EEENS1_36merge_oddeven_config_static_selectorELNS0_4arch9wavefront6targetE0EEEvSK_,comdat
.Lfunc_end47:
	.size	_ZN7rocprim17ROCPRIM_400000_NS6detail17trampoline_kernelINS0_14default_configENS1_38merge_sort_block_merge_config_selectorIyNS0_10empty_typeEEEZZNS1_27merge_sort_block_merge_implIS3_N6thrust23THRUST_200600_302600_NS6detail15normal_iteratorINS9_10device_ptrIyEEEEPS5_m11less_div_10IyEEE10hipError_tT0_T1_T2_jT3_P12ihipStream_tbPNSt15iterator_traitsISJ_E10value_typeEPNSP_ISK_E10value_typeEPSL_NS1_7vsmem_tEENKUlT_SJ_SK_SL_E_clIPySE_SF_SF_EESI_SY_SJ_SK_SL_EUlSY_E1_NS1_11comp_targetILNS1_3genE8ELNS1_11target_archE1030ELNS1_3gpuE2ELNS1_3repE0EEENS1_36merge_oddeven_config_static_selectorELNS0_4arch9wavefront6targetE0EEEvSK_, .Lfunc_end47-_ZN7rocprim17ROCPRIM_400000_NS6detail17trampoline_kernelINS0_14default_configENS1_38merge_sort_block_merge_config_selectorIyNS0_10empty_typeEEEZZNS1_27merge_sort_block_merge_implIS3_N6thrust23THRUST_200600_302600_NS6detail15normal_iteratorINS9_10device_ptrIyEEEEPS5_m11less_div_10IyEEE10hipError_tT0_T1_T2_jT3_P12ihipStream_tbPNSt15iterator_traitsISJ_E10value_typeEPNSP_ISK_E10value_typeEPSL_NS1_7vsmem_tEENKUlT_SJ_SK_SL_E_clIPySE_SF_SF_EESI_SY_SJ_SK_SL_EUlSY_E1_NS1_11comp_targetILNS1_3genE8ELNS1_11target_archE1030ELNS1_3gpuE2ELNS1_3repE0EEENS1_36merge_oddeven_config_static_selectorELNS0_4arch9wavefront6targetE0EEEvSK_
                                        ; -- End function
	.set _ZN7rocprim17ROCPRIM_400000_NS6detail17trampoline_kernelINS0_14default_configENS1_38merge_sort_block_merge_config_selectorIyNS0_10empty_typeEEEZZNS1_27merge_sort_block_merge_implIS3_N6thrust23THRUST_200600_302600_NS6detail15normal_iteratorINS9_10device_ptrIyEEEEPS5_m11less_div_10IyEEE10hipError_tT0_T1_T2_jT3_P12ihipStream_tbPNSt15iterator_traitsISJ_E10value_typeEPNSP_ISK_E10value_typeEPSL_NS1_7vsmem_tEENKUlT_SJ_SK_SL_E_clIPySE_SF_SF_EESI_SY_SJ_SK_SL_EUlSY_E1_NS1_11comp_targetILNS1_3genE8ELNS1_11target_archE1030ELNS1_3gpuE2ELNS1_3repE0EEENS1_36merge_oddeven_config_static_selectorELNS0_4arch9wavefront6targetE0EEEvSK_.num_vgpr, 10
	.set _ZN7rocprim17ROCPRIM_400000_NS6detail17trampoline_kernelINS0_14default_configENS1_38merge_sort_block_merge_config_selectorIyNS0_10empty_typeEEEZZNS1_27merge_sort_block_merge_implIS3_N6thrust23THRUST_200600_302600_NS6detail15normal_iteratorINS9_10device_ptrIyEEEEPS5_m11less_div_10IyEEE10hipError_tT0_T1_T2_jT3_P12ihipStream_tbPNSt15iterator_traitsISJ_E10value_typeEPNSP_ISK_E10value_typeEPSL_NS1_7vsmem_tEENKUlT_SJ_SK_SL_E_clIPySE_SF_SF_EESI_SY_SJ_SK_SL_EUlSY_E1_NS1_11comp_targetILNS1_3genE8ELNS1_11target_archE1030ELNS1_3gpuE2ELNS1_3repE0EEENS1_36merge_oddeven_config_static_selectorELNS0_4arch9wavefront6targetE0EEEvSK_.num_agpr, 0
	.set _ZN7rocprim17ROCPRIM_400000_NS6detail17trampoline_kernelINS0_14default_configENS1_38merge_sort_block_merge_config_selectorIyNS0_10empty_typeEEEZZNS1_27merge_sort_block_merge_implIS3_N6thrust23THRUST_200600_302600_NS6detail15normal_iteratorINS9_10device_ptrIyEEEEPS5_m11less_div_10IyEEE10hipError_tT0_T1_T2_jT3_P12ihipStream_tbPNSt15iterator_traitsISJ_E10value_typeEPNSP_ISK_E10value_typeEPSL_NS1_7vsmem_tEENKUlT_SJ_SK_SL_E_clIPySE_SF_SF_EESI_SY_SJ_SK_SL_EUlSY_E1_NS1_11comp_targetILNS1_3genE8ELNS1_11target_archE1030ELNS1_3gpuE2ELNS1_3repE0EEENS1_36merge_oddeven_config_static_selectorELNS0_4arch9wavefront6targetE0EEEvSK_.numbered_sgpr, 16
	.set _ZN7rocprim17ROCPRIM_400000_NS6detail17trampoline_kernelINS0_14default_configENS1_38merge_sort_block_merge_config_selectorIyNS0_10empty_typeEEEZZNS1_27merge_sort_block_merge_implIS3_N6thrust23THRUST_200600_302600_NS6detail15normal_iteratorINS9_10device_ptrIyEEEEPS5_m11less_div_10IyEEE10hipError_tT0_T1_T2_jT3_P12ihipStream_tbPNSt15iterator_traitsISJ_E10value_typeEPNSP_ISK_E10value_typeEPSL_NS1_7vsmem_tEENKUlT_SJ_SK_SL_E_clIPySE_SF_SF_EESI_SY_SJ_SK_SL_EUlSY_E1_NS1_11comp_targetILNS1_3genE8ELNS1_11target_archE1030ELNS1_3gpuE2ELNS1_3repE0EEENS1_36merge_oddeven_config_static_selectorELNS0_4arch9wavefront6targetE0EEEvSK_.num_named_barrier, 0
	.set _ZN7rocprim17ROCPRIM_400000_NS6detail17trampoline_kernelINS0_14default_configENS1_38merge_sort_block_merge_config_selectorIyNS0_10empty_typeEEEZZNS1_27merge_sort_block_merge_implIS3_N6thrust23THRUST_200600_302600_NS6detail15normal_iteratorINS9_10device_ptrIyEEEEPS5_m11less_div_10IyEEE10hipError_tT0_T1_T2_jT3_P12ihipStream_tbPNSt15iterator_traitsISJ_E10value_typeEPNSP_ISK_E10value_typeEPSL_NS1_7vsmem_tEENKUlT_SJ_SK_SL_E_clIPySE_SF_SF_EESI_SY_SJ_SK_SL_EUlSY_E1_NS1_11comp_targetILNS1_3genE8ELNS1_11target_archE1030ELNS1_3gpuE2ELNS1_3repE0EEENS1_36merge_oddeven_config_static_selectorELNS0_4arch9wavefront6targetE0EEEvSK_.private_seg_size, 0
	.set _ZN7rocprim17ROCPRIM_400000_NS6detail17trampoline_kernelINS0_14default_configENS1_38merge_sort_block_merge_config_selectorIyNS0_10empty_typeEEEZZNS1_27merge_sort_block_merge_implIS3_N6thrust23THRUST_200600_302600_NS6detail15normal_iteratorINS9_10device_ptrIyEEEEPS5_m11less_div_10IyEEE10hipError_tT0_T1_T2_jT3_P12ihipStream_tbPNSt15iterator_traitsISJ_E10value_typeEPNSP_ISK_E10value_typeEPSL_NS1_7vsmem_tEENKUlT_SJ_SK_SL_E_clIPySE_SF_SF_EESI_SY_SJ_SK_SL_EUlSY_E1_NS1_11comp_targetILNS1_3genE8ELNS1_11target_archE1030ELNS1_3gpuE2ELNS1_3repE0EEENS1_36merge_oddeven_config_static_selectorELNS0_4arch9wavefront6targetE0EEEvSK_.uses_vcc, 1
	.set _ZN7rocprim17ROCPRIM_400000_NS6detail17trampoline_kernelINS0_14default_configENS1_38merge_sort_block_merge_config_selectorIyNS0_10empty_typeEEEZZNS1_27merge_sort_block_merge_implIS3_N6thrust23THRUST_200600_302600_NS6detail15normal_iteratorINS9_10device_ptrIyEEEEPS5_m11less_div_10IyEEE10hipError_tT0_T1_T2_jT3_P12ihipStream_tbPNSt15iterator_traitsISJ_E10value_typeEPNSP_ISK_E10value_typeEPSL_NS1_7vsmem_tEENKUlT_SJ_SK_SL_E_clIPySE_SF_SF_EESI_SY_SJ_SK_SL_EUlSY_E1_NS1_11comp_targetILNS1_3genE8ELNS1_11target_archE1030ELNS1_3gpuE2ELNS1_3repE0EEENS1_36merge_oddeven_config_static_selectorELNS0_4arch9wavefront6targetE0EEEvSK_.uses_flat_scratch, 0
	.set _ZN7rocprim17ROCPRIM_400000_NS6detail17trampoline_kernelINS0_14default_configENS1_38merge_sort_block_merge_config_selectorIyNS0_10empty_typeEEEZZNS1_27merge_sort_block_merge_implIS3_N6thrust23THRUST_200600_302600_NS6detail15normal_iteratorINS9_10device_ptrIyEEEEPS5_m11less_div_10IyEEE10hipError_tT0_T1_T2_jT3_P12ihipStream_tbPNSt15iterator_traitsISJ_E10value_typeEPNSP_ISK_E10value_typeEPSL_NS1_7vsmem_tEENKUlT_SJ_SK_SL_E_clIPySE_SF_SF_EESI_SY_SJ_SK_SL_EUlSY_E1_NS1_11comp_targetILNS1_3genE8ELNS1_11target_archE1030ELNS1_3gpuE2ELNS1_3repE0EEENS1_36merge_oddeven_config_static_selectorELNS0_4arch9wavefront6targetE0EEEvSK_.has_dyn_sized_stack, 0
	.set _ZN7rocprim17ROCPRIM_400000_NS6detail17trampoline_kernelINS0_14default_configENS1_38merge_sort_block_merge_config_selectorIyNS0_10empty_typeEEEZZNS1_27merge_sort_block_merge_implIS3_N6thrust23THRUST_200600_302600_NS6detail15normal_iteratorINS9_10device_ptrIyEEEEPS5_m11less_div_10IyEEE10hipError_tT0_T1_T2_jT3_P12ihipStream_tbPNSt15iterator_traitsISJ_E10value_typeEPNSP_ISK_E10value_typeEPSL_NS1_7vsmem_tEENKUlT_SJ_SK_SL_E_clIPySE_SF_SF_EESI_SY_SJ_SK_SL_EUlSY_E1_NS1_11comp_targetILNS1_3genE8ELNS1_11target_archE1030ELNS1_3gpuE2ELNS1_3repE0EEENS1_36merge_oddeven_config_static_selectorELNS0_4arch9wavefront6targetE0EEEvSK_.has_recursion, 0
	.set _ZN7rocprim17ROCPRIM_400000_NS6detail17trampoline_kernelINS0_14default_configENS1_38merge_sort_block_merge_config_selectorIyNS0_10empty_typeEEEZZNS1_27merge_sort_block_merge_implIS3_N6thrust23THRUST_200600_302600_NS6detail15normal_iteratorINS9_10device_ptrIyEEEEPS5_m11less_div_10IyEEE10hipError_tT0_T1_T2_jT3_P12ihipStream_tbPNSt15iterator_traitsISJ_E10value_typeEPNSP_ISK_E10value_typeEPSL_NS1_7vsmem_tEENKUlT_SJ_SK_SL_E_clIPySE_SF_SF_EESI_SY_SJ_SK_SL_EUlSY_E1_NS1_11comp_targetILNS1_3genE8ELNS1_11target_archE1030ELNS1_3gpuE2ELNS1_3repE0EEENS1_36merge_oddeven_config_static_selectorELNS0_4arch9wavefront6targetE0EEEvSK_.has_indirect_call, 0
	.section	.AMDGPU.csdata,"",@progbits
; Kernel info:
; codeLenInByte = 780
; TotalNumSgprs: 18
; NumVgprs: 10
; ScratchSize: 0
; MemoryBound: 0
; FloatMode: 240
; IeeeMode: 1
; LDSByteSize: 0 bytes/workgroup (compile time only)
; SGPRBlocks: 0
; VGPRBlocks: 1
; NumSGPRsForWavesPerEU: 18
; NumVGPRsForWavesPerEU: 10
; Occupancy: 16
; WaveLimiterHint : 0
; COMPUTE_PGM_RSRC2:SCRATCH_EN: 0
; COMPUTE_PGM_RSRC2:USER_SGPR: 6
; COMPUTE_PGM_RSRC2:TRAP_HANDLER: 0
; COMPUTE_PGM_RSRC2:TGID_X_EN: 1
; COMPUTE_PGM_RSRC2:TGID_Y_EN: 0
; COMPUTE_PGM_RSRC2:TGID_Z_EN: 0
; COMPUTE_PGM_RSRC2:TIDIG_COMP_CNT: 0
	.section	.text._ZN7rocprim17ROCPRIM_400000_NS6detail17trampoline_kernelINS0_14default_configENS1_38merge_sort_block_merge_config_selectorIyNS0_10empty_typeEEEZZNS1_27merge_sort_block_merge_implIS3_N6thrust23THRUST_200600_302600_NS6detail15normal_iteratorINS9_10device_ptrIyEEEEPS5_m11less_div_10IyEEE10hipError_tT0_T1_T2_jT3_P12ihipStream_tbPNSt15iterator_traitsISJ_E10value_typeEPNSP_ISK_E10value_typeEPSL_NS1_7vsmem_tEENKUlT_SJ_SK_SL_E_clISE_PySF_SF_EESI_SY_SJ_SK_SL_EUlSY_E_NS1_11comp_targetILNS1_3genE0ELNS1_11target_archE4294967295ELNS1_3gpuE0ELNS1_3repE0EEENS1_48merge_mergepath_partition_config_static_selectorELNS0_4arch9wavefront6targetE0EEEvSK_,"axG",@progbits,_ZN7rocprim17ROCPRIM_400000_NS6detail17trampoline_kernelINS0_14default_configENS1_38merge_sort_block_merge_config_selectorIyNS0_10empty_typeEEEZZNS1_27merge_sort_block_merge_implIS3_N6thrust23THRUST_200600_302600_NS6detail15normal_iteratorINS9_10device_ptrIyEEEEPS5_m11less_div_10IyEEE10hipError_tT0_T1_T2_jT3_P12ihipStream_tbPNSt15iterator_traitsISJ_E10value_typeEPNSP_ISK_E10value_typeEPSL_NS1_7vsmem_tEENKUlT_SJ_SK_SL_E_clISE_PySF_SF_EESI_SY_SJ_SK_SL_EUlSY_E_NS1_11comp_targetILNS1_3genE0ELNS1_11target_archE4294967295ELNS1_3gpuE0ELNS1_3repE0EEENS1_48merge_mergepath_partition_config_static_selectorELNS0_4arch9wavefront6targetE0EEEvSK_,comdat
	.protected	_ZN7rocprim17ROCPRIM_400000_NS6detail17trampoline_kernelINS0_14default_configENS1_38merge_sort_block_merge_config_selectorIyNS0_10empty_typeEEEZZNS1_27merge_sort_block_merge_implIS3_N6thrust23THRUST_200600_302600_NS6detail15normal_iteratorINS9_10device_ptrIyEEEEPS5_m11less_div_10IyEEE10hipError_tT0_T1_T2_jT3_P12ihipStream_tbPNSt15iterator_traitsISJ_E10value_typeEPNSP_ISK_E10value_typeEPSL_NS1_7vsmem_tEENKUlT_SJ_SK_SL_E_clISE_PySF_SF_EESI_SY_SJ_SK_SL_EUlSY_E_NS1_11comp_targetILNS1_3genE0ELNS1_11target_archE4294967295ELNS1_3gpuE0ELNS1_3repE0EEENS1_48merge_mergepath_partition_config_static_selectorELNS0_4arch9wavefront6targetE0EEEvSK_ ; -- Begin function _ZN7rocprim17ROCPRIM_400000_NS6detail17trampoline_kernelINS0_14default_configENS1_38merge_sort_block_merge_config_selectorIyNS0_10empty_typeEEEZZNS1_27merge_sort_block_merge_implIS3_N6thrust23THRUST_200600_302600_NS6detail15normal_iteratorINS9_10device_ptrIyEEEEPS5_m11less_div_10IyEEE10hipError_tT0_T1_T2_jT3_P12ihipStream_tbPNSt15iterator_traitsISJ_E10value_typeEPNSP_ISK_E10value_typeEPSL_NS1_7vsmem_tEENKUlT_SJ_SK_SL_E_clISE_PySF_SF_EESI_SY_SJ_SK_SL_EUlSY_E_NS1_11comp_targetILNS1_3genE0ELNS1_11target_archE4294967295ELNS1_3gpuE0ELNS1_3repE0EEENS1_48merge_mergepath_partition_config_static_selectorELNS0_4arch9wavefront6targetE0EEEvSK_
	.globl	_ZN7rocprim17ROCPRIM_400000_NS6detail17trampoline_kernelINS0_14default_configENS1_38merge_sort_block_merge_config_selectorIyNS0_10empty_typeEEEZZNS1_27merge_sort_block_merge_implIS3_N6thrust23THRUST_200600_302600_NS6detail15normal_iteratorINS9_10device_ptrIyEEEEPS5_m11less_div_10IyEEE10hipError_tT0_T1_T2_jT3_P12ihipStream_tbPNSt15iterator_traitsISJ_E10value_typeEPNSP_ISK_E10value_typeEPSL_NS1_7vsmem_tEENKUlT_SJ_SK_SL_E_clISE_PySF_SF_EESI_SY_SJ_SK_SL_EUlSY_E_NS1_11comp_targetILNS1_3genE0ELNS1_11target_archE4294967295ELNS1_3gpuE0ELNS1_3repE0EEENS1_48merge_mergepath_partition_config_static_selectorELNS0_4arch9wavefront6targetE0EEEvSK_
	.p2align	8
	.type	_ZN7rocprim17ROCPRIM_400000_NS6detail17trampoline_kernelINS0_14default_configENS1_38merge_sort_block_merge_config_selectorIyNS0_10empty_typeEEEZZNS1_27merge_sort_block_merge_implIS3_N6thrust23THRUST_200600_302600_NS6detail15normal_iteratorINS9_10device_ptrIyEEEEPS5_m11less_div_10IyEEE10hipError_tT0_T1_T2_jT3_P12ihipStream_tbPNSt15iterator_traitsISJ_E10value_typeEPNSP_ISK_E10value_typeEPSL_NS1_7vsmem_tEENKUlT_SJ_SK_SL_E_clISE_PySF_SF_EESI_SY_SJ_SK_SL_EUlSY_E_NS1_11comp_targetILNS1_3genE0ELNS1_11target_archE4294967295ELNS1_3gpuE0ELNS1_3repE0EEENS1_48merge_mergepath_partition_config_static_selectorELNS0_4arch9wavefront6targetE0EEEvSK_,@function
_ZN7rocprim17ROCPRIM_400000_NS6detail17trampoline_kernelINS0_14default_configENS1_38merge_sort_block_merge_config_selectorIyNS0_10empty_typeEEEZZNS1_27merge_sort_block_merge_implIS3_N6thrust23THRUST_200600_302600_NS6detail15normal_iteratorINS9_10device_ptrIyEEEEPS5_m11less_div_10IyEEE10hipError_tT0_T1_T2_jT3_P12ihipStream_tbPNSt15iterator_traitsISJ_E10value_typeEPNSP_ISK_E10value_typeEPSL_NS1_7vsmem_tEENKUlT_SJ_SK_SL_E_clISE_PySF_SF_EESI_SY_SJ_SK_SL_EUlSY_E_NS1_11comp_targetILNS1_3genE0ELNS1_11target_archE4294967295ELNS1_3gpuE0ELNS1_3repE0EEENS1_48merge_mergepath_partition_config_static_selectorELNS0_4arch9wavefront6targetE0EEEvSK_: ; @_ZN7rocprim17ROCPRIM_400000_NS6detail17trampoline_kernelINS0_14default_configENS1_38merge_sort_block_merge_config_selectorIyNS0_10empty_typeEEEZZNS1_27merge_sort_block_merge_implIS3_N6thrust23THRUST_200600_302600_NS6detail15normal_iteratorINS9_10device_ptrIyEEEEPS5_m11less_div_10IyEEE10hipError_tT0_T1_T2_jT3_P12ihipStream_tbPNSt15iterator_traitsISJ_E10value_typeEPNSP_ISK_E10value_typeEPSL_NS1_7vsmem_tEENKUlT_SJ_SK_SL_E_clISE_PySF_SF_EESI_SY_SJ_SK_SL_EUlSY_E_NS1_11comp_targetILNS1_3genE0ELNS1_11target_archE4294967295ELNS1_3gpuE0ELNS1_3repE0EEENS1_48merge_mergepath_partition_config_static_selectorELNS0_4arch9wavefront6targetE0EEEvSK_
; %bb.0:
	.section	.rodata,"a",@progbits
	.p2align	6, 0x0
	.amdhsa_kernel _ZN7rocprim17ROCPRIM_400000_NS6detail17trampoline_kernelINS0_14default_configENS1_38merge_sort_block_merge_config_selectorIyNS0_10empty_typeEEEZZNS1_27merge_sort_block_merge_implIS3_N6thrust23THRUST_200600_302600_NS6detail15normal_iteratorINS9_10device_ptrIyEEEEPS5_m11less_div_10IyEEE10hipError_tT0_T1_T2_jT3_P12ihipStream_tbPNSt15iterator_traitsISJ_E10value_typeEPNSP_ISK_E10value_typeEPSL_NS1_7vsmem_tEENKUlT_SJ_SK_SL_E_clISE_PySF_SF_EESI_SY_SJ_SK_SL_EUlSY_E_NS1_11comp_targetILNS1_3genE0ELNS1_11target_archE4294967295ELNS1_3gpuE0ELNS1_3repE0EEENS1_48merge_mergepath_partition_config_static_selectorELNS0_4arch9wavefront6targetE0EEEvSK_
		.amdhsa_group_segment_fixed_size 0
		.amdhsa_private_segment_fixed_size 0
		.amdhsa_kernarg_size 48
		.amdhsa_user_sgpr_count 6
		.amdhsa_user_sgpr_private_segment_buffer 1
		.amdhsa_user_sgpr_dispatch_ptr 0
		.amdhsa_user_sgpr_queue_ptr 0
		.amdhsa_user_sgpr_kernarg_segment_ptr 1
		.amdhsa_user_sgpr_dispatch_id 0
		.amdhsa_user_sgpr_flat_scratch_init 0
		.amdhsa_user_sgpr_private_segment_size 0
		.amdhsa_wavefront_size32 1
		.amdhsa_uses_dynamic_stack 0
		.amdhsa_system_sgpr_private_segment_wavefront_offset 0
		.amdhsa_system_sgpr_workgroup_id_x 1
		.amdhsa_system_sgpr_workgroup_id_y 0
		.amdhsa_system_sgpr_workgroup_id_z 0
		.amdhsa_system_sgpr_workgroup_info 0
		.amdhsa_system_vgpr_workitem_id 0
		.amdhsa_next_free_vgpr 1
		.amdhsa_next_free_sgpr 1
		.amdhsa_reserve_vcc 0
		.amdhsa_reserve_flat_scratch 0
		.amdhsa_float_round_mode_32 0
		.amdhsa_float_round_mode_16_64 0
		.amdhsa_float_denorm_mode_32 3
		.amdhsa_float_denorm_mode_16_64 3
		.amdhsa_dx10_clamp 1
		.amdhsa_ieee_mode 1
		.amdhsa_fp16_overflow 0
		.amdhsa_workgroup_processor_mode 1
		.amdhsa_memory_ordered 1
		.amdhsa_forward_progress 1
		.amdhsa_shared_vgpr_count 0
		.amdhsa_exception_fp_ieee_invalid_op 0
		.amdhsa_exception_fp_denorm_src 0
		.amdhsa_exception_fp_ieee_div_zero 0
		.amdhsa_exception_fp_ieee_overflow 0
		.amdhsa_exception_fp_ieee_underflow 0
		.amdhsa_exception_fp_ieee_inexact 0
		.amdhsa_exception_int_div_zero 0
	.end_amdhsa_kernel
	.section	.text._ZN7rocprim17ROCPRIM_400000_NS6detail17trampoline_kernelINS0_14default_configENS1_38merge_sort_block_merge_config_selectorIyNS0_10empty_typeEEEZZNS1_27merge_sort_block_merge_implIS3_N6thrust23THRUST_200600_302600_NS6detail15normal_iteratorINS9_10device_ptrIyEEEEPS5_m11less_div_10IyEEE10hipError_tT0_T1_T2_jT3_P12ihipStream_tbPNSt15iterator_traitsISJ_E10value_typeEPNSP_ISK_E10value_typeEPSL_NS1_7vsmem_tEENKUlT_SJ_SK_SL_E_clISE_PySF_SF_EESI_SY_SJ_SK_SL_EUlSY_E_NS1_11comp_targetILNS1_3genE0ELNS1_11target_archE4294967295ELNS1_3gpuE0ELNS1_3repE0EEENS1_48merge_mergepath_partition_config_static_selectorELNS0_4arch9wavefront6targetE0EEEvSK_,"axG",@progbits,_ZN7rocprim17ROCPRIM_400000_NS6detail17trampoline_kernelINS0_14default_configENS1_38merge_sort_block_merge_config_selectorIyNS0_10empty_typeEEEZZNS1_27merge_sort_block_merge_implIS3_N6thrust23THRUST_200600_302600_NS6detail15normal_iteratorINS9_10device_ptrIyEEEEPS5_m11less_div_10IyEEE10hipError_tT0_T1_T2_jT3_P12ihipStream_tbPNSt15iterator_traitsISJ_E10value_typeEPNSP_ISK_E10value_typeEPSL_NS1_7vsmem_tEENKUlT_SJ_SK_SL_E_clISE_PySF_SF_EESI_SY_SJ_SK_SL_EUlSY_E_NS1_11comp_targetILNS1_3genE0ELNS1_11target_archE4294967295ELNS1_3gpuE0ELNS1_3repE0EEENS1_48merge_mergepath_partition_config_static_selectorELNS0_4arch9wavefront6targetE0EEEvSK_,comdat
.Lfunc_end48:
	.size	_ZN7rocprim17ROCPRIM_400000_NS6detail17trampoline_kernelINS0_14default_configENS1_38merge_sort_block_merge_config_selectorIyNS0_10empty_typeEEEZZNS1_27merge_sort_block_merge_implIS3_N6thrust23THRUST_200600_302600_NS6detail15normal_iteratorINS9_10device_ptrIyEEEEPS5_m11less_div_10IyEEE10hipError_tT0_T1_T2_jT3_P12ihipStream_tbPNSt15iterator_traitsISJ_E10value_typeEPNSP_ISK_E10value_typeEPSL_NS1_7vsmem_tEENKUlT_SJ_SK_SL_E_clISE_PySF_SF_EESI_SY_SJ_SK_SL_EUlSY_E_NS1_11comp_targetILNS1_3genE0ELNS1_11target_archE4294967295ELNS1_3gpuE0ELNS1_3repE0EEENS1_48merge_mergepath_partition_config_static_selectorELNS0_4arch9wavefront6targetE0EEEvSK_, .Lfunc_end48-_ZN7rocprim17ROCPRIM_400000_NS6detail17trampoline_kernelINS0_14default_configENS1_38merge_sort_block_merge_config_selectorIyNS0_10empty_typeEEEZZNS1_27merge_sort_block_merge_implIS3_N6thrust23THRUST_200600_302600_NS6detail15normal_iteratorINS9_10device_ptrIyEEEEPS5_m11less_div_10IyEEE10hipError_tT0_T1_T2_jT3_P12ihipStream_tbPNSt15iterator_traitsISJ_E10value_typeEPNSP_ISK_E10value_typeEPSL_NS1_7vsmem_tEENKUlT_SJ_SK_SL_E_clISE_PySF_SF_EESI_SY_SJ_SK_SL_EUlSY_E_NS1_11comp_targetILNS1_3genE0ELNS1_11target_archE4294967295ELNS1_3gpuE0ELNS1_3repE0EEENS1_48merge_mergepath_partition_config_static_selectorELNS0_4arch9wavefront6targetE0EEEvSK_
                                        ; -- End function
	.set _ZN7rocprim17ROCPRIM_400000_NS6detail17trampoline_kernelINS0_14default_configENS1_38merge_sort_block_merge_config_selectorIyNS0_10empty_typeEEEZZNS1_27merge_sort_block_merge_implIS3_N6thrust23THRUST_200600_302600_NS6detail15normal_iteratorINS9_10device_ptrIyEEEEPS5_m11less_div_10IyEEE10hipError_tT0_T1_T2_jT3_P12ihipStream_tbPNSt15iterator_traitsISJ_E10value_typeEPNSP_ISK_E10value_typeEPSL_NS1_7vsmem_tEENKUlT_SJ_SK_SL_E_clISE_PySF_SF_EESI_SY_SJ_SK_SL_EUlSY_E_NS1_11comp_targetILNS1_3genE0ELNS1_11target_archE4294967295ELNS1_3gpuE0ELNS1_3repE0EEENS1_48merge_mergepath_partition_config_static_selectorELNS0_4arch9wavefront6targetE0EEEvSK_.num_vgpr, 0
	.set _ZN7rocprim17ROCPRIM_400000_NS6detail17trampoline_kernelINS0_14default_configENS1_38merge_sort_block_merge_config_selectorIyNS0_10empty_typeEEEZZNS1_27merge_sort_block_merge_implIS3_N6thrust23THRUST_200600_302600_NS6detail15normal_iteratorINS9_10device_ptrIyEEEEPS5_m11less_div_10IyEEE10hipError_tT0_T1_T2_jT3_P12ihipStream_tbPNSt15iterator_traitsISJ_E10value_typeEPNSP_ISK_E10value_typeEPSL_NS1_7vsmem_tEENKUlT_SJ_SK_SL_E_clISE_PySF_SF_EESI_SY_SJ_SK_SL_EUlSY_E_NS1_11comp_targetILNS1_3genE0ELNS1_11target_archE4294967295ELNS1_3gpuE0ELNS1_3repE0EEENS1_48merge_mergepath_partition_config_static_selectorELNS0_4arch9wavefront6targetE0EEEvSK_.num_agpr, 0
	.set _ZN7rocprim17ROCPRIM_400000_NS6detail17trampoline_kernelINS0_14default_configENS1_38merge_sort_block_merge_config_selectorIyNS0_10empty_typeEEEZZNS1_27merge_sort_block_merge_implIS3_N6thrust23THRUST_200600_302600_NS6detail15normal_iteratorINS9_10device_ptrIyEEEEPS5_m11less_div_10IyEEE10hipError_tT0_T1_T2_jT3_P12ihipStream_tbPNSt15iterator_traitsISJ_E10value_typeEPNSP_ISK_E10value_typeEPSL_NS1_7vsmem_tEENKUlT_SJ_SK_SL_E_clISE_PySF_SF_EESI_SY_SJ_SK_SL_EUlSY_E_NS1_11comp_targetILNS1_3genE0ELNS1_11target_archE4294967295ELNS1_3gpuE0ELNS1_3repE0EEENS1_48merge_mergepath_partition_config_static_selectorELNS0_4arch9wavefront6targetE0EEEvSK_.numbered_sgpr, 0
	.set _ZN7rocprim17ROCPRIM_400000_NS6detail17trampoline_kernelINS0_14default_configENS1_38merge_sort_block_merge_config_selectorIyNS0_10empty_typeEEEZZNS1_27merge_sort_block_merge_implIS3_N6thrust23THRUST_200600_302600_NS6detail15normal_iteratorINS9_10device_ptrIyEEEEPS5_m11less_div_10IyEEE10hipError_tT0_T1_T2_jT3_P12ihipStream_tbPNSt15iterator_traitsISJ_E10value_typeEPNSP_ISK_E10value_typeEPSL_NS1_7vsmem_tEENKUlT_SJ_SK_SL_E_clISE_PySF_SF_EESI_SY_SJ_SK_SL_EUlSY_E_NS1_11comp_targetILNS1_3genE0ELNS1_11target_archE4294967295ELNS1_3gpuE0ELNS1_3repE0EEENS1_48merge_mergepath_partition_config_static_selectorELNS0_4arch9wavefront6targetE0EEEvSK_.num_named_barrier, 0
	.set _ZN7rocprim17ROCPRIM_400000_NS6detail17trampoline_kernelINS0_14default_configENS1_38merge_sort_block_merge_config_selectorIyNS0_10empty_typeEEEZZNS1_27merge_sort_block_merge_implIS3_N6thrust23THRUST_200600_302600_NS6detail15normal_iteratorINS9_10device_ptrIyEEEEPS5_m11less_div_10IyEEE10hipError_tT0_T1_T2_jT3_P12ihipStream_tbPNSt15iterator_traitsISJ_E10value_typeEPNSP_ISK_E10value_typeEPSL_NS1_7vsmem_tEENKUlT_SJ_SK_SL_E_clISE_PySF_SF_EESI_SY_SJ_SK_SL_EUlSY_E_NS1_11comp_targetILNS1_3genE0ELNS1_11target_archE4294967295ELNS1_3gpuE0ELNS1_3repE0EEENS1_48merge_mergepath_partition_config_static_selectorELNS0_4arch9wavefront6targetE0EEEvSK_.private_seg_size, 0
	.set _ZN7rocprim17ROCPRIM_400000_NS6detail17trampoline_kernelINS0_14default_configENS1_38merge_sort_block_merge_config_selectorIyNS0_10empty_typeEEEZZNS1_27merge_sort_block_merge_implIS3_N6thrust23THRUST_200600_302600_NS6detail15normal_iteratorINS9_10device_ptrIyEEEEPS5_m11less_div_10IyEEE10hipError_tT0_T1_T2_jT3_P12ihipStream_tbPNSt15iterator_traitsISJ_E10value_typeEPNSP_ISK_E10value_typeEPSL_NS1_7vsmem_tEENKUlT_SJ_SK_SL_E_clISE_PySF_SF_EESI_SY_SJ_SK_SL_EUlSY_E_NS1_11comp_targetILNS1_3genE0ELNS1_11target_archE4294967295ELNS1_3gpuE0ELNS1_3repE0EEENS1_48merge_mergepath_partition_config_static_selectorELNS0_4arch9wavefront6targetE0EEEvSK_.uses_vcc, 0
	.set _ZN7rocprim17ROCPRIM_400000_NS6detail17trampoline_kernelINS0_14default_configENS1_38merge_sort_block_merge_config_selectorIyNS0_10empty_typeEEEZZNS1_27merge_sort_block_merge_implIS3_N6thrust23THRUST_200600_302600_NS6detail15normal_iteratorINS9_10device_ptrIyEEEEPS5_m11less_div_10IyEEE10hipError_tT0_T1_T2_jT3_P12ihipStream_tbPNSt15iterator_traitsISJ_E10value_typeEPNSP_ISK_E10value_typeEPSL_NS1_7vsmem_tEENKUlT_SJ_SK_SL_E_clISE_PySF_SF_EESI_SY_SJ_SK_SL_EUlSY_E_NS1_11comp_targetILNS1_3genE0ELNS1_11target_archE4294967295ELNS1_3gpuE0ELNS1_3repE0EEENS1_48merge_mergepath_partition_config_static_selectorELNS0_4arch9wavefront6targetE0EEEvSK_.uses_flat_scratch, 0
	.set _ZN7rocprim17ROCPRIM_400000_NS6detail17trampoline_kernelINS0_14default_configENS1_38merge_sort_block_merge_config_selectorIyNS0_10empty_typeEEEZZNS1_27merge_sort_block_merge_implIS3_N6thrust23THRUST_200600_302600_NS6detail15normal_iteratorINS9_10device_ptrIyEEEEPS5_m11less_div_10IyEEE10hipError_tT0_T1_T2_jT3_P12ihipStream_tbPNSt15iterator_traitsISJ_E10value_typeEPNSP_ISK_E10value_typeEPSL_NS1_7vsmem_tEENKUlT_SJ_SK_SL_E_clISE_PySF_SF_EESI_SY_SJ_SK_SL_EUlSY_E_NS1_11comp_targetILNS1_3genE0ELNS1_11target_archE4294967295ELNS1_3gpuE0ELNS1_3repE0EEENS1_48merge_mergepath_partition_config_static_selectorELNS0_4arch9wavefront6targetE0EEEvSK_.has_dyn_sized_stack, 0
	.set _ZN7rocprim17ROCPRIM_400000_NS6detail17trampoline_kernelINS0_14default_configENS1_38merge_sort_block_merge_config_selectorIyNS0_10empty_typeEEEZZNS1_27merge_sort_block_merge_implIS3_N6thrust23THRUST_200600_302600_NS6detail15normal_iteratorINS9_10device_ptrIyEEEEPS5_m11less_div_10IyEEE10hipError_tT0_T1_T2_jT3_P12ihipStream_tbPNSt15iterator_traitsISJ_E10value_typeEPNSP_ISK_E10value_typeEPSL_NS1_7vsmem_tEENKUlT_SJ_SK_SL_E_clISE_PySF_SF_EESI_SY_SJ_SK_SL_EUlSY_E_NS1_11comp_targetILNS1_3genE0ELNS1_11target_archE4294967295ELNS1_3gpuE0ELNS1_3repE0EEENS1_48merge_mergepath_partition_config_static_selectorELNS0_4arch9wavefront6targetE0EEEvSK_.has_recursion, 0
	.set _ZN7rocprim17ROCPRIM_400000_NS6detail17trampoline_kernelINS0_14default_configENS1_38merge_sort_block_merge_config_selectorIyNS0_10empty_typeEEEZZNS1_27merge_sort_block_merge_implIS3_N6thrust23THRUST_200600_302600_NS6detail15normal_iteratorINS9_10device_ptrIyEEEEPS5_m11less_div_10IyEEE10hipError_tT0_T1_T2_jT3_P12ihipStream_tbPNSt15iterator_traitsISJ_E10value_typeEPNSP_ISK_E10value_typeEPSL_NS1_7vsmem_tEENKUlT_SJ_SK_SL_E_clISE_PySF_SF_EESI_SY_SJ_SK_SL_EUlSY_E_NS1_11comp_targetILNS1_3genE0ELNS1_11target_archE4294967295ELNS1_3gpuE0ELNS1_3repE0EEENS1_48merge_mergepath_partition_config_static_selectorELNS0_4arch9wavefront6targetE0EEEvSK_.has_indirect_call, 0
	.section	.AMDGPU.csdata,"",@progbits
; Kernel info:
; codeLenInByte = 0
; TotalNumSgprs: 0
; NumVgprs: 0
; ScratchSize: 0
; MemoryBound: 0
; FloatMode: 240
; IeeeMode: 1
; LDSByteSize: 0 bytes/workgroup (compile time only)
; SGPRBlocks: 0
; VGPRBlocks: 0
; NumSGPRsForWavesPerEU: 1
; NumVGPRsForWavesPerEU: 1
; Occupancy: 16
; WaveLimiterHint : 0
; COMPUTE_PGM_RSRC2:SCRATCH_EN: 0
; COMPUTE_PGM_RSRC2:USER_SGPR: 6
; COMPUTE_PGM_RSRC2:TRAP_HANDLER: 0
; COMPUTE_PGM_RSRC2:TGID_X_EN: 1
; COMPUTE_PGM_RSRC2:TGID_Y_EN: 0
; COMPUTE_PGM_RSRC2:TGID_Z_EN: 0
; COMPUTE_PGM_RSRC2:TIDIG_COMP_CNT: 0
	.section	.text._ZN7rocprim17ROCPRIM_400000_NS6detail17trampoline_kernelINS0_14default_configENS1_38merge_sort_block_merge_config_selectorIyNS0_10empty_typeEEEZZNS1_27merge_sort_block_merge_implIS3_N6thrust23THRUST_200600_302600_NS6detail15normal_iteratorINS9_10device_ptrIyEEEEPS5_m11less_div_10IyEEE10hipError_tT0_T1_T2_jT3_P12ihipStream_tbPNSt15iterator_traitsISJ_E10value_typeEPNSP_ISK_E10value_typeEPSL_NS1_7vsmem_tEENKUlT_SJ_SK_SL_E_clISE_PySF_SF_EESI_SY_SJ_SK_SL_EUlSY_E_NS1_11comp_targetILNS1_3genE10ELNS1_11target_archE1201ELNS1_3gpuE5ELNS1_3repE0EEENS1_48merge_mergepath_partition_config_static_selectorELNS0_4arch9wavefront6targetE0EEEvSK_,"axG",@progbits,_ZN7rocprim17ROCPRIM_400000_NS6detail17trampoline_kernelINS0_14default_configENS1_38merge_sort_block_merge_config_selectorIyNS0_10empty_typeEEEZZNS1_27merge_sort_block_merge_implIS3_N6thrust23THRUST_200600_302600_NS6detail15normal_iteratorINS9_10device_ptrIyEEEEPS5_m11less_div_10IyEEE10hipError_tT0_T1_T2_jT3_P12ihipStream_tbPNSt15iterator_traitsISJ_E10value_typeEPNSP_ISK_E10value_typeEPSL_NS1_7vsmem_tEENKUlT_SJ_SK_SL_E_clISE_PySF_SF_EESI_SY_SJ_SK_SL_EUlSY_E_NS1_11comp_targetILNS1_3genE10ELNS1_11target_archE1201ELNS1_3gpuE5ELNS1_3repE0EEENS1_48merge_mergepath_partition_config_static_selectorELNS0_4arch9wavefront6targetE0EEEvSK_,comdat
	.protected	_ZN7rocprim17ROCPRIM_400000_NS6detail17trampoline_kernelINS0_14default_configENS1_38merge_sort_block_merge_config_selectorIyNS0_10empty_typeEEEZZNS1_27merge_sort_block_merge_implIS3_N6thrust23THRUST_200600_302600_NS6detail15normal_iteratorINS9_10device_ptrIyEEEEPS5_m11less_div_10IyEEE10hipError_tT0_T1_T2_jT3_P12ihipStream_tbPNSt15iterator_traitsISJ_E10value_typeEPNSP_ISK_E10value_typeEPSL_NS1_7vsmem_tEENKUlT_SJ_SK_SL_E_clISE_PySF_SF_EESI_SY_SJ_SK_SL_EUlSY_E_NS1_11comp_targetILNS1_3genE10ELNS1_11target_archE1201ELNS1_3gpuE5ELNS1_3repE0EEENS1_48merge_mergepath_partition_config_static_selectorELNS0_4arch9wavefront6targetE0EEEvSK_ ; -- Begin function _ZN7rocprim17ROCPRIM_400000_NS6detail17trampoline_kernelINS0_14default_configENS1_38merge_sort_block_merge_config_selectorIyNS0_10empty_typeEEEZZNS1_27merge_sort_block_merge_implIS3_N6thrust23THRUST_200600_302600_NS6detail15normal_iteratorINS9_10device_ptrIyEEEEPS5_m11less_div_10IyEEE10hipError_tT0_T1_T2_jT3_P12ihipStream_tbPNSt15iterator_traitsISJ_E10value_typeEPNSP_ISK_E10value_typeEPSL_NS1_7vsmem_tEENKUlT_SJ_SK_SL_E_clISE_PySF_SF_EESI_SY_SJ_SK_SL_EUlSY_E_NS1_11comp_targetILNS1_3genE10ELNS1_11target_archE1201ELNS1_3gpuE5ELNS1_3repE0EEENS1_48merge_mergepath_partition_config_static_selectorELNS0_4arch9wavefront6targetE0EEEvSK_
	.globl	_ZN7rocprim17ROCPRIM_400000_NS6detail17trampoline_kernelINS0_14default_configENS1_38merge_sort_block_merge_config_selectorIyNS0_10empty_typeEEEZZNS1_27merge_sort_block_merge_implIS3_N6thrust23THRUST_200600_302600_NS6detail15normal_iteratorINS9_10device_ptrIyEEEEPS5_m11less_div_10IyEEE10hipError_tT0_T1_T2_jT3_P12ihipStream_tbPNSt15iterator_traitsISJ_E10value_typeEPNSP_ISK_E10value_typeEPSL_NS1_7vsmem_tEENKUlT_SJ_SK_SL_E_clISE_PySF_SF_EESI_SY_SJ_SK_SL_EUlSY_E_NS1_11comp_targetILNS1_3genE10ELNS1_11target_archE1201ELNS1_3gpuE5ELNS1_3repE0EEENS1_48merge_mergepath_partition_config_static_selectorELNS0_4arch9wavefront6targetE0EEEvSK_
	.p2align	8
	.type	_ZN7rocprim17ROCPRIM_400000_NS6detail17trampoline_kernelINS0_14default_configENS1_38merge_sort_block_merge_config_selectorIyNS0_10empty_typeEEEZZNS1_27merge_sort_block_merge_implIS3_N6thrust23THRUST_200600_302600_NS6detail15normal_iteratorINS9_10device_ptrIyEEEEPS5_m11less_div_10IyEEE10hipError_tT0_T1_T2_jT3_P12ihipStream_tbPNSt15iterator_traitsISJ_E10value_typeEPNSP_ISK_E10value_typeEPSL_NS1_7vsmem_tEENKUlT_SJ_SK_SL_E_clISE_PySF_SF_EESI_SY_SJ_SK_SL_EUlSY_E_NS1_11comp_targetILNS1_3genE10ELNS1_11target_archE1201ELNS1_3gpuE5ELNS1_3repE0EEENS1_48merge_mergepath_partition_config_static_selectorELNS0_4arch9wavefront6targetE0EEEvSK_,@function
_ZN7rocprim17ROCPRIM_400000_NS6detail17trampoline_kernelINS0_14default_configENS1_38merge_sort_block_merge_config_selectorIyNS0_10empty_typeEEEZZNS1_27merge_sort_block_merge_implIS3_N6thrust23THRUST_200600_302600_NS6detail15normal_iteratorINS9_10device_ptrIyEEEEPS5_m11less_div_10IyEEE10hipError_tT0_T1_T2_jT3_P12ihipStream_tbPNSt15iterator_traitsISJ_E10value_typeEPNSP_ISK_E10value_typeEPSL_NS1_7vsmem_tEENKUlT_SJ_SK_SL_E_clISE_PySF_SF_EESI_SY_SJ_SK_SL_EUlSY_E_NS1_11comp_targetILNS1_3genE10ELNS1_11target_archE1201ELNS1_3gpuE5ELNS1_3repE0EEENS1_48merge_mergepath_partition_config_static_selectorELNS0_4arch9wavefront6targetE0EEEvSK_: ; @_ZN7rocprim17ROCPRIM_400000_NS6detail17trampoline_kernelINS0_14default_configENS1_38merge_sort_block_merge_config_selectorIyNS0_10empty_typeEEEZZNS1_27merge_sort_block_merge_implIS3_N6thrust23THRUST_200600_302600_NS6detail15normal_iteratorINS9_10device_ptrIyEEEEPS5_m11less_div_10IyEEE10hipError_tT0_T1_T2_jT3_P12ihipStream_tbPNSt15iterator_traitsISJ_E10value_typeEPNSP_ISK_E10value_typeEPSL_NS1_7vsmem_tEENKUlT_SJ_SK_SL_E_clISE_PySF_SF_EESI_SY_SJ_SK_SL_EUlSY_E_NS1_11comp_targetILNS1_3genE10ELNS1_11target_archE1201ELNS1_3gpuE5ELNS1_3repE0EEENS1_48merge_mergepath_partition_config_static_selectorELNS0_4arch9wavefront6targetE0EEEvSK_
; %bb.0:
	.section	.rodata,"a",@progbits
	.p2align	6, 0x0
	.amdhsa_kernel _ZN7rocprim17ROCPRIM_400000_NS6detail17trampoline_kernelINS0_14default_configENS1_38merge_sort_block_merge_config_selectorIyNS0_10empty_typeEEEZZNS1_27merge_sort_block_merge_implIS3_N6thrust23THRUST_200600_302600_NS6detail15normal_iteratorINS9_10device_ptrIyEEEEPS5_m11less_div_10IyEEE10hipError_tT0_T1_T2_jT3_P12ihipStream_tbPNSt15iterator_traitsISJ_E10value_typeEPNSP_ISK_E10value_typeEPSL_NS1_7vsmem_tEENKUlT_SJ_SK_SL_E_clISE_PySF_SF_EESI_SY_SJ_SK_SL_EUlSY_E_NS1_11comp_targetILNS1_3genE10ELNS1_11target_archE1201ELNS1_3gpuE5ELNS1_3repE0EEENS1_48merge_mergepath_partition_config_static_selectorELNS0_4arch9wavefront6targetE0EEEvSK_
		.amdhsa_group_segment_fixed_size 0
		.amdhsa_private_segment_fixed_size 0
		.amdhsa_kernarg_size 48
		.amdhsa_user_sgpr_count 6
		.amdhsa_user_sgpr_private_segment_buffer 1
		.amdhsa_user_sgpr_dispatch_ptr 0
		.amdhsa_user_sgpr_queue_ptr 0
		.amdhsa_user_sgpr_kernarg_segment_ptr 1
		.amdhsa_user_sgpr_dispatch_id 0
		.amdhsa_user_sgpr_flat_scratch_init 0
		.amdhsa_user_sgpr_private_segment_size 0
		.amdhsa_wavefront_size32 1
		.amdhsa_uses_dynamic_stack 0
		.amdhsa_system_sgpr_private_segment_wavefront_offset 0
		.amdhsa_system_sgpr_workgroup_id_x 1
		.amdhsa_system_sgpr_workgroup_id_y 0
		.amdhsa_system_sgpr_workgroup_id_z 0
		.amdhsa_system_sgpr_workgroup_info 0
		.amdhsa_system_vgpr_workitem_id 0
		.amdhsa_next_free_vgpr 1
		.amdhsa_next_free_sgpr 1
		.amdhsa_reserve_vcc 0
		.amdhsa_reserve_flat_scratch 0
		.amdhsa_float_round_mode_32 0
		.amdhsa_float_round_mode_16_64 0
		.amdhsa_float_denorm_mode_32 3
		.amdhsa_float_denorm_mode_16_64 3
		.amdhsa_dx10_clamp 1
		.amdhsa_ieee_mode 1
		.amdhsa_fp16_overflow 0
		.amdhsa_workgroup_processor_mode 1
		.amdhsa_memory_ordered 1
		.amdhsa_forward_progress 1
		.amdhsa_shared_vgpr_count 0
		.amdhsa_exception_fp_ieee_invalid_op 0
		.amdhsa_exception_fp_denorm_src 0
		.amdhsa_exception_fp_ieee_div_zero 0
		.amdhsa_exception_fp_ieee_overflow 0
		.amdhsa_exception_fp_ieee_underflow 0
		.amdhsa_exception_fp_ieee_inexact 0
		.amdhsa_exception_int_div_zero 0
	.end_amdhsa_kernel
	.section	.text._ZN7rocprim17ROCPRIM_400000_NS6detail17trampoline_kernelINS0_14default_configENS1_38merge_sort_block_merge_config_selectorIyNS0_10empty_typeEEEZZNS1_27merge_sort_block_merge_implIS3_N6thrust23THRUST_200600_302600_NS6detail15normal_iteratorINS9_10device_ptrIyEEEEPS5_m11less_div_10IyEEE10hipError_tT0_T1_T2_jT3_P12ihipStream_tbPNSt15iterator_traitsISJ_E10value_typeEPNSP_ISK_E10value_typeEPSL_NS1_7vsmem_tEENKUlT_SJ_SK_SL_E_clISE_PySF_SF_EESI_SY_SJ_SK_SL_EUlSY_E_NS1_11comp_targetILNS1_3genE10ELNS1_11target_archE1201ELNS1_3gpuE5ELNS1_3repE0EEENS1_48merge_mergepath_partition_config_static_selectorELNS0_4arch9wavefront6targetE0EEEvSK_,"axG",@progbits,_ZN7rocprim17ROCPRIM_400000_NS6detail17trampoline_kernelINS0_14default_configENS1_38merge_sort_block_merge_config_selectorIyNS0_10empty_typeEEEZZNS1_27merge_sort_block_merge_implIS3_N6thrust23THRUST_200600_302600_NS6detail15normal_iteratorINS9_10device_ptrIyEEEEPS5_m11less_div_10IyEEE10hipError_tT0_T1_T2_jT3_P12ihipStream_tbPNSt15iterator_traitsISJ_E10value_typeEPNSP_ISK_E10value_typeEPSL_NS1_7vsmem_tEENKUlT_SJ_SK_SL_E_clISE_PySF_SF_EESI_SY_SJ_SK_SL_EUlSY_E_NS1_11comp_targetILNS1_3genE10ELNS1_11target_archE1201ELNS1_3gpuE5ELNS1_3repE0EEENS1_48merge_mergepath_partition_config_static_selectorELNS0_4arch9wavefront6targetE0EEEvSK_,comdat
.Lfunc_end49:
	.size	_ZN7rocprim17ROCPRIM_400000_NS6detail17trampoline_kernelINS0_14default_configENS1_38merge_sort_block_merge_config_selectorIyNS0_10empty_typeEEEZZNS1_27merge_sort_block_merge_implIS3_N6thrust23THRUST_200600_302600_NS6detail15normal_iteratorINS9_10device_ptrIyEEEEPS5_m11less_div_10IyEEE10hipError_tT0_T1_T2_jT3_P12ihipStream_tbPNSt15iterator_traitsISJ_E10value_typeEPNSP_ISK_E10value_typeEPSL_NS1_7vsmem_tEENKUlT_SJ_SK_SL_E_clISE_PySF_SF_EESI_SY_SJ_SK_SL_EUlSY_E_NS1_11comp_targetILNS1_3genE10ELNS1_11target_archE1201ELNS1_3gpuE5ELNS1_3repE0EEENS1_48merge_mergepath_partition_config_static_selectorELNS0_4arch9wavefront6targetE0EEEvSK_, .Lfunc_end49-_ZN7rocprim17ROCPRIM_400000_NS6detail17trampoline_kernelINS0_14default_configENS1_38merge_sort_block_merge_config_selectorIyNS0_10empty_typeEEEZZNS1_27merge_sort_block_merge_implIS3_N6thrust23THRUST_200600_302600_NS6detail15normal_iteratorINS9_10device_ptrIyEEEEPS5_m11less_div_10IyEEE10hipError_tT0_T1_T2_jT3_P12ihipStream_tbPNSt15iterator_traitsISJ_E10value_typeEPNSP_ISK_E10value_typeEPSL_NS1_7vsmem_tEENKUlT_SJ_SK_SL_E_clISE_PySF_SF_EESI_SY_SJ_SK_SL_EUlSY_E_NS1_11comp_targetILNS1_3genE10ELNS1_11target_archE1201ELNS1_3gpuE5ELNS1_3repE0EEENS1_48merge_mergepath_partition_config_static_selectorELNS0_4arch9wavefront6targetE0EEEvSK_
                                        ; -- End function
	.set _ZN7rocprim17ROCPRIM_400000_NS6detail17trampoline_kernelINS0_14default_configENS1_38merge_sort_block_merge_config_selectorIyNS0_10empty_typeEEEZZNS1_27merge_sort_block_merge_implIS3_N6thrust23THRUST_200600_302600_NS6detail15normal_iteratorINS9_10device_ptrIyEEEEPS5_m11less_div_10IyEEE10hipError_tT0_T1_T2_jT3_P12ihipStream_tbPNSt15iterator_traitsISJ_E10value_typeEPNSP_ISK_E10value_typeEPSL_NS1_7vsmem_tEENKUlT_SJ_SK_SL_E_clISE_PySF_SF_EESI_SY_SJ_SK_SL_EUlSY_E_NS1_11comp_targetILNS1_3genE10ELNS1_11target_archE1201ELNS1_3gpuE5ELNS1_3repE0EEENS1_48merge_mergepath_partition_config_static_selectorELNS0_4arch9wavefront6targetE0EEEvSK_.num_vgpr, 0
	.set _ZN7rocprim17ROCPRIM_400000_NS6detail17trampoline_kernelINS0_14default_configENS1_38merge_sort_block_merge_config_selectorIyNS0_10empty_typeEEEZZNS1_27merge_sort_block_merge_implIS3_N6thrust23THRUST_200600_302600_NS6detail15normal_iteratorINS9_10device_ptrIyEEEEPS5_m11less_div_10IyEEE10hipError_tT0_T1_T2_jT3_P12ihipStream_tbPNSt15iterator_traitsISJ_E10value_typeEPNSP_ISK_E10value_typeEPSL_NS1_7vsmem_tEENKUlT_SJ_SK_SL_E_clISE_PySF_SF_EESI_SY_SJ_SK_SL_EUlSY_E_NS1_11comp_targetILNS1_3genE10ELNS1_11target_archE1201ELNS1_3gpuE5ELNS1_3repE0EEENS1_48merge_mergepath_partition_config_static_selectorELNS0_4arch9wavefront6targetE0EEEvSK_.num_agpr, 0
	.set _ZN7rocprim17ROCPRIM_400000_NS6detail17trampoline_kernelINS0_14default_configENS1_38merge_sort_block_merge_config_selectorIyNS0_10empty_typeEEEZZNS1_27merge_sort_block_merge_implIS3_N6thrust23THRUST_200600_302600_NS6detail15normal_iteratorINS9_10device_ptrIyEEEEPS5_m11less_div_10IyEEE10hipError_tT0_T1_T2_jT3_P12ihipStream_tbPNSt15iterator_traitsISJ_E10value_typeEPNSP_ISK_E10value_typeEPSL_NS1_7vsmem_tEENKUlT_SJ_SK_SL_E_clISE_PySF_SF_EESI_SY_SJ_SK_SL_EUlSY_E_NS1_11comp_targetILNS1_3genE10ELNS1_11target_archE1201ELNS1_3gpuE5ELNS1_3repE0EEENS1_48merge_mergepath_partition_config_static_selectorELNS0_4arch9wavefront6targetE0EEEvSK_.numbered_sgpr, 0
	.set _ZN7rocprim17ROCPRIM_400000_NS6detail17trampoline_kernelINS0_14default_configENS1_38merge_sort_block_merge_config_selectorIyNS0_10empty_typeEEEZZNS1_27merge_sort_block_merge_implIS3_N6thrust23THRUST_200600_302600_NS6detail15normal_iteratorINS9_10device_ptrIyEEEEPS5_m11less_div_10IyEEE10hipError_tT0_T1_T2_jT3_P12ihipStream_tbPNSt15iterator_traitsISJ_E10value_typeEPNSP_ISK_E10value_typeEPSL_NS1_7vsmem_tEENKUlT_SJ_SK_SL_E_clISE_PySF_SF_EESI_SY_SJ_SK_SL_EUlSY_E_NS1_11comp_targetILNS1_3genE10ELNS1_11target_archE1201ELNS1_3gpuE5ELNS1_3repE0EEENS1_48merge_mergepath_partition_config_static_selectorELNS0_4arch9wavefront6targetE0EEEvSK_.num_named_barrier, 0
	.set _ZN7rocprim17ROCPRIM_400000_NS6detail17trampoline_kernelINS0_14default_configENS1_38merge_sort_block_merge_config_selectorIyNS0_10empty_typeEEEZZNS1_27merge_sort_block_merge_implIS3_N6thrust23THRUST_200600_302600_NS6detail15normal_iteratorINS9_10device_ptrIyEEEEPS5_m11less_div_10IyEEE10hipError_tT0_T1_T2_jT3_P12ihipStream_tbPNSt15iterator_traitsISJ_E10value_typeEPNSP_ISK_E10value_typeEPSL_NS1_7vsmem_tEENKUlT_SJ_SK_SL_E_clISE_PySF_SF_EESI_SY_SJ_SK_SL_EUlSY_E_NS1_11comp_targetILNS1_3genE10ELNS1_11target_archE1201ELNS1_3gpuE5ELNS1_3repE0EEENS1_48merge_mergepath_partition_config_static_selectorELNS0_4arch9wavefront6targetE0EEEvSK_.private_seg_size, 0
	.set _ZN7rocprim17ROCPRIM_400000_NS6detail17trampoline_kernelINS0_14default_configENS1_38merge_sort_block_merge_config_selectorIyNS0_10empty_typeEEEZZNS1_27merge_sort_block_merge_implIS3_N6thrust23THRUST_200600_302600_NS6detail15normal_iteratorINS9_10device_ptrIyEEEEPS5_m11less_div_10IyEEE10hipError_tT0_T1_T2_jT3_P12ihipStream_tbPNSt15iterator_traitsISJ_E10value_typeEPNSP_ISK_E10value_typeEPSL_NS1_7vsmem_tEENKUlT_SJ_SK_SL_E_clISE_PySF_SF_EESI_SY_SJ_SK_SL_EUlSY_E_NS1_11comp_targetILNS1_3genE10ELNS1_11target_archE1201ELNS1_3gpuE5ELNS1_3repE0EEENS1_48merge_mergepath_partition_config_static_selectorELNS0_4arch9wavefront6targetE0EEEvSK_.uses_vcc, 0
	.set _ZN7rocprim17ROCPRIM_400000_NS6detail17trampoline_kernelINS0_14default_configENS1_38merge_sort_block_merge_config_selectorIyNS0_10empty_typeEEEZZNS1_27merge_sort_block_merge_implIS3_N6thrust23THRUST_200600_302600_NS6detail15normal_iteratorINS9_10device_ptrIyEEEEPS5_m11less_div_10IyEEE10hipError_tT0_T1_T2_jT3_P12ihipStream_tbPNSt15iterator_traitsISJ_E10value_typeEPNSP_ISK_E10value_typeEPSL_NS1_7vsmem_tEENKUlT_SJ_SK_SL_E_clISE_PySF_SF_EESI_SY_SJ_SK_SL_EUlSY_E_NS1_11comp_targetILNS1_3genE10ELNS1_11target_archE1201ELNS1_3gpuE5ELNS1_3repE0EEENS1_48merge_mergepath_partition_config_static_selectorELNS0_4arch9wavefront6targetE0EEEvSK_.uses_flat_scratch, 0
	.set _ZN7rocprim17ROCPRIM_400000_NS6detail17trampoline_kernelINS0_14default_configENS1_38merge_sort_block_merge_config_selectorIyNS0_10empty_typeEEEZZNS1_27merge_sort_block_merge_implIS3_N6thrust23THRUST_200600_302600_NS6detail15normal_iteratorINS9_10device_ptrIyEEEEPS5_m11less_div_10IyEEE10hipError_tT0_T1_T2_jT3_P12ihipStream_tbPNSt15iterator_traitsISJ_E10value_typeEPNSP_ISK_E10value_typeEPSL_NS1_7vsmem_tEENKUlT_SJ_SK_SL_E_clISE_PySF_SF_EESI_SY_SJ_SK_SL_EUlSY_E_NS1_11comp_targetILNS1_3genE10ELNS1_11target_archE1201ELNS1_3gpuE5ELNS1_3repE0EEENS1_48merge_mergepath_partition_config_static_selectorELNS0_4arch9wavefront6targetE0EEEvSK_.has_dyn_sized_stack, 0
	.set _ZN7rocprim17ROCPRIM_400000_NS6detail17trampoline_kernelINS0_14default_configENS1_38merge_sort_block_merge_config_selectorIyNS0_10empty_typeEEEZZNS1_27merge_sort_block_merge_implIS3_N6thrust23THRUST_200600_302600_NS6detail15normal_iteratorINS9_10device_ptrIyEEEEPS5_m11less_div_10IyEEE10hipError_tT0_T1_T2_jT3_P12ihipStream_tbPNSt15iterator_traitsISJ_E10value_typeEPNSP_ISK_E10value_typeEPSL_NS1_7vsmem_tEENKUlT_SJ_SK_SL_E_clISE_PySF_SF_EESI_SY_SJ_SK_SL_EUlSY_E_NS1_11comp_targetILNS1_3genE10ELNS1_11target_archE1201ELNS1_3gpuE5ELNS1_3repE0EEENS1_48merge_mergepath_partition_config_static_selectorELNS0_4arch9wavefront6targetE0EEEvSK_.has_recursion, 0
	.set _ZN7rocprim17ROCPRIM_400000_NS6detail17trampoline_kernelINS0_14default_configENS1_38merge_sort_block_merge_config_selectorIyNS0_10empty_typeEEEZZNS1_27merge_sort_block_merge_implIS3_N6thrust23THRUST_200600_302600_NS6detail15normal_iteratorINS9_10device_ptrIyEEEEPS5_m11less_div_10IyEEE10hipError_tT0_T1_T2_jT3_P12ihipStream_tbPNSt15iterator_traitsISJ_E10value_typeEPNSP_ISK_E10value_typeEPSL_NS1_7vsmem_tEENKUlT_SJ_SK_SL_E_clISE_PySF_SF_EESI_SY_SJ_SK_SL_EUlSY_E_NS1_11comp_targetILNS1_3genE10ELNS1_11target_archE1201ELNS1_3gpuE5ELNS1_3repE0EEENS1_48merge_mergepath_partition_config_static_selectorELNS0_4arch9wavefront6targetE0EEEvSK_.has_indirect_call, 0
	.section	.AMDGPU.csdata,"",@progbits
; Kernel info:
; codeLenInByte = 0
; TotalNumSgprs: 0
; NumVgprs: 0
; ScratchSize: 0
; MemoryBound: 0
; FloatMode: 240
; IeeeMode: 1
; LDSByteSize: 0 bytes/workgroup (compile time only)
; SGPRBlocks: 0
; VGPRBlocks: 0
; NumSGPRsForWavesPerEU: 1
; NumVGPRsForWavesPerEU: 1
; Occupancy: 16
; WaveLimiterHint : 0
; COMPUTE_PGM_RSRC2:SCRATCH_EN: 0
; COMPUTE_PGM_RSRC2:USER_SGPR: 6
; COMPUTE_PGM_RSRC2:TRAP_HANDLER: 0
; COMPUTE_PGM_RSRC2:TGID_X_EN: 1
; COMPUTE_PGM_RSRC2:TGID_Y_EN: 0
; COMPUTE_PGM_RSRC2:TGID_Z_EN: 0
; COMPUTE_PGM_RSRC2:TIDIG_COMP_CNT: 0
	.section	.text._ZN7rocprim17ROCPRIM_400000_NS6detail17trampoline_kernelINS0_14default_configENS1_38merge_sort_block_merge_config_selectorIyNS0_10empty_typeEEEZZNS1_27merge_sort_block_merge_implIS3_N6thrust23THRUST_200600_302600_NS6detail15normal_iteratorINS9_10device_ptrIyEEEEPS5_m11less_div_10IyEEE10hipError_tT0_T1_T2_jT3_P12ihipStream_tbPNSt15iterator_traitsISJ_E10value_typeEPNSP_ISK_E10value_typeEPSL_NS1_7vsmem_tEENKUlT_SJ_SK_SL_E_clISE_PySF_SF_EESI_SY_SJ_SK_SL_EUlSY_E_NS1_11comp_targetILNS1_3genE5ELNS1_11target_archE942ELNS1_3gpuE9ELNS1_3repE0EEENS1_48merge_mergepath_partition_config_static_selectorELNS0_4arch9wavefront6targetE0EEEvSK_,"axG",@progbits,_ZN7rocprim17ROCPRIM_400000_NS6detail17trampoline_kernelINS0_14default_configENS1_38merge_sort_block_merge_config_selectorIyNS0_10empty_typeEEEZZNS1_27merge_sort_block_merge_implIS3_N6thrust23THRUST_200600_302600_NS6detail15normal_iteratorINS9_10device_ptrIyEEEEPS5_m11less_div_10IyEEE10hipError_tT0_T1_T2_jT3_P12ihipStream_tbPNSt15iterator_traitsISJ_E10value_typeEPNSP_ISK_E10value_typeEPSL_NS1_7vsmem_tEENKUlT_SJ_SK_SL_E_clISE_PySF_SF_EESI_SY_SJ_SK_SL_EUlSY_E_NS1_11comp_targetILNS1_3genE5ELNS1_11target_archE942ELNS1_3gpuE9ELNS1_3repE0EEENS1_48merge_mergepath_partition_config_static_selectorELNS0_4arch9wavefront6targetE0EEEvSK_,comdat
	.protected	_ZN7rocprim17ROCPRIM_400000_NS6detail17trampoline_kernelINS0_14default_configENS1_38merge_sort_block_merge_config_selectorIyNS0_10empty_typeEEEZZNS1_27merge_sort_block_merge_implIS3_N6thrust23THRUST_200600_302600_NS6detail15normal_iteratorINS9_10device_ptrIyEEEEPS5_m11less_div_10IyEEE10hipError_tT0_T1_T2_jT3_P12ihipStream_tbPNSt15iterator_traitsISJ_E10value_typeEPNSP_ISK_E10value_typeEPSL_NS1_7vsmem_tEENKUlT_SJ_SK_SL_E_clISE_PySF_SF_EESI_SY_SJ_SK_SL_EUlSY_E_NS1_11comp_targetILNS1_3genE5ELNS1_11target_archE942ELNS1_3gpuE9ELNS1_3repE0EEENS1_48merge_mergepath_partition_config_static_selectorELNS0_4arch9wavefront6targetE0EEEvSK_ ; -- Begin function _ZN7rocprim17ROCPRIM_400000_NS6detail17trampoline_kernelINS0_14default_configENS1_38merge_sort_block_merge_config_selectorIyNS0_10empty_typeEEEZZNS1_27merge_sort_block_merge_implIS3_N6thrust23THRUST_200600_302600_NS6detail15normal_iteratorINS9_10device_ptrIyEEEEPS5_m11less_div_10IyEEE10hipError_tT0_T1_T2_jT3_P12ihipStream_tbPNSt15iterator_traitsISJ_E10value_typeEPNSP_ISK_E10value_typeEPSL_NS1_7vsmem_tEENKUlT_SJ_SK_SL_E_clISE_PySF_SF_EESI_SY_SJ_SK_SL_EUlSY_E_NS1_11comp_targetILNS1_3genE5ELNS1_11target_archE942ELNS1_3gpuE9ELNS1_3repE0EEENS1_48merge_mergepath_partition_config_static_selectorELNS0_4arch9wavefront6targetE0EEEvSK_
	.globl	_ZN7rocprim17ROCPRIM_400000_NS6detail17trampoline_kernelINS0_14default_configENS1_38merge_sort_block_merge_config_selectorIyNS0_10empty_typeEEEZZNS1_27merge_sort_block_merge_implIS3_N6thrust23THRUST_200600_302600_NS6detail15normal_iteratorINS9_10device_ptrIyEEEEPS5_m11less_div_10IyEEE10hipError_tT0_T1_T2_jT3_P12ihipStream_tbPNSt15iterator_traitsISJ_E10value_typeEPNSP_ISK_E10value_typeEPSL_NS1_7vsmem_tEENKUlT_SJ_SK_SL_E_clISE_PySF_SF_EESI_SY_SJ_SK_SL_EUlSY_E_NS1_11comp_targetILNS1_3genE5ELNS1_11target_archE942ELNS1_3gpuE9ELNS1_3repE0EEENS1_48merge_mergepath_partition_config_static_selectorELNS0_4arch9wavefront6targetE0EEEvSK_
	.p2align	8
	.type	_ZN7rocprim17ROCPRIM_400000_NS6detail17trampoline_kernelINS0_14default_configENS1_38merge_sort_block_merge_config_selectorIyNS0_10empty_typeEEEZZNS1_27merge_sort_block_merge_implIS3_N6thrust23THRUST_200600_302600_NS6detail15normal_iteratorINS9_10device_ptrIyEEEEPS5_m11less_div_10IyEEE10hipError_tT0_T1_T2_jT3_P12ihipStream_tbPNSt15iterator_traitsISJ_E10value_typeEPNSP_ISK_E10value_typeEPSL_NS1_7vsmem_tEENKUlT_SJ_SK_SL_E_clISE_PySF_SF_EESI_SY_SJ_SK_SL_EUlSY_E_NS1_11comp_targetILNS1_3genE5ELNS1_11target_archE942ELNS1_3gpuE9ELNS1_3repE0EEENS1_48merge_mergepath_partition_config_static_selectorELNS0_4arch9wavefront6targetE0EEEvSK_,@function
_ZN7rocprim17ROCPRIM_400000_NS6detail17trampoline_kernelINS0_14default_configENS1_38merge_sort_block_merge_config_selectorIyNS0_10empty_typeEEEZZNS1_27merge_sort_block_merge_implIS3_N6thrust23THRUST_200600_302600_NS6detail15normal_iteratorINS9_10device_ptrIyEEEEPS5_m11less_div_10IyEEE10hipError_tT0_T1_T2_jT3_P12ihipStream_tbPNSt15iterator_traitsISJ_E10value_typeEPNSP_ISK_E10value_typeEPSL_NS1_7vsmem_tEENKUlT_SJ_SK_SL_E_clISE_PySF_SF_EESI_SY_SJ_SK_SL_EUlSY_E_NS1_11comp_targetILNS1_3genE5ELNS1_11target_archE942ELNS1_3gpuE9ELNS1_3repE0EEENS1_48merge_mergepath_partition_config_static_selectorELNS0_4arch9wavefront6targetE0EEEvSK_: ; @_ZN7rocprim17ROCPRIM_400000_NS6detail17trampoline_kernelINS0_14default_configENS1_38merge_sort_block_merge_config_selectorIyNS0_10empty_typeEEEZZNS1_27merge_sort_block_merge_implIS3_N6thrust23THRUST_200600_302600_NS6detail15normal_iteratorINS9_10device_ptrIyEEEEPS5_m11less_div_10IyEEE10hipError_tT0_T1_T2_jT3_P12ihipStream_tbPNSt15iterator_traitsISJ_E10value_typeEPNSP_ISK_E10value_typeEPSL_NS1_7vsmem_tEENKUlT_SJ_SK_SL_E_clISE_PySF_SF_EESI_SY_SJ_SK_SL_EUlSY_E_NS1_11comp_targetILNS1_3genE5ELNS1_11target_archE942ELNS1_3gpuE9ELNS1_3repE0EEENS1_48merge_mergepath_partition_config_static_selectorELNS0_4arch9wavefront6targetE0EEEvSK_
; %bb.0:
	.section	.rodata,"a",@progbits
	.p2align	6, 0x0
	.amdhsa_kernel _ZN7rocprim17ROCPRIM_400000_NS6detail17trampoline_kernelINS0_14default_configENS1_38merge_sort_block_merge_config_selectorIyNS0_10empty_typeEEEZZNS1_27merge_sort_block_merge_implIS3_N6thrust23THRUST_200600_302600_NS6detail15normal_iteratorINS9_10device_ptrIyEEEEPS5_m11less_div_10IyEEE10hipError_tT0_T1_T2_jT3_P12ihipStream_tbPNSt15iterator_traitsISJ_E10value_typeEPNSP_ISK_E10value_typeEPSL_NS1_7vsmem_tEENKUlT_SJ_SK_SL_E_clISE_PySF_SF_EESI_SY_SJ_SK_SL_EUlSY_E_NS1_11comp_targetILNS1_3genE5ELNS1_11target_archE942ELNS1_3gpuE9ELNS1_3repE0EEENS1_48merge_mergepath_partition_config_static_selectorELNS0_4arch9wavefront6targetE0EEEvSK_
		.amdhsa_group_segment_fixed_size 0
		.amdhsa_private_segment_fixed_size 0
		.amdhsa_kernarg_size 48
		.amdhsa_user_sgpr_count 6
		.amdhsa_user_sgpr_private_segment_buffer 1
		.amdhsa_user_sgpr_dispatch_ptr 0
		.amdhsa_user_sgpr_queue_ptr 0
		.amdhsa_user_sgpr_kernarg_segment_ptr 1
		.amdhsa_user_sgpr_dispatch_id 0
		.amdhsa_user_sgpr_flat_scratch_init 0
		.amdhsa_user_sgpr_private_segment_size 0
		.amdhsa_wavefront_size32 1
		.amdhsa_uses_dynamic_stack 0
		.amdhsa_system_sgpr_private_segment_wavefront_offset 0
		.amdhsa_system_sgpr_workgroup_id_x 1
		.amdhsa_system_sgpr_workgroup_id_y 0
		.amdhsa_system_sgpr_workgroup_id_z 0
		.amdhsa_system_sgpr_workgroup_info 0
		.amdhsa_system_vgpr_workitem_id 0
		.amdhsa_next_free_vgpr 1
		.amdhsa_next_free_sgpr 1
		.amdhsa_reserve_vcc 0
		.amdhsa_reserve_flat_scratch 0
		.amdhsa_float_round_mode_32 0
		.amdhsa_float_round_mode_16_64 0
		.amdhsa_float_denorm_mode_32 3
		.amdhsa_float_denorm_mode_16_64 3
		.amdhsa_dx10_clamp 1
		.amdhsa_ieee_mode 1
		.amdhsa_fp16_overflow 0
		.amdhsa_workgroup_processor_mode 1
		.amdhsa_memory_ordered 1
		.amdhsa_forward_progress 1
		.amdhsa_shared_vgpr_count 0
		.amdhsa_exception_fp_ieee_invalid_op 0
		.amdhsa_exception_fp_denorm_src 0
		.amdhsa_exception_fp_ieee_div_zero 0
		.amdhsa_exception_fp_ieee_overflow 0
		.amdhsa_exception_fp_ieee_underflow 0
		.amdhsa_exception_fp_ieee_inexact 0
		.amdhsa_exception_int_div_zero 0
	.end_amdhsa_kernel
	.section	.text._ZN7rocprim17ROCPRIM_400000_NS6detail17trampoline_kernelINS0_14default_configENS1_38merge_sort_block_merge_config_selectorIyNS0_10empty_typeEEEZZNS1_27merge_sort_block_merge_implIS3_N6thrust23THRUST_200600_302600_NS6detail15normal_iteratorINS9_10device_ptrIyEEEEPS5_m11less_div_10IyEEE10hipError_tT0_T1_T2_jT3_P12ihipStream_tbPNSt15iterator_traitsISJ_E10value_typeEPNSP_ISK_E10value_typeEPSL_NS1_7vsmem_tEENKUlT_SJ_SK_SL_E_clISE_PySF_SF_EESI_SY_SJ_SK_SL_EUlSY_E_NS1_11comp_targetILNS1_3genE5ELNS1_11target_archE942ELNS1_3gpuE9ELNS1_3repE0EEENS1_48merge_mergepath_partition_config_static_selectorELNS0_4arch9wavefront6targetE0EEEvSK_,"axG",@progbits,_ZN7rocprim17ROCPRIM_400000_NS6detail17trampoline_kernelINS0_14default_configENS1_38merge_sort_block_merge_config_selectorIyNS0_10empty_typeEEEZZNS1_27merge_sort_block_merge_implIS3_N6thrust23THRUST_200600_302600_NS6detail15normal_iteratorINS9_10device_ptrIyEEEEPS5_m11less_div_10IyEEE10hipError_tT0_T1_T2_jT3_P12ihipStream_tbPNSt15iterator_traitsISJ_E10value_typeEPNSP_ISK_E10value_typeEPSL_NS1_7vsmem_tEENKUlT_SJ_SK_SL_E_clISE_PySF_SF_EESI_SY_SJ_SK_SL_EUlSY_E_NS1_11comp_targetILNS1_3genE5ELNS1_11target_archE942ELNS1_3gpuE9ELNS1_3repE0EEENS1_48merge_mergepath_partition_config_static_selectorELNS0_4arch9wavefront6targetE0EEEvSK_,comdat
.Lfunc_end50:
	.size	_ZN7rocprim17ROCPRIM_400000_NS6detail17trampoline_kernelINS0_14default_configENS1_38merge_sort_block_merge_config_selectorIyNS0_10empty_typeEEEZZNS1_27merge_sort_block_merge_implIS3_N6thrust23THRUST_200600_302600_NS6detail15normal_iteratorINS9_10device_ptrIyEEEEPS5_m11less_div_10IyEEE10hipError_tT0_T1_T2_jT3_P12ihipStream_tbPNSt15iterator_traitsISJ_E10value_typeEPNSP_ISK_E10value_typeEPSL_NS1_7vsmem_tEENKUlT_SJ_SK_SL_E_clISE_PySF_SF_EESI_SY_SJ_SK_SL_EUlSY_E_NS1_11comp_targetILNS1_3genE5ELNS1_11target_archE942ELNS1_3gpuE9ELNS1_3repE0EEENS1_48merge_mergepath_partition_config_static_selectorELNS0_4arch9wavefront6targetE0EEEvSK_, .Lfunc_end50-_ZN7rocprim17ROCPRIM_400000_NS6detail17trampoline_kernelINS0_14default_configENS1_38merge_sort_block_merge_config_selectorIyNS0_10empty_typeEEEZZNS1_27merge_sort_block_merge_implIS3_N6thrust23THRUST_200600_302600_NS6detail15normal_iteratorINS9_10device_ptrIyEEEEPS5_m11less_div_10IyEEE10hipError_tT0_T1_T2_jT3_P12ihipStream_tbPNSt15iterator_traitsISJ_E10value_typeEPNSP_ISK_E10value_typeEPSL_NS1_7vsmem_tEENKUlT_SJ_SK_SL_E_clISE_PySF_SF_EESI_SY_SJ_SK_SL_EUlSY_E_NS1_11comp_targetILNS1_3genE5ELNS1_11target_archE942ELNS1_3gpuE9ELNS1_3repE0EEENS1_48merge_mergepath_partition_config_static_selectorELNS0_4arch9wavefront6targetE0EEEvSK_
                                        ; -- End function
	.set _ZN7rocprim17ROCPRIM_400000_NS6detail17trampoline_kernelINS0_14default_configENS1_38merge_sort_block_merge_config_selectorIyNS0_10empty_typeEEEZZNS1_27merge_sort_block_merge_implIS3_N6thrust23THRUST_200600_302600_NS6detail15normal_iteratorINS9_10device_ptrIyEEEEPS5_m11less_div_10IyEEE10hipError_tT0_T1_T2_jT3_P12ihipStream_tbPNSt15iterator_traitsISJ_E10value_typeEPNSP_ISK_E10value_typeEPSL_NS1_7vsmem_tEENKUlT_SJ_SK_SL_E_clISE_PySF_SF_EESI_SY_SJ_SK_SL_EUlSY_E_NS1_11comp_targetILNS1_3genE5ELNS1_11target_archE942ELNS1_3gpuE9ELNS1_3repE0EEENS1_48merge_mergepath_partition_config_static_selectorELNS0_4arch9wavefront6targetE0EEEvSK_.num_vgpr, 0
	.set _ZN7rocprim17ROCPRIM_400000_NS6detail17trampoline_kernelINS0_14default_configENS1_38merge_sort_block_merge_config_selectorIyNS0_10empty_typeEEEZZNS1_27merge_sort_block_merge_implIS3_N6thrust23THRUST_200600_302600_NS6detail15normal_iteratorINS9_10device_ptrIyEEEEPS5_m11less_div_10IyEEE10hipError_tT0_T1_T2_jT3_P12ihipStream_tbPNSt15iterator_traitsISJ_E10value_typeEPNSP_ISK_E10value_typeEPSL_NS1_7vsmem_tEENKUlT_SJ_SK_SL_E_clISE_PySF_SF_EESI_SY_SJ_SK_SL_EUlSY_E_NS1_11comp_targetILNS1_3genE5ELNS1_11target_archE942ELNS1_3gpuE9ELNS1_3repE0EEENS1_48merge_mergepath_partition_config_static_selectorELNS0_4arch9wavefront6targetE0EEEvSK_.num_agpr, 0
	.set _ZN7rocprim17ROCPRIM_400000_NS6detail17trampoline_kernelINS0_14default_configENS1_38merge_sort_block_merge_config_selectorIyNS0_10empty_typeEEEZZNS1_27merge_sort_block_merge_implIS3_N6thrust23THRUST_200600_302600_NS6detail15normal_iteratorINS9_10device_ptrIyEEEEPS5_m11less_div_10IyEEE10hipError_tT0_T1_T2_jT3_P12ihipStream_tbPNSt15iterator_traitsISJ_E10value_typeEPNSP_ISK_E10value_typeEPSL_NS1_7vsmem_tEENKUlT_SJ_SK_SL_E_clISE_PySF_SF_EESI_SY_SJ_SK_SL_EUlSY_E_NS1_11comp_targetILNS1_3genE5ELNS1_11target_archE942ELNS1_3gpuE9ELNS1_3repE0EEENS1_48merge_mergepath_partition_config_static_selectorELNS0_4arch9wavefront6targetE0EEEvSK_.numbered_sgpr, 0
	.set _ZN7rocprim17ROCPRIM_400000_NS6detail17trampoline_kernelINS0_14default_configENS1_38merge_sort_block_merge_config_selectorIyNS0_10empty_typeEEEZZNS1_27merge_sort_block_merge_implIS3_N6thrust23THRUST_200600_302600_NS6detail15normal_iteratorINS9_10device_ptrIyEEEEPS5_m11less_div_10IyEEE10hipError_tT0_T1_T2_jT3_P12ihipStream_tbPNSt15iterator_traitsISJ_E10value_typeEPNSP_ISK_E10value_typeEPSL_NS1_7vsmem_tEENKUlT_SJ_SK_SL_E_clISE_PySF_SF_EESI_SY_SJ_SK_SL_EUlSY_E_NS1_11comp_targetILNS1_3genE5ELNS1_11target_archE942ELNS1_3gpuE9ELNS1_3repE0EEENS1_48merge_mergepath_partition_config_static_selectorELNS0_4arch9wavefront6targetE0EEEvSK_.num_named_barrier, 0
	.set _ZN7rocprim17ROCPRIM_400000_NS6detail17trampoline_kernelINS0_14default_configENS1_38merge_sort_block_merge_config_selectorIyNS0_10empty_typeEEEZZNS1_27merge_sort_block_merge_implIS3_N6thrust23THRUST_200600_302600_NS6detail15normal_iteratorINS9_10device_ptrIyEEEEPS5_m11less_div_10IyEEE10hipError_tT0_T1_T2_jT3_P12ihipStream_tbPNSt15iterator_traitsISJ_E10value_typeEPNSP_ISK_E10value_typeEPSL_NS1_7vsmem_tEENKUlT_SJ_SK_SL_E_clISE_PySF_SF_EESI_SY_SJ_SK_SL_EUlSY_E_NS1_11comp_targetILNS1_3genE5ELNS1_11target_archE942ELNS1_3gpuE9ELNS1_3repE0EEENS1_48merge_mergepath_partition_config_static_selectorELNS0_4arch9wavefront6targetE0EEEvSK_.private_seg_size, 0
	.set _ZN7rocprim17ROCPRIM_400000_NS6detail17trampoline_kernelINS0_14default_configENS1_38merge_sort_block_merge_config_selectorIyNS0_10empty_typeEEEZZNS1_27merge_sort_block_merge_implIS3_N6thrust23THRUST_200600_302600_NS6detail15normal_iteratorINS9_10device_ptrIyEEEEPS5_m11less_div_10IyEEE10hipError_tT0_T1_T2_jT3_P12ihipStream_tbPNSt15iterator_traitsISJ_E10value_typeEPNSP_ISK_E10value_typeEPSL_NS1_7vsmem_tEENKUlT_SJ_SK_SL_E_clISE_PySF_SF_EESI_SY_SJ_SK_SL_EUlSY_E_NS1_11comp_targetILNS1_3genE5ELNS1_11target_archE942ELNS1_3gpuE9ELNS1_3repE0EEENS1_48merge_mergepath_partition_config_static_selectorELNS0_4arch9wavefront6targetE0EEEvSK_.uses_vcc, 0
	.set _ZN7rocprim17ROCPRIM_400000_NS6detail17trampoline_kernelINS0_14default_configENS1_38merge_sort_block_merge_config_selectorIyNS0_10empty_typeEEEZZNS1_27merge_sort_block_merge_implIS3_N6thrust23THRUST_200600_302600_NS6detail15normal_iteratorINS9_10device_ptrIyEEEEPS5_m11less_div_10IyEEE10hipError_tT0_T1_T2_jT3_P12ihipStream_tbPNSt15iterator_traitsISJ_E10value_typeEPNSP_ISK_E10value_typeEPSL_NS1_7vsmem_tEENKUlT_SJ_SK_SL_E_clISE_PySF_SF_EESI_SY_SJ_SK_SL_EUlSY_E_NS1_11comp_targetILNS1_3genE5ELNS1_11target_archE942ELNS1_3gpuE9ELNS1_3repE0EEENS1_48merge_mergepath_partition_config_static_selectorELNS0_4arch9wavefront6targetE0EEEvSK_.uses_flat_scratch, 0
	.set _ZN7rocprim17ROCPRIM_400000_NS6detail17trampoline_kernelINS0_14default_configENS1_38merge_sort_block_merge_config_selectorIyNS0_10empty_typeEEEZZNS1_27merge_sort_block_merge_implIS3_N6thrust23THRUST_200600_302600_NS6detail15normal_iteratorINS9_10device_ptrIyEEEEPS5_m11less_div_10IyEEE10hipError_tT0_T1_T2_jT3_P12ihipStream_tbPNSt15iterator_traitsISJ_E10value_typeEPNSP_ISK_E10value_typeEPSL_NS1_7vsmem_tEENKUlT_SJ_SK_SL_E_clISE_PySF_SF_EESI_SY_SJ_SK_SL_EUlSY_E_NS1_11comp_targetILNS1_3genE5ELNS1_11target_archE942ELNS1_3gpuE9ELNS1_3repE0EEENS1_48merge_mergepath_partition_config_static_selectorELNS0_4arch9wavefront6targetE0EEEvSK_.has_dyn_sized_stack, 0
	.set _ZN7rocprim17ROCPRIM_400000_NS6detail17trampoline_kernelINS0_14default_configENS1_38merge_sort_block_merge_config_selectorIyNS0_10empty_typeEEEZZNS1_27merge_sort_block_merge_implIS3_N6thrust23THRUST_200600_302600_NS6detail15normal_iteratorINS9_10device_ptrIyEEEEPS5_m11less_div_10IyEEE10hipError_tT0_T1_T2_jT3_P12ihipStream_tbPNSt15iterator_traitsISJ_E10value_typeEPNSP_ISK_E10value_typeEPSL_NS1_7vsmem_tEENKUlT_SJ_SK_SL_E_clISE_PySF_SF_EESI_SY_SJ_SK_SL_EUlSY_E_NS1_11comp_targetILNS1_3genE5ELNS1_11target_archE942ELNS1_3gpuE9ELNS1_3repE0EEENS1_48merge_mergepath_partition_config_static_selectorELNS0_4arch9wavefront6targetE0EEEvSK_.has_recursion, 0
	.set _ZN7rocprim17ROCPRIM_400000_NS6detail17trampoline_kernelINS0_14default_configENS1_38merge_sort_block_merge_config_selectorIyNS0_10empty_typeEEEZZNS1_27merge_sort_block_merge_implIS3_N6thrust23THRUST_200600_302600_NS6detail15normal_iteratorINS9_10device_ptrIyEEEEPS5_m11less_div_10IyEEE10hipError_tT0_T1_T2_jT3_P12ihipStream_tbPNSt15iterator_traitsISJ_E10value_typeEPNSP_ISK_E10value_typeEPSL_NS1_7vsmem_tEENKUlT_SJ_SK_SL_E_clISE_PySF_SF_EESI_SY_SJ_SK_SL_EUlSY_E_NS1_11comp_targetILNS1_3genE5ELNS1_11target_archE942ELNS1_3gpuE9ELNS1_3repE0EEENS1_48merge_mergepath_partition_config_static_selectorELNS0_4arch9wavefront6targetE0EEEvSK_.has_indirect_call, 0
	.section	.AMDGPU.csdata,"",@progbits
; Kernel info:
; codeLenInByte = 0
; TotalNumSgprs: 0
; NumVgprs: 0
; ScratchSize: 0
; MemoryBound: 0
; FloatMode: 240
; IeeeMode: 1
; LDSByteSize: 0 bytes/workgroup (compile time only)
; SGPRBlocks: 0
; VGPRBlocks: 0
; NumSGPRsForWavesPerEU: 1
; NumVGPRsForWavesPerEU: 1
; Occupancy: 16
; WaveLimiterHint : 0
; COMPUTE_PGM_RSRC2:SCRATCH_EN: 0
; COMPUTE_PGM_RSRC2:USER_SGPR: 6
; COMPUTE_PGM_RSRC2:TRAP_HANDLER: 0
; COMPUTE_PGM_RSRC2:TGID_X_EN: 1
; COMPUTE_PGM_RSRC2:TGID_Y_EN: 0
; COMPUTE_PGM_RSRC2:TGID_Z_EN: 0
; COMPUTE_PGM_RSRC2:TIDIG_COMP_CNT: 0
	.section	.text._ZN7rocprim17ROCPRIM_400000_NS6detail17trampoline_kernelINS0_14default_configENS1_38merge_sort_block_merge_config_selectorIyNS0_10empty_typeEEEZZNS1_27merge_sort_block_merge_implIS3_N6thrust23THRUST_200600_302600_NS6detail15normal_iteratorINS9_10device_ptrIyEEEEPS5_m11less_div_10IyEEE10hipError_tT0_T1_T2_jT3_P12ihipStream_tbPNSt15iterator_traitsISJ_E10value_typeEPNSP_ISK_E10value_typeEPSL_NS1_7vsmem_tEENKUlT_SJ_SK_SL_E_clISE_PySF_SF_EESI_SY_SJ_SK_SL_EUlSY_E_NS1_11comp_targetILNS1_3genE4ELNS1_11target_archE910ELNS1_3gpuE8ELNS1_3repE0EEENS1_48merge_mergepath_partition_config_static_selectorELNS0_4arch9wavefront6targetE0EEEvSK_,"axG",@progbits,_ZN7rocprim17ROCPRIM_400000_NS6detail17trampoline_kernelINS0_14default_configENS1_38merge_sort_block_merge_config_selectorIyNS0_10empty_typeEEEZZNS1_27merge_sort_block_merge_implIS3_N6thrust23THRUST_200600_302600_NS6detail15normal_iteratorINS9_10device_ptrIyEEEEPS5_m11less_div_10IyEEE10hipError_tT0_T1_T2_jT3_P12ihipStream_tbPNSt15iterator_traitsISJ_E10value_typeEPNSP_ISK_E10value_typeEPSL_NS1_7vsmem_tEENKUlT_SJ_SK_SL_E_clISE_PySF_SF_EESI_SY_SJ_SK_SL_EUlSY_E_NS1_11comp_targetILNS1_3genE4ELNS1_11target_archE910ELNS1_3gpuE8ELNS1_3repE0EEENS1_48merge_mergepath_partition_config_static_selectorELNS0_4arch9wavefront6targetE0EEEvSK_,comdat
	.protected	_ZN7rocprim17ROCPRIM_400000_NS6detail17trampoline_kernelINS0_14default_configENS1_38merge_sort_block_merge_config_selectorIyNS0_10empty_typeEEEZZNS1_27merge_sort_block_merge_implIS3_N6thrust23THRUST_200600_302600_NS6detail15normal_iteratorINS9_10device_ptrIyEEEEPS5_m11less_div_10IyEEE10hipError_tT0_T1_T2_jT3_P12ihipStream_tbPNSt15iterator_traitsISJ_E10value_typeEPNSP_ISK_E10value_typeEPSL_NS1_7vsmem_tEENKUlT_SJ_SK_SL_E_clISE_PySF_SF_EESI_SY_SJ_SK_SL_EUlSY_E_NS1_11comp_targetILNS1_3genE4ELNS1_11target_archE910ELNS1_3gpuE8ELNS1_3repE0EEENS1_48merge_mergepath_partition_config_static_selectorELNS0_4arch9wavefront6targetE0EEEvSK_ ; -- Begin function _ZN7rocprim17ROCPRIM_400000_NS6detail17trampoline_kernelINS0_14default_configENS1_38merge_sort_block_merge_config_selectorIyNS0_10empty_typeEEEZZNS1_27merge_sort_block_merge_implIS3_N6thrust23THRUST_200600_302600_NS6detail15normal_iteratorINS9_10device_ptrIyEEEEPS5_m11less_div_10IyEEE10hipError_tT0_T1_T2_jT3_P12ihipStream_tbPNSt15iterator_traitsISJ_E10value_typeEPNSP_ISK_E10value_typeEPSL_NS1_7vsmem_tEENKUlT_SJ_SK_SL_E_clISE_PySF_SF_EESI_SY_SJ_SK_SL_EUlSY_E_NS1_11comp_targetILNS1_3genE4ELNS1_11target_archE910ELNS1_3gpuE8ELNS1_3repE0EEENS1_48merge_mergepath_partition_config_static_selectorELNS0_4arch9wavefront6targetE0EEEvSK_
	.globl	_ZN7rocprim17ROCPRIM_400000_NS6detail17trampoline_kernelINS0_14default_configENS1_38merge_sort_block_merge_config_selectorIyNS0_10empty_typeEEEZZNS1_27merge_sort_block_merge_implIS3_N6thrust23THRUST_200600_302600_NS6detail15normal_iteratorINS9_10device_ptrIyEEEEPS5_m11less_div_10IyEEE10hipError_tT0_T1_T2_jT3_P12ihipStream_tbPNSt15iterator_traitsISJ_E10value_typeEPNSP_ISK_E10value_typeEPSL_NS1_7vsmem_tEENKUlT_SJ_SK_SL_E_clISE_PySF_SF_EESI_SY_SJ_SK_SL_EUlSY_E_NS1_11comp_targetILNS1_3genE4ELNS1_11target_archE910ELNS1_3gpuE8ELNS1_3repE0EEENS1_48merge_mergepath_partition_config_static_selectorELNS0_4arch9wavefront6targetE0EEEvSK_
	.p2align	8
	.type	_ZN7rocprim17ROCPRIM_400000_NS6detail17trampoline_kernelINS0_14default_configENS1_38merge_sort_block_merge_config_selectorIyNS0_10empty_typeEEEZZNS1_27merge_sort_block_merge_implIS3_N6thrust23THRUST_200600_302600_NS6detail15normal_iteratorINS9_10device_ptrIyEEEEPS5_m11less_div_10IyEEE10hipError_tT0_T1_T2_jT3_P12ihipStream_tbPNSt15iterator_traitsISJ_E10value_typeEPNSP_ISK_E10value_typeEPSL_NS1_7vsmem_tEENKUlT_SJ_SK_SL_E_clISE_PySF_SF_EESI_SY_SJ_SK_SL_EUlSY_E_NS1_11comp_targetILNS1_3genE4ELNS1_11target_archE910ELNS1_3gpuE8ELNS1_3repE0EEENS1_48merge_mergepath_partition_config_static_selectorELNS0_4arch9wavefront6targetE0EEEvSK_,@function
_ZN7rocprim17ROCPRIM_400000_NS6detail17trampoline_kernelINS0_14default_configENS1_38merge_sort_block_merge_config_selectorIyNS0_10empty_typeEEEZZNS1_27merge_sort_block_merge_implIS3_N6thrust23THRUST_200600_302600_NS6detail15normal_iteratorINS9_10device_ptrIyEEEEPS5_m11less_div_10IyEEE10hipError_tT0_T1_T2_jT3_P12ihipStream_tbPNSt15iterator_traitsISJ_E10value_typeEPNSP_ISK_E10value_typeEPSL_NS1_7vsmem_tEENKUlT_SJ_SK_SL_E_clISE_PySF_SF_EESI_SY_SJ_SK_SL_EUlSY_E_NS1_11comp_targetILNS1_3genE4ELNS1_11target_archE910ELNS1_3gpuE8ELNS1_3repE0EEENS1_48merge_mergepath_partition_config_static_selectorELNS0_4arch9wavefront6targetE0EEEvSK_: ; @_ZN7rocprim17ROCPRIM_400000_NS6detail17trampoline_kernelINS0_14default_configENS1_38merge_sort_block_merge_config_selectorIyNS0_10empty_typeEEEZZNS1_27merge_sort_block_merge_implIS3_N6thrust23THRUST_200600_302600_NS6detail15normal_iteratorINS9_10device_ptrIyEEEEPS5_m11less_div_10IyEEE10hipError_tT0_T1_T2_jT3_P12ihipStream_tbPNSt15iterator_traitsISJ_E10value_typeEPNSP_ISK_E10value_typeEPSL_NS1_7vsmem_tEENKUlT_SJ_SK_SL_E_clISE_PySF_SF_EESI_SY_SJ_SK_SL_EUlSY_E_NS1_11comp_targetILNS1_3genE4ELNS1_11target_archE910ELNS1_3gpuE8ELNS1_3repE0EEENS1_48merge_mergepath_partition_config_static_selectorELNS0_4arch9wavefront6targetE0EEEvSK_
; %bb.0:
	.section	.rodata,"a",@progbits
	.p2align	6, 0x0
	.amdhsa_kernel _ZN7rocprim17ROCPRIM_400000_NS6detail17trampoline_kernelINS0_14default_configENS1_38merge_sort_block_merge_config_selectorIyNS0_10empty_typeEEEZZNS1_27merge_sort_block_merge_implIS3_N6thrust23THRUST_200600_302600_NS6detail15normal_iteratorINS9_10device_ptrIyEEEEPS5_m11less_div_10IyEEE10hipError_tT0_T1_T2_jT3_P12ihipStream_tbPNSt15iterator_traitsISJ_E10value_typeEPNSP_ISK_E10value_typeEPSL_NS1_7vsmem_tEENKUlT_SJ_SK_SL_E_clISE_PySF_SF_EESI_SY_SJ_SK_SL_EUlSY_E_NS1_11comp_targetILNS1_3genE4ELNS1_11target_archE910ELNS1_3gpuE8ELNS1_3repE0EEENS1_48merge_mergepath_partition_config_static_selectorELNS0_4arch9wavefront6targetE0EEEvSK_
		.amdhsa_group_segment_fixed_size 0
		.amdhsa_private_segment_fixed_size 0
		.amdhsa_kernarg_size 48
		.amdhsa_user_sgpr_count 6
		.amdhsa_user_sgpr_private_segment_buffer 1
		.amdhsa_user_sgpr_dispatch_ptr 0
		.amdhsa_user_sgpr_queue_ptr 0
		.amdhsa_user_sgpr_kernarg_segment_ptr 1
		.amdhsa_user_sgpr_dispatch_id 0
		.amdhsa_user_sgpr_flat_scratch_init 0
		.amdhsa_user_sgpr_private_segment_size 0
		.amdhsa_wavefront_size32 1
		.amdhsa_uses_dynamic_stack 0
		.amdhsa_system_sgpr_private_segment_wavefront_offset 0
		.amdhsa_system_sgpr_workgroup_id_x 1
		.amdhsa_system_sgpr_workgroup_id_y 0
		.amdhsa_system_sgpr_workgroup_id_z 0
		.amdhsa_system_sgpr_workgroup_info 0
		.amdhsa_system_vgpr_workitem_id 0
		.amdhsa_next_free_vgpr 1
		.amdhsa_next_free_sgpr 1
		.amdhsa_reserve_vcc 0
		.amdhsa_reserve_flat_scratch 0
		.amdhsa_float_round_mode_32 0
		.amdhsa_float_round_mode_16_64 0
		.amdhsa_float_denorm_mode_32 3
		.amdhsa_float_denorm_mode_16_64 3
		.amdhsa_dx10_clamp 1
		.amdhsa_ieee_mode 1
		.amdhsa_fp16_overflow 0
		.amdhsa_workgroup_processor_mode 1
		.amdhsa_memory_ordered 1
		.amdhsa_forward_progress 1
		.amdhsa_shared_vgpr_count 0
		.amdhsa_exception_fp_ieee_invalid_op 0
		.amdhsa_exception_fp_denorm_src 0
		.amdhsa_exception_fp_ieee_div_zero 0
		.amdhsa_exception_fp_ieee_overflow 0
		.amdhsa_exception_fp_ieee_underflow 0
		.amdhsa_exception_fp_ieee_inexact 0
		.amdhsa_exception_int_div_zero 0
	.end_amdhsa_kernel
	.section	.text._ZN7rocprim17ROCPRIM_400000_NS6detail17trampoline_kernelINS0_14default_configENS1_38merge_sort_block_merge_config_selectorIyNS0_10empty_typeEEEZZNS1_27merge_sort_block_merge_implIS3_N6thrust23THRUST_200600_302600_NS6detail15normal_iteratorINS9_10device_ptrIyEEEEPS5_m11less_div_10IyEEE10hipError_tT0_T1_T2_jT3_P12ihipStream_tbPNSt15iterator_traitsISJ_E10value_typeEPNSP_ISK_E10value_typeEPSL_NS1_7vsmem_tEENKUlT_SJ_SK_SL_E_clISE_PySF_SF_EESI_SY_SJ_SK_SL_EUlSY_E_NS1_11comp_targetILNS1_3genE4ELNS1_11target_archE910ELNS1_3gpuE8ELNS1_3repE0EEENS1_48merge_mergepath_partition_config_static_selectorELNS0_4arch9wavefront6targetE0EEEvSK_,"axG",@progbits,_ZN7rocprim17ROCPRIM_400000_NS6detail17trampoline_kernelINS0_14default_configENS1_38merge_sort_block_merge_config_selectorIyNS0_10empty_typeEEEZZNS1_27merge_sort_block_merge_implIS3_N6thrust23THRUST_200600_302600_NS6detail15normal_iteratorINS9_10device_ptrIyEEEEPS5_m11less_div_10IyEEE10hipError_tT0_T1_T2_jT3_P12ihipStream_tbPNSt15iterator_traitsISJ_E10value_typeEPNSP_ISK_E10value_typeEPSL_NS1_7vsmem_tEENKUlT_SJ_SK_SL_E_clISE_PySF_SF_EESI_SY_SJ_SK_SL_EUlSY_E_NS1_11comp_targetILNS1_3genE4ELNS1_11target_archE910ELNS1_3gpuE8ELNS1_3repE0EEENS1_48merge_mergepath_partition_config_static_selectorELNS0_4arch9wavefront6targetE0EEEvSK_,comdat
.Lfunc_end51:
	.size	_ZN7rocprim17ROCPRIM_400000_NS6detail17trampoline_kernelINS0_14default_configENS1_38merge_sort_block_merge_config_selectorIyNS0_10empty_typeEEEZZNS1_27merge_sort_block_merge_implIS3_N6thrust23THRUST_200600_302600_NS6detail15normal_iteratorINS9_10device_ptrIyEEEEPS5_m11less_div_10IyEEE10hipError_tT0_T1_T2_jT3_P12ihipStream_tbPNSt15iterator_traitsISJ_E10value_typeEPNSP_ISK_E10value_typeEPSL_NS1_7vsmem_tEENKUlT_SJ_SK_SL_E_clISE_PySF_SF_EESI_SY_SJ_SK_SL_EUlSY_E_NS1_11comp_targetILNS1_3genE4ELNS1_11target_archE910ELNS1_3gpuE8ELNS1_3repE0EEENS1_48merge_mergepath_partition_config_static_selectorELNS0_4arch9wavefront6targetE0EEEvSK_, .Lfunc_end51-_ZN7rocprim17ROCPRIM_400000_NS6detail17trampoline_kernelINS0_14default_configENS1_38merge_sort_block_merge_config_selectorIyNS0_10empty_typeEEEZZNS1_27merge_sort_block_merge_implIS3_N6thrust23THRUST_200600_302600_NS6detail15normal_iteratorINS9_10device_ptrIyEEEEPS5_m11less_div_10IyEEE10hipError_tT0_T1_T2_jT3_P12ihipStream_tbPNSt15iterator_traitsISJ_E10value_typeEPNSP_ISK_E10value_typeEPSL_NS1_7vsmem_tEENKUlT_SJ_SK_SL_E_clISE_PySF_SF_EESI_SY_SJ_SK_SL_EUlSY_E_NS1_11comp_targetILNS1_3genE4ELNS1_11target_archE910ELNS1_3gpuE8ELNS1_3repE0EEENS1_48merge_mergepath_partition_config_static_selectorELNS0_4arch9wavefront6targetE0EEEvSK_
                                        ; -- End function
	.set _ZN7rocprim17ROCPRIM_400000_NS6detail17trampoline_kernelINS0_14default_configENS1_38merge_sort_block_merge_config_selectorIyNS0_10empty_typeEEEZZNS1_27merge_sort_block_merge_implIS3_N6thrust23THRUST_200600_302600_NS6detail15normal_iteratorINS9_10device_ptrIyEEEEPS5_m11less_div_10IyEEE10hipError_tT0_T1_T2_jT3_P12ihipStream_tbPNSt15iterator_traitsISJ_E10value_typeEPNSP_ISK_E10value_typeEPSL_NS1_7vsmem_tEENKUlT_SJ_SK_SL_E_clISE_PySF_SF_EESI_SY_SJ_SK_SL_EUlSY_E_NS1_11comp_targetILNS1_3genE4ELNS1_11target_archE910ELNS1_3gpuE8ELNS1_3repE0EEENS1_48merge_mergepath_partition_config_static_selectorELNS0_4arch9wavefront6targetE0EEEvSK_.num_vgpr, 0
	.set _ZN7rocprim17ROCPRIM_400000_NS6detail17trampoline_kernelINS0_14default_configENS1_38merge_sort_block_merge_config_selectorIyNS0_10empty_typeEEEZZNS1_27merge_sort_block_merge_implIS3_N6thrust23THRUST_200600_302600_NS6detail15normal_iteratorINS9_10device_ptrIyEEEEPS5_m11less_div_10IyEEE10hipError_tT0_T1_T2_jT3_P12ihipStream_tbPNSt15iterator_traitsISJ_E10value_typeEPNSP_ISK_E10value_typeEPSL_NS1_7vsmem_tEENKUlT_SJ_SK_SL_E_clISE_PySF_SF_EESI_SY_SJ_SK_SL_EUlSY_E_NS1_11comp_targetILNS1_3genE4ELNS1_11target_archE910ELNS1_3gpuE8ELNS1_3repE0EEENS1_48merge_mergepath_partition_config_static_selectorELNS0_4arch9wavefront6targetE0EEEvSK_.num_agpr, 0
	.set _ZN7rocprim17ROCPRIM_400000_NS6detail17trampoline_kernelINS0_14default_configENS1_38merge_sort_block_merge_config_selectorIyNS0_10empty_typeEEEZZNS1_27merge_sort_block_merge_implIS3_N6thrust23THRUST_200600_302600_NS6detail15normal_iteratorINS9_10device_ptrIyEEEEPS5_m11less_div_10IyEEE10hipError_tT0_T1_T2_jT3_P12ihipStream_tbPNSt15iterator_traitsISJ_E10value_typeEPNSP_ISK_E10value_typeEPSL_NS1_7vsmem_tEENKUlT_SJ_SK_SL_E_clISE_PySF_SF_EESI_SY_SJ_SK_SL_EUlSY_E_NS1_11comp_targetILNS1_3genE4ELNS1_11target_archE910ELNS1_3gpuE8ELNS1_3repE0EEENS1_48merge_mergepath_partition_config_static_selectorELNS0_4arch9wavefront6targetE0EEEvSK_.numbered_sgpr, 0
	.set _ZN7rocprim17ROCPRIM_400000_NS6detail17trampoline_kernelINS0_14default_configENS1_38merge_sort_block_merge_config_selectorIyNS0_10empty_typeEEEZZNS1_27merge_sort_block_merge_implIS3_N6thrust23THRUST_200600_302600_NS6detail15normal_iteratorINS9_10device_ptrIyEEEEPS5_m11less_div_10IyEEE10hipError_tT0_T1_T2_jT3_P12ihipStream_tbPNSt15iterator_traitsISJ_E10value_typeEPNSP_ISK_E10value_typeEPSL_NS1_7vsmem_tEENKUlT_SJ_SK_SL_E_clISE_PySF_SF_EESI_SY_SJ_SK_SL_EUlSY_E_NS1_11comp_targetILNS1_3genE4ELNS1_11target_archE910ELNS1_3gpuE8ELNS1_3repE0EEENS1_48merge_mergepath_partition_config_static_selectorELNS0_4arch9wavefront6targetE0EEEvSK_.num_named_barrier, 0
	.set _ZN7rocprim17ROCPRIM_400000_NS6detail17trampoline_kernelINS0_14default_configENS1_38merge_sort_block_merge_config_selectorIyNS0_10empty_typeEEEZZNS1_27merge_sort_block_merge_implIS3_N6thrust23THRUST_200600_302600_NS6detail15normal_iteratorINS9_10device_ptrIyEEEEPS5_m11less_div_10IyEEE10hipError_tT0_T1_T2_jT3_P12ihipStream_tbPNSt15iterator_traitsISJ_E10value_typeEPNSP_ISK_E10value_typeEPSL_NS1_7vsmem_tEENKUlT_SJ_SK_SL_E_clISE_PySF_SF_EESI_SY_SJ_SK_SL_EUlSY_E_NS1_11comp_targetILNS1_3genE4ELNS1_11target_archE910ELNS1_3gpuE8ELNS1_3repE0EEENS1_48merge_mergepath_partition_config_static_selectorELNS0_4arch9wavefront6targetE0EEEvSK_.private_seg_size, 0
	.set _ZN7rocprim17ROCPRIM_400000_NS6detail17trampoline_kernelINS0_14default_configENS1_38merge_sort_block_merge_config_selectorIyNS0_10empty_typeEEEZZNS1_27merge_sort_block_merge_implIS3_N6thrust23THRUST_200600_302600_NS6detail15normal_iteratorINS9_10device_ptrIyEEEEPS5_m11less_div_10IyEEE10hipError_tT0_T1_T2_jT3_P12ihipStream_tbPNSt15iterator_traitsISJ_E10value_typeEPNSP_ISK_E10value_typeEPSL_NS1_7vsmem_tEENKUlT_SJ_SK_SL_E_clISE_PySF_SF_EESI_SY_SJ_SK_SL_EUlSY_E_NS1_11comp_targetILNS1_3genE4ELNS1_11target_archE910ELNS1_3gpuE8ELNS1_3repE0EEENS1_48merge_mergepath_partition_config_static_selectorELNS0_4arch9wavefront6targetE0EEEvSK_.uses_vcc, 0
	.set _ZN7rocprim17ROCPRIM_400000_NS6detail17trampoline_kernelINS0_14default_configENS1_38merge_sort_block_merge_config_selectorIyNS0_10empty_typeEEEZZNS1_27merge_sort_block_merge_implIS3_N6thrust23THRUST_200600_302600_NS6detail15normal_iteratorINS9_10device_ptrIyEEEEPS5_m11less_div_10IyEEE10hipError_tT0_T1_T2_jT3_P12ihipStream_tbPNSt15iterator_traitsISJ_E10value_typeEPNSP_ISK_E10value_typeEPSL_NS1_7vsmem_tEENKUlT_SJ_SK_SL_E_clISE_PySF_SF_EESI_SY_SJ_SK_SL_EUlSY_E_NS1_11comp_targetILNS1_3genE4ELNS1_11target_archE910ELNS1_3gpuE8ELNS1_3repE0EEENS1_48merge_mergepath_partition_config_static_selectorELNS0_4arch9wavefront6targetE0EEEvSK_.uses_flat_scratch, 0
	.set _ZN7rocprim17ROCPRIM_400000_NS6detail17trampoline_kernelINS0_14default_configENS1_38merge_sort_block_merge_config_selectorIyNS0_10empty_typeEEEZZNS1_27merge_sort_block_merge_implIS3_N6thrust23THRUST_200600_302600_NS6detail15normal_iteratorINS9_10device_ptrIyEEEEPS5_m11less_div_10IyEEE10hipError_tT0_T1_T2_jT3_P12ihipStream_tbPNSt15iterator_traitsISJ_E10value_typeEPNSP_ISK_E10value_typeEPSL_NS1_7vsmem_tEENKUlT_SJ_SK_SL_E_clISE_PySF_SF_EESI_SY_SJ_SK_SL_EUlSY_E_NS1_11comp_targetILNS1_3genE4ELNS1_11target_archE910ELNS1_3gpuE8ELNS1_3repE0EEENS1_48merge_mergepath_partition_config_static_selectorELNS0_4arch9wavefront6targetE0EEEvSK_.has_dyn_sized_stack, 0
	.set _ZN7rocprim17ROCPRIM_400000_NS6detail17trampoline_kernelINS0_14default_configENS1_38merge_sort_block_merge_config_selectorIyNS0_10empty_typeEEEZZNS1_27merge_sort_block_merge_implIS3_N6thrust23THRUST_200600_302600_NS6detail15normal_iteratorINS9_10device_ptrIyEEEEPS5_m11less_div_10IyEEE10hipError_tT0_T1_T2_jT3_P12ihipStream_tbPNSt15iterator_traitsISJ_E10value_typeEPNSP_ISK_E10value_typeEPSL_NS1_7vsmem_tEENKUlT_SJ_SK_SL_E_clISE_PySF_SF_EESI_SY_SJ_SK_SL_EUlSY_E_NS1_11comp_targetILNS1_3genE4ELNS1_11target_archE910ELNS1_3gpuE8ELNS1_3repE0EEENS1_48merge_mergepath_partition_config_static_selectorELNS0_4arch9wavefront6targetE0EEEvSK_.has_recursion, 0
	.set _ZN7rocprim17ROCPRIM_400000_NS6detail17trampoline_kernelINS0_14default_configENS1_38merge_sort_block_merge_config_selectorIyNS0_10empty_typeEEEZZNS1_27merge_sort_block_merge_implIS3_N6thrust23THRUST_200600_302600_NS6detail15normal_iteratorINS9_10device_ptrIyEEEEPS5_m11less_div_10IyEEE10hipError_tT0_T1_T2_jT3_P12ihipStream_tbPNSt15iterator_traitsISJ_E10value_typeEPNSP_ISK_E10value_typeEPSL_NS1_7vsmem_tEENKUlT_SJ_SK_SL_E_clISE_PySF_SF_EESI_SY_SJ_SK_SL_EUlSY_E_NS1_11comp_targetILNS1_3genE4ELNS1_11target_archE910ELNS1_3gpuE8ELNS1_3repE0EEENS1_48merge_mergepath_partition_config_static_selectorELNS0_4arch9wavefront6targetE0EEEvSK_.has_indirect_call, 0
	.section	.AMDGPU.csdata,"",@progbits
; Kernel info:
; codeLenInByte = 0
; TotalNumSgprs: 0
; NumVgprs: 0
; ScratchSize: 0
; MemoryBound: 0
; FloatMode: 240
; IeeeMode: 1
; LDSByteSize: 0 bytes/workgroup (compile time only)
; SGPRBlocks: 0
; VGPRBlocks: 0
; NumSGPRsForWavesPerEU: 1
; NumVGPRsForWavesPerEU: 1
; Occupancy: 16
; WaveLimiterHint : 0
; COMPUTE_PGM_RSRC2:SCRATCH_EN: 0
; COMPUTE_PGM_RSRC2:USER_SGPR: 6
; COMPUTE_PGM_RSRC2:TRAP_HANDLER: 0
; COMPUTE_PGM_RSRC2:TGID_X_EN: 1
; COMPUTE_PGM_RSRC2:TGID_Y_EN: 0
; COMPUTE_PGM_RSRC2:TGID_Z_EN: 0
; COMPUTE_PGM_RSRC2:TIDIG_COMP_CNT: 0
	.section	.text._ZN7rocprim17ROCPRIM_400000_NS6detail17trampoline_kernelINS0_14default_configENS1_38merge_sort_block_merge_config_selectorIyNS0_10empty_typeEEEZZNS1_27merge_sort_block_merge_implIS3_N6thrust23THRUST_200600_302600_NS6detail15normal_iteratorINS9_10device_ptrIyEEEEPS5_m11less_div_10IyEEE10hipError_tT0_T1_T2_jT3_P12ihipStream_tbPNSt15iterator_traitsISJ_E10value_typeEPNSP_ISK_E10value_typeEPSL_NS1_7vsmem_tEENKUlT_SJ_SK_SL_E_clISE_PySF_SF_EESI_SY_SJ_SK_SL_EUlSY_E_NS1_11comp_targetILNS1_3genE3ELNS1_11target_archE908ELNS1_3gpuE7ELNS1_3repE0EEENS1_48merge_mergepath_partition_config_static_selectorELNS0_4arch9wavefront6targetE0EEEvSK_,"axG",@progbits,_ZN7rocprim17ROCPRIM_400000_NS6detail17trampoline_kernelINS0_14default_configENS1_38merge_sort_block_merge_config_selectorIyNS0_10empty_typeEEEZZNS1_27merge_sort_block_merge_implIS3_N6thrust23THRUST_200600_302600_NS6detail15normal_iteratorINS9_10device_ptrIyEEEEPS5_m11less_div_10IyEEE10hipError_tT0_T1_T2_jT3_P12ihipStream_tbPNSt15iterator_traitsISJ_E10value_typeEPNSP_ISK_E10value_typeEPSL_NS1_7vsmem_tEENKUlT_SJ_SK_SL_E_clISE_PySF_SF_EESI_SY_SJ_SK_SL_EUlSY_E_NS1_11comp_targetILNS1_3genE3ELNS1_11target_archE908ELNS1_3gpuE7ELNS1_3repE0EEENS1_48merge_mergepath_partition_config_static_selectorELNS0_4arch9wavefront6targetE0EEEvSK_,comdat
	.protected	_ZN7rocprim17ROCPRIM_400000_NS6detail17trampoline_kernelINS0_14default_configENS1_38merge_sort_block_merge_config_selectorIyNS0_10empty_typeEEEZZNS1_27merge_sort_block_merge_implIS3_N6thrust23THRUST_200600_302600_NS6detail15normal_iteratorINS9_10device_ptrIyEEEEPS5_m11less_div_10IyEEE10hipError_tT0_T1_T2_jT3_P12ihipStream_tbPNSt15iterator_traitsISJ_E10value_typeEPNSP_ISK_E10value_typeEPSL_NS1_7vsmem_tEENKUlT_SJ_SK_SL_E_clISE_PySF_SF_EESI_SY_SJ_SK_SL_EUlSY_E_NS1_11comp_targetILNS1_3genE3ELNS1_11target_archE908ELNS1_3gpuE7ELNS1_3repE0EEENS1_48merge_mergepath_partition_config_static_selectorELNS0_4arch9wavefront6targetE0EEEvSK_ ; -- Begin function _ZN7rocprim17ROCPRIM_400000_NS6detail17trampoline_kernelINS0_14default_configENS1_38merge_sort_block_merge_config_selectorIyNS0_10empty_typeEEEZZNS1_27merge_sort_block_merge_implIS3_N6thrust23THRUST_200600_302600_NS6detail15normal_iteratorINS9_10device_ptrIyEEEEPS5_m11less_div_10IyEEE10hipError_tT0_T1_T2_jT3_P12ihipStream_tbPNSt15iterator_traitsISJ_E10value_typeEPNSP_ISK_E10value_typeEPSL_NS1_7vsmem_tEENKUlT_SJ_SK_SL_E_clISE_PySF_SF_EESI_SY_SJ_SK_SL_EUlSY_E_NS1_11comp_targetILNS1_3genE3ELNS1_11target_archE908ELNS1_3gpuE7ELNS1_3repE0EEENS1_48merge_mergepath_partition_config_static_selectorELNS0_4arch9wavefront6targetE0EEEvSK_
	.globl	_ZN7rocprim17ROCPRIM_400000_NS6detail17trampoline_kernelINS0_14default_configENS1_38merge_sort_block_merge_config_selectorIyNS0_10empty_typeEEEZZNS1_27merge_sort_block_merge_implIS3_N6thrust23THRUST_200600_302600_NS6detail15normal_iteratorINS9_10device_ptrIyEEEEPS5_m11less_div_10IyEEE10hipError_tT0_T1_T2_jT3_P12ihipStream_tbPNSt15iterator_traitsISJ_E10value_typeEPNSP_ISK_E10value_typeEPSL_NS1_7vsmem_tEENKUlT_SJ_SK_SL_E_clISE_PySF_SF_EESI_SY_SJ_SK_SL_EUlSY_E_NS1_11comp_targetILNS1_3genE3ELNS1_11target_archE908ELNS1_3gpuE7ELNS1_3repE0EEENS1_48merge_mergepath_partition_config_static_selectorELNS0_4arch9wavefront6targetE0EEEvSK_
	.p2align	8
	.type	_ZN7rocprim17ROCPRIM_400000_NS6detail17trampoline_kernelINS0_14default_configENS1_38merge_sort_block_merge_config_selectorIyNS0_10empty_typeEEEZZNS1_27merge_sort_block_merge_implIS3_N6thrust23THRUST_200600_302600_NS6detail15normal_iteratorINS9_10device_ptrIyEEEEPS5_m11less_div_10IyEEE10hipError_tT0_T1_T2_jT3_P12ihipStream_tbPNSt15iterator_traitsISJ_E10value_typeEPNSP_ISK_E10value_typeEPSL_NS1_7vsmem_tEENKUlT_SJ_SK_SL_E_clISE_PySF_SF_EESI_SY_SJ_SK_SL_EUlSY_E_NS1_11comp_targetILNS1_3genE3ELNS1_11target_archE908ELNS1_3gpuE7ELNS1_3repE0EEENS1_48merge_mergepath_partition_config_static_selectorELNS0_4arch9wavefront6targetE0EEEvSK_,@function
_ZN7rocprim17ROCPRIM_400000_NS6detail17trampoline_kernelINS0_14default_configENS1_38merge_sort_block_merge_config_selectorIyNS0_10empty_typeEEEZZNS1_27merge_sort_block_merge_implIS3_N6thrust23THRUST_200600_302600_NS6detail15normal_iteratorINS9_10device_ptrIyEEEEPS5_m11less_div_10IyEEE10hipError_tT0_T1_T2_jT3_P12ihipStream_tbPNSt15iterator_traitsISJ_E10value_typeEPNSP_ISK_E10value_typeEPSL_NS1_7vsmem_tEENKUlT_SJ_SK_SL_E_clISE_PySF_SF_EESI_SY_SJ_SK_SL_EUlSY_E_NS1_11comp_targetILNS1_3genE3ELNS1_11target_archE908ELNS1_3gpuE7ELNS1_3repE0EEENS1_48merge_mergepath_partition_config_static_selectorELNS0_4arch9wavefront6targetE0EEEvSK_: ; @_ZN7rocprim17ROCPRIM_400000_NS6detail17trampoline_kernelINS0_14default_configENS1_38merge_sort_block_merge_config_selectorIyNS0_10empty_typeEEEZZNS1_27merge_sort_block_merge_implIS3_N6thrust23THRUST_200600_302600_NS6detail15normal_iteratorINS9_10device_ptrIyEEEEPS5_m11less_div_10IyEEE10hipError_tT0_T1_T2_jT3_P12ihipStream_tbPNSt15iterator_traitsISJ_E10value_typeEPNSP_ISK_E10value_typeEPSL_NS1_7vsmem_tEENKUlT_SJ_SK_SL_E_clISE_PySF_SF_EESI_SY_SJ_SK_SL_EUlSY_E_NS1_11comp_targetILNS1_3genE3ELNS1_11target_archE908ELNS1_3gpuE7ELNS1_3repE0EEENS1_48merge_mergepath_partition_config_static_selectorELNS0_4arch9wavefront6targetE0EEEvSK_
; %bb.0:
	.section	.rodata,"a",@progbits
	.p2align	6, 0x0
	.amdhsa_kernel _ZN7rocprim17ROCPRIM_400000_NS6detail17trampoline_kernelINS0_14default_configENS1_38merge_sort_block_merge_config_selectorIyNS0_10empty_typeEEEZZNS1_27merge_sort_block_merge_implIS3_N6thrust23THRUST_200600_302600_NS6detail15normal_iteratorINS9_10device_ptrIyEEEEPS5_m11less_div_10IyEEE10hipError_tT0_T1_T2_jT3_P12ihipStream_tbPNSt15iterator_traitsISJ_E10value_typeEPNSP_ISK_E10value_typeEPSL_NS1_7vsmem_tEENKUlT_SJ_SK_SL_E_clISE_PySF_SF_EESI_SY_SJ_SK_SL_EUlSY_E_NS1_11comp_targetILNS1_3genE3ELNS1_11target_archE908ELNS1_3gpuE7ELNS1_3repE0EEENS1_48merge_mergepath_partition_config_static_selectorELNS0_4arch9wavefront6targetE0EEEvSK_
		.amdhsa_group_segment_fixed_size 0
		.amdhsa_private_segment_fixed_size 0
		.amdhsa_kernarg_size 48
		.amdhsa_user_sgpr_count 6
		.amdhsa_user_sgpr_private_segment_buffer 1
		.amdhsa_user_sgpr_dispatch_ptr 0
		.amdhsa_user_sgpr_queue_ptr 0
		.amdhsa_user_sgpr_kernarg_segment_ptr 1
		.amdhsa_user_sgpr_dispatch_id 0
		.amdhsa_user_sgpr_flat_scratch_init 0
		.amdhsa_user_sgpr_private_segment_size 0
		.amdhsa_wavefront_size32 1
		.amdhsa_uses_dynamic_stack 0
		.amdhsa_system_sgpr_private_segment_wavefront_offset 0
		.amdhsa_system_sgpr_workgroup_id_x 1
		.amdhsa_system_sgpr_workgroup_id_y 0
		.amdhsa_system_sgpr_workgroup_id_z 0
		.amdhsa_system_sgpr_workgroup_info 0
		.amdhsa_system_vgpr_workitem_id 0
		.amdhsa_next_free_vgpr 1
		.amdhsa_next_free_sgpr 1
		.amdhsa_reserve_vcc 0
		.amdhsa_reserve_flat_scratch 0
		.amdhsa_float_round_mode_32 0
		.amdhsa_float_round_mode_16_64 0
		.amdhsa_float_denorm_mode_32 3
		.amdhsa_float_denorm_mode_16_64 3
		.amdhsa_dx10_clamp 1
		.amdhsa_ieee_mode 1
		.amdhsa_fp16_overflow 0
		.amdhsa_workgroup_processor_mode 1
		.amdhsa_memory_ordered 1
		.amdhsa_forward_progress 1
		.amdhsa_shared_vgpr_count 0
		.amdhsa_exception_fp_ieee_invalid_op 0
		.amdhsa_exception_fp_denorm_src 0
		.amdhsa_exception_fp_ieee_div_zero 0
		.amdhsa_exception_fp_ieee_overflow 0
		.amdhsa_exception_fp_ieee_underflow 0
		.amdhsa_exception_fp_ieee_inexact 0
		.amdhsa_exception_int_div_zero 0
	.end_amdhsa_kernel
	.section	.text._ZN7rocprim17ROCPRIM_400000_NS6detail17trampoline_kernelINS0_14default_configENS1_38merge_sort_block_merge_config_selectorIyNS0_10empty_typeEEEZZNS1_27merge_sort_block_merge_implIS3_N6thrust23THRUST_200600_302600_NS6detail15normal_iteratorINS9_10device_ptrIyEEEEPS5_m11less_div_10IyEEE10hipError_tT0_T1_T2_jT3_P12ihipStream_tbPNSt15iterator_traitsISJ_E10value_typeEPNSP_ISK_E10value_typeEPSL_NS1_7vsmem_tEENKUlT_SJ_SK_SL_E_clISE_PySF_SF_EESI_SY_SJ_SK_SL_EUlSY_E_NS1_11comp_targetILNS1_3genE3ELNS1_11target_archE908ELNS1_3gpuE7ELNS1_3repE0EEENS1_48merge_mergepath_partition_config_static_selectorELNS0_4arch9wavefront6targetE0EEEvSK_,"axG",@progbits,_ZN7rocprim17ROCPRIM_400000_NS6detail17trampoline_kernelINS0_14default_configENS1_38merge_sort_block_merge_config_selectorIyNS0_10empty_typeEEEZZNS1_27merge_sort_block_merge_implIS3_N6thrust23THRUST_200600_302600_NS6detail15normal_iteratorINS9_10device_ptrIyEEEEPS5_m11less_div_10IyEEE10hipError_tT0_T1_T2_jT3_P12ihipStream_tbPNSt15iterator_traitsISJ_E10value_typeEPNSP_ISK_E10value_typeEPSL_NS1_7vsmem_tEENKUlT_SJ_SK_SL_E_clISE_PySF_SF_EESI_SY_SJ_SK_SL_EUlSY_E_NS1_11comp_targetILNS1_3genE3ELNS1_11target_archE908ELNS1_3gpuE7ELNS1_3repE0EEENS1_48merge_mergepath_partition_config_static_selectorELNS0_4arch9wavefront6targetE0EEEvSK_,comdat
.Lfunc_end52:
	.size	_ZN7rocprim17ROCPRIM_400000_NS6detail17trampoline_kernelINS0_14default_configENS1_38merge_sort_block_merge_config_selectorIyNS0_10empty_typeEEEZZNS1_27merge_sort_block_merge_implIS3_N6thrust23THRUST_200600_302600_NS6detail15normal_iteratorINS9_10device_ptrIyEEEEPS5_m11less_div_10IyEEE10hipError_tT0_T1_T2_jT3_P12ihipStream_tbPNSt15iterator_traitsISJ_E10value_typeEPNSP_ISK_E10value_typeEPSL_NS1_7vsmem_tEENKUlT_SJ_SK_SL_E_clISE_PySF_SF_EESI_SY_SJ_SK_SL_EUlSY_E_NS1_11comp_targetILNS1_3genE3ELNS1_11target_archE908ELNS1_3gpuE7ELNS1_3repE0EEENS1_48merge_mergepath_partition_config_static_selectorELNS0_4arch9wavefront6targetE0EEEvSK_, .Lfunc_end52-_ZN7rocprim17ROCPRIM_400000_NS6detail17trampoline_kernelINS0_14default_configENS1_38merge_sort_block_merge_config_selectorIyNS0_10empty_typeEEEZZNS1_27merge_sort_block_merge_implIS3_N6thrust23THRUST_200600_302600_NS6detail15normal_iteratorINS9_10device_ptrIyEEEEPS5_m11less_div_10IyEEE10hipError_tT0_T1_T2_jT3_P12ihipStream_tbPNSt15iterator_traitsISJ_E10value_typeEPNSP_ISK_E10value_typeEPSL_NS1_7vsmem_tEENKUlT_SJ_SK_SL_E_clISE_PySF_SF_EESI_SY_SJ_SK_SL_EUlSY_E_NS1_11comp_targetILNS1_3genE3ELNS1_11target_archE908ELNS1_3gpuE7ELNS1_3repE0EEENS1_48merge_mergepath_partition_config_static_selectorELNS0_4arch9wavefront6targetE0EEEvSK_
                                        ; -- End function
	.set _ZN7rocprim17ROCPRIM_400000_NS6detail17trampoline_kernelINS0_14default_configENS1_38merge_sort_block_merge_config_selectorIyNS0_10empty_typeEEEZZNS1_27merge_sort_block_merge_implIS3_N6thrust23THRUST_200600_302600_NS6detail15normal_iteratorINS9_10device_ptrIyEEEEPS5_m11less_div_10IyEEE10hipError_tT0_T1_T2_jT3_P12ihipStream_tbPNSt15iterator_traitsISJ_E10value_typeEPNSP_ISK_E10value_typeEPSL_NS1_7vsmem_tEENKUlT_SJ_SK_SL_E_clISE_PySF_SF_EESI_SY_SJ_SK_SL_EUlSY_E_NS1_11comp_targetILNS1_3genE3ELNS1_11target_archE908ELNS1_3gpuE7ELNS1_3repE0EEENS1_48merge_mergepath_partition_config_static_selectorELNS0_4arch9wavefront6targetE0EEEvSK_.num_vgpr, 0
	.set _ZN7rocprim17ROCPRIM_400000_NS6detail17trampoline_kernelINS0_14default_configENS1_38merge_sort_block_merge_config_selectorIyNS0_10empty_typeEEEZZNS1_27merge_sort_block_merge_implIS3_N6thrust23THRUST_200600_302600_NS6detail15normal_iteratorINS9_10device_ptrIyEEEEPS5_m11less_div_10IyEEE10hipError_tT0_T1_T2_jT3_P12ihipStream_tbPNSt15iterator_traitsISJ_E10value_typeEPNSP_ISK_E10value_typeEPSL_NS1_7vsmem_tEENKUlT_SJ_SK_SL_E_clISE_PySF_SF_EESI_SY_SJ_SK_SL_EUlSY_E_NS1_11comp_targetILNS1_3genE3ELNS1_11target_archE908ELNS1_3gpuE7ELNS1_3repE0EEENS1_48merge_mergepath_partition_config_static_selectorELNS0_4arch9wavefront6targetE0EEEvSK_.num_agpr, 0
	.set _ZN7rocprim17ROCPRIM_400000_NS6detail17trampoline_kernelINS0_14default_configENS1_38merge_sort_block_merge_config_selectorIyNS0_10empty_typeEEEZZNS1_27merge_sort_block_merge_implIS3_N6thrust23THRUST_200600_302600_NS6detail15normal_iteratorINS9_10device_ptrIyEEEEPS5_m11less_div_10IyEEE10hipError_tT0_T1_T2_jT3_P12ihipStream_tbPNSt15iterator_traitsISJ_E10value_typeEPNSP_ISK_E10value_typeEPSL_NS1_7vsmem_tEENKUlT_SJ_SK_SL_E_clISE_PySF_SF_EESI_SY_SJ_SK_SL_EUlSY_E_NS1_11comp_targetILNS1_3genE3ELNS1_11target_archE908ELNS1_3gpuE7ELNS1_3repE0EEENS1_48merge_mergepath_partition_config_static_selectorELNS0_4arch9wavefront6targetE0EEEvSK_.numbered_sgpr, 0
	.set _ZN7rocprim17ROCPRIM_400000_NS6detail17trampoline_kernelINS0_14default_configENS1_38merge_sort_block_merge_config_selectorIyNS0_10empty_typeEEEZZNS1_27merge_sort_block_merge_implIS3_N6thrust23THRUST_200600_302600_NS6detail15normal_iteratorINS9_10device_ptrIyEEEEPS5_m11less_div_10IyEEE10hipError_tT0_T1_T2_jT3_P12ihipStream_tbPNSt15iterator_traitsISJ_E10value_typeEPNSP_ISK_E10value_typeEPSL_NS1_7vsmem_tEENKUlT_SJ_SK_SL_E_clISE_PySF_SF_EESI_SY_SJ_SK_SL_EUlSY_E_NS1_11comp_targetILNS1_3genE3ELNS1_11target_archE908ELNS1_3gpuE7ELNS1_3repE0EEENS1_48merge_mergepath_partition_config_static_selectorELNS0_4arch9wavefront6targetE0EEEvSK_.num_named_barrier, 0
	.set _ZN7rocprim17ROCPRIM_400000_NS6detail17trampoline_kernelINS0_14default_configENS1_38merge_sort_block_merge_config_selectorIyNS0_10empty_typeEEEZZNS1_27merge_sort_block_merge_implIS3_N6thrust23THRUST_200600_302600_NS6detail15normal_iteratorINS9_10device_ptrIyEEEEPS5_m11less_div_10IyEEE10hipError_tT0_T1_T2_jT3_P12ihipStream_tbPNSt15iterator_traitsISJ_E10value_typeEPNSP_ISK_E10value_typeEPSL_NS1_7vsmem_tEENKUlT_SJ_SK_SL_E_clISE_PySF_SF_EESI_SY_SJ_SK_SL_EUlSY_E_NS1_11comp_targetILNS1_3genE3ELNS1_11target_archE908ELNS1_3gpuE7ELNS1_3repE0EEENS1_48merge_mergepath_partition_config_static_selectorELNS0_4arch9wavefront6targetE0EEEvSK_.private_seg_size, 0
	.set _ZN7rocprim17ROCPRIM_400000_NS6detail17trampoline_kernelINS0_14default_configENS1_38merge_sort_block_merge_config_selectorIyNS0_10empty_typeEEEZZNS1_27merge_sort_block_merge_implIS3_N6thrust23THRUST_200600_302600_NS6detail15normal_iteratorINS9_10device_ptrIyEEEEPS5_m11less_div_10IyEEE10hipError_tT0_T1_T2_jT3_P12ihipStream_tbPNSt15iterator_traitsISJ_E10value_typeEPNSP_ISK_E10value_typeEPSL_NS1_7vsmem_tEENKUlT_SJ_SK_SL_E_clISE_PySF_SF_EESI_SY_SJ_SK_SL_EUlSY_E_NS1_11comp_targetILNS1_3genE3ELNS1_11target_archE908ELNS1_3gpuE7ELNS1_3repE0EEENS1_48merge_mergepath_partition_config_static_selectorELNS0_4arch9wavefront6targetE0EEEvSK_.uses_vcc, 0
	.set _ZN7rocprim17ROCPRIM_400000_NS6detail17trampoline_kernelINS0_14default_configENS1_38merge_sort_block_merge_config_selectorIyNS0_10empty_typeEEEZZNS1_27merge_sort_block_merge_implIS3_N6thrust23THRUST_200600_302600_NS6detail15normal_iteratorINS9_10device_ptrIyEEEEPS5_m11less_div_10IyEEE10hipError_tT0_T1_T2_jT3_P12ihipStream_tbPNSt15iterator_traitsISJ_E10value_typeEPNSP_ISK_E10value_typeEPSL_NS1_7vsmem_tEENKUlT_SJ_SK_SL_E_clISE_PySF_SF_EESI_SY_SJ_SK_SL_EUlSY_E_NS1_11comp_targetILNS1_3genE3ELNS1_11target_archE908ELNS1_3gpuE7ELNS1_3repE0EEENS1_48merge_mergepath_partition_config_static_selectorELNS0_4arch9wavefront6targetE0EEEvSK_.uses_flat_scratch, 0
	.set _ZN7rocprim17ROCPRIM_400000_NS6detail17trampoline_kernelINS0_14default_configENS1_38merge_sort_block_merge_config_selectorIyNS0_10empty_typeEEEZZNS1_27merge_sort_block_merge_implIS3_N6thrust23THRUST_200600_302600_NS6detail15normal_iteratorINS9_10device_ptrIyEEEEPS5_m11less_div_10IyEEE10hipError_tT0_T1_T2_jT3_P12ihipStream_tbPNSt15iterator_traitsISJ_E10value_typeEPNSP_ISK_E10value_typeEPSL_NS1_7vsmem_tEENKUlT_SJ_SK_SL_E_clISE_PySF_SF_EESI_SY_SJ_SK_SL_EUlSY_E_NS1_11comp_targetILNS1_3genE3ELNS1_11target_archE908ELNS1_3gpuE7ELNS1_3repE0EEENS1_48merge_mergepath_partition_config_static_selectorELNS0_4arch9wavefront6targetE0EEEvSK_.has_dyn_sized_stack, 0
	.set _ZN7rocprim17ROCPRIM_400000_NS6detail17trampoline_kernelINS0_14default_configENS1_38merge_sort_block_merge_config_selectorIyNS0_10empty_typeEEEZZNS1_27merge_sort_block_merge_implIS3_N6thrust23THRUST_200600_302600_NS6detail15normal_iteratorINS9_10device_ptrIyEEEEPS5_m11less_div_10IyEEE10hipError_tT0_T1_T2_jT3_P12ihipStream_tbPNSt15iterator_traitsISJ_E10value_typeEPNSP_ISK_E10value_typeEPSL_NS1_7vsmem_tEENKUlT_SJ_SK_SL_E_clISE_PySF_SF_EESI_SY_SJ_SK_SL_EUlSY_E_NS1_11comp_targetILNS1_3genE3ELNS1_11target_archE908ELNS1_3gpuE7ELNS1_3repE0EEENS1_48merge_mergepath_partition_config_static_selectorELNS0_4arch9wavefront6targetE0EEEvSK_.has_recursion, 0
	.set _ZN7rocprim17ROCPRIM_400000_NS6detail17trampoline_kernelINS0_14default_configENS1_38merge_sort_block_merge_config_selectorIyNS0_10empty_typeEEEZZNS1_27merge_sort_block_merge_implIS3_N6thrust23THRUST_200600_302600_NS6detail15normal_iteratorINS9_10device_ptrIyEEEEPS5_m11less_div_10IyEEE10hipError_tT0_T1_T2_jT3_P12ihipStream_tbPNSt15iterator_traitsISJ_E10value_typeEPNSP_ISK_E10value_typeEPSL_NS1_7vsmem_tEENKUlT_SJ_SK_SL_E_clISE_PySF_SF_EESI_SY_SJ_SK_SL_EUlSY_E_NS1_11comp_targetILNS1_3genE3ELNS1_11target_archE908ELNS1_3gpuE7ELNS1_3repE0EEENS1_48merge_mergepath_partition_config_static_selectorELNS0_4arch9wavefront6targetE0EEEvSK_.has_indirect_call, 0
	.section	.AMDGPU.csdata,"",@progbits
; Kernel info:
; codeLenInByte = 0
; TotalNumSgprs: 0
; NumVgprs: 0
; ScratchSize: 0
; MemoryBound: 0
; FloatMode: 240
; IeeeMode: 1
; LDSByteSize: 0 bytes/workgroup (compile time only)
; SGPRBlocks: 0
; VGPRBlocks: 0
; NumSGPRsForWavesPerEU: 1
; NumVGPRsForWavesPerEU: 1
; Occupancy: 16
; WaveLimiterHint : 0
; COMPUTE_PGM_RSRC2:SCRATCH_EN: 0
; COMPUTE_PGM_RSRC2:USER_SGPR: 6
; COMPUTE_PGM_RSRC2:TRAP_HANDLER: 0
; COMPUTE_PGM_RSRC2:TGID_X_EN: 1
; COMPUTE_PGM_RSRC2:TGID_Y_EN: 0
; COMPUTE_PGM_RSRC2:TGID_Z_EN: 0
; COMPUTE_PGM_RSRC2:TIDIG_COMP_CNT: 0
	.section	.text._ZN7rocprim17ROCPRIM_400000_NS6detail17trampoline_kernelINS0_14default_configENS1_38merge_sort_block_merge_config_selectorIyNS0_10empty_typeEEEZZNS1_27merge_sort_block_merge_implIS3_N6thrust23THRUST_200600_302600_NS6detail15normal_iteratorINS9_10device_ptrIyEEEEPS5_m11less_div_10IyEEE10hipError_tT0_T1_T2_jT3_P12ihipStream_tbPNSt15iterator_traitsISJ_E10value_typeEPNSP_ISK_E10value_typeEPSL_NS1_7vsmem_tEENKUlT_SJ_SK_SL_E_clISE_PySF_SF_EESI_SY_SJ_SK_SL_EUlSY_E_NS1_11comp_targetILNS1_3genE2ELNS1_11target_archE906ELNS1_3gpuE6ELNS1_3repE0EEENS1_48merge_mergepath_partition_config_static_selectorELNS0_4arch9wavefront6targetE0EEEvSK_,"axG",@progbits,_ZN7rocprim17ROCPRIM_400000_NS6detail17trampoline_kernelINS0_14default_configENS1_38merge_sort_block_merge_config_selectorIyNS0_10empty_typeEEEZZNS1_27merge_sort_block_merge_implIS3_N6thrust23THRUST_200600_302600_NS6detail15normal_iteratorINS9_10device_ptrIyEEEEPS5_m11less_div_10IyEEE10hipError_tT0_T1_T2_jT3_P12ihipStream_tbPNSt15iterator_traitsISJ_E10value_typeEPNSP_ISK_E10value_typeEPSL_NS1_7vsmem_tEENKUlT_SJ_SK_SL_E_clISE_PySF_SF_EESI_SY_SJ_SK_SL_EUlSY_E_NS1_11comp_targetILNS1_3genE2ELNS1_11target_archE906ELNS1_3gpuE6ELNS1_3repE0EEENS1_48merge_mergepath_partition_config_static_selectorELNS0_4arch9wavefront6targetE0EEEvSK_,comdat
	.protected	_ZN7rocprim17ROCPRIM_400000_NS6detail17trampoline_kernelINS0_14default_configENS1_38merge_sort_block_merge_config_selectorIyNS0_10empty_typeEEEZZNS1_27merge_sort_block_merge_implIS3_N6thrust23THRUST_200600_302600_NS6detail15normal_iteratorINS9_10device_ptrIyEEEEPS5_m11less_div_10IyEEE10hipError_tT0_T1_T2_jT3_P12ihipStream_tbPNSt15iterator_traitsISJ_E10value_typeEPNSP_ISK_E10value_typeEPSL_NS1_7vsmem_tEENKUlT_SJ_SK_SL_E_clISE_PySF_SF_EESI_SY_SJ_SK_SL_EUlSY_E_NS1_11comp_targetILNS1_3genE2ELNS1_11target_archE906ELNS1_3gpuE6ELNS1_3repE0EEENS1_48merge_mergepath_partition_config_static_selectorELNS0_4arch9wavefront6targetE0EEEvSK_ ; -- Begin function _ZN7rocprim17ROCPRIM_400000_NS6detail17trampoline_kernelINS0_14default_configENS1_38merge_sort_block_merge_config_selectorIyNS0_10empty_typeEEEZZNS1_27merge_sort_block_merge_implIS3_N6thrust23THRUST_200600_302600_NS6detail15normal_iteratorINS9_10device_ptrIyEEEEPS5_m11less_div_10IyEEE10hipError_tT0_T1_T2_jT3_P12ihipStream_tbPNSt15iterator_traitsISJ_E10value_typeEPNSP_ISK_E10value_typeEPSL_NS1_7vsmem_tEENKUlT_SJ_SK_SL_E_clISE_PySF_SF_EESI_SY_SJ_SK_SL_EUlSY_E_NS1_11comp_targetILNS1_3genE2ELNS1_11target_archE906ELNS1_3gpuE6ELNS1_3repE0EEENS1_48merge_mergepath_partition_config_static_selectorELNS0_4arch9wavefront6targetE0EEEvSK_
	.globl	_ZN7rocprim17ROCPRIM_400000_NS6detail17trampoline_kernelINS0_14default_configENS1_38merge_sort_block_merge_config_selectorIyNS0_10empty_typeEEEZZNS1_27merge_sort_block_merge_implIS3_N6thrust23THRUST_200600_302600_NS6detail15normal_iteratorINS9_10device_ptrIyEEEEPS5_m11less_div_10IyEEE10hipError_tT0_T1_T2_jT3_P12ihipStream_tbPNSt15iterator_traitsISJ_E10value_typeEPNSP_ISK_E10value_typeEPSL_NS1_7vsmem_tEENKUlT_SJ_SK_SL_E_clISE_PySF_SF_EESI_SY_SJ_SK_SL_EUlSY_E_NS1_11comp_targetILNS1_3genE2ELNS1_11target_archE906ELNS1_3gpuE6ELNS1_3repE0EEENS1_48merge_mergepath_partition_config_static_selectorELNS0_4arch9wavefront6targetE0EEEvSK_
	.p2align	8
	.type	_ZN7rocprim17ROCPRIM_400000_NS6detail17trampoline_kernelINS0_14default_configENS1_38merge_sort_block_merge_config_selectorIyNS0_10empty_typeEEEZZNS1_27merge_sort_block_merge_implIS3_N6thrust23THRUST_200600_302600_NS6detail15normal_iteratorINS9_10device_ptrIyEEEEPS5_m11less_div_10IyEEE10hipError_tT0_T1_T2_jT3_P12ihipStream_tbPNSt15iterator_traitsISJ_E10value_typeEPNSP_ISK_E10value_typeEPSL_NS1_7vsmem_tEENKUlT_SJ_SK_SL_E_clISE_PySF_SF_EESI_SY_SJ_SK_SL_EUlSY_E_NS1_11comp_targetILNS1_3genE2ELNS1_11target_archE906ELNS1_3gpuE6ELNS1_3repE0EEENS1_48merge_mergepath_partition_config_static_selectorELNS0_4arch9wavefront6targetE0EEEvSK_,@function
_ZN7rocprim17ROCPRIM_400000_NS6detail17trampoline_kernelINS0_14default_configENS1_38merge_sort_block_merge_config_selectorIyNS0_10empty_typeEEEZZNS1_27merge_sort_block_merge_implIS3_N6thrust23THRUST_200600_302600_NS6detail15normal_iteratorINS9_10device_ptrIyEEEEPS5_m11less_div_10IyEEE10hipError_tT0_T1_T2_jT3_P12ihipStream_tbPNSt15iterator_traitsISJ_E10value_typeEPNSP_ISK_E10value_typeEPSL_NS1_7vsmem_tEENKUlT_SJ_SK_SL_E_clISE_PySF_SF_EESI_SY_SJ_SK_SL_EUlSY_E_NS1_11comp_targetILNS1_3genE2ELNS1_11target_archE906ELNS1_3gpuE6ELNS1_3repE0EEENS1_48merge_mergepath_partition_config_static_selectorELNS0_4arch9wavefront6targetE0EEEvSK_: ; @_ZN7rocprim17ROCPRIM_400000_NS6detail17trampoline_kernelINS0_14default_configENS1_38merge_sort_block_merge_config_selectorIyNS0_10empty_typeEEEZZNS1_27merge_sort_block_merge_implIS3_N6thrust23THRUST_200600_302600_NS6detail15normal_iteratorINS9_10device_ptrIyEEEEPS5_m11less_div_10IyEEE10hipError_tT0_T1_T2_jT3_P12ihipStream_tbPNSt15iterator_traitsISJ_E10value_typeEPNSP_ISK_E10value_typeEPSL_NS1_7vsmem_tEENKUlT_SJ_SK_SL_E_clISE_PySF_SF_EESI_SY_SJ_SK_SL_EUlSY_E_NS1_11comp_targetILNS1_3genE2ELNS1_11target_archE906ELNS1_3gpuE6ELNS1_3repE0EEENS1_48merge_mergepath_partition_config_static_selectorELNS0_4arch9wavefront6targetE0EEEvSK_
; %bb.0:
	.section	.rodata,"a",@progbits
	.p2align	6, 0x0
	.amdhsa_kernel _ZN7rocprim17ROCPRIM_400000_NS6detail17trampoline_kernelINS0_14default_configENS1_38merge_sort_block_merge_config_selectorIyNS0_10empty_typeEEEZZNS1_27merge_sort_block_merge_implIS3_N6thrust23THRUST_200600_302600_NS6detail15normal_iteratorINS9_10device_ptrIyEEEEPS5_m11less_div_10IyEEE10hipError_tT0_T1_T2_jT3_P12ihipStream_tbPNSt15iterator_traitsISJ_E10value_typeEPNSP_ISK_E10value_typeEPSL_NS1_7vsmem_tEENKUlT_SJ_SK_SL_E_clISE_PySF_SF_EESI_SY_SJ_SK_SL_EUlSY_E_NS1_11comp_targetILNS1_3genE2ELNS1_11target_archE906ELNS1_3gpuE6ELNS1_3repE0EEENS1_48merge_mergepath_partition_config_static_selectorELNS0_4arch9wavefront6targetE0EEEvSK_
		.amdhsa_group_segment_fixed_size 0
		.amdhsa_private_segment_fixed_size 0
		.amdhsa_kernarg_size 48
		.amdhsa_user_sgpr_count 6
		.amdhsa_user_sgpr_private_segment_buffer 1
		.amdhsa_user_sgpr_dispatch_ptr 0
		.amdhsa_user_sgpr_queue_ptr 0
		.amdhsa_user_sgpr_kernarg_segment_ptr 1
		.amdhsa_user_sgpr_dispatch_id 0
		.amdhsa_user_sgpr_flat_scratch_init 0
		.amdhsa_user_sgpr_private_segment_size 0
		.amdhsa_wavefront_size32 1
		.amdhsa_uses_dynamic_stack 0
		.amdhsa_system_sgpr_private_segment_wavefront_offset 0
		.amdhsa_system_sgpr_workgroup_id_x 1
		.amdhsa_system_sgpr_workgroup_id_y 0
		.amdhsa_system_sgpr_workgroup_id_z 0
		.amdhsa_system_sgpr_workgroup_info 0
		.amdhsa_system_vgpr_workitem_id 0
		.amdhsa_next_free_vgpr 1
		.amdhsa_next_free_sgpr 1
		.amdhsa_reserve_vcc 0
		.amdhsa_reserve_flat_scratch 0
		.amdhsa_float_round_mode_32 0
		.amdhsa_float_round_mode_16_64 0
		.amdhsa_float_denorm_mode_32 3
		.amdhsa_float_denorm_mode_16_64 3
		.amdhsa_dx10_clamp 1
		.amdhsa_ieee_mode 1
		.amdhsa_fp16_overflow 0
		.amdhsa_workgroup_processor_mode 1
		.amdhsa_memory_ordered 1
		.amdhsa_forward_progress 1
		.amdhsa_shared_vgpr_count 0
		.amdhsa_exception_fp_ieee_invalid_op 0
		.amdhsa_exception_fp_denorm_src 0
		.amdhsa_exception_fp_ieee_div_zero 0
		.amdhsa_exception_fp_ieee_overflow 0
		.amdhsa_exception_fp_ieee_underflow 0
		.amdhsa_exception_fp_ieee_inexact 0
		.amdhsa_exception_int_div_zero 0
	.end_amdhsa_kernel
	.section	.text._ZN7rocprim17ROCPRIM_400000_NS6detail17trampoline_kernelINS0_14default_configENS1_38merge_sort_block_merge_config_selectorIyNS0_10empty_typeEEEZZNS1_27merge_sort_block_merge_implIS3_N6thrust23THRUST_200600_302600_NS6detail15normal_iteratorINS9_10device_ptrIyEEEEPS5_m11less_div_10IyEEE10hipError_tT0_T1_T2_jT3_P12ihipStream_tbPNSt15iterator_traitsISJ_E10value_typeEPNSP_ISK_E10value_typeEPSL_NS1_7vsmem_tEENKUlT_SJ_SK_SL_E_clISE_PySF_SF_EESI_SY_SJ_SK_SL_EUlSY_E_NS1_11comp_targetILNS1_3genE2ELNS1_11target_archE906ELNS1_3gpuE6ELNS1_3repE0EEENS1_48merge_mergepath_partition_config_static_selectorELNS0_4arch9wavefront6targetE0EEEvSK_,"axG",@progbits,_ZN7rocprim17ROCPRIM_400000_NS6detail17trampoline_kernelINS0_14default_configENS1_38merge_sort_block_merge_config_selectorIyNS0_10empty_typeEEEZZNS1_27merge_sort_block_merge_implIS3_N6thrust23THRUST_200600_302600_NS6detail15normal_iteratorINS9_10device_ptrIyEEEEPS5_m11less_div_10IyEEE10hipError_tT0_T1_T2_jT3_P12ihipStream_tbPNSt15iterator_traitsISJ_E10value_typeEPNSP_ISK_E10value_typeEPSL_NS1_7vsmem_tEENKUlT_SJ_SK_SL_E_clISE_PySF_SF_EESI_SY_SJ_SK_SL_EUlSY_E_NS1_11comp_targetILNS1_3genE2ELNS1_11target_archE906ELNS1_3gpuE6ELNS1_3repE0EEENS1_48merge_mergepath_partition_config_static_selectorELNS0_4arch9wavefront6targetE0EEEvSK_,comdat
.Lfunc_end53:
	.size	_ZN7rocprim17ROCPRIM_400000_NS6detail17trampoline_kernelINS0_14default_configENS1_38merge_sort_block_merge_config_selectorIyNS0_10empty_typeEEEZZNS1_27merge_sort_block_merge_implIS3_N6thrust23THRUST_200600_302600_NS6detail15normal_iteratorINS9_10device_ptrIyEEEEPS5_m11less_div_10IyEEE10hipError_tT0_T1_T2_jT3_P12ihipStream_tbPNSt15iterator_traitsISJ_E10value_typeEPNSP_ISK_E10value_typeEPSL_NS1_7vsmem_tEENKUlT_SJ_SK_SL_E_clISE_PySF_SF_EESI_SY_SJ_SK_SL_EUlSY_E_NS1_11comp_targetILNS1_3genE2ELNS1_11target_archE906ELNS1_3gpuE6ELNS1_3repE0EEENS1_48merge_mergepath_partition_config_static_selectorELNS0_4arch9wavefront6targetE0EEEvSK_, .Lfunc_end53-_ZN7rocprim17ROCPRIM_400000_NS6detail17trampoline_kernelINS0_14default_configENS1_38merge_sort_block_merge_config_selectorIyNS0_10empty_typeEEEZZNS1_27merge_sort_block_merge_implIS3_N6thrust23THRUST_200600_302600_NS6detail15normal_iteratorINS9_10device_ptrIyEEEEPS5_m11less_div_10IyEEE10hipError_tT0_T1_T2_jT3_P12ihipStream_tbPNSt15iterator_traitsISJ_E10value_typeEPNSP_ISK_E10value_typeEPSL_NS1_7vsmem_tEENKUlT_SJ_SK_SL_E_clISE_PySF_SF_EESI_SY_SJ_SK_SL_EUlSY_E_NS1_11comp_targetILNS1_3genE2ELNS1_11target_archE906ELNS1_3gpuE6ELNS1_3repE0EEENS1_48merge_mergepath_partition_config_static_selectorELNS0_4arch9wavefront6targetE0EEEvSK_
                                        ; -- End function
	.set _ZN7rocprim17ROCPRIM_400000_NS6detail17trampoline_kernelINS0_14default_configENS1_38merge_sort_block_merge_config_selectorIyNS0_10empty_typeEEEZZNS1_27merge_sort_block_merge_implIS3_N6thrust23THRUST_200600_302600_NS6detail15normal_iteratorINS9_10device_ptrIyEEEEPS5_m11less_div_10IyEEE10hipError_tT0_T1_T2_jT3_P12ihipStream_tbPNSt15iterator_traitsISJ_E10value_typeEPNSP_ISK_E10value_typeEPSL_NS1_7vsmem_tEENKUlT_SJ_SK_SL_E_clISE_PySF_SF_EESI_SY_SJ_SK_SL_EUlSY_E_NS1_11comp_targetILNS1_3genE2ELNS1_11target_archE906ELNS1_3gpuE6ELNS1_3repE0EEENS1_48merge_mergepath_partition_config_static_selectorELNS0_4arch9wavefront6targetE0EEEvSK_.num_vgpr, 0
	.set _ZN7rocprim17ROCPRIM_400000_NS6detail17trampoline_kernelINS0_14default_configENS1_38merge_sort_block_merge_config_selectorIyNS0_10empty_typeEEEZZNS1_27merge_sort_block_merge_implIS3_N6thrust23THRUST_200600_302600_NS6detail15normal_iteratorINS9_10device_ptrIyEEEEPS5_m11less_div_10IyEEE10hipError_tT0_T1_T2_jT3_P12ihipStream_tbPNSt15iterator_traitsISJ_E10value_typeEPNSP_ISK_E10value_typeEPSL_NS1_7vsmem_tEENKUlT_SJ_SK_SL_E_clISE_PySF_SF_EESI_SY_SJ_SK_SL_EUlSY_E_NS1_11comp_targetILNS1_3genE2ELNS1_11target_archE906ELNS1_3gpuE6ELNS1_3repE0EEENS1_48merge_mergepath_partition_config_static_selectorELNS0_4arch9wavefront6targetE0EEEvSK_.num_agpr, 0
	.set _ZN7rocprim17ROCPRIM_400000_NS6detail17trampoline_kernelINS0_14default_configENS1_38merge_sort_block_merge_config_selectorIyNS0_10empty_typeEEEZZNS1_27merge_sort_block_merge_implIS3_N6thrust23THRUST_200600_302600_NS6detail15normal_iteratorINS9_10device_ptrIyEEEEPS5_m11less_div_10IyEEE10hipError_tT0_T1_T2_jT3_P12ihipStream_tbPNSt15iterator_traitsISJ_E10value_typeEPNSP_ISK_E10value_typeEPSL_NS1_7vsmem_tEENKUlT_SJ_SK_SL_E_clISE_PySF_SF_EESI_SY_SJ_SK_SL_EUlSY_E_NS1_11comp_targetILNS1_3genE2ELNS1_11target_archE906ELNS1_3gpuE6ELNS1_3repE0EEENS1_48merge_mergepath_partition_config_static_selectorELNS0_4arch9wavefront6targetE0EEEvSK_.numbered_sgpr, 0
	.set _ZN7rocprim17ROCPRIM_400000_NS6detail17trampoline_kernelINS0_14default_configENS1_38merge_sort_block_merge_config_selectorIyNS0_10empty_typeEEEZZNS1_27merge_sort_block_merge_implIS3_N6thrust23THRUST_200600_302600_NS6detail15normal_iteratorINS9_10device_ptrIyEEEEPS5_m11less_div_10IyEEE10hipError_tT0_T1_T2_jT3_P12ihipStream_tbPNSt15iterator_traitsISJ_E10value_typeEPNSP_ISK_E10value_typeEPSL_NS1_7vsmem_tEENKUlT_SJ_SK_SL_E_clISE_PySF_SF_EESI_SY_SJ_SK_SL_EUlSY_E_NS1_11comp_targetILNS1_3genE2ELNS1_11target_archE906ELNS1_3gpuE6ELNS1_3repE0EEENS1_48merge_mergepath_partition_config_static_selectorELNS0_4arch9wavefront6targetE0EEEvSK_.num_named_barrier, 0
	.set _ZN7rocprim17ROCPRIM_400000_NS6detail17trampoline_kernelINS0_14default_configENS1_38merge_sort_block_merge_config_selectorIyNS0_10empty_typeEEEZZNS1_27merge_sort_block_merge_implIS3_N6thrust23THRUST_200600_302600_NS6detail15normal_iteratorINS9_10device_ptrIyEEEEPS5_m11less_div_10IyEEE10hipError_tT0_T1_T2_jT3_P12ihipStream_tbPNSt15iterator_traitsISJ_E10value_typeEPNSP_ISK_E10value_typeEPSL_NS1_7vsmem_tEENKUlT_SJ_SK_SL_E_clISE_PySF_SF_EESI_SY_SJ_SK_SL_EUlSY_E_NS1_11comp_targetILNS1_3genE2ELNS1_11target_archE906ELNS1_3gpuE6ELNS1_3repE0EEENS1_48merge_mergepath_partition_config_static_selectorELNS0_4arch9wavefront6targetE0EEEvSK_.private_seg_size, 0
	.set _ZN7rocprim17ROCPRIM_400000_NS6detail17trampoline_kernelINS0_14default_configENS1_38merge_sort_block_merge_config_selectorIyNS0_10empty_typeEEEZZNS1_27merge_sort_block_merge_implIS3_N6thrust23THRUST_200600_302600_NS6detail15normal_iteratorINS9_10device_ptrIyEEEEPS5_m11less_div_10IyEEE10hipError_tT0_T1_T2_jT3_P12ihipStream_tbPNSt15iterator_traitsISJ_E10value_typeEPNSP_ISK_E10value_typeEPSL_NS1_7vsmem_tEENKUlT_SJ_SK_SL_E_clISE_PySF_SF_EESI_SY_SJ_SK_SL_EUlSY_E_NS1_11comp_targetILNS1_3genE2ELNS1_11target_archE906ELNS1_3gpuE6ELNS1_3repE0EEENS1_48merge_mergepath_partition_config_static_selectorELNS0_4arch9wavefront6targetE0EEEvSK_.uses_vcc, 0
	.set _ZN7rocprim17ROCPRIM_400000_NS6detail17trampoline_kernelINS0_14default_configENS1_38merge_sort_block_merge_config_selectorIyNS0_10empty_typeEEEZZNS1_27merge_sort_block_merge_implIS3_N6thrust23THRUST_200600_302600_NS6detail15normal_iteratorINS9_10device_ptrIyEEEEPS5_m11less_div_10IyEEE10hipError_tT0_T1_T2_jT3_P12ihipStream_tbPNSt15iterator_traitsISJ_E10value_typeEPNSP_ISK_E10value_typeEPSL_NS1_7vsmem_tEENKUlT_SJ_SK_SL_E_clISE_PySF_SF_EESI_SY_SJ_SK_SL_EUlSY_E_NS1_11comp_targetILNS1_3genE2ELNS1_11target_archE906ELNS1_3gpuE6ELNS1_3repE0EEENS1_48merge_mergepath_partition_config_static_selectorELNS0_4arch9wavefront6targetE0EEEvSK_.uses_flat_scratch, 0
	.set _ZN7rocprim17ROCPRIM_400000_NS6detail17trampoline_kernelINS0_14default_configENS1_38merge_sort_block_merge_config_selectorIyNS0_10empty_typeEEEZZNS1_27merge_sort_block_merge_implIS3_N6thrust23THRUST_200600_302600_NS6detail15normal_iteratorINS9_10device_ptrIyEEEEPS5_m11less_div_10IyEEE10hipError_tT0_T1_T2_jT3_P12ihipStream_tbPNSt15iterator_traitsISJ_E10value_typeEPNSP_ISK_E10value_typeEPSL_NS1_7vsmem_tEENKUlT_SJ_SK_SL_E_clISE_PySF_SF_EESI_SY_SJ_SK_SL_EUlSY_E_NS1_11comp_targetILNS1_3genE2ELNS1_11target_archE906ELNS1_3gpuE6ELNS1_3repE0EEENS1_48merge_mergepath_partition_config_static_selectorELNS0_4arch9wavefront6targetE0EEEvSK_.has_dyn_sized_stack, 0
	.set _ZN7rocprim17ROCPRIM_400000_NS6detail17trampoline_kernelINS0_14default_configENS1_38merge_sort_block_merge_config_selectorIyNS0_10empty_typeEEEZZNS1_27merge_sort_block_merge_implIS3_N6thrust23THRUST_200600_302600_NS6detail15normal_iteratorINS9_10device_ptrIyEEEEPS5_m11less_div_10IyEEE10hipError_tT0_T1_T2_jT3_P12ihipStream_tbPNSt15iterator_traitsISJ_E10value_typeEPNSP_ISK_E10value_typeEPSL_NS1_7vsmem_tEENKUlT_SJ_SK_SL_E_clISE_PySF_SF_EESI_SY_SJ_SK_SL_EUlSY_E_NS1_11comp_targetILNS1_3genE2ELNS1_11target_archE906ELNS1_3gpuE6ELNS1_3repE0EEENS1_48merge_mergepath_partition_config_static_selectorELNS0_4arch9wavefront6targetE0EEEvSK_.has_recursion, 0
	.set _ZN7rocprim17ROCPRIM_400000_NS6detail17trampoline_kernelINS0_14default_configENS1_38merge_sort_block_merge_config_selectorIyNS0_10empty_typeEEEZZNS1_27merge_sort_block_merge_implIS3_N6thrust23THRUST_200600_302600_NS6detail15normal_iteratorINS9_10device_ptrIyEEEEPS5_m11less_div_10IyEEE10hipError_tT0_T1_T2_jT3_P12ihipStream_tbPNSt15iterator_traitsISJ_E10value_typeEPNSP_ISK_E10value_typeEPSL_NS1_7vsmem_tEENKUlT_SJ_SK_SL_E_clISE_PySF_SF_EESI_SY_SJ_SK_SL_EUlSY_E_NS1_11comp_targetILNS1_3genE2ELNS1_11target_archE906ELNS1_3gpuE6ELNS1_3repE0EEENS1_48merge_mergepath_partition_config_static_selectorELNS0_4arch9wavefront6targetE0EEEvSK_.has_indirect_call, 0
	.section	.AMDGPU.csdata,"",@progbits
; Kernel info:
; codeLenInByte = 0
; TotalNumSgprs: 0
; NumVgprs: 0
; ScratchSize: 0
; MemoryBound: 0
; FloatMode: 240
; IeeeMode: 1
; LDSByteSize: 0 bytes/workgroup (compile time only)
; SGPRBlocks: 0
; VGPRBlocks: 0
; NumSGPRsForWavesPerEU: 1
; NumVGPRsForWavesPerEU: 1
; Occupancy: 16
; WaveLimiterHint : 0
; COMPUTE_PGM_RSRC2:SCRATCH_EN: 0
; COMPUTE_PGM_RSRC2:USER_SGPR: 6
; COMPUTE_PGM_RSRC2:TRAP_HANDLER: 0
; COMPUTE_PGM_RSRC2:TGID_X_EN: 1
; COMPUTE_PGM_RSRC2:TGID_Y_EN: 0
; COMPUTE_PGM_RSRC2:TGID_Z_EN: 0
; COMPUTE_PGM_RSRC2:TIDIG_COMP_CNT: 0
	.section	.text._ZN7rocprim17ROCPRIM_400000_NS6detail17trampoline_kernelINS0_14default_configENS1_38merge_sort_block_merge_config_selectorIyNS0_10empty_typeEEEZZNS1_27merge_sort_block_merge_implIS3_N6thrust23THRUST_200600_302600_NS6detail15normal_iteratorINS9_10device_ptrIyEEEEPS5_m11less_div_10IyEEE10hipError_tT0_T1_T2_jT3_P12ihipStream_tbPNSt15iterator_traitsISJ_E10value_typeEPNSP_ISK_E10value_typeEPSL_NS1_7vsmem_tEENKUlT_SJ_SK_SL_E_clISE_PySF_SF_EESI_SY_SJ_SK_SL_EUlSY_E_NS1_11comp_targetILNS1_3genE9ELNS1_11target_archE1100ELNS1_3gpuE3ELNS1_3repE0EEENS1_48merge_mergepath_partition_config_static_selectorELNS0_4arch9wavefront6targetE0EEEvSK_,"axG",@progbits,_ZN7rocprim17ROCPRIM_400000_NS6detail17trampoline_kernelINS0_14default_configENS1_38merge_sort_block_merge_config_selectorIyNS0_10empty_typeEEEZZNS1_27merge_sort_block_merge_implIS3_N6thrust23THRUST_200600_302600_NS6detail15normal_iteratorINS9_10device_ptrIyEEEEPS5_m11less_div_10IyEEE10hipError_tT0_T1_T2_jT3_P12ihipStream_tbPNSt15iterator_traitsISJ_E10value_typeEPNSP_ISK_E10value_typeEPSL_NS1_7vsmem_tEENKUlT_SJ_SK_SL_E_clISE_PySF_SF_EESI_SY_SJ_SK_SL_EUlSY_E_NS1_11comp_targetILNS1_3genE9ELNS1_11target_archE1100ELNS1_3gpuE3ELNS1_3repE0EEENS1_48merge_mergepath_partition_config_static_selectorELNS0_4arch9wavefront6targetE0EEEvSK_,comdat
	.protected	_ZN7rocprim17ROCPRIM_400000_NS6detail17trampoline_kernelINS0_14default_configENS1_38merge_sort_block_merge_config_selectorIyNS0_10empty_typeEEEZZNS1_27merge_sort_block_merge_implIS3_N6thrust23THRUST_200600_302600_NS6detail15normal_iteratorINS9_10device_ptrIyEEEEPS5_m11less_div_10IyEEE10hipError_tT0_T1_T2_jT3_P12ihipStream_tbPNSt15iterator_traitsISJ_E10value_typeEPNSP_ISK_E10value_typeEPSL_NS1_7vsmem_tEENKUlT_SJ_SK_SL_E_clISE_PySF_SF_EESI_SY_SJ_SK_SL_EUlSY_E_NS1_11comp_targetILNS1_3genE9ELNS1_11target_archE1100ELNS1_3gpuE3ELNS1_3repE0EEENS1_48merge_mergepath_partition_config_static_selectorELNS0_4arch9wavefront6targetE0EEEvSK_ ; -- Begin function _ZN7rocprim17ROCPRIM_400000_NS6detail17trampoline_kernelINS0_14default_configENS1_38merge_sort_block_merge_config_selectorIyNS0_10empty_typeEEEZZNS1_27merge_sort_block_merge_implIS3_N6thrust23THRUST_200600_302600_NS6detail15normal_iteratorINS9_10device_ptrIyEEEEPS5_m11less_div_10IyEEE10hipError_tT0_T1_T2_jT3_P12ihipStream_tbPNSt15iterator_traitsISJ_E10value_typeEPNSP_ISK_E10value_typeEPSL_NS1_7vsmem_tEENKUlT_SJ_SK_SL_E_clISE_PySF_SF_EESI_SY_SJ_SK_SL_EUlSY_E_NS1_11comp_targetILNS1_3genE9ELNS1_11target_archE1100ELNS1_3gpuE3ELNS1_3repE0EEENS1_48merge_mergepath_partition_config_static_selectorELNS0_4arch9wavefront6targetE0EEEvSK_
	.globl	_ZN7rocprim17ROCPRIM_400000_NS6detail17trampoline_kernelINS0_14default_configENS1_38merge_sort_block_merge_config_selectorIyNS0_10empty_typeEEEZZNS1_27merge_sort_block_merge_implIS3_N6thrust23THRUST_200600_302600_NS6detail15normal_iteratorINS9_10device_ptrIyEEEEPS5_m11less_div_10IyEEE10hipError_tT0_T1_T2_jT3_P12ihipStream_tbPNSt15iterator_traitsISJ_E10value_typeEPNSP_ISK_E10value_typeEPSL_NS1_7vsmem_tEENKUlT_SJ_SK_SL_E_clISE_PySF_SF_EESI_SY_SJ_SK_SL_EUlSY_E_NS1_11comp_targetILNS1_3genE9ELNS1_11target_archE1100ELNS1_3gpuE3ELNS1_3repE0EEENS1_48merge_mergepath_partition_config_static_selectorELNS0_4arch9wavefront6targetE0EEEvSK_
	.p2align	8
	.type	_ZN7rocprim17ROCPRIM_400000_NS6detail17trampoline_kernelINS0_14default_configENS1_38merge_sort_block_merge_config_selectorIyNS0_10empty_typeEEEZZNS1_27merge_sort_block_merge_implIS3_N6thrust23THRUST_200600_302600_NS6detail15normal_iteratorINS9_10device_ptrIyEEEEPS5_m11less_div_10IyEEE10hipError_tT0_T1_T2_jT3_P12ihipStream_tbPNSt15iterator_traitsISJ_E10value_typeEPNSP_ISK_E10value_typeEPSL_NS1_7vsmem_tEENKUlT_SJ_SK_SL_E_clISE_PySF_SF_EESI_SY_SJ_SK_SL_EUlSY_E_NS1_11comp_targetILNS1_3genE9ELNS1_11target_archE1100ELNS1_3gpuE3ELNS1_3repE0EEENS1_48merge_mergepath_partition_config_static_selectorELNS0_4arch9wavefront6targetE0EEEvSK_,@function
_ZN7rocprim17ROCPRIM_400000_NS6detail17trampoline_kernelINS0_14default_configENS1_38merge_sort_block_merge_config_selectorIyNS0_10empty_typeEEEZZNS1_27merge_sort_block_merge_implIS3_N6thrust23THRUST_200600_302600_NS6detail15normal_iteratorINS9_10device_ptrIyEEEEPS5_m11less_div_10IyEEE10hipError_tT0_T1_T2_jT3_P12ihipStream_tbPNSt15iterator_traitsISJ_E10value_typeEPNSP_ISK_E10value_typeEPSL_NS1_7vsmem_tEENKUlT_SJ_SK_SL_E_clISE_PySF_SF_EESI_SY_SJ_SK_SL_EUlSY_E_NS1_11comp_targetILNS1_3genE9ELNS1_11target_archE1100ELNS1_3gpuE3ELNS1_3repE0EEENS1_48merge_mergepath_partition_config_static_selectorELNS0_4arch9wavefront6targetE0EEEvSK_: ; @_ZN7rocprim17ROCPRIM_400000_NS6detail17trampoline_kernelINS0_14default_configENS1_38merge_sort_block_merge_config_selectorIyNS0_10empty_typeEEEZZNS1_27merge_sort_block_merge_implIS3_N6thrust23THRUST_200600_302600_NS6detail15normal_iteratorINS9_10device_ptrIyEEEEPS5_m11less_div_10IyEEE10hipError_tT0_T1_T2_jT3_P12ihipStream_tbPNSt15iterator_traitsISJ_E10value_typeEPNSP_ISK_E10value_typeEPSL_NS1_7vsmem_tEENKUlT_SJ_SK_SL_E_clISE_PySF_SF_EESI_SY_SJ_SK_SL_EUlSY_E_NS1_11comp_targetILNS1_3genE9ELNS1_11target_archE1100ELNS1_3gpuE3ELNS1_3repE0EEENS1_48merge_mergepath_partition_config_static_selectorELNS0_4arch9wavefront6targetE0EEEvSK_
; %bb.0:
	.section	.rodata,"a",@progbits
	.p2align	6, 0x0
	.amdhsa_kernel _ZN7rocprim17ROCPRIM_400000_NS6detail17trampoline_kernelINS0_14default_configENS1_38merge_sort_block_merge_config_selectorIyNS0_10empty_typeEEEZZNS1_27merge_sort_block_merge_implIS3_N6thrust23THRUST_200600_302600_NS6detail15normal_iteratorINS9_10device_ptrIyEEEEPS5_m11less_div_10IyEEE10hipError_tT0_T1_T2_jT3_P12ihipStream_tbPNSt15iterator_traitsISJ_E10value_typeEPNSP_ISK_E10value_typeEPSL_NS1_7vsmem_tEENKUlT_SJ_SK_SL_E_clISE_PySF_SF_EESI_SY_SJ_SK_SL_EUlSY_E_NS1_11comp_targetILNS1_3genE9ELNS1_11target_archE1100ELNS1_3gpuE3ELNS1_3repE0EEENS1_48merge_mergepath_partition_config_static_selectorELNS0_4arch9wavefront6targetE0EEEvSK_
		.amdhsa_group_segment_fixed_size 0
		.amdhsa_private_segment_fixed_size 0
		.amdhsa_kernarg_size 48
		.amdhsa_user_sgpr_count 6
		.amdhsa_user_sgpr_private_segment_buffer 1
		.amdhsa_user_sgpr_dispatch_ptr 0
		.amdhsa_user_sgpr_queue_ptr 0
		.amdhsa_user_sgpr_kernarg_segment_ptr 1
		.amdhsa_user_sgpr_dispatch_id 0
		.amdhsa_user_sgpr_flat_scratch_init 0
		.amdhsa_user_sgpr_private_segment_size 0
		.amdhsa_wavefront_size32 1
		.amdhsa_uses_dynamic_stack 0
		.amdhsa_system_sgpr_private_segment_wavefront_offset 0
		.amdhsa_system_sgpr_workgroup_id_x 1
		.amdhsa_system_sgpr_workgroup_id_y 0
		.amdhsa_system_sgpr_workgroup_id_z 0
		.amdhsa_system_sgpr_workgroup_info 0
		.amdhsa_system_vgpr_workitem_id 0
		.amdhsa_next_free_vgpr 1
		.amdhsa_next_free_sgpr 1
		.amdhsa_reserve_vcc 0
		.amdhsa_reserve_flat_scratch 0
		.amdhsa_float_round_mode_32 0
		.amdhsa_float_round_mode_16_64 0
		.amdhsa_float_denorm_mode_32 3
		.amdhsa_float_denorm_mode_16_64 3
		.amdhsa_dx10_clamp 1
		.amdhsa_ieee_mode 1
		.amdhsa_fp16_overflow 0
		.amdhsa_workgroup_processor_mode 1
		.amdhsa_memory_ordered 1
		.amdhsa_forward_progress 1
		.amdhsa_shared_vgpr_count 0
		.amdhsa_exception_fp_ieee_invalid_op 0
		.amdhsa_exception_fp_denorm_src 0
		.amdhsa_exception_fp_ieee_div_zero 0
		.amdhsa_exception_fp_ieee_overflow 0
		.amdhsa_exception_fp_ieee_underflow 0
		.amdhsa_exception_fp_ieee_inexact 0
		.amdhsa_exception_int_div_zero 0
	.end_amdhsa_kernel
	.section	.text._ZN7rocprim17ROCPRIM_400000_NS6detail17trampoline_kernelINS0_14default_configENS1_38merge_sort_block_merge_config_selectorIyNS0_10empty_typeEEEZZNS1_27merge_sort_block_merge_implIS3_N6thrust23THRUST_200600_302600_NS6detail15normal_iteratorINS9_10device_ptrIyEEEEPS5_m11less_div_10IyEEE10hipError_tT0_T1_T2_jT3_P12ihipStream_tbPNSt15iterator_traitsISJ_E10value_typeEPNSP_ISK_E10value_typeEPSL_NS1_7vsmem_tEENKUlT_SJ_SK_SL_E_clISE_PySF_SF_EESI_SY_SJ_SK_SL_EUlSY_E_NS1_11comp_targetILNS1_3genE9ELNS1_11target_archE1100ELNS1_3gpuE3ELNS1_3repE0EEENS1_48merge_mergepath_partition_config_static_selectorELNS0_4arch9wavefront6targetE0EEEvSK_,"axG",@progbits,_ZN7rocprim17ROCPRIM_400000_NS6detail17trampoline_kernelINS0_14default_configENS1_38merge_sort_block_merge_config_selectorIyNS0_10empty_typeEEEZZNS1_27merge_sort_block_merge_implIS3_N6thrust23THRUST_200600_302600_NS6detail15normal_iteratorINS9_10device_ptrIyEEEEPS5_m11less_div_10IyEEE10hipError_tT0_T1_T2_jT3_P12ihipStream_tbPNSt15iterator_traitsISJ_E10value_typeEPNSP_ISK_E10value_typeEPSL_NS1_7vsmem_tEENKUlT_SJ_SK_SL_E_clISE_PySF_SF_EESI_SY_SJ_SK_SL_EUlSY_E_NS1_11comp_targetILNS1_3genE9ELNS1_11target_archE1100ELNS1_3gpuE3ELNS1_3repE0EEENS1_48merge_mergepath_partition_config_static_selectorELNS0_4arch9wavefront6targetE0EEEvSK_,comdat
.Lfunc_end54:
	.size	_ZN7rocprim17ROCPRIM_400000_NS6detail17trampoline_kernelINS0_14default_configENS1_38merge_sort_block_merge_config_selectorIyNS0_10empty_typeEEEZZNS1_27merge_sort_block_merge_implIS3_N6thrust23THRUST_200600_302600_NS6detail15normal_iteratorINS9_10device_ptrIyEEEEPS5_m11less_div_10IyEEE10hipError_tT0_T1_T2_jT3_P12ihipStream_tbPNSt15iterator_traitsISJ_E10value_typeEPNSP_ISK_E10value_typeEPSL_NS1_7vsmem_tEENKUlT_SJ_SK_SL_E_clISE_PySF_SF_EESI_SY_SJ_SK_SL_EUlSY_E_NS1_11comp_targetILNS1_3genE9ELNS1_11target_archE1100ELNS1_3gpuE3ELNS1_3repE0EEENS1_48merge_mergepath_partition_config_static_selectorELNS0_4arch9wavefront6targetE0EEEvSK_, .Lfunc_end54-_ZN7rocprim17ROCPRIM_400000_NS6detail17trampoline_kernelINS0_14default_configENS1_38merge_sort_block_merge_config_selectorIyNS0_10empty_typeEEEZZNS1_27merge_sort_block_merge_implIS3_N6thrust23THRUST_200600_302600_NS6detail15normal_iteratorINS9_10device_ptrIyEEEEPS5_m11less_div_10IyEEE10hipError_tT0_T1_T2_jT3_P12ihipStream_tbPNSt15iterator_traitsISJ_E10value_typeEPNSP_ISK_E10value_typeEPSL_NS1_7vsmem_tEENKUlT_SJ_SK_SL_E_clISE_PySF_SF_EESI_SY_SJ_SK_SL_EUlSY_E_NS1_11comp_targetILNS1_3genE9ELNS1_11target_archE1100ELNS1_3gpuE3ELNS1_3repE0EEENS1_48merge_mergepath_partition_config_static_selectorELNS0_4arch9wavefront6targetE0EEEvSK_
                                        ; -- End function
	.set _ZN7rocprim17ROCPRIM_400000_NS6detail17trampoline_kernelINS0_14default_configENS1_38merge_sort_block_merge_config_selectorIyNS0_10empty_typeEEEZZNS1_27merge_sort_block_merge_implIS3_N6thrust23THRUST_200600_302600_NS6detail15normal_iteratorINS9_10device_ptrIyEEEEPS5_m11less_div_10IyEEE10hipError_tT0_T1_T2_jT3_P12ihipStream_tbPNSt15iterator_traitsISJ_E10value_typeEPNSP_ISK_E10value_typeEPSL_NS1_7vsmem_tEENKUlT_SJ_SK_SL_E_clISE_PySF_SF_EESI_SY_SJ_SK_SL_EUlSY_E_NS1_11comp_targetILNS1_3genE9ELNS1_11target_archE1100ELNS1_3gpuE3ELNS1_3repE0EEENS1_48merge_mergepath_partition_config_static_selectorELNS0_4arch9wavefront6targetE0EEEvSK_.num_vgpr, 0
	.set _ZN7rocprim17ROCPRIM_400000_NS6detail17trampoline_kernelINS0_14default_configENS1_38merge_sort_block_merge_config_selectorIyNS0_10empty_typeEEEZZNS1_27merge_sort_block_merge_implIS3_N6thrust23THRUST_200600_302600_NS6detail15normal_iteratorINS9_10device_ptrIyEEEEPS5_m11less_div_10IyEEE10hipError_tT0_T1_T2_jT3_P12ihipStream_tbPNSt15iterator_traitsISJ_E10value_typeEPNSP_ISK_E10value_typeEPSL_NS1_7vsmem_tEENKUlT_SJ_SK_SL_E_clISE_PySF_SF_EESI_SY_SJ_SK_SL_EUlSY_E_NS1_11comp_targetILNS1_3genE9ELNS1_11target_archE1100ELNS1_3gpuE3ELNS1_3repE0EEENS1_48merge_mergepath_partition_config_static_selectorELNS0_4arch9wavefront6targetE0EEEvSK_.num_agpr, 0
	.set _ZN7rocprim17ROCPRIM_400000_NS6detail17trampoline_kernelINS0_14default_configENS1_38merge_sort_block_merge_config_selectorIyNS0_10empty_typeEEEZZNS1_27merge_sort_block_merge_implIS3_N6thrust23THRUST_200600_302600_NS6detail15normal_iteratorINS9_10device_ptrIyEEEEPS5_m11less_div_10IyEEE10hipError_tT0_T1_T2_jT3_P12ihipStream_tbPNSt15iterator_traitsISJ_E10value_typeEPNSP_ISK_E10value_typeEPSL_NS1_7vsmem_tEENKUlT_SJ_SK_SL_E_clISE_PySF_SF_EESI_SY_SJ_SK_SL_EUlSY_E_NS1_11comp_targetILNS1_3genE9ELNS1_11target_archE1100ELNS1_3gpuE3ELNS1_3repE0EEENS1_48merge_mergepath_partition_config_static_selectorELNS0_4arch9wavefront6targetE0EEEvSK_.numbered_sgpr, 0
	.set _ZN7rocprim17ROCPRIM_400000_NS6detail17trampoline_kernelINS0_14default_configENS1_38merge_sort_block_merge_config_selectorIyNS0_10empty_typeEEEZZNS1_27merge_sort_block_merge_implIS3_N6thrust23THRUST_200600_302600_NS6detail15normal_iteratorINS9_10device_ptrIyEEEEPS5_m11less_div_10IyEEE10hipError_tT0_T1_T2_jT3_P12ihipStream_tbPNSt15iterator_traitsISJ_E10value_typeEPNSP_ISK_E10value_typeEPSL_NS1_7vsmem_tEENKUlT_SJ_SK_SL_E_clISE_PySF_SF_EESI_SY_SJ_SK_SL_EUlSY_E_NS1_11comp_targetILNS1_3genE9ELNS1_11target_archE1100ELNS1_3gpuE3ELNS1_3repE0EEENS1_48merge_mergepath_partition_config_static_selectorELNS0_4arch9wavefront6targetE0EEEvSK_.num_named_barrier, 0
	.set _ZN7rocprim17ROCPRIM_400000_NS6detail17trampoline_kernelINS0_14default_configENS1_38merge_sort_block_merge_config_selectorIyNS0_10empty_typeEEEZZNS1_27merge_sort_block_merge_implIS3_N6thrust23THRUST_200600_302600_NS6detail15normal_iteratorINS9_10device_ptrIyEEEEPS5_m11less_div_10IyEEE10hipError_tT0_T1_T2_jT3_P12ihipStream_tbPNSt15iterator_traitsISJ_E10value_typeEPNSP_ISK_E10value_typeEPSL_NS1_7vsmem_tEENKUlT_SJ_SK_SL_E_clISE_PySF_SF_EESI_SY_SJ_SK_SL_EUlSY_E_NS1_11comp_targetILNS1_3genE9ELNS1_11target_archE1100ELNS1_3gpuE3ELNS1_3repE0EEENS1_48merge_mergepath_partition_config_static_selectorELNS0_4arch9wavefront6targetE0EEEvSK_.private_seg_size, 0
	.set _ZN7rocprim17ROCPRIM_400000_NS6detail17trampoline_kernelINS0_14default_configENS1_38merge_sort_block_merge_config_selectorIyNS0_10empty_typeEEEZZNS1_27merge_sort_block_merge_implIS3_N6thrust23THRUST_200600_302600_NS6detail15normal_iteratorINS9_10device_ptrIyEEEEPS5_m11less_div_10IyEEE10hipError_tT0_T1_T2_jT3_P12ihipStream_tbPNSt15iterator_traitsISJ_E10value_typeEPNSP_ISK_E10value_typeEPSL_NS1_7vsmem_tEENKUlT_SJ_SK_SL_E_clISE_PySF_SF_EESI_SY_SJ_SK_SL_EUlSY_E_NS1_11comp_targetILNS1_3genE9ELNS1_11target_archE1100ELNS1_3gpuE3ELNS1_3repE0EEENS1_48merge_mergepath_partition_config_static_selectorELNS0_4arch9wavefront6targetE0EEEvSK_.uses_vcc, 0
	.set _ZN7rocprim17ROCPRIM_400000_NS6detail17trampoline_kernelINS0_14default_configENS1_38merge_sort_block_merge_config_selectorIyNS0_10empty_typeEEEZZNS1_27merge_sort_block_merge_implIS3_N6thrust23THRUST_200600_302600_NS6detail15normal_iteratorINS9_10device_ptrIyEEEEPS5_m11less_div_10IyEEE10hipError_tT0_T1_T2_jT3_P12ihipStream_tbPNSt15iterator_traitsISJ_E10value_typeEPNSP_ISK_E10value_typeEPSL_NS1_7vsmem_tEENKUlT_SJ_SK_SL_E_clISE_PySF_SF_EESI_SY_SJ_SK_SL_EUlSY_E_NS1_11comp_targetILNS1_3genE9ELNS1_11target_archE1100ELNS1_3gpuE3ELNS1_3repE0EEENS1_48merge_mergepath_partition_config_static_selectorELNS0_4arch9wavefront6targetE0EEEvSK_.uses_flat_scratch, 0
	.set _ZN7rocprim17ROCPRIM_400000_NS6detail17trampoline_kernelINS0_14default_configENS1_38merge_sort_block_merge_config_selectorIyNS0_10empty_typeEEEZZNS1_27merge_sort_block_merge_implIS3_N6thrust23THRUST_200600_302600_NS6detail15normal_iteratorINS9_10device_ptrIyEEEEPS5_m11less_div_10IyEEE10hipError_tT0_T1_T2_jT3_P12ihipStream_tbPNSt15iterator_traitsISJ_E10value_typeEPNSP_ISK_E10value_typeEPSL_NS1_7vsmem_tEENKUlT_SJ_SK_SL_E_clISE_PySF_SF_EESI_SY_SJ_SK_SL_EUlSY_E_NS1_11comp_targetILNS1_3genE9ELNS1_11target_archE1100ELNS1_3gpuE3ELNS1_3repE0EEENS1_48merge_mergepath_partition_config_static_selectorELNS0_4arch9wavefront6targetE0EEEvSK_.has_dyn_sized_stack, 0
	.set _ZN7rocprim17ROCPRIM_400000_NS6detail17trampoline_kernelINS0_14default_configENS1_38merge_sort_block_merge_config_selectorIyNS0_10empty_typeEEEZZNS1_27merge_sort_block_merge_implIS3_N6thrust23THRUST_200600_302600_NS6detail15normal_iteratorINS9_10device_ptrIyEEEEPS5_m11less_div_10IyEEE10hipError_tT0_T1_T2_jT3_P12ihipStream_tbPNSt15iterator_traitsISJ_E10value_typeEPNSP_ISK_E10value_typeEPSL_NS1_7vsmem_tEENKUlT_SJ_SK_SL_E_clISE_PySF_SF_EESI_SY_SJ_SK_SL_EUlSY_E_NS1_11comp_targetILNS1_3genE9ELNS1_11target_archE1100ELNS1_3gpuE3ELNS1_3repE0EEENS1_48merge_mergepath_partition_config_static_selectorELNS0_4arch9wavefront6targetE0EEEvSK_.has_recursion, 0
	.set _ZN7rocprim17ROCPRIM_400000_NS6detail17trampoline_kernelINS0_14default_configENS1_38merge_sort_block_merge_config_selectorIyNS0_10empty_typeEEEZZNS1_27merge_sort_block_merge_implIS3_N6thrust23THRUST_200600_302600_NS6detail15normal_iteratorINS9_10device_ptrIyEEEEPS5_m11less_div_10IyEEE10hipError_tT0_T1_T2_jT3_P12ihipStream_tbPNSt15iterator_traitsISJ_E10value_typeEPNSP_ISK_E10value_typeEPSL_NS1_7vsmem_tEENKUlT_SJ_SK_SL_E_clISE_PySF_SF_EESI_SY_SJ_SK_SL_EUlSY_E_NS1_11comp_targetILNS1_3genE9ELNS1_11target_archE1100ELNS1_3gpuE3ELNS1_3repE0EEENS1_48merge_mergepath_partition_config_static_selectorELNS0_4arch9wavefront6targetE0EEEvSK_.has_indirect_call, 0
	.section	.AMDGPU.csdata,"",@progbits
; Kernel info:
; codeLenInByte = 0
; TotalNumSgprs: 0
; NumVgprs: 0
; ScratchSize: 0
; MemoryBound: 0
; FloatMode: 240
; IeeeMode: 1
; LDSByteSize: 0 bytes/workgroup (compile time only)
; SGPRBlocks: 0
; VGPRBlocks: 0
; NumSGPRsForWavesPerEU: 1
; NumVGPRsForWavesPerEU: 1
; Occupancy: 16
; WaveLimiterHint : 0
; COMPUTE_PGM_RSRC2:SCRATCH_EN: 0
; COMPUTE_PGM_RSRC2:USER_SGPR: 6
; COMPUTE_PGM_RSRC2:TRAP_HANDLER: 0
; COMPUTE_PGM_RSRC2:TGID_X_EN: 1
; COMPUTE_PGM_RSRC2:TGID_Y_EN: 0
; COMPUTE_PGM_RSRC2:TGID_Z_EN: 0
; COMPUTE_PGM_RSRC2:TIDIG_COMP_CNT: 0
	.section	.text._ZN7rocprim17ROCPRIM_400000_NS6detail17trampoline_kernelINS0_14default_configENS1_38merge_sort_block_merge_config_selectorIyNS0_10empty_typeEEEZZNS1_27merge_sort_block_merge_implIS3_N6thrust23THRUST_200600_302600_NS6detail15normal_iteratorINS9_10device_ptrIyEEEEPS5_m11less_div_10IyEEE10hipError_tT0_T1_T2_jT3_P12ihipStream_tbPNSt15iterator_traitsISJ_E10value_typeEPNSP_ISK_E10value_typeEPSL_NS1_7vsmem_tEENKUlT_SJ_SK_SL_E_clISE_PySF_SF_EESI_SY_SJ_SK_SL_EUlSY_E_NS1_11comp_targetILNS1_3genE8ELNS1_11target_archE1030ELNS1_3gpuE2ELNS1_3repE0EEENS1_48merge_mergepath_partition_config_static_selectorELNS0_4arch9wavefront6targetE0EEEvSK_,"axG",@progbits,_ZN7rocprim17ROCPRIM_400000_NS6detail17trampoline_kernelINS0_14default_configENS1_38merge_sort_block_merge_config_selectorIyNS0_10empty_typeEEEZZNS1_27merge_sort_block_merge_implIS3_N6thrust23THRUST_200600_302600_NS6detail15normal_iteratorINS9_10device_ptrIyEEEEPS5_m11less_div_10IyEEE10hipError_tT0_T1_T2_jT3_P12ihipStream_tbPNSt15iterator_traitsISJ_E10value_typeEPNSP_ISK_E10value_typeEPSL_NS1_7vsmem_tEENKUlT_SJ_SK_SL_E_clISE_PySF_SF_EESI_SY_SJ_SK_SL_EUlSY_E_NS1_11comp_targetILNS1_3genE8ELNS1_11target_archE1030ELNS1_3gpuE2ELNS1_3repE0EEENS1_48merge_mergepath_partition_config_static_selectorELNS0_4arch9wavefront6targetE0EEEvSK_,comdat
	.protected	_ZN7rocprim17ROCPRIM_400000_NS6detail17trampoline_kernelINS0_14default_configENS1_38merge_sort_block_merge_config_selectorIyNS0_10empty_typeEEEZZNS1_27merge_sort_block_merge_implIS3_N6thrust23THRUST_200600_302600_NS6detail15normal_iteratorINS9_10device_ptrIyEEEEPS5_m11less_div_10IyEEE10hipError_tT0_T1_T2_jT3_P12ihipStream_tbPNSt15iterator_traitsISJ_E10value_typeEPNSP_ISK_E10value_typeEPSL_NS1_7vsmem_tEENKUlT_SJ_SK_SL_E_clISE_PySF_SF_EESI_SY_SJ_SK_SL_EUlSY_E_NS1_11comp_targetILNS1_3genE8ELNS1_11target_archE1030ELNS1_3gpuE2ELNS1_3repE0EEENS1_48merge_mergepath_partition_config_static_selectorELNS0_4arch9wavefront6targetE0EEEvSK_ ; -- Begin function _ZN7rocprim17ROCPRIM_400000_NS6detail17trampoline_kernelINS0_14default_configENS1_38merge_sort_block_merge_config_selectorIyNS0_10empty_typeEEEZZNS1_27merge_sort_block_merge_implIS3_N6thrust23THRUST_200600_302600_NS6detail15normal_iteratorINS9_10device_ptrIyEEEEPS5_m11less_div_10IyEEE10hipError_tT0_T1_T2_jT3_P12ihipStream_tbPNSt15iterator_traitsISJ_E10value_typeEPNSP_ISK_E10value_typeEPSL_NS1_7vsmem_tEENKUlT_SJ_SK_SL_E_clISE_PySF_SF_EESI_SY_SJ_SK_SL_EUlSY_E_NS1_11comp_targetILNS1_3genE8ELNS1_11target_archE1030ELNS1_3gpuE2ELNS1_3repE0EEENS1_48merge_mergepath_partition_config_static_selectorELNS0_4arch9wavefront6targetE0EEEvSK_
	.globl	_ZN7rocprim17ROCPRIM_400000_NS6detail17trampoline_kernelINS0_14default_configENS1_38merge_sort_block_merge_config_selectorIyNS0_10empty_typeEEEZZNS1_27merge_sort_block_merge_implIS3_N6thrust23THRUST_200600_302600_NS6detail15normal_iteratorINS9_10device_ptrIyEEEEPS5_m11less_div_10IyEEE10hipError_tT0_T1_T2_jT3_P12ihipStream_tbPNSt15iterator_traitsISJ_E10value_typeEPNSP_ISK_E10value_typeEPSL_NS1_7vsmem_tEENKUlT_SJ_SK_SL_E_clISE_PySF_SF_EESI_SY_SJ_SK_SL_EUlSY_E_NS1_11comp_targetILNS1_3genE8ELNS1_11target_archE1030ELNS1_3gpuE2ELNS1_3repE0EEENS1_48merge_mergepath_partition_config_static_selectorELNS0_4arch9wavefront6targetE0EEEvSK_
	.p2align	8
	.type	_ZN7rocprim17ROCPRIM_400000_NS6detail17trampoline_kernelINS0_14default_configENS1_38merge_sort_block_merge_config_selectorIyNS0_10empty_typeEEEZZNS1_27merge_sort_block_merge_implIS3_N6thrust23THRUST_200600_302600_NS6detail15normal_iteratorINS9_10device_ptrIyEEEEPS5_m11less_div_10IyEEE10hipError_tT0_T1_T2_jT3_P12ihipStream_tbPNSt15iterator_traitsISJ_E10value_typeEPNSP_ISK_E10value_typeEPSL_NS1_7vsmem_tEENKUlT_SJ_SK_SL_E_clISE_PySF_SF_EESI_SY_SJ_SK_SL_EUlSY_E_NS1_11comp_targetILNS1_3genE8ELNS1_11target_archE1030ELNS1_3gpuE2ELNS1_3repE0EEENS1_48merge_mergepath_partition_config_static_selectorELNS0_4arch9wavefront6targetE0EEEvSK_,@function
_ZN7rocprim17ROCPRIM_400000_NS6detail17trampoline_kernelINS0_14default_configENS1_38merge_sort_block_merge_config_selectorIyNS0_10empty_typeEEEZZNS1_27merge_sort_block_merge_implIS3_N6thrust23THRUST_200600_302600_NS6detail15normal_iteratorINS9_10device_ptrIyEEEEPS5_m11less_div_10IyEEE10hipError_tT0_T1_T2_jT3_P12ihipStream_tbPNSt15iterator_traitsISJ_E10value_typeEPNSP_ISK_E10value_typeEPSL_NS1_7vsmem_tEENKUlT_SJ_SK_SL_E_clISE_PySF_SF_EESI_SY_SJ_SK_SL_EUlSY_E_NS1_11comp_targetILNS1_3genE8ELNS1_11target_archE1030ELNS1_3gpuE2ELNS1_3repE0EEENS1_48merge_mergepath_partition_config_static_selectorELNS0_4arch9wavefront6targetE0EEEvSK_: ; @_ZN7rocprim17ROCPRIM_400000_NS6detail17trampoline_kernelINS0_14default_configENS1_38merge_sort_block_merge_config_selectorIyNS0_10empty_typeEEEZZNS1_27merge_sort_block_merge_implIS3_N6thrust23THRUST_200600_302600_NS6detail15normal_iteratorINS9_10device_ptrIyEEEEPS5_m11less_div_10IyEEE10hipError_tT0_T1_T2_jT3_P12ihipStream_tbPNSt15iterator_traitsISJ_E10value_typeEPNSP_ISK_E10value_typeEPSL_NS1_7vsmem_tEENKUlT_SJ_SK_SL_E_clISE_PySF_SF_EESI_SY_SJ_SK_SL_EUlSY_E_NS1_11comp_targetILNS1_3genE8ELNS1_11target_archE1030ELNS1_3gpuE2ELNS1_3repE0EEENS1_48merge_mergepath_partition_config_static_selectorELNS0_4arch9wavefront6targetE0EEEvSK_
; %bb.0:
	s_load_dword s0, s[4:5], 0x0
	v_lshl_or_b32 v0, s6, 7, v0
	s_waitcnt lgkmcnt(0)
	v_cmp_gt_u32_e32 vcc_lo, s0, v0
	s_and_saveexec_b32 s0, vcc_lo
	s_cbranch_execz .LBB55_6
; %bb.1:
	s_load_dwordx4 s[0:3], s[4:5], 0x8
	v_mov_b32_e32 v2, 0
	v_mov_b32_e32 v11, v2
	s_waitcnt lgkmcnt(0)
	s_lshr_b64 s[6:7], s[0:1], 9
	s_and_b32 s6, s6, -2
	s_sub_i32 s7, 0, s6
	s_add_i32 s6, s6, -1
	v_and_b32_e32 v1, s7, v0
	v_and_b32_e32 v10, s6, v0
	v_lshlrev_b64 v[4:5], 10, v[1:2]
	v_add_co_u32 v6, vcc_lo, v4, s0
	v_add_co_ci_u32_e64 v7, null, s1, v5, vcc_lo
	v_cmp_lt_u64_e32 vcc_lo, s[2:3], v[6:7]
	v_cndmask_b32_e64 v8, v6, s2, vcc_lo
	v_cndmask_b32_e64 v9, v7, s3, vcc_lo
	v_add_co_u32 v6, vcc_lo, v8, s0
	v_add_co_ci_u32_e64 v7, null, s1, v9, vcc_lo
	v_cmp_lt_u64_e32 vcc_lo, s[2:3], v[4:5]
	s_mov_b32 s1, 0
	v_cmp_lt_u64_e64 s0, s[2:3], v[6:7]
	v_cndmask_b32_e64 v2, v4, s2, vcc_lo
	v_cndmask_b32_e64 v3, v5, s3, vcc_lo
	v_lshlrev_b64 v[4:5], 10, v[10:11]
	v_cndmask_b32_e64 v12, v6, s2, s0
	v_cndmask_b32_e64 v1, v7, s3, s0
	s_load_dwordx2 s[2:3], s[4:5], 0x28
	v_sub_co_u32 v6, vcc_lo, v12, v2
	v_sub_co_ci_u32_e64 v7, null, v1, v3, vcc_lo
	v_cmp_lt_u64_e32 vcc_lo, v[6:7], v[4:5]
	v_cndmask_b32_e32 v11, v5, v7, vcc_lo
	v_cndmask_b32_e32 v10, v4, v6, vcc_lo
	v_sub_co_u32 v4, vcc_lo, v8, v12
	v_sub_co_ci_u32_e64 v1, null, v9, v1, vcc_lo
	v_add_co_u32 v4, vcc_lo, v10, v4
	v_add_co_ci_u32_e64 v5, null, v11, v1, vcc_lo
	v_sub_co_u32 v6, vcc_lo, v8, v2
	v_sub_co_ci_u32_e64 v7, null, v9, v3, vcc_lo
	v_cmp_gt_u64_e32 vcc_lo, v[4:5], v[10:11]
	v_cmp_lt_u64_e64 s0, v[10:11], v[6:7]
	v_cndmask_b32_e64 v5, v5, 0, vcc_lo
	v_cndmask_b32_e64 v4, v4, 0, vcc_lo
	v_cndmask_b32_e64 v7, v7, v11, s0
	v_cndmask_b32_e64 v6, v6, v10, s0
	s_mov_b32 s0, exec_lo
	v_cmpx_lt_u64_e64 v[4:5], v[6:7]
	s_cbranch_execz .LBB55_5
; %bb.2:
	s_load_dwordx2 s[4:5], s[4:5], 0x18
	v_lshlrev_b64 v[8:9], 3, v[8:9]
	v_lshlrev_b64 v[12:13], 3, v[2:3]
	;; [unrolled: 1-line block ×3, first 2 shown]
	s_waitcnt lgkmcnt(0)
	v_add_co_u32 v14, vcc_lo, s4, v8
	v_add_co_ci_u32_e64 v15, null, s5, v9, vcc_lo
	v_add_co_u32 v1, vcc_lo, s4, v12
	v_add_co_ci_u32_e64 v8, null, s5, v13, vcc_lo
	;; [unrolled: 2-line block ×3, first 2 shown]
	s_inst_prefetch 0x1
	.p2align	6
.LBB55_3:                               ; =>This Inner Loop Header: Depth=1
	v_add_co_u32 v11, vcc_lo, v6, v4
	v_add_co_ci_u32_e64 v12, null, v7, v5, vcc_lo
	v_lshrrev_b64 v[11:12], 1, v[11:12]
	v_lshlrev_b64 v[13:14], 3, v[11:12]
	v_xor_b32_e32 v15, -8, v13
	v_xor_b32_e32 v16, -1, v14
	v_add_co_u32 v13, vcc_lo, v1, v13
	v_add_co_ci_u32_e64 v14, null, v8, v14, vcc_lo
	v_add_co_u32 v15, vcc_lo, v9, v15
	v_add_co_ci_u32_e64 v16, null, v10, v16, vcc_lo
	v_add_co_u32 v17, vcc_lo, v11, 1
	flat_load_dword v13, v[13:14]
	flat_load_dword v14, v[15:16]
	s_waitcnt vmcnt(1) lgkmcnt(1)
	v_mul_hi_i32 v13, 0x66666667, v13
	s_waitcnt vmcnt(0) lgkmcnt(0)
	v_mul_hi_i32 v14, 0x66666667, v14
	v_lshrrev_b32_e32 v15, 31, v13
	v_ashrrev_i32_e32 v13, 2, v13
	v_lshrrev_b32_e32 v16, 31, v14
	v_ashrrev_i32_e32 v14, 2, v14
	v_add_nc_u32_e32 v13, v13, v15
	v_add_co_ci_u32_e64 v15, null, 0, v12, vcc_lo
	v_add_nc_u32_e32 v14, v14, v16
	v_cmp_lt_i32_e32 vcc_lo, v14, v13
	v_cndmask_b32_e32 v7, v7, v12, vcc_lo
	v_cndmask_b32_e32 v6, v6, v11, vcc_lo
	;; [unrolled: 1-line block ×4, first 2 shown]
	v_cmp_ge_u64_e32 vcc_lo, v[4:5], v[6:7]
	s_or_b32 s1, vcc_lo, s1
	s_andn2_b32 exec_lo, exec_lo, s1
	s_cbranch_execnz .LBB55_3
; %bb.4:
	s_inst_prefetch 0x2
	s_or_b32 exec_lo, exec_lo, s1
.LBB55_5:
	s_or_b32 exec_lo, exec_lo, s0
	v_mov_b32_e32 v1, 0
	v_add_co_u32 v2, vcc_lo, v4, v2
	v_add_co_ci_u32_e64 v3, null, v5, v3, vcc_lo
	v_lshlrev_b64 v[0:1], 3, v[0:1]
	s_waitcnt lgkmcnt(0)
	v_add_co_u32 v0, vcc_lo, s2, v0
	v_add_co_ci_u32_e64 v1, null, s3, v1, vcc_lo
	global_store_dwordx2 v[0:1], v[2:3], off
.LBB55_6:
	s_endpgm
	.section	.rodata,"a",@progbits
	.p2align	6, 0x0
	.amdhsa_kernel _ZN7rocprim17ROCPRIM_400000_NS6detail17trampoline_kernelINS0_14default_configENS1_38merge_sort_block_merge_config_selectorIyNS0_10empty_typeEEEZZNS1_27merge_sort_block_merge_implIS3_N6thrust23THRUST_200600_302600_NS6detail15normal_iteratorINS9_10device_ptrIyEEEEPS5_m11less_div_10IyEEE10hipError_tT0_T1_T2_jT3_P12ihipStream_tbPNSt15iterator_traitsISJ_E10value_typeEPNSP_ISK_E10value_typeEPSL_NS1_7vsmem_tEENKUlT_SJ_SK_SL_E_clISE_PySF_SF_EESI_SY_SJ_SK_SL_EUlSY_E_NS1_11comp_targetILNS1_3genE8ELNS1_11target_archE1030ELNS1_3gpuE2ELNS1_3repE0EEENS1_48merge_mergepath_partition_config_static_selectorELNS0_4arch9wavefront6targetE0EEEvSK_
		.amdhsa_group_segment_fixed_size 0
		.amdhsa_private_segment_fixed_size 0
		.amdhsa_kernarg_size 48
		.amdhsa_user_sgpr_count 6
		.amdhsa_user_sgpr_private_segment_buffer 1
		.amdhsa_user_sgpr_dispatch_ptr 0
		.amdhsa_user_sgpr_queue_ptr 0
		.amdhsa_user_sgpr_kernarg_segment_ptr 1
		.amdhsa_user_sgpr_dispatch_id 0
		.amdhsa_user_sgpr_flat_scratch_init 0
		.amdhsa_user_sgpr_private_segment_size 0
		.amdhsa_wavefront_size32 1
		.amdhsa_uses_dynamic_stack 0
		.amdhsa_system_sgpr_private_segment_wavefront_offset 0
		.amdhsa_system_sgpr_workgroup_id_x 1
		.amdhsa_system_sgpr_workgroup_id_y 0
		.amdhsa_system_sgpr_workgroup_id_z 0
		.amdhsa_system_sgpr_workgroup_info 0
		.amdhsa_system_vgpr_workitem_id 0
		.amdhsa_next_free_vgpr 18
		.amdhsa_next_free_sgpr 8
		.amdhsa_reserve_vcc 1
		.amdhsa_reserve_flat_scratch 0
		.amdhsa_float_round_mode_32 0
		.amdhsa_float_round_mode_16_64 0
		.amdhsa_float_denorm_mode_32 3
		.amdhsa_float_denorm_mode_16_64 3
		.amdhsa_dx10_clamp 1
		.amdhsa_ieee_mode 1
		.amdhsa_fp16_overflow 0
		.amdhsa_workgroup_processor_mode 1
		.amdhsa_memory_ordered 1
		.amdhsa_forward_progress 1
		.amdhsa_shared_vgpr_count 0
		.amdhsa_exception_fp_ieee_invalid_op 0
		.amdhsa_exception_fp_denorm_src 0
		.amdhsa_exception_fp_ieee_div_zero 0
		.amdhsa_exception_fp_ieee_overflow 0
		.amdhsa_exception_fp_ieee_underflow 0
		.amdhsa_exception_fp_ieee_inexact 0
		.amdhsa_exception_int_div_zero 0
	.end_amdhsa_kernel
	.section	.text._ZN7rocprim17ROCPRIM_400000_NS6detail17trampoline_kernelINS0_14default_configENS1_38merge_sort_block_merge_config_selectorIyNS0_10empty_typeEEEZZNS1_27merge_sort_block_merge_implIS3_N6thrust23THRUST_200600_302600_NS6detail15normal_iteratorINS9_10device_ptrIyEEEEPS5_m11less_div_10IyEEE10hipError_tT0_T1_T2_jT3_P12ihipStream_tbPNSt15iterator_traitsISJ_E10value_typeEPNSP_ISK_E10value_typeEPSL_NS1_7vsmem_tEENKUlT_SJ_SK_SL_E_clISE_PySF_SF_EESI_SY_SJ_SK_SL_EUlSY_E_NS1_11comp_targetILNS1_3genE8ELNS1_11target_archE1030ELNS1_3gpuE2ELNS1_3repE0EEENS1_48merge_mergepath_partition_config_static_selectorELNS0_4arch9wavefront6targetE0EEEvSK_,"axG",@progbits,_ZN7rocprim17ROCPRIM_400000_NS6detail17trampoline_kernelINS0_14default_configENS1_38merge_sort_block_merge_config_selectorIyNS0_10empty_typeEEEZZNS1_27merge_sort_block_merge_implIS3_N6thrust23THRUST_200600_302600_NS6detail15normal_iteratorINS9_10device_ptrIyEEEEPS5_m11less_div_10IyEEE10hipError_tT0_T1_T2_jT3_P12ihipStream_tbPNSt15iterator_traitsISJ_E10value_typeEPNSP_ISK_E10value_typeEPSL_NS1_7vsmem_tEENKUlT_SJ_SK_SL_E_clISE_PySF_SF_EESI_SY_SJ_SK_SL_EUlSY_E_NS1_11comp_targetILNS1_3genE8ELNS1_11target_archE1030ELNS1_3gpuE2ELNS1_3repE0EEENS1_48merge_mergepath_partition_config_static_selectorELNS0_4arch9wavefront6targetE0EEEvSK_,comdat
.Lfunc_end55:
	.size	_ZN7rocprim17ROCPRIM_400000_NS6detail17trampoline_kernelINS0_14default_configENS1_38merge_sort_block_merge_config_selectorIyNS0_10empty_typeEEEZZNS1_27merge_sort_block_merge_implIS3_N6thrust23THRUST_200600_302600_NS6detail15normal_iteratorINS9_10device_ptrIyEEEEPS5_m11less_div_10IyEEE10hipError_tT0_T1_T2_jT3_P12ihipStream_tbPNSt15iterator_traitsISJ_E10value_typeEPNSP_ISK_E10value_typeEPSL_NS1_7vsmem_tEENKUlT_SJ_SK_SL_E_clISE_PySF_SF_EESI_SY_SJ_SK_SL_EUlSY_E_NS1_11comp_targetILNS1_3genE8ELNS1_11target_archE1030ELNS1_3gpuE2ELNS1_3repE0EEENS1_48merge_mergepath_partition_config_static_selectorELNS0_4arch9wavefront6targetE0EEEvSK_, .Lfunc_end55-_ZN7rocprim17ROCPRIM_400000_NS6detail17trampoline_kernelINS0_14default_configENS1_38merge_sort_block_merge_config_selectorIyNS0_10empty_typeEEEZZNS1_27merge_sort_block_merge_implIS3_N6thrust23THRUST_200600_302600_NS6detail15normal_iteratorINS9_10device_ptrIyEEEEPS5_m11less_div_10IyEEE10hipError_tT0_T1_T2_jT3_P12ihipStream_tbPNSt15iterator_traitsISJ_E10value_typeEPNSP_ISK_E10value_typeEPSL_NS1_7vsmem_tEENKUlT_SJ_SK_SL_E_clISE_PySF_SF_EESI_SY_SJ_SK_SL_EUlSY_E_NS1_11comp_targetILNS1_3genE8ELNS1_11target_archE1030ELNS1_3gpuE2ELNS1_3repE0EEENS1_48merge_mergepath_partition_config_static_selectorELNS0_4arch9wavefront6targetE0EEEvSK_
                                        ; -- End function
	.set _ZN7rocprim17ROCPRIM_400000_NS6detail17trampoline_kernelINS0_14default_configENS1_38merge_sort_block_merge_config_selectorIyNS0_10empty_typeEEEZZNS1_27merge_sort_block_merge_implIS3_N6thrust23THRUST_200600_302600_NS6detail15normal_iteratorINS9_10device_ptrIyEEEEPS5_m11less_div_10IyEEE10hipError_tT0_T1_T2_jT3_P12ihipStream_tbPNSt15iterator_traitsISJ_E10value_typeEPNSP_ISK_E10value_typeEPSL_NS1_7vsmem_tEENKUlT_SJ_SK_SL_E_clISE_PySF_SF_EESI_SY_SJ_SK_SL_EUlSY_E_NS1_11comp_targetILNS1_3genE8ELNS1_11target_archE1030ELNS1_3gpuE2ELNS1_3repE0EEENS1_48merge_mergepath_partition_config_static_selectorELNS0_4arch9wavefront6targetE0EEEvSK_.num_vgpr, 18
	.set _ZN7rocprim17ROCPRIM_400000_NS6detail17trampoline_kernelINS0_14default_configENS1_38merge_sort_block_merge_config_selectorIyNS0_10empty_typeEEEZZNS1_27merge_sort_block_merge_implIS3_N6thrust23THRUST_200600_302600_NS6detail15normal_iteratorINS9_10device_ptrIyEEEEPS5_m11less_div_10IyEEE10hipError_tT0_T1_T2_jT3_P12ihipStream_tbPNSt15iterator_traitsISJ_E10value_typeEPNSP_ISK_E10value_typeEPSL_NS1_7vsmem_tEENKUlT_SJ_SK_SL_E_clISE_PySF_SF_EESI_SY_SJ_SK_SL_EUlSY_E_NS1_11comp_targetILNS1_3genE8ELNS1_11target_archE1030ELNS1_3gpuE2ELNS1_3repE0EEENS1_48merge_mergepath_partition_config_static_selectorELNS0_4arch9wavefront6targetE0EEEvSK_.num_agpr, 0
	.set _ZN7rocprim17ROCPRIM_400000_NS6detail17trampoline_kernelINS0_14default_configENS1_38merge_sort_block_merge_config_selectorIyNS0_10empty_typeEEEZZNS1_27merge_sort_block_merge_implIS3_N6thrust23THRUST_200600_302600_NS6detail15normal_iteratorINS9_10device_ptrIyEEEEPS5_m11less_div_10IyEEE10hipError_tT0_T1_T2_jT3_P12ihipStream_tbPNSt15iterator_traitsISJ_E10value_typeEPNSP_ISK_E10value_typeEPSL_NS1_7vsmem_tEENKUlT_SJ_SK_SL_E_clISE_PySF_SF_EESI_SY_SJ_SK_SL_EUlSY_E_NS1_11comp_targetILNS1_3genE8ELNS1_11target_archE1030ELNS1_3gpuE2ELNS1_3repE0EEENS1_48merge_mergepath_partition_config_static_selectorELNS0_4arch9wavefront6targetE0EEEvSK_.numbered_sgpr, 8
	.set _ZN7rocprim17ROCPRIM_400000_NS6detail17trampoline_kernelINS0_14default_configENS1_38merge_sort_block_merge_config_selectorIyNS0_10empty_typeEEEZZNS1_27merge_sort_block_merge_implIS3_N6thrust23THRUST_200600_302600_NS6detail15normal_iteratorINS9_10device_ptrIyEEEEPS5_m11less_div_10IyEEE10hipError_tT0_T1_T2_jT3_P12ihipStream_tbPNSt15iterator_traitsISJ_E10value_typeEPNSP_ISK_E10value_typeEPSL_NS1_7vsmem_tEENKUlT_SJ_SK_SL_E_clISE_PySF_SF_EESI_SY_SJ_SK_SL_EUlSY_E_NS1_11comp_targetILNS1_3genE8ELNS1_11target_archE1030ELNS1_3gpuE2ELNS1_3repE0EEENS1_48merge_mergepath_partition_config_static_selectorELNS0_4arch9wavefront6targetE0EEEvSK_.num_named_barrier, 0
	.set _ZN7rocprim17ROCPRIM_400000_NS6detail17trampoline_kernelINS0_14default_configENS1_38merge_sort_block_merge_config_selectorIyNS0_10empty_typeEEEZZNS1_27merge_sort_block_merge_implIS3_N6thrust23THRUST_200600_302600_NS6detail15normal_iteratorINS9_10device_ptrIyEEEEPS5_m11less_div_10IyEEE10hipError_tT0_T1_T2_jT3_P12ihipStream_tbPNSt15iterator_traitsISJ_E10value_typeEPNSP_ISK_E10value_typeEPSL_NS1_7vsmem_tEENKUlT_SJ_SK_SL_E_clISE_PySF_SF_EESI_SY_SJ_SK_SL_EUlSY_E_NS1_11comp_targetILNS1_3genE8ELNS1_11target_archE1030ELNS1_3gpuE2ELNS1_3repE0EEENS1_48merge_mergepath_partition_config_static_selectorELNS0_4arch9wavefront6targetE0EEEvSK_.private_seg_size, 0
	.set _ZN7rocprim17ROCPRIM_400000_NS6detail17trampoline_kernelINS0_14default_configENS1_38merge_sort_block_merge_config_selectorIyNS0_10empty_typeEEEZZNS1_27merge_sort_block_merge_implIS3_N6thrust23THRUST_200600_302600_NS6detail15normal_iteratorINS9_10device_ptrIyEEEEPS5_m11less_div_10IyEEE10hipError_tT0_T1_T2_jT3_P12ihipStream_tbPNSt15iterator_traitsISJ_E10value_typeEPNSP_ISK_E10value_typeEPSL_NS1_7vsmem_tEENKUlT_SJ_SK_SL_E_clISE_PySF_SF_EESI_SY_SJ_SK_SL_EUlSY_E_NS1_11comp_targetILNS1_3genE8ELNS1_11target_archE1030ELNS1_3gpuE2ELNS1_3repE0EEENS1_48merge_mergepath_partition_config_static_selectorELNS0_4arch9wavefront6targetE0EEEvSK_.uses_vcc, 1
	.set _ZN7rocprim17ROCPRIM_400000_NS6detail17trampoline_kernelINS0_14default_configENS1_38merge_sort_block_merge_config_selectorIyNS0_10empty_typeEEEZZNS1_27merge_sort_block_merge_implIS3_N6thrust23THRUST_200600_302600_NS6detail15normal_iteratorINS9_10device_ptrIyEEEEPS5_m11less_div_10IyEEE10hipError_tT0_T1_T2_jT3_P12ihipStream_tbPNSt15iterator_traitsISJ_E10value_typeEPNSP_ISK_E10value_typeEPSL_NS1_7vsmem_tEENKUlT_SJ_SK_SL_E_clISE_PySF_SF_EESI_SY_SJ_SK_SL_EUlSY_E_NS1_11comp_targetILNS1_3genE8ELNS1_11target_archE1030ELNS1_3gpuE2ELNS1_3repE0EEENS1_48merge_mergepath_partition_config_static_selectorELNS0_4arch9wavefront6targetE0EEEvSK_.uses_flat_scratch, 0
	.set _ZN7rocprim17ROCPRIM_400000_NS6detail17trampoline_kernelINS0_14default_configENS1_38merge_sort_block_merge_config_selectorIyNS0_10empty_typeEEEZZNS1_27merge_sort_block_merge_implIS3_N6thrust23THRUST_200600_302600_NS6detail15normal_iteratorINS9_10device_ptrIyEEEEPS5_m11less_div_10IyEEE10hipError_tT0_T1_T2_jT3_P12ihipStream_tbPNSt15iterator_traitsISJ_E10value_typeEPNSP_ISK_E10value_typeEPSL_NS1_7vsmem_tEENKUlT_SJ_SK_SL_E_clISE_PySF_SF_EESI_SY_SJ_SK_SL_EUlSY_E_NS1_11comp_targetILNS1_3genE8ELNS1_11target_archE1030ELNS1_3gpuE2ELNS1_3repE0EEENS1_48merge_mergepath_partition_config_static_selectorELNS0_4arch9wavefront6targetE0EEEvSK_.has_dyn_sized_stack, 0
	.set _ZN7rocprim17ROCPRIM_400000_NS6detail17trampoline_kernelINS0_14default_configENS1_38merge_sort_block_merge_config_selectorIyNS0_10empty_typeEEEZZNS1_27merge_sort_block_merge_implIS3_N6thrust23THRUST_200600_302600_NS6detail15normal_iteratorINS9_10device_ptrIyEEEEPS5_m11less_div_10IyEEE10hipError_tT0_T1_T2_jT3_P12ihipStream_tbPNSt15iterator_traitsISJ_E10value_typeEPNSP_ISK_E10value_typeEPSL_NS1_7vsmem_tEENKUlT_SJ_SK_SL_E_clISE_PySF_SF_EESI_SY_SJ_SK_SL_EUlSY_E_NS1_11comp_targetILNS1_3genE8ELNS1_11target_archE1030ELNS1_3gpuE2ELNS1_3repE0EEENS1_48merge_mergepath_partition_config_static_selectorELNS0_4arch9wavefront6targetE0EEEvSK_.has_recursion, 0
	.set _ZN7rocprim17ROCPRIM_400000_NS6detail17trampoline_kernelINS0_14default_configENS1_38merge_sort_block_merge_config_selectorIyNS0_10empty_typeEEEZZNS1_27merge_sort_block_merge_implIS3_N6thrust23THRUST_200600_302600_NS6detail15normal_iteratorINS9_10device_ptrIyEEEEPS5_m11less_div_10IyEEE10hipError_tT0_T1_T2_jT3_P12ihipStream_tbPNSt15iterator_traitsISJ_E10value_typeEPNSP_ISK_E10value_typeEPSL_NS1_7vsmem_tEENKUlT_SJ_SK_SL_E_clISE_PySF_SF_EESI_SY_SJ_SK_SL_EUlSY_E_NS1_11comp_targetILNS1_3genE8ELNS1_11target_archE1030ELNS1_3gpuE2ELNS1_3repE0EEENS1_48merge_mergepath_partition_config_static_selectorELNS0_4arch9wavefront6targetE0EEEvSK_.has_indirect_call, 0
	.section	.AMDGPU.csdata,"",@progbits
; Kernel info:
; codeLenInByte = 716
; TotalNumSgprs: 10
; NumVgprs: 18
; ScratchSize: 0
; MemoryBound: 0
; FloatMode: 240
; IeeeMode: 1
; LDSByteSize: 0 bytes/workgroup (compile time only)
; SGPRBlocks: 0
; VGPRBlocks: 2
; NumSGPRsForWavesPerEU: 10
; NumVGPRsForWavesPerEU: 18
; Occupancy: 16
; WaveLimiterHint : 0
; COMPUTE_PGM_RSRC2:SCRATCH_EN: 0
; COMPUTE_PGM_RSRC2:USER_SGPR: 6
; COMPUTE_PGM_RSRC2:TRAP_HANDLER: 0
; COMPUTE_PGM_RSRC2:TGID_X_EN: 1
; COMPUTE_PGM_RSRC2:TGID_Y_EN: 0
; COMPUTE_PGM_RSRC2:TGID_Z_EN: 0
; COMPUTE_PGM_RSRC2:TIDIG_COMP_CNT: 0
	.section	.text._ZN7rocprim17ROCPRIM_400000_NS6detail17trampoline_kernelINS0_14default_configENS1_38merge_sort_block_merge_config_selectorIyNS0_10empty_typeEEEZZNS1_27merge_sort_block_merge_implIS3_N6thrust23THRUST_200600_302600_NS6detail15normal_iteratorINS9_10device_ptrIyEEEEPS5_m11less_div_10IyEEE10hipError_tT0_T1_T2_jT3_P12ihipStream_tbPNSt15iterator_traitsISJ_E10value_typeEPNSP_ISK_E10value_typeEPSL_NS1_7vsmem_tEENKUlT_SJ_SK_SL_E_clISE_PySF_SF_EESI_SY_SJ_SK_SL_EUlSY_E0_NS1_11comp_targetILNS1_3genE0ELNS1_11target_archE4294967295ELNS1_3gpuE0ELNS1_3repE0EEENS1_38merge_mergepath_config_static_selectorELNS0_4arch9wavefront6targetE0EEEvSK_,"axG",@progbits,_ZN7rocprim17ROCPRIM_400000_NS6detail17trampoline_kernelINS0_14default_configENS1_38merge_sort_block_merge_config_selectorIyNS0_10empty_typeEEEZZNS1_27merge_sort_block_merge_implIS3_N6thrust23THRUST_200600_302600_NS6detail15normal_iteratorINS9_10device_ptrIyEEEEPS5_m11less_div_10IyEEE10hipError_tT0_T1_T2_jT3_P12ihipStream_tbPNSt15iterator_traitsISJ_E10value_typeEPNSP_ISK_E10value_typeEPSL_NS1_7vsmem_tEENKUlT_SJ_SK_SL_E_clISE_PySF_SF_EESI_SY_SJ_SK_SL_EUlSY_E0_NS1_11comp_targetILNS1_3genE0ELNS1_11target_archE4294967295ELNS1_3gpuE0ELNS1_3repE0EEENS1_38merge_mergepath_config_static_selectorELNS0_4arch9wavefront6targetE0EEEvSK_,comdat
	.protected	_ZN7rocprim17ROCPRIM_400000_NS6detail17trampoline_kernelINS0_14default_configENS1_38merge_sort_block_merge_config_selectorIyNS0_10empty_typeEEEZZNS1_27merge_sort_block_merge_implIS3_N6thrust23THRUST_200600_302600_NS6detail15normal_iteratorINS9_10device_ptrIyEEEEPS5_m11less_div_10IyEEE10hipError_tT0_T1_T2_jT3_P12ihipStream_tbPNSt15iterator_traitsISJ_E10value_typeEPNSP_ISK_E10value_typeEPSL_NS1_7vsmem_tEENKUlT_SJ_SK_SL_E_clISE_PySF_SF_EESI_SY_SJ_SK_SL_EUlSY_E0_NS1_11comp_targetILNS1_3genE0ELNS1_11target_archE4294967295ELNS1_3gpuE0ELNS1_3repE0EEENS1_38merge_mergepath_config_static_selectorELNS0_4arch9wavefront6targetE0EEEvSK_ ; -- Begin function _ZN7rocprim17ROCPRIM_400000_NS6detail17trampoline_kernelINS0_14default_configENS1_38merge_sort_block_merge_config_selectorIyNS0_10empty_typeEEEZZNS1_27merge_sort_block_merge_implIS3_N6thrust23THRUST_200600_302600_NS6detail15normal_iteratorINS9_10device_ptrIyEEEEPS5_m11less_div_10IyEEE10hipError_tT0_T1_T2_jT3_P12ihipStream_tbPNSt15iterator_traitsISJ_E10value_typeEPNSP_ISK_E10value_typeEPSL_NS1_7vsmem_tEENKUlT_SJ_SK_SL_E_clISE_PySF_SF_EESI_SY_SJ_SK_SL_EUlSY_E0_NS1_11comp_targetILNS1_3genE0ELNS1_11target_archE4294967295ELNS1_3gpuE0ELNS1_3repE0EEENS1_38merge_mergepath_config_static_selectorELNS0_4arch9wavefront6targetE0EEEvSK_
	.globl	_ZN7rocprim17ROCPRIM_400000_NS6detail17trampoline_kernelINS0_14default_configENS1_38merge_sort_block_merge_config_selectorIyNS0_10empty_typeEEEZZNS1_27merge_sort_block_merge_implIS3_N6thrust23THRUST_200600_302600_NS6detail15normal_iteratorINS9_10device_ptrIyEEEEPS5_m11less_div_10IyEEE10hipError_tT0_T1_T2_jT3_P12ihipStream_tbPNSt15iterator_traitsISJ_E10value_typeEPNSP_ISK_E10value_typeEPSL_NS1_7vsmem_tEENKUlT_SJ_SK_SL_E_clISE_PySF_SF_EESI_SY_SJ_SK_SL_EUlSY_E0_NS1_11comp_targetILNS1_3genE0ELNS1_11target_archE4294967295ELNS1_3gpuE0ELNS1_3repE0EEENS1_38merge_mergepath_config_static_selectorELNS0_4arch9wavefront6targetE0EEEvSK_
	.p2align	8
	.type	_ZN7rocprim17ROCPRIM_400000_NS6detail17trampoline_kernelINS0_14default_configENS1_38merge_sort_block_merge_config_selectorIyNS0_10empty_typeEEEZZNS1_27merge_sort_block_merge_implIS3_N6thrust23THRUST_200600_302600_NS6detail15normal_iteratorINS9_10device_ptrIyEEEEPS5_m11less_div_10IyEEE10hipError_tT0_T1_T2_jT3_P12ihipStream_tbPNSt15iterator_traitsISJ_E10value_typeEPNSP_ISK_E10value_typeEPSL_NS1_7vsmem_tEENKUlT_SJ_SK_SL_E_clISE_PySF_SF_EESI_SY_SJ_SK_SL_EUlSY_E0_NS1_11comp_targetILNS1_3genE0ELNS1_11target_archE4294967295ELNS1_3gpuE0ELNS1_3repE0EEENS1_38merge_mergepath_config_static_selectorELNS0_4arch9wavefront6targetE0EEEvSK_,@function
_ZN7rocprim17ROCPRIM_400000_NS6detail17trampoline_kernelINS0_14default_configENS1_38merge_sort_block_merge_config_selectorIyNS0_10empty_typeEEEZZNS1_27merge_sort_block_merge_implIS3_N6thrust23THRUST_200600_302600_NS6detail15normal_iteratorINS9_10device_ptrIyEEEEPS5_m11less_div_10IyEEE10hipError_tT0_T1_T2_jT3_P12ihipStream_tbPNSt15iterator_traitsISJ_E10value_typeEPNSP_ISK_E10value_typeEPSL_NS1_7vsmem_tEENKUlT_SJ_SK_SL_E_clISE_PySF_SF_EESI_SY_SJ_SK_SL_EUlSY_E0_NS1_11comp_targetILNS1_3genE0ELNS1_11target_archE4294967295ELNS1_3gpuE0ELNS1_3repE0EEENS1_38merge_mergepath_config_static_selectorELNS0_4arch9wavefront6targetE0EEEvSK_: ; @_ZN7rocprim17ROCPRIM_400000_NS6detail17trampoline_kernelINS0_14default_configENS1_38merge_sort_block_merge_config_selectorIyNS0_10empty_typeEEEZZNS1_27merge_sort_block_merge_implIS3_N6thrust23THRUST_200600_302600_NS6detail15normal_iteratorINS9_10device_ptrIyEEEEPS5_m11less_div_10IyEEE10hipError_tT0_T1_T2_jT3_P12ihipStream_tbPNSt15iterator_traitsISJ_E10value_typeEPNSP_ISK_E10value_typeEPSL_NS1_7vsmem_tEENKUlT_SJ_SK_SL_E_clISE_PySF_SF_EESI_SY_SJ_SK_SL_EUlSY_E0_NS1_11comp_targetILNS1_3genE0ELNS1_11target_archE4294967295ELNS1_3gpuE0ELNS1_3repE0EEENS1_38merge_mergepath_config_static_selectorELNS0_4arch9wavefront6targetE0EEEvSK_
; %bb.0:
	.section	.rodata,"a",@progbits
	.p2align	6, 0x0
	.amdhsa_kernel _ZN7rocprim17ROCPRIM_400000_NS6detail17trampoline_kernelINS0_14default_configENS1_38merge_sort_block_merge_config_selectorIyNS0_10empty_typeEEEZZNS1_27merge_sort_block_merge_implIS3_N6thrust23THRUST_200600_302600_NS6detail15normal_iteratorINS9_10device_ptrIyEEEEPS5_m11less_div_10IyEEE10hipError_tT0_T1_T2_jT3_P12ihipStream_tbPNSt15iterator_traitsISJ_E10value_typeEPNSP_ISK_E10value_typeEPSL_NS1_7vsmem_tEENKUlT_SJ_SK_SL_E_clISE_PySF_SF_EESI_SY_SJ_SK_SL_EUlSY_E0_NS1_11comp_targetILNS1_3genE0ELNS1_11target_archE4294967295ELNS1_3gpuE0ELNS1_3repE0EEENS1_38merge_mergepath_config_static_selectorELNS0_4arch9wavefront6targetE0EEEvSK_
		.amdhsa_group_segment_fixed_size 0
		.amdhsa_private_segment_fixed_size 0
		.amdhsa_kernarg_size 72
		.amdhsa_user_sgpr_count 6
		.amdhsa_user_sgpr_private_segment_buffer 1
		.amdhsa_user_sgpr_dispatch_ptr 0
		.amdhsa_user_sgpr_queue_ptr 0
		.amdhsa_user_sgpr_kernarg_segment_ptr 1
		.amdhsa_user_sgpr_dispatch_id 0
		.amdhsa_user_sgpr_flat_scratch_init 0
		.amdhsa_user_sgpr_private_segment_size 0
		.amdhsa_wavefront_size32 1
		.amdhsa_uses_dynamic_stack 0
		.amdhsa_system_sgpr_private_segment_wavefront_offset 0
		.amdhsa_system_sgpr_workgroup_id_x 1
		.amdhsa_system_sgpr_workgroup_id_y 0
		.amdhsa_system_sgpr_workgroup_id_z 0
		.amdhsa_system_sgpr_workgroup_info 0
		.amdhsa_system_vgpr_workitem_id 0
		.amdhsa_next_free_vgpr 1
		.amdhsa_next_free_sgpr 1
		.amdhsa_reserve_vcc 0
		.amdhsa_reserve_flat_scratch 0
		.amdhsa_float_round_mode_32 0
		.amdhsa_float_round_mode_16_64 0
		.amdhsa_float_denorm_mode_32 3
		.amdhsa_float_denorm_mode_16_64 3
		.amdhsa_dx10_clamp 1
		.amdhsa_ieee_mode 1
		.amdhsa_fp16_overflow 0
		.amdhsa_workgroup_processor_mode 1
		.amdhsa_memory_ordered 1
		.amdhsa_forward_progress 1
		.amdhsa_shared_vgpr_count 0
		.amdhsa_exception_fp_ieee_invalid_op 0
		.amdhsa_exception_fp_denorm_src 0
		.amdhsa_exception_fp_ieee_div_zero 0
		.amdhsa_exception_fp_ieee_overflow 0
		.amdhsa_exception_fp_ieee_underflow 0
		.amdhsa_exception_fp_ieee_inexact 0
		.amdhsa_exception_int_div_zero 0
	.end_amdhsa_kernel
	.section	.text._ZN7rocprim17ROCPRIM_400000_NS6detail17trampoline_kernelINS0_14default_configENS1_38merge_sort_block_merge_config_selectorIyNS0_10empty_typeEEEZZNS1_27merge_sort_block_merge_implIS3_N6thrust23THRUST_200600_302600_NS6detail15normal_iteratorINS9_10device_ptrIyEEEEPS5_m11less_div_10IyEEE10hipError_tT0_T1_T2_jT3_P12ihipStream_tbPNSt15iterator_traitsISJ_E10value_typeEPNSP_ISK_E10value_typeEPSL_NS1_7vsmem_tEENKUlT_SJ_SK_SL_E_clISE_PySF_SF_EESI_SY_SJ_SK_SL_EUlSY_E0_NS1_11comp_targetILNS1_3genE0ELNS1_11target_archE4294967295ELNS1_3gpuE0ELNS1_3repE0EEENS1_38merge_mergepath_config_static_selectorELNS0_4arch9wavefront6targetE0EEEvSK_,"axG",@progbits,_ZN7rocprim17ROCPRIM_400000_NS6detail17trampoline_kernelINS0_14default_configENS1_38merge_sort_block_merge_config_selectorIyNS0_10empty_typeEEEZZNS1_27merge_sort_block_merge_implIS3_N6thrust23THRUST_200600_302600_NS6detail15normal_iteratorINS9_10device_ptrIyEEEEPS5_m11less_div_10IyEEE10hipError_tT0_T1_T2_jT3_P12ihipStream_tbPNSt15iterator_traitsISJ_E10value_typeEPNSP_ISK_E10value_typeEPSL_NS1_7vsmem_tEENKUlT_SJ_SK_SL_E_clISE_PySF_SF_EESI_SY_SJ_SK_SL_EUlSY_E0_NS1_11comp_targetILNS1_3genE0ELNS1_11target_archE4294967295ELNS1_3gpuE0ELNS1_3repE0EEENS1_38merge_mergepath_config_static_selectorELNS0_4arch9wavefront6targetE0EEEvSK_,comdat
.Lfunc_end56:
	.size	_ZN7rocprim17ROCPRIM_400000_NS6detail17trampoline_kernelINS0_14default_configENS1_38merge_sort_block_merge_config_selectorIyNS0_10empty_typeEEEZZNS1_27merge_sort_block_merge_implIS3_N6thrust23THRUST_200600_302600_NS6detail15normal_iteratorINS9_10device_ptrIyEEEEPS5_m11less_div_10IyEEE10hipError_tT0_T1_T2_jT3_P12ihipStream_tbPNSt15iterator_traitsISJ_E10value_typeEPNSP_ISK_E10value_typeEPSL_NS1_7vsmem_tEENKUlT_SJ_SK_SL_E_clISE_PySF_SF_EESI_SY_SJ_SK_SL_EUlSY_E0_NS1_11comp_targetILNS1_3genE0ELNS1_11target_archE4294967295ELNS1_3gpuE0ELNS1_3repE0EEENS1_38merge_mergepath_config_static_selectorELNS0_4arch9wavefront6targetE0EEEvSK_, .Lfunc_end56-_ZN7rocprim17ROCPRIM_400000_NS6detail17trampoline_kernelINS0_14default_configENS1_38merge_sort_block_merge_config_selectorIyNS0_10empty_typeEEEZZNS1_27merge_sort_block_merge_implIS3_N6thrust23THRUST_200600_302600_NS6detail15normal_iteratorINS9_10device_ptrIyEEEEPS5_m11less_div_10IyEEE10hipError_tT0_T1_T2_jT3_P12ihipStream_tbPNSt15iterator_traitsISJ_E10value_typeEPNSP_ISK_E10value_typeEPSL_NS1_7vsmem_tEENKUlT_SJ_SK_SL_E_clISE_PySF_SF_EESI_SY_SJ_SK_SL_EUlSY_E0_NS1_11comp_targetILNS1_3genE0ELNS1_11target_archE4294967295ELNS1_3gpuE0ELNS1_3repE0EEENS1_38merge_mergepath_config_static_selectorELNS0_4arch9wavefront6targetE0EEEvSK_
                                        ; -- End function
	.set _ZN7rocprim17ROCPRIM_400000_NS6detail17trampoline_kernelINS0_14default_configENS1_38merge_sort_block_merge_config_selectorIyNS0_10empty_typeEEEZZNS1_27merge_sort_block_merge_implIS3_N6thrust23THRUST_200600_302600_NS6detail15normal_iteratorINS9_10device_ptrIyEEEEPS5_m11less_div_10IyEEE10hipError_tT0_T1_T2_jT3_P12ihipStream_tbPNSt15iterator_traitsISJ_E10value_typeEPNSP_ISK_E10value_typeEPSL_NS1_7vsmem_tEENKUlT_SJ_SK_SL_E_clISE_PySF_SF_EESI_SY_SJ_SK_SL_EUlSY_E0_NS1_11comp_targetILNS1_3genE0ELNS1_11target_archE4294967295ELNS1_3gpuE0ELNS1_3repE0EEENS1_38merge_mergepath_config_static_selectorELNS0_4arch9wavefront6targetE0EEEvSK_.num_vgpr, 0
	.set _ZN7rocprim17ROCPRIM_400000_NS6detail17trampoline_kernelINS0_14default_configENS1_38merge_sort_block_merge_config_selectorIyNS0_10empty_typeEEEZZNS1_27merge_sort_block_merge_implIS3_N6thrust23THRUST_200600_302600_NS6detail15normal_iteratorINS9_10device_ptrIyEEEEPS5_m11less_div_10IyEEE10hipError_tT0_T1_T2_jT3_P12ihipStream_tbPNSt15iterator_traitsISJ_E10value_typeEPNSP_ISK_E10value_typeEPSL_NS1_7vsmem_tEENKUlT_SJ_SK_SL_E_clISE_PySF_SF_EESI_SY_SJ_SK_SL_EUlSY_E0_NS1_11comp_targetILNS1_3genE0ELNS1_11target_archE4294967295ELNS1_3gpuE0ELNS1_3repE0EEENS1_38merge_mergepath_config_static_selectorELNS0_4arch9wavefront6targetE0EEEvSK_.num_agpr, 0
	.set _ZN7rocprim17ROCPRIM_400000_NS6detail17trampoline_kernelINS0_14default_configENS1_38merge_sort_block_merge_config_selectorIyNS0_10empty_typeEEEZZNS1_27merge_sort_block_merge_implIS3_N6thrust23THRUST_200600_302600_NS6detail15normal_iteratorINS9_10device_ptrIyEEEEPS5_m11less_div_10IyEEE10hipError_tT0_T1_T2_jT3_P12ihipStream_tbPNSt15iterator_traitsISJ_E10value_typeEPNSP_ISK_E10value_typeEPSL_NS1_7vsmem_tEENKUlT_SJ_SK_SL_E_clISE_PySF_SF_EESI_SY_SJ_SK_SL_EUlSY_E0_NS1_11comp_targetILNS1_3genE0ELNS1_11target_archE4294967295ELNS1_3gpuE0ELNS1_3repE0EEENS1_38merge_mergepath_config_static_selectorELNS0_4arch9wavefront6targetE0EEEvSK_.numbered_sgpr, 0
	.set _ZN7rocprim17ROCPRIM_400000_NS6detail17trampoline_kernelINS0_14default_configENS1_38merge_sort_block_merge_config_selectorIyNS0_10empty_typeEEEZZNS1_27merge_sort_block_merge_implIS3_N6thrust23THRUST_200600_302600_NS6detail15normal_iteratorINS9_10device_ptrIyEEEEPS5_m11less_div_10IyEEE10hipError_tT0_T1_T2_jT3_P12ihipStream_tbPNSt15iterator_traitsISJ_E10value_typeEPNSP_ISK_E10value_typeEPSL_NS1_7vsmem_tEENKUlT_SJ_SK_SL_E_clISE_PySF_SF_EESI_SY_SJ_SK_SL_EUlSY_E0_NS1_11comp_targetILNS1_3genE0ELNS1_11target_archE4294967295ELNS1_3gpuE0ELNS1_3repE0EEENS1_38merge_mergepath_config_static_selectorELNS0_4arch9wavefront6targetE0EEEvSK_.num_named_barrier, 0
	.set _ZN7rocprim17ROCPRIM_400000_NS6detail17trampoline_kernelINS0_14default_configENS1_38merge_sort_block_merge_config_selectorIyNS0_10empty_typeEEEZZNS1_27merge_sort_block_merge_implIS3_N6thrust23THRUST_200600_302600_NS6detail15normal_iteratorINS9_10device_ptrIyEEEEPS5_m11less_div_10IyEEE10hipError_tT0_T1_T2_jT3_P12ihipStream_tbPNSt15iterator_traitsISJ_E10value_typeEPNSP_ISK_E10value_typeEPSL_NS1_7vsmem_tEENKUlT_SJ_SK_SL_E_clISE_PySF_SF_EESI_SY_SJ_SK_SL_EUlSY_E0_NS1_11comp_targetILNS1_3genE0ELNS1_11target_archE4294967295ELNS1_3gpuE0ELNS1_3repE0EEENS1_38merge_mergepath_config_static_selectorELNS0_4arch9wavefront6targetE0EEEvSK_.private_seg_size, 0
	.set _ZN7rocprim17ROCPRIM_400000_NS6detail17trampoline_kernelINS0_14default_configENS1_38merge_sort_block_merge_config_selectorIyNS0_10empty_typeEEEZZNS1_27merge_sort_block_merge_implIS3_N6thrust23THRUST_200600_302600_NS6detail15normal_iteratorINS9_10device_ptrIyEEEEPS5_m11less_div_10IyEEE10hipError_tT0_T1_T2_jT3_P12ihipStream_tbPNSt15iterator_traitsISJ_E10value_typeEPNSP_ISK_E10value_typeEPSL_NS1_7vsmem_tEENKUlT_SJ_SK_SL_E_clISE_PySF_SF_EESI_SY_SJ_SK_SL_EUlSY_E0_NS1_11comp_targetILNS1_3genE0ELNS1_11target_archE4294967295ELNS1_3gpuE0ELNS1_3repE0EEENS1_38merge_mergepath_config_static_selectorELNS0_4arch9wavefront6targetE0EEEvSK_.uses_vcc, 0
	.set _ZN7rocprim17ROCPRIM_400000_NS6detail17trampoline_kernelINS0_14default_configENS1_38merge_sort_block_merge_config_selectorIyNS0_10empty_typeEEEZZNS1_27merge_sort_block_merge_implIS3_N6thrust23THRUST_200600_302600_NS6detail15normal_iteratorINS9_10device_ptrIyEEEEPS5_m11less_div_10IyEEE10hipError_tT0_T1_T2_jT3_P12ihipStream_tbPNSt15iterator_traitsISJ_E10value_typeEPNSP_ISK_E10value_typeEPSL_NS1_7vsmem_tEENKUlT_SJ_SK_SL_E_clISE_PySF_SF_EESI_SY_SJ_SK_SL_EUlSY_E0_NS1_11comp_targetILNS1_3genE0ELNS1_11target_archE4294967295ELNS1_3gpuE0ELNS1_3repE0EEENS1_38merge_mergepath_config_static_selectorELNS0_4arch9wavefront6targetE0EEEvSK_.uses_flat_scratch, 0
	.set _ZN7rocprim17ROCPRIM_400000_NS6detail17trampoline_kernelINS0_14default_configENS1_38merge_sort_block_merge_config_selectorIyNS0_10empty_typeEEEZZNS1_27merge_sort_block_merge_implIS3_N6thrust23THRUST_200600_302600_NS6detail15normal_iteratorINS9_10device_ptrIyEEEEPS5_m11less_div_10IyEEE10hipError_tT0_T1_T2_jT3_P12ihipStream_tbPNSt15iterator_traitsISJ_E10value_typeEPNSP_ISK_E10value_typeEPSL_NS1_7vsmem_tEENKUlT_SJ_SK_SL_E_clISE_PySF_SF_EESI_SY_SJ_SK_SL_EUlSY_E0_NS1_11comp_targetILNS1_3genE0ELNS1_11target_archE4294967295ELNS1_3gpuE0ELNS1_3repE0EEENS1_38merge_mergepath_config_static_selectorELNS0_4arch9wavefront6targetE0EEEvSK_.has_dyn_sized_stack, 0
	.set _ZN7rocprim17ROCPRIM_400000_NS6detail17trampoline_kernelINS0_14default_configENS1_38merge_sort_block_merge_config_selectorIyNS0_10empty_typeEEEZZNS1_27merge_sort_block_merge_implIS3_N6thrust23THRUST_200600_302600_NS6detail15normal_iteratorINS9_10device_ptrIyEEEEPS5_m11less_div_10IyEEE10hipError_tT0_T1_T2_jT3_P12ihipStream_tbPNSt15iterator_traitsISJ_E10value_typeEPNSP_ISK_E10value_typeEPSL_NS1_7vsmem_tEENKUlT_SJ_SK_SL_E_clISE_PySF_SF_EESI_SY_SJ_SK_SL_EUlSY_E0_NS1_11comp_targetILNS1_3genE0ELNS1_11target_archE4294967295ELNS1_3gpuE0ELNS1_3repE0EEENS1_38merge_mergepath_config_static_selectorELNS0_4arch9wavefront6targetE0EEEvSK_.has_recursion, 0
	.set _ZN7rocprim17ROCPRIM_400000_NS6detail17trampoline_kernelINS0_14default_configENS1_38merge_sort_block_merge_config_selectorIyNS0_10empty_typeEEEZZNS1_27merge_sort_block_merge_implIS3_N6thrust23THRUST_200600_302600_NS6detail15normal_iteratorINS9_10device_ptrIyEEEEPS5_m11less_div_10IyEEE10hipError_tT0_T1_T2_jT3_P12ihipStream_tbPNSt15iterator_traitsISJ_E10value_typeEPNSP_ISK_E10value_typeEPSL_NS1_7vsmem_tEENKUlT_SJ_SK_SL_E_clISE_PySF_SF_EESI_SY_SJ_SK_SL_EUlSY_E0_NS1_11comp_targetILNS1_3genE0ELNS1_11target_archE4294967295ELNS1_3gpuE0ELNS1_3repE0EEENS1_38merge_mergepath_config_static_selectorELNS0_4arch9wavefront6targetE0EEEvSK_.has_indirect_call, 0
	.section	.AMDGPU.csdata,"",@progbits
; Kernel info:
; codeLenInByte = 0
; TotalNumSgprs: 0
; NumVgprs: 0
; ScratchSize: 0
; MemoryBound: 0
; FloatMode: 240
; IeeeMode: 1
; LDSByteSize: 0 bytes/workgroup (compile time only)
; SGPRBlocks: 0
; VGPRBlocks: 0
; NumSGPRsForWavesPerEU: 1
; NumVGPRsForWavesPerEU: 1
; Occupancy: 16
; WaveLimiterHint : 0
; COMPUTE_PGM_RSRC2:SCRATCH_EN: 0
; COMPUTE_PGM_RSRC2:USER_SGPR: 6
; COMPUTE_PGM_RSRC2:TRAP_HANDLER: 0
; COMPUTE_PGM_RSRC2:TGID_X_EN: 1
; COMPUTE_PGM_RSRC2:TGID_Y_EN: 0
; COMPUTE_PGM_RSRC2:TGID_Z_EN: 0
; COMPUTE_PGM_RSRC2:TIDIG_COMP_CNT: 0
	.section	.text._ZN7rocprim17ROCPRIM_400000_NS6detail17trampoline_kernelINS0_14default_configENS1_38merge_sort_block_merge_config_selectorIyNS0_10empty_typeEEEZZNS1_27merge_sort_block_merge_implIS3_N6thrust23THRUST_200600_302600_NS6detail15normal_iteratorINS9_10device_ptrIyEEEEPS5_m11less_div_10IyEEE10hipError_tT0_T1_T2_jT3_P12ihipStream_tbPNSt15iterator_traitsISJ_E10value_typeEPNSP_ISK_E10value_typeEPSL_NS1_7vsmem_tEENKUlT_SJ_SK_SL_E_clISE_PySF_SF_EESI_SY_SJ_SK_SL_EUlSY_E0_NS1_11comp_targetILNS1_3genE10ELNS1_11target_archE1201ELNS1_3gpuE5ELNS1_3repE0EEENS1_38merge_mergepath_config_static_selectorELNS0_4arch9wavefront6targetE0EEEvSK_,"axG",@progbits,_ZN7rocprim17ROCPRIM_400000_NS6detail17trampoline_kernelINS0_14default_configENS1_38merge_sort_block_merge_config_selectorIyNS0_10empty_typeEEEZZNS1_27merge_sort_block_merge_implIS3_N6thrust23THRUST_200600_302600_NS6detail15normal_iteratorINS9_10device_ptrIyEEEEPS5_m11less_div_10IyEEE10hipError_tT0_T1_T2_jT3_P12ihipStream_tbPNSt15iterator_traitsISJ_E10value_typeEPNSP_ISK_E10value_typeEPSL_NS1_7vsmem_tEENKUlT_SJ_SK_SL_E_clISE_PySF_SF_EESI_SY_SJ_SK_SL_EUlSY_E0_NS1_11comp_targetILNS1_3genE10ELNS1_11target_archE1201ELNS1_3gpuE5ELNS1_3repE0EEENS1_38merge_mergepath_config_static_selectorELNS0_4arch9wavefront6targetE0EEEvSK_,comdat
	.protected	_ZN7rocprim17ROCPRIM_400000_NS6detail17trampoline_kernelINS0_14default_configENS1_38merge_sort_block_merge_config_selectorIyNS0_10empty_typeEEEZZNS1_27merge_sort_block_merge_implIS3_N6thrust23THRUST_200600_302600_NS6detail15normal_iteratorINS9_10device_ptrIyEEEEPS5_m11less_div_10IyEEE10hipError_tT0_T1_T2_jT3_P12ihipStream_tbPNSt15iterator_traitsISJ_E10value_typeEPNSP_ISK_E10value_typeEPSL_NS1_7vsmem_tEENKUlT_SJ_SK_SL_E_clISE_PySF_SF_EESI_SY_SJ_SK_SL_EUlSY_E0_NS1_11comp_targetILNS1_3genE10ELNS1_11target_archE1201ELNS1_3gpuE5ELNS1_3repE0EEENS1_38merge_mergepath_config_static_selectorELNS0_4arch9wavefront6targetE0EEEvSK_ ; -- Begin function _ZN7rocprim17ROCPRIM_400000_NS6detail17trampoline_kernelINS0_14default_configENS1_38merge_sort_block_merge_config_selectorIyNS0_10empty_typeEEEZZNS1_27merge_sort_block_merge_implIS3_N6thrust23THRUST_200600_302600_NS6detail15normal_iteratorINS9_10device_ptrIyEEEEPS5_m11less_div_10IyEEE10hipError_tT0_T1_T2_jT3_P12ihipStream_tbPNSt15iterator_traitsISJ_E10value_typeEPNSP_ISK_E10value_typeEPSL_NS1_7vsmem_tEENKUlT_SJ_SK_SL_E_clISE_PySF_SF_EESI_SY_SJ_SK_SL_EUlSY_E0_NS1_11comp_targetILNS1_3genE10ELNS1_11target_archE1201ELNS1_3gpuE5ELNS1_3repE0EEENS1_38merge_mergepath_config_static_selectorELNS0_4arch9wavefront6targetE0EEEvSK_
	.globl	_ZN7rocprim17ROCPRIM_400000_NS6detail17trampoline_kernelINS0_14default_configENS1_38merge_sort_block_merge_config_selectorIyNS0_10empty_typeEEEZZNS1_27merge_sort_block_merge_implIS3_N6thrust23THRUST_200600_302600_NS6detail15normal_iteratorINS9_10device_ptrIyEEEEPS5_m11less_div_10IyEEE10hipError_tT0_T1_T2_jT3_P12ihipStream_tbPNSt15iterator_traitsISJ_E10value_typeEPNSP_ISK_E10value_typeEPSL_NS1_7vsmem_tEENKUlT_SJ_SK_SL_E_clISE_PySF_SF_EESI_SY_SJ_SK_SL_EUlSY_E0_NS1_11comp_targetILNS1_3genE10ELNS1_11target_archE1201ELNS1_3gpuE5ELNS1_3repE0EEENS1_38merge_mergepath_config_static_selectorELNS0_4arch9wavefront6targetE0EEEvSK_
	.p2align	8
	.type	_ZN7rocprim17ROCPRIM_400000_NS6detail17trampoline_kernelINS0_14default_configENS1_38merge_sort_block_merge_config_selectorIyNS0_10empty_typeEEEZZNS1_27merge_sort_block_merge_implIS3_N6thrust23THRUST_200600_302600_NS6detail15normal_iteratorINS9_10device_ptrIyEEEEPS5_m11less_div_10IyEEE10hipError_tT0_T1_T2_jT3_P12ihipStream_tbPNSt15iterator_traitsISJ_E10value_typeEPNSP_ISK_E10value_typeEPSL_NS1_7vsmem_tEENKUlT_SJ_SK_SL_E_clISE_PySF_SF_EESI_SY_SJ_SK_SL_EUlSY_E0_NS1_11comp_targetILNS1_3genE10ELNS1_11target_archE1201ELNS1_3gpuE5ELNS1_3repE0EEENS1_38merge_mergepath_config_static_selectorELNS0_4arch9wavefront6targetE0EEEvSK_,@function
_ZN7rocprim17ROCPRIM_400000_NS6detail17trampoline_kernelINS0_14default_configENS1_38merge_sort_block_merge_config_selectorIyNS0_10empty_typeEEEZZNS1_27merge_sort_block_merge_implIS3_N6thrust23THRUST_200600_302600_NS6detail15normal_iteratorINS9_10device_ptrIyEEEEPS5_m11less_div_10IyEEE10hipError_tT0_T1_T2_jT3_P12ihipStream_tbPNSt15iterator_traitsISJ_E10value_typeEPNSP_ISK_E10value_typeEPSL_NS1_7vsmem_tEENKUlT_SJ_SK_SL_E_clISE_PySF_SF_EESI_SY_SJ_SK_SL_EUlSY_E0_NS1_11comp_targetILNS1_3genE10ELNS1_11target_archE1201ELNS1_3gpuE5ELNS1_3repE0EEENS1_38merge_mergepath_config_static_selectorELNS0_4arch9wavefront6targetE0EEEvSK_: ; @_ZN7rocprim17ROCPRIM_400000_NS6detail17trampoline_kernelINS0_14default_configENS1_38merge_sort_block_merge_config_selectorIyNS0_10empty_typeEEEZZNS1_27merge_sort_block_merge_implIS3_N6thrust23THRUST_200600_302600_NS6detail15normal_iteratorINS9_10device_ptrIyEEEEPS5_m11less_div_10IyEEE10hipError_tT0_T1_T2_jT3_P12ihipStream_tbPNSt15iterator_traitsISJ_E10value_typeEPNSP_ISK_E10value_typeEPSL_NS1_7vsmem_tEENKUlT_SJ_SK_SL_E_clISE_PySF_SF_EESI_SY_SJ_SK_SL_EUlSY_E0_NS1_11comp_targetILNS1_3genE10ELNS1_11target_archE1201ELNS1_3gpuE5ELNS1_3repE0EEENS1_38merge_mergepath_config_static_selectorELNS0_4arch9wavefront6targetE0EEEvSK_
; %bb.0:
	.section	.rodata,"a",@progbits
	.p2align	6, 0x0
	.amdhsa_kernel _ZN7rocprim17ROCPRIM_400000_NS6detail17trampoline_kernelINS0_14default_configENS1_38merge_sort_block_merge_config_selectorIyNS0_10empty_typeEEEZZNS1_27merge_sort_block_merge_implIS3_N6thrust23THRUST_200600_302600_NS6detail15normal_iteratorINS9_10device_ptrIyEEEEPS5_m11less_div_10IyEEE10hipError_tT0_T1_T2_jT3_P12ihipStream_tbPNSt15iterator_traitsISJ_E10value_typeEPNSP_ISK_E10value_typeEPSL_NS1_7vsmem_tEENKUlT_SJ_SK_SL_E_clISE_PySF_SF_EESI_SY_SJ_SK_SL_EUlSY_E0_NS1_11comp_targetILNS1_3genE10ELNS1_11target_archE1201ELNS1_3gpuE5ELNS1_3repE0EEENS1_38merge_mergepath_config_static_selectorELNS0_4arch9wavefront6targetE0EEEvSK_
		.amdhsa_group_segment_fixed_size 0
		.amdhsa_private_segment_fixed_size 0
		.amdhsa_kernarg_size 72
		.amdhsa_user_sgpr_count 6
		.amdhsa_user_sgpr_private_segment_buffer 1
		.amdhsa_user_sgpr_dispatch_ptr 0
		.amdhsa_user_sgpr_queue_ptr 0
		.amdhsa_user_sgpr_kernarg_segment_ptr 1
		.amdhsa_user_sgpr_dispatch_id 0
		.amdhsa_user_sgpr_flat_scratch_init 0
		.amdhsa_user_sgpr_private_segment_size 0
		.amdhsa_wavefront_size32 1
		.amdhsa_uses_dynamic_stack 0
		.amdhsa_system_sgpr_private_segment_wavefront_offset 0
		.amdhsa_system_sgpr_workgroup_id_x 1
		.amdhsa_system_sgpr_workgroup_id_y 0
		.amdhsa_system_sgpr_workgroup_id_z 0
		.amdhsa_system_sgpr_workgroup_info 0
		.amdhsa_system_vgpr_workitem_id 0
		.amdhsa_next_free_vgpr 1
		.amdhsa_next_free_sgpr 1
		.amdhsa_reserve_vcc 0
		.amdhsa_reserve_flat_scratch 0
		.amdhsa_float_round_mode_32 0
		.amdhsa_float_round_mode_16_64 0
		.amdhsa_float_denorm_mode_32 3
		.amdhsa_float_denorm_mode_16_64 3
		.amdhsa_dx10_clamp 1
		.amdhsa_ieee_mode 1
		.amdhsa_fp16_overflow 0
		.amdhsa_workgroup_processor_mode 1
		.amdhsa_memory_ordered 1
		.amdhsa_forward_progress 1
		.amdhsa_shared_vgpr_count 0
		.amdhsa_exception_fp_ieee_invalid_op 0
		.amdhsa_exception_fp_denorm_src 0
		.amdhsa_exception_fp_ieee_div_zero 0
		.amdhsa_exception_fp_ieee_overflow 0
		.amdhsa_exception_fp_ieee_underflow 0
		.amdhsa_exception_fp_ieee_inexact 0
		.amdhsa_exception_int_div_zero 0
	.end_amdhsa_kernel
	.section	.text._ZN7rocprim17ROCPRIM_400000_NS6detail17trampoline_kernelINS0_14default_configENS1_38merge_sort_block_merge_config_selectorIyNS0_10empty_typeEEEZZNS1_27merge_sort_block_merge_implIS3_N6thrust23THRUST_200600_302600_NS6detail15normal_iteratorINS9_10device_ptrIyEEEEPS5_m11less_div_10IyEEE10hipError_tT0_T1_T2_jT3_P12ihipStream_tbPNSt15iterator_traitsISJ_E10value_typeEPNSP_ISK_E10value_typeEPSL_NS1_7vsmem_tEENKUlT_SJ_SK_SL_E_clISE_PySF_SF_EESI_SY_SJ_SK_SL_EUlSY_E0_NS1_11comp_targetILNS1_3genE10ELNS1_11target_archE1201ELNS1_3gpuE5ELNS1_3repE0EEENS1_38merge_mergepath_config_static_selectorELNS0_4arch9wavefront6targetE0EEEvSK_,"axG",@progbits,_ZN7rocprim17ROCPRIM_400000_NS6detail17trampoline_kernelINS0_14default_configENS1_38merge_sort_block_merge_config_selectorIyNS0_10empty_typeEEEZZNS1_27merge_sort_block_merge_implIS3_N6thrust23THRUST_200600_302600_NS6detail15normal_iteratorINS9_10device_ptrIyEEEEPS5_m11less_div_10IyEEE10hipError_tT0_T1_T2_jT3_P12ihipStream_tbPNSt15iterator_traitsISJ_E10value_typeEPNSP_ISK_E10value_typeEPSL_NS1_7vsmem_tEENKUlT_SJ_SK_SL_E_clISE_PySF_SF_EESI_SY_SJ_SK_SL_EUlSY_E0_NS1_11comp_targetILNS1_3genE10ELNS1_11target_archE1201ELNS1_3gpuE5ELNS1_3repE0EEENS1_38merge_mergepath_config_static_selectorELNS0_4arch9wavefront6targetE0EEEvSK_,comdat
.Lfunc_end57:
	.size	_ZN7rocprim17ROCPRIM_400000_NS6detail17trampoline_kernelINS0_14default_configENS1_38merge_sort_block_merge_config_selectorIyNS0_10empty_typeEEEZZNS1_27merge_sort_block_merge_implIS3_N6thrust23THRUST_200600_302600_NS6detail15normal_iteratorINS9_10device_ptrIyEEEEPS5_m11less_div_10IyEEE10hipError_tT0_T1_T2_jT3_P12ihipStream_tbPNSt15iterator_traitsISJ_E10value_typeEPNSP_ISK_E10value_typeEPSL_NS1_7vsmem_tEENKUlT_SJ_SK_SL_E_clISE_PySF_SF_EESI_SY_SJ_SK_SL_EUlSY_E0_NS1_11comp_targetILNS1_3genE10ELNS1_11target_archE1201ELNS1_3gpuE5ELNS1_3repE0EEENS1_38merge_mergepath_config_static_selectorELNS0_4arch9wavefront6targetE0EEEvSK_, .Lfunc_end57-_ZN7rocprim17ROCPRIM_400000_NS6detail17trampoline_kernelINS0_14default_configENS1_38merge_sort_block_merge_config_selectorIyNS0_10empty_typeEEEZZNS1_27merge_sort_block_merge_implIS3_N6thrust23THRUST_200600_302600_NS6detail15normal_iteratorINS9_10device_ptrIyEEEEPS5_m11less_div_10IyEEE10hipError_tT0_T1_T2_jT3_P12ihipStream_tbPNSt15iterator_traitsISJ_E10value_typeEPNSP_ISK_E10value_typeEPSL_NS1_7vsmem_tEENKUlT_SJ_SK_SL_E_clISE_PySF_SF_EESI_SY_SJ_SK_SL_EUlSY_E0_NS1_11comp_targetILNS1_3genE10ELNS1_11target_archE1201ELNS1_3gpuE5ELNS1_3repE0EEENS1_38merge_mergepath_config_static_selectorELNS0_4arch9wavefront6targetE0EEEvSK_
                                        ; -- End function
	.set _ZN7rocprim17ROCPRIM_400000_NS6detail17trampoline_kernelINS0_14default_configENS1_38merge_sort_block_merge_config_selectorIyNS0_10empty_typeEEEZZNS1_27merge_sort_block_merge_implIS3_N6thrust23THRUST_200600_302600_NS6detail15normal_iteratorINS9_10device_ptrIyEEEEPS5_m11less_div_10IyEEE10hipError_tT0_T1_T2_jT3_P12ihipStream_tbPNSt15iterator_traitsISJ_E10value_typeEPNSP_ISK_E10value_typeEPSL_NS1_7vsmem_tEENKUlT_SJ_SK_SL_E_clISE_PySF_SF_EESI_SY_SJ_SK_SL_EUlSY_E0_NS1_11comp_targetILNS1_3genE10ELNS1_11target_archE1201ELNS1_3gpuE5ELNS1_3repE0EEENS1_38merge_mergepath_config_static_selectorELNS0_4arch9wavefront6targetE0EEEvSK_.num_vgpr, 0
	.set _ZN7rocprim17ROCPRIM_400000_NS6detail17trampoline_kernelINS0_14default_configENS1_38merge_sort_block_merge_config_selectorIyNS0_10empty_typeEEEZZNS1_27merge_sort_block_merge_implIS3_N6thrust23THRUST_200600_302600_NS6detail15normal_iteratorINS9_10device_ptrIyEEEEPS5_m11less_div_10IyEEE10hipError_tT0_T1_T2_jT3_P12ihipStream_tbPNSt15iterator_traitsISJ_E10value_typeEPNSP_ISK_E10value_typeEPSL_NS1_7vsmem_tEENKUlT_SJ_SK_SL_E_clISE_PySF_SF_EESI_SY_SJ_SK_SL_EUlSY_E0_NS1_11comp_targetILNS1_3genE10ELNS1_11target_archE1201ELNS1_3gpuE5ELNS1_3repE0EEENS1_38merge_mergepath_config_static_selectorELNS0_4arch9wavefront6targetE0EEEvSK_.num_agpr, 0
	.set _ZN7rocprim17ROCPRIM_400000_NS6detail17trampoline_kernelINS0_14default_configENS1_38merge_sort_block_merge_config_selectorIyNS0_10empty_typeEEEZZNS1_27merge_sort_block_merge_implIS3_N6thrust23THRUST_200600_302600_NS6detail15normal_iteratorINS9_10device_ptrIyEEEEPS5_m11less_div_10IyEEE10hipError_tT0_T1_T2_jT3_P12ihipStream_tbPNSt15iterator_traitsISJ_E10value_typeEPNSP_ISK_E10value_typeEPSL_NS1_7vsmem_tEENKUlT_SJ_SK_SL_E_clISE_PySF_SF_EESI_SY_SJ_SK_SL_EUlSY_E0_NS1_11comp_targetILNS1_3genE10ELNS1_11target_archE1201ELNS1_3gpuE5ELNS1_3repE0EEENS1_38merge_mergepath_config_static_selectorELNS0_4arch9wavefront6targetE0EEEvSK_.numbered_sgpr, 0
	.set _ZN7rocprim17ROCPRIM_400000_NS6detail17trampoline_kernelINS0_14default_configENS1_38merge_sort_block_merge_config_selectorIyNS0_10empty_typeEEEZZNS1_27merge_sort_block_merge_implIS3_N6thrust23THRUST_200600_302600_NS6detail15normal_iteratorINS9_10device_ptrIyEEEEPS5_m11less_div_10IyEEE10hipError_tT0_T1_T2_jT3_P12ihipStream_tbPNSt15iterator_traitsISJ_E10value_typeEPNSP_ISK_E10value_typeEPSL_NS1_7vsmem_tEENKUlT_SJ_SK_SL_E_clISE_PySF_SF_EESI_SY_SJ_SK_SL_EUlSY_E0_NS1_11comp_targetILNS1_3genE10ELNS1_11target_archE1201ELNS1_3gpuE5ELNS1_3repE0EEENS1_38merge_mergepath_config_static_selectorELNS0_4arch9wavefront6targetE0EEEvSK_.num_named_barrier, 0
	.set _ZN7rocprim17ROCPRIM_400000_NS6detail17trampoline_kernelINS0_14default_configENS1_38merge_sort_block_merge_config_selectorIyNS0_10empty_typeEEEZZNS1_27merge_sort_block_merge_implIS3_N6thrust23THRUST_200600_302600_NS6detail15normal_iteratorINS9_10device_ptrIyEEEEPS5_m11less_div_10IyEEE10hipError_tT0_T1_T2_jT3_P12ihipStream_tbPNSt15iterator_traitsISJ_E10value_typeEPNSP_ISK_E10value_typeEPSL_NS1_7vsmem_tEENKUlT_SJ_SK_SL_E_clISE_PySF_SF_EESI_SY_SJ_SK_SL_EUlSY_E0_NS1_11comp_targetILNS1_3genE10ELNS1_11target_archE1201ELNS1_3gpuE5ELNS1_3repE0EEENS1_38merge_mergepath_config_static_selectorELNS0_4arch9wavefront6targetE0EEEvSK_.private_seg_size, 0
	.set _ZN7rocprim17ROCPRIM_400000_NS6detail17trampoline_kernelINS0_14default_configENS1_38merge_sort_block_merge_config_selectorIyNS0_10empty_typeEEEZZNS1_27merge_sort_block_merge_implIS3_N6thrust23THRUST_200600_302600_NS6detail15normal_iteratorINS9_10device_ptrIyEEEEPS5_m11less_div_10IyEEE10hipError_tT0_T1_T2_jT3_P12ihipStream_tbPNSt15iterator_traitsISJ_E10value_typeEPNSP_ISK_E10value_typeEPSL_NS1_7vsmem_tEENKUlT_SJ_SK_SL_E_clISE_PySF_SF_EESI_SY_SJ_SK_SL_EUlSY_E0_NS1_11comp_targetILNS1_3genE10ELNS1_11target_archE1201ELNS1_3gpuE5ELNS1_3repE0EEENS1_38merge_mergepath_config_static_selectorELNS0_4arch9wavefront6targetE0EEEvSK_.uses_vcc, 0
	.set _ZN7rocprim17ROCPRIM_400000_NS6detail17trampoline_kernelINS0_14default_configENS1_38merge_sort_block_merge_config_selectorIyNS0_10empty_typeEEEZZNS1_27merge_sort_block_merge_implIS3_N6thrust23THRUST_200600_302600_NS6detail15normal_iteratorINS9_10device_ptrIyEEEEPS5_m11less_div_10IyEEE10hipError_tT0_T1_T2_jT3_P12ihipStream_tbPNSt15iterator_traitsISJ_E10value_typeEPNSP_ISK_E10value_typeEPSL_NS1_7vsmem_tEENKUlT_SJ_SK_SL_E_clISE_PySF_SF_EESI_SY_SJ_SK_SL_EUlSY_E0_NS1_11comp_targetILNS1_3genE10ELNS1_11target_archE1201ELNS1_3gpuE5ELNS1_3repE0EEENS1_38merge_mergepath_config_static_selectorELNS0_4arch9wavefront6targetE0EEEvSK_.uses_flat_scratch, 0
	.set _ZN7rocprim17ROCPRIM_400000_NS6detail17trampoline_kernelINS0_14default_configENS1_38merge_sort_block_merge_config_selectorIyNS0_10empty_typeEEEZZNS1_27merge_sort_block_merge_implIS3_N6thrust23THRUST_200600_302600_NS6detail15normal_iteratorINS9_10device_ptrIyEEEEPS5_m11less_div_10IyEEE10hipError_tT0_T1_T2_jT3_P12ihipStream_tbPNSt15iterator_traitsISJ_E10value_typeEPNSP_ISK_E10value_typeEPSL_NS1_7vsmem_tEENKUlT_SJ_SK_SL_E_clISE_PySF_SF_EESI_SY_SJ_SK_SL_EUlSY_E0_NS1_11comp_targetILNS1_3genE10ELNS1_11target_archE1201ELNS1_3gpuE5ELNS1_3repE0EEENS1_38merge_mergepath_config_static_selectorELNS0_4arch9wavefront6targetE0EEEvSK_.has_dyn_sized_stack, 0
	.set _ZN7rocprim17ROCPRIM_400000_NS6detail17trampoline_kernelINS0_14default_configENS1_38merge_sort_block_merge_config_selectorIyNS0_10empty_typeEEEZZNS1_27merge_sort_block_merge_implIS3_N6thrust23THRUST_200600_302600_NS6detail15normal_iteratorINS9_10device_ptrIyEEEEPS5_m11less_div_10IyEEE10hipError_tT0_T1_T2_jT3_P12ihipStream_tbPNSt15iterator_traitsISJ_E10value_typeEPNSP_ISK_E10value_typeEPSL_NS1_7vsmem_tEENKUlT_SJ_SK_SL_E_clISE_PySF_SF_EESI_SY_SJ_SK_SL_EUlSY_E0_NS1_11comp_targetILNS1_3genE10ELNS1_11target_archE1201ELNS1_3gpuE5ELNS1_3repE0EEENS1_38merge_mergepath_config_static_selectorELNS0_4arch9wavefront6targetE0EEEvSK_.has_recursion, 0
	.set _ZN7rocprim17ROCPRIM_400000_NS6detail17trampoline_kernelINS0_14default_configENS1_38merge_sort_block_merge_config_selectorIyNS0_10empty_typeEEEZZNS1_27merge_sort_block_merge_implIS3_N6thrust23THRUST_200600_302600_NS6detail15normal_iteratorINS9_10device_ptrIyEEEEPS5_m11less_div_10IyEEE10hipError_tT0_T1_T2_jT3_P12ihipStream_tbPNSt15iterator_traitsISJ_E10value_typeEPNSP_ISK_E10value_typeEPSL_NS1_7vsmem_tEENKUlT_SJ_SK_SL_E_clISE_PySF_SF_EESI_SY_SJ_SK_SL_EUlSY_E0_NS1_11comp_targetILNS1_3genE10ELNS1_11target_archE1201ELNS1_3gpuE5ELNS1_3repE0EEENS1_38merge_mergepath_config_static_selectorELNS0_4arch9wavefront6targetE0EEEvSK_.has_indirect_call, 0
	.section	.AMDGPU.csdata,"",@progbits
; Kernel info:
; codeLenInByte = 0
; TotalNumSgprs: 0
; NumVgprs: 0
; ScratchSize: 0
; MemoryBound: 0
; FloatMode: 240
; IeeeMode: 1
; LDSByteSize: 0 bytes/workgroup (compile time only)
; SGPRBlocks: 0
; VGPRBlocks: 0
; NumSGPRsForWavesPerEU: 1
; NumVGPRsForWavesPerEU: 1
; Occupancy: 16
; WaveLimiterHint : 0
; COMPUTE_PGM_RSRC2:SCRATCH_EN: 0
; COMPUTE_PGM_RSRC2:USER_SGPR: 6
; COMPUTE_PGM_RSRC2:TRAP_HANDLER: 0
; COMPUTE_PGM_RSRC2:TGID_X_EN: 1
; COMPUTE_PGM_RSRC2:TGID_Y_EN: 0
; COMPUTE_PGM_RSRC2:TGID_Z_EN: 0
; COMPUTE_PGM_RSRC2:TIDIG_COMP_CNT: 0
	.section	.text._ZN7rocprim17ROCPRIM_400000_NS6detail17trampoline_kernelINS0_14default_configENS1_38merge_sort_block_merge_config_selectorIyNS0_10empty_typeEEEZZNS1_27merge_sort_block_merge_implIS3_N6thrust23THRUST_200600_302600_NS6detail15normal_iteratorINS9_10device_ptrIyEEEEPS5_m11less_div_10IyEEE10hipError_tT0_T1_T2_jT3_P12ihipStream_tbPNSt15iterator_traitsISJ_E10value_typeEPNSP_ISK_E10value_typeEPSL_NS1_7vsmem_tEENKUlT_SJ_SK_SL_E_clISE_PySF_SF_EESI_SY_SJ_SK_SL_EUlSY_E0_NS1_11comp_targetILNS1_3genE5ELNS1_11target_archE942ELNS1_3gpuE9ELNS1_3repE0EEENS1_38merge_mergepath_config_static_selectorELNS0_4arch9wavefront6targetE0EEEvSK_,"axG",@progbits,_ZN7rocprim17ROCPRIM_400000_NS6detail17trampoline_kernelINS0_14default_configENS1_38merge_sort_block_merge_config_selectorIyNS0_10empty_typeEEEZZNS1_27merge_sort_block_merge_implIS3_N6thrust23THRUST_200600_302600_NS6detail15normal_iteratorINS9_10device_ptrIyEEEEPS5_m11less_div_10IyEEE10hipError_tT0_T1_T2_jT3_P12ihipStream_tbPNSt15iterator_traitsISJ_E10value_typeEPNSP_ISK_E10value_typeEPSL_NS1_7vsmem_tEENKUlT_SJ_SK_SL_E_clISE_PySF_SF_EESI_SY_SJ_SK_SL_EUlSY_E0_NS1_11comp_targetILNS1_3genE5ELNS1_11target_archE942ELNS1_3gpuE9ELNS1_3repE0EEENS1_38merge_mergepath_config_static_selectorELNS0_4arch9wavefront6targetE0EEEvSK_,comdat
	.protected	_ZN7rocprim17ROCPRIM_400000_NS6detail17trampoline_kernelINS0_14default_configENS1_38merge_sort_block_merge_config_selectorIyNS0_10empty_typeEEEZZNS1_27merge_sort_block_merge_implIS3_N6thrust23THRUST_200600_302600_NS6detail15normal_iteratorINS9_10device_ptrIyEEEEPS5_m11less_div_10IyEEE10hipError_tT0_T1_T2_jT3_P12ihipStream_tbPNSt15iterator_traitsISJ_E10value_typeEPNSP_ISK_E10value_typeEPSL_NS1_7vsmem_tEENKUlT_SJ_SK_SL_E_clISE_PySF_SF_EESI_SY_SJ_SK_SL_EUlSY_E0_NS1_11comp_targetILNS1_3genE5ELNS1_11target_archE942ELNS1_3gpuE9ELNS1_3repE0EEENS1_38merge_mergepath_config_static_selectorELNS0_4arch9wavefront6targetE0EEEvSK_ ; -- Begin function _ZN7rocprim17ROCPRIM_400000_NS6detail17trampoline_kernelINS0_14default_configENS1_38merge_sort_block_merge_config_selectorIyNS0_10empty_typeEEEZZNS1_27merge_sort_block_merge_implIS3_N6thrust23THRUST_200600_302600_NS6detail15normal_iteratorINS9_10device_ptrIyEEEEPS5_m11less_div_10IyEEE10hipError_tT0_T1_T2_jT3_P12ihipStream_tbPNSt15iterator_traitsISJ_E10value_typeEPNSP_ISK_E10value_typeEPSL_NS1_7vsmem_tEENKUlT_SJ_SK_SL_E_clISE_PySF_SF_EESI_SY_SJ_SK_SL_EUlSY_E0_NS1_11comp_targetILNS1_3genE5ELNS1_11target_archE942ELNS1_3gpuE9ELNS1_3repE0EEENS1_38merge_mergepath_config_static_selectorELNS0_4arch9wavefront6targetE0EEEvSK_
	.globl	_ZN7rocprim17ROCPRIM_400000_NS6detail17trampoline_kernelINS0_14default_configENS1_38merge_sort_block_merge_config_selectorIyNS0_10empty_typeEEEZZNS1_27merge_sort_block_merge_implIS3_N6thrust23THRUST_200600_302600_NS6detail15normal_iteratorINS9_10device_ptrIyEEEEPS5_m11less_div_10IyEEE10hipError_tT0_T1_T2_jT3_P12ihipStream_tbPNSt15iterator_traitsISJ_E10value_typeEPNSP_ISK_E10value_typeEPSL_NS1_7vsmem_tEENKUlT_SJ_SK_SL_E_clISE_PySF_SF_EESI_SY_SJ_SK_SL_EUlSY_E0_NS1_11comp_targetILNS1_3genE5ELNS1_11target_archE942ELNS1_3gpuE9ELNS1_3repE0EEENS1_38merge_mergepath_config_static_selectorELNS0_4arch9wavefront6targetE0EEEvSK_
	.p2align	8
	.type	_ZN7rocprim17ROCPRIM_400000_NS6detail17trampoline_kernelINS0_14default_configENS1_38merge_sort_block_merge_config_selectorIyNS0_10empty_typeEEEZZNS1_27merge_sort_block_merge_implIS3_N6thrust23THRUST_200600_302600_NS6detail15normal_iteratorINS9_10device_ptrIyEEEEPS5_m11less_div_10IyEEE10hipError_tT0_T1_T2_jT3_P12ihipStream_tbPNSt15iterator_traitsISJ_E10value_typeEPNSP_ISK_E10value_typeEPSL_NS1_7vsmem_tEENKUlT_SJ_SK_SL_E_clISE_PySF_SF_EESI_SY_SJ_SK_SL_EUlSY_E0_NS1_11comp_targetILNS1_3genE5ELNS1_11target_archE942ELNS1_3gpuE9ELNS1_3repE0EEENS1_38merge_mergepath_config_static_selectorELNS0_4arch9wavefront6targetE0EEEvSK_,@function
_ZN7rocprim17ROCPRIM_400000_NS6detail17trampoline_kernelINS0_14default_configENS1_38merge_sort_block_merge_config_selectorIyNS0_10empty_typeEEEZZNS1_27merge_sort_block_merge_implIS3_N6thrust23THRUST_200600_302600_NS6detail15normal_iteratorINS9_10device_ptrIyEEEEPS5_m11less_div_10IyEEE10hipError_tT0_T1_T2_jT3_P12ihipStream_tbPNSt15iterator_traitsISJ_E10value_typeEPNSP_ISK_E10value_typeEPSL_NS1_7vsmem_tEENKUlT_SJ_SK_SL_E_clISE_PySF_SF_EESI_SY_SJ_SK_SL_EUlSY_E0_NS1_11comp_targetILNS1_3genE5ELNS1_11target_archE942ELNS1_3gpuE9ELNS1_3repE0EEENS1_38merge_mergepath_config_static_selectorELNS0_4arch9wavefront6targetE0EEEvSK_: ; @_ZN7rocprim17ROCPRIM_400000_NS6detail17trampoline_kernelINS0_14default_configENS1_38merge_sort_block_merge_config_selectorIyNS0_10empty_typeEEEZZNS1_27merge_sort_block_merge_implIS3_N6thrust23THRUST_200600_302600_NS6detail15normal_iteratorINS9_10device_ptrIyEEEEPS5_m11less_div_10IyEEE10hipError_tT0_T1_T2_jT3_P12ihipStream_tbPNSt15iterator_traitsISJ_E10value_typeEPNSP_ISK_E10value_typeEPSL_NS1_7vsmem_tEENKUlT_SJ_SK_SL_E_clISE_PySF_SF_EESI_SY_SJ_SK_SL_EUlSY_E0_NS1_11comp_targetILNS1_3genE5ELNS1_11target_archE942ELNS1_3gpuE9ELNS1_3repE0EEENS1_38merge_mergepath_config_static_selectorELNS0_4arch9wavefront6targetE0EEEvSK_
; %bb.0:
	.section	.rodata,"a",@progbits
	.p2align	6, 0x0
	.amdhsa_kernel _ZN7rocprim17ROCPRIM_400000_NS6detail17trampoline_kernelINS0_14default_configENS1_38merge_sort_block_merge_config_selectorIyNS0_10empty_typeEEEZZNS1_27merge_sort_block_merge_implIS3_N6thrust23THRUST_200600_302600_NS6detail15normal_iteratorINS9_10device_ptrIyEEEEPS5_m11less_div_10IyEEE10hipError_tT0_T1_T2_jT3_P12ihipStream_tbPNSt15iterator_traitsISJ_E10value_typeEPNSP_ISK_E10value_typeEPSL_NS1_7vsmem_tEENKUlT_SJ_SK_SL_E_clISE_PySF_SF_EESI_SY_SJ_SK_SL_EUlSY_E0_NS1_11comp_targetILNS1_3genE5ELNS1_11target_archE942ELNS1_3gpuE9ELNS1_3repE0EEENS1_38merge_mergepath_config_static_selectorELNS0_4arch9wavefront6targetE0EEEvSK_
		.amdhsa_group_segment_fixed_size 0
		.amdhsa_private_segment_fixed_size 0
		.amdhsa_kernarg_size 72
		.amdhsa_user_sgpr_count 6
		.amdhsa_user_sgpr_private_segment_buffer 1
		.amdhsa_user_sgpr_dispatch_ptr 0
		.amdhsa_user_sgpr_queue_ptr 0
		.amdhsa_user_sgpr_kernarg_segment_ptr 1
		.amdhsa_user_sgpr_dispatch_id 0
		.amdhsa_user_sgpr_flat_scratch_init 0
		.amdhsa_user_sgpr_private_segment_size 0
		.amdhsa_wavefront_size32 1
		.amdhsa_uses_dynamic_stack 0
		.amdhsa_system_sgpr_private_segment_wavefront_offset 0
		.amdhsa_system_sgpr_workgroup_id_x 1
		.amdhsa_system_sgpr_workgroup_id_y 0
		.amdhsa_system_sgpr_workgroup_id_z 0
		.amdhsa_system_sgpr_workgroup_info 0
		.amdhsa_system_vgpr_workitem_id 0
		.amdhsa_next_free_vgpr 1
		.amdhsa_next_free_sgpr 1
		.amdhsa_reserve_vcc 0
		.amdhsa_reserve_flat_scratch 0
		.amdhsa_float_round_mode_32 0
		.amdhsa_float_round_mode_16_64 0
		.amdhsa_float_denorm_mode_32 3
		.amdhsa_float_denorm_mode_16_64 3
		.amdhsa_dx10_clamp 1
		.amdhsa_ieee_mode 1
		.amdhsa_fp16_overflow 0
		.amdhsa_workgroup_processor_mode 1
		.amdhsa_memory_ordered 1
		.amdhsa_forward_progress 1
		.amdhsa_shared_vgpr_count 0
		.amdhsa_exception_fp_ieee_invalid_op 0
		.amdhsa_exception_fp_denorm_src 0
		.amdhsa_exception_fp_ieee_div_zero 0
		.amdhsa_exception_fp_ieee_overflow 0
		.amdhsa_exception_fp_ieee_underflow 0
		.amdhsa_exception_fp_ieee_inexact 0
		.amdhsa_exception_int_div_zero 0
	.end_amdhsa_kernel
	.section	.text._ZN7rocprim17ROCPRIM_400000_NS6detail17trampoline_kernelINS0_14default_configENS1_38merge_sort_block_merge_config_selectorIyNS0_10empty_typeEEEZZNS1_27merge_sort_block_merge_implIS3_N6thrust23THRUST_200600_302600_NS6detail15normal_iteratorINS9_10device_ptrIyEEEEPS5_m11less_div_10IyEEE10hipError_tT0_T1_T2_jT3_P12ihipStream_tbPNSt15iterator_traitsISJ_E10value_typeEPNSP_ISK_E10value_typeEPSL_NS1_7vsmem_tEENKUlT_SJ_SK_SL_E_clISE_PySF_SF_EESI_SY_SJ_SK_SL_EUlSY_E0_NS1_11comp_targetILNS1_3genE5ELNS1_11target_archE942ELNS1_3gpuE9ELNS1_3repE0EEENS1_38merge_mergepath_config_static_selectorELNS0_4arch9wavefront6targetE0EEEvSK_,"axG",@progbits,_ZN7rocprim17ROCPRIM_400000_NS6detail17trampoline_kernelINS0_14default_configENS1_38merge_sort_block_merge_config_selectorIyNS0_10empty_typeEEEZZNS1_27merge_sort_block_merge_implIS3_N6thrust23THRUST_200600_302600_NS6detail15normal_iteratorINS9_10device_ptrIyEEEEPS5_m11less_div_10IyEEE10hipError_tT0_T1_T2_jT3_P12ihipStream_tbPNSt15iterator_traitsISJ_E10value_typeEPNSP_ISK_E10value_typeEPSL_NS1_7vsmem_tEENKUlT_SJ_SK_SL_E_clISE_PySF_SF_EESI_SY_SJ_SK_SL_EUlSY_E0_NS1_11comp_targetILNS1_3genE5ELNS1_11target_archE942ELNS1_3gpuE9ELNS1_3repE0EEENS1_38merge_mergepath_config_static_selectorELNS0_4arch9wavefront6targetE0EEEvSK_,comdat
.Lfunc_end58:
	.size	_ZN7rocprim17ROCPRIM_400000_NS6detail17trampoline_kernelINS0_14default_configENS1_38merge_sort_block_merge_config_selectorIyNS0_10empty_typeEEEZZNS1_27merge_sort_block_merge_implIS3_N6thrust23THRUST_200600_302600_NS6detail15normal_iteratorINS9_10device_ptrIyEEEEPS5_m11less_div_10IyEEE10hipError_tT0_T1_T2_jT3_P12ihipStream_tbPNSt15iterator_traitsISJ_E10value_typeEPNSP_ISK_E10value_typeEPSL_NS1_7vsmem_tEENKUlT_SJ_SK_SL_E_clISE_PySF_SF_EESI_SY_SJ_SK_SL_EUlSY_E0_NS1_11comp_targetILNS1_3genE5ELNS1_11target_archE942ELNS1_3gpuE9ELNS1_3repE0EEENS1_38merge_mergepath_config_static_selectorELNS0_4arch9wavefront6targetE0EEEvSK_, .Lfunc_end58-_ZN7rocprim17ROCPRIM_400000_NS6detail17trampoline_kernelINS0_14default_configENS1_38merge_sort_block_merge_config_selectorIyNS0_10empty_typeEEEZZNS1_27merge_sort_block_merge_implIS3_N6thrust23THRUST_200600_302600_NS6detail15normal_iteratorINS9_10device_ptrIyEEEEPS5_m11less_div_10IyEEE10hipError_tT0_T1_T2_jT3_P12ihipStream_tbPNSt15iterator_traitsISJ_E10value_typeEPNSP_ISK_E10value_typeEPSL_NS1_7vsmem_tEENKUlT_SJ_SK_SL_E_clISE_PySF_SF_EESI_SY_SJ_SK_SL_EUlSY_E0_NS1_11comp_targetILNS1_3genE5ELNS1_11target_archE942ELNS1_3gpuE9ELNS1_3repE0EEENS1_38merge_mergepath_config_static_selectorELNS0_4arch9wavefront6targetE0EEEvSK_
                                        ; -- End function
	.set _ZN7rocprim17ROCPRIM_400000_NS6detail17trampoline_kernelINS0_14default_configENS1_38merge_sort_block_merge_config_selectorIyNS0_10empty_typeEEEZZNS1_27merge_sort_block_merge_implIS3_N6thrust23THRUST_200600_302600_NS6detail15normal_iteratorINS9_10device_ptrIyEEEEPS5_m11less_div_10IyEEE10hipError_tT0_T1_T2_jT3_P12ihipStream_tbPNSt15iterator_traitsISJ_E10value_typeEPNSP_ISK_E10value_typeEPSL_NS1_7vsmem_tEENKUlT_SJ_SK_SL_E_clISE_PySF_SF_EESI_SY_SJ_SK_SL_EUlSY_E0_NS1_11comp_targetILNS1_3genE5ELNS1_11target_archE942ELNS1_3gpuE9ELNS1_3repE0EEENS1_38merge_mergepath_config_static_selectorELNS0_4arch9wavefront6targetE0EEEvSK_.num_vgpr, 0
	.set _ZN7rocprim17ROCPRIM_400000_NS6detail17trampoline_kernelINS0_14default_configENS1_38merge_sort_block_merge_config_selectorIyNS0_10empty_typeEEEZZNS1_27merge_sort_block_merge_implIS3_N6thrust23THRUST_200600_302600_NS6detail15normal_iteratorINS9_10device_ptrIyEEEEPS5_m11less_div_10IyEEE10hipError_tT0_T1_T2_jT3_P12ihipStream_tbPNSt15iterator_traitsISJ_E10value_typeEPNSP_ISK_E10value_typeEPSL_NS1_7vsmem_tEENKUlT_SJ_SK_SL_E_clISE_PySF_SF_EESI_SY_SJ_SK_SL_EUlSY_E0_NS1_11comp_targetILNS1_3genE5ELNS1_11target_archE942ELNS1_3gpuE9ELNS1_3repE0EEENS1_38merge_mergepath_config_static_selectorELNS0_4arch9wavefront6targetE0EEEvSK_.num_agpr, 0
	.set _ZN7rocprim17ROCPRIM_400000_NS6detail17trampoline_kernelINS0_14default_configENS1_38merge_sort_block_merge_config_selectorIyNS0_10empty_typeEEEZZNS1_27merge_sort_block_merge_implIS3_N6thrust23THRUST_200600_302600_NS6detail15normal_iteratorINS9_10device_ptrIyEEEEPS5_m11less_div_10IyEEE10hipError_tT0_T1_T2_jT3_P12ihipStream_tbPNSt15iterator_traitsISJ_E10value_typeEPNSP_ISK_E10value_typeEPSL_NS1_7vsmem_tEENKUlT_SJ_SK_SL_E_clISE_PySF_SF_EESI_SY_SJ_SK_SL_EUlSY_E0_NS1_11comp_targetILNS1_3genE5ELNS1_11target_archE942ELNS1_3gpuE9ELNS1_3repE0EEENS1_38merge_mergepath_config_static_selectorELNS0_4arch9wavefront6targetE0EEEvSK_.numbered_sgpr, 0
	.set _ZN7rocprim17ROCPRIM_400000_NS6detail17trampoline_kernelINS0_14default_configENS1_38merge_sort_block_merge_config_selectorIyNS0_10empty_typeEEEZZNS1_27merge_sort_block_merge_implIS3_N6thrust23THRUST_200600_302600_NS6detail15normal_iteratorINS9_10device_ptrIyEEEEPS5_m11less_div_10IyEEE10hipError_tT0_T1_T2_jT3_P12ihipStream_tbPNSt15iterator_traitsISJ_E10value_typeEPNSP_ISK_E10value_typeEPSL_NS1_7vsmem_tEENKUlT_SJ_SK_SL_E_clISE_PySF_SF_EESI_SY_SJ_SK_SL_EUlSY_E0_NS1_11comp_targetILNS1_3genE5ELNS1_11target_archE942ELNS1_3gpuE9ELNS1_3repE0EEENS1_38merge_mergepath_config_static_selectorELNS0_4arch9wavefront6targetE0EEEvSK_.num_named_barrier, 0
	.set _ZN7rocprim17ROCPRIM_400000_NS6detail17trampoline_kernelINS0_14default_configENS1_38merge_sort_block_merge_config_selectorIyNS0_10empty_typeEEEZZNS1_27merge_sort_block_merge_implIS3_N6thrust23THRUST_200600_302600_NS6detail15normal_iteratorINS9_10device_ptrIyEEEEPS5_m11less_div_10IyEEE10hipError_tT0_T1_T2_jT3_P12ihipStream_tbPNSt15iterator_traitsISJ_E10value_typeEPNSP_ISK_E10value_typeEPSL_NS1_7vsmem_tEENKUlT_SJ_SK_SL_E_clISE_PySF_SF_EESI_SY_SJ_SK_SL_EUlSY_E0_NS1_11comp_targetILNS1_3genE5ELNS1_11target_archE942ELNS1_3gpuE9ELNS1_3repE0EEENS1_38merge_mergepath_config_static_selectorELNS0_4arch9wavefront6targetE0EEEvSK_.private_seg_size, 0
	.set _ZN7rocprim17ROCPRIM_400000_NS6detail17trampoline_kernelINS0_14default_configENS1_38merge_sort_block_merge_config_selectorIyNS0_10empty_typeEEEZZNS1_27merge_sort_block_merge_implIS3_N6thrust23THRUST_200600_302600_NS6detail15normal_iteratorINS9_10device_ptrIyEEEEPS5_m11less_div_10IyEEE10hipError_tT0_T1_T2_jT3_P12ihipStream_tbPNSt15iterator_traitsISJ_E10value_typeEPNSP_ISK_E10value_typeEPSL_NS1_7vsmem_tEENKUlT_SJ_SK_SL_E_clISE_PySF_SF_EESI_SY_SJ_SK_SL_EUlSY_E0_NS1_11comp_targetILNS1_3genE5ELNS1_11target_archE942ELNS1_3gpuE9ELNS1_3repE0EEENS1_38merge_mergepath_config_static_selectorELNS0_4arch9wavefront6targetE0EEEvSK_.uses_vcc, 0
	.set _ZN7rocprim17ROCPRIM_400000_NS6detail17trampoline_kernelINS0_14default_configENS1_38merge_sort_block_merge_config_selectorIyNS0_10empty_typeEEEZZNS1_27merge_sort_block_merge_implIS3_N6thrust23THRUST_200600_302600_NS6detail15normal_iteratorINS9_10device_ptrIyEEEEPS5_m11less_div_10IyEEE10hipError_tT0_T1_T2_jT3_P12ihipStream_tbPNSt15iterator_traitsISJ_E10value_typeEPNSP_ISK_E10value_typeEPSL_NS1_7vsmem_tEENKUlT_SJ_SK_SL_E_clISE_PySF_SF_EESI_SY_SJ_SK_SL_EUlSY_E0_NS1_11comp_targetILNS1_3genE5ELNS1_11target_archE942ELNS1_3gpuE9ELNS1_3repE0EEENS1_38merge_mergepath_config_static_selectorELNS0_4arch9wavefront6targetE0EEEvSK_.uses_flat_scratch, 0
	.set _ZN7rocprim17ROCPRIM_400000_NS6detail17trampoline_kernelINS0_14default_configENS1_38merge_sort_block_merge_config_selectorIyNS0_10empty_typeEEEZZNS1_27merge_sort_block_merge_implIS3_N6thrust23THRUST_200600_302600_NS6detail15normal_iteratorINS9_10device_ptrIyEEEEPS5_m11less_div_10IyEEE10hipError_tT0_T1_T2_jT3_P12ihipStream_tbPNSt15iterator_traitsISJ_E10value_typeEPNSP_ISK_E10value_typeEPSL_NS1_7vsmem_tEENKUlT_SJ_SK_SL_E_clISE_PySF_SF_EESI_SY_SJ_SK_SL_EUlSY_E0_NS1_11comp_targetILNS1_3genE5ELNS1_11target_archE942ELNS1_3gpuE9ELNS1_3repE0EEENS1_38merge_mergepath_config_static_selectorELNS0_4arch9wavefront6targetE0EEEvSK_.has_dyn_sized_stack, 0
	.set _ZN7rocprim17ROCPRIM_400000_NS6detail17trampoline_kernelINS0_14default_configENS1_38merge_sort_block_merge_config_selectorIyNS0_10empty_typeEEEZZNS1_27merge_sort_block_merge_implIS3_N6thrust23THRUST_200600_302600_NS6detail15normal_iteratorINS9_10device_ptrIyEEEEPS5_m11less_div_10IyEEE10hipError_tT0_T1_T2_jT3_P12ihipStream_tbPNSt15iterator_traitsISJ_E10value_typeEPNSP_ISK_E10value_typeEPSL_NS1_7vsmem_tEENKUlT_SJ_SK_SL_E_clISE_PySF_SF_EESI_SY_SJ_SK_SL_EUlSY_E0_NS1_11comp_targetILNS1_3genE5ELNS1_11target_archE942ELNS1_3gpuE9ELNS1_3repE0EEENS1_38merge_mergepath_config_static_selectorELNS0_4arch9wavefront6targetE0EEEvSK_.has_recursion, 0
	.set _ZN7rocprim17ROCPRIM_400000_NS6detail17trampoline_kernelINS0_14default_configENS1_38merge_sort_block_merge_config_selectorIyNS0_10empty_typeEEEZZNS1_27merge_sort_block_merge_implIS3_N6thrust23THRUST_200600_302600_NS6detail15normal_iteratorINS9_10device_ptrIyEEEEPS5_m11less_div_10IyEEE10hipError_tT0_T1_T2_jT3_P12ihipStream_tbPNSt15iterator_traitsISJ_E10value_typeEPNSP_ISK_E10value_typeEPSL_NS1_7vsmem_tEENKUlT_SJ_SK_SL_E_clISE_PySF_SF_EESI_SY_SJ_SK_SL_EUlSY_E0_NS1_11comp_targetILNS1_3genE5ELNS1_11target_archE942ELNS1_3gpuE9ELNS1_3repE0EEENS1_38merge_mergepath_config_static_selectorELNS0_4arch9wavefront6targetE0EEEvSK_.has_indirect_call, 0
	.section	.AMDGPU.csdata,"",@progbits
; Kernel info:
; codeLenInByte = 0
; TotalNumSgprs: 0
; NumVgprs: 0
; ScratchSize: 0
; MemoryBound: 0
; FloatMode: 240
; IeeeMode: 1
; LDSByteSize: 0 bytes/workgroup (compile time only)
; SGPRBlocks: 0
; VGPRBlocks: 0
; NumSGPRsForWavesPerEU: 1
; NumVGPRsForWavesPerEU: 1
; Occupancy: 16
; WaveLimiterHint : 0
; COMPUTE_PGM_RSRC2:SCRATCH_EN: 0
; COMPUTE_PGM_RSRC2:USER_SGPR: 6
; COMPUTE_PGM_RSRC2:TRAP_HANDLER: 0
; COMPUTE_PGM_RSRC2:TGID_X_EN: 1
; COMPUTE_PGM_RSRC2:TGID_Y_EN: 0
; COMPUTE_PGM_RSRC2:TGID_Z_EN: 0
; COMPUTE_PGM_RSRC2:TIDIG_COMP_CNT: 0
	.section	.text._ZN7rocprim17ROCPRIM_400000_NS6detail17trampoline_kernelINS0_14default_configENS1_38merge_sort_block_merge_config_selectorIyNS0_10empty_typeEEEZZNS1_27merge_sort_block_merge_implIS3_N6thrust23THRUST_200600_302600_NS6detail15normal_iteratorINS9_10device_ptrIyEEEEPS5_m11less_div_10IyEEE10hipError_tT0_T1_T2_jT3_P12ihipStream_tbPNSt15iterator_traitsISJ_E10value_typeEPNSP_ISK_E10value_typeEPSL_NS1_7vsmem_tEENKUlT_SJ_SK_SL_E_clISE_PySF_SF_EESI_SY_SJ_SK_SL_EUlSY_E0_NS1_11comp_targetILNS1_3genE4ELNS1_11target_archE910ELNS1_3gpuE8ELNS1_3repE0EEENS1_38merge_mergepath_config_static_selectorELNS0_4arch9wavefront6targetE0EEEvSK_,"axG",@progbits,_ZN7rocprim17ROCPRIM_400000_NS6detail17trampoline_kernelINS0_14default_configENS1_38merge_sort_block_merge_config_selectorIyNS0_10empty_typeEEEZZNS1_27merge_sort_block_merge_implIS3_N6thrust23THRUST_200600_302600_NS6detail15normal_iteratorINS9_10device_ptrIyEEEEPS5_m11less_div_10IyEEE10hipError_tT0_T1_T2_jT3_P12ihipStream_tbPNSt15iterator_traitsISJ_E10value_typeEPNSP_ISK_E10value_typeEPSL_NS1_7vsmem_tEENKUlT_SJ_SK_SL_E_clISE_PySF_SF_EESI_SY_SJ_SK_SL_EUlSY_E0_NS1_11comp_targetILNS1_3genE4ELNS1_11target_archE910ELNS1_3gpuE8ELNS1_3repE0EEENS1_38merge_mergepath_config_static_selectorELNS0_4arch9wavefront6targetE0EEEvSK_,comdat
	.protected	_ZN7rocprim17ROCPRIM_400000_NS6detail17trampoline_kernelINS0_14default_configENS1_38merge_sort_block_merge_config_selectorIyNS0_10empty_typeEEEZZNS1_27merge_sort_block_merge_implIS3_N6thrust23THRUST_200600_302600_NS6detail15normal_iteratorINS9_10device_ptrIyEEEEPS5_m11less_div_10IyEEE10hipError_tT0_T1_T2_jT3_P12ihipStream_tbPNSt15iterator_traitsISJ_E10value_typeEPNSP_ISK_E10value_typeEPSL_NS1_7vsmem_tEENKUlT_SJ_SK_SL_E_clISE_PySF_SF_EESI_SY_SJ_SK_SL_EUlSY_E0_NS1_11comp_targetILNS1_3genE4ELNS1_11target_archE910ELNS1_3gpuE8ELNS1_3repE0EEENS1_38merge_mergepath_config_static_selectorELNS0_4arch9wavefront6targetE0EEEvSK_ ; -- Begin function _ZN7rocprim17ROCPRIM_400000_NS6detail17trampoline_kernelINS0_14default_configENS1_38merge_sort_block_merge_config_selectorIyNS0_10empty_typeEEEZZNS1_27merge_sort_block_merge_implIS3_N6thrust23THRUST_200600_302600_NS6detail15normal_iteratorINS9_10device_ptrIyEEEEPS5_m11less_div_10IyEEE10hipError_tT0_T1_T2_jT3_P12ihipStream_tbPNSt15iterator_traitsISJ_E10value_typeEPNSP_ISK_E10value_typeEPSL_NS1_7vsmem_tEENKUlT_SJ_SK_SL_E_clISE_PySF_SF_EESI_SY_SJ_SK_SL_EUlSY_E0_NS1_11comp_targetILNS1_3genE4ELNS1_11target_archE910ELNS1_3gpuE8ELNS1_3repE0EEENS1_38merge_mergepath_config_static_selectorELNS0_4arch9wavefront6targetE0EEEvSK_
	.globl	_ZN7rocprim17ROCPRIM_400000_NS6detail17trampoline_kernelINS0_14default_configENS1_38merge_sort_block_merge_config_selectorIyNS0_10empty_typeEEEZZNS1_27merge_sort_block_merge_implIS3_N6thrust23THRUST_200600_302600_NS6detail15normal_iteratorINS9_10device_ptrIyEEEEPS5_m11less_div_10IyEEE10hipError_tT0_T1_T2_jT3_P12ihipStream_tbPNSt15iterator_traitsISJ_E10value_typeEPNSP_ISK_E10value_typeEPSL_NS1_7vsmem_tEENKUlT_SJ_SK_SL_E_clISE_PySF_SF_EESI_SY_SJ_SK_SL_EUlSY_E0_NS1_11comp_targetILNS1_3genE4ELNS1_11target_archE910ELNS1_3gpuE8ELNS1_3repE0EEENS1_38merge_mergepath_config_static_selectorELNS0_4arch9wavefront6targetE0EEEvSK_
	.p2align	8
	.type	_ZN7rocprim17ROCPRIM_400000_NS6detail17trampoline_kernelINS0_14default_configENS1_38merge_sort_block_merge_config_selectorIyNS0_10empty_typeEEEZZNS1_27merge_sort_block_merge_implIS3_N6thrust23THRUST_200600_302600_NS6detail15normal_iteratorINS9_10device_ptrIyEEEEPS5_m11less_div_10IyEEE10hipError_tT0_T1_T2_jT3_P12ihipStream_tbPNSt15iterator_traitsISJ_E10value_typeEPNSP_ISK_E10value_typeEPSL_NS1_7vsmem_tEENKUlT_SJ_SK_SL_E_clISE_PySF_SF_EESI_SY_SJ_SK_SL_EUlSY_E0_NS1_11comp_targetILNS1_3genE4ELNS1_11target_archE910ELNS1_3gpuE8ELNS1_3repE0EEENS1_38merge_mergepath_config_static_selectorELNS0_4arch9wavefront6targetE0EEEvSK_,@function
_ZN7rocprim17ROCPRIM_400000_NS6detail17trampoline_kernelINS0_14default_configENS1_38merge_sort_block_merge_config_selectorIyNS0_10empty_typeEEEZZNS1_27merge_sort_block_merge_implIS3_N6thrust23THRUST_200600_302600_NS6detail15normal_iteratorINS9_10device_ptrIyEEEEPS5_m11less_div_10IyEEE10hipError_tT0_T1_T2_jT3_P12ihipStream_tbPNSt15iterator_traitsISJ_E10value_typeEPNSP_ISK_E10value_typeEPSL_NS1_7vsmem_tEENKUlT_SJ_SK_SL_E_clISE_PySF_SF_EESI_SY_SJ_SK_SL_EUlSY_E0_NS1_11comp_targetILNS1_3genE4ELNS1_11target_archE910ELNS1_3gpuE8ELNS1_3repE0EEENS1_38merge_mergepath_config_static_selectorELNS0_4arch9wavefront6targetE0EEEvSK_: ; @_ZN7rocprim17ROCPRIM_400000_NS6detail17trampoline_kernelINS0_14default_configENS1_38merge_sort_block_merge_config_selectorIyNS0_10empty_typeEEEZZNS1_27merge_sort_block_merge_implIS3_N6thrust23THRUST_200600_302600_NS6detail15normal_iteratorINS9_10device_ptrIyEEEEPS5_m11less_div_10IyEEE10hipError_tT0_T1_T2_jT3_P12ihipStream_tbPNSt15iterator_traitsISJ_E10value_typeEPNSP_ISK_E10value_typeEPSL_NS1_7vsmem_tEENKUlT_SJ_SK_SL_E_clISE_PySF_SF_EESI_SY_SJ_SK_SL_EUlSY_E0_NS1_11comp_targetILNS1_3genE4ELNS1_11target_archE910ELNS1_3gpuE8ELNS1_3repE0EEENS1_38merge_mergepath_config_static_selectorELNS0_4arch9wavefront6targetE0EEEvSK_
; %bb.0:
	.section	.rodata,"a",@progbits
	.p2align	6, 0x0
	.amdhsa_kernel _ZN7rocprim17ROCPRIM_400000_NS6detail17trampoline_kernelINS0_14default_configENS1_38merge_sort_block_merge_config_selectorIyNS0_10empty_typeEEEZZNS1_27merge_sort_block_merge_implIS3_N6thrust23THRUST_200600_302600_NS6detail15normal_iteratorINS9_10device_ptrIyEEEEPS5_m11less_div_10IyEEE10hipError_tT0_T1_T2_jT3_P12ihipStream_tbPNSt15iterator_traitsISJ_E10value_typeEPNSP_ISK_E10value_typeEPSL_NS1_7vsmem_tEENKUlT_SJ_SK_SL_E_clISE_PySF_SF_EESI_SY_SJ_SK_SL_EUlSY_E0_NS1_11comp_targetILNS1_3genE4ELNS1_11target_archE910ELNS1_3gpuE8ELNS1_3repE0EEENS1_38merge_mergepath_config_static_selectorELNS0_4arch9wavefront6targetE0EEEvSK_
		.amdhsa_group_segment_fixed_size 0
		.amdhsa_private_segment_fixed_size 0
		.amdhsa_kernarg_size 72
		.amdhsa_user_sgpr_count 6
		.amdhsa_user_sgpr_private_segment_buffer 1
		.amdhsa_user_sgpr_dispatch_ptr 0
		.amdhsa_user_sgpr_queue_ptr 0
		.amdhsa_user_sgpr_kernarg_segment_ptr 1
		.amdhsa_user_sgpr_dispatch_id 0
		.amdhsa_user_sgpr_flat_scratch_init 0
		.amdhsa_user_sgpr_private_segment_size 0
		.amdhsa_wavefront_size32 1
		.amdhsa_uses_dynamic_stack 0
		.amdhsa_system_sgpr_private_segment_wavefront_offset 0
		.amdhsa_system_sgpr_workgroup_id_x 1
		.amdhsa_system_sgpr_workgroup_id_y 0
		.amdhsa_system_sgpr_workgroup_id_z 0
		.amdhsa_system_sgpr_workgroup_info 0
		.amdhsa_system_vgpr_workitem_id 0
		.amdhsa_next_free_vgpr 1
		.amdhsa_next_free_sgpr 1
		.amdhsa_reserve_vcc 0
		.amdhsa_reserve_flat_scratch 0
		.amdhsa_float_round_mode_32 0
		.amdhsa_float_round_mode_16_64 0
		.amdhsa_float_denorm_mode_32 3
		.amdhsa_float_denorm_mode_16_64 3
		.amdhsa_dx10_clamp 1
		.amdhsa_ieee_mode 1
		.amdhsa_fp16_overflow 0
		.amdhsa_workgroup_processor_mode 1
		.amdhsa_memory_ordered 1
		.amdhsa_forward_progress 1
		.amdhsa_shared_vgpr_count 0
		.amdhsa_exception_fp_ieee_invalid_op 0
		.amdhsa_exception_fp_denorm_src 0
		.amdhsa_exception_fp_ieee_div_zero 0
		.amdhsa_exception_fp_ieee_overflow 0
		.amdhsa_exception_fp_ieee_underflow 0
		.amdhsa_exception_fp_ieee_inexact 0
		.amdhsa_exception_int_div_zero 0
	.end_amdhsa_kernel
	.section	.text._ZN7rocprim17ROCPRIM_400000_NS6detail17trampoline_kernelINS0_14default_configENS1_38merge_sort_block_merge_config_selectorIyNS0_10empty_typeEEEZZNS1_27merge_sort_block_merge_implIS3_N6thrust23THRUST_200600_302600_NS6detail15normal_iteratorINS9_10device_ptrIyEEEEPS5_m11less_div_10IyEEE10hipError_tT0_T1_T2_jT3_P12ihipStream_tbPNSt15iterator_traitsISJ_E10value_typeEPNSP_ISK_E10value_typeEPSL_NS1_7vsmem_tEENKUlT_SJ_SK_SL_E_clISE_PySF_SF_EESI_SY_SJ_SK_SL_EUlSY_E0_NS1_11comp_targetILNS1_3genE4ELNS1_11target_archE910ELNS1_3gpuE8ELNS1_3repE0EEENS1_38merge_mergepath_config_static_selectorELNS0_4arch9wavefront6targetE0EEEvSK_,"axG",@progbits,_ZN7rocprim17ROCPRIM_400000_NS6detail17trampoline_kernelINS0_14default_configENS1_38merge_sort_block_merge_config_selectorIyNS0_10empty_typeEEEZZNS1_27merge_sort_block_merge_implIS3_N6thrust23THRUST_200600_302600_NS6detail15normal_iteratorINS9_10device_ptrIyEEEEPS5_m11less_div_10IyEEE10hipError_tT0_T1_T2_jT3_P12ihipStream_tbPNSt15iterator_traitsISJ_E10value_typeEPNSP_ISK_E10value_typeEPSL_NS1_7vsmem_tEENKUlT_SJ_SK_SL_E_clISE_PySF_SF_EESI_SY_SJ_SK_SL_EUlSY_E0_NS1_11comp_targetILNS1_3genE4ELNS1_11target_archE910ELNS1_3gpuE8ELNS1_3repE0EEENS1_38merge_mergepath_config_static_selectorELNS0_4arch9wavefront6targetE0EEEvSK_,comdat
.Lfunc_end59:
	.size	_ZN7rocprim17ROCPRIM_400000_NS6detail17trampoline_kernelINS0_14default_configENS1_38merge_sort_block_merge_config_selectorIyNS0_10empty_typeEEEZZNS1_27merge_sort_block_merge_implIS3_N6thrust23THRUST_200600_302600_NS6detail15normal_iteratorINS9_10device_ptrIyEEEEPS5_m11less_div_10IyEEE10hipError_tT0_T1_T2_jT3_P12ihipStream_tbPNSt15iterator_traitsISJ_E10value_typeEPNSP_ISK_E10value_typeEPSL_NS1_7vsmem_tEENKUlT_SJ_SK_SL_E_clISE_PySF_SF_EESI_SY_SJ_SK_SL_EUlSY_E0_NS1_11comp_targetILNS1_3genE4ELNS1_11target_archE910ELNS1_3gpuE8ELNS1_3repE0EEENS1_38merge_mergepath_config_static_selectorELNS0_4arch9wavefront6targetE0EEEvSK_, .Lfunc_end59-_ZN7rocprim17ROCPRIM_400000_NS6detail17trampoline_kernelINS0_14default_configENS1_38merge_sort_block_merge_config_selectorIyNS0_10empty_typeEEEZZNS1_27merge_sort_block_merge_implIS3_N6thrust23THRUST_200600_302600_NS6detail15normal_iteratorINS9_10device_ptrIyEEEEPS5_m11less_div_10IyEEE10hipError_tT0_T1_T2_jT3_P12ihipStream_tbPNSt15iterator_traitsISJ_E10value_typeEPNSP_ISK_E10value_typeEPSL_NS1_7vsmem_tEENKUlT_SJ_SK_SL_E_clISE_PySF_SF_EESI_SY_SJ_SK_SL_EUlSY_E0_NS1_11comp_targetILNS1_3genE4ELNS1_11target_archE910ELNS1_3gpuE8ELNS1_3repE0EEENS1_38merge_mergepath_config_static_selectorELNS0_4arch9wavefront6targetE0EEEvSK_
                                        ; -- End function
	.set _ZN7rocprim17ROCPRIM_400000_NS6detail17trampoline_kernelINS0_14default_configENS1_38merge_sort_block_merge_config_selectorIyNS0_10empty_typeEEEZZNS1_27merge_sort_block_merge_implIS3_N6thrust23THRUST_200600_302600_NS6detail15normal_iteratorINS9_10device_ptrIyEEEEPS5_m11less_div_10IyEEE10hipError_tT0_T1_T2_jT3_P12ihipStream_tbPNSt15iterator_traitsISJ_E10value_typeEPNSP_ISK_E10value_typeEPSL_NS1_7vsmem_tEENKUlT_SJ_SK_SL_E_clISE_PySF_SF_EESI_SY_SJ_SK_SL_EUlSY_E0_NS1_11comp_targetILNS1_3genE4ELNS1_11target_archE910ELNS1_3gpuE8ELNS1_3repE0EEENS1_38merge_mergepath_config_static_selectorELNS0_4arch9wavefront6targetE0EEEvSK_.num_vgpr, 0
	.set _ZN7rocprim17ROCPRIM_400000_NS6detail17trampoline_kernelINS0_14default_configENS1_38merge_sort_block_merge_config_selectorIyNS0_10empty_typeEEEZZNS1_27merge_sort_block_merge_implIS3_N6thrust23THRUST_200600_302600_NS6detail15normal_iteratorINS9_10device_ptrIyEEEEPS5_m11less_div_10IyEEE10hipError_tT0_T1_T2_jT3_P12ihipStream_tbPNSt15iterator_traitsISJ_E10value_typeEPNSP_ISK_E10value_typeEPSL_NS1_7vsmem_tEENKUlT_SJ_SK_SL_E_clISE_PySF_SF_EESI_SY_SJ_SK_SL_EUlSY_E0_NS1_11comp_targetILNS1_3genE4ELNS1_11target_archE910ELNS1_3gpuE8ELNS1_3repE0EEENS1_38merge_mergepath_config_static_selectorELNS0_4arch9wavefront6targetE0EEEvSK_.num_agpr, 0
	.set _ZN7rocprim17ROCPRIM_400000_NS6detail17trampoline_kernelINS0_14default_configENS1_38merge_sort_block_merge_config_selectorIyNS0_10empty_typeEEEZZNS1_27merge_sort_block_merge_implIS3_N6thrust23THRUST_200600_302600_NS6detail15normal_iteratorINS9_10device_ptrIyEEEEPS5_m11less_div_10IyEEE10hipError_tT0_T1_T2_jT3_P12ihipStream_tbPNSt15iterator_traitsISJ_E10value_typeEPNSP_ISK_E10value_typeEPSL_NS1_7vsmem_tEENKUlT_SJ_SK_SL_E_clISE_PySF_SF_EESI_SY_SJ_SK_SL_EUlSY_E0_NS1_11comp_targetILNS1_3genE4ELNS1_11target_archE910ELNS1_3gpuE8ELNS1_3repE0EEENS1_38merge_mergepath_config_static_selectorELNS0_4arch9wavefront6targetE0EEEvSK_.numbered_sgpr, 0
	.set _ZN7rocprim17ROCPRIM_400000_NS6detail17trampoline_kernelINS0_14default_configENS1_38merge_sort_block_merge_config_selectorIyNS0_10empty_typeEEEZZNS1_27merge_sort_block_merge_implIS3_N6thrust23THRUST_200600_302600_NS6detail15normal_iteratorINS9_10device_ptrIyEEEEPS5_m11less_div_10IyEEE10hipError_tT0_T1_T2_jT3_P12ihipStream_tbPNSt15iterator_traitsISJ_E10value_typeEPNSP_ISK_E10value_typeEPSL_NS1_7vsmem_tEENKUlT_SJ_SK_SL_E_clISE_PySF_SF_EESI_SY_SJ_SK_SL_EUlSY_E0_NS1_11comp_targetILNS1_3genE4ELNS1_11target_archE910ELNS1_3gpuE8ELNS1_3repE0EEENS1_38merge_mergepath_config_static_selectorELNS0_4arch9wavefront6targetE0EEEvSK_.num_named_barrier, 0
	.set _ZN7rocprim17ROCPRIM_400000_NS6detail17trampoline_kernelINS0_14default_configENS1_38merge_sort_block_merge_config_selectorIyNS0_10empty_typeEEEZZNS1_27merge_sort_block_merge_implIS3_N6thrust23THRUST_200600_302600_NS6detail15normal_iteratorINS9_10device_ptrIyEEEEPS5_m11less_div_10IyEEE10hipError_tT0_T1_T2_jT3_P12ihipStream_tbPNSt15iterator_traitsISJ_E10value_typeEPNSP_ISK_E10value_typeEPSL_NS1_7vsmem_tEENKUlT_SJ_SK_SL_E_clISE_PySF_SF_EESI_SY_SJ_SK_SL_EUlSY_E0_NS1_11comp_targetILNS1_3genE4ELNS1_11target_archE910ELNS1_3gpuE8ELNS1_3repE0EEENS1_38merge_mergepath_config_static_selectorELNS0_4arch9wavefront6targetE0EEEvSK_.private_seg_size, 0
	.set _ZN7rocprim17ROCPRIM_400000_NS6detail17trampoline_kernelINS0_14default_configENS1_38merge_sort_block_merge_config_selectorIyNS0_10empty_typeEEEZZNS1_27merge_sort_block_merge_implIS3_N6thrust23THRUST_200600_302600_NS6detail15normal_iteratorINS9_10device_ptrIyEEEEPS5_m11less_div_10IyEEE10hipError_tT0_T1_T2_jT3_P12ihipStream_tbPNSt15iterator_traitsISJ_E10value_typeEPNSP_ISK_E10value_typeEPSL_NS1_7vsmem_tEENKUlT_SJ_SK_SL_E_clISE_PySF_SF_EESI_SY_SJ_SK_SL_EUlSY_E0_NS1_11comp_targetILNS1_3genE4ELNS1_11target_archE910ELNS1_3gpuE8ELNS1_3repE0EEENS1_38merge_mergepath_config_static_selectorELNS0_4arch9wavefront6targetE0EEEvSK_.uses_vcc, 0
	.set _ZN7rocprim17ROCPRIM_400000_NS6detail17trampoline_kernelINS0_14default_configENS1_38merge_sort_block_merge_config_selectorIyNS0_10empty_typeEEEZZNS1_27merge_sort_block_merge_implIS3_N6thrust23THRUST_200600_302600_NS6detail15normal_iteratorINS9_10device_ptrIyEEEEPS5_m11less_div_10IyEEE10hipError_tT0_T1_T2_jT3_P12ihipStream_tbPNSt15iterator_traitsISJ_E10value_typeEPNSP_ISK_E10value_typeEPSL_NS1_7vsmem_tEENKUlT_SJ_SK_SL_E_clISE_PySF_SF_EESI_SY_SJ_SK_SL_EUlSY_E0_NS1_11comp_targetILNS1_3genE4ELNS1_11target_archE910ELNS1_3gpuE8ELNS1_3repE0EEENS1_38merge_mergepath_config_static_selectorELNS0_4arch9wavefront6targetE0EEEvSK_.uses_flat_scratch, 0
	.set _ZN7rocprim17ROCPRIM_400000_NS6detail17trampoline_kernelINS0_14default_configENS1_38merge_sort_block_merge_config_selectorIyNS0_10empty_typeEEEZZNS1_27merge_sort_block_merge_implIS3_N6thrust23THRUST_200600_302600_NS6detail15normal_iteratorINS9_10device_ptrIyEEEEPS5_m11less_div_10IyEEE10hipError_tT0_T1_T2_jT3_P12ihipStream_tbPNSt15iterator_traitsISJ_E10value_typeEPNSP_ISK_E10value_typeEPSL_NS1_7vsmem_tEENKUlT_SJ_SK_SL_E_clISE_PySF_SF_EESI_SY_SJ_SK_SL_EUlSY_E0_NS1_11comp_targetILNS1_3genE4ELNS1_11target_archE910ELNS1_3gpuE8ELNS1_3repE0EEENS1_38merge_mergepath_config_static_selectorELNS0_4arch9wavefront6targetE0EEEvSK_.has_dyn_sized_stack, 0
	.set _ZN7rocprim17ROCPRIM_400000_NS6detail17trampoline_kernelINS0_14default_configENS1_38merge_sort_block_merge_config_selectorIyNS0_10empty_typeEEEZZNS1_27merge_sort_block_merge_implIS3_N6thrust23THRUST_200600_302600_NS6detail15normal_iteratorINS9_10device_ptrIyEEEEPS5_m11less_div_10IyEEE10hipError_tT0_T1_T2_jT3_P12ihipStream_tbPNSt15iterator_traitsISJ_E10value_typeEPNSP_ISK_E10value_typeEPSL_NS1_7vsmem_tEENKUlT_SJ_SK_SL_E_clISE_PySF_SF_EESI_SY_SJ_SK_SL_EUlSY_E0_NS1_11comp_targetILNS1_3genE4ELNS1_11target_archE910ELNS1_3gpuE8ELNS1_3repE0EEENS1_38merge_mergepath_config_static_selectorELNS0_4arch9wavefront6targetE0EEEvSK_.has_recursion, 0
	.set _ZN7rocprim17ROCPRIM_400000_NS6detail17trampoline_kernelINS0_14default_configENS1_38merge_sort_block_merge_config_selectorIyNS0_10empty_typeEEEZZNS1_27merge_sort_block_merge_implIS3_N6thrust23THRUST_200600_302600_NS6detail15normal_iteratorINS9_10device_ptrIyEEEEPS5_m11less_div_10IyEEE10hipError_tT0_T1_T2_jT3_P12ihipStream_tbPNSt15iterator_traitsISJ_E10value_typeEPNSP_ISK_E10value_typeEPSL_NS1_7vsmem_tEENKUlT_SJ_SK_SL_E_clISE_PySF_SF_EESI_SY_SJ_SK_SL_EUlSY_E0_NS1_11comp_targetILNS1_3genE4ELNS1_11target_archE910ELNS1_3gpuE8ELNS1_3repE0EEENS1_38merge_mergepath_config_static_selectorELNS0_4arch9wavefront6targetE0EEEvSK_.has_indirect_call, 0
	.section	.AMDGPU.csdata,"",@progbits
; Kernel info:
; codeLenInByte = 0
; TotalNumSgprs: 0
; NumVgprs: 0
; ScratchSize: 0
; MemoryBound: 0
; FloatMode: 240
; IeeeMode: 1
; LDSByteSize: 0 bytes/workgroup (compile time only)
; SGPRBlocks: 0
; VGPRBlocks: 0
; NumSGPRsForWavesPerEU: 1
; NumVGPRsForWavesPerEU: 1
; Occupancy: 16
; WaveLimiterHint : 0
; COMPUTE_PGM_RSRC2:SCRATCH_EN: 0
; COMPUTE_PGM_RSRC2:USER_SGPR: 6
; COMPUTE_PGM_RSRC2:TRAP_HANDLER: 0
; COMPUTE_PGM_RSRC2:TGID_X_EN: 1
; COMPUTE_PGM_RSRC2:TGID_Y_EN: 0
; COMPUTE_PGM_RSRC2:TGID_Z_EN: 0
; COMPUTE_PGM_RSRC2:TIDIG_COMP_CNT: 0
	.section	.text._ZN7rocprim17ROCPRIM_400000_NS6detail17trampoline_kernelINS0_14default_configENS1_38merge_sort_block_merge_config_selectorIyNS0_10empty_typeEEEZZNS1_27merge_sort_block_merge_implIS3_N6thrust23THRUST_200600_302600_NS6detail15normal_iteratorINS9_10device_ptrIyEEEEPS5_m11less_div_10IyEEE10hipError_tT0_T1_T2_jT3_P12ihipStream_tbPNSt15iterator_traitsISJ_E10value_typeEPNSP_ISK_E10value_typeEPSL_NS1_7vsmem_tEENKUlT_SJ_SK_SL_E_clISE_PySF_SF_EESI_SY_SJ_SK_SL_EUlSY_E0_NS1_11comp_targetILNS1_3genE3ELNS1_11target_archE908ELNS1_3gpuE7ELNS1_3repE0EEENS1_38merge_mergepath_config_static_selectorELNS0_4arch9wavefront6targetE0EEEvSK_,"axG",@progbits,_ZN7rocprim17ROCPRIM_400000_NS6detail17trampoline_kernelINS0_14default_configENS1_38merge_sort_block_merge_config_selectorIyNS0_10empty_typeEEEZZNS1_27merge_sort_block_merge_implIS3_N6thrust23THRUST_200600_302600_NS6detail15normal_iteratorINS9_10device_ptrIyEEEEPS5_m11less_div_10IyEEE10hipError_tT0_T1_T2_jT3_P12ihipStream_tbPNSt15iterator_traitsISJ_E10value_typeEPNSP_ISK_E10value_typeEPSL_NS1_7vsmem_tEENKUlT_SJ_SK_SL_E_clISE_PySF_SF_EESI_SY_SJ_SK_SL_EUlSY_E0_NS1_11comp_targetILNS1_3genE3ELNS1_11target_archE908ELNS1_3gpuE7ELNS1_3repE0EEENS1_38merge_mergepath_config_static_selectorELNS0_4arch9wavefront6targetE0EEEvSK_,comdat
	.protected	_ZN7rocprim17ROCPRIM_400000_NS6detail17trampoline_kernelINS0_14default_configENS1_38merge_sort_block_merge_config_selectorIyNS0_10empty_typeEEEZZNS1_27merge_sort_block_merge_implIS3_N6thrust23THRUST_200600_302600_NS6detail15normal_iteratorINS9_10device_ptrIyEEEEPS5_m11less_div_10IyEEE10hipError_tT0_T1_T2_jT3_P12ihipStream_tbPNSt15iterator_traitsISJ_E10value_typeEPNSP_ISK_E10value_typeEPSL_NS1_7vsmem_tEENKUlT_SJ_SK_SL_E_clISE_PySF_SF_EESI_SY_SJ_SK_SL_EUlSY_E0_NS1_11comp_targetILNS1_3genE3ELNS1_11target_archE908ELNS1_3gpuE7ELNS1_3repE0EEENS1_38merge_mergepath_config_static_selectorELNS0_4arch9wavefront6targetE0EEEvSK_ ; -- Begin function _ZN7rocprim17ROCPRIM_400000_NS6detail17trampoline_kernelINS0_14default_configENS1_38merge_sort_block_merge_config_selectorIyNS0_10empty_typeEEEZZNS1_27merge_sort_block_merge_implIS3_N6thrust23THRUST_200600_302600_NS6detail15normal_iteratorINS9_10device_ptrIyEEEEPS5_m11less_div_10IyEEE10hipError_tT0_T1_T2_jT3_P12ihipStream_tbPNSt15iterator_traitsISJ_E10value_typeEPNSP_ISK_E10value_typeEPSL_NS1_7vsmem_tEENKUlT_SJ_SK_SL_E_clISE_PySF_SF_EESI_SY_SJ_SK_SL_EUlSY_E0_NS1_11comp_targetILNS1_3genE3ELNS1_11target_archE908ELNS1_3gpuE7ELNS1_3repE0EEENS1_38merge_mergepath_config_static_selectorELNS0_4arch9wavefront6targetE0EEEvSK_
	.globl	_ZN7rocprim17ROCPRIM_400000_NS6detail17trampoline_kernelINS0_14default_configENS1_38merge_sort_block_merge_config_selectorIyNS0_10empty_typeEEEZZNS1_27merge_sort_block_merge_implIS3_N6thrust23THRUST_200600_302600_NS6detail15normal_iteratorINS9_10device_ptrIyEEEEPS5_m11less_div_10IyEEE10hipError_tT0_T1_T2_jT3_P12ihipStream_tbPNSt15iterator_traitsISJ_E10value_typeEPNSP_ISK_E10value_typeEPSL_NS1_7vsmem_tEENKUlT_SJ_SK_SL_E_clISE_PySF_SF_EESI_SY_SJ_SK_SL_EUlSY_E0_NS1_11comp_targetILNS1_3genE3ELNS1_11target_archE908ELNS1_3gpuE7ELNS1_3repE0EEENS1_38merge_mergepath_config_static_selectorELNS0_4arch9wavefront6targetE0EEEvSK_
	.p2align	8
	.type	_ZN7rocprim17ROCPRIM_400000_NS6detail17trampoline_kernelINS0_14default_configENS1_38merge_sort_block_merge_config_selectorIyNS0_10empty_typeEEEZZNS1_27merge_sort_block_merge_implIS3_N6thrust23THRUST_200600_302600_NS6detail15normal_iteratorINS9_10device_ptrIyEEEEPS5_m11less_div_10IyEEE10hipError_tT0_T1_T2_jT3_P12ihipStream_tbPNSt15iterator_traitsISJ_E10value_typeEPNSP_ISK_E10value_typeEPSL_NS1_7vsmem_tEENKUlT_SJ_SK_SL_E_clISE_PySF_SF_EESI_SY_SJ_SK_SL_EUlSY_E0_NS1_11comp_targetILNS1_3genE3ELNS1_11target_archE908ELNS1_3gpuE7ELNS1_3repE0EEENS1_38merge_mergepath_config_static_selectorELNS0_4arch9wavefront6targetE0EEEvSK_,@function
_ZN7rocprim17ROCPRIM_400000_NS6detail17trampoline_kernelINS0_14default_configENS1_38merge_sort_block_merge_config_selectorIyNS0_10empty_typeEEEZZNS1_27merge_sort_block_merge_implIS3_N6thrust23THRUST_200600_302600_NS6detail15normal_iteratorINS9_10device_ptrIyEEEEPS5_m11less_div_10IyEEE10hipError_tT0_T1_T2_jT3_P12ihipStream_tbPNSt15iterator_traitsISJ_E10value_typeEPNSP_ISK_E10value_typeEPSL_NS1_7vsmem_tEENKUlT_SJ_SK_SL_E_clISE_PySF_SF_EESI_SY_SJ_SK_SL_EUlSY_E0_NS1_11comp_targetILNS1_3genE3ELNS1_11target_archE908ELNS1_3gpuE7ELNS1_3repE0EEENS1_38merge_mergepath_config_static_selectorELNS0_4arch9wavefront6targetE0EEEvSK_: ; @_ZN7rocprim17ROCPRIM_400000_NS6detail17trampoline_kernelINS0_14default_configENS1_38merge_sort_block_merge_config_selectorIyNS0_10empty_typeEEEZZNS1_27merge_sort_block_merge_implIS3_N6thrust23THRUST_200600_302600_NS6detail15normal_iteratorINS9_10device_ptrIyEEEEPS5_m11less_div_10IyEEE10hipError_tT0_T1_T2_jT3_P12ihipStream_tbPNSt15iterator_traitsISJ_E10value_typeEPNSP_ISK_E10value_typeEPSL_NS1_7vsmem_tEENKUlT_SJ_SK_SL_E_clISE_PySF_SF_EESI_SY_SJ_SK_SL_EUlSY_E0_NS1_11comp_targetILNS1_3genE3ELNS1_11target_archE908ELNS1_3gpuE7ELNS1_3repE0EEENS1_38merge_mergepath_config_static_selectorELNS0_4arch9wavefront6targetE0EEEvSK_
; %bb.0:
	.section	.rodata,"a",@progbits
	.p2align	6, 0x0
	.amdhsa_kernel _ZN7rocprim17ROCPRIM_400000_NS6detail17trampoline_kernelINS0_14default_configENS1_38merge_sort_block_merge_config_selectorIyNS0_10empty_typeEEEZZNS1_27merge_sort_block_merge_implIS3_N6thrust23THRUST_200600_302600_NS6detail15normal_iteratorINS9_10device_ptrIyEEEEPS5_m11less_div_10IyEEE10hipError_tT0_T1_T2_jT3_P12ihipStream_tbPNSt15iterator_traitsISJ_E10value_typeEPNSP_ISK_E10value_typeEPSL_NS1_7vsmem_tEENKUlT_SJ_SK_SL_E_clISE_PySF_SF_EESI_SY_SJ_SK_SL_EUlSY_E0_NS1_11comp_targetILNS1_3genE3ELNS1_11target_archE908ELNS1_3gpuE7ELNS1_3repE0EEENS1_38merge_mergepath_config_static_selectorELNS0_4arch9wavefront6targetE0EEEvSK_
		.amdhsa_group_segment_fixed_size 0
		.amdhsa_private_segment_fixed_size 0
		.amdhsa_kernarg_size 72
		.amdhsa_user_sgpr_count 6
		.amdhsa_user_sgpr_private_segment_buffer 1
		.amdhsa_user_sgpr_dispatch_ptr 0
		.amdhsa_user_sgpr_queue_ptr 0
		.amdhsa_user_sgpr_kernarg_segment_ptr 1
		.amdhsa_user_sgpr_dispatch_id 0
		.amdhsa_user_sgpr_flat_scratch_init 0
		.amdhsa_user_sgpr_private_segment_size 0
		.amdhsa_wavefront_size32 1
		.amdhsa_uses_dynamic_stack 0
		.amdhsa_system_sgpr_private_segment_wavefront_offset 0
		.amdhsa_system_sgpr_workgroup_id_x 1
		.amdhsa_system_sgpr_workgroup_id_y 0
		.amdhsa_system_sgpr_workgroup_id_z 0
		.amdhsa_system_sgpr_workgroup_info 0
		.amdhsa_system_vgpr_workitem_id 0
		.amdhsa_next_free_vgpr 1
		.amdhsa_next_free_sgpr 1
		.amdhsa_reserve_vcc 0
		.amdhsa_reserve_flat_scratch 0
		.amdhsa_float_round_mode_32 0
		.amdhsa_float_round_mode_16_64 0
		.amdhsa_float_denorm_mode_32 3
		.amdhsa_float_denorm_mode_16_64 3
		.amdhsa_dx10_clamp 1
		.amdhsa_ieee_mode 1
		.amdhsa_fp16_overflow 0
		.amdhsa_workgroup_processor_mode 1
		.amdhsa_memory_ordered 1
		.amdhsa_forward_progress 1
		.amdhsa_shared_vgpr_count 0
		.amdhsa_exception_fp_ieee_invalid_op 0
		.amdhsa_exception_fp_denorm_src 0
		.amdhsa_exception_fp_ieee_div_zero 0
		.amdhsa_exception_fp_ieee_overflow 0
		.amdhsa_exception_fp_ieee_underflow 0
		.amdhsa_exception_fp_ieee_inexact 0
		.amdhsa_exception_int_div_zero 0
	.end_amdhsa_kernel
	.section	.text._ZN7rocprim17ROCPRIM_400000_NS6detail17trampoline_kernelINS0_14default_configENS1_38merge_sort_block_merge_config_selectorIyNS0_10empty_typeEEEZZNS1_27merge_sort_block_merge_implIS3_N6thrust23THRUST_200600_302600_NS6detail15normal_iteratorINS9_10device_ptrIyEEEEPS5_m11less_div_10IyEEE10hipError_tT0_T1_T2_jT3_P12ihipStream_tbPNSt15iterator_traitsISJ_E10value_typeEPNSP_ISK_E10value_typeEPSL_NS1_7vsmem_tEENKUlT_SJ_SK_SL_E_clISE_PySF_SF_EESI_SY_SJ_SK_SL_EUlSY_E0_NS1_11comp_targetILNS1_3genE3ELNS1_11target_archE908ELNS1_3gpuE7ELNS1_3repE0EEENS1_38merge_mergepath_config_static_selectorELNS0_4arch9wavefront6targetE0EEEvSK_,"axG",@progbits,_ZN7rocprim17ROCPRIM_400000_NS6detail17trampoline_kernelINS0_14default_configENS1_38merge_sort_block_merge_config_selectorIyNS0_10empty_typeEEEZZNS1_27merge_sort_block_merge_implIS3_N6thrust23THRUST_200600_302600_NS6detail15normal_iteratorINS9_10device_ptrIyEEEEPS5_m11less_div_10IyEEE10hipError_tT0_T1_T2_jT3_P12ihipStream_tbPNSt15iterator_traitsISJ_E10value_typeEPNSP_ISK_E10value_typeEPSL_NS1_7vsmem_tEENKUlT_SJ_SK_SL_E_clISE_PySF_SF_EESI_SY_SJ_SK_SL_EUlSY_E0_NS1_11comp_targetILNS1_3genE3ELNS1_11target_archE908ELNS1_3gpuE7ELNS1_3repE0EEENS1_38merge_mergepath_config_static_selectorELNS0_4arch9wavefront6targetE0EEEvSK_,comdat
.Lfunc_end60:
	.size	_ZN7rocprim17ROCPRIM_400000_NS6detail17trampoline_kernelINS0_14default_configENS1_38merge_sort_block_merge_config_selectorIyNS0_10empty_typeEEEZZNS1_27merge_sort_block_merge_implIS3_N6thrust23THRUST_200600_302600_NS6detail15normal_iteratorINS9_10device_ptrIyEEEEPS5_m11less_div_10IyEEE10hipError_tT0_T1_T2_jT3_P12ihipStream_tbPNSt15iterator_traitsISJ_E10value_typeEPNSP_ISK_E10value_typeEPSL_NS1_7vsmem_tEENKUlT_SJ_SK_SL_E_clISE_PySF_SF_EESI_SY_SJ_SK_SL_EUlSY_E0_NS1_11comp_targetILNS1_3genE3ELNS1_11target_archE908ELNS1_3gpuE7ELNS1_3repE0EEENS1_38merge_mergepath_config_static_selectorELNS0_4arch9wavefront6targetE0EEEvSK_, .Lfunc_end60-_ZN7rocprim17ROCPRIM_400000_NS6detail17trampoline_kernelINS0_14default_configENS1_38merge_sort_block_merge_config_selectorIyNS0_10empty_typeEEEZZNS1_27merge_sort_block_merge_implIS3_N6thrust23THRUST_200600_302600_NS6detail15normal_iteratorINS9_10device_ptrIyEEEEPS5_m11less_div_10IyEEE10hipError_tT0_T1_T2_jT3_P12ihipStream_tbPNSt15iterator_traitsISJ_E10value_typeEPNSP_ISK_E10value_typeEPSL_NS1_7vsmem_tEENKUlT_SJ_SK_SL_E_clISE_PySF_SF_EESI_SY_SJ_SK_SL_EUlSY_E0_NS1_11comp_targetILNS1_3genE3ELNS1_11target_archE908ELNS1_3gpuE7ELNS1_3repE0EEENS1_38merge_mergepath_config_static_selectorELNS0_4arch9wavefront6targetE0EEEvSK_
                                        ; -- End function
	.set _ZN7rocprim17ROCPRIM_400000_NS6detail17trampoline_kernelINS0_14default_configENS1_38merge_sort_block_merge_config_selectorIyNS0_10empty_typeEEEZZNS1_27merge_sort_block_merge_implIS3_N6thrust23THRUST_200600_302600_NS6detail15normal_iteratorINS9_10device_ptrIyEEEEPS5_m11less_div_10IyEEE10hipError_tT0_T1_T2_jT3_P12ihipStream_tbPNSt15iterator_traitsISJ_E10value_typeEPNSP_ISK_E10value_typeEPSL_NS1_7vsmem_tEENKUlT_SJ_SK_SL_E_clISE_PySF_SF_EESI_SY_SJ_SK_SL_EUlSY_E0_NS1_11comp_targetILNS1_3genE3ELNS1_11target_archE908ELNS1_3gpuE7ELNS1_3repE0EEENS1_38merge_mergepath_config_static_selectorELNS0_4arch9wavefront6targetE0EEEvSK_.num_vgpr, 0
	.set _ZN7rocprim17ROCPRIM_400000_NS6detail17trampoline_kernelINS0_14default_configENS1_38merge_sort_block_merge_config_selectorIyNS0_10empty_typeEEEZZNS1_27merge_sort_block_merge_implIS3_N6thrust23THRUST_200600_302600_NS6detail15normal_iteratorINS9_10device_ptrIyEEEEPS5_m11less_div_10IyEEE10hipError_tT0_T1_T2_jT3_P12ihipStream_tbPNSt15iterator_traitsISJ_E10value_typeEPNSP_ISK_E10value_typeEPSL_NS1_7vsmem_tEENKUlT_SJ_SK_SL_E_clISE_PySF_SF_EESI_SY_SJ_SK_SL_EUlSY_E0_NS1_11comp_targetILNS1_3genE3ELNS1_11target_archE908ELNS1_3gpuE7ELNS1_3repE0EEENS1_38merge_mergepath_config_static_selectorELNS0_4arch9wavefront6targetE0EEEvSK_.num_agpr, 0
	.set _ZN7rocprim17ROCPRIM_400000_NS6detail17trampoline_kernelINS0_14default_configENS1_38merge_sort_block_merge_config_selectorIyNS0_10empty_typeEEEZZNS1_27merge_sort_block_merge_implIS3_N6thrust23THRUST_200600_302600_NS6detail15normal_iteratorINS9_10device_ptrIyEEEEPS5_m11less_div_10IyEEE10hipError_tT0_T1_T2_jT3_P12ihipStream_tbPNSt15iterator_traitsISJ_E10value_typeEPNSP_ISK_E10value_typeEPSL_NS1_7vsmem_tEENKUlT_SJ_SK_SL_E_clISE_PySF_SF_EESI_SY_SJ_SK_SL_EUlSY_E0_NS1_11comp_targetILNS1_3genE3ELNS1_11target_archE908ELNS1_3gpuE7ELNS1_3repE0EEENS1_38merge_mergepath_config_static_selectorELNS0_4arch9wavefront6targetE0EEEvSK_.numbered_sgpr, 0
	.set _ZN7rocprim17ROCPRIM_400000_NS6detail17trampoline_kernelINS0_14default_configENS1_38merge_sort_block_merge_config_selectorIyNS0_10empty_typeEEEZZNS1_27merge_sort_block_merge_implIS3_N6thrust23THRUST_200600_302600_NS6detail15normal_iteratorINS9_10device_ptrIyEEEEPS5_m11less_div_10IyEEE10hipError_tT0_T1_T2_jT3_P12ihipStream_tbPNSt15iterator_traitsISJ_E10value_typeEPNSP_ISK_E10value_typeEPSL_NS1_7vsmem_tEENKUlT_SJ_SK_SL_E_clISE_PySF_SF_EESI_SY_SJ_SK_SL_EUlSY_E0_NS1_11comp_targetILNS1_3genE3ELNS1_11target_archE908ELNS1_3gpuE7ELNS1_3repE0EEENS1_38merge_mergepath_config_static_selectorELNS0_4arch9wavefront6targetE0EEEvSK_.num_named_barrier, 0
	.set _ZN7rocprim17ROCPRIM_400000_NS6detail17trampoline_kernelINS0_14default_configENS1_38merge_sort_block_merge_config_selectorIyNS0_10empty_typeEEEZZNS1_27merge_sort_block_merge_implIS3_N6thrust23THRUST_200600_302600_NS6detail15normal_iteratorINS9_10device_ptrIyEEEEPS5_m11less_div_10IyEEE10hipError_tT0_T1_T2_jT3_P12ihipStream_tbPNSt15iterator_traitsISJ_E10value_typeEPNSP_ISK_E10value_typeEPSL_NS1_7vsmem_tEENKUlT_SJ_SK_SL_E_clISE_PySF_SF_EESI_SY_SJ_SK_SL_EUlSY_E0_NS1_11comp_targetILNS1_3genE3ELNS1_11target_archE908ELNS1_3gpuE7ELNS1_3repE0EEENS1_38merge_mergepath_config_static_selectorELNS0_4arch9wavefront6targetE0EEEvSK_.private_seg_size, 0
	.set _ZN7rocprim17ROCPRIM_400000_NS6detail17trampoline_kernelINS0_14default_configENS1_38merge_sort_block_merge_config_selectorIyNS0_10empty_typeEEEZZNS1_27merge_sort_block_merge_implIS3_N6thrust23THRUST_200600_302600_NS6detail15normal_iteratorINS9_10device_ptrIyEEEEPS5_m11less_div_10IyEEE10hipError_tT0_T1_T2_jT3_P12ihipStream_tbPNSt15iterator_traitsISJ_E10value_typeEPNSP_ISK_E10value_typeEPSL_NS1_7vsmem_tEENKUlT_SJ_SK_SL_E_clISE_PySF_SF_EESI_SY_SJ_SK_SL_EUlSY_E0_NS1_11comp_targetILNS1_3genE3ELNS1_11target_archE908ELNS1_3gpuE7ELNS1_3repE0EEENS1_38merge_mergepath_config_static_selectorELNS0_4arch9wavefront6targetE0EEEvSK_.uses_vcc, 0
	.set _ZN7rocprim17ROCPRIM_400000_NS6detail17trampoline_kernelINS0_14default_configENS1_38merge_sort_block_merge_config_selectorIyNS0_10empty_typeEEEZZNS1_27merge_sort_block_merge_implIS3_N6thrust23THRUST_200600_302600_NS6detail15normal_iteratorINS9_10device_ptrIyEEEEPS5_m11less_div_10IyEEE10hipError_tT0_T1_T2_jT3_P12ihipStream_tbPNSt15iterator_traitsISJ_E10value_typeEPNSP_ISK_E10value_typeEPSL_NS1_7vsmem_tEENKUlT_SJ_SK_SL_E_clISE_PySF_SF_EESI_SY_SJ_SK_SL_EUlSY_E0_NS1_11comp_targetILNS1_3genE3ELNS1_11target_archE908ELNS1_3gpuE7ELNS1_3repE0EEENS1_38merge_mergepath_config_static_selectorELNS0_4arch9wavefront6targetE0EEEvSK_.uses_flat_scratch, 0
	.set _ZN7rocprim17ROCPRIM_400000_NS6detail17trampoline_kernelINS0_14default_configENS1_38merge_sort_block_merge_config_selectorIyNS0_10empty_typeEEEZZNS1_27merge_sort_block_merge_implIS3_N6thrust23THRUST_200600_302600_NS6detail15normal_iteratorINS9_10device_ptrIyEEEEPS5_m11less_div_10IyEEE10hipError_tT0_T1_T2_jT3_P12ihipStream_tbPNSt15iterator_traitsISJ_E10value_typeEPNSP_ISK_E10value_typeEPSL_NS1_7vsmem_tEENKUlT_SJ_SK_SL_E_clISE_PySF_SF_EESI_SY_SJ_SK_SL_EUlSY_E0_NS1_11comp_targetILNS1_3genE3ELNS1_11target_archE908ELNS1_3gpuE7ELNS1_3repE0EEENS1_38merge_mergepath_config_static_selectorELNS0_4arch9wavefront6targetE0EEEvSK_.has_dyn_sized_stack, 0
	.set _ZN7rocprim17ROCPRIM_400000_NS6detail17trampoline_kernelINS0_14default_configENS1_38merge_sort_block_merge_config_selectorIyNS0_10empty_typeEEEZZNS1_27merge_sort_block_merge_implIS3_N6thrust23THRUST_200600_302600_NS6detail15normal_iteratorINS9_10device_ptrIyEEEEPS5_m11less_div_10IyEEE10hipError_tT0_T1_T2_jT3_P12ihipStream_tbPNSt15iterator_traitsISJ_E10value_typeEPNSP_ISK_E10value_typeEPSL_NS1_7vsmem_tEENKUlT_SJ_SK_SL_E_clISE_PySF_SF_EESI_SY_SJ_SK_SL_EUlSY_E0_NS1_11comp_targetILNS1_3genE3ELNS1_11target_archE908ELNS1_3gpuE7ELNS1_3repE0EEENS1_38merge_mergepath_config_static_selectorELNS0_4arch9wavefront6targetE0EEEvSK_.has_recursion, 0
	.set _ZN7rocprim17ROCPRIM_400000_NS6detail17trampoline_kernelINS0_14default_configENS1_38merge_sort_block_merge_config_selectorIyNS0_10empty_typeEEEZZNS1_27merge_sort_block_merge_implIS3_N6thrust23THRUST_200600_302600_NS6detail15normal_iteratorINS9_10device_ptrIyEEEEPS5_m11less_div_10IyEEE10hipError_tT0_T1_T2_jT3_P12ihipStream_tbPNSt15iterator_traitsISJ_E10value_typeEPNSP_ISK_E10value_typeEPSL_NS1_7vsmem_tEENKUlT_SJ_SK_SL_E_clISE_PySF_SF_EESI_SY_SJ_SK_SL_EUlSY_E0_NS1_11comp_targetILNS1_3genE3ELNS1_11target_archE908ELNS1_3gpuE7ELNS1_3repE0EEENS1_38merge_mergepath_config_static_selectorELNS0_4arch9wavefront6targetE0EEEvSK_.has_indirect_call, 0
	.section	.AMDGPU.csdata,"",@progbits
; Kernel info:
; codeLenInByte = 0
; TotalNumSgprs: 0
; NumVgprs: 0
; ScratchSize: 0
; MemoryBound: 0
; FloatMode: 240
; IeeeMode: 1
; LDSByteSize: 0 bytes/workgroup (compile time only)
; SGPRBlocks: 0
; VGPRBlocks: 0
; NumSGPRsForWavesPerEU: 1
; NumVGPRsForWavesPerEU: 1
; Occupancy: 16
; WaveLimiterHint : 0
; COMPUTE_PGM_RSRC2:SCRATCH_EN: 0
; COMPUTE_PGM_RSRC2:USER_SGPR: 6
; COMPUTE_PGM_RSRC2:TRAP_HANDLER: 0
; COMPUTE_PGM_RSRC2:TGID_X_EN: 1
; COMPUTE_PGM_RSRC2:TGID_Y_EN: 0
; COMPUTE_PGM_RSRC2:TGID_Z_EN: 0
; COMPUTE_PGM_RSRC2:TIDIG_COMP_CNT: 0
	.section	.text._ZN7rocprim17ROCPRIM_400000_NS6detail17trampoline_kernelINS0_14default_configENS1_38merge_sort_block_merge_config_selectorIyNS0_10empty_typeEEEZZNS1_27merge_sort_block_merge_implIS3_N6thrust23THRUST_200600_302600_NS6detail15normal_iteratorINS9_10device_ptrIyEEEEPS5_m11less_div_10IyEEE10hipError_tT0_T1_T2_jT3_P12ihipStream_tbPNSt15iterator_traitsISJ_E10value_typeEPNSP_ISK_E10value_typeEPSL_NS1_7vsmem_tEENKUlT_SJ_SK_SL_E_clISE_PySF_SF_EESI_SY_SJ_SK_SL_EUlSY_E0_NS1_11comp_targetILNS1_3genE2ELNS1_11target_archE906ELNS1_3gpuE6ELNS1_3repE0EEENS1_38merge_mergepath_config_static_selectorELNS0_4arch9wavefront6targetE0EEEvSK_,"axG",@progbits,_ZN7rocprim17ROCPRIM_400000_NS6detail17trampoline_kernelINS0_14default_configENS1_38merge_sort_block_merge_config_selectorIyNS0_10empty_typeEEEZZNS1_27merge_sort_block_merge_implIS3_N6thrust23THRUST_200600_302600_NS6detail15normal_iteratorINS9_10device_ptrIyEEEEPS5_m11less_div_10IyEEE10hipError_tT0_T1_T2_jT3_P12ihipStream_tbPNSt15iterator_traitsISJ_E10value_typeEPNSP_ISK_E10value_typeEPSL_NS1_7vsmem_tEENKUlT_SJ_SK_SL_E_clISE_PySF_SF_EESI_SY_SJ_SK_SL_EUlSY_E0_NS1_11comp_targetILNS1_3genE2ELNS1_11target_archE906ELNS1_3gpuE6ELNS1_3repE0EEENS1_38merge_mergepath_config_static_selectorELNS0_4arch9wavefront6targetE0EEEvSK_,comdat
	.protected	_ZN7rocprim17ROCPRIM_400000_NS6detail17trampoline_kernelINS0_14default_configENS1_38merge_sort_block_merge_config_selectorIyNS0_10empty_typeEEEZZNS1_27merge_sort_block_merge_implIS3_N6thrust23THRUST_200600_302600_NS6detail15normal_iteratorINS9_10device_ptrIyEEEEPS5_m11less_div_10IyEEE10hipError_tT0_T1_T2_jT3_P12ihipStream_tbPNSt15iterator_traitsISJ_E10value_typeEPNSP_ISK_E10value_typeEPSL_NS1_7vsmem_tEENKUlT_SJ_SK_SL_E_clISE_PySF_SF_EESI_SY_SJ_SK_SL_EUlSY_E0_NS1_11comp_targetILNS1_3genE2ELNS1_11target_archE906ELNS1_3gpuE6ELNS1_3repE0EEENS1_38merge_mergepath_config_static_selectorELNS0_4arch9wavefront6targetE0EEEvSK_ ; -- Begin function _ZN7rocprim17ROCPRIM_400000_NS6detail17trampoline_kernelINS0_14default_configENS1_38merge_sort_block_merge_config_selectorIyNS0_10empty_typeEEEZZNS1_27merge_sort_block_merge_implIS3_N6thrust23THRUST_200600_302600_NS6detail15normal_iteratorINS9_10device_ptrIyEEEEPS5_m11less_div_10IyEEE10hipError_tT0_T1_T2_jT3_P12ihipStream_tbPNSt15iterator_traitsISJ_E10value_typeEPNSP_ISK_E10value_typeEPSL_NS1_7vsmem_tEENKUlT_SJ_SK_SL_E_clISE_PySF_SF_EESI_SY_SJ_SK_SL_EUlSY_E0_NS1_11comp_targetILNS1_3genE2ELNS1_11target_archE906ELNS1_3gpuE6ELNS1_3repE0EEENS1_38merge_mergepath_config_static_selectorELNS0_4arch9wavefront6targetE0EEEvSK_
	.globl	_ZN7rocprim17ROCPRIM_400000_NS6detail17trampoline_kernelINS0_14default_configENS1_38merge_sort_block_merge_config_selectorIyNS0_10empty_typeEEEZZNS1_27merge_sort_block_merge_implIS3_N6thrust23THRUST_200600_302600_NS6detail15normal_iteratorINS9_10device_ptrIyEEEEPS5_m11less_div_10IyEEE10hipError_tT0_T1_T2_jT3_P12ihipStream_tbPNSt15iterator_traitsISJ_E10value_typeEPNSP_ISK_E10value_typeEPSL_NS1_7vsmem_tEENKUlT_SJ_SK_SL_E_clISE_PySF_SF_EESI_SY_SJ_SK_SL_EUlSY_E0_NS1_11comp_targetILNS1_3genE2ELNS1_11target_archE906ELNS1_3gpuE6ELNS1_3repE0EEENS1_38merge_mergepath_config_static_selectorELNS0_4arch9wavefront6targetE0EEEvSK_
	.p2align	8
	.type	_ZN7rocprim17ROCPRIM_400000_NS6detail17trampoline_kernelINS0_14default_configENS1_38merge_sort_block_merge_config_selectorIyNS0_10empty_typeEEEZZNS1_27merge_sort_block_merge_implIS3_N6thrust23THRUST_200600_302600_NS6detail15normal_iteratorINS9_10device_ptrIyEEEEPS5_m11less_div_10IyEEE10hipError_tT0_T1_T2_jT3_P12ihipStream_tbPNSt15iterator_traitsISJ_E10value_typeEPNSP_ISK_E10value_typeEPSL_NS1_7vsmem_tEENKUlT_SJ_SK_SL_E_clISE_PySF_SF_EESI_SY_SJ_SK_SL_EUlSY_E0_NS1_11comp_targetILNS1_3genE2ELNS1_11target_archE906ELNS1_3gpuE6ELNS1_3repE0EEENS1_38merge_mergepath_config_static_selectorELNS0_4arch9wavefront6targetE0EEEvSK_,@function
_ZN7rocprim17ROCPRIM_400000_NS6detail17trampoline_kernelINS0_14default_configENS1_38merge_sort_block_merge_config_selectorIyNS0_10empty_typeEEEZZNS1_27merge_sort_block_merge_implIS3_N6thrust23THRUST_200600_302600_NS6detail15normal_iteratorINS9_10device_ptrIyEEEEPS5_m11less_div_10IyEEE10hipError_tT0_T1_T2_jT3_P12ihipStream_tbPNSt15iterator_traitsISJ_E10value_typeEPNSP_ISK_E10value_typeEPSL_NS1_7vsmem_tEENKUlT_SJ_SK_SL_E_clISE_PySF_SF_EESI_SY_SJ_SK_SL_EUlSY_E0_NS1_11comp_targetILNS1_3genE2ELNS1_11target_archE906ELNS1_3gpuE6ELNS1_3repE0EEENS1_38merge_mergepath_config_static_selectorELNS0_4arch9wavefront6targetE0EEEvSK_: ; @_ZN7rocprim17ROCPRIM_400000_NS6detail17trampoline_kernelINS0_14default_configENS1_38merge_sort_block_merge_config_selectorIyNS0_10empty_typeEEEZZNS1_27merge_sort_block_merge_implIS3_N6thrust23THRUST_200600_302600_NS6detail15normal_iteratorINS9_10device_ptrIyEEEEPS5_m11less_div_10IyEEE10hipError_tT0_T1_T2_jT3_P12ihipStream_tbPNSt15iterator_traitsISJ_E10value_typeEPNSP_ISK_E10value_typeEPSL_NS1_7vsmem_tEENKUlT_SJ_SK_SL_E_clISE_PySF_SF_EESI_SY_SJ_SK_SL_EUlSY_E0_NS1_11comp_targetILNS1_3genE2ELNS1_11target_archE906ELNS1_3gpuE6ELNS1_3repE0EEENS1_38merge_mergepath_config_static_selectorELNS0_4arch9wavefront6targetE0EEEvSK_
; %bb.0:
	.section	.rodata,"a",@progbits
	.p2align	6, 0x0
	.amdhsa_kernel _ZN7rocprim17ROCPRIM_400000_NS6detail17trampoline_kernelINS0_14default_configENS1_38merge_sort_block_merge_config_selectorIyNS0_10empty_typeEEEZZNS1_27merge_sort_block_merge_implIS3_N6thrust23THRUST_200600_302600_NS6detail15normal_iteratorINS9_10device_ptrIyEEEEPS5_m11less_div_10IyEEE10hipError_tT0_T1_T2_jT3_P12ihipStream_tbPNSt15iterator_traitsISJ_E10value_typeEPNSP_ISK_E10value_typeEPSL_NS1_7vsmem_tEENKUlT_SJ_SK_SL_E_clISE_PySF_SF_EESI_SY_SJ_SK_SL_EUlSY_E0_NS1_11comp_targetILNS1_3genE2ELNS1_11target_archE906ELNS1_3gpuE6ELNS1_3repE0EEENS1_38merge_mergepath_config_static_selectorELNS0_4arch9wavefront6targetE0EEEvSK_
		.amdhsa_group_segment_fixed_size 0
		.amdhsa_private_segment_fixed_size 0
		.amdhsa_kernarg_size 72
		.amdhsa_user_sgpr_count 6
		.amdhsa_user_sgpr_private_segment_buffer 1
		.amdhsa_user_sgpr_dispatch_ptr 0
		.amdhsa_user_sgpr_queue_ptr 0
		.amdhsa_user_sgpr_kernarg_segment_ptr 1
		.amdhsa_user_sgpr_dispatch_id 0
		.amdhsa_user_sgpr_flat_scratch_init 0
		.amdhsa_user_sgpr_private_segment_size 0
		.amdhsa_wavefront_size32 1
		.amdhsa_uses_dynamic_stack 0
		.amdhsa_system_sgpr_private_segment_wavefront_offset 0
		.amdhsa_system_sgpr_workgroup_id_x 1
		.amdhsa_system_sgpr_workgroup_id_y 0
		.amdhsa_system_sgpr_workgroup_id_z 0
		.amdhsa_system_sgpr_workgroup_info 0
		.amdhsa_system_vgpr_workitem_id 0
		.amdhsa_next_free_vgpr 1
		.amdhsa_next_free_sgpr 1
		.amdhsa_reserve_vcc 0
		.amdhsa_reserve_flat_scratch 0
		.amdhsa_float_round_mode_32 0
		.amdhsa_float_round_mode_16_64 0
		.amdhsa_float_denorm_mode_32 3
		.amdhsa_float_denorm_mode_16_64 3
		.amdhsa_dx10_clamp 1
		.amdhsa_ieee_mode 1
		.amdhsa_fp16_overflow 0
		.amdhsa_workgroup_processor_mode 1
		.amdhsa_memory_ordered 1
		.amdhsa_forward_progress 1
		.amdhsa_shared_vgpr_count 0
		.amdhsa_exception_fp_ieee_invalid_op 0
		.amdhsa_exception_fp_denorm_src 0
		.amdhsa_exception_fp_ieee_div_zero 0
		.amdhsa_exception_fp_ieee_overflow 0
		.amdhsa_exception_fp_ieee_underflow 0
		.amdhsa_exception_fp_ieee_inexact 0
		.amdhsa_exception_int_div_zero 0
	.end_amdhsa_kernel
	.section	.text._ZN7rocprim17ROCPRIM_400000_NS6detail17trampoline_kernelINS0_14default_configENS1_38merge_sort_block_merge_config_selectorIyNS0_10empty_typeEEEZZNS1_27merge_sort_block_merge_implIS3_N6thrust23THRUST_200600_302600_NS6detail15normal_iteratorINS9_10device_ptrIyEEEEPS5_m11less_div_10IyEEE10hipError_tT0_T1_T2_jT3_P12ihipStream_tbPNSt15iterator_traitsISJ_E10value_typeEPNSP_ISK_E10value_typeEPSL_NS1_7vsmem_tEENKUlT_SJ_SK_SL_E_clISE_PySF_SF_EESI_SY_SJ_SK_SL_EUlSY_E0_NS1_11comp_targetILNS1_3genE2ELNS1_11target_archE906ELNS1_3gpuE6ELNS1_3repE0EEENS1_38merge_mergepath_config_static_selectorELNS0_4arch9wavefront6targetE0EEEvSK_,"axG",@progbits,_ZN7rocprim17ROCPRIM_400000_NS6detail17trampoline_kernelINS0_14default_configENS1_38merge_sort_block_merge_config_selectorIyNS0_10empty_typeEEEZZNS1_27merge_sort_block_merge_implIS3_N6thrust23THRUST_200600_302600_NS6detail15normal_iteratorINS9_10device_ptrIyEEEEPS5_m11less_div_10IyEEE10hipError_tT0_T1_T2_jT3_P12ihipStream_tbPNSt15iterator_traitsISJ_E10value_typeEPNSP_ISK_E10value_typeEPSL_NS1_7vsmem_tEENKUlT_SJ_SK_SL_E_clISE_PySF_SF_EESI_SY_SJ_SK_SL_EUlSY_E0_NS1_11comp_targetILNS1_3genE2ELNS1_11target_archE906ELNS1_3gpuE6ELNS1_3repE0EEENS1_38merge_mergepath_config_static_selectorELNS0_4arch9wavefront6targetE0EEEvSK_,comdat
.Lfunc_end61:
	.size	_ZN7rocprim17ROCPRIM_400000_NS6detail17trampoline_kernelINS0_14default_configENS1_38merge_sort_block_merge_config_selectorIyNS0_10empty_typeEEEZZNS1_27merge_sort_block_merge_implIS3_N6thrust23THRUST_200600_302600_NS6detail15normal_iteratorINS9_10device_ptrIyEEEEPS5_m11less_div_10IyEEE10hipError_tT0_T1_T2_jT3_P12ihipStream_tbPNSt15iterator_traitsISJ_E10value_typeEPNSP_ISK_E10value_typeEPSL_NS1_7vsmem_tEENKUlT_SJ_SK_SL_E_clISE_PySF_SF_EESI_SY_SJ_SK_SL_EUlSY_E0_NS1_11comp_targetILNS1_3genE2ELNS1_11target_archE906ELNS1_3gpuE6ELNS1_3repE0EEENS1_38merge_mergepath_config_static_selectorELNS0_4arch9wavefront6targetE0EEEvSK_, .Lfunc_end61-_ZN7rocprim17ROCPRIM_400000_NS6detail17trampoline_kernelINS0_14default_configENS1_38merge_sort_block_merge_config_selectorIyNS0_10empty_typeEEEZZNS1_27merge_sort_block_merge_implIS3_N6thrust23THRUST_200600_302600_NS6detail15normal_iteratorINS9_10device_ptrIyEEEEPS5_m11less_div_10IyEEE10hipError_tT0_T1_T2_jT3_P12ihipStream_tbPNSt15iterator_traitsISJ_E10value_typeEPNSP_ISK_E10value_typeEPSL_NS1_7vsmem_tEENKUlT_SJ_SK_SL_E_clISE_PySF_SF_EESI_SY_SJ_SK_SL_EUlSY_E0_NS1_11comp_targetILNS1_3genE2ELNS1_11target_archE906ELNS1_3gpuE6ELNS1_3repE0EEENS1_38merge_mergepath_config_static_selectorELNS0_4arch9wavefront6targetE0EEEvSK_
                                        ; -- End function
	.set _ZN7rocprim17ROCPRIM_400000_NS6detail17trampoline_kernelINS0_14default_configENS1_38merge_sort_block_merge_config_selectorIyNS0_10empty_typeEEEZZNS1_27merge_sort_block_merge_implIS3_N6thrust23THRUST_200600_302600_NS6detail15normal_iteratorINS9_10device_ptrIyEEEEPS5_m11less_div_10IyEEE10hipError_tT0_T1_T2_jT3_P12ihipStream_tbPNSt15iterator_traitsISJ_E10value_typeEPNSP_ISK_E10value_typeEPSL_NS1_7vsmem_tEENKUlT_SJ_SK_SL_E_clISE_PySF_SF_EESI_SY_SJ_SK_SL_EUlSY_E0_NS1_11comp_targetILNS1_3genE2ELNS1_11target_archE906ELNS1_3gpuE6ELNS1_3repE0EEENS1_38merge_mergepath_config_static_selectorELNS0_4arch9wavefront6targetE0EEEvSK_.num_vgpr, 0
	.set _ZN7rocprim17ROCPRIM_400000_NS6detail17trampoline_kernelINS0_14default_configENS1_38merge_sort_block_merge_config_selectorIyNS0_10empty_typeEEEZZNS1_27merge_sort_block_merge_implIS3_N6thrust23THRUST_200600_302600_NS6detail15normal_iteratorINS9_10device_ptrIyEEEEPS5_m11less_div_10IyEEE10hipError_tT0_T1_T2_jT3_P12ihipStream_tbPNSt15iterator_traitsISJ_E10value_typeEPNSP_ISK_E10value_typeEPSL_NS1_7vsmem_tEENKUlT_SJ_SK_SL_E_clISE_PySF_SF_EESI_SY_SJ_SK_SL_EUlSY_E0_NS1_11comp_targetILNS1_3genE2ELNS1_11target_archE906ELNS1_3gpuE6ELNS1_3repE0EEENS1_38merge_mergepath_config_static_selectorELNS0_4arch9wavefront6targetE0EEEvSK_.num_agpr, 0
	.set _ZN7rocprim17ROCPRIM_400000_NS6detail17trampoline_kernelINS0_14default_configENS1_38merge_sort_block_merge_config_selectorIyNS0_10empty_typeEEEZZNS1_27merge_sort_block_merge_implIS3_N6thrust23THRUST_200600_302600_NS6detail15normal_iteratorINS9_10device_ptrIyEEEEPS5_m11less_div_10IyEEE10hipError_tT0_T1_T2_jT3_P12ihipStream_tbPNSt15iterator_traitsISJ_E10value_typeEPNSP_ISK_E10value_typeEPSL_NS1_7vsmem_tEENKUlT_SJ_SK_SL_E_clISE_PySF_SF_EESI_SY_SJ_SK_SL_EUlSY_E0_NS1_11comp_targetILNS1_3genE2ELNS1_11target_archE906ELNS1_3gpuE6ELNS1_3repE0EEENS1_38merge_mergepath_config_static_selectorELNS0_4arch9wavefront6targetE0EEEvSK_.numbered_sgpr, 0
	.set _ZN7rocprim17ROCPRIM_400000_NS6detail17trampoline_kernelINS0_14default_configENS1_38merge_sort_block_merge_config_selectorIyNS0_10empty_typeEEEZZNS1_27merge_sort_block_merge_implIS3_N6thrust23THRUST_200600_302600_NS6detail15normal_iteratorINS9_10device_ptrIyEEEEPS5_m11less_div_10IyEEE10hipError_tT0_T1_T2_jT3_P12ihipStream_tbPNSt15iterator_traitsISJ_E10value_typeEPNSP_ISK_E10value_typeEPSL_NS1_7vsmem_tEENKUlT_SJ_SK_SL_E_clISE_PySF_SF_EESI_SY_SJ_SK_SL_EUlSY_E0_NS1_11comp_targetILNS1_3genE2ELNS1_11target_archE906ELNS1_3gpuE6ELNS1_3repE0EEENS1_38merge_mergepath_config_static_selectorELNS0_4arch9wavefront6targetE0EEEvSK_.num_named_barrier, 0
	.set _ZN7rocprim17ROCPRIM_400000_NS6detail17trampoline_kernelINS0_14default_configENS1_38merge_sort_block_merge_config_selectorIyNS0_10empty_typeEEEZZNS1_27merge_sort_block_merge_implIS3_N6thrust23THRUST_200600_302600_NS6detail15normal_iteratorINS9_10device_ptrIyEEEEPS5_m11less_div_10IyEEE10hipError_tT0_T1_T2_jT3_P12ihipStream_tbPNSt15iterator_traitsISJ_E10value_typeEPNSP_ISK_E10value_typeEPSL_NS1_7vsmem_tEENKUlT_SJ_SK_SL_E_clISE_PySF_SF_EESI_SY_SJ_SK_SL_EUlSY_E0_NS1_11comp_targetILNS1_3genE2ELNS1_11target_archE906ELNS1_3gpuE6ELNS1_3repE0EEENS1_38merge_mergepath_config_static_selectorELNS0_4arch9wavefront6targetE0EEEvSK_.private_seg_size, 0
	.set _ZN7rocprim17ROCPRIM_400000_NS6detail17trampoline_kernelINS0_14default_configENS1_38merge_sort_block_merge_config_selectorIyNS0_10empty_typeEEEZZNS1_27merge_sort_block_merge_implIS3_N6thrust23THRUST_200600_302600_NS6detail15normal_iteratorINS9_10device_ptrIyEEEEPS5_m11less_div_10IyEEE10hipError_tT0_T1_T2_jT3_P12ihipStream_tbPNSt15iterator_traitsISJ_E10value_typeEPNSP_ISK_E10value_typeEPSL_NS1_7vsmem_tEENKUlT_SJ_SK_SL_E_clISE_PySF_SF_EESI_SY_SJ_SK_SL_EUlSY_E0_NS1_11comp_targetILNS1_3genE2ELNS1_11target_archE906ELNS1_3gpuE6ELNS1_3repE0EEENS1_38merge_mergepath_config_static_selectorELNS0_4arch9wavefront6targetE0EEEvSK_.uses_vcc, 0
	.set _ZN7rocprim17ROCPRIM_400000_NS6detail17trampoline_kernelINS0_14default_configENS1_38merge_sort_block_merge_config_selectorIyNS0_10empty_typeEEEZZNS1_27merge_sort_block_merge_implIS3_N6thrust23THRUST_200600_302600_NS6detail15normal_iteratorINS9_10device_ptrIyEEEEPS5_m11less_div_10IyEEE10hipError_tT0_T1_T2_jT3_P12ihipStream_tbPNSt15iterator_traitsISJ_E10value_typeEPNSP_ISK_E10value_typeEPSL_NS1_7vsmem_tEENKUlT_SJ_SK_SL_E_clISE_PySF_SF_EESI_SY_SJ_SK_SL_EUlSY_E0_NS1_11comp_targetILNS1_3genE2ELNS1_11target_archE906ELNS1_3gpuE6ELNS1_3repE0EEENS1_38merge_mergepath_config_static_selectorELNS0_4arch9wavefront6targetE0EEEvSK_.uses_flat_scratch, 0
	.set _ZN7rocprim17ROCPRIM_400000_NS6detail17trampoline_kernelINS0_14default_configENS1_38merge_sort_block_merge_config_selectorIyNS0_10empty_typeEEEZZNS1_27merge_sort_block_merge_implIS3_N6thrust23THRUST_200600_302600_NS6detail15normal_iteratorINS9_10device_ptrIyEEEEPS5_m11less_div_10IyEEE10hipError_tT0_T1_T2_jT3_P12ihipStream_tbPNSt15iterator_traitsISJ_E10value_typeEPNSP_ISK_E10value_typeEPSL_NS1_7vsmem_tEENKUlT_SJ_SK_SL_E_clISE_PySF_SF_EESI_SY_SJ_SK_SL_EUlSY_E0_NS1_11comp_targetILNS1_3genE2ELNS1_11target_archE906ELNS1_3gpuE6ELNS1_3repE0EEENS1_38merge_mergepath_config_static_selectorELNS0_4arch9wavefront6targetE0EEEvSK_.has_dyn_sized_stack, 0
	.set _ZN7rocprim17ROCPRIM_400000_NS6detail17trampoline_kernelINS0_14default_configENS1_38merge_sort_block_merge_config_selectorIyNS0_10empty_typeEEEZZNS1_27merge_sort_block_merge_implIS3_N6thrust23THRUST_200600_302600_NS6detail15normal_iteratorINS9_10device_ptrIyEEEEPS5_m11less_div_10IyEEE10hipError_tT0_T1_T2_jT3_P12ihipStream_tbPNSt15iterator_traitsISJ_E10value_typeEPNSP_ISK_E10value_typeEPSL_NS1_7vsmem_tEENKUlT_SJ_SK_SL_E_clISE_PySF_SF_EESI_SY_SJ_SK_SL_EUlSY_E0_NS1_11comp_targetILNS1_3genE2ELNS1_11target_archE906ELNS1_3gpuE6ELNS1_3repE0EEENS1_38merge_mergepath_config_static_selectorELNS0_4arch9wavefront6targetE0EEEvSK_.has_recursion, 0
	.set _ZN7rocprim17ROCPRIM_400000_NS6detail17trampoline_kernelINS0_14default_configENS1_38merge_sort_block_merge_config_selectorIyNS0_10empty_typeEEEZZNS1_27merge_sort_block_merge_implIS3_N6thrust23THRUST_200600_302600_NS6detail15normal_iteratorINS9_10device_ptrIyEEEEPS5_m11less_div_10IyEEE10hipError_tT0_T1_T2_jT3_P12ihipStream_tbPNSt15iterator_traitsISJ_E10value_typeEPNSP_ISK_E10value_typeEPSL_NS1_7vsmem_tEENKUlT_SJ_SK_SL_E_clISE_PySF_SF_EESI_SY_SJ_SK_SL_EUlSY_E0_NS1_11comp_targetILNS1_3genE2ELNS1_11target_archE906ELNS1_3gpuE6ELNS1_3repE0EEENS1_38merge_mergepath_config_static_selectorELNS0_4arch9wavefront6targetE0EEEvSK_.has_indirect_call, 0
	.section	.AMDGPU.csdata,"",@progbits
; Kernel info:
; codeLenInByte = 0
; TotalNumSgprs: 0
; NumVgprs: 0
; ScratchSize: 0
; MemoryBound: 0
; FloatMode: 240
; IeeeMode: 1
; LDSByteSize: 0 bytes/workgroup (compile time only)
; SGPRBlocks: 0
; VGPRBlocks: 0
; NumSGPRsForWavesPerEU: 1
; NumVGPRsForWavesPerEU: 1
; Occupancy: 16
; WaveLimiterHint : 0
; COMPUTE_PGM_RSRC2:SCRATCH_EN: 0
; COMPUTE_PGM_RSRC2:USER_SGPR: 6
; COMPUTE_PGM_RSRC2:TRAP_HANDLER: 0
; COMPUTE_PGM_RSRC2:TGID_X_EN: 1
; COMPUTE_PGM_RSRC2:TGID_Y_EN: 0
; COMPUTE_PGM_RSRC2:TGID_Z_EN: 0
; COMPUTE_PGM_RSRC2:TIDIG_COMP_CNT: 0
	.section	.text._ZN7rocprim17ROCPRIM_400000_NS6detail17trampoline_kernelINS0_14default_configENS1_38merge_sort_block_merge_config_selectorIyNS0_10empty_typeEEEZZNS1_27merge_sort_block_merge_implIS3_N6thrust23THRUST_200600_302600_NS6detail15normal_iteratorINS9_10device_ptrIyEEEEPS5_m11less_div_10IyEEE10hipError_tT0_T1_T2_jT3_P12ihipStream_tbPNSt15iterator_traitsISJ_E10value_typeEPNSP_ISK_E10value_typeEPSL_NS1_7vsmem_tEENKUlT_SJ_SK_SL_E_clISE_PySF_SF_EESI_SY_SJ_SK_SL_EUlSY_E0_NS1_11comp_targetILNS1_3genE9ELNS1_11target_archE1100ELNS1_3gpuE3ELNS1_3repE0EEENS1_38merge_mergepath_config_static_selectorELNS0_4arch9wavefront6targetE0EEEvSK_,"axG",@progbits,_ZN7rocprim17ROCPRIM_400000_NS6detail17trampoline_kernelINS0_14default_configENS1_38merge_sort_block_merge_config_selectorIyNS0_10empty_typeEEEZZNS1_27merge_sort_block_merge_implIS3_N6thrust23THRUST_200600_302600_NS6detail15normal_iteratorINS9_10device_ptrIyEEEEPS5_m11less_div_10IyEEE10hipError_tT0_T1_T2_jT3_P12ihipStream_tbPNSt15iterator_traitsISJ_E10value_typeEPNSP_ISK_E10value_typeEPSL_NS1_7vsmem_tEENKUlT_SJ_SK_SL_E_clISE_PySF_SF_EESI_SY_SJ_SK_SL_EUlSY_E0_NS1_11comp_targetILNS1_3genE9ELNS1_11target_archE1100ELNS1_3gpuE3ELNS1_3repE0EEENS1_38merge_mergepath_config_static_selectorELNS0_4arch9wavefront6targetE0EEEvSK_,comdat
	.protected	_ZN7rocprim17ROCPRIM_400000_NS6detail17trampoline_kernelINS0_14default_configENS1_38merge_sort_block_merge_config_selectorIyNS0_10empty_typeEEEZZNS1_27merge_sort_block_merge_implIS3_N6thrust23THRUST_200600_302600_NS6detail15normal_iteratorINS9_10device_ptrIyEEEEPS5_m11less_div_10IyEEE10hipError_tT0_T1_T2_jT3_P12ihipStream_tbPNSt15iterator_traitsISJ_E10value_typeEPNSP_ISK_E10value_typeEPSL_NS1_7vsmem_tEENKUlT_SJ_SK_SL_E_clISE_PySF_SF_EESI_SY_SJ_SK_SL_EUlSY_E0_NS1_11comp_targetILNS1_3genE9ELNS1_11target_archE1100ELNS1_3gpuE3ELNS1_3repE0EEENS1_38merge_mergepath_config_static_selectorELNS0_4arch9wavefront6targetE0EEEvSK_ ; -- Begin function _ZN7rocprim17ROCPRIM_400000_NS6detail17trampoline_kernelINS0_14default_configENS1_38merge_sort_block_merge_config_selectorIyNS0_10empty_typeEEEZZNS1_27merge_sort_block_merge_implIS3_N6thrust23THRUST_200600_302600_NS6detail15normal_iteratorINS9_10device_ptrIyEEEEPS5_m11less_div_10IyEEE10hipError_tT0_T1_T2_jT3_P12ihipStream_tbPNSt15iterator_traitsISJ_E10value_typeEPNSP_ISK_E10value_typeEPSL_NS1_7vsmem_tEENKUlT_SJ_SK_SL_E_clISE_PySF_SF_EESI_SY_SJ_SK_SL_EUlSY_E0_NS1_11comp_targetILNS1_3genE9ELNS1_11target_archE1100ELNS1_3gpuE3ELNS1_3repE0EEENS1_38merge_mergepath_config_static_selectorELNS0_4arch9wavefront6targetE0EEEvSK_
	.globl	_ZN7rocprim17ROCPRIM_400000_NS6detail17trampoline_kernelINS0_14default_configENS1_38merge_sort_block_merge_config_selectorIyNS0_10empty_typeEEEZZNS1_27merge_sort_block_merge_implIS3_N6thrust23THRUST_200600_302600_NS6detail15normal_iteratorINS9_10device_ptrIyEEEEPS5_m11less_div_10IyEEE10hipError_tT0_T1_T2_jT3_P12ihipStream_tbPNSt15iterator_traitsISJ_E10value_typeEPNSP_ISK_E10value_typeEPSL_NS1_7vsmem_tEENKUlT_SJ_SK_SL_E_clISE_PySF_SF_EESI_SY_SJ_SK_SL_EUlSY_E0_NS1_11comp_targetILNS1_3genE9ELNS1_11target_archE1100ELNS1_3gpuE3ELNS1_3repE0EEENS1_38merge_mergepath_config_static_selectorELNS0_4arch9wavefront6targetE0EEEvSK_
	.p2align	8
	.type	_ZN7rocprim17ROCPRIM_400000_NS6detail17trampoline_kernelINS0_14default_configENS1_38merge_sort_block_merge_config_selectorIyNS0_10empty_typeEEEZZNS1_27merge_sort_block_merge_implIS3_N6thrust23THRUST_200600_302600_NS6detail15normal_iteratorINS9_10device_ptrIyEEEEPS5_m11less_div_10IyEEE10hipError_tT0_T1_T2_jT3_P12ihipStream_tbPNSt15iterator_traitsISJ_E10value_typeEPNSP_ISK_E10value_typeEPSL_NS1_7vsmem_tEENKUlT_SJ_SK_SL_E_clISE_PySF_SF_EESI_SY_SJ_SK_SL_EUlSY_E0_NS1_11comp_targetILNS1_3genE9ELNS1_11target_archE1100ELNS1_3gpuE3ELNS1_3repE0EEENS1_38merge_mergepath_config_static_selectorELNS0_4arch9wavefront6targetE0EEEvSK_,@function
_ZN7rocprim17ROCPRIM_400000_NS6detail17trampoline_kernelINS0_14default_configENS1_38merge_sort_block_merge_config_selectorIyNS0_10empty_typeEEEZZNS1_27merge_sort_block_merge_implIS3_N6thrust23THRUST_200600_302600_NS6detail15normal_iteratorINS9_10device_ptrIyEEEEPS5_m11less_div_10IyEEE10hipError_tT0_T1_T2_jT3_P12ihipStream_tbPNSt15iterator_traitsISJ_E10value_typeEPNSP_ISK_E10value_typeEPSL_NS1_7vsmem_tEENKUlT_SJ_SK_SL_E_clISE_PySF_SF_EESI_SY_SJ_SK_SL_EUlSY_E0_NS1_11comp_targetILNS1_3genE9ELNS1_11target_archE1100ELNS1_3gpuE3ELNS1_3repE0EEENS1_38merge_mergepath_config_static_selectorELNS0_4arch9wavefront6targetE0EEEvSK_: ; @_ZN7rocprim17ROCPRIM_400000_NS6detail17trampoline_kernelINS0_14default_configENS1_38merge_sort_block_merge_config_selectorIyNS0_10empty_typeEEEZZNS1_27merge_sort_block_merge_implIS3_N6thrust23THRUST_200600_302600_NS6detail15normal_iteratorINS9_10device_ptrIyEEEEPS5_m11less_div_10IyEEE10hipError_tT0_T1_T2_jT3_P12ihipStream_tbPNSt15iterator_traitsISJ_E10value_typeEPNSP_ISK_E10value_typeEPSL_NS1_7vsmem_tEENKUlT_SJ_SK_SL_E_clISE_PySF_SF_EESI_SY_SJ_SK_SL_EUlSY_E0_NS1_11comp_targetILNS1_3genE9ELNS1_11target_archE1100ELNS1_3gpuE3ELNS1_3repE0EEENS1_38merge_mergepath_config_static_selectorELNS0_4arch9wavefront6targetE0EEEvSK_
; %bb.0:
	.section	.rodata,"a",@progbits
	.p2align	6, 0x0
	.amdhsa_kernel _ZN7rocprim17ROCPRIM_400000_NS6detail17trampoline_kernelINS0_14default_configENS1_38merge_sort_block_merge_config_selectorIyNS0_10empty_typeEEEZZNS1_27merge_sort_block_merge_implIS3_N6thrust23THRUST_200600_302600_NS6detail15normal_iteratorINS9_10device_ptrIyEEEEPS5_m11less_div_10IyEEE10hipError_tT0_T1_T2_jT3_P12ihipStream_tbPNSt15iterator_traitsISJ_E10value_typeEPNSP_ISK_E10value_typeEPSL_NS1_7vsmem_tEENKUlT_SJ_SK_SL_E_clISE_PySF_SF_EESI_SY_SJ_SK_SL_EUlSY_E0_NS1_11comp_targetILNS1_3genE9ELNS1_11target_archE1100ELNS1_3gpuE3ELNS1_3repE0EEENS1_38merge_mergepath_config_static_selectorELNS0_4arch9wavefront6targetE0EEEvSK_
		.amdhsa_group_segment_fixed_size 0
		.amdhsa_private_segment_fixed_size 0
		.amdhsa_kernarg_size 72
		.amdhsa_user_sgpr_count 6
		.amdhsa_user_sgpr_private_segment_buffer 1
		.amdhsa_user_sgpr_dispatch_ptr 0
		.amdhsa_user_sgpr_queue_ptr 0
		.amdhsa_user_sgpr_kernarg_segment_ptr 1
		.amdhsa_user_sgpr_dispatch_id 0
		.amdhsa_user_sgpr_flat_scratch_init 0
		.amdhsa_user_sgpr_private_segment_size 0
		.amdhsa_wavefront_size32 1
		.amdhsa_uses_dynamic_stack 0
		.amdhsa_system_sgpr_private_segment_wavefront_offset 0
		.amdhsa_system_sgpr_workgroup_id_x 1
		.amdhsa_system_sgpr_workgroup_id_y 0
		.amdhsa_system_sgpr_workgroup_id_z 0
		.amdhsa_system_sgpr_workgroup_info 0
		.amdhsa_system_vgpr_workitem_id 0
		.amdhsa_next_free_vgpr 1
		.amdhsa_next_free_sgpr 1
		.amdhsa_reserve_vcc 0
		.amdhsa_reserve_flat_scratch 0
		.amdhsa_float_round_mode_32 0
		.amdhsa_float_round_mode_16_64 0
		.amdhsa_float_denorm_mode_32 3
		.amdhsa_float_denorm_mode_16_64 3
		.amdhsa_dx10_clamp 1
		.amdhsa_ieee_mode 1
		.amdhsa_fp16_overflow 0
		.amdhsa_workgroup_processor_mode 1
		.amdhsa_memory_ordered 1
		.amdhsa_forward_progress 1
		.amdhsa_shared_vgpr_count 0
		.amdhsa_exception_fp_ieee_invalid_op 0
		.amdhsa_exception_fp_denorm_src 0
		.amdhsa_exception_fp_ieee_div_zero 0
		.amdhsa_exception_fp_ieee_overflow 0
		.amdhsa_exception_fp_ieee_underflow 0
		.amdhsa_exception_fp_ieee_inexact 0
		.amdhsa_exception_int_div_zero 0
	.end_amdhsa_kernel
	.section	.text._ZN7rocprim17ROCPRIM_400000_NS6detail17trampoline_kernelINS0_14default_configENS1_38merge_sort_block_merge_config_selectorIyNS0_10empty_typeEEEZZNS1_27merge_sort_block_merge_implIS3_N6thrust23THRUST_200600_302600_NS6detail15normal_iteratorINS9_10device_ptrIyEEEEPS5_m11less_div_10IyEEE10hipError_tT0_T1_T2_jT3_P12ihipStream_tbPNSt15iterator_traitsISJ_E10value_typeEPNSP_ISK_E10value_typeEPSL_NS1_7vsmem_tEENKUlT_SJ_SK_SL_E_clISE_PySF_SF_EESI_SY_SJ_SK_SL_EUlSY_E0_NS1_11comp_targetILNS1_3genE9ELNS1_11target_archE1100ELNS1_3gpuE3ELNS1_3repE0EEENS1_38merge_mergepath_config_static_selectorELNS0_4arch9wavefront6targetE0EEEvSK_,"axG",@progbits,_ZN7rocprim17ROCPRIM_400000_NS6detail17trampoline_kernelINS0_14default_configENS1_38merge_sort_block_merge_config_selectorIyNS0_10empty_typeEEEZZNS1_27merge_sort_block_merge_implIS3_N6thrust23THRUST_200600_302600_NS6detail15normal_iteratorINS9_10device_ptrIyEEEEPS5_m11less_div_10IyEEE10hipError_tT0_T1_T2_jT3_P12ihipStream_tbPNSt15iterator_traitsISJ_E10value_typeEPNSP_ISK_E10value_typeEPSL_NS1_7vsmem_tEENKUlT_SJ_SK_SL_E_clISE_PySF_SF_EESI_SY_SJ_SK_SL_EUlSY_E0_NS1_11comp_targetILNS1_3genE9ELNS1_11target_archE1100ELNS1_3gpuE3ELNS1_3repE0EEENS1_38merge_mergepath_config_static_selectorELNS0_4arch9wavefront6targetE0EEEvSK_,comdat
.Lfunc_end62:
	.size	_ZN7rocprim17ROCPRIM_400000_NS6detail17trampoline_kernelINS0_14default_configENS1_38merge_sort_block_merge_config_selectorIyNS0_10empty_typeEEEZZNS1_27merge_sort_block_merge_implIS3_N6thrust23THRUST_200600_302600_NS6detail15normal_iteratorINS9_10device_ptrIyEEEEPS5_m11less_div_10IyEEE10hipError_tT0_T1_T2_jT3_P12ihipStream_tbPNSt15iterator_traitsISJ_E10value_typeEPNSP_ISK_E10value_typeEPSL_NS1_7vsmem_tEENKUlT_SJ_SK_SL_E_clISE_PySF_SF_EESI_SY_SJ_SK_SL_EUlSY_E0_NS1_11comp_targetILNS1_3genE9ELNS1_11target_archE1100ELNS1_3gpuE3ELNS1_3repE0EEENS1_38merge_mergepath_config_static_selectorELNS0_4arch9wavefront6targetE0EEEvSK_, .Lfunc_end62-_ZN7rocprim17ROCPRIM_400000_NS6detail17trampoline_kernelINS0_14default_configENS1_38merge_sort_block_merge_config_selectorIyNS0_10empty_typeEEEZZNS1_27merge_sort_block_merge_implIS3_N6thrust23THRUST_200600_302600_NS6detail15normal_iteratorINS9_10device_ptrIyEEEEPS5_m11less_div_10IyEEE10hipError_tT0_T1_T2_jT3_P12ihipStream_tbPNSt15iterator_traitsISJ_E10value_typeEPNSP_ISK_E10value_typeEPSL_NS1_7vsmem_tEENKUlT_SJ_SK_SL_E_clISE_PySF_SF_EESI_SY_SJ_SK_SL_EUlSY_E0_NS1_11comp_targetILNS1_3genE9ELNS1_11target_archE1100ELNS1_3gpuE3ELNS1_3repE0EEENS1_38merge_mergepath_config_static_selectorELNS0_4arch9wavefront6targetE0EEEvSK_
                                        ; -- End function
	.set _ZN7rocprim17ROCPRIM_400000_NS6detail17trampoline_kernelINS0_14default_configENS1_38merge_sort_block_merge_config_selectorIyNS0_10empty_typeEEEZZNS1_27merge_sort_block_merge_implIS3_N6thrust23THRUST_200600_302600_NS6detail15normal_iteratorINS9_10device_ptrIyEEEEPS5_m11less_div_10IyEEE10hipError_tT0_T1_T2_jT3_P12ihipStream_tbPNSt15iterator_traitsISJ_E10value_typeEPNSP_ISK_E10value_typeEPSL_NS1_7vsmem_tEENKUlT_SJ_SK_SL_E_clISE_PySF_SF_EESI_SY_SJ_SK_SL_EUlSY_E0_NS1_11comp_targetILNS1_3genE9ELNS1_11target_archE1100ELNS1_3gpuE3ELNS1_3repE0EEENS1_38merge_mergepath_config_static_selectorELNS0_4arch9wavefront6targetE0EEEvSK_.num_vgpr, 0
	.set _ZN7rocprim17ROCPRIM_400000_NS6detail17trampoline_kernelINS0_14default_configENS1_38merge_sort_block_merge_config_selectorIyNS0_10empty_typeEEEZZNS1_27merge_sort_block_merge_implIS3_N6thrust23THRUST_200600_302600_NS6detail15normal_iteratorINS9_10device_ptrIyEEEEPS5_m11less_div_10IyEEE10hipError_tT0_T1_T2_jT3_P12ihipStream_tbPNSt15iterator_traitsISJ_E10value_typeEPNSP_ISK_E10value_typeEPSL_NS1_7vsmem_tEENKUlT_SJ_SK_SL_E_clISE_PySF_SF_EESI_SY_SJ_SK_SL_EUlSY_E0_NS1_11comp_targetILNS1_3genE9ELNS1_11target_archE1100ELNS1_3gpuE3ELNS1_3repE0EEENS1_38merge_mergepath_config_static_selectorELNS0_4arch9wavefront6targetE0EEEvSK_.num_agpr, 0
	.set _ZN7rocprim17ROCPRIM_400000_NS6detail17trampoline_kernelINS0_14default_configENS1_38merge_sort_block_merge_config_selectorIyNS0_10empty_typeEEEZZNS1_27merge_sort_block_merge_implIS3_N6thrust23THRUST_200600_302600_NS6detail15normal_iteratorINS9_10device_ptrIyEEEEPS5_m11less_div_10IyEEE10hipError_tT0_T1_T2_jT3_P12ihipStream_tbPNSt15iterator_traitsISJ_E10value_typeEPNSP_ISK_E10value_typeEPSL_NS1_7vsmem_tEENKUlT_SJ_SK_SL_E_clISE_PySF_SF_EESI_SY_SJ_SK_SL_EUlSY_E0_NS1_11comp_targetILNS1_3genE9ELNS1_11target_archE1100ELNS1_3gpuE3ELNS1_3repE0EEENS1_38merge_mergepath_config_static_selectorELNS0_4arch9wavefront6targetE0EEEvSK_.numbered_sgpr, 0
	.set _ZN7rocprim17ROCPRIM_400000_NS6detail17trampoline_kernelINS0_14default_configENS1_38merge_sort_block_merge_config_selectorIyNS0_10empty_typeEEEZZNS1_27merge_sort_block_merge_implIS3_N6thrust23THRUST_200600_302600_NS6detail15normal_iteratorINS9_10device_ptrIyEEEEPS5_m11less_div_10IyEEE10hipError_tT0_T1_T2_jT3_P12ihipStream_tbPNSt15iterator_traitsISJ_E10value_typeEPNSP_ISK_E10value_typeEPSL_NS1_7vsmem_tEENKUlT_SJ_SK_SL_E_clISE_PySF_SF_EESI_SY_SJ_SK_SL_EUlSY_E0_NS1_11comp_targetILNS1_3genE9ELNS1_11target_archE1100ELNS1_3gpuE3ELNS1_3repE0EEENS1_38merge_mergepath_config_static_selectorELNS0_4arch9wavefront6targetE0EEEvSK_.num_named_barrier, 0
	.set _ZN7rocprim17ROCPRIM_400000_NS6detail17trampoline_kernelINS0_14default_configENS1_38merge_sort_block_merge_config_selectorIyNS0_10empty_typeEEEZZNS1_27merge_sort_block_merge_implIS3_N6thrust23THRUST_200600_302600_NS6detail15normal_iteratorINS9_10device_ptrIyEEEEPS5_m11less_div_10IyEEE10hipError_tT0_T1_T2_jT3_P12ihipStream_tbPNSt15iterator_traitsISJ_E10value_typeEPNSP_ISK_E10value_typeEPSL_NS1_7vsmem_tEENKUlT_SJ_SK_SL_E_clISE_PySF_SF_EESI_SY_SJ_SK_SL_EUlSY_E0_NS1_11comp_targetILNS1_3genE9ELNS1_11target_archE1100ELNS1_3gpuE3ELNS1_3repE0EEENS1_38merge_mergepath_config_static_selectorELNS0_4arch9wavefront6targetE0EEEvSK_.private_seg_size, 0
	.set _ZN7rocprim17ROCPRIM_400000_NS6detail17trampoline_kernelINS0_14default_configENS1_38merge_sort_block_merge_config_selectorIyNS0_10empty_typeEEEZZNS1_27merge_sort_block_merge_implIS3_N6thrust23THRUST_200600_302600_NS6detail15normal_iteratorINS9_10device_ptrIyEEEEPS5_m11less_div_10IyEEE10hipError_tT0_T1_T2_jT3_P12ihipStream_tbPNSt15iterator_traitsISJ_E10value_typeEPNSP_ISK_E10value_typeEPSL_NS1_7vsmem_tEENKUlT_SJ_SK_SL_E_clISE_PySF_SF_EESI_SY_SJ_SK_SL_EUlSY_E0_NS1_11comp_targetILNS1_3genE9ELNS1_11target_archE1100ELNS1_3gpuE3ELNS1_3repE0EEENS1_38merge_mergepath_config_static_selectorELNS0_4arch9wavefront6targetE0EEEvSK_.uses_vcc, 0
	.set _ZN7rocprim17ROCPRIM_400000_NS6detail17trampoline_kernelINS0_14default_configENS1_38merge_sort_block_merge_config_selectorIyNS0_10empty_typeEEEZZNS1_27merge_sort_block_merge_implIS3_N6thrust23THRUST_200600_302600_NS6detail15normal_iteratorINS9_10device_ptrIyEEEEPS5_m11less_div_10IyEEE10hipError_tT0_T1_T2_jT3_P12ihipStream_tbPNSt15iterator_traitsISJ_E10value_typeEPNSP_ISK_E10value_typeEPSL_NS1_7vsmem_tEENKUlT_SJ_SK_SL_E_clISE_PySF_SF_EESI_SY_SJ_SK_SL_EUlSY_E0_NS1_11comp_targetILNS1_3genE9ELNS1_11target_archE1100ELNS1_3gpuE3ELNS1_3repE0EEENS1_38merge_mergepath_config_static_selectorELNS0_4arch9wavefront6targetE0EEEvSK_.uses_flat_scratch, 0
	.set _ZN7rocprim17ROCPRIM_400000_NS6detail17trampoline_kernelINS0_14default_configENS1_38merge_sort_block_merge_config_selectorIyNS0_10empty_typeEEEZZNS1_27merge_sort_block_merge_implIS3_N6thrust23THRUST_200600_302600_NS6detail15normal_iteratorINS9_10device_ptrIyEEEEPS5_m11less_div_10IyEEE10hipError_tT0_T1_T2_jT3_P12ihipStream_tbPNSt15iterator_traitsISJ_E10value_typeEPNSP_ISK_E10value_typeEPSL_NS1_7vsmem_tEENKUlT_SJ_SK_SL_E_clISE_PySF_SF_EESI_SY_SJ_SK_SL_EUlSY_E0_NS1_11comp_targetILNS1_3genE9ELNS1_11target_archE1100ELNS1_3gpuE3ELNS1_3repE0EEENS1_38merge_mergepath_config_static_selectorELNS0_4arch9wavefront6targetE0EEEvSK_.has_dyn_sized_stack, 0
	.set _ZN7rocprim17ROCPRIM_400000_NS6detail17trampoline_kernelINS0_14default_configENS1_38merge_sort_block_merge_config_selectorIyNS0_10empty_typeEEEZZNS1_27merge_sort_block_merge_implIS3_N6thrust23THRUST_200600_302600_NS6detail15normal_iteratorINS9_10device_ptrIyEEEEPS5_m11less_div_10IyEEE10hipError_tT0_T1_T2_jT3_P12ihipStream_tbPNSt15iterator_traitsISJ_E10value_typeEPNSP_ISK_E10value_typeEPSL_NS1_7vsmem_tEENKUlT_SJ_SK_SL_E_clISE_PySF_SF_EESI_SY_SJ_SK_SL_EUlSY_E0_NS1_11comp_targetILNS1_3genE9ELNS1_11target_archE1100ELNS1_3gpuE3ELNS1_3repE0EEENS1_38merge_mergepath_config_static_selectorELNS0_4arch9wavefront6targetE0EEEvSK_.has_recursion, 0
	.set _ZN7rocprim17ROCPRIM_400000_NS6detail17trampoline_kernelINS0_14default_configENS1_38merge_sort_block_merge_config_selectorIyNS0_10empty_typeEEEZZNS1_27merge_sort_block_merge_implIS3_N6thrust23THRUST_200600_302600_NS6detail15normal_iteratorINS9_10device_ptrIyEEEEPS5_m11less_div_10IyEEE10hipError_tT0_T1_T2_jT3_P12ihipStream_tbPNSt15iterator_traitsISJ_E10value_typeEPNSP_ISK_E10value_typeEPSL_NS1_7vsmem_tEENKUlT_SJ_SK_SL_E_clISE_PySF_SF_EESI_SY_SJ_SK_SL_EUlSY_E0_NS1_11comp_targetILNS1_3genE9ELNS1_11target_archE1100ELNS1_3gpuE3ELNS1_3repE0EEENS1_38merge_mergepath_config_static_selectorELNS0_4arch9wavefront6targetE0EEEvSK_.has_indirect_call, 0
	.section	.AMDGPU.csdata,"",@progbits
; Kernel info:
; codeLenInByte = 0
; TotalNumSgprs: 0
; NumVgprs: 0
; ScratchSize: 0
; MemoryBound: 0
; FloatMode: 240
; IeeeMode: 1
; LDSByteSize: 0 bytes/workgroup (compile time only)
; SGPRBlocks: 0
; VGPRBlocks: 0
; NumSGPRsForWavesPerEU: 1
; NumVGPRsForWavesPerEU: 1
; Occupancy: 16
; WaveLimiterHint : 0
; COMPUTE_PGM_RSRC2:SCRATCH_EN: 0
; COMPUTE_PGM_RSRC2:USER_SGPR: 6
; COMPUTE_PGM_RSRC2:TRAP_HANDLER: 0
; COMPUTE_PGM_RSRC2:TGID_X_EN: 1
; COMPUTE_PGM_RSRC2:TGID_Y_EN: 0
; COMPUTE_PGM_RSRC2:TGID_Z_EN: 0
; COMPUTE_PGM_RSRC2:TIDIG_COMP_CNT: 0
	.section	.text._ZN7rocprim17ROCPRIM_400000_NS6detail17trampoline_kernelINS0_14default_configENS1_38merge_sort_block_merge_config_selectorIyNS0_10empty_typeEEEZZNS1_27merge_sort_block_merge_implIS3_N6thrust23THRUST_200600_302600_NS6detail15normal_iteratorINS9_10device_ptrIyEEEEPS5_m11less_div_10IyEEE10hipError_tT0_T1_T2_jT3_P12ihipStream_tbPNSt15iterator_traitsISJ_E10value_typeEPNSP_ISK_E10value_typeEPSL_NS1_7vsmem_tEENKUlT_SJ_SK_SL_E_clISE_PySF_SF_EESI_SY_SJ_SK_SL_EUlSY_E0_NS1_11comp_targetILNS1_3genE8ELNS1_11target_archE1030ELNS1_3gpuE2ELNS1_3repE0EEENS1_38merge_mergepath_config_static_selectorELNS0_4arch9wavefront6targetE0EEEvSK_,"axG",@progbits,_ZN7rocprim17ROCPRIM_400000_NS6detail17trampoline_kernelINS0_14default_configENS1_38merge_sort_block_merge_config_selectorIyNS0_10empty_typeEEEZZNS1_27merge_sort_block_merge_implIS3_N6thrust23THRUST_200600_302600_NS6detail15normal_iteratorINS9_10device_ptrIyEEEEPS5_m11less_div_10IyEEE10hipError_tT0_T1_T2_jT3_P12ihipStream_tbPNSt15iterator_traitsISJ_E10value_typeEPNSP_ISK_E10value_typeEPSL_NS1_7vsmem_tEENKUlT_SJ_SK_SL_E_clISE_PySF_SF_EESI_SY_SJ_SK_SL_EUlSY_E0_NS1_11comp_targetILNS1_3genE8ELNS1_11target_archE1030ELNS1_3gpuE2ELNS1_3repE0EEENS1_38merge_mergepath_config_static_selectorELNS0_4arch9wavefront6targetE0EEEvSK_,comdat
	.protected	_ZN7rocprim17ROCPRIM_400000_NS6detail17trampoline_kernelINS0_14default_configENS1_38merge_sort_block_merge_config_selectorIyNS0_10empty_typeEEEZZNS1_27merge_sort_block_merge_implIS3_N6thrust23THRUST_200600_302600_NS6detail15normal_iteratorINS9_10device_ptrIyEEEEPS5_m11less_div_10IyEEE10hipError_tT0_T1_T2_jT3_P12ihipStream_tbPNSt15iterator_traitsISJ_E10value_typeEPNSP_ISK_E10value_typeEPSL_NS1_7vsmem_tEENKUlT_SJ_SK_SL_E_clISE_PySF_SF_EESI_SY_SJ_SK_SL_EUlSY_E0_NS1_11comp_targetILNS1_3genE8ELNS1_11target_archE1030ELNS1_3gpuE2ELNS1_3repE0EEENS1_38merge_mergepath_config_static_selectorELNS0_4arch9wavefront6targetE0EEEvSK_ ; -- Begin function _ZN7rocprim17ROCPRIM_400000_NS6detail17trampoline_kernelINS0_14default_configENS1_38merge_sort_block_merge_config_selectorIyNS0_10empty_typeEEEZZNS1_27merge_sort_block_merge_implIS3_N6thrust23THRUST_200600_302600_NS6detail15normal_iteratorINS9_10device_ptrIyEEEEPS5_m11less_div_10IyEEE10hipError_tT0_T1_T2_jT3_P12ihipStream_tbPNSt15iterator_traitsISJ_E10value_typeEPNSP_ISK_E10value_typeEPSL_NS1_7vsmem_tEENKUlT_SJ_SK_SL_E_clISE_PySF_SF_EESI_SY_SJ_SK_SL_EUlSY_E0_NS1_11comp_targetILNS1_3genE8ELNS1_11target_archE1030ELNS1_3gpuE2ELNS1_3repE0EEENS1_38merge_mergepath_config_static_selectorELNS0_4arch9wavefront6targetE0EEEvSK_
	.globl	_ZN7rocprim17ROCPRIM_400000_NS6detail17trampoline_kernelINS0_14default_configENS1_38merge_sort_block_merge_config_selectorIyNS0_10empty_typeEEEZZNS1_27merge_sort_block_merge_implIS3_N6thrust23THRUST_200600_302600_NS6detail15normal_iteratorINS9_10device_ptrIyEEEEPS5_m11less_div_10IyEEE10hipError_tT0_T1_T2_jT3_P12ihipStream_tbPNSt15iterator_traitsISJ_E10value_typeEPNSP_ISK_E10value_typeEPSL_NS1_7vsmem_tEENKUlT_SJ_SK_SL_E_clISE_PySF_SF_EESI_SY_SJ_SK_SL_EUlSY_E0_NS1_11comp_targetILNS1_3genE8ELNS1_11target_archE1030ELNS1_3gpuE2ELNS1_3repE0EEENS1_38merge_mergepath_config_static_selectorELNS0_4arch9wavefront6targetE0EEEvSK_
	.p2align	8
	.type	_ZN7rocprim17ROCPRIM_400000_NS6detail17trampoline_kernelINS0_14default_configENS1_38merge_sort_block_merge_config_selectorIyNS0_10empty_typeEEEZZNS1_27merge_sort_block_merge_implIS3_N6thrust23THRUST_200600_302600_NS6detail15normal_iteratorINS9_10device_ptrIyEEEEPS5_m11less_div_10IyEEE10hipError_tT0_T1_T2_jT3_P12ihipStream_tbPNSt15iterator_traitsISJ_E10value_typeEPNSP_ISK_E10value_typeEPSL_NS1_7vsmem_tEENKUlT_SJ_SK_SL_E_clISE_PySF_SF_EESI_SY_SJ_SK_SL_EUlSY_E0_NS1_11comp_targetILNS1_3genE8ELNS1_11target_archE1030ELNS1_3gpuE2ELNS1_3repE0EEENS1_38merge_mergepath_config_static_selectorELNS0_4arch9wavefront6targetE0EEEvSK_,@function
_ZN7rocprim17ROCPRIM_400000_NS6detail17trampoline_kernelINS0_14default_configENS1_38merge_sort_block_merge_config_selectorIyNS0_10empty_typeEEEZZNS1_27merge_sort_block_merge_implIS3_N6thrust23THRUST_200600_302600_NS6detail15normal_iteratorINS9_10device_ptrIyEEEEPS5_m11less_div_10IyEEE10hipError_tT0_T1_T2_jT3_P12ihipStream_tbPNSt15iterator_traitsISJ_E10value_typeEPNSP_ISK_E10value_typeEPSL_NS1_7vsmem_tEENKUlT_SJ_SK_SL_E_clISE_PySF_SF_EESI_SY_SJ_SK_SL_EUlSY_E0_NS1_11comp_targetILNS1_3genE8ELNS1_11target_archE1030ELNS1_3gpuE2ELNS1_3repE0EEENS1_38merge_mergepath_config_static_selectorELNS0_4arch9wavefront6targetE0EEEvSK_: ; @_ZN7rocprim17ROCPRIM_400000_NS6detail17trampoline_kernelINS0_14default_configENS1_38merge_sort_block_merge_config_selectorIyNS0_10empty_typeEEEZZNS1_27merge_sort_block_merge_implIS3_N6thrust23THRUST_200600_302600_NS6detail15normal_iteratorINS9_10device_ptrIyEEEEPS5_m11less_div_10IyEEE10hipError_tT0_T1_T2_jT3_P12ihipStream_tbPNSt15iterator_traitsISJ_E10value_typeEPNSP_ISK_E10value_typeEPSL_NS1_7vsmem_tEENKUlT_SJ_SK_SL_E_clISE_PySF_SF_EESI_SY_SJ_SK_SL_EUlSY_E0_NS1_11comp_targetILNS1_3genE8ELNS1_11target_archE1030ELNS1_3gpuE2ELNS1_3repE0EEENS1_38merge_mergepath_config_static_selectorELNS0_4arch9wavefront6targetE0EEEvSK_
; %bb.0:
	s_clause 0x1
	s_load_dwordx2 s[0:1], s[4:5], 0x48
	s_load_dword s2, s[4:5], 0x38
	s_waitcnt lgkmcnt(0)
	s_mul_i32 s1, s1, s8
	s_add_i32 s1, s1, s7
	s_mul_i32 s0, s1, s0
	s_add_i32 s16, s0, s6
	s_cmp_ge_u32 s16, s2
	s_cbranch_scc1 .LBB63_28
; %bb.1:
	s_clause 0x1
	s_load_dwordx2 s[0:1], s[4:5], 0x40
	s_load_dwordx4 s[8:11], s[4:5], 0x28
	s_mov_b32 s17, 0
	s_lshl_b64 s[2:3], s[16:17], 3
	s_waitcnt lgkmcnt(0)
	s_add_u32 s0, s0, s2
	s_addc_u32 s1, s1, s3
	s_lshl_b64 s[6:7], s[16:17], 10
	s_load_dwordx4 s[12:15], s[0:1], 0x0
	s_lshr_b64 s[0:1], s[10:11], 9
	s_mov_b32 s1, s17
	s_and_b32 s0, s0, -2
	s_sub_i32 s23, 0, s0
	s_and_b32 s0, s16, s23
	s_lshl_b64 s[18:19], s[0:1], 10
	s_sub_u32 s24, s6, s18
	s_subb_u32 s25, s7, s19
	s_lshl_b64 s[20:21], s[0:1], 11
	s_load_dwordx4 s[0:3], s[4:5], 0x8
	s_add_u32 s4, s20, s10
	s_addc_u32 s22, s21, s11
	s_add_u32 s5, s4, s24
	s_addc_u32 s20, s22, s25
	s_waitcnt lgkmcnt(0)
	s_sub_u32 s21, s5, s14
	s_subb_u32 s15, s20, s15
	s_add_u32 s24, s21, 0x400
	s_addc_u32 s25, s15, 0
	v_cmp_lt_u64_e64 s15, s[8:9], s[24:25]
	s_and_b32 s15, s15, exec_lo
	s_cselect_b32 s21, s8, s24
	s_or_b32 s15, s16, s23
	s_cmp_lg_u32 s15, -1
	s_mov_b32 s15, -1
	s_cbranch_scc1 .LBB63_3
; %bb.2:
	s_sub_u32 s18, s4, s18
	s_subb_u32 s19, s22, s19
	v_cmp_lt_u64_e64 s4, s[8:9], s[18:19]
	s_and_b32 s4, s4, exec_lo
	s_cselect_b32 s14, s8, s18
	s_add_u32 s10, s18, s10
	s_addc_u32 s11, s19, s11
	v_cmp_lt_u64_e64 s4, s[8:9], s[10:11]
	s_and_b32 s4, s4, exec_lo
	s_cselect_b32 s21, s8, s10
.LBB63_3:
	s_lshr_b64 s[18:19], s[8:9], 10
	v_lshlrev_b32_e32 v5, 3, v0
	s_cmp_lg_u64 s[18:19], s[16:17]
	s_cselect_b32 s4, -1, 0
	s_sub_u32 s10, s5, s12
	s_subb_u32 s11, s20, s13
	v_cmp_lt_u64_e64 s5, s[8:9], s[10:11]
	s_and_b32 s5, s5, exec_lo
	s_cselect_b32 s10, s8, s10
	s_cselect_b32 s11, s9, s11
	s_sub_i32 s5, s14, s12
	s_lshl_b64 s[12:13], s[12:13], 3
	s_sub_i32 s9, s21, s10
	s_add_u32 s12, s0, s12
	s_addc_u32 s13, s1, s13
	s_lshl_b64 s[10:11], s[10:11], 3
	s_add_u32 s10, s0, s10
	s_addc_u32 s11, s1, s11
	s_cmp_eq_u64 s[18:19], s[16:17]
	s_cbranch_scc1 .LBB63_5
; %bb.4:
	v_sub_co_u32 v1, vcc_lo, v0, s5
	v_mov_b32_e32 v2, 0
	v_add_co_u32 v3, s0, s12, v5
	v_add_co_ci_u32_e64 v4, null, s13, 0, s0
	v_lshlrev_b64 v[1:2], 3, v[1:2]
	s_add_i32 s1, s5, s9
	s_mov_b32 s17, -1
	v_add_co_u32 v1, s0, s10, v1
	v_add_co_ci_u32_e64 v2, null, s11, v2, s0
	v_cndmask_b32_e32 v3, v1, v3, vcc_lo
	v_cndmask_b32_e32 v4, v2, v4, vcc_lo
	s_cbranch_execz .LBB63_6
	s_branch .LBB63_9
.LBB63_5:
                                        ; implicit-def: $vgpr3_vgpr4
                                        ; implicit-def: $sgpr1
	s_andn2_b32 vcc_lo, exec_lo, s15
	s_cbranch_vccnz .LBB63_9
.LBB63_6:
	s_add_i32 s1, s5, s9
	s_mov_b32 s14, exec_lo
                                        ; implicit-def: $vgpr3_vgpr4
	v_cmpx_gt_u32_e64 s1, v0
	s_cbranch_execz .LBB63_8
; %bb.7:
	v_sub_co_u32 v1, vcc_lo, v0, s5
	v_mov_b32_e32 v2, 0
	v_add_co_u32 v3, s0, s12, v5
	v_add_co_ci_u32_e64 v4, null, s13, 0, s0
	v_lshlrev_b64 v[1:2], 3, v[1:2]
	s_or_b32 s17, s17, exec_lo
	v_add_co_u32 v1, s0, s10, v1
	v_add_co_ci_u32_e64 v2, null, s11, v2, s0
	v_cndmask_b32_e32 v3, v1, v3, vcc_lo
	v_cndmask_b32_e32 v4, v2, v4, vcc_lo
.LBB63_8:
	s_or_b32 exec_lo, exec_lo, s14
.LBB63_9:
	v_mov_b32_e32 v6, s1
                                        ; implicit-def: $vgpr1_vgpr2
	s_and_saveexec_b32 s0, s17
	s_cbranch_execz .LBB63_11
; %bb.10:
	global_load_dwordx2 v[1:2], v[3:4], off
	v_mov_b32_e32 v6, s1
.LBB63_11:
	s_or_b32 exec_lo, exec_lo, s0
	v_min_u32_e32 v4, v6, v0
	s_mov_b32 s0, exec_lo
	s_waitcnt vmcnt(0)
	ds_write_b64 v5, v[1:2]
	s_waitcnt lgkmcnt(0)
	s_barrier
	v_sub_nc_u32_e64 v3, v4, s9 clamp
	v_min_u32_e32 v7, s5, v4
	buffer_gl0_inv
	v_cmpx_lt_u32_e64 v3, v7
	s_cbranch_execz .LBB63_15
; %bb.12:
	v_lshlrev_b32_e32 v8, 3, v4
	s_mov_b32 s1, 0
	v_lshl_add_u32 v8, s5, 3, v8
	.p2align	6
.LBB63_13:                              ; =>This Inner Loop Header: Depth=1
	v_add_nc_u32_e32 v9, v7, v3
	v_lshrrev_b32_e32 v9, 1, v9
	v_not_b32_e32 v10, v9
	v_lshlrev_b32_e32 v11, 3, v9
	v_lshl_add_u32 v10, v10, 3, v8
	ds_read_b32 v11, v11
	ds_read_b32 v10, v10
	s_waitcnt lgkmcnt(1)
	v_mul_hi_i32 v11, 0x66666667, v11
	s_waitcnt lgkmcnt(0)
	v_mul_hi_i32 v10, 0x66666667, v10
	v_lshrrev_b32_e32 v12, 31, v11
	v_ashrrev_i32_e32 v11, 2, v11
	v_lshrrev_b32_e32 v13, 31, v10
	v_ashrrev_i32_e32 v10, 2, v10
	v_add_nc_u32_e32 v11, v11, v12
	v_add_nc_u32_e32 v12, 1, v9
	;; [unrolled: 1-line block ×3, first 2 shown]
	v_cmp_lt_i32_e32 vcc_lo, v10, v11
	v_cndmask_b32_e32 v7, v7, v9, vcc_lo
	v_cndmask_b32_e32 v3, v12, v3, vcc_lo
	v_cmp_ge_u32_e32 vcc_lo, v3, v7
	s_or_b32 s1, vcc_lo, s1
	s_andn2_b32 exec_lo, exec_lo, s1
	s_cbranch_execnz .LBB63_13
; %bb.14:
	s_or_b32 exec_lo, exec_lo, s1
.LBB63_15:
	s_or_b32 exec_lo, exec_lo, s0
	v_sub_nc_u32_e32 v4, v4, v3
	v_cmp_ge_u32_e32 vcc_lo, s5, v3
	v_add_nc_u32_e32 v7, s5, v4
	v_cmp_le_u32_e64 s0, v7, v6
	s_or_b32 s0, vcc_lo, s0
	s_and_saveexec_b32 s1, s0
	s_cbranch_execz .LBB63_23
; %bb.16:
	v_cmp_gt_u32_e64 s0, s5, v3
	v_cmp_le_u32_e32 vcc_lo, s5, v3
                                        ; implicit-def: $vgpr1_vgpr2
	s_and_saveexec_b32 s5, s0
; %bb.17:
	v_lshlrev_b32_e32 v1, 3, v3
	ds_read_b64 v[1:2], v1
; %bb.18:
	s_or_b32 exec_lo, exec_lo, s5
	v_cmp_ge_u32_e64 s5, v7, v6
	s_mov_b32 s9, exec_lo
                                        ; implicit-def: $vgpr3_vgpr4
	v_cmpx_lt_u32_e64 v7, v6
; %bb.19:
	v_lshlrev_b32_e32 v3, 3, v7
	ds_read_b64 v[3:4], v3
; %bb.20:
	s_or_b32 exec_lo, exec_lo, s9
	s_nor_b32 s9, vcc_lo, s5
	s_and_saveexec_b32 s0, s9
	s_cbranch_execz .LBB63_22
; %bb.21:
	s_waitcnt lgkmcnt(0)
	v_mul_hi_i32 v6, 0x66666667, v3
	v_mul_hi_i32 v7, 0x66666667, v1
	s_andn2_b32 s5, s5, exec_lo
	v_lshrrev_b32_e32 v8, 31, v6
	v_ashrrev_i32_e32 v6, 2, v6
	v_lshrrev_b32_e32 v9, 31, v7
	v_ashrrev_i32_e32 v7, 2, v7
	v_add_nc_u32_e32 v6, v6, v8
	v_add_nc_u32_e32 v7, v7, v9
	v_cmp_ge_i32_e32 vcc_lo, v6, v7
	s_and_b32 s9, vcc_lo, exec_lo
	s_or_b32 s5, s5, s9
.LBB63_22:
	s_or_b32 exec_lo, exec_lo, s0
	s_waitcnt lgkmcnt(0)
	v_cndmask_b32_e64 v2, v4, v2, s5
	v_cndmask_b32_e64 v1, v3, v1, s5
.LBB63_23:
	s_or_b32 exec_lo, exec_lo, s1
	s_and_b32 vcc_lo, exec_lo, s4
	s_mov_b32 s0, -1
	s_barrier
	buffer_gl0_inv
	s_barrier
	buffer_gl0_inv
	s_cbranch_vccz .LBB63_25
; %bb.24:
	ds_write_b64 v5, v[1:2]
	s_waitcnt lgkmcnt(0)
	s_barrier
	buffer_gl0_inv
	ds_read_b64 v[3:4], v5
	s_lshl_b64 s[0:1], s[6:7], 3
	s_add_u32 s4, s2, s0
	s_addc_u32 s5, s3, s1
	s_mov_b32 s0, 0
	s_waitcnt lgkmcnt(0)
	global_store_dwordx2 v5, v[3:4], s[4:5]
.LBB63_25:
	s_andn2_b32 vcc_lo, exec_lo, s0
	s_cbranch_vccnz .LBB63_28
; %bb.26:
	s_sub_i32 s0, s8, s6
	ds_write_b64 v5, v[1:2]
	v_cmp_gt_u32_e32 vcc_lo, s0, v0
	s_waitcnt lgkmcnt(0)
	s_waitcnt_vscnt null, 0x0
	s_barrier
	buffer_gl0_inv
	s_and_saveexec_b32 s0, vcc_lo
	s_cbranch_execz .LBB63_28
; %bb.27:
	ds_read_b64 v[0:1], v5
	s_lshl_b64 s[0:1], s[6:7], 3
	s_add_u32 s0, s2, s0
	s_addc_u32 s1, s3, s1
	s_waitcnt lgkmcnt(0)
	global_store_dwordx2 v5, v[0:1], s[0:1]
.LBB63_28:
	s_endpgm
	.section	.rodata,"a",@progbits
	.p2align	6, 0x0
	.amdhsa_kernel _ZN7rocprim17ROCPRIM_400000_NS6detail17trampoline_kernelINS0_14default_configENS1_38merge_sort_block_merge_config_selectorIyNS0_10empty_typeEEEZZNS1_27merge_sort_block_merge_implIS3_N6thrust23THRUST_200600_302600_NS6detail15normal_iteratorINS9_10device_ptrIyEEEEPS5_m11less_div_10IyEEE10hipError_tT0_T1_T2_jT3_P12ihipStream_tbPNSt15iterator_traitsISJ_E10value_typeEPNSP_ISK_E10value_typeEPSL_NS1_7vsmem_tEENKUlT_SJ_SK_SL_E_clISE_PySF_SF_EESI_SY_SJ_SK_SL_EUlSY_E0_NS1_11comp_targetILNS1_3genE8ELNS1_11target_archE1030ELNS1_3gpuE2ELNS1_3repE0EEENS1_38merge_mergepath_config_static_selectorELNS0_4arch9wavefront6targetE0EEEvSK_
		.amdhsa_group_segment_fixed_size 8208
		.amdhsa_private_segment_fixed_size 0
		.amdhsa_kernarg_size 328
		.amdhsa_user_sgpr_count 6
		.amdhsa_user_sgpr_private_segment_buffer 1
		.amdhsa_user_sgpr_dispatch_ptr 0
		.amdhsa_user_sgpr_queue_ptr 0
		.amdhsa_user_sgpr_kernarg_segment_ptr 1
		.amdhsa_user_sgpr_dispatch_id 0
		.amdhsa_user_sgpr_flat_scratch_init 0
		.amdhsa_user_sgpr_private_segment_size 0
		.amdhsa_wavefront_size32 1
		.amdhsa_uses_dynamic_stack 0
		.amdhsa_system_sgpr_private_segment_wavefront_offset 0
		.amdhsa_system_sgpr_workgroup_id_x 1
		.amdhsa_system_sgpr_workgroup_id_y 1
		.amdhsa_system_sgpr_workgroup_id_z 1
		.amdhsa_system_sgpr_workgroup_info 0
		.amdhsa_system_vgpr_workitem_id 0
		.amdhsa_next_free_vgpr 14
		.amdhsa_next_free_sgpr 26
		.amdhsa_reserve_vcc 1
		.amdhsa_reserve_flat_scratch 0
		.amdhsa_float_round_mode_32 0
		.amdhsa_float_round_mode_16_64 0
		.amdhsa_float_denorm_mode_32 3
		.amdhsa_float_denorm_mode_16_64 3
		.amdhsa_dx10_clamp 1
		.amdhsa_ieee_mode 1
		.amdhsa_fp16_overflow 0
		.amdhsa_workgroup_processor_mode 1
		.amdhsa_memory_ordered 1
		.amdhsa_forward_progress 1
		.amdhsa_shared_vgpr_count 0
		.amdhsa_exception_fp_ieee_invalid_op 0
		.amdhsa_exception_fp_denorm_src 0
		.amdhsa_exception_fp_ieee_div_zero 0
		.amdhsa_exception_fp_ieee_overflow 0
		.amdhsa_exception_fp_ieee_underflow 0
		.amdhsa_exception_fp_ieee_inexact 0
		.amdhsa_exception_int_div_zero 0
	.end_amdhsa_kernel
	.section	.text._ZN7rocprim17ROCPRIM_400000_NS6detail17trampoline_kernelINS0_14default_configENS1_38merge_sort_block_merge_config_selectorIyNS0_10empty_typeEEEZZNS1_27merge_sort_block_merge_implIS3_N6thrust23THRUST_200600_302600_NS6detail15normal_iteratorINS9_10device_ptrIyEEEEPS5_m11less_div_10IyEEE10hipError_tT0_T1_T2_jT3_P12ihipStream_tbPNSt15iterator_traitsISJ_E10value_typeEPNSP_ISK_E10value_typeEPSL_NS1_7vsmem_tEENKUlT_SJ_SK_SL_E_clISE_PySF_SF_EESI_SY_SJ_SK_SL_EUlSY_E0_NS1_11comp_targetILNS1_3genE8ELNS1_11target_archE1030ELNS1_3gpuE2ELNS1_3repE0EEENS1_38merge_mergepath_config_static_selectorELNS0_4arch9wavefront6targetE0EEEvSK_,"axG",@progbits,_ZN7rocprim17ROCPRIM_400000_NS6detail17trampoline_kernelINS0_14default_configENS1_38merge_sort_block_merge_config_selectorIyNS0_10empty_typeEEEZZNS1_27merge_sort_block_merge_implIS3_N6thrust23THRUST_200600_302600_NS6detail15normal_iteratorINS9_10device_ptrIyEEEEPS5_m11less_div_10IyEEE10hipError_tT0_T1_T2_jT3_P12ihipStream_tbPNSt15iterator_traitsISJ_E10value_typeEPNSP_ISK_E10value_typeEPSL_NS1_7vsmem_tEENKUlT_SJ_SK_SL_E_clISE_PySF_SF_EESI_SY_SJ_SK_SL_EUlSY_E0_NS1_11comp_targetILNS1_3genE8ELNS1_11target_archE1030ELNS1_3gpuE2ELNS1_3repE0EEENS1_38merge_mergepath_config_static_selectorELNS0_4arch9wavefront6targetE0EEEvSK_,comdat
.Lfunc_end63:
	.size	_ZN7rocprim17ROCPRIM_400000_NS6detail17trampoline_kernelINS0_14default_configENS1_38merge_sort_block_merge_config_selectorIyNS0_10empty_typeEEEZZNS1_27merge_sort_block_merge_implIS3_N6thrust23THRUST_200600_302600_NS6detail15normal_iteratorINS9_10device_ptrIyEEEEPS5_m11less_div_10IyEEE10hipError_tT0_T1_T2_jT3_P12ihipStream_tbPNSt15iterator_traitsISJ_E10value_typeEPNSP_ISK_E10value_typeEPSL_NS1_7vsmem_tEENKUlT_SJ_SK_SL_E_clISE_PySF_SF_EESI_SY_SJ_SK_SL_EUlSY_E0_NS1_11comp_targetILNS1_3genE8ELNS1_11target_archE1030ELNS1_3gpuE2ELNS1_3repE0EEENS1_38merge_mergepath_config_static_selectorELNS0_4arch9wavefront6targetE0EEEvSK_, .Lfunc_end63-_ZN7rocprim17ROCPRIM_400000_NS6detail17trampoline_kernelINS0_14default_configENS1_38merge_sort_block_merge_config_selectorIyNS0_10empty_typeEEEZZNS1_27merge_sort_block_merge_implIS3_N6thrust23THRUST_200600_302600_NS6detail15normal_iteratorINS9_10device_ptrIyEEEEPS5_m11less_div_10IyEEE10hipError_tT0_T1_T2_jT3_P12ihipStream_tbPNSt15iterator_traitsISJ_E10value_typeEPNSP_ISK_E10value_typeEPSL_NS1_7vsmem_tEENKUlT_SJ_SK_SL_E_clISE_PySF_SF_EESI_SY_SJ_SK_SL_EUlSY_E0_NS1_11comp_targetILNS1_3genE8ELNS1_11target_archE1030ELNS1_3gpuE2ELNS1_3repE0EEENS1_38merge_mergepath_config_static_selectorELNS0_4arch9wavefront6targetE0EEEvSK_
                                        ; -- End function
	.set _ZN7rocprim17ROCPRIM_400000_NS6detail17trampoline_kernelINS0_14default_configENS1_38merge_sort_block_merge_config_selectorIyNS0_10empty_typeEEEZZNS1_27merge_sort_block_merge_implIS3_N6thrust23THRUST_200600_302600_NS6detail15normal_iteratorINS9_10device_ptrIyEEEEPS5_m11less_div_10IyEEE10hipError_tT0_T1_T2_jT3_P12ihipStream_tbPNSt15iterator_traitsISJ_E10value_typeEPNSP_ISK_E10value_typeEPSL_NS1_7vsmem_tEENKUlT_SJ_SK_SL_E_clISE_PySF_SF_EESI_SY_SJ_SK_SL_EUlSY_E0_NS1_11comp_targetILNS1_3genE8ELNS1_11target_archE1030ELNS1_3gpuE2ELNS1_3repE0EEENS1_38merge_mergepath_config_static_selectorELNS0_4arch9wavefront6targetE0EEEvSK_.num_vgpr, 14
	.set _ZN7rocprim17ROCPRIM_400000_NS6detail17trampoline_kernelINS0_14default_configENS1_38merge_sort_block_merge_config_selectorIyNS0_10empty_typeEEEZZNS1_27merge_sort_block_merge_implIS3_N6thrust23THRUST_200600_302600_NS6detail15normal_iteratorINS9_10device_ptrIyEEEEPS5_m11less_div_10IyEEE10hipError_tT0_T1_T2_jT3_P12ihipStream_tbPNSt15iterator_traitsISJ_E10value_typeEPNSP_ISK_E10value_typeEPSL_NS1_7vsmem_tEENKUlT_SJ_SK_SL_E_clISE_PySF_SF_EESI_SY_SJ_SK_SL_EUlSY_E0_NS1_11comp_targetILNS1_3genE8ELNS1_11target_archE1030ELNS1_3gpuE2ELNS1_3repE0EEENS1_38merge_mergepath_config_static_selectorELNS0_4arch9wavefront6targetE0EEEvSK_.num_agpr, 0
	.set _ZN7rocprim17ROCPRIM_400000_NS6detail17trampoline_kernelINS0_14default_configENS1_38merge_sort_block_merge_config_selectorIyNS0_10empty_typeEEEZZNS1_27merge_sort_block_merge_implIS3_N6thrust23THRUST_200600_302600_NS6detail15normal_iteratorINS9_10device_ptrIyEEEEPS5_m11less_div_10IyEEE10hipError_tT0_T1_T2_jT3_P12ihipStream_tbPNSt15iterator_traitsISJ_E10value_typeEPNSP_ISK_E10value_typeEPSL_NS1_7vsmem_tEENKUlT_SJ_SK_SL_E_clISE_PySF_SF_EESI_SY_SJ_SK_SL_EUlSY_E0_NS1_11comp_targetILNS1_3genE8ELNS1_11target_archE1030ELNS1_3gpuE2ELNS1_3repE0EEENS1_38merge_mergepath_config_static_selectorELNS0_4arch9wavefront6targetE0EEEvSK_.numbered_sgpr, 26
	.set _ZN7rocprim17ROCPRIM_400000_NS6detail17trampoline_kernelINS0_14default_configENS1_38merge_sort_block_merge_config_selectorIyNS0_10empty_typeEEEZZNS1_27merge_sort_block_merge_implIS3_N6thrust23THRUST_200600_302600_NS6detail15normal_iteratorINS9_10device_ptrIyEEEEPS5_m11less_div_10IyEEE10hipError_tT0_T1_T2_jT3_P12ihipStream_tbPNSt15iterator_traitsISJ_E10value_typeEPNSP_ISK_E10value_typeEPSL_NS1_7vsmem_tEENKUlT_SJ_SK_SL_E_clISE_PySF_SF_EESI_SY_SJ_SK_SL_EUlSY_E0_NS1_11comp_targetILNS1_3genE8ELNS1_11target_archE1030ELNS1_3gpuE2ELNS1_3repE0EEENS1_38merge_mergepath_config_static_selectorELNS0_4arch9wavefront6targetE0EEEvSK_.num_named_barrier, 0
	.set _ZN7rocprim17ROCPRIM_400000_NS6detail17trampoline_kernelINS0_14default_configENS1_38merge_sort_block_merge_config_selectorIyNS0_10empty_typeEEEZZNS1_27merge_sort_block_merge_implIS3_N6thrust23THRUST_200600_302600_NS6detail15normal_iteratorINS9_10device_ptrIyEEEEPS5_m11less_div_10IyEEE10hipError_tT0_T1_T2_jT3_P12ihipStream_tbPNSt15iterator_traitsISJ_E10value_typeEPNSP_ISK_E10value_typeEPSL_NS1_7vsmem_tEENKUlT_SJ_SK_SL_E_clISE_PySF_SF_EESI_SY_SJ_SK_SL_EUlSY_E0_NS1_11comp_targetILNS1_3genE8ELNS1_11target_archE1030ELNS1_3gpuE2ELNS1_3repE0EEENS1_38merge_mergepath_config_static_selectorELNS0_4arch9wavefront6targetE0EEEvSK_.private_seg_size, 0
	.set _ZN7rocprim17ROCPRIM_400000_NS6detail17trampoline_kernelINS0_14default_configENS1_38merge_sort_block_merge_config_selectorIyNS0_10empty_typeEEEZZNS1_27merge_sort_block_merge_implIS3_N6thrust23THRUST_200600_302600_NS6detail15normal_iteratorINS9_10device_ptrIyEEEEPS5_m11less_div_10IyEEE10hipError_tT0_T1_T2_jT3_P12ihipStream_tbPNSt15iterator_traitsISJ_E10value_typeEPNSP_ISK_E10value_typeEPSL_NS1_7vsmem_tEENKUlT_SJ_SK_SL_E_clISE_PySF_SF_EESI_SY_SJ_SK_SL_EUlSY_E0_NS1_11comp_targetILNS1_3genE8ELNS1_11target_archE1030ELNS1_3gpuE2ELNS1_3repE0EEENS1_38merge_mergepath_config_static_selectorELNS0_4arch9wavefront6targetE0EEEvSK_.uses_vcc, 1
	.set _ZN7rocprim17ROCPRIM_400000_NS6detail17trampoline_kernelINS0_14default_configENS1_38merge_sort_block_merge_config_selectorIyNS0_10empty_typeEEEZZNS1_27merge_sort_block_merge_implIS3_N6thrust23THRUST_200600_302600_NS6detail15normal_iteratorINS9_10device_ptrIyEEEEPS5_m11less_div_10IyEEE10hipError_tT0_T1_T2_jT3_P12ihipStream_tbPNSt15iterator_traitsISJ_E10value_typeEPNSP_ISK_E10value_typeEPSL_NS1_7vsmem_tEENKUlT_SJ_SK_SL_E_clISE_PySF_SF_EESI_SY_SJ_SK_SL_EUlSY_E0_NS1_11comp_targetILNS1_3genE8ELNS1_11target_archE1030ELNS1_3gpuE2ELNS1_3repE0EEENS1_38merge_mergepath_config_static_selectorELNS0_4arch9wavefront6targetE0EEEvSK_.uses_flat_scratch, 0
	.set _ZN7rocprim17ROCPRIM_400000_NS6detail17trampoline_kernelINS0_14default_configENS1_38merge_sort_block_merge_config_selectorIyNS0_10empty_typeEEEZZNS1_27merge_sort_block_merge_implIS3_N6thrust23THRUST_200600_302600_NS6detail15normal_iteratorINS9_10device_ptrIyEEEEPS5_m11less_div_10IyEEE10hipError_tT0_T1_T2_jT3_P12ihipStream_tbPNSt15iterator_traitsISJ_E10value_typeEPNSP_ISK_E10value_typeEPSL_NS1_7vsmem_tEENKUlT_SJ_SK_SL_E_clISE_PySF_SF_EESI_SY_SJ_SK_SL_EUlSY_E0_NS1_11comp_targetILNS1_3genE8ELNS1_11target_archE1030ELNS1_3gpuE2ELNS1_3repE0EEENS1_38merge_mergepath_config_static_selectorELNS0_4arch9wavefront6targetE0EEEvSK_.has_dyn_sized_stack, 0
	.set _ZN7rocprim17ROCPRIM_400000_NS6detail17trampoline_kernelINS0_14default_configENS1_38merge_sort_block_merge_config_selectorIyNS0_10empty_typeEEEZZNS1_27merge_sort_block_merge_implIS3_N6thrust23THRUST_200600_302600_NS6detail15normal_iteratorINS9_10device_ptrIyEEEEPS5_m11less_div_10IyEEE10hipError_tT0_T1_T2_jT3_P12ihipStream_tbPNSt15iterator_traitsISJ_E10value_typeEPNSP_ISK_E10value_typeEPSL_NS1_7vsmem_tEENKUlT_SJ_SK_SL_E_clISE_PySF_SF_EESI_SY_SJ_SK_SL_EUlSY_E0_NS1_11comp_targetILNS1_3genE8ELNS1_11target_archE1030ELNS1_3gpuE2ELNS1_3repE0EEENS1_38merge_mergepath_config_static_selectorELNS0_4arch9wavefront6targetE0EEEvSK_.has_recursion, 0
	.set _ZN7rocprim17ROCPRIM_400000_NS6detail17trampoline_kernelINS0_14default_configENS1_38merge_sort_block_merge_config_selectorIyNS0_10empty_typeEEEZZNS1_27merge_sort_block_merge_implIS3_N6thrust23THRUST_200600_302600_NS6detail15normal_iteratorINS9_10device_ptrIyEEEEPS5_m11less_div_10IyEEE10hipError_tT0_T1_T2_jT3_P12ihipStream_tbPNSt15iterator_traitsISJ_E10value_typeEPNSP_ISK_E10value_typeEPSL_NS1_7vsmem_tEENKUlT_SJ_SK_SL_E_clISE_PySF_SF_EESI_SY_SJ_SK_SL_EUlSY_E0_NS1_11comp_targetILNS1_3genE8ELNS1_11target_archE1030ELNS1_3gpuE2ELNS1_3repE0EEENS1_38merge_mergepath_config_static_selectorELNS0_4arch9wavefront6targetE0EEEvSK_.has_indirect_call, 0
	.section	.AMDGPU.csdata,"",@progbits
; Kernel info:
; codeLenInByte = 1168
; TotalNumSgprs: 28
; NumVgprs: 14
; ScratchSize: 0
; MemoryBound: 0
; FloatMode: 240
; IeeeMode: 1
; LDSByteSize: 8208 bytes/workgroup (compile time only)
; SGPRBlocks: 0
; VGPRBlocks: 1
; NumSGPRsForWavesPerEU: 28
; NumVGPRsForWavesPerEU: 14
; Occupancy: 16
; WaveLimiterHint : 0
; COMPUTE_PGM_RSRC2:SCRATCH_EN: 0
; COMPUTE_PGM_RSRC2:USER_SGPR: 6
; COMPUTE_PGM_RSRC2:TRAP_HANDLER: 0
; COMPUTE_PGM_RSRC2:TGID_X_EN: 1
; COMPUTE_PGM_RSRC2:TGID_Y_EN: 1
; COMPUTE_PGM_RSRC2:TGID_Z_EN: 1
; COMPUTE_PGM_RSRC2:TIDIG_COMP_CNT: 0
	.section	.text._ZN7rocprim17ROCPRIM_400000_NS6detail17trampoline_kernelINS0_14default_configENS1_38merge_sort_block_merge_config_selectorIyNS0_10empty_typeEEEZZNS1_27merge_sort_block_merge_implIS3_N6thrust23THRUST_200600_302600_NS6detail15normal_iteratorINS9_10device_ptrIyEEEEPS5_m11less_div_10IyEEE10hipError_tT0_T1_T2_jT3_P12ihipStream_tbPNSt15iterator_traitsISJ_E10value_typeEPNSP_ISK_E10value_typeEPSL_NS1_7vsmem_tEENKUlT_SJ_SK_SL_E_clISE_PySF_SF_EESI_SY_SJ_SK_SL_EUlSY_E1_NS1_11comp_targetILNS1_3genE0ELNS1_11target_archE4294967295ELNS1_3gpuE0ELNS1_3repE0EEENS1_36merge_oddeven_config_static_selectorELNS0_4arch9wavefront6targetE0EEEvSK_,"axG",@progbits,_ZN7rocprim17ROCPRIM_400000_NS6detail17trampoline_kernelINS0_14default_configENS1_38merge_sort_block_merge_config_selectorIyNS0_10empty_typeEEEZZNS1_27merge_sort_block_merge_implIS3_N6thrust23THRUST_200600_302600_NS6detail15normal_iteratorINS9_10device_ptrIyEEEEPS5_m11less_div_10IyEEE10hipError_tT0_T1_T2_jT3_P12ihipStream_tbPNSt15iterator_traitsISJ_E10value_typeEPNSP_ISK_E10value_typeEPSL_NS1_7vsmem_tEENKUlT_SJ_SK_SL_E_clISE_PySF_SF_EESI_SY_SJ_SK_SL_EUlSY_E1_NS1_11comp_targetILNS1_3genE0ELNS1_11target_archE4294967295ELNS1_3gpuE0ELNS1_3repE0EEENS1_36merge_oddeven_config_static_selectorELNS0_4arch9wavefront6targetE0EEEvSK_,comdat
	.protected	_ZN7rocprim17ROCPRIM_400000_NS6detail17trampoline_kernelINS0_14default_configENS1_38merge_sort_block_merge_config_selectorIyNS0_10empty_typeEEEZZNS1_27merge_sort_block_merge_implIS3_N6thrust23THRUST_200600_302600_NS6detail15normal_iteratorINS9_10device_ptrIyEEEEPS5_m11less_div_10IyEEE10hipError_tT0_T1_T2_jT3_P12ihipStream_tbPNSt15iterator_traitsISJ_E10value_typeEPNSP_ISK_E10value_typeEPSL_NS1_7vsmem_tEENKUlT_SJ_SK_SL_E_clISE_PySF_SF_EESI_SY_SJ_SK_SL_EUlSY_E1_NS1_11comp_targetILNS1_3genE0ELNS1_11target_archE4294967295ELNS1_3gpuE0ELNS1_3repE0EEENS1_36merge_oddeven_config_static_selectorELNS0_4arch9wavefront6targetE0EEEvSK_ ; -- Begin function _ZN7rocprim17ROCPRIM_400000_NS6detail17trampoline_kernelINS0_14default_configENS1_38merge_sort_block_merge_config_selectorIyNS0_10empty_typeEEEZZNS1_27merge_sort_block_merge_implIS3_N6thrust23THRUST_200600_302600_NS6detail15normal_iteratorINS9_10device_ptrIyEEEEPS5_m11less_div_10IyEEE10hipError_tT0_T1_T2_jT3_P12ihipStream_tbPNSt15iterator_traitsISJ_E10value_typeEPNSP_ISK_E10value_typeEPSL_NS1_7vsmem_tEENKUlT_SJ_SK_SL_E_clISE_PySF_SF_EESI_SY_SJ_SK_SL_EUlSY_E1_NS1_11comp_targetILNS1_3genE0ELNS1_11target_archE4294967295ELNS1_3gpuE0ELNS1_3repE0EEENS1_36merge_oddeven_config_static_selectorELNS0_4arch9wavefront6targetE0EEEvSK_
	.globl	_ZN7rocprim17ROCPRIM_400000_NS6detail17trampoline_kernelINS0_14default_configENS1_38merge_sort_block_merge_config_selectorIyNS0_10empty_typeEEEZZNS1_27merge_sort_block_merge_implIS3_N6thrust23THRUST_200600_302600_NS6detail15normal_iteratorINS9_10device_ptrIyEEEEPS5_m11less_div_10IyEEE10hipError_tT0_T1_T2_jT3_P12ihipStream_tbPNSt15iterator_traitsISJ_E10value_typeEPNSP_ISK_E10value_typeEPSL_NS1_7vsmem_tEENKUlT_SJ_SK_SL_E_clISE_PySF_SF_EESI_SY_SJ_SK_SL_EUlSY_E1_NS1_11comp_targetILNS1_3genE0ELNS1_11target_archE4294967295ELNS1_3gpuE0ELNS1_3repE0EEENS1_36merge_oddeven_config_static_selectorELNS0_4arch9wavefront6targetE0EEEvSK_
	.p2align	8
	.type	_ZN7rocprim17ROCPRIM_400000_NS6detail17trampoline_kernelINS0_14default_configENS1_38merge_sort_block_merge_config_selectorIyNS0_10empty_typeEEEZZNS1_27merge_sort_block_merge_implIS3_N6thrust23THRUST_200600_302600_NS6detail15normal_iteratorINS9_10device_ptrIyEEEEPS5_m11less_div_10IyEEE10hipError_tT0_T1_T2_jT3_P12ihipStream_tbPNSt15iterator_traitsISJ_E10value_typeEPNSP_ISK_E10value_typeEPSL_NS1_7vsmem_tEENKUlT_SJ_SK_SL_E_clISE_PySF_SF_EESI_SY_SJ_SK_SL_EUlSY_E1_NS1_11comp_targetILNS1_3genE0ELNS1_11target_archE4294967295ELNS1_3gpuE0ELNS1_3repE0EEENS1_36merge_oddeven_config_static_selectorELNS0_4arch9wavefront6targetE0EEEvSK_,@function
_ZN7rocprim17ROCPRIM_400000_NS6detail17trampoline_kernelINS0_14default_configENS1_38merge_sort_block_merge_config_selectorIyNS0_10empty_typeEEEZZNS1_27merge_sort_block_merge_implIS3_N6thrust23THRUST_200600_302600_NS6detail15normal_iteratorINS9_10device_ptrIyEEEEPS5_m11less_div_10IyEEE10hipError_tT0_T1_T2_jT3_P12ihipStream_tbPNSt15iterator_traitsISJ_E10value_typeEPNSP_ISK_E10value_typeEPSL_NS1_7vsmem_tEENKUlT_SJ_SK_SL_E_clISE_PySF_SF_EESI_SY_SJ_SK_SL_EUlSY_E1_NS1_11comp_targetILNS1_3genE0ELNS1_11target_archE4294967295ELNS1_3gpuE0ELNS1_3repE0EEENS1_36merge_oddeven_config_static_selectorELNS0_4arch9wavefront6targetE0EEEvSK_: ; @_ZN7rocprim17ROCPRIM_400000_NS6detail17trampoline_kernelINS0_14default_configENS1_38merge_sort_block_merge_config_selectorIyNS0_10empty_typeEEEZZNS1_27merge_sort_block_merge_implIS3_N6thrust23THRUST_200600_302600_NS6detail15normal_iteratorINS9_10device_ptrIyEEEEPS5_m11less_div_10IyEEE10hipError_tT0_T1_T2_jT3_P12ihipStream_tbPNSt15iterator_traitsISJ_E10value_typeEPNSP_ISK_E10value_typeEPSL_NS1_7vsmem_tEENKUlT_SJ_SK_SL_E_clISE_PySF_SF_EESI_SY_SJ_SK_SL_EUlSY_E1_NS1_11comp_targetILNS1_3genE0ELNS1_11target_archE4294967295ELNS1_3gpuE0ELNS1_3repE0EEENS1_36merge_oddeven_config_static_selectorELNS0_4arch9wavefront6targetE0EEEvSK_
; %bb.0:
	.section	.rodata,"a",@progbits
	.p2align	6, 0x0
	.amdhsa_kernel _ZN7rocprim17ROCPRIM_400000_NS6detail17trampoline_kernelINS0_14default_configENS1_38merge_sort_block_merge_config_selectorIyNS0_10empty_typeEEEZZNS1_27merge_sort_block_merge_implIS3_N6thrust23THRUST_200600_302600_NS6detail15normal_iteratorINS9_10device_ptrIyEEEEPS5_m11less_div_10IyEEE10hipError_tT0_T1_T2_jT3_P12ihipStream_tbPNSt15iterator_traitsISJ_E10value_typeEPNSP_ISK_E10value_typeEPSL_NS1_7vsmem_tEENKUlT_SJ_SK_SL_E_clISE_PySF_SF_EESI_SY_SJ_SK_SL_EUlSY_E1_NS1_11comp_targetILNS1_3genE0ELNS1_11target_archE4294967295ELNS1_3gpuE0ELNS1_3repE0EEENS1_36merge_oddeven_config_static_selectorELNS0_4arch9wavefront6targetE0EEEvSK_
		.amdhsa_group_segment_fixed_size 0
		.amdhsa_private_segment_fixed_size 0
		.amdhsa_kernarg_size 56
		.amdhsa_user_sgpr_count 6
		.amdhsa_user_sgpr_private_segment_buffer 1
		.amdhsa_user_sgpr_dispatch_ptr 0
		.amdhsa_user_sgpr_queue_ptr 0
		.amdhsa_user_sgpr_kernarg_segment_ptr 1
		.amdhsa_user_sgpr_dispatch_id 0
		.amdhsa_user_sgpr_flat_scratch_init 0
		.amdhsa_user_sgpr_private_segment_size 0
		.amdhsa_wavefront_size32 1
		.amdhsa_uses_dynamic_stack 0
		.amdhsa_system_sgpr_private_segment_wavefront_offset 0
		.amdhsa_system_sgpr_workgroup_id_x 1
		.amdhsa_system_sgpr_workgroup_id_y 0
		.amdhsa_system_sgpr_workgroup_id_z 0
		.amdhsa_system_sgpr_workgroup_info 0
		.amdhsa_system_vgpr_workitem_id 0
		.amdhsa_next_free_vgpr 1
		.amdhsa_next_free_sgpr 1
		.amdhsa_reserve_vcc 0
		.amdhsa_reserve_flat_scratch 0
		.amdhsa_float_round_mode_32 0
		.amdhsa_float_round_mode_16_64 0
		.amdhsa_float_denorm_mode_32 3
		.amdhsa_float_denorm_mode_16_64 3
		.amdhsa_dx10_clamp 1
		.amdhsa_ieee_mode 1
		.amdhsa_fp16_overflow 0
		.amdhsa_workgroup_processor_mode 1
		.amdhsa_memory_ordered 1
		.amdhsa_forward_progress 1
		.amdhsa_shared_vgpr_count 0
		.amdhsa_exception_fp_ieee_invalid_op 0
		.amdhsa_exception_fp_denorm_src 0
		.amdhsa_exception_fp_ieee_div_zero 0
		.amdhsa_exception_fp_ieee_overflow 0
		.amdhsa_exception_fp_ieee_underflow 0
		.amdhsa_exception_fp_ieee_inexact 0
		.amdhsa_exception_int_div_zero 0
	.end_amdhsa_kernel
	.section	.text._ZN7rocprim17ROCPRIM_400000_NS6detail17trampoline_kernelINS0_14default_configENS1_38merge_sort_block_merge_config_selectorIyNS0_10empty_typeEEEZZNS1_27merge_sort_block_merge_implIS3_N6thrust23THRUST_200600_302600_NS6detail15normal_iteratorINS9_10device_ptrIyEEEEPS5_m11less_div_10IyEEE10hipError_tT0_T1_T2_jT3_P12ihipStream_tbPNSt15iterator_traitsISJ_E10value_typeEPNSP_ISK_E10value_typeEPSL_NS1_7vsmem_tEENKUlT_SJ_SK_SL_E_clISE_PySF_SF_EESI_SY_SJ_SK_SL_EUlSY_E1_NS1_11comp_targetILNS1_3genE0ELNS1_11target_archE4294967295ELNS1_3gpuE0ELNS1_3repE0EEENS1_36merge_oddeven_config_static_selectorELNS0_4arch9wavefront6targetE0EEEvSK_,"axG",@progbits,_ZN7rocprim17ROCPRIM_400000_NS6detail17trampoline_kernelINS0_14default_configENS1_38merge_sort_block_merge_config_selectorIyNS0_10empty_typeEEEZZNS1_27merge_sort_block_merge_implIS3_N6thrust23THRUST_200600_302600_NS6detail15normal_iteratorINS9_10device_ptrIyEEEEPS5_m11less_div_10IyEEE10hipError_tT0_T1_T2_jT3_P12ihipStream_tbPNSt15iterator_traitsISJ_E10value_typeEPNSP_ISK_E10value_typeEPSL_NS1_7vsmem_tEENKUlT_SJ_SK_SL_E_clISE_PySF_SF_EESI_SY_SJ_SK_SL_EUlSY_E1_NS1_11comp_targetILNS1_3genE0ELNS1_11target_archE4294967295ELNS1_3gpuE0ELNS1_3repE0EEENS1_36merge_oddeven_config_static_selectorELNS0_4arch9wavefront6targetE0EEEvSK_,comdat
.Lfunc_end64:
	.size	_ZN7rocprim17ROCPRIM_400000_NS6detail17trampoline_kernelINS0_14default_configENS1_38merge_sort_block_merge_config_selectorIyNS0_10empty_typeEEEZZNS1_27merge_sort_block_merge_implIS3_N6thrust23THRUST_200600_302600_NS6detail15normal_iteratorINS9_10device_ptrIyEEEEPS5_m11less_div_10IyEEE10hipError_tT0_T1_T2_jT3_P12ihipStream_tbPNSt15iterator_traitsISJ_E10value_typeEPNSP_ISK_E10value_typeEPSL_NS1_7vsmem_tEENKUlT_SJ_SK_SL_E_clISE_PySF_SF_EESI_SY_SJ_SK_SL_EUlSY_E1_NS1_11comp_targetILNS1_3genE0ELNS1_11target_archE4294967295ELNS1_3gpuE0ELNS1_3repE0EEENS1_36merge_oddeven_config_static_selectorELNS0_4arch9wavefront6targetE0EEEvSK_, .Lfunc_end64-_ZN7rocprim17ROCPRIM_400000_NS6detail17trampoline_kernelINS0_14default_configENS1_38merge_sort_block_merge_config_selectorIyNS0_10empty_typeEEEZZNS1_27merge_sort_block_merge_implIS3_N6thrust23THRUST_200600_302600_NS6detail15normal_iteratorINS9_10device_ptrIyEEEEPS5_m11less_div_10IyEEE10hipError_tT0_T1_T2_jT3_P12ihipStream_tbPNSt15iterator_traitsISJ_E10value_typeEPNSP_ISK_E10value_typeEPSL_NS1_7vsmem_tEENKUlT_SJ_SK_SL_E_clISE_PySF_SF_EESI_SY_SJ_SK_SL_EUlSY_E1_NS1_11comp_targetILNS1_3genE0ELNS1_11target_archE4294967295ELNS1_3gpuE0ELNS1_3repE0EEENS1_36merge_oddeven_config_static_selectorELNS0_4arch9wavefront6targetE0EEEvSK_
                                        ; -- End function
	.set _ZN7rocprim17ROCPRIM_400000_NS6detail17trampoline_kernelINS0_14default_configENS1_38merge_sort_block_merge_config_selectorIyNS0_10empty_typeEEEZZNS1_27merge_sort_block_merge_implIS3_N6thrust23THRUST_200600_302600_NS6detail15normal_iteratorINS9_10device_ptrIyEEEEPS5_m11less_div_10IyEEE10hipError_tT0_T1_T2_jT3_P12ihipStream_tbPNSt15iterator_traitsISJ_E10value_typeEPNSP_ISK_E10value_typeEPSL_NS1_7vsmem_tEENKUlT_SJ_SK_SL_E_clISE_PySF_SF_EESI_SY_SJ_SK_SL_EUlSY_E1_NS1_11comp_targetILNS1_3genE0ELNS1_11target_archE4294967295ELNS1_3gpuE0ELNS1_3repE0EEENS1_36merge_oddeven_config_static_selectorELNS0_4arch9wavefront6targetE0EEEvSK_.num_vgpr, 0
	.set _ZN7rocprim17ROCPRIM_400000_NS6detail17trampoline_kernelINS0_14default_configENS1_38merge_sort_block_merge_config_selectorIyNS0_10empty_typeEEEZZNS1_27merge_sort_block_merge_implIS3_N6thrust23THRUST_200600_302600_NS6detail15normal_iteratorINS9_10device_ptrIyEEEEPS5_m11less_div_10IyEEE10hipError_tT0_T1_T2_jT3_P12ihipStream_tbPNSt15iterator_traitsISJ_E10value_typeEPNSP_ISK_E10value_typeEPSL_NS1_7vsmem_tEENKUlT_SJ_SK_SL_E_clISE_PySF_SF_EESI_SY_SJ_SK_SL_EUlSY_E1_NS1_11comp_targetILNS1_3genE0ELNS1_11target_archE4294967295ELNS1_3gpuE0ELNS1_3repE0EEENS1_36merge_oddeven_config_static_selectorELNS0_4arch9wavefront6targetE0EEEvSK_.num_agpr, 0
	.set _ZN7rocprim17ROCPRIM_400000_NS6detail17trampoline_kernelINS0_14default_configENS1_38merge_sort_block_merge_config_selectorIyNS0_10empty_typeEEEZZNS1_27merge_sort_block_merge_implIS3_N6thrust23THRUST_200600_302600_NS6detail15normal_iteratorINS9_10device_ptrIyEEEEPS5_m11less_div_10IyEEE10hipError_tT0_T1_T2_jT3_P12ihipStream_tbPNSt15iterator_traitsISJ_E10value_typeEPNSP_ISK_E10value_typeEPSL_NS1_7vsmem_tEENKUlT_SJ_SK_SL_E_clISE_PySF_SF_EESI_SY_SJ_SK_SL_EUlSY_E1_NS1_11comp_targetILNS1_3genE0ELNS1_11target_archE4294967295ELNS1_3gpuE0ELNS1_3repE0EEENS1_36merge_oddeven_config_static_selectorELNS0_4arch9wavefront6targetE0EEEvSK_.numbered_sgpr, 0
	.set _ZN7rocprim17ROCPRIM_400000_NS6detail17trampoline_kernelINS0_14default_configENS1_38merge_sort_block_merge_config_selectorIyNS0_10empty_typeEEEZZNS1_27merge_sort_block_merge_implIS3_N6thrust23THRUST_200600_302600_NS6detail15normal_iteratorINS9_10device_ptrIyEEEEPS5_m11less_div_10IyEEE10hipError_tT0_T1_T2_jT3_P12ihipStream_tbPNSt15iterator_traitsISJ_E10value_typeEPNSP_ISK_E10value_typeEPSL_NS1_7vsmem_tEENKUlT_SJ_SK_SL_E_clISE_PySF_SF_EESI_SY_SJ_SK_SL_EUlSY_E1_NS1_11comp_targetILNS1_3genE0ELNS1_11target_archE4294967295ELNS1_3gpuE0ELNS1_3repE0EEENS1_36merge_oddeven_config_static_selectorELNS0_4arch9wavefront6targetE0EEEvSK_.num_named_barrier, 0
	.set _ZN7rocprim17ROCPRIM_400000_NS6detail17trampoline_kernelINS0_14default_configENS1_38merge_sort_block_merge_config_selectorIyNS0_10empty_typeEEEZZNS1_27merge_sort_block_merge_implIS3_N6thrust23THRUST_200600_302600_NS6detail15normal_iteratorINS9_10device_ptrIyEEEEPS5_m11less_div_10IyEEE10hipError_tT0_T1_T2_jT3_P12ihipStream_tbPNSt15iterator_traitsISJ_E10value_typeEPNSP_ISK_E10value_typeEPSL_NS1_7vsmem_tEENKUlT_SJ_SK_SL_E_clISE_PySF_SF_EESI_SY_SJ_SK_SL_EUlSY_E1_NS1_11comp_targetILNS1_3genE0ELNS1_11target_archE4294967295ELNS1_3gpuE0ELNS1_3repE0EEENS1_36merge_oddeven_config_static_selectorELNS0_4arch9wavefront6targetE0EEEvSK_.private_seg_size, 0
	.set _ZN7rocprim17ROCPRIM_400000_NS6detail17trampoline_kernelINS0_14default_configENS1_38merge_sort_block_merge_config_selectorIyNS0_10empty_typeEEEZZNS1_27merge_sort_block_merge_implIS3_N6thrust23THRUST_200600_302600_NS6detail15normal_iteratorINS9_10device_ptrIyEEEEPS5_m11less_div_10IyEEE10hipError_tT0_T1_T2_jT3_P12ihipStream_tbPNSt15iterator_traitsISJ_E10value_typeEPNSP_ISK_E10value_typeEPSL_NS1_7vsmem_tEENKUlT_SJ_SK_SL_E_clISE_PySF_SF_EESI_SY_SJ_SK_SL_EUlSY_E1_NS1_11comp_targetILNS1_3genE0ELNS1_11target_archE4294967295ELNS1_3gpuE0ELNS1_3repE0EEENS1_36merge_oddeven_config_static_selectorELNS0_4arch9wavefront6targetE0EEEvSK_.uses_vcc, 0
	.set _ZN7rocprim17ROCPRIM_400000_NS6detail17trampoline_kernelINS0_14default_configENS1_38merge_sort_block_merge_config_selectorIyNS0_10empty_typeEEEZZNS1_27merge_sort_block_merge_implIS3_N6thrust23THRUST_200600_302600_NS6detail15normal_iteratorINS9_10device_ptrIyEEEEPS5_m11less_div_10IyEEE10hipError_tT0_T1_T2_jT3_P12ihipStream_tbPNSt15iterator_traitsISJ_E10value_typeEPNSP_ISK_E10value_typeEPSL_NS1_7vsmem_tEENKUlT_SJ_SK_SL_E_clISE_PySF_SF_EESI_SY_SJ_SK_SL_EUlSY_E1_NS1_11comp_targetILNS1_3genE0ELNS1_11target_archE4294967295ELNS1_3gpuE0ELNS1_3repE0EEENS1_36merge_oddeven_config_static_selectorELNS0_4arch9wavefront6targetE0EEEvSK_.uses_flat_scratch, 0
	.set _ZN7rocprim17ROCPRIM_400000_NS6detail17trampoline_kernelINS0_14default_configENS1_38merge_sort_block_merge_config_selectorIyNS0_10empty_typeEEEZZNS1_27merge_sort_block_merge_implIS3_N6thrust23THRUST_200600_302600_NS6detail15normal_iteratorINS9_10device_ptrIyEEEEPS5_m11less_div_10IyEEE10hipError_tT0_T1_T2_jT3_P12ihipStream_tbPNSt15iterator_traitsISJ_E10value_typeEPNSP_ISK_E10value_typeEPSL_NS1_7vsmem_tEENKUlT_SJ_SK_SL_E_clISE_PySF_SF_EESI_SY_SJ_SK_SL_EUlSY_E1_NS1_11comp_targetILNS1_3genE0ELNS1_11target_archE4294967295ELNS1_3gpuE0ELNS1_3repE0EEENS1_36merge_oddeven_config_static_selectorELNS0_4arch9wavefront6targetE0EEEvSK_.has_dyn_sized_stack, 0
	.set _ZN7rocprim17ROCPRIM_400000_NS6detail17trampoline_kernelINS0_14default_configENS1_38merge_sort_block_merge_config_selectorIyNS0_10empty_typeEEEZZNS1_27merge_sort_block_merge_implIS3_N6thrust23THRUST_200600_302600_NS6detail15normal_iteratorINS9_10device_ptrIyEEEEPS5_m11less_div_10IyEEE10hipError_tT0_T1_T2_jT3_P12ihipStream_tbPNSt15iterator_traitsISJ_E10value_typeEPNSP_ISK_E10value_typeEPSL_NS1_7vsmem_tEENKUlT_SJ_SK_SL_E_clISE_PySF_SF_EESI_SY_SJ_SK_SL_EUlSY_E1_NS1_11comp_targetILNS1_3genE0ELNS1_11target_archE4294967295ELNS1_3gpuE0ELNS1_3repE0EEENS1_36merge_oddeven_config_static_selectorELNS0_4arch9wavefront6targetE0EEEvSK_.has_recursion, 0
	.set _ZN7rocprim17ROCPRIM_400000_NS6detail17trampoline_kernelINS0_14default_configENS1_38merge_sort_block_merge_config_selectorIyNS0_10empty_typeEEEZZNS1_27merge_sort_block_merge_implIS3_N6thrust23THRUST_200600_302600_NS6detail15normal_iteratorINS9_10device_ptrIyEEEEPS5_m11less_div_10IyEEE10hipError_tT0_T1_T2_jT3_P12ihipStream_tbPNSt15iterator_traitsISJ_E10value_typeEPNSP_ISK_E10value_typeEPSL_NS1_7vsmem_tEENKUlT_SJ_SK_SL_E_clISE_PySF_SF_EESI_SY_SJ_SK_SL_EUlSY_E1_NS1_11comp_targetILNS1_3genE0ELNS1_11target_archE4294967295ELNS1_3gpuE0ELNS1_3repE0EEENS1_36merge_oddeven_config_static_selectorELNS0_4arch9wavefront6targetE0EEEvSK_.has_indirect_call, 0
	.section	.AMDGPU.csdata,"",@progbits
; Kernel info:
; codeLenInByte = 0
; TotalNumSgprs: 0
; NumVgprs: 0
; ScratchSize: 0
; MemoryBound: 0
; FloatMode: 240
; IeeeMode: 1
; LDSByteSize: 0 bytes/workgroup (compile time only)
; SGPRBlocks: 0
; VGPRBlocks: 0
; NumSGPRsForWavesPerEU: 1
; NumVGPRsForWavesPerEU: 1
; Occupancy: 16
; WaveLimiterHint : 0
; COMPUTE_PGM_RSRC2:SCRATCH_EN: 0
; COMPUTE_PGM_RSRC2:USER_SGPR: 6
; COMPUTE_PGM_RSRC2:TRAP_HANDLER: 0
; COMPUTE_PGM_RSRC2:TGID_X_EN: 1
; COMPUTE_PGM_RSRC2:TGID_Y_EN: 0
; COMPUTE_PGM_RSRC2:TGID_Z_EN: 0
; COMPUTE_PGM_RSRC2:TIDIG_COMP_CNT: 0
	.section	.text._ZN7rocprim17ROCPRIM_400000_NS6detail17trampoline_kernelINS0_14default_configENS1_38merge_sort_block_merge_config_selectorIyNS0_10empty_typeEEEZZNS1_27merge_sort_block_merge_implIS3_N6thrust23THRUST_200600_302600_NS6detail15normal_iteratorINS9_10device_ptrIyEEEEPS5_m11less_div_10IyEEE10hipError_tT0_T1_T2_jT3_P12ihipStream_tbPNSt15iterator_traitsISJ_E10value_typeEPNSP_ISK_E10value_typeEPSL_NS1_7vsmem_tEENKUlT_SJ_SK_SL_E_clISE_PySF_SF_EESI_SY_SJ_SK_SL_EUlSY_E1_NS1_11comp_targetILNS1_3genE10ELNS1_11target_archE1201ELNS1_3gpuE5ELNS1_3repE0EEENS1_36merge_oddeven_config_static_selectorELNS0_4arch9wavefront6targetE0EEEvSK_,"axG",@progbits,_ZN7rocprim17ROCPRIM_400000_NS6detail17trampoline_kernelINS0_14default_configENS1_38merge_sort_block_merge_config_selectorIyNS0_10empty_typeEEEZZNS1_27merge_sort_block_merge_implIS3_N6thrust23THRUST_200600_302600_NS6detail15normal_iteratorINS9_10device_ptrIyEEEEPS5_m11less_div_10IyEEE10hipError_tT0_T1_T2_jT3_P12ihipStream_tbPNSt15iterator_traitsISJ_E10value_typeEPNSP_ISK_E10value_typeEPSL_NS1_7vsmem_tEENKUlT_SJ_SK_SL_E_clISE_PySF_SF_EESI_SY_SJ_SK_SL_EUlSY_E1_NS1_11comp_targetILNS1_3genE10ELNS1_11target_archE1201ELNS1_3gpuE5ELNS1_3repE0EEENS1_36merge_oddeven_config_static_selectorELNS0_4arch9wavefront6targetE0EEEvSK_,comdat
	.protected	_ZN7rocprim17ROCPRIM_400000_NS6detail17trampoline_kernelINS0_14default_configENS1_38merge_sort_block_merge_config_selectorIyNS0_10empty_typeEEEZZNS1_27merge_sort_block_merge_implIS3_N6thrust23THRUST_200600_302600_NS6detail15normal_iteratorINS9_10device_ptrIyEEEEPS5_m11less_div_10IyEEE10hipError_tT0_T1_T2_jT3_P12ihipStream_tbPNSt15iterator_traitsISJ_E10value_typeEPNSP_ISK_E10value_typeEPSL_NS1_7vsmem_tEENKUlT_SJ_SK_SL_E_clISE_PySF_SF_EESI_SY_SJ_SK_SL_EUlSY_E1_NS1_11comp_targetILNS1_3genE10ELNS1_11target_archE1201ELNS1_3gpuE5ELNS1_3repE0EEENS1_36merge_oddeven_config_static_selectorELNS0_4arch9wavefront6targetE0EEEvSK_ ; -- Begin function _ZN7rocprim17ROCPRIM_400000_NS6detail17trampoline_kernelINS0_14default_configENS1_38merge_sort_block_merge_config_selectorIyNS0_10empty_typeEEEZZNS1_27merge_sort_block_merge_implIS3_N6thrust23THRUST_200600_302600_NS6detail15normal_iteratorINS9_10device_ptrIyEEEEPS5_m11less_div_10IyEEE10hipError_tT0_T1_T2_jT3_P12ihipStream_tbPNSt15iterator_traitsISJ_E10value_typeEPNSP_ISK_E10value_typeEPSL_NS1_7vsmem_tEENKUlT_SJ_SK_SL_E_clISE_PySF_SF_EESI_SY_SJ_SK_SL_EUlSY_E1_NS1_11comp_targetILNS1_3genE10ELNS1_11target_archE1201ELNS1_3gpuE5ELNS1_3repE0EEENS1_36merge_oddeven_config_static_selectorELNS0_4arch9wavefront6targetE0EEEvSK_
	.globl	_ZN7rocprim17ROCPRIM_400000_NS6detail17trampoline_kernelINS0_14default_configENS1_38merge_sort_block_merge_config_selectorIyNS0_10empty_typeEEEZZNS1_27merge_sort_block_merge_implIS3_N6thrust23THRUST_200600_302600_NS6detail15normal_iteratorINS9_10device_ptrIyEEEEPS5_m11less_div_10IyEEE10hipError_tT0_T1_T2_jT3_P12ihipStream_tbPNSt15iterator_traitsISJ_E10value_typeEPNSP_ISK_E10value_typeEPSL_NS1_7vsmem_tEENKUlT_SJ_SK_SL_E_clISE_PySF_SF_EESI_SY_SJ_SK_SL_EUlSY_E1_NS1_11comp_targetILNS1_3genE10ELNS1_11target_archE1201ELNS1_3gpuE5ELNS1_3repE0EEENS1_36merge_oddeven_config_static_selectorELNS0_4arch9wavefront6targetE0EEEvSK_
	.p2align	8
	.type	_ZN7rocprim17ROCPRIM_400000_NS6detail17trampoline_kernelINS0_14default_configENS1_38merge_sort_block_merge_config_selectorIyNS0_10empty_typeEEEZZNS1_27merge_sort_block_merge_implIS3_N6thrust23THRUST_200600_302600_NS6detail15normal_iteratorINS9_10device_ptrIyEEEEPS5_m11less_div_10IyEEE10hipError_tT0_T1_T2_jT3_P12ihipStream_tbPNSt15iterator_traitsISJ_E10value_typeEPNSP_ISK_E10value_typeEPSL_NS1_7vsmem_tEENKUlT_SJ_SK_SL_E_clISE_PySF_SF_EESI_SY_SJ_SK_SL_EUlSY_E1_NS1_11comp_targetILNS1_3genE10ELNS1_11target_archE1201ELNS1_3gpuE5ELNS1_3repE0EEENS1_36merge_oddeven_config_static_selectorELNS0_4arch9wavefront6targetE0EEEvSK_,@function
_ZN7rocprim17ROCPRIM_400000_NS6detail17trampoline_kernelINS0_14default_configENS1_38merge_sort_block_merge_config_selectorIyNS0_10empty_typeEEEZZNS1_27merge_sort_block_merge_implIS3_N6thrust23THRUST_200600_302600_NS6detail15normal_iteratorINS9_10device_ptrIyEEEEPS5_m11less_div_10IyEEE10hipError_tT0_T1_T2_jT3_P12ihipStream_tbPNSt15iterator_traitsISJ_E10value_typeEPNSP_ISK_E10value_typeEPSL_NS1_7vsmem_tEENKUlT_SJ_SK_SL_E_clISE_PySF_SF_EESI_SY_SJ_SK_SL_EUlSY_E1_NS1_11comp_targetILNS1_3genE10ELNS1_11target_archE1201ELNS1_3gpuE5ELNS1_3repE0EEENS1_36merge_oddeven_config_static_selectorELNS0_4arch9wavefront6targetE0EEEvSK_: ; @_ZN7rocprim17ROCPRIM_400000_NS6detail17trampoline_kernelINS0_14default_configENS1_38merge_sort_block_merge_config_selectorIyNS0_10empty_typeEEEZZNS1_27merge_sort_block_merge_implIS3_N6thrust23THRUST_200600_302600_NS6detail15normal_iteratorINS9_10device_ptrIyEEEEPS5_m11less_div_10IyEEE10hipError_tT0_T1_T2_jT3_P12ihipStream_tbPNSt15iterator_traitsISJ_E10value_typeEPNSP_ISK_E10value_typeEPSL_NS1_7vsmem_tEENKUlT_SJ_SK_SL_E_clISE_PySF_SF_EESI_SY_SJ_SK_SL_EUlSY_E1_NS1_11comp_targetILNS1_3genE10ELNS1_11target_archE1201ELNS1_3gpuE5ELNS1_3repE0EEENS1_36merge_oddeven_config_static_selectorELNS0_4arch9wavefront6targetE0EEEvSK_
; %bb.0:
	.section	.rodata,"a",@progbits
	.p2align	6, 0x0
	.amdhsa_kernel _ZN7rocprim17ROCPRIM_400000_NS6detail17trampoline_kernelINS0_14default_configENS1_38merge_sort_block_merge_config_selectorIyNS0_10empty_typeEEEZZNS1_27merge_sort_block_merge_implIS3_N6thrust23THRUST_200600_302600_NS6detail15normal_iteratorINS9_10device_ptrIyEEEEPS5_m11less_div_10IyEEE10hipError_tT0_T1_T2_jT3_P12ihipStream_tbPNSt15iterator_traitsISJ_E10value_typeEPNSP_ISK_E10value_typeEPSL_NS1_7vsmem_tEENKUlT_SJ_SK_SL_E_clISE_PySF_SF_EESI_SY_SJ_SK_SL_EUlSY_E1_NS1_11comp_targetILNS1_3genE10ELNS1_11target_archE1201ELNS1_3gpuE5ELNS1_3repE0EEENS1_36merge_oddeven_config_static_selectorELNS0_4arch9wavefront6targetE0EEEvSK_
		.amdhsa_group_segment_fixed_size 0
		.amdhsa_private_segment_fixed_size 0
		.amdhsa_kernarg_size 56
		.amdhsa_user_sgpr_count 6
		.amdhsa_user_sgpr_private_segment_buffer 1
		.amdhsa_user_sgpr_dispatch_ptr 0
		.amdhsa_user_sgpr_queue_ptr 0
		.amdhsa_user_sgpr_kernarg_segment_ptr 1
		.amdhsa_user_sgpr_dispatch_id 0
		.amdhsa_user_sgpr_flat_scratch_init 0
		.amdhsa_user_sgpr_private_segment_size 0
		.amdhsa_wavefront_size32 1
		.amdhsa_uses_dynamic_stack 0
		.amdhsa_system_sgpr_private_segment_wavefront_offset 0
		.amdhsa_system_sgpr_workgroup_id_x 1
		.amdhsa_system_sgpr_workgroup_id_y 0
		.amdhsa_system_sgpr_workgroup_id_z 0
		.amdhsa_system_sgpr_workgroup_info 0
		.amdhsa_system_vgpr_workitem_id 0
		.amdhsa_next_free_vgpr 1
		.amdhsa_next_free_sgpr 1
		.amdhsa_reserve_vcc 0
		.amdhsa_reserve_flat_scratch 0
		.amdhsa_float_round_mode_32 0
		.amdhsa_float_round_mode_16_64 0
		.amdhsa_float_denorm_mode_32 3
		.amdhsa_float_denorm_mode_16_64 3
		.amdhsa_dx10_clamp 1
		.amdhsa_ieee_mode 1
		.amdhsa_fp16_overflow 0
		.amdhsa_workgroup_processor_mode 1
		.amdhsa_memory_ordered 1
		.amdhsa_forward_progress 1
		.amdhsa_shared_vgpr_count 0
		.amdhsa_exception_fp_ieee_invalid_op 0
		.amdhsa_exception_fp_denorm_src 0
		.amdhsa_exception_fp_ieee_div_zero 0
		.amdhsa_exception_fp_ieee_overflow 0
		.amdhsa_exception_fp_ieee_underflow 0
		.amdhsa_exception_fp_ieee_inexact 0
		.amdhsa_exception_int_div_zero 0
	.end_amdhsa_kernel
	.section	.text._ZN7rocprim17ROCPRIM_400000_NS6detail17trampoline_kernelINS0_14default_configENS1_38merge_sort_block_merge_config_selectorIyNS0_10empty_typeEEEZZNS1_27merge_sort_block_merge_implIS3_N6thrust23THRUST_200600_302600_NS6detail15normal_iteratorINS9_10device_ptrIyEEEEPS5_m11less_div_10IyEEE10hipError_tT0_T1_T2_jT3_P12ihipStream_tbPNSt15iterator_traitsISJ_E10value_typeEPNSP_ISK_E10value_typeEPSL_NS1_7vsmem_tEENKUlT_SJ_SK_SL_E_clISE_PySF_SF_EESI_SY_SJ_SK_SL_EUlSY_E1_NS1_11comp_targetILNS1_3genE10ELNS1_11target_archE1201ELNS1_3gpuE5ELNS1_3repE0EEENS1_36merge_oddeven_config_static_selectorELNS0_4arch9wavefront6targetE0EEEvSK_,"axG",@progbits,_ZN7rocprim17ROCPRIM_400000_NS6detail17trampoline_kernelINS0_14default_configENS1_38merge_sort_block_merge_config_selectorIyNS0_10empty_typeEEEZZNS1_27merge_sort_block_merge_implIS3_N6thrust23THRUST_200600_302600_NS6detail15normal_iteratorINS9_10device_ptrIyEEEEPS5_m11less_div_10IyEEE10hipError_tT0_T1_T2_jT3_P12ihipStream_tbPNSt15iterator_traitsISJ_E10value_typeEPNSP_ISK_E10value_typeEPSL_NS1_7vsmem_tEENKUlT_SJ_SK_SL_E_clISE_PySF_SF_EESI_SY_SJ_SK_SL_EUlSY_E1_NS1_11comp_targetILNS1_3genE10ELNS1_11target_archE1201ELNS1_3gpuE5ELNS1_3repE0EEENS1_36merge_oddeven_config_static_selectorELNS0_4arch9wavefront6targetE0EEEvSK_,comdat
.Lfunc_end65:
	.size	_ZN7rocprim17ROCPRIM_400000_NS6detail17trampoline_kernelINS0_14default_configENS1_38merge_sort_block_merge_config_selectorIyNS0_10empty_typeEEEZZNS1_27merge_sort_block_merge_implIS3_N6thrust23THRUST_200600_302600_NS6detail15normal_iteratorINS9_10device_ptrIyEEEEPS5_m11less_div_10IyEEE10hipError_tT0_T1_T2_jT3_P12ihipStream_tbPNSt15iterator_traitsISJ_E10value_typeEPNSP_ISK_E10value_typeEPSL_NS1_7vsmem_tEENKUlT_SJ_SK_SL_E_clISE_PySF_SF_EESI_SY_SJ_SK_SL_EUlSY_E1_NS1_11comp_targetILNS1_3genE10ELNS1_11target_archE1201ELNS1_3gpuE5ELNS1_3repE0EEENS1_36merge_oddeven_config_static_selectorELNS0_4arch9wavefront6targetE0EEEvSK_, .Lfunc_end65-_ZN7rocprim17ROCPRIM_400000_NS6detail17trampoline_kernelINS0_14default_configENS1_38merge_sort_block_merge_config_selectorIyNS0_10empty_typeEEEZZNS1_27merge_sort_block_merge_implIS3_N6thrust23THRUST_200600_302600_NS6detail15normal_iteratorINS9_10device_ptrIyEEEEPS5_m11less_div_10IyEEE10hipError_tT0_T1_T2_jT3_P12ihipStream_tbPNSt15iterator_traitsISJ_E10value_typeEPNSP_ISK_E10value_typeEPSL_NS1_7vsmem_tEENKUlT_SJ_SK_SL_E_clISE_PySF_SF_EESI_SY_SJ_SK_SL_EUlSY_E1_NS1_11comp_targetILNS1_3genE10ELNS1_11target_archE1201ELNS1_3gpuE5ELNS1_3repE0EEENS1_36merge_oddeven_config_static_selectorELNS0_4arch9wavefront6targetE0EEEvSK_
                                        ; -- End function
	.set _ZN7rocprim17ROCPRIM_400000_NS6detail17trampoline_kernelINS0_14default_configENS1_38merge_sort_block_merge_config_selectorIyNS0_10empty_typeEEEZZNS1_27merge_sort_block_merge_implIS3_N6thrust23THRUST_200600_302600_NS6detail15normal_iteratorINS9_10device_ptrIyEEEEPS5_m11less_div_10IyEEE10hipError_tT0_T1_T2_jT3_P12ihipStream_tbPNSt15iterator_traitsISJ_E10value_typeEPNSP_ISK_E10value_typeEPSL_NS1_7vsmem_tEENKUlT_SJ_SK_SL_E_clISE_PySF_SF_EESI_SY_SJ_SK_SL_EUlSY_E1_NS1_11comp_targetILNS1_3genE10ELNS1_11target_archE1201ELNS1_3gpuE5ELNS1_3repE0EEENS1_36merge_oddeven_config_static_selectorELNS0_4arch9wavefront6targetE0EEEvSK_.num_vgpr, 0
	.set _ZN7rocprim17ROCPRIM_400000_NS6detail17trampoline_kernelINS0_14default_configENS1_38merge_sort_block_merge_config_selectorIyNS0_10empty_typeEEEZZNS1_27merge_sort_block_merge_implIS3_N6thrust23THRUST_200600_302600_NS6detail15normal_iteratorINS9_10device_ptrIyEEEEPS5_m11less_div_10IyEEE10hipError_tT0_T1_T2_jT3_P12ihipStream_tbPNSt15iterator_traitsISJ_E10value_typeEPNSP_ISK_E10value_typeEPSL_NS1_7vsmem_tEENKUlT_SJ_SK_SL_E_clISE_PySF_SF_EESI_SY_SJ_SK_SL_EUlSY_E1_NS1_11comp_targetILNS1_3genE10ELNS1_11target_archE1201ELNS1_3gpuE5ELNS1_3repE0EEENS1_36merge_oddeven_config_static_selectorELNS0_4arch9wavefront6targetE0EEEvSK_.num_agpr, 0
	.set _ZN7rocprim17ROCPRIM_400000_NS6detail17trampoline_kernelINS0_14default_configENS1_38merge_sort_block_merge_config_selectorIyNS0_10empty_typeEEEZZNS1_27merge_sort_block_merge_implIS3_N6thrust23THRUST_200600_302600_NS6detail15normal_iteratorINS9_10device_ptrIyEEEEPS5_m11less_div_10IyEEE10hipError_tT0_T1_T2_jT3_P12ihipStream_tbPNSt15iterator_traitsISJ_E10value_typeEPNSP_ISK_E10value_typeEPSL_NS1_7vsmem_tEENKUlT_SJ_SK_SL_E_clISE_PySF_SF_EESI_SY_SJ_SK_SL_EUlSY_E1_NS1_11comp_targetILNS1_3genE10ELNS1_11target_archE1201ELNS1_3gpuE5ELNS1_3repE0EEENS1_36merge_oddeven_config_static_selectorELNS0_4arch9wavefront6targetE0EEEvSK_.numbered_sgpr, 0
	.set _ZN7rocprim17ROCPRIM_400000_NS6detail17trampoline_kernelINS0_14default_configENS1_38merge_sort_block_merge_config_selectorIyNS0_10empty_typeEEEZZNS1_27merge_sort_block_merge_implIS3_N6thrust23THRUST_200600_302600_NS6detail15normal_iteratorINS9_10device_ptrIyEEEEPS5_m11less_div_10IyEEE10hipError_tT0_T1_T2_jT3_P12ihipStream_tbPNSt15iterator_traitsISJ_E10value_typeEPNSP_ISK_E10value_typeEPSL_NS1_7vsmem_tEENKUlT_SJ_SK_SL_E_clISE_PySF_SF_EESI_SY_SJ_SK_SL_EUlSY_E1_NS1_11comp_targetILNS1_3genE10ELNS1_11target_archE1201ELNS1_3gpuE5ELNS1_3repE0EEENS1_36merge_oddeven_config_static_selectorELNS0_4arch9wavefront6targetE0EEEvSK_.num_named_barrier, 0
	.set _ZN7rocprim17ROCPRIM_400000_NS6detail17trampoline_kernelINS0_14default_configENS1_38merge_sort_block_merge_config_selectorIyNS0_10empty_typeEEEZZNS1_27merge_sort_block_merge_implIS3_N6thrust23THRUST_200600_302600_NS6detail15normal_iteratorINS9_10device_ptrIyEEEEPS5_m11less_div_10IyEEE10hipError_tT0_T1_T2_jT3_P12ihipStream_tbPNSt15iterator_traitsISJ_E10value_typeEPNSP_ISK_E10value_typeEPSL_NS1_7vsmem_tEENKUlT_SJ_SK_SL_E_clISE_PySF_SF_EESI_SY_SJ_SK_SL_EUlSY_E1_NS1_11comp_targetILNS1_3genE10ELNS1_11target_archE1201ELNS1_3gpuE5ELNS1_3repE0EEENS1_36merge_oddeven_config_static_selectorELNS0_4arch9wavefront6targetE0EEEvSK_.private_seg_size, 0
	.set _ZN7rocprim17ROCPRIM_400000_NS6detail17trampoline_kernelINS0_14default_configENS1_38merge_sort_block_merge_config_selectorIyNS0_10empty_typeEEEZZNS1_27merge_sort_block_merge_implIS3_N6thrust23THRUST_200600_302600_NS6detail15normal_iteratorINS9_10device_ptrIyEEEEPS5_m11less_div_10IyEEE10hipError_tT0_T1_T2_jT3_P12ihipStream_tbPNSt15iterator_traitsISJ_E10value_typeEPNSP_ISK_E10value_typeEPSL_NS1_7vsmem_tEENKUlT_SJ_SK_SL_E_clISE_PySF_SF_EESI_SY_SJ_SK_SL_EUlSY_E1_NS1_11comp_targetILNS1_3genE10ELNS1_11target_archE1201ELNS1_3gpuE5ELNS1_3repE0EEENS1_36merge_oddeven_config_static_selectorELNS0_4arch9wavefront6targetE0EEEvSK_.uses_vcc, 0
	.set _ZN7rocprim17ROCPRIM_400000_NS6detail17trampoline_kernelINS0_14default_configENS1_38merge_sort_block_merge_config_selectorIyNS0_10empty_typeEEEZZNS1_27merge_sort_block_merge_implIS3_N6thrust23THRUST_200600_302600_NS6detail15normal_iteratorINS9_10device_ptrIyEEEEPS5_m11less_div_10IyEEE10hipError_tT0_T1_T2_jT3_P12ihipStream_tbPNSt15iterator_traitsISJ_E10value_typeEPNSP_ISK_E10value_typeEPSL_NS1_7vsmem_tEENKUlT_SJ_SK_SL_E_clISE_PySF_SF_EESI_SY_SJ_SK_SL_EUlSY_E1_NS1_11comp_targetILNS1_3genE10ELNS1_11target_archE1201ELNS1_3gpuE5ELNS1_3repE0EEENS1_36merge_oddeven_config_static_selectorELNS0_4arch9wavefront6targetE0EEEvSK_.uses_flat_scratch, 0
	.set _ZN7rocprim17ROCPRIM_400000_NS6detail17trampoline_kernelINS0_14default_configENS1_38merge_sort_block_merge_config_selectorIyNS0_10empty_typeEEEZZNS1_27merge_sort_block_merge_implIS3_N6thrust23THRUST_200600_302600_NS6detail15normal_iteratorINS9_10device_ptrIyEEEEPS5_m11less_div_10IyEEE10hipError_tT0_T1_T2_jT3_P12ihipStream_tbPNSt15iterator_traitsISJ_E10value_typeEPNSP_ISK_E10value_typeEPSL_NS1_7vsmem_tEENKUlT_SJ_SK_SL_E_clISE_PySF_SF_EESI_SY_SJ_SK_SL_EUlSY_E1_NS1_11comp_targetILNS1_3genE10ELNS1_11target_archE1201ELNS1_3gpuE5ELNS1_3repE0EEENS1_36merge_oddeven_config_static_selectorELNS0_4arch9wavefront6targetE0EEEvSK_.has_dyn_sized_stack, 0
	.set _ZN7rocprim17ROCPRIM_400000_NS6detail17trampoline_kernelINS0_14default_configENS1_38merge_sort_block_merge_config_selectorIyNS0_10empty_typeEEEZZNS1_27merge_sort_block_merge_implIS3_N6thrust23THRUST_200600_302600_NS6detail15normal_iteratorINS9_10device_ptrIyEEEEPS5_m11less_div_10IyEEE10hipError_tT0_T1_T2_jT3_P12ihipStream_tbPNSt15iterator_traitsISJ_E10value_typeEPNSP_ISK_E10value_typeEPSL_NS1_7vsmem_tEENKUlT_SJ_SK_SL_E_clISE_PySF_SF_EESI_SY_SJ_SK_SL_EUlSY_E1_NS1_11comp_targetILNS1_3genE10ELNS1_11target_archE1201ELNS1_3gpuE5ELNS1_3repE0EEENS1_36merge_oddeven_config_static_selectorELNS0_4arch9wavefront6targetE0EEEvSK_.has_recursion, 0
	.set _ZN7rocprim17ROCPRIM_400000_NS6detail17trampoline_kernelINS0_14default_configENS1_38merge_sort_block_merge_config_selectorIyNS0_10empty_typeEEEZZNS1_27merge_sort_block_merge_implIS3_N6thrust23THRUST_200600_302600_NS6detail15normal_iteratorINS9_10device_ptrIyEEEEPS5_m11less_div_10IyEEE10hipError_tT0_T1_T2_jT3_P12ihipStream_tbPNSt15iterator_traitsISJ_E10value_typeEPNSP_ISK_E10value_typeEPSL_NS1_7vsmem_tEENKUlT_SJ_SK_SL_E_clISE_PySF_SF_EESI_SY_SJ_SK_SL_EUlSY_E1_NS1_11comp_targetILNS1_3genE10ELNS1_11target_archE1201ELNS1_3gpuE5ELNS1_3repE0EEENS1_36merge_oddeven_config_static_selectorELNS0_4arch9wavefront6targetE0EEEvSK_.has_indirect_call, 0
	.section	.AMDGPU.csdata,"",@progbits
; Kernel info:
; codeLenInByte = 0
; TotalNumSgprs: 0
; NumVgprs: 0
; ScratchSize: 0
; MemoryBound: 0
; FloatMode: 240
; IeeeMode: 1
; LDSByteSize: 0 bytes/workgroup (compile time only)
; SGPRBlocks: 0
; VGPRBlocks: 0
; NumSGPRsForWavesPerEU: 1
; NumVGPRsForWavesPerEU: 1
; Occupancy: 16
; WaveLimiterHint : 0
; COMPUTE_PGM_RSRC2:SCRATCH_EN: 0
; COMPUTE_PGM_RSRC2:USER_SGPR: 6
; COMPUTE_PGM_RSRC2:TRAP_HANDLER: 0
; COMPUTE_PGM_RSRC2:TGID_X_EN: 1
; COMPUTE_PGM_RSRC2:TGID_Y_EN: 0
; COMPUTE_PGM_RSRC2:TGID_Z_EN: 0
; COMPUTE_PGM_RSRC2:TIDIG_COMP_CNT: 0
	.section	.text._ZN7rocprim17ROCPRIM_400000_NS6detail17trampoline_kernelINS0_14default_configENS1_38merge_sort_block_merge_config_selectorIyNS0_10empty_typeEEEZZNS1_27merge_sort_block_merge_implIS3_N6thrust23THRUST_200600_302600_NS6detail15normal_iteratorINS9_10device_ptrIyEEEEPS5_m11less_div_10IyEEE10hipError_tT0_T1_T2_jT3_P12ihipStream_tbPNSt15iterator_traitsISJ_E10value_typeEPNSP_ISK_E10value_typeEPSL_NS1_7vsmem_tEENKUlT_SJ_SK_SL_E_clISE_PySF_SF_EESI_SY_SJ_SK_SL_EUlSY_E1_NS1_11comp_targetILNS1_3genE5ELNS1_11target_archE942ELNS1_3gpuE9ELNS1_3repE0EEENS1_36merge_oddeven_config_static_selectorELNS0_4arch9wavefront6targetE0EEEvSK_,"axG",@progbits,_ZN7rocprim17ROCPRIM_400000_NS6detail17trampoline_kernelINS0_14default_configENS1_38merge_sort_block_merge_config_selectorIyNS0_10empty_typeEEEZZNS1_27merge_sort_block_merge_implIS3_N6thrust23THRUST_200600_302600_NS6detail15normal_iteratorINS9_10device_ptrIyEEEEPS5_m11less_div_10IyEEE10hipError_tT0_T1_T2_jT3_P12ihipStream_tbPNSt15iterator_traitsISJ_E10value_typeEPNSP_ISK_E10value_typeEPSL_NS1_7vsmem_tEENKUlT_SJ_SK_SL_E_clISE_PySF_SF_EESI_SY_SJ_SK_SL_EUlSY_E1_NS1_11comp_targetILNS1_3genE5ELNS1_11target_archE942ELNS1_3gpuE9ELNS1_3repE0EEENS1_36merge_oddeven_config_static_selectorELNS0_4arch9wavefront6targetE0EEEvSK_,comdat
	.protected	_ZN7rocprim17ROCPRIM_400000_NS6detail17trampoline_kernelINS0_14default_configENS1_38merge_sort_block_merge_config_selectorIyNS0_10empty_typeEEEZZNS1_27merge_sort_block_merge_implIS3_N6thrust23THRUST_200600_302600_NS6detail15normal_iteratorINS9_10device_ptrIyEEEEPS5_m11less_div_10IyEEE10hipError_tT0_T1_T2_jT3_P12ihipStream_tbPNSt15iterator_traitsISJ_E10value_typeEPNSP_ISK_E10value_typeEPSL_NS1_7vsmem_tEENKUlT_SJ_SK_SL_E_clISE_PySF_SF_EESI_SY_SJ_SK_SL_EUlSY_E1_NS1_11comp_targetILNS1_3genE5ELNS1_11target_archE942ELNS1_3gpuE9ELNS1_3repE0EEENS1_36merge_oddeven_config_static_selectorELNS0_4arch9wavefront6targetE0EEEvSK_ ; -- Begin function _ZN7rocprim17ROCPRIM_400000_NS6detail17trampoline_kernelINS0_14default_configENS1_38merge_sort_block_merge_config_selectorIyNS0_10empty_typeEEEZZNS1_27merge_sort_block_merge_implIS3_N6thrust23THRUST_200600_302600_NS6detail15normal_iteratorINS9_10device_ptrIyEEEEPS5_m11less_div_10IyEEE10hipError_tT0_T1_T2_jT3_P12ihipStream_tbPNSt15iterator_traitsISJ_E10value_typeEPNSP_ISK_E10value_typeEPSL_NS1_7vsmem_tEENKUlT_SJ_SK_SL_E_clISE_PySF_SF_EESI_SY_SJ_SK_SL_EUlSY_E1_NS1_11comp_targetILNS1_3genE5ELNS1_11target_archE942ELNS1_3gpuE9ELNS1_3repE0EEENS1_36merge_oddeven_config_static_selectorELNS0_4arch9wavefront6targetE0EEEvSK_
	.globl	_ZN7rocprim17ROCPRIM_400000_NS6detail17trampoline_kernelINS0_14default_configENS1_38merge_sort_block_merge_config_selectorIyNS0_10empty_typeEEEZZNS1_27merge_sort_block_merge_implIS3_N6thrust23THRUST_200600_302600_NS6detail15normal_iteratorINS9_10device_ptrIyEEEEPS5_m11less_div_10IyEEE10hipError_tT0_T1_T2_jT3_P12ihipStream_tbPNSt15iterator_traitsISJ_E10value_typeEPNSP_ISK_E10value_typeEPSL_NS1_7vsmem_tEENKUlT_SJ_SK_SL_E_clISE_PySF_SF_EESI_SY_SJ_SK_SL_EUlSY_E1_NS1_11comp_targetILNS1_3genE5ELNS1_11target_archE942ELNS1_3gpuE9ELNS1_3repE0EEENS1_36merge_oddeven_config_static_selectorELNS0_4arch9wavefront6targetE0EEEvSK_
	.p2align	8
	.type	_ZN7rocprim17ROCPRIM_400000_NS6detail17trampoline_kernelINS0_14default_configENS1_38merge_sort_block_merge_config_selectorIyNS0_10empty_typeEEEZZNS1_27merge_sort_block_merge_implIS3_N6thrust23THRUST_200600_302600_NS6detail15normal_iteratorINS9_10device_ptrIyEEEEPS5_m11less_div_10IyEEE10hipError_tT0_T1_T2_jT3_P12ihipStream_tbPNSt15iterator_traitsISJ_E10value_typeEPNSP_ISK_E10value_typeEPSL_NS1_7vsmem_tEENKUlT_SJ_SK_SL_E_clISE_PySF_SF_EESI_SY_SJ_SK_SL_EUlSY_E1_NS1_11comp_targetILNS1_3genE5ELNS1_11target_archE942ELNS1_3gpuE9ELNS1_3repE0EEENS1_36merge_oddeven_config_static_selectorELNS0_4arch9wavefront6targetE0EEEvSK_,@function
_ZN7rocprim17ROCPRIM_400000_NS6detail17trampoline_kernelINS0_14default_configENS1_38merge_sort_block_merge_config_selectorIyNS0_10empty_typeEEEZZNS1_27merge_sort_block_merge_implIS3_N6thrust23THRUST_200600_302600_NS6detail15normal_iteratorINS9_10device_ptrIyEEEEPS5_m11less_div_10IyEEE10hipError_tT0_T1_T2_jT3_P12ihipStream_tbPNSt15iterator_traitsISJ_E10value_typeEPNSP_ISK_E10value_typeEPSL_NS1_7vsmem_tEENKUlT_SJ_SK_SL_E_clISE_PySF_SF_EESI_SY_SJ_SK_SL_EUlSY_E1_NS1_11comp_targetILNS1_3genE5ELNS1_11target_archE942ELNS1_3gpuE9ELNS1_3repE0EEENS1_36merge_oddeven_config_static_selectorELNS0_4arch9wavefront6targetE0EEEvSK_: ; @_ZN7rocprim17ROCPRIM_400000_NS6detail17trampoline_kernelINS0_14default_configENS1_38merge_sort_block_merge_config_selectorIyNS0_10empty_typeEEEZZNS1_27merge_sort_block_merge_implIS3_N6thrust23THRUST_200600_302600_NS6detail15normal_iteratorINS9_10device_ptrIyEEEEPS5_m11less_div_10IyEEE10hipError_tT0_T1_T2_jT3_P12ihipStream_tbPNSt15iterator_traitsISJ_E10value_typeEPNSP_ISK_E10value_typeEPSL_NS1_7vsmem_tEENKUlT_SJ_SK_SL_E_clISE_PySF_SF_EESI_SY_SJ_SK_SL_EUlSY_E1_NS1_11comp_targetILNS1_3genE5ELNS1_11target_archE942ELNS1_3gpuE9ELNS1_3repE0EEENS1_36merge_oddeven_config_static_selectorELNS0_4arch9wavefront6targetE0EEEvSK_
; %bb.0:
	.section	.rodata,"a",@progbits
	.p2align	6, 0x0
	.amdhsa_kernel _ZN7rocprim17ROCPRIM_400000_NS6detail17trampoline_kernelINS0_14default_configENS1_38merge_sort_block_merge_config_selectorIyNS0_10empty_typeEEEZZNS1_27merge_sort_block_merge_implIS3_N6thrust23THRUST_200600_302600_NS6detail15normal_iteratorINS9_10device_ptrIyEEEEPS5_m11less_div_10IyEEE10hipError_tT0_T1_T2_jT3_P12ihipStream_tbPNSt15iterator_traitsISJ_E10value_typeEPNSP_ISK_E10value_typeEPSL_NS1_7vsmem_tEENKUlT_SJ_SK_SL_E_clISE_PySF_SF_EESI_SY_SJ_SK_SL_EUlSY_E1_NS1_11comp_targetILNS1_3genE5ELNS1_11target_archE942ELNS1_3gpuE9ELNS1_3repE0EEENS1_36merge_oddeven_config_static_selectorELNS0_4arch9wavefront6targetE0EEEvSK_
		.amdhsa_group_segment_fixed_size 0
		.amdhsa_private_segment_fixed_size 0
		.amdhsa_kernarg_size 56
		.amdhsa_user_sgpr_count 6
		.amdhsa_user_sgpr_private_segment_buffer 1
		.amdhsa_user_sgpr_dispatch_ptr 0
		.amdhsa_user_sgpr_queue_ptr 0
		.amdhsa_user_sgpr_kernarg_segment_ptr 1
		.amdhsa_user_sgpr_dispatch_id 0
		.amdhsa_user_sgpr_flat_scratch_init 0
		.amdhsa_user_sgpr_private_segment_size 0
		.amdhsa_wavefront_size32 1
		.amdhsa_uses_dynamic_stack 0
		.amdhsa_system_sgpr_private_segment_wavefront_offset 0
		.amdhsa_system_sgpr_workgroup_id_x 1
		.amdhsa_system_sgpr_workgroup_id_y 0
		.amdhsa_system_sgpr_workgroup_id_z 0
		.amdhsa_system_sgpr_workgroup_info 0
		.amdhsa_system_vgpr_workitem_id 0
		.amdhsa_next_free_vgpr 1
		.amdhsa_next_free_sgpr 1
		.amdhsa_reserve_vcc 0
		.amdhsa_reserve_flat_scratch 0
		.amdhsa_float_round_mode_32 0
		.amdhsa_float_round_mode_16_64 0
		.amdhsa_float_denorm_mode_32 3
		.amdhsa_float_denorm_mode_16_64 3
		.amdhsa_dx10_clamp 1
		.amdhsa_ieee_mode 1
		.amdhsa_fp16_overflow 0
		.amdhsa_workgroup_processor_mode 1
		.amdhsa_memory_ordered 1
		.amdhsa_forward_progress 1
		.amdhsa_shared_vgpr_count 0
		.amdhsa_exception_fp_ieee_invalid_op 0
		.amdhsa_exception_fp_denorm_src 0
		.amdhsa_exception_fp_ieee_div_zero 0
		.amdhsa_exception_fp_ieee_overflow 0
		.amdhsa_exception_fp_ieee_underflow 0
		.amdhsa_exception_fp_ieee_inexact 0
		.amdhsa_exception_int_div_zero 0
	.end_amdhsa_kernel
	.section	.text._ZN7rocprim17ROCPRIM_400000_NS6detail17trampoline_kernelINS0_14default_configENS1_38merge_sort_block_merge_config_selectorIyNS0_10empty_typeEEEZZNS1_27merge_sort_block_merge_implIS3_N6thrust23THRUST_200600_302600_NS6detail15normal_iteratorINS9_10device_ptrIyEEEEPS5_m11less_div_10IyEEE10hipError_tT0_T1_T2_jT3_P12ihipStream_tbPNSt15iterator_traitsISJ_E10value_typeEPNSP_ISK_E10value_typeEPSL_NS1_7vsmem_tEENKUlT_SJ_SK_SL_E_clISE_PySF_SF_EESI_SY_SJ_SK_SL_EUlSY_E1_NS1_11comp_targetILNS1_3genE5ELNS1_11target_archE942ELNS1_3gpuE9ELNS1_3repE0EEENS1_36merge_oddeven_config_static_selectorELNS0_4arch9wavefront6targetE0EEEvSK_,"axG",@progbits,_ZN7rocprim17ROCPRIM_400000_NS6detail17trampoline_kernelINS0_14default_configENS1_38merge_sort_block_merge_config_selectorIyNS0_10empty_typeEEEZZNS1_27merge_sort_block_merge_implIS3_N6thrust23THRUST_200600_302600_NS6detail15normal_iteratorINS9_10device_ptrIyEEEEPS5_m11less_div_10IyEEE10hipError_tT0_T1_T2_jT3_P12ihipStream_tbPNSt15iterator_traitsISJ_E10value_typeEPNSP_ISK_E10value_typeEPSL_NS1_7vsmem_tEENKUlT_SJ_SK_SL_E_clISE_PySF_SF_EESI_SY_SJ_SK_SL_EUlSY_E1_NS1_11comp_targetILNS1_3genE5ELNS1_11target_archE942ELNS1_3gpuE9ELNS1_3repE0EEENS1_36merge_oddeven_config_static_selectorELNS0_4arch9wavefront6targetE0EEEvSK_,comdat
.Lfunc_end66:
	.size	_ZN7rocprim17ROCPRIM_400000_NS6detail17trampoline_kernelINS0_14default_configENS1_38merge_sort_block_merge_config_selectorIyNS0_10empty_typeEEEZZNS1_27merge_sort_block_merge_implIS3_N6thrust23THRUST_200600_302600_NS6detail15normal_iteratorINS9_10device_ptrIyEEEEPS5_m11less_div_10IyEEE10hipError_tT0_T1_T2_jT3_P12ihipStream_tbPNSt15iterator_traitsISJ_E10value_typeEPNSP_ISK_E10value_typeEPSL_NS1_7vsmem_tEENKUlT_SJ_SK_SL_E_clISE_PySF_SF_EESI_SY_SJ_SK_SL_EUlSY_E1_NS1_11comp_targetILNS1_3genE5ELNS1_11target_archE942ELNS1_3gpuE9ELNS1_3repE0EEENS1_36merge_oddeven_config_static_selectorELNS0_4arch9wavefront6targetE0EEEvSK_, .Lfunc_end66-_ZN7rocprim17ROCPRIM_400000_NS6detail17trampoline_kernelINS0_14default_configENS1_38merge_sort_block_merge_config_selectorIyNS0_10empty_typeEEEZZNS1_27merge_sort_block_merge_implIS3_N6thrust23THRUST_200600_302600_NS6detail15normal_iteratorINS9_10device_ptrIyEEEEPS5_m11less_div_10IyEEE10hipError_tT0_T1_T2_jT3_P12ihipStream_tbPNSt15iterator_traitsISJ_E10value_typeEPNSP_ISK_E10value_typeEPSL_NS1_7vsmem_tEENKUlT_SJ_SK_SL_E_clISE_PySF_SF_EESI_SY_SJ_SK_SL_EUlSY_E1_NS1_11comp_targetILNS1_3genE5ELNS1_11target_archE942ELNS1_3gpuE9ELNS1_3repE0EEENS1_36merge_oddeven_config_static_selectorELNS0_4arch9wavefront6targetE0EEEvSK_
                                        ; -- End function
	.set _ZN7rocprim17ROCPRIM_400000_NS6detail17trampoline_kernelINS0_14default_configENS1_38merge_sort_block_merge_config_selectorIyNS0_10empty_typeEEEZZNS1_27merge_sort_block_merge_implIS3_N6thrust23THRUST_200600_302600_NS6detail15normal_iteratorINS9_10device_ptrIyEEEEPS5_m11less_div_10IyEEE10hipError_tT0_T1_T2_jT3_P12ihipStream_tbPNSt15iterator_traitsISJ_E10value_typeEPNSP_ISK_E10value_typeEPSL_NS1_7vsmem_tEENKUlT_SJ_SK_SL_E_clISE_PySF_SF_EESI_SY_SJ_SK_SL_EUlSY_E1_NS1_11comp_targetILNS1_3genE5ELNS1_11target_archE942ELNS1_3gpuE9ELNS1_3repE0EEENS1_36merge_oddeven_config_static_selectorELNS0_4arch9wavefront6targetE0EEEvSK_.num_vgpr, 0
	.set _ZN7rocprim17ROCPRIM_400000_NS6detail17trampoline_kernelINS0_14default_configENS1_38merge_sort_block_merge_config_selectorIyNS0_10empty_typeEEEZZNS1_27merge_sort_block_merge_implIS3_N6thrust23THRUST_200600_302600_NS6detail15normal_iteratorINS9_10device_ptrIyEEEEPS5_m11less_div_10IyEEE10hipError_tT0_T1_T2_jT3_P12ihipStream_tbPNSt15iterator_traitsISJ_E10value_typeEPNSP_ISK_E10value_typeEPSL_NS1_7vsmem_tEENKUlT_SJ_SK_SL_E_clISE_PySF_SF_EESI_SY_SJ_SK_SL_EUlSY_E1_NS1_11comp_targetILNS1_3genE5ELNS1_11target_archE942ELNS1_3gpuE9ELNS1_3repE0EEENS1_36merge_oddeven_config_static_selectorELNS0_4arch9wavefront6targetE0EEEvSK_.num_agpr, 0
	.set _ZN7rocprim17ROCPRIM_400000_NS6detail17trampoline_kernelINS0_14default_configENS1_38merge_sort_block_merge_config_selectorIyNS0_10empty_typeEEEZZNS1_27merge_sort_block_merge_implIS3_N6thrust23THRUST_200600_302600_NS6detail15normal_iteratorINS9_10device_ptrIyEEEEPS5_m11less_div_10IyEEE10hipError_tT0_T1_T2_jT3_P12ihipStream_tbPNSt15iterator_traitsISJ_E10value_typeEPNSP_ISK_E10value_typeEPSL_NS1_7vsmem_tEENKUlT_SJ_SK_SL_E_clISE_PySF_SF_EESI_SY_SJ_SK_SL_EUlSY_E1_NS1_11comp_targetILNS1_3genE5ELNS1_11target_archE942ELNS1_3gpuE9ELNS1_3repE0EEENS1_36merge_oddeven_config_static_selectorELNS0_4arch9wavefront6targetE0EEEvSK_.numbered_sgpr, 0
	.set _ZN7rocprim17ROCPRIM_400000_NS6detail17trampoline_kernelINS0_14default_configENS1_38merge_sort_block_merge_config_selectorIyNS0_10empty_typeEEEZZNS1_27merge_sort_block_merge_implIS3_N6thrust23THRUST_200600_302600_NS6detail15normal_iteratorINS9_10device_ptrIyEEEEPS5_m11less_div_10IyEEE10hipError_tT0_T1_T2_jT3_P12ihipStream_tbPNSt15iterator_traitsISJ_E10value_typeEPNSP_ISK_E10value_typeEPSL_NS1_7vsmem_tEENKUlT_SJ_SK_SL_E_clISE_PySF_SF_EESI_SY_SJ_SK_SL_EUlSY_E1_NS1_11comp_targetILNS1_3genE5ELNS1_11target_archE942ELNS1_3gpuE9ELNS1_3repE0EEENS1_36merge_oddeven_config_static_selectorELNS0_4arch9wavefront6targetE0EEEvSK_.num_named_barrier, 0
	.set _ZN7rocprim17ROCPRIM_400000_NS6detail17trampoline_kernelINS0_14default_configENS1_38merge_sort_block_merge_config_selectorIyNS0_10empty_typeEEEZZNS1_27merge_sort_block_merge_implIS3_N6thrust23THRUST_200600_302600_NS6detail15normal_iteratorINS9_10device_ptrIyEEEEPS5_m11less_div_10IyEEE10hipError_tT0_T1_T2_jT3_P12ihipStream_tbPNSt15iterator_traitsISJ_E10value_typeEPNSP_ISK_E10value_typeEPSL_NS1_7vsmem_tEENKUlT_SJ_SK_SL_E_clISE_PySF_SF_EESI_SY_SJ_SK_SL_EUlSY_E1_NS1_11comp_targetILNS1_3genE5ELNS1_11target_archE942ELNS1_3gpuE9ELNS1_3repE0EEENS1_36merge_oddeven_config_static_selectorELNS0_4arch9wavefront6targetE0EEEvSK_.private_seg_size, 0
	.set _ZN7rocprim17ROCPRIM_400000_NS6detail17trampoline_kernelINS0_14default_configENS1_38merge_sort_block_merge_config_selectorIyNS0_10empty_typeEEEZZNS1_27merge_sort_block_merge_implIS3_N6thrust23THRUST_200600_302600_NS6detail15normal_iteratorINS9_10device_ptrIyEEEEPS5_m11less_div_10IyEEE10hipError_tT0_T1_T2_jT3_P12ihipStream_tbPNSt15iterator_traitsISJ_E10value_typeEPNSP_ISK_E10value_typeEPSL_NS1_7vsmem_tEENKUlT_SJ_SK_SL_E_clISE_PySF_SF_EESI_SY_SJ_SK_SL_EUlSY_E1_NS1_11comp_targetILNS1_3genE5ELNS1_11target_archE942ELNS1_3gpuE9ELNS1_3repE0EEENS1_36merge_oddeven_config_static_selectorELNS0_4arch9wavefront6targetE0EEEvSK_.uses_vcc, 0
	.set _ZN7rocprim17ROCPRIM_400000_NS6detail17trampoline_kernelINS0_14default_configENS1_38merge_sort_block_merge_config_selectorIyNS0_10empty_typeEEEZZNS1_27merge_sort_block_merge_implIS3_N6thrust23THRUST_200600_302600_NS6detail15normal_iteratorINS9_10device_ptrIyEEEEPS5_m11less_div_10IyEEE10hipError_tT0_T1_T2_jT3_P12ihipStream_tbPNSt15iterator_traitsISJ_E10value_typeEPNSP_ISK_E10value_typeEPSL_NS1_7vsmem_tEENKUlT_SJ_SK_SL_E_clISE_PySF_SF_EESI_SY_SJ_SK_SL_EUlSY_E1_NS1_11comp_targetILNS1_3genE5ELNS1_11target_archE942ELNS1_3gpuE9ELNS1_3repE0EEENS1_36merge_oddeven_config_static_selectorELNS0_4arch9wavefront6targetE0EEEvSK_.uses_flat_scratch, 0
	.set _ZN7rocprim17ROCPRIM_400000_NS6detail17trampoline_kernelINS0_14default_configENS1_38merge_sort_block_merge_config_selectorIyNS0_10empty_typeEEEZZNS1_27merge_sort_block_merge_implIS3_N6thrust23THRUST_200600_302600_NS6detail15normal_iteratorINS9_10device_ptrIyEEEEPS5_m11less_div_10IyEEE10hipError_tT0_T1_T2_jT3_P12ihipStream_tbPNSt15iterator_traitsISJ_E10value_typeEPNSP_ISK_E10value_typeEPSL_NS1_7vsmem_tEENKUlT_SJ_SK_SL_E_clISE_PySF_SF_EESI_SY_SJ_SK_SL_EUlSY_E1_NS1_11comp_targetILNS1_3genE5ELNS1_11target_archE942ELNS1_3gpuE9ELNS1_3repE0EEENS1_36merge_oddeven_config_static_selectorELNS0_4arch9wavefront6targetE0EEEvSK_.has_dyn_sized_stack, 0
	.set _ZN7rocprim17ROCPRIM_400000_NS6detail17trampoline_kernelINS0_14default_configENS1_38merge_sort_block_merge_config_selectorIyNS0_10empty_typeEEEZZNS1_27merge_sort_block_merge_implIS3_N6thrust23THRUST_200600_302600_NS6detail15normal_iteratorINS9_10device_ptrIyEEEEPS5_m11less_div_10IyEEE10hipError_tT0_T1_T2_jT3_P12ihipStream_tbPNSt15iterator_traitsISJ_E10value_typeEPNSP_ISK_E10value_typeEPSL_NS1_7vsmem_tEENKUlT_SJ_SK_SL_E_clISE_PySF_SF_EESI_SY_SJ_SK_SL_EUlSY_E1_NS1_11comp_targetILNS1_3genE5ELNS1_11target_archE942ELNS1_3gpuE9ELNS1_3repE0EEENS1_36merge_oddeven_config_static_selectorELNS0_4arch9wavefront6targetE0EEEvSK_.has_recursion, 0
	.set _ZN7rocprim17ROCPRIM_400000_NS6detail17trampoline_kernelINS0_14default_configENS1_38merge_sort_block_merge_config_selectorIyNS0_10empty_typeEEEZZNS1_27merge_sort_block_merge_implIS3_N6thrust23THRUST_200600_302600_NS6detail15normal_iteratorINS9_10device_ptrIyEEEEPS5_m11less_div_10IyEEE10hipError_tT0_T1_T2_jT3_P12ihipStream_tbPNSt15iterator_traitsISJ_E10value_typeEPNSP_ISK_E10value_typeEPSL_NS1_7vsmem_tEENKUlT_SJ_SK_SL_E_clISE_PySF_SF_EESI_SY_SJ_SK_SL_EUlSY_E1_NS1_11comp_targetILNS1_3genE5ELNS1_11target_archE942ELNS1_3gpuE9ELNS1_3repE0EEENS1_36merge_oddeven_config_static_selectorELNS0_4arch9wavefront6targetE0EEEvSK_.has_indirect_call, 0
	.section	.AMDGPU.csdata,"",@progbits
; Kernel info:
; codeLenInByte = 0
; TotalNumSgprs: 0
; NumVgprs: 0
; ScratchSize: 0
; MemoryBound: 0
; FloatMode: 240
; IeeeMode: 1
; LDSByteSize: 0 bytes/workgroup (compile time only)
; SGPRBlocks: 0
; VGPRBlocks: 0
; NumSGPRsForWavesPerEU: 1
; NumVGPRsForWavesPerEU: 1
; Occupancy: 16
; WaveLimiterHint : 0
; COMPUTE_PGM_RSRC2:SCRATCH_EN: 0
; COMPUTE_PGM_RSRC2:USER_SGPR: 6
; COMPUTE_PGM_RSRC2:TRAP_HANDLER: 0
; COMPUTE_PGM_RSRC2:TGID_X_EN: 1
; COMPUTE_PGM_RSRC2:TGID_Y_EN: 0
; COMPUTE_PGM_RSRC2:TGID_Z_EN: 0
; COMPUTE_PGM_RSRC2:TIDIG_COMP_CNT: 0
	.section	.text._ZN7rocprim17ROCPRIM_400000_NS6detail17trampoline_kernelINS0_14default_configENS1_38merge_sort_block_merge_config_selectorIyNS0_10empty_typeEEEZZNS1_27merge_sort_block_merge_implIS3_N6thrust23THRUST_200600_302600_NS6detail15normal_iteratorINS9_10device_ptrIyEEEEPS5_m11less_div_10IyEEE10hipError_tT0_T1_T2_jT3_P12ihipStream_tbPNSt15iterator_traitsISJ_E10value_typeEPNSP_ISK_E10value_typeEPSL_NS1_7vsmem_tEENKUlT_SJ_SK_SL_E_clISE_PySF_SF_EESI_SY_SJ_SK_SL_EUlSY_E1_NS1_11comp_targetILNS1_3genE4ELNS1_11target_archE910ELNS1_3gpuE8ELNS1_3repE0EEENS1_36merge_oddeven_config_static_selectorELNS0_4arch9wavefront6targetE0EEEvSK_,"axG",@progbits,_ZN7rocprim17ROCPRIM_400000_NS6detail17trampoline_kernelINS0_14default_configENS1_38merge_sort_block_merge_config_selectorIyNS0_10empty_typeEEEZZNS1_27merge_sort_block_merge_implIS3_N6thrust23THRUST_200600_302600_NS6detail15normal_iteratorINS9_10device_ptrIyEEEEPS5_m11less_div_10IyEEE10hipError_tT0_T1_T2_jT3_P12ihipStream_tbPNSt15iterator_traitsISJ_E10value_typeEPNSP_ISK_E10value_typeEPSL_NS1_7vsmem_tEENKUlT_SJ_SK_SL_E_clISE_PySF_SF_EESI_SY_SJ_SK_SL_EUlSY_E1_NS1_11comp_targetILNS1_3genE4ELNS1_11target_archE910ELNS1_3gpuE8ELNS1_3repE0EEENS1_36merge_oddeven_config_static_selectorELNS0_4arch9wavefront6targetE0EEEvSK_,comdat
	.protected	_ZN7rocprim17ROCPRIM_400000_NS6detail17trampoline_kernelINS0_14default_configENS1_38merge_sort_block_merge_config_selectorIyNS0_10empty_typeEEEZZNS1_27merge_sort_block_merge_implIS3_N6thrust23THRUST_200600_302600_NS6detail15normal_iteratorINS9_10device_ptrIyEEEEPS5_m11less_div_10IyEEE10hipError_tT0_T1_T2_jT3_P12ihipStream_tbPNSt15iterator_traitsISJ_E10value_typeEPNSP_ISK_E10value_typeEPSL_NS1_7vsmem_tEENKUlT_SJ_SK_SL_E_clISE_PySF_SF_EESI_SY_SJ_SK_SL_EUlSY_E1_NS1_11comp_targetILNS1_3genE4ELNS1_11target_archE910ELNS1_3gpuE8ELNS1_3repE0EEENS1_36merge_oddeven_config_static_selectorELNS0_4arch9wavefront6targetE0EEEvSK_ ; -- Begin function _ZN7rocprim17ROCPRIM_400000_NS6detail17trampoline_kernelINS0_14default_configENS1_38merge_sort_block_merge_config_selectorIyNS0_10empty_typeEEEZZNS1_27merge_sort_block_merge_implIS3_N6thrust23THRUST_200600_302600_NS6detail15normal_iteratorINS9_10device_ptrIyEEEEPS5_m11less_div_10IyEEE10hipError_tT0_T1_T2_jT3_P12ihipStream_tbPNSt15iterator_traitsISJ_E10value_typeEPNSP_ISK_E10value_typeEPSL_NS1_7vsmem_tEENKUlT_SJ_SK_SL_E_clISE_PySF_SF_EESI_SY_SJ_SK_SL_EUlSY_E1_NS1_11comp_targetILNS1_3genE4ELNS1_11target_archE910ELNS1_3gpuE8ELNS1_3repE0EEENS1_36merge_oddeven_config_static_selectorELNS0_4arch9wavefront6targetE0EEEvSK_
	.globl	_ZN7rocprim17ROCPRIM_400000_NS6detail17trampoline_kernelINS0_14default_configENS1_38merge_sort_block_merge_config_selectorIyNS0_10empty_typeEEEZZNS1_27merge_sort_block_merge_implIS3_N6thrust23THRUST_200600_302600_NS6detail15normal_iteratorINS9_10device_ptrIyEEEEPS5_m11less_div_10IyEEE10hipError_tT0_T1_T2_jT3_P12ihipStream_tbPNSt15iterator_traitsISJ_E10value_typeEPNSP_ISK_E10value_typeEPSL_NS1_7vsmem_tEENKUlT_SJ_SK_SL_E_clISE_PySF_SF_EESI_SY_SJ_SK_SL_EUlSY_E1_NS1_11comp_targetILNS1_3genE4ELNS1_11target_archE910ELNS1_3gpuE8ELNS1_3repE0EEENS1_36merge_oddeven_config_static_selectorELNS0_4arch9wavefront6targetE0EEEvSK_
	.p2align	8
	.type	_ZN7rocprim17ROCPRIM_400000_NS6detail17trampoline_kernelINS0_14default_configENS1_38merge_sort_block_merge_config_selectorIyNS0_10empty_typeEEEZZNS1_27merge_sort_block_merge_implIS3_N6thrust23THRUST_200600_302600_NS6detail15normal_iteratorINS9_10device_ptrIyEEEEPS5_m11less_div_10IyEEE10hipError_tT0_T1_T2_jT3_P12ihipStream_tbPNSt15iterator_traitsISJ_E10value_typeEPNSP_ISK_E10value_typeEPSL_NS1_7vsmem_tEENKUlT_SJ_SK_SL_E_clISE_PySF_SF_EESI_SY_SJ_SK_SL_EUlSY_E1_NS1_11comp_targetILNS1_3genE4ELNS1_11target_archE910ELNS1_3gpuE8ELNS1_3repE0EEENS1_36merge_oddeven_config_static_selectorELNS0_4arch9wavefront6targetE0EEEvSK_,@function
_ZN7rocprim17ROCPRIM_400000_NS6detail17trampoline_kernelINS0_14default_configENS1_38merge_sort_block_merge_config_selectorIyNS0_10empty_typeEEEZZNS1_27merge_sort_block_merge_implIS3_N6thrust23THRUST_200600_302600_NS6detail15normal_iteratorINS9_10device_ptrIyEEEEPS5_m11less_div_10IyEEE10hipError_tT0_T1_T2_jT3_P12ihipStream_tbPNSt15iterator_traitsISJ_E10value_typeEPNSP_ISK_E10value_typeEPSL_NS1_7vsmem_tEENKUlT_SJ_SK_SL_E_clISE_PySF_SF_EESI_SY_SJ_SK_SL_EUlSY_E1_NS1_11comp_targetILNS1_3genE4ELNS1_11target_archE910ELNS1_3gpuE8ELNS1_3repE0EEENS1_36merge_oddeven_config_static_selectorELNS0_4arch9wavefront6targetE0EEEvSK_: ; @_ZN7rocprim17ROCPRIM_400000_NS6detail17trampoline_kernelINS0_14default_configENS1_38merge_sort_block_merge_config_selectorIyNS0_10empty_typeEEEZZNS1_27merge_sort_block_merge_implIS3_N6thrust23THRUST_200600_302600_NS6detail15normal_iteratorINS9_10device_ptrIyEEEEPS5_m11less_div_10IyEEE10hipError_tT0_T1_T2_jT3_P12ihipStream_tbPNSt15iterator_traitsISJ_E10value_typeEPNSP_ISK_E10value_typeEPSL_NS1_7vsmem_tEENKUlT_SJ_SK_SL_E_clISE_PySF_SF_EESI_SY_SJ_SK_SL_EUlSY_E1_NS1_11comp_targetILNS1_3genE4ELNS1_11target_archE910ELNS1_3gpuE8ELNS1_3repE0EEENS1_36merge_oddeven_config_static_selectorELNS0_4arch9wavefront6targetE0EEEvSK_
; %bb.0:
	.section	.rodata,"a",@progbits
	.p2align	6, 0x0
	.amdhsa_kernel _ZN7rocprim17ROCPRIM_400000_NS6detail17trampoline_kernelINS0_14default_configENS1_38merge_sort_block_merge_config_selectorIyNS0_10empty_typeEEEZZNS1_27merge_sort_block_merge_implIS3_N6thrust23THRUST_200600_302600_NS6detail15normal_iteratorINS9_10device_ptrIyEEEEPS5_m11less_div_10IyEEE10hipError_tT0_T1_T2_jT3_P12ihipStream_tbPNSt15iterator_traitsISJ_E10value_typeEPNSP_ISK_E10value_typeEPSL_NS1_7vsmem_tEENKUlT_SJ_SK_SL_E_clISE_PySF_SF_EESI_SY_SJ_SK_SL_EUlSY_E1_NS1_11comp_targetILNS1_3genE4ELNS1_11target_archE910ELNS1_3gpuE8ELNS1_3repE0EEENS1_36merge_oddeven_config_static_selectorELNS0_4arch9wavefront6targetE0EEEvSK_
		.amdhsa_group_segment_fixed_size 0
		.amdhsa_private_segment_fixed_size 0
		.amdhsa_kernarg_size 56
		.amdhsa_user_sgpr_count 6
		.amdhsa_user_sgpr_private_segment_buffer 1
		.amdhsa_user_sgpr_dispatch_ptr 0
		.amdhsa_user_sgpr_queue_ptr 0
		.amdhsa_user_sgpr_kernarg_segment_ptr 1
		.amdhsa_user_sgpr_dispatch_id 0
		.amdhsa_user_sgpr_flat_scratch_init 0
		.amdhsa_user_sgpr_private_segment_size 0
		.amdhsa_wavefront_size32 1
		.amdhsa_uses_dynamic_stack 0
		.amdhsa_system_sgpr_private_segment_wavefront_offset 0
		.amdhsa_system_sgpr_workgroup_id_x 1
		.amdhsa_system_sgpr_workgroup_id_y 0
		.amdhsa_system_sgpr_workgroup_id_z 0
		.amdhsa_system_sgpr_workgroup_info 0
		.amdhsa_system_vgpr_workitem_id 0
		.amdhsa_next_free_vgpr 1
		.amdhsa_next_free_sgpr 1
		.amdhsa_reserve_vcc 0
		.amdhsa_reserve_flat_scratch 0
		.amdhsa_float_round_mode_32 0
		.amdhsa_float_round_mode_16_64 0
		.amdhsa_float_denorm_mode_32 3
		.amdhsa_float_denorm_mode_16_64 3
		.amdhsa_dx10_clamp 1
		.amdhsa_ieee_mode 1
		.amdhsa_fp16_overflow 0
		.amdhsa_workgroup_processor_mode 1
		.amdhsa_memory_ordered 1
		.amdhsa_forward_progress 1
		.amdhsa_shared_vgpr_count 0
		.amdhsa_exception_fp_ieee_invalid_op 0
		.amdhsa_exception_fp_denorm_src 0
		.amdhsa_exception_fp_ieee_div_zero 0
		.amdhsa_exception_fp_ieee_overflow 0
		.amdhsa_exception_fp_ieee_underflow 0
		.amdhsa_exception_fp_ieee_inexact 0
		.amdhsa_exception_int_div_zero 0
	.end_amdhsa_kernel
	.section	.text._ZN7rocprim17ROCPRIM_400000_NS6detail17trampoline_kernelINS0_14default_configENS1_38merge_sort_block_merge_config_selectorIyNS0_10empty_typeEEEZZNS1_27merge_sort_block_merge_implIS3_N6thrust23THRUST_200600_302600_NS6detail15normal_iteratorINS9_10device_ptrIyEEEEPS5_m11less_div_10IyEEE10hipError_tT0_T1_T2_jT3_P12ihipStream_tbPNSt15iterator_traitsISJ_E10value_typeEPNSP_ISK_E10value_typeEPSL_NS1_7vsmem_tEENKUlT_SJ_SK_SL_E_clISE_PySF_SF_EESI_SY_SJ_SK_SL_EUlSY_E1_NS1_11comp_targetILNS1_3genE4ELNS1_11target_archE910ELNS1_3gpuE8ELNS1_3repE0EEENS1_36merge_oddeven_config_static_selectorELNS0_4arch9wavefront6targetE0EEEvSK_,"axG",@progbits,_ZN7rocprim17ROCPRIM_400000_NS6detail17trampoline_kernelINS0_14default_configENS1_38merge_sort_block_merge_config_selectorIyNS0_10empty_typeEEEZZNS1_27merge_sort_block_merge_implIS3_N6thrust23THRUST_200600_302600_NS6detail15normal_iteratorINS9_10device_ptrIyEEEEPS5_m11less_div_10IyEEE10hipError_tT0_T1_T2_jT3_P12ihipStream_tbPNSt15iterator_traitsISJ_E10value_typeEPNSP_ISK_E10value_typeEPSL_NS1_7vsmem_tEENKUlT_SJ_SK_SL_E_clISE_PySF_SF_EESI_SY_SJ_SK_SL_EUlSY_E1_NS1_11comp_targetILNS1_3genE4ELNS1_11target_archE910ELNS1_3gpuE8ELNS1_3repE0EEENS1_36merge_oddeven_config_static_selectorELNS0_4arch9wavefront6targetE0EEEvSK_,comdat
.Lfunc_end67:
	.size	_ZN7rocprim17ROCPRIM_400000_NS6detail17trampoline_kernelINS0_14default_configENS1_38merge_sort_block_merge_config_selectorIyNS0_10empty_typeEEEZZNS1_27merge_sort_block_merge_implIS3_N6thrust23THRUST_200600_302600_NS6detail15normal_iteratorINS9_10device_ptrIyEEEEPS5_m11less_div_10IyEEE10hipError_tT0_T1_T2_jT3_P12ihipStream_tbPNSt15iterator_traitsISJ_E10value_typeEPNSP_ISK_E10value_typeEPSL_NS1_7vsmem_tEENKUlT_SJ_SK_SL_E_clISE_PySF_SF_EESI_SY_SJ_SK_SL_EUlSY_E1_NS1_11comp_targetILNS1_3genE4ELNS1_11target_archE910ELNS1_3gpuE8ELNS1_3repE0EEENS1_36merge_oddeven_config_static_selectorELNS0_4arch9wavefront6targetE0EEEvSK_, .Lfunc_end67-_ZN7rocprim17ROCPRIM_400000_NS6detail17trampoline_kernelINS0_14default_configENS1_38merge_sort_block_merge_config_selectorIyNS0_10empty_typeEEEZZNS1_27merge_sort_block_merge_implIS3_N6thrust23THRUST_200600_302600_NS6detail15normal_iteratorINS9_10device_ptrIyEEEEPS5_m11less_div_10IyEEE10hipError_tT0_T1_T2_jT3_P12ihipStream_tbPNSt15iterator_traitsISJ_E10value_typeEPNSP_ISK_E10value_typeEPSL_NS1_7vsmem_tEENKUlT_SJ_SK_SL_E_clISE_PySF_SF_EESI_SY_SJ_SK_SL_EUlSY_E1_NS1_11comp_targetILNS1_3genE4ELNS1_11target_archE910ELNS1_3gpuE8ELNS1_3repE0EEENS1_36merge_oddeven_config_static_selectorELNS0_4arch9wavefront6targetE0EEEvSK_
                                        ; -- End function
	.set _ZN7rocprim17ROCPRIM_400000_NS6detail17trampoline_kernelINS0_14default_configENS1_38merge_sort_block_merge_config_selectorIyNS0_10empty_typeEEEZZNS1_27merge_sort_block_merge_implIS3_N6thrust23THRUST_200600_302600_NS6detail15normal_iteratorINS9_10device_ptrIyEEEEPS5_m11less_div_10IyEEE10hipError_tT0_T1_T2_jT3_P12ihipStream_tbPNSt15iterator_traitsISJ_E10value_typeEPNSP_ISK_E10value_typeEPSL_NS1_7vsmem_tEENKUlT_SJ_SK_SL_E_clISE_PySF_SF_EESI_SY_SJ_SK_SL_EUlSY_E1_NS1_11comp_targetILNS1_3genE4ELNS1_11target_archE910ELNS1_3gpuE8ELNS1_3repE0EEENS1_36merge_oddeven_config_static_selectorELNS0_4arch9wavefront6targetE0EEEvSK_.num_vgpr, 0
	.set _ZN7rocprim17ROCPRIM_400000_NS6detail17trampoline_kernelINS0_14default_configENS1_38merge_sort_block_merge_config_selectorIyNS0_10empty_typeEEEZZNS1_27merge_sort_block_merge_implIS3_N6thrust23THRUST_200600_302600_NS6detail15normal_iteratorINS9_10device_ptrIyEEEEPS5_m11less_div_10IyEEE10hipError_tT0_T1_T2_jT3_P12ihipStream_tbPNSt15iterator_traitsISJ_E10value_typeEPNSP_ISK_E10value_typeEPSL_NS1_7vsmem_tEENKUlT_SJ_SK_SL_E_clISE_PySF_SF_EESI_SY_SJ_SK_SL_EUlSY_E1_NS1_11comp_targetILNS1_3genE4ELNS1_11target_archE910ELNS1_3gpuE8ELNS1_3repE0EEENS1_36merge_oddeven_config_static_selectorELNS0_4arch9wavefront6targetE0EEEvSK_.num_agpr, 0
	.set _ZN7rocprim17ROCPRIM_400000_NS6detail17trampoline_kernelINS0_14default_configENS1_38merge_sort_block_merge_config_selectorIyNS0_10empty_typeEEEZZNS1_27merge_sort_block_merge_implIS3_N6thrust23THRUST_200600_302600_NS6detail15normal_iteratorINS9_10device_ptrIyEEEEPS5_m11less_div_10IyEEE10hipError_tT0_T1_T2_jT3_P12ihipStream_tbPNSt15iterator_traitsISJ_E10value_typeEPNSP_ISK_E10value_typeEPSL_NS1_7vsmem_tEENKUlT_SJ_SK_SL_E_clISE_PySF_SF_EESI_SY_SJ_SK_SL_EUlSY_E1_NS1_11comp_targetILNS1_3genE4ELNS1_11target_archE910ELNS1_3gpuE8ELNS1_3repE0EEENS1_36merge_oddeven_config_static_selectorELNS0_4arch9wavefront6targetE0EEEvSK_.numbered_sgpr, 0
	.set _ZN7rocprim17ROCPRIM_400000_NS6detail17trampoline_kernelINS0_14default_configENS1_38merge_sort_block_merge_config_selectorIyNS0_10empty_typeEEEZZNS1_27merge_sort_block_merge_implIS3_N6thrust23THRUST_200600_302600_NS6detail15normal_iteratorINS9_10device_ptrIyEEEEPS5_m11less_div_10IyEEE10hipError_tT0_T1_T2_jT3_P12ihipStream_tbPNSt15iterator_traitsISJ_E10value_typeEPNSP_ISK_E10value_typeEPSL_NS1_7vsmem_tEENKUlT_SJ_SK_SL_E_clISE_PySF_SF_EESI_SY_SJ_SK_SL_EUlSY_E1_NS1_11comp_targetILNS1_3genE4ELNS1_11target_archE910ELNS1_3gpuE8ELNS1_3repE0EEENS1_36merge_oddeven_config_static_selectorELNS0_4arch9wavefront6targetE0EEEvSK_.num_named_barrier, 0
	.set _ZN7rocprim17ROCPRIM_400000_NS6detail17trampoline_kernelINS0_14default_configENS1_38merge_sort_block_merge_config_selectorIyNS0_10empty_typeEEEZZNS1_27merge_sort_block_merge_implIS3_N6thrust23THRUST_200600_302600_NS6detail15normal_iteratorINS9_10device_ptrIyEEEEPS5_m11less_div_10IyEEE10hipError_tT0_T1_T2_jT3_P12ihipStream_tbPNSt15iterator_traitsISJ_E10value_typeEPNSP_ISK_E10value_typeEPSL_NS1_7vsmem_tEENKUlT_SJ_SK_SL_E_clISE_PySF_SF_EESI_SY_SJ_SK_SL_EUlSY_E1_NS1_11comp_targetILNS1_3genE4ELNS1_11target_archE910ELNS1_3gpuE8ELNS1_3repE0EEENS1_36merge_oddeven_config_static_selectorELNS0_4arch9wavefront6targetE0EEEvSK_.private_seg_size, 0
	.set _ZN7rocprim17ROCPRIM_400000_NS6detail17trampoline_kernelINS0_14default_configENS1_38merge_sort_block_merge_config_selectorIyNS0_10empty_typeEEEZZNS1_27merge_sort_block_merge_implIS3_N6thrust23THRUST_200600_302600_NS6detail15normal_iteratorINS9_10device_ptrIyEEEEPS5_m11less_div_10IyEEE10hipError_tT0_T1_T2_jT3_P12ihipStream_tbPNSt15iterator_traitsISJ_E10value_typeEPNSP_ISK_E10value_typeEPSL_NS1_7vsmem_tEENKUlT_SJ_SK_SL_E_clISE_PySF_SF_EESI_SY_SJ_SK_SL_EUlSY_E1_NS1_11comp_targetILNS1_3genE4ELNS1_11target_archE910ELNS1_3gpuE8ELNS1_3repE0EEENS1_36merge_oddeven_config_static_selectorELNS0_4arch9wavefront6targetE0EEEvSK_.uses_vcc, 0
	.set _ZN7rocprim17ROCPRIM_400000_NS6detail17trampoline_kernelINS0_14default_configENS1_38merge_sort_block_merge_config_selectorIyNS0_10empty_typeEEEZZNS1_27merge_sort_block_merge_implIS3_N6thrust23THRUST_200600_302600_NS6detail15normal_iteratorINS9_10device_ptrIyEEEEPS5_m11less_div_10IyEEE10hipError_tT0_T1_T2_jT3_P12ihipStream_tbPNSt15iterator_traitsISJ_E10value_typeEPNSP_ISK_E10value_typeEPSL_NS1_7vsmem_tEENKUlT_SJ_SK_SL_E_clISE_PySF_SF_EESI_SY_SJ_SK_SL_EUlSY_E1_NS1_11comp_targetILNS1_3genE4ELNS1_11target_archE910ELNS1_3gpuE8ELNS1_3repE0EEENS1_36merge_oddeven_config_static_selectorELNS0_4arch9wavefront6targetE0EEEvSK_.uses_flat_scratch, 0
	.set _ZN7rocprim17ROCPRIM_400000_NS6detail17trampoline_kernelINS0_14default_configENS1_38merge_sort_block_merge_config_selectorIyNS0_10empty_typeEEEZZNS1_27merge_sort_block_merge_implIS3_N6thrust23THRUST_200600_302600_NS6detail15normal_iteratorINS9_10device_ptrIyEEEEPS5_m11less_div_10IyEEE10hipError_tT0_T1_T2_jT3_P12ihipStream_tbPNSt15iterator_traitsISJ_E10value_typeEPNSP_ISK_E10value_typeEPSL_NS1_7vsmem_tEENKUlT_SJ_SK_SL_E_clISE_PySF_SF_EESI_SY_SJ_SK_SL_EUlSY_E1_NS1_11comp_targetILNS1_3genE4ELNS1_11target_archE910ELNS1_3gpuE8ELNS1_3repE0EEENS1_36merge_oddeven_config_static_selectorELNS0_4arch9wavefront6targetE0EEEvSK_.has_dyn_sized_stack, 0
	.set _ZN7rocprim17ROCPRIM_400000_NS6detail17trampoline_kernelINS0_14default_configENS1_38merge_sort_block_merge_config_selectorIyNS0_10empty_typeEEEZZNS1_27merge_sort_block_merge_implIS3_N6thrust23THRUST_200600_302600_NS6detail15normal_iteratorINS9_10device_ptrIyEEEEPS5_m11less_div_10IyEEE10hipError_tT0_T1_T2_jT3_P12ihipStream_tbPNSt15iterator_traitsISJ_E10value_typeEPNSP_ISK_E10value_typeEPSL_NS1_7vsmem_tEENKUlT_SJ_SK_SL_E_clISE_PySF_SF_EESI_SY_SJ_SK_SL_EUlSY_E1_NS1_11comp_targetILNS1_3genE4ELNS1_11target_archE910ELNS1_3gpuE8ELNS1_3repE0EEENS1_36merge_oddeven_config_static_selectorELNS0_4arch9wavefront6targetE0EEEvSK_.has_recursion, 0
	.set _ZN7rocprim17ROCPRIM_400000_NS6detail17trampoline_kernelINS0_14default_configENS1_38merge_sort_block_merge_config_selectorIyNS0_10empty_typeEEEZZNS1_27merge_sort_block_merge_implIS3_N6thrust23THRUST_200600_302600_NS6detail15normal_iteratorINS9_10device_ptrIyEEEEPS5_m11less_div_10IyEEE10hipError_tT0_T1_T2_jT3_P12ihipStream_tbPNSt15iterator_traitsISJ_E10value_typeEPNSP_ISK_E10value_typeEPSL_NS1_7vsmem_tEENKUlT_SJ_SK_SL_E_clISE_PySF_SF_EESI_SY_SJ_SK_SL_EUlSY_E1_NS1_11comp_targetILNS1_3genE4ELNS1_11target_archE910ELNS1_3gpuE8ELNS1_3repE0EEENS1_36merge_oddeven_config_static_selectorELNS0_4arch9wavefront6targetE0EEEvSK_.has_indirect_call, 0
	.section	.AMDGPU.csdata,"",@progbits
; Kernel info:
; codeLenInByte = 0
; TotalNumSgprs: 0
; NumVgprs: 0
; ScratchSize: 0
; MemoryBound: 0
; FloatMode: 240
; IeeeMode: 1
; LDSByteSize: 0 bytes/workgroup (compile time only)
; SGPRBlocks: 0
; VGPRBlocks: 0
; NumSGPRsForWavesPerEU: 1
; NumVGPRsForWavesPerEU: 1
; Occupancy: 16
; WaveLimiterHint : 0
; COMPUTE_PGM_RSRC2:SCRATCH_EN: 0
; COMPUTE_PGM_RSRC2:USER_SGPR: 6
; COMPUTE_PGM_RSRC2:TRAP_HANDLER: 0
; COMPUTE_PGM_RSRC2:TGID_X_EN: 1
; COMPUTE_PGM_RSRC2:TGID_Y_EN: 0
; COMPUTE_PGM_RSRC2:TGID_Z_EN: 0
; COMPUTE_PGM_RSRC2:TIDIG_COMP_CNT: 0
	.section	.text._ZN7rocprim17ROCPRIM_400000_NS6detail17trampoline_kernelINS0_14default_configENS1_38merge_sort_block_merge_config_selectorIyNS0_10empty_typeEEEZZNS1_27merge_sort_block_merge_implIS3_N6thrust23THRUST_200600_302600_NS6detail15normal_iteratorINS9_10device_ptrIyEEEEPS5_m11less_div_10IyEEE10hipError_tT0_T1_T2_jT3_P12ihipStream_tbPNSt15iterator_traitsISJ_E10value_typeEPNSP_ISK_E10value_typeEPSL_NS1_7vsmem_tEENKUlT_SJ_SK_SL_E_clISE_PySF_SF_EESI_SY_SJ_SK_SL_EUlSY_E1_NS1_11comp_targetILNS1_3genE3ELNS1_11target_archE908ELNS1_3gpuE7ELNS1_3repE0EEENS1_36merge_oddeven_config_static_selectorELNS0_4arch9wavefront6targetE0EEEvSK_,"axG",@progbits,_ZN7rocprim17ROCPRIM_400000_NS6detail17trampoline_kernelINS0_14default_configENS1_38merge_sort_block_merge_config_selectorIyNS0_10empty_typeEEEZZNS1_27merge_sort_block_merge_implIS3_N6thrust23THRUST_200600_302600_NS6detail15normal_iteratorINS9_10device_ptrIyEEEEPS5_m11less_div_10IyEEE10hipError_tT0_T1_T2_jT3_P12ihipStream_tbPNSt15iterator_traitsISJ_E10value_typeEPNSP_ISK_E10value_typeEPSL_NS1_7vsmem_tEENKUlT_SJ_SK_SL_E_clISE_PySF_SF_EESI_SY_SJ_SK_SL_EUlSY_E1_NS1_11comp_targetILNS1_3genE3ELNS1_11target_archE908ELNS1_3gpuE7ELNS1_3repE0EEENS1_36merge_oddeven_config_static_selectorELNS0_4arch9wavefront6targetE0EEEvSK_,comdat
	.protected	_ZN7rocprim17ROCPRIM_400000_NS6detail17trampoline_kernelINS0_14default_configENS1_38merge_sort_block_merge_config_selectorIyNS0_10empty_typeEEEZZNS1_27merge_sort_block_merge_implIS3_N6thrust23THRUST_200600_302600_NS6detail15normal_iteratorINS9_10device_ptrIyEEEEPS5_m11less_div_10IyEEE10hipError_tT0_T1_T2_jT3_P12ihipStream_tbPNSt15iterator_traitsISJ_E10value_typeEPNSP_ISK_E10value_typeEPSL_NS1_7vsmem_tEENKUlT_SJ_SK_SL_E_clISE_PySF_SF_EESI_SY_SJ_SK_SL_EUlSY_E1_NS1_11comp_targetILNS1_3genE3ELNS1_11target_archE908ELNS1_3gpuE7ELNS1_3repE0EEENS1_36merge_oddeven_config_static_selectorELNS0_4arch9wavefront6targetE0EEEvSK_ ; -- Begin function _ZN7rocprim17ROCPRIM_400000_NS6detail17trampoline_kernelINS0_14default_configENS1_38merge_sort_block_merge_config_selectorIyNS0_10empty_typeEEEZZNS1_27merge_sort_block_merge_implIS3_N6thrust23THRUST_200600_302600_NS6detail15normal_iteratorINS9_10device_ptrIyEEEEPS5_m11less_div_10IyEEE10hipError_tT0_T1_T2_jT3_P12ihipStream_tbPNSt15iterator_traitsISJ_E10value_typeEPNSP_ISK_E10value_typeEPSL_NS1_7vsmem_tEENKUlT_SJ_SK_SL_E_clISE_PySF_SF_EESI_SY_SJ_SK_SL_EUlSY_E1_NS1_11comp_targetILNS1_3genE3ELNS1_11target_archE908ELNS1_3gpuE7ELNS1_3repE0EEENS1_36merge_oddeven_config_static_selectorELNS0_4arch9wavefront6targetE0EEEvSK_
	.globl	_ZN7rocprim17ROCPRIM_400000_NS6detail17trampoline_kernelINS0_14default_configENS1_38merge_sort_block_merge_config_selectorIyNS0_10empty_typeEEEZZNS1_27merge_sort_block_merge_implIS3_N6thrust23THRUST_200600_302600_NS6detail15normal_iteratorINS9_10device_ptrIyEEEEPS5_m11less_div_10IyEEE10hipError_tT0_T1_T2_jT3_P12ihipStream_tbPNSt15iterator_traitsISJ_E10value_typeEPNSP_ISK_E10value_typeEPSL_NS1_7vsmem_tEENKUlT_SJ_SK_SL_E_clISE_PySF_SF_EESI_SY_SJ_SK_SL_EUlSY_E1_NS1_11comp_targetILNS1_3genE3ELNS1_11target_archE908ELNS1_3gpuE7ELNS1_3repE0EEENS1_36merge_oddeven_config_static_selectorELNS0_4arch9wavefront6targetE0EEEvSK_
	.p2align	8
	.type	_ZN7rocprim17ROCPRIM_400000_NS6detail17trampoline_kernelINS0_14default_configENS1_38merge_sort_block_merge_config_selectorIyNS0_10empty_typeEEEZZNS1_27merge_sort_block_merge_implIS3_N6thrust23THRUST_200600_302600_NS6detail15normal_iteratorINS9_10device_ptrIyEEEEPS5_m11less_div_10IyEEE10hipError_tT0_T1_T2_jT3_P12ihipStream_tbPNSt15iterator_traitsISJ_E10value_typeEPNSP_ISK_E10value_typeEPSL_NS1_7vsmem_tEENKUlT_SJ_SK_SL_E_clISE_PySF_SF_EESI_SY_SJ_SK_SL_EUlSY_E1_NS1_11comp_targetILNS1_3genE3ELNS1_11target_archE908ELNS1_3gpuE7ELNS1_3repE0EEENS1_36merge_oddeven_config_static_selectorELNS0_4arch9wavefront6targetE0EEEvSK_,@function
_ZN7rocprim17ROCPRIM_400000_NS6detail17trampoline_kernelINS0_14default_configENS1_38merge_sort_block_merge_config_selectorIyNS0_10empty_typeEEEZZNS1_27merge_sort_block_merge_implIS3_N6thrust23THRUST_200600_302600_NS6detail15normal_iteratorINS9_10device_ptrIyEEEEPS5_m11less_div_10IyEEE10hipError_tT0_T1_T2_jT3_P12ihipStream_tbPNSt15iterator_traitsISJ_E10value_typeEPNSP_ISK_E10value_typeEPSL_NS1_7vsmem_tEENKUlT_SJ_SK_SL_E_clISE_PySF_SF_EESI_SY_SJ_SK_SL_EUlSY_E1_NS1_11comp_targetILNS1_3genE3ELNS1_11target_archE908ELNS1_3gpuE7ELNS1_3repE0EEENS1_36merge_oddeven_config_static_selectorELNS0_4arch9wavefront6targetE0EEEvSK_: ; @_ZN7rocprim17ROCPRIM_400000_NS6detail17trampoline_kernelINS0_14default_configENS1_38merge_sort_block_merge_config_selectorIyNS0_10empty_typeEEEZZNS1_27merge_sort_block_merge_implIS3_N6thrust23THRUST_200600_302600_NS6detail15normal_iteratorINS9_10device_ptrIyEEEEPS5_m11less_div_10IyEEE10hipError_tT0_T1_T2_jT3_P12ihipStream_tbPNSt15iterator_traitsISJ_E10value_typeEPNSP_ISK_E10value_typeEPSL_NS1_7vsmem_tEENKUlT_SJ_SK_SL_E_clISE_PySF_SF_EESI_SY_SJ_SK_SL_EUlSY_E1_NS1_11comp_targetILNS1_3genE3ELNS1_11target_archE908ELNS1_3gpuE7ELNS1_3repE0EEENS1_36merge_oddeven_config_static_selectorELNS0_4arch9wavefront6targetE0EEEvSK_
; %bb.0:
	.section	.rodata,"a",@progbits
	.p2align	6, 0x0
	.amdhsa_kernel _ZN7rocprim17ROCPRIM_400000_NS6detail17trampoline_kernelINS0_14default_configENS1_38merge_sort_block_merge_config_selectorIyNS0_10empty_typeEEEZZNS1_27merge_sort_block_merge_implIS3_N6thrust23THRUST_200600_302600_NS6detail15normal_iteratorINS9_10device_ptrIyEEEEPS5_m11less_div_10IyEEE10hipError_tT0_T1_T2_jT3_P12ihipStream_tbPNSt15iterator_traitsISJ_E10value_typeEPNSP_ISK_E10value_typeEPSL_NS1_7vsmem_tEENKUlT_SJ_SK_SL_E_clISE_PySF_SF_EESI_SY_SJ_SK_SL_EUlSY_E1_NS1_11comp_targetILNS1_3genE3ELNS1_11target_archE908ELNS1_3gpuE7ELNS1_3repE0EEENS1_36merge_oddeven_config_static_selectorELNS0_4arch9wavefront6targetE0EEEvSK_
		.amdhsa_group_segment_fixed_size 0
		.amdhsa_private_segment_fixed_size 0
		.amdhsa_kernarg_size 56
		.amdhsa_user_sgpr_count 6
		.amdhsa_user_sgpr_private_segment_buffer 1
		.amdhsa_user_sgpr_dispatch_ptr 0
		.amdhsa_user_sgpr_queue_ptr 0
		.amdhsa_user_sgpr_kernarg_segment_ptr 1
		.amdhsa_user_sgpr_dispatch_id 0
		.amdhsa_user_sgpr_flat_scratch_init 0
		.amdhsa_user_sgpr_private_segment_size 0
		.amdhsa_wavefront_size32 1
		.amdhsa_uses_dynamic_stack 0
		.amdhsa_system_sgpr_private_segment_wavefront_offset 0
		.amdhsa_system_sgpr_workgroup_id_x 1
		.amdhsa_system_sgpr_workgroup_id_y 0
		.amdhsa_system_sgpr_workgroup_id_z 0
		.amdhsa_system_sgpr_workgroup_info 0
		.amdhsa_system_vgpr_workitem_id 0
		.amdhsa_next_free_vgpr 1
		.amdhsa_next_free_sgpr 1
		.amdhsa_reserve_vcc 0
		.amdhsa_reserve_flat_scratch 0
		.amdhsa_float_round_mode_32 0
		.amdhsa_float_round_mode_16_64 0
		.amdhsa_float_denorm_mode_32 3
		.amdhsa_float_denorm_mode_16_64 3
		.amdhsa_dx10_clamp 1
		.amdhsa_ieee_mode 1
		.amdhsa_fp16_overflow 0
		.amdhsa_workgroup_processor_mode 1
		.amdhsa_memory_ordered 1
		.amdhsa_forward_progress 1
		.amdhsa_shared_vgpr_count 0
		.amdhsa_exception_fp_ieee_invalid_op 0
		.amdhsa_exception_fp_denorm_src 0
		.amdhsa_exception_fp_ieee_div_zero 0
		.amdhsa_exception_fp_ieee_overflow 0
		.amdhsa_exception_fp_ieee_underflow 0
		.amdhsa_exception_fp_ieee_inexact 0
		.amdhsa_exception_int_div_zero 0
	.end_amdhsa_kernel
	.section	.text._ZN7rocprim17ROCPRIM_400000_NS6detail17trampoline_kernelINS0_14default_configENS1_38merge_sort_block_merge_config_selectorIyNS0_10empty_typeEEEZZNS1_27merge_sort_block_merge_implIS3_N6thrust23THRUST_200600_302600_NS6detail15normal_iteratorINS9_10device_ptrIyEEEEPS5_m11less_div_10IyEEE10hipError_tT0_T1_T2_jT3_P12ihipStream_tbPNSt15iterator_traitsISJ_E10value_typeEPNSP_ISK_E10value_typeEPSL_NS1_7vsmem_tEENKUlT_SJ_SK_SL_E_clISE_PySF_SF_EESI_SY_SJ_SK_SL_EUlSY_E1_NS1_11comp_targetILNS1_3genE3ELNS1_11target_archE908ELNS1_3gpuE7ELNS1_3repE0EEENS1_36merge_oddeven_config_static_selectorELNS0_4arch9wavefront6targetE0EEEvSK_,"axG",@progbits,_ZN7rocprim17ROCPRIM_400000_NS6detail17trampoline_kernelINS0_14default_configENS1_38merge_sort_block_merge_config_selectorIyNS0_10empty_typeEEEZZNS1_27merge_sort_block_merge_implIS3_N6thrust23THRUST_200600_302600_NS6detail15normal_iteratorINS9_10device_ptrIyEEEEPS5_m11less_div_10IyEEE10hipError_tT0_T1_T2_jT3_P12ihipStream_tbPNSt15iterator_traitsISJ_E10value_typeEPNSP_ISK_E10value_typeEPSL_NS1_7vsmem_tEENKUlT_SJ_SK_SL_E_clISE_PySF_SF_EESI_SY_SJ_SK_SL_EUlSY_E1_NS1_11comp_targetILNS1_3genE3ELNS1_11target_archE908ELNS1_3gpuE7ELNS1_3repE0EEENS1_36merge_oddeven_config_static_selectorELNS0_4arch9wavefront6targetE0EEEvSK_,comdat
.Lfunc_end68:
	.size	_ZN7rocprim17ROCPRIM_400000_NS6detail17trampoline_kernelINS0_14default_configENS1_38merge_sort_block_merge_config_selectorIyNS0_10empty_typeEEEZZNS1_27merge_sort_block_merge_implIS3_N6thrust23THRUST_200600_302600_NS6detail15normal_iteratorINS9_10device_ptrIyEEEEPS5_m11less_div_10IyEEE10hipError_tT0_T1_T2_jT3_P12ihipStream_tbPNSt15iterator_traitsISJ_E10value_typeEPNSP_ISK_E10value_typeEPSL_NS1_7vsmem_tEENKUlT_SJ_SK_SL_E_clISE_PySF_SF_EESI_SY_SJ_SK_SL_EUlSY_E1_NS1_11comp_targetILNS1_3genE3ELNS1_11target_archE908ELNS1_3gpuE7ELNS1_3repE0EEENS1_36merge_oddeven_config_static_selectorELNS0_4arch9wavefront6targetE0EEEvSK_, .Lfunc_end68-_ZN7rocprim17ROCPRIM_400000_NS6detail17trampoline_kernelINS0_14default_configENS1_38merge_sort_block_merge_config_selectorIyNS0_10empty_typeEEEZZNS1_27merge_sort_block_merge_implIS3_N6thrust23THRUST_200600_302600_NS6detail15normal_iteratorINS9_10device_ptrIyEEEEPS5_m11less_div_10IyEEE10hipError_tT0_T1_T2_jT3_P12ihipStream_tbPNSt15iterator_traitsISJ_E10value_typeEPNSP_ISK_E10value_typeEPSL_NS1_7vsmem_tEENKUlT_SJ_SK_SL_E_clISE_PySF_SF_EESI_SY_SJ_SK_SL_EUlSY_E1_NS1_11comp_targetILNS1_3genE3ELNS1_11target_archE908ELNS1_3gpuE7ELNS1_3repE0EEENS1_36merge_oddeven_config_static_selectorELNS0_4arch9wavefront6targetE0EEEvSK_
                                        ; -- End function
	.set _ZN7rocprim17ROCPRIM_400000_NS6detail17trampoline_kernelINS0_14default_configENS1_38merge_sort_block_merge_config_selectorIyNS0_10empty_typeEEEZZNS1_27merge_sort_block_merge_implIS3_N6thrust23THRUST_200600_302600_NS6detail15normal_iteratorINS9_10device_ptrIyEEEEPS5_m11less_div_10IyEEE10hipError_tT0_T1_T2_jT3_P12ihipStream_tbPNSt15iterator_traitsISJ_E10value_typeEPNSP_ISK_E10value_typeEPSL_NS1_7vsmem_tEENKUlT_SJ_SK_SL_E_clISE_PySF_SF_EESI_SY_SJ_SK_SL_EUlSY_E1_NS1_11comp_targetILNS1_3genE3ELNS1_11target_archE908ELNS1_3gpuE7ELNS1_3repE0EEENS1_36merge_oddeven_config_static_selectorELNS0_4arch9wavefront6targetE0EEEvSK_.num_vgpr, 0
	.set _ZN7rocprim17ROCPRIM_400000_NS6detail17trampoline_kernelINS0_14default_configENS1_38merge_sort_block_merge_config_selectorIyNS0_10empty_typeEEEZZNS1_27merge_sort_block_merge_implIS3_N6thrust23THRUST_200600_302600_NS6detail15normal_iteratorINS9_10device_ptrIyEEEEPS5_m11less_div_10IyEEE10hipError_tT0_T1_T2_jT3_P12ihipStream_tbPNSt15iterator_traitsISJ_E10value_typeEPNSP_ISK_E10value_typeEPSL_NS1_7vsmem_tEENKUlT_SJ_SK_SL_E_clISE_PySF_SF_EESI_SY_SJ_SK_SL_EUlSY_E1_NS1_11comp_targetILNS1_3genE3ELNS1_11target_archE908ELNS1_3gpuE7ELNS1_3repE0EEENS1_36merge_oddeven_config_static_selectorELNS0_4arch9wavefront6targetE0EEEvSK_.num_agpr, 0
	.set _ZN7rocprim17ROCPRIM_400000_NS6detail17trampoline_kernelINS0_14default_configENS1_38merge_sort_block_merge_config_selectorIyNS0_10empty_typeEEEZZNS1_27merge_sort_block_merge_implIS3_N6thrust23THRUST_200600_302600_NS6detail15normal_iteratorINS9_10device_ptrIyEEEEPS5_m11less_div_10IyEEE10hipError_tT0_T1_T2_jT3_P12ihipStream_tbPNSt15iterator_traitsISJ_E10value_typeEPNSP_ISK_E10value_typeEPSL_NS1_7vsmem_tEENKUlT_SJ_SK_SL_E_clISE_PySF_SF_EESI_SY_SJ_SK_SL_EUlSY_E1_NS1_11comp_targetILNS1_3genE3ELNS1_11target_archE908ELNS1_3gpuE7ELNS1_3repE0EEENS1_36merge_oddeven_config_static_selectorELNS0_4arch9wavefront6targetE0EEEvSK_.numbered_sgpr, 0
	.set _ZN7rocprim17ROCPRIM_400000_NS6detail17trampoline_kernelINS0_14default_configENS1_38merge_sort_block_merge_config_selectorIyNS0_10empty_typeEEEZZNS1_27merge_sort_block_merge_implIS3_N6thrust23THRUST_200600_302600_NS6detail15normal_iteratorINS9_10device_ptrIyEEEEPS5_m11less_div_10IyEEE10hipError_tT0_T1_T2_jT3_P12ihipStream_tbPNSt15iterator_traitsISJ_E10value_typeEPNSP_ISK_E10value_typeEPSL_NS1_7vsmem_tEENKUlT_SJ_SK_SL_E_clISE_PySF_SF_EESI_SY_SJ_SK_SL_EUlSY_E1_NS1_11comp_targetILNS1_3genE3ELNS1_11target_archE908ELNS1_3gpuE7ELNS1_3repE0EEENS1_36merge_oddeven_config_static_selectorELNS0_4arch9wavefront6targetE0EEEvSK_.num_named_barrier, 0
	.set _ZN7rocprim17ROCPRIM_400000_NS6detail17trampoline_kernelINS0_14default_configENS1_38merge_sort_block_merge_config_selectorIyNS0_10empty_typeEEEZZNS1_27merge_sort_block_merge_implIS3_N6thrust23THRUST_200600_302600_NS6detail15normal_iteratorINS9_10device_ptrIyEEEEPS5_m11less_div_10IyEEE10hipError_tT0_T1_T2_jT3_P12ihipStream_tbPNSt15iterator_traitsISJ_E10value_typeEPNSP_ISK_E10value_typeEPSL_NS1_7vsmem_tEENKUlT_SJ_SK_SL_E_clISE_PySF_SF_EESI_SY_SJ_SK_SL_EUlSY_E1_NS1_11comp_targetILNS1_3genE3ELNS1_11target_archE908ELNS1_3gpuE7ELNS1_3repE0EEENS1_36merge_oddeven_config_static_selectorELNS0_4arch9wavefront6targetE0EEEvSK_.private_seg_size, 0
	.set _ZN7rocprim17ROCPRIM_400000_NS6detail17trampoline_kernelINS0_14default_configENS1_38merge_sort_block_merge_config_selectorIyNS0_10empty_typeEEEZZNS1_27merge_sort_block_merge_implIS3_N6thrust23THRUST_200600_302600_NS6detail15normal_iteratorINS9_10device_ptrIyEEEEPS5_m11less_div_10IyEEE10hipError_tT0_T1_T2_jT3_P12ihipStream_tbPNSt15iterator_traitsISJ_E10value_typeEPNSP_ISK_E10value_typeEPSL_NS1_7vsmem_tEENKUlT_SJ_SK_SL_E_clISE_PySF_SF_EESI_SY_SJ_SK_SL_EUlSY_E1_NS1_11comp_targetILNS1_3genE3ELNS1_11target_archE908ELNS1_3gpuE7ELNS1_3repE0EEENS1_36merge_oddeven_config_static_selectorELNS0_4arch9wavefront6targetE0EEEvSK_.uses_vcc, 0
	.set _ZN7rocprim17ROCPRIM_400000_NS6detail17trampoline_kernelINS0_14default_configENS1_38merge_sort_block_merge_config_selectorIyNS0_10empty_typeEEEZZNS1_27merge_sort_block_merge_implIS3_N6thrust23THRUST_200600_302600_NS6detail15normal_iteratorINS9_10device_ptrIyEEEEPS5_m11less_div_10IyEEE10hipError_tT0_T1_T2_jT3_P12ihipStream_tbPNSt15iterator_traitsISJ_E10value_typeEPNSP_ISK_E10value_typeEPSL_NS1_7vsmem_tEENKUlT_SJ_SK_SL_E_clISE_PySF_SF_EESI_SY_SJ_SK_SL_EUlSY_E1_NS1_11comp_targetILNS1_3genE3ELNS1_11target_archE908ELNS1_3gpuE7ELNS1_3repE0EEENS1_36merge_oddeven_config_static_selectorELNS0_4arch9wavefront6targetE0EEEvSK_.uses_flat_scratch, 0
	.set _ZN7rocprim17ROCPRIM_400000_NS6detail17trampoline_kernelINS0_14default_configENS1_38merge_sort_block_merge_config_selectorIyNS0_10empty_typeEEEZZNS1_27merge_sort_block_merge_implIS3_N6thrust23THRUST_200600_302600_NS6detail15normal_iteratorINS9_10device_ptrIyEEEEPS5_m11less_div_10IyEEE10hipError_tT0_T1_T2_jT3_P12ihipStream_tbPNSt15iterator_traitsISJ_E10value_typeEPNSP_ISK_E10value_typeEPSL_NS1_7vsmem_tEENKUlT_SJ_SK_SL_E_clISE_PySF_SF_EESI_SY_SJ_SK_SL_EUlSY_E1_NS1_11comp_targetILNS1_3genE3ELNS1_11target_archE908ELNS1_3gpuE7ELNS1_3repE0EEENS1_36merge_oddeven_config_static_selectorELNS0_4arch9wavefront6targetE0EEEvSK_.has_dyn_sized_stack, 0
	.set _ZN7rocprim17ROCPRIM_400000_NS6detail17trampoline_kernelINS0_14default_configENS1_38merge_sort_block_merge_config_selectorIyNS0_10empty_typeEEEZZNS1_27merge_sort_block_merge_implIS3_N6thrust23THRUST_200600_302600_NS6detail15normal_iteratorINS9_10device_ptrIyEEEEPS5_m11less_div_10IyEEE10hipError_tT0_T1_T2_jT3_P12ihipStream_tbPNSt15iterator_traitsISJ_E10value_typeEPNSP_ISK_E10value_typeEPSL_NS1_7vsmem_tEENKUlT_SJ_SK_SL_E_clISE_PySF_SF_EESI_SY_SJ_SK_SL_EUlSY_E1_NS1_11comp_targetILNS1_3genE3ELNS1_11target_archE908ELNS1_3gpuE7ELNS1_3repE0EEENS1_36merge_oddeven_config_static_selectorELNS0_4arch9wavefront6targetE0EEEvSK_.has_recursion, 0
	.set _ZN7rocprim17ROCPRIM_400000_NS6detail17trampoline_kernelINS0_14default_configENS1_38merge_sort_block_merge_config_selectorIyNS0_10empty_typeEEEZZNS1_27merge_sort_block_merge_implIS3_N6thrust23THRUST_200600_302600_NS6detail15normal_iteratorINS9_10device_ptrIyEEEEPS5_m11less_div_10IyEEE10hipError_tT0_T1_T2_jT3_P12ihipStream_tbPNSt15iterator_traitsISJ_E10value_typeEPNSP_ISK_E10value_typeEPSL_NS1_7vsmem_tEENKUlT_SJ_SK_SL_E_clISE_PySF_SF_EESI_SY_SJ_SK_SL_EUlSY_E1_NS1_11comp_targetILNS1_3genE3ELNS1_11target_archE908ELNS1_3gpuE7ELNS1_3repE0EEENS1_36merge_oddeven_config_static_selectorELNS0_4arch9wavefront6targetE0EEEvSK_.has_indirect_call, 0
	.section	.AMDGPU.csdata,"",@progbits
; Kernel info:
; codeLenInByte = 0
; TotalNumSgprs: 0
; NumVgprs: 0
; ScratchSize: 0
; MemoryBound: 0
; FloatMode: 240
; IeeeMode: 1
; LDSByteSize: 0 bytes/workgroup (compile time only)
; SGPRBlocks: 0
; VGPRBlocks: 0
; NumSGPRsForWavesPerEU: 1
; NumVGPRsForWavesPerEU: 1
; Occupancy: 16
; WaveLimiterHint : 0
; COMPUTE_PGM_RSRC2:SCRATCH_EN: 0
; COMPUTE_PGM_RSRC2:USER_SGPR: 6
; COMPUTE_PGM_RSRC2:TRAP_HANDLER: 0
; COMPUTE_PGM_RSRC2:TGID_X_EN: 1
; COMPUTE_PGM_RSRC2:TGID_Y_EN: 0
; COMPUTE_PGM_RSRC2:TGID_Z_EN: 0
; COMPUTE_PGM_RSRC2:TIDIG_COMP_CNT: 0
	.section	.text._ZN7rocprim17ROCPRIM_400000_NS6detail17trampoline_kernelINS0_14default_configENS1_38merge_sort_block_merge_config_selectorIyNS0_10empty_typeEEEZZNS1_27merge_sort_block_merge_implIS3_N6thrust23THRUST_200600_302600_NS6detail15normal_iteratorINS9_10device_ptrIyEEEEPS5_m11less_div_10IyEEE10hipError_tT0_T1_T2_jT3_P12ihipStream_tbPNSt15iterator_traitsISJ_E10value_typeEPNSP_ISK_E10value_typeEPSL_NS1_7vsmem_tEENKUlT_SJ_SK_SL_E_clISE_PySF_SF_EESI_SY_SJ_SK_SL_EUlSY_E1_NS1_11comp_targetILNS1_3genE2ELNS1_11target_archE906ELNS1_3gpuE6ELNS1_3repE0EEENS1_36merge_oddeven_config_static_selectorELNS0_4arch9wavefront6targetE0EEEvSK_,"axG",@progbits,_ZN7rocprim17ROCPRIM_400000_NS6detail17trampoline_kernelINS0_14default_configENS1_38merge_sort_block_merge_config_selectorIyNS0_10empty_typeEEEZZNS1_27merge_sort_block_merge_implIS3_N6thrust23THRUST_200600_302600_NS6detail15normal_iteratorINS9_10device_ptrIyEEEEPS5_m11less_div_10IyEEE10hipError_tT0_T1_T2_jT3_P12ihipStream_tbPNSt15iterator_traitsISJ_E10value_typeEPNSP_ISK_E10value_typeEPSL_NS1_7vsmem_tEENKUlT_SJ_SK_SL_E_clISE_PySF_SF_EESI_SY_SJ_SK_SL_EUlSY_E1_NS1_11comp_targetILNS1_3genE2ELNS1_11target_archE906ELNS1_3gpuE6ELNS1_3repE0EEENS1_36merge_oddeven_config_static_selectorELNS0_4arch9wavefront6targetE0EEEvSK_,comdat
	.protected	_ZN7rocprim17ROCPRIM_400000_NS6detail17trampoline_kernelINS0_14default_configENS1_38merge_sort_block_merge_config_selectorIyNS0_10empty_typeEEEZZNS1_27merge_sort_block_merge_implIS3_N6thrust23THRUST_200600_302600_NS6detail15normal_iteratorINS9_10device_ptrIyEEEEPS5_m11less_div_10IyEEE10hipError_tT0_T1_T2_jT3_P12ihipStream_tbPNSt15iterator_traitsISJ_E10value_typeEPNSP_ISK_E10value_typeEPSL_NS1_7vsmem_tEENKUlT_SJ_SK_SL_E_clISE_PySF_SF_EESI_SY_SJ_SK_SL_EUlSY_E1_NS1_11comp_targetILNS1_3genE2ELNS1_11target_archE906ELNS1_3gpuE6ELNS1_3repE0EEENS1_36merge_oddeven_config_static_selectorELNS0_4arch9wavefront6targetE0EEEvSK_ ; -- Begin function _ZN7rocprim17ROCPRIM_400000_NS6detail17trampoline_kernelINS0_14default_configENS1_38merge_sort_block_merge_config_selectorIyNS0_10empty_typeEEEZZNS1_27merge_sort_block_merge_implIS3_N6thrust23THRUST_200600_302600_NS6detail15normal_iteratorINS9_10device_ptrIyEEEEPS5_m11less_div_10IyEEE10hipError_tT0_T1_T2_jT3_P12ihipStream_tbPNSt15iterator_traitsISJ_E10value_typeEPNSP_ISK_E10value_typeEPSL_NS1_7vsmem_tEENKUlT_SJ_SK_SL_E_clISE_PySF_SF_EESI_SY_SJ_SK_SL_EUlSY_E1_NS1_11comp_targetILNS1_3genE2ELNS1_11target_archE906ELNS1_3gpuE6ELNS1_3repE0EEENS1_36merge_oddeven_config_static_selectorELNS0_4arch9wavefront6targetE0EEEvSK_
	.globl	_ZN7rocprim17ROCPRIM_400000_NS6detail17trampoline_kernelINS0_14default_configENS1_38merge_sort_block_merge_config_selectorIyNS0_10empty_typeEEEZZNS1_27merge_sort_block_merge_implIS3_N6thrust23THRUST_200600_302600_NS6detail15normal_iteratorINS9_10device_ptrIyEEEEPS5_m11less_div_10IyEEE10hipError_tT0_T1_T2_jT3_P12ihipStream_tbPNSt15iterator_traitsISJ_E10value_typeEPNSP_ISK_E10value_typeEPSL_NS1_7vsmem_tEENKUlT_SJ_SK_SL_E_clISE_PySF_SF_EESI_SY_SJ_SK_SL_EUlSY_E1_NS1_11comp_targetILNS1_3genE2ELNS1_11target_archE906ELNS1_3gpuE6ELNS1_3repE0EEENS1_36merge_oddeven_config_static_selectorELNS0_4arch9wavefront6targetE0EEEvSK_
	.p2align	8
	.type	_ZN7rocprim17ROCPRIM_400000_NS6detail17trampoline_kernelINS0_14default_configENS1_38merge_sort_block_merge_config_selectorIyNS0_10empty_typeEEEZZNS1_27merge_sort_block_merge_implIS3_N6thrust23THRUST_200600_302600_NS6detail15normal_iteratorINS9_10device_ptrIyEEEEPS5_m11less_div_10IyEEE10hipError_tT0_T1_T2_jT3_P12ihipStream_tbPNSt15iterator_traitsISJ_E10value_typeEPNSP_ISK_E10value_typeEPSL_NS1_7vsmem_tEENKUlT_SJ_SK_SL_E_clISE_PySF_SF_EESI_SY_SJ_SK_SL_EUlSY_E1_NS1_11comp_targetILNS1_3genE2ELNS1_11target_archE906ELNS1_3gpuE6ELNS1_3repE0EEENS1_36merge_oddeven_config_static_selectorELNS0_4arch9wavefront6targetE0EEEvSK_,@function
_ZN7rocprim17ROCPRIM_400000_NS6detail17trampoline_kernelINS0_14default_configENS1_38merge_sort_block_merge_config_selectorIyNS0_10empty_typeEEEZZNS1_27merge_sort_block_merge_implIS3_N6thrust23THRUST_200600_302600_NS6detail15normal_iteratorINS9_10device_ptrIyEEEEPS5_m11less_div_10IyEEE10hipError_tT0_T1_T2_jT3_P12ihipStream_tbPNSt15iterator_traitsISJ_E10value_typeEPNSP_ISK_E10value_typeEPSL_NS1_7vsmem_tEENKUlT_SJ_SK_SL_E_clISE_PySF_SF_EESI_SY_SJ_SK_SL_EUlSY_E1_NS1_11comp_targetILNS1_3genE2ELNS1_11target_archE906ELNS1_3gpuE6ELNS1_3repE0EEENS1_36merge_oddeven_config_static_selectorELNS0_4arch9wavefront6targetE0EEEvSK_: ; @_ZN7rocprim17ROCPRIM_400000_NS6detail17trampoline_kernelINS0_14default_configENS1_38merge_sort_block_merge_config_selectorIyNS0_10empty_typeEEEZZNS1_27merge_sort_block_merge_implIS3_N6thrust23THRUST_200600_302600_NS6detail15normal_iteratorINS9_10device_ptrIyEEEEPS5_m11less_div_10IyEEE10hipError_tT0_T1_T2_jT3_P12ihipStream_tbPNSt15iterator_traitsISJ_E10value_typeEPNSP_ISK_E10value_typeEPSL_NS1_7vsmem_tEENKUlT_SJ_SK_SL_E_clISE_PySF_SF_EESI_SY_SJ_SK_SL_EUlSY_E1_NS1_11comp_targetILNS1_3genE2ELNS1_11target_archE906ELNS1_3gpuE6ELNS1_3repE0EEENS1_36merge_oddeven_config_static_selectorELNS0_4arch9wavefront6targetE0EEEvSK_
; %bb.0:
	.section	.rodata,"a",@progbits
	.p2align	6, 0x0
	.amdhsa_kernel _ZN7rocprim17ROCPRIM_400000_NS6detail17trampoline_kernelINS0_14default_configENS1_38merge_sort_block_merge_config_selectorIyNS0_10empty_typeEEEZZNS1_27merge_sort_block_merge_implIS3_N6thrust23THRUST_200600_302600_NS6detail15normal_iteratorINS9_10device_ptrIyEEEEPS5_m11less_div_10IyEEE10hipError_tT0_T1_T2_jT3_P12ihipStream_tbPNSt15iterator_traitsISJ_E10value_typeEPNSP_ISK_E10value_typeEPSL_NS1_7vsmem_tEENKUlT_SJ_SK_SL_E_clISE_PySF_SF_EESI_SY_SJ_SK_SL_EUlSY_E1_NS1_11comp_targetILNS1_3genE2ELNS1_11target_archE906ELNS1_3gpuE6ELNS1_3repE0EEENS1_36merge_oddeven_config_static_selectorELNS0_4arch9wavefront6targetE0EEEvSK_
		.amdhsa_group_segment_fixed_size 0
		.amdhsa_private_segment_fixed_size 0
		.amdhsa_kernarg_size 56
		.amdhsa_user_sgpr_count 6
		.amdhsa_user_sgpr_private_segment_buffer 1
		.amdhsa_user_sgpr_dispatch_ptr 0
		.amdhsa_user_sgpr_queue_ptr 0
		.amdhsa_user_sgpr_kernarg_segment_ptr 1
		.amdhsa_user_sgpr_dispatch_id 0
		.amdhsa_user_sgpr_flat_scratch_init 0
		.amdhsa_user_sgpr_private_segment_size 0
		.amdhsa_wavefront_size32 1
		.amdhsa_uses_dynamic_stack 0
		.amdhsa_system_sgpr_private_segment_wavefront_offset 0
		.amdhsa_system_sgpr_workgroup_id_x 1
		.amdhsa_system_sgpr_workgroup_id_y 0
		.amdhsa_system_sgpr_workgroup_id_z 0
		.amdhsa_system_sgpr_workgroup_info 0
		.amdhsa_system_vgpr_workitem_id 0
		.amdhsa_next_free_vgpr 1
		.amdhsa_next_free_sgpr 1
		.amdhsa_reserve_vcc 0
		.amdhsa_reserve_flat_scratch 0
		.amdhsa_float_round_mode_32 0
		.amdhsa_float_round_mode_16_64 0
		.amdhsa_float_denorm_mode_32 3
		.amdhsa_float_denorm_mode_16_64 3
		.amdhsa_dx10_clamp 1
		.amdhsa_ieee_mode 1
		.amdhsa_fp16_overflow 0
		.amdhsa_workgroup_processor_mode 1
		.amdhsa_memory_ordered 1
		.amdhsa_forward_progress 1
		.amdhsa_shared_vgpr_count 0
		.amdhsa_exception_fp_ieee_invalid_op 0
		.amdhsa_exception_fp_denorm_src 0
		.amdhsa_exception_fp_ieee_div_zero 0
		.amdhsa_exception_fp_ieee_overflow 0
		.amdhsa_exception_fp_ieee_underflow 0
		.amdhsa_exception_fp_ieee_inexact 0
		.amdhsa_exception_int_div_zero 0
	.end_amdhsa_kernel
	.section	.text._ZN7rocprim17ROCPRIM_400000_NS6detail17trampoline_kernelINS0_14default_configENS1_38merge_sort_block_merge_config_selectorIyNS0_10empty_typeEEEZZNS1_27merge_sort_block_merge_implIS3_N6thrust23THRUST_200600_302600_NS6detail15normal_iteratorINS9_10device_ptrIyEEEEPS5_m11less_div_10IyEEE10hipError_tT0_T1_T2_jT3_P12ihipStream_tbPNSt15iterator_traitsISJ_E10value_typeEPNSP_ISK_E10value_typeEPSL_NS1_7vsmem_tEENKUlT_SJ_SK_SL_E_clISE_PySF_SF_EESI_SY_SJ_SK_SL_EUlSY_E1_NS1_11comp_targetILNS1_3genE2ELNS1_11target_archE906ELNS1_3gpuE6ELNS1_3repE0EEENS1_36merge_oddeven_config_static_selectorELNS0_4arch9wavefront6targetE0EEEvSK_,"axG",@progbits,_ZN7rocprim17ROCPRIM_400000_NS6detail17trampoline_kernelINS0_14default_configENS1_38merge_sort_block_merge_config_selectorIyNS0_10empty_typeEEEZZNS1_27merge_sort_block_merge_implIS3_N6thrust23THRUST_200600_302600_NS6detail15normal_iteratorINS9_10device_ptrIyEEEEPS5_m11less_div_10IyEEE10hipError_tT0_T1_T2_jT3_P12ihipStream_tbPNSt15iterator_traitsISJ_E10value_typeEPNSP_ISK_E10value_typeEPSL_NS1_7vsmem_tEENKUlT_SJ_SK_SL_E_clISE_PySF_SF_EESI_SY_SJ_SK_SL_EUlSY_E1_NS1_11comp_targetILNS1_3genE2ELNS1_11target_archE906ELNS1_3gpuE6ELNS1_3repE0EEENS1_36merge_oddeven_config_static_selectorELNS0_4arch9wavefront6targetE0EEEvSK_,comdat
.Lfunc_end69:
	.size	_ZN7rocprim17ROCPRIM_400000_NS6detail17trampoline_kernelINS0_14default_configENS1_38merge_sort_block_merge_config_selectorIyNS0_10empty_typeEEEZZNS1_27merge_sort_block_merge_implIS3_N6thrust23THRUST_200600_302600_NS6detail15normal_iteratorINS9_10device_ptrIyEEEEPS5_m11less_div_10IyEEE10hipError_tT0_T1_T2_jT3_P12ihipStream_tbPNSt15iterator_traitsISJ_E10value_typeEPNSP_ISK_E10value_typeEPSL_NS1_7vsmem_tEENKUlT_SJ_SK_SL_E_clISE_PySF_SF_EESI_SY_SJ_SK_SL_EUlSY_E1_NS1_11comp_targetILNS1_3genE2ELNS1_11target_archE906ELNS1_3gpuE6ELNS1_3repE0EEENS1_36merge_oddeven_config_static_selectorELNS0_4arch9wavefront6targetE0EEEvSK_, .Lfunc_end69-_ZN7rocprim17ROCPRIM_400000_NS6detail17trampoline_kernelINS0_14default_configENS1_38merge_sort_block_merge_config_selectorIyNS0_10empty_typeEEEZZNS1_27merge_sort_block_merge_implIS3_N6thrust23THRUST_200600_302600_NS6detail15normal_iteratorINS9_10device_ptrIyEEEEPS5_m11less_div_10IyEEE10hipError_tT0_T1_T2_jT3_P12ihipStream_tbPNSt15iterator_traitsISJ_E10value_typeEPNSP_ISK_E10value_typeEPSL_NS1_7vsmem_tEENKUlT_SJ_SK_SL_E_clISE_PySF_SF_EESI_SY_SJ_SK_SL_EUlSY_E1_NS1_11comp_targetILNS1_3genE2ELNS1_11target_archE906ELNS1_3gpuE6ELNS1_3repE0EEENS1_36merge_oddeven_config_static_selectorELNS0_4arch9wavefront6targetE0EEEvSK_
                                        ; -- End function
	.set _ZN7rocprim17ROCPRIM_400000_NS6detail17trampoline_kernelINS0_14default_configENS1_38merge_sort_block_merge_config_selectorIyNS0_10empty_typeEEEZZNS1_27merge_sort_block_merge_implIS3_N6thrust23THRUST_200600_302600_NS6detail15normal_iteratorINS9_10device_ptrIyEEEEPS5_m11less_div_10IyEEE10hipError_tT0_T1_T2_jT3_P12ihipStream_tbPNSt15iterator_traitsISJ_E10value_typeEPNSP_ISK_E10value_typeEPSL_NS1_7vsmem_tEENKUlT_SJ_SK_SL_E_clISE_PySF_SF_EESI_SY_SJ_SK_SL_EUlSY_E1_NS1_11comp_targetILNS1_3genE2ELNS1_11target_archE906ELNS1_3gpuE6ELNS1_3repE0EEENS1_36merge_oddeven_config_static_selectorELNS0_4arch9wavefront6targetE0EEEvSK_.num_vgpr, 0
	.set _ZN7rocprim17ROCPRIM_400000_NS6detail17trampoline_kernelINS0_14default_configENS1_38merge_sort_block_merge_config_selectorIyNS0_10empty_typeEEEZZNS1_27merge_sort_block_merge_implIS3_N6thrust23THRUST_200600_302600_NS6detail15normal_iteratorINS9_10device_ptrIyEEEEPS5_m11less_div_10IyEEE10hipError_tT0_T1_T2_jT3_P12ihipStream_tbPNSt15iterator_traitsISJ_E10value_typeEPNSP_ISK_E10value_typeEPSL_NS1_7vsmem_tEENKUlT_SJ_SK_SL_E_clISE_PySF_SF_EESI_SY_SJ_SK_SL_EUlSY_E1_NS1_11comp_targetILNS1_3genE2ELNS1_11target_archE906ELNS1_3gpuE6ELNS1_3repE0EEENS1_36merge_oddeven_config_static_selectorELNS0_4arch9wavefront6targetE0EEEvSK_.num_agpr, 0
	.set _ZN7rocprim17ROCPRIM_400000_NS6detail17trampoline_kernelINS0_14default_configENS1_38merge_sort_block_merge_config_selectorIyNS0_10empty_typeEEEZZNS1_27merge_sort_block_merge_implIS3_N6thrust23THRUST_200600_302600_NS6detail15normal_iteratorINS9_10device_ptrIyEEEEPS5_m11less_div_10IyEEE10hipError_tT0_T1_T2_jT3_P12ihipStream_tbPNSt15iterator_traitsISJ_E10value_typeEPNSP_ISK_E10value_typeEPSL_NS1_7vsmem_tEENKUlT_SJ_SK_SL_E_clISE_PySF_SF_EESI_SY_SJ_SK_SL_EUlSY_E1_NS1_11comp_targetILNS1_3genE2ELNS1_11target_archE906ELNS1_3gpuE6ELNS1_3repE0EEENS1_36merge_oddeven_config_static_selectorELNS0_4arch9wavefront6targetE0EEEvSK_.numbered_sgpr, 0
	.set _ZN7rocprim17ROCPRIM_400000_NS6detail17trampoline_kernelINS0_14default_configENS1_38merge_sort_block_merge_config_selectorIyNS0_10empty_typeEEEZZNS1_27merge_sort_block_merge_implIS3_N6thrust23THRUST_200600_302600_NS6detail15normal_iteratorINS9_10device_ptrIyEEEEPS5_m11less_div_10IyEEE10hipError_tT0_T1_T2_jT3_P12ihipStream_tbPNSt15iterator_traitsISJ_E10value_typeEPNSP_ISK_E10value_typeEPSL_NS1_7vsmem_tEENKUlT_SJ_SK_SL_E_clISE_PySF_SF_EESI_SY_SJ_SK_SL_EUlSY_E1_NS1_11comp_targetILNS1_3genE2ELNS1_11target_archE906ELNS1_3gpuE6ELNS1_3repE0EEENS1_36merge_oddeven_config_static_selectorELNS0_4arch9wavefront6targetE0EEEvSK_.num_named_barrier, 0
	.set _ZN7rocprim17ROCPRIM_400000_NS6detail17trampoline_kernelINS0_14default_configENS1_38merge_sort_block_merge_config_selectorIyNS0_10empty_typeEEEZZNS1_27merge_sort_block_merge_implIS3_N6thrust23THRUST_200600_302600_NS6detail15normal_iteratorINS9_10device_ptrIyEEEEPS5_m11less_div_10IyEEE10hipError_tT0_T1_T2_jT3_P12ihipStream_tbPNSt15iterator_traitsISJ_E10value_typeEPNSP_ISK_E10value_typeEPSL_NS1_7vsmem_tEENKUlT_SJ_SK_SL_E_clISE_PySF_SF_EESI_SY_SJ_SK_SL_EUlSY_E1_NS1_11comp_targetILNS1_3genE2ELNS1_11target_archE906ELNS1_3gpuE6ELNS1_3repE0EEENS1_36merge_oddeven_config_static_selectorELNS0_4arch9wavefront6targetE0EEEvSK_.private_seg_size, 0
	.set _ZN7rocprim17ROCPRIM_400000_NS6detail17trampoline_kernelINS0_14default_configENS1_38merge_sort_block_merge_config_selectorIyNS0_10empty_typeEEEZZNS1_27merge_sort_block_merge_implIS3_N6thrust23THRUST_200600_302600_NS6detail15normal_iteratorINS9_10device_ptrIyEEEEPS5_m11less_div_10IyEEE10hipError_tT0_T1_T2_jT3_P12ihipStream_tbPNSt15iterator_traitsISJ_E10value_typeEPNSP_ISK_E10value_typeEPSL_NS1_7vsmem_tEENKUlT_SJ_SK_SL_E_clISE_PySF_SF_EESI_SY_SJ_SK_SL_EUlSY_E1_NS1_11comp_targetILNS1_3genE2ELNS1_11target_archE906ELNS1_3gpuE6ELNS1_3repE0EEENS1_36merge_oddeven_config_static_selectorELNS0_4arch9wavefront6targetE0EEEvSK_.uses_vcc, 0
	.set _ZN7rocprim17ROCPRIM_400000_NS6detail17trampoline_kernelINS0_14default_configENS1_38merge_sort_block_merge_config_selectorIyNS0_10empty_typeEEEZZNS1_27merge_sort_block_merge_implIS3_N6thrust23THRUST_200600_302600_NS6detail15normal_iteratorINS9_10device_ptrIyEEEEPS5_m11less_div_10IyEEE10hipError_tT0_T1_T2_jT3_P12ihipStream_tbPNSt15iterator_traitsISJ_E10value_typeEPNSP_ISK_E10value_typeEPSL_NS1_7vsmem_tEENKUlT_SJ_SK_SL_E_clISE_PySF_SF_EESI_SY_SJ_SK_SL_EUlSY_E1_NS1_11comp_targetILNS1_3genE2ELNS1_11target_archE906ELNS1_3gpuE6ELNS1_3repE0EEENS1_36merge_oddeven_config_static_selectorELNS0_4arch9wavefront6targetE0EEEvSK_.uses_flat_scratch, 0
	.set _ZN7rocprim17ROCPRIM_400000_NS6detail17trampoline_kernelINS0_14default_configENS1_38merge_sort_block_merge_config_selectorIyNS0_10empty_typeEEEZZNS1_27merge_sort_block_merge_implIS3_N6thrust23THRUST_200600_302600_NS6detail15normal_iteratorINS9_10device_ptrIyEEEEPS5_m11less_div_10IyEEE10hipError_tT0_T1_T2_jT3_P12ihipStream_tbPNSt15iterator_traitsISJ_E10value_typeEPNSP_ISK_E10value_typeEPSL_NS1_7vsmem_tEENKUlT_SJ_SK_SL_E_clISE_PySF_SF_EESI_SY_SJ_SK_SL_EUlSY_E1_NS1_11comp_targetILNS1_3genE2ELNS1_11target_archE906ELNS1_3gpuE6ELNS1_3repE0EEENS1_36merge_oddeven_config_static_selectorELNS0_4arch9wavefront6targetE0EEEvSK_.has_dyn_sized_stack, 0
	.set _ZN7rocprim17ROCPRIM_400000_NS6detail17trampoline_kernelINS0_14default_configENS1_38merge_sort_block_merge_config_selectorIyNS0_10empty_typeEEEZZNS1_27merge_sort_block_merge_implIS3_N6thrust23THRUST_200600_302600_NS6detail15normal_iteratorINS9_10device_ptrIyEEEEPS5_m11less_div_10IyEEE10hipError_tT0_T1_T2_jT3_P12ihipStream_tbPNSt15iterator_traitsISJ_E10value_typeEPNSP_ISK_E10value_typeEPSL_NS1_7vsmem_tEENKUlT_SJ_SK_SL_E_clISE_PySF_SF_EESI_SY_SJ_SK_SL_EUlSY_E1_NS1_11comp_targetILNS1_3genE2ELNS1_11target_archE906ELNS1_3gpuE6ELNS1_3repE0EEENS1_36merge_oddeven_config_static_selectorELNS0_4arch9wavefront6targetE0EEEvSK_.has_recursion, 0
	.set _ZN7rocprim17ROCPRIM_400000_NS6detail17trampoline_kernelINS0_14default_configENS1_38merge_sort_block_merge_config_selectorIyNS0_10empty_typeEEEZZNS1_27merge_sort_block_merge_implIS3_N6thrust23THRUST_200600_302600_NS6detail15normal_iteratorINS9_10device_ptrIyEEEEPS5_m11less_div_10IyEEE10hipError_tT0_T1_T2_jT3_P12ihipStream_tbPNSt15iterator_traitsISJ_E10value_typeEPNSP_ISK_E10value_typeEPSL_NS1_7vsmem_tEENKUlT_SJ_SK_SL_E_clISE_PySF_SF_EESI_SY_SJ_SK_SL_EUlSY_E1_NS1_11comp_targetILNS1_3genE2ELNS1_11target_archE906ELNS1_3gpuE6ELNS1_3repE0EEENS1_36merge_oddeven_config_static_selectorELNS0_4arch9wavefront6targetE0EEEvSK_.has_indirect_call, 0
	.section	.AMDGPU.csdata,"",@progbits
; Kernel info:
; codeLenInByte = 0
; TotalNumSgprs: 0
; NumVgprs: 0
; ScratchSize: 0
; MemoryBound: 0
; FloatMode: 240
; IeeeMode: 1
; LDSByteSize: 0 bytes/workgroup (compile time only)
; SGPRBlocks: 0
; VGPRBlocks: 0
; NumSGPRsForWavesPerEU: 1
; NumVGPRsForWavesPerEU: 1
; Occupancy: 16
; WaveLimiterHint : 0
; COMPUTE_PGM_RSRC2:SCRATCH_EN: 0
; COMPUTE_PGM_RSRC2:USER_SGPR: 6
; COMPUTE_PGM_RSRC2:TRAP_HANDLER: 0
; COMPUTE_PGM_RSRC2:TGID_X_EN: 1
; COMPUTE_PGM_RSRC2:TGID_Y_EN: 0
; COMPUTE_PGM_RSRC2:TGID_Z_EN: 0
; COMPUTE_PGM_RSRC2:TIDIG_COMP_CNT: 0
	.section	.text._ZN7rocprim17ROCPRIM_400000_NS6detail17trampoline_kernelINS0_14default_configENS1_38merge_sort_block_merge_config_selectorIyNS0_10empty_typeEEEZZNS1_27merge_sort_block_merge_implIS3_N6thrust23THRUST_200600_302600_NS6detail15normal_iteratorINS9_10device_ptrIyEEEEPS5_m11less_div_10IyEEE10hipError_tT0_T1_T2_jT3_P12ihipStream_tbPNSt15iterator_traitsISJ_E10value_typeEPNSP_ISK_E10value_typeEPSL_NS1_7vsmem_tEENKUlT_SJ_SK_SL_E_clISE_PySF_SF_EESI_SY_SJ_SK_SL_EUlSY_E1_NS1_11comp_targetILNS1_3genE9ELNS1_11target_archE1100ELNS1_3gpuE3ELNS1_3repE0EEENS1_36merge_oddeven_config_static_selectorELNS0_4arch9wavefront6targetE0EEEvSK_,"axG",@progbits,_ZN7rocprim17ROCPRIM_400000_NS6detail17trampoline_kernelINS0_14default_configENS1_38merge_sort_block_merge_config_selectorIyNS0_10empty_typeEEEZZNS1_27merge_sort_block_merge_implIS3_N6thrust23THRUST_200600_302600_NS6detail15normal_iteratorINS9_10device_ptrIyEEEEPS5_m11less_div_10IyEEE10hipError_tT0_T1_T2_jT3_P12ihipStream_tbPNSt15iterator_traitsISJ_E10value_typeEPNSP_ISK_E10value_typeEPSL_NS1_7vsmem_tEENKUlT_SJ_SK_SL_E_clISE_PySF_SF_EESI_SY_SJ_SK_SL_EUlSY_E1_NS1_11comp_targetILNS1_3genE9ELNS1_11target_archE1100ELNS1_3gpuE3ELNS1_3repE0EEENS1_36merge_oddeven_config_static_selectorELNS0_4arch9wavefront6targetE0EEEvSK_,comdat
	.protected	_ZN7rocprim17ROCPRIM_400000_NS6detail17trampoline_kernelINS0_14default_configENS1_38merge_sort_block_merge_config_selectorIyNS0_10empty_typeEEEZZNS1_27merge_sort_block_merge_implIS3_N6thrust23THRUST_200600_302600_NS6detail15normal_iteratorINS9_10device_ptrIyEEEEPS5_m11less_div_10IyEEE10hipError_tT0_T1_T2_jT3_P12ihipStream_tbPNSt15iterator_traitsISJ_E10value_typeEPNSP_ISK_E10value_typeEPSL_NS1_7vsmem_tEENKUlT_SJ_SK_SL_E_clISE_PySF_SF_EESI_SY_SJ_SK_SL_EUlSY_E1_NS1_11comp_targetILNS1_3genE9ELNS1_11target_archE1100ELNS1_3gpuE3ELNS1_3repE0EEENS1_36merge_oddeven_config_static_selectorELNS0_4arch9wavefront6targetE0EEEvSK_ ; -- Begin function _ZN7rocprim17ROCPRIM_400000_NS6detail17trampoline_kernelINS0_14default_configENS1_38merge_sort_block_merge_config_selectorIyNS0_10empty_typeEEEZZNS1_27merge_sort_block_merge_implIS3_N6thrust23THRUST_200600_302600_NS6detail15normal_iteratorINS9_10device_ptrIyEEEEPS5_m11less_div_10IyEEE10hipError_tT0_T1_T2_jT3_P12ihipStream_tbPNSt15iterator_traitsISJ_E10value_typeEPNSP_ISK_E10value_typeEPSL_NS1_7vsmem_tEENKUlT_SJ_SK_SL_E_clISE_PySF_SF_EESI_SY_SJ_SK_SL_EUlSY_E1_NS1_11comp_targetILNS1_3genE9ELNS1_11target_archE1100ELNS1_3gpuE3ELNS1_3repE0EEENS1_36merge_oddeven_config_static_selectorELNS0_4arch9wavefront6targetE0EEEvSK_
	.globl	_ZN7rocprim17ROCPRIM_400000_NS6detail17trampoline_kernelINS0_14default_configENS1_38merge_sort_block_merge_config_selectorIyNS0_10empty_typeEEEZZNS1_27merge_sort_block_merge_implIS3_N6thrust23THRUST_200600_302600_NS6detail15normal_iteratorINS9_10device_ptrIyEEEEPS5_m11less_div_10IyEEE10hipError_tT0_T1_T2_jT3_P12ihipStream_tbPNSt15iterator_traitsISJ_E10value_typeEPNSP_ISK_E10value_typeEPSL_NS1_7vsmem_tEENKUlT_SJ_SK_SL_E_clISE_PySF_SF_EESI_SY_SJ_SK_SL_EUlSY_E1_NS1_11comp_targetILNS1_3genE9ELNS1_11target_archE1100ELNS1_3gpuE3ELNS1_3repE0EEENS1_36merge_oddeven_config_static_selectorELNS0_4arch9wavefront6targetE0EEEvSK_
	.p2align	8
	.type	_ZN7rocprim17ROCPRIM_400000_NS6detail17trampoline_kernelINS0_14default_configENS1_38merge_sort_block_merge_config_selectorIyNS0_10empty_typeEEEZZNS1_27merge_sort_block_merge_implIS3_N6thrust23THRUST_200600_302600_NS6detail15normal_iteratorINS9_10device_ptrIyEEEEPS5_m11less_div_10IyEEE10hipError_tT0_T1_T2_jT3_P12ihipStream_tbPNSt15iterator_traitsISJ_E10value_typeEPNSP_ISK_E10value_typeEPSL_NS1_7vsmem_tEENKUlT_SJ_SK_SL_E_clISE_PySF_SF_EESI_SY_SJ_SK_SL_EUlSY_E1_NS1_11comp_targetILNS1_3genE9ELNS1_11target_archE1100ELNS1_3gpuE3ELNS1_3repE0EEENS1_36merge_oddeven_config_static_selectorELNS0_4arch9wavefront6targetE0EEEvSK_,@function
_ZN7rocprim17ROCPRIM_400000_NS6detail17trampoline_kernelINS0_14default_configENS1_38merge_sort_block_merge_config_selectorIyNS0_10empty_typeEEEZZNS1_27merge_sort_block_merge_implIS3_N6thrust23THRUST_200600_302600_NS6detail15normal_iteratorINS9_10device_ptrIyEEEEPS5_m11less_div_10IyEEE10hipError_tT0_T1_T2_jT3_P12ihipStream_tbPNSt15iterator_traitsISJ_E10value_typeEPNSP_ISK_E10value_typeEPSL_NS1_7vsmem_tEENKUlT_SJ_SK_SL_E_clISE_PySF_SF_EESI_SY_SJ_SK_SL_EUlSY_E1_NS1_11comp_targetILNS1_3genE9ELNS1_11target_archE1100ELNS1_3gpuE3ELNS1_3repE0EEENS1_36merge_oddeven_config_static_selectorELNS0_4arch9wavefront6targetE0EEEvSK_: ; @_ZN7rocprim17ROCPRIM_400000_NS6detail17trampoline_kernelINS0_14default_configENS1_38merge_sort_block_merge_config_selectorIyNS0_10empty_typeEEEZZNS1_27merge_sort_block_merge_implIS3_N6thrust23THRUST_200600_302600_NS6detail15normal_iteratorINS9_10device_ptrIyEEEEPS5_m11less_div_10IyEEE10hipError_tT0_T1_T2_jT3_P12ihipStream_tbPNSt15iterator_traitsISJ_E10value_typeEPNSP_ISK_E10value_typeEPSL_NS1_7vsmem_tEENKUlT_SJ_SK_SL_E_clISE_PySF_SF_EESI_SY_SJ_SK_SL_EUlSY_E1_NS1_11comp_targetILNS1_3genE9ELNS1_11target_archE1100ELNS1_3gpuE3ELNS1_3repE0EEENS1_36merge_oddeven_config_static_selectorELNS0_4arch9wavefront6targetE0EEEvSK_
; %bb.0:
	.section	.rodata,"a",@progbits
	.p2align	6, 0x0
	.amdhsa_kernel _ZN7rocprim17ROCPRIM_400000_NS6detail17trampoline_kernelINS0_14default_configENS1_38merge_sort_block_merge_config_selectorIyNS0_10empty_typeEEEZZNS1_27merge_sort_block_merge_implIS3_N6thrust23THRUST_200600_302600_NS6detail15normal_iteratorINS9_10device_ptrIyEEEEPS5_m11less_div_10IyEEE10hipError_tT0_T1_T2_jT3_P12ihipStream_tbPNSt15iterator_traitsISJ_E10value_typeEPNSP_ISK_E10value_typeEPSL_NS1_7vsmem_tEENKUlT_SJ_SK_SL_E_clISE_PySF_SF_EESI_SY_SJ_SK_SL_EUlSY_E1_NS1_11comp_targetILNS1_3genE9ELNS1_11target_archE1100ELNS1_3gpuE3ELNS1_3repE0EEENS1_36merge_oddeven_config_static_selectorELNS0_4arch9wavefront6targetE0EEEvSK_
		.amdhsa_group_segment_fixed_size 0
		.amdhsa_private_segment_fixed_size 0
		.amdhsa_kernarg_size 56
		.amdhsa_user_sgpr_count 6
		.amdhsa_user_sgpr_private_segment_buffer 1
		.amdhsa_user_sgpr_dispatch_ptr 0
		.amdhsa_user_sgpr_queue_ptr 0
		.amdhsa_user_sgpr_kernarg_segment_ptr 1
		.amdhsa_user_sgpr_dispatch_id 0
		.amdhsa_user_sgpr_flat_scratch_init 0
		.amdhsa_user_sgpr_private_segment_size 0
		.amdhsa_wavefront_size32 1
		.amdhsa_uses_dynamic_stack 0
		.amdhsa_system_sgpr_private_segment_wavefront_offset 0
		.amdhsa_system_sgpr_workgroup_id_x 1
		.amdhsa_system_sgpr_workgroup_id_y 0
		.amdhsa_system_sgpr_workgroup_id_z 0
		.amdhsa_system_sgpr_workgroup_info 0
		.amdhsa_system_vgpr_workitem_id 0
		.amdhsa_next_free_vgpr 1
		.amdhsa_next_free_sgpr 1
		.amdhsa_reserve_vcc 0
		.amdhsa_reserve_flat_scratch 0
		.amdhsa_float_round_mode_32 0
		.amdhsa_float_round_mode_16_64 0
		.amdhsa_float_denorm_mode_32 3
		.amdhsa_float_denorm_mode_16_64 3
		.amdhsa_dx10_clamp 1
		.amdhsa_ieee_mode 1
		.amdhsa_fp16_overflow 0
		.amdhsa_workgroup_processor_mode 1
		.amdhsa_memory_ordered 1
		.amdhsa_forward_progress 1
		.amdhsa_shared_vgpr_count 0
		.amdhsa_exception_fp_ieee_invalid_op 0
		.amdhsa_exception_fp_denorm_src 0
		.amdhsa_exception_fp_ieee_div_zero 0
		.amdhsa_exception_fp_ieee_overflow 0
		.amdhsa_exception_fp_ieee_underflow 0
		.amdhsa_exception_fp_ieee_inexact 0
		.amdhsa_exception_int_div_zero 0
	.end_amdhsa_kernel
	.section	.text._ZN7rocprim17ROCPRIM_400000_NS6detail17trampoline_kernelINS0_14default_configENS1_38merge_sort_block_merge_config_selectorIyNS0_10empty_typeEEEZZNS1_27merge_sort_block_merge_implIS3_N6thrust23THRUST_200600_302600_NS6detail15normal_iteratorINS9_10device_ptrIyEEEEPS5_m11less_div_10IyEEE10hipError_tT0_T1_T2_jT3_P12ihipStream_tbPNSt15iterator_traitsISJ_E10value_typeEPNSP_ISK_E10value_typeEPSL_NS1_7vsmem_tEENKUlT_SJ_SK_SL_E_clISE_PySF_SF_EESI_SY_SJ_SK_SL_EUlSY_E1_NS1_11comp_targetILNS1_3genE9ELNS1_11target_archE1100ELNS1_3gpuE3ELNS1_3repE0EEENS1_36merge_oddeven_config_static_selectorELNS0_4arch9wavefront6targetE0EEEvSK_,"axG",@progbits,_ZN7rocprim17ROCPRIM_400000_NS6detail17trampoline_kernelINS0_14default_configENS1_38merge_sort_block_merge_config_selectorIyNS0_10empty_typeEEEZZNS1_27merge_sort_block_merge_implIS3_N6thrust23THRUST_200600_302600_NS6detail15normal_iteratorINS9_10device_ptrIyEEEEPS5_m11less_div_10IyEEE10hipError_tT0_T1_T2_jT3_P12ihipStream_tbPNSt15iterator_traitsISJ_E10value_typeEPNSP_ISK_E10value_typeEPSL_NS1_7vsmem_tEENKUlT_SJ_SK_SL_E_clISE_PySF_SF_EESI_SY_SJ_SK_SL_EUlSY_E1_NS1_11comp_targetILNS1_3genE9ELNS1_11target_archE1100ELNS1_3gpuE3ELNS1_3repE0EEENS1_36merge_oddeven_config_static_selectorELNS0_4arch9wavefront6targetE0EEEvSK_,comdat
.Lfunc_end70:
	.size	_ZN7rocprim17ROCPRIM_400000_NS6detail17trampoline_kernelINS0_14default_configENS1_38merge_sort_block_merge_config_selectorIyNS0_10empty_typeEEEZZNS1_27merge_sort_block_merge_implIS3_N6thrust23THRUST_200600_302600_NS6detail15normal_iteratorINS9_10device_ptrIyEEEEPS5_m11less_div_10IyEEE10hipError_tT0_T1_T2_jT3_P12ihipStream_tbPNSt15iterator_traitsISJ_E10value_typeEPNSP_ISK_E10value_typeEPSL_NS1_7vsmem_tEENKUlT_SJ_SK_SL_E_clISE_PySF_SF_EESI_SY_SJ_SK_SL_EUlSY_E1_NS1_11comp_targetILNS1_3genE9ELNS1_11target_archE1100ELNS1_3gpuE3ELNS1_3repE0EEENS1_36merge_oddeven_config_static_selectorELNS0_4arch9wavefront6targetE0EEEvSK_, .Lfunc_end70-_ZN7rocprim17ROCPRIM_400000_NS6detail17trampoline_kernelINS0_14default_configENS1_38merge_sort_block_merge_config_selectorIyNS0_10empty_typeEEEZZNS1_27merge_sort_block_merge_implIS3_N6thrust23THRUST_200600_302600_NS6detail15normal_iteratorINS9_10device_ptrIyEEEEPS5_m11less_div_10IyEEE10hipError_tT0_T1_T2_jT3_P12ihipStream_tbPNSt15iterator_traitsISJ_E10value_typeEPNSP_ISK_E10value_typeEPSL_NS1_7vsmem_tEENKUlT_SJ_SK_SL_E_clISE_PySF_SF_EESI_SY_SJ_SK_SL_EUlSY_E1_NS1_11comp_targetILNS1_3genE9ELNS1_11target_archE1100ELNS1_3gpuE3ELNS1_3repE0EEENS1_36merge_oddeven_config_static_selectorELNS0_4arch9wavefront6targetE0EEEvSK_
                                        ; -- End function
	.set _ZN7rocprim17ROCPRIM_400000_NS6detail17trampoline_kernelINS0_14default_configENS1_38merge_sort_block_merge_config_selectorIyNS0_10empty_typeEEEZZNS1_27merge_sort_block_merge_implIS3_N6thrust23THRUST_200600_302600_NS6detail15normal_iteratorINS9_10device_ptrIyEEEEPS5_m11less_div_10IyEEE10hipError_tT0_T1_T2_jT3_P12ihipStream_tbPNSt15iterator_traitsISJ_E10value_typeEPNSP_ISK_E10value_typeEPSL_NS1_7vsmem_tEENKUlT_SJ_SK_SL_E_clISE_PySF_SF_EESI_SY_SJ_SK_SL_EUlSY_E1_NS1_11comp_targetILNS1_3genE9ELNS1_11target_archE1100ELNS1_3gpuE3ELNS1_3repE0EEENS1_36merge_oddeven_config_static_selectorELNS0_4arch9wavefront6targetE0EEEvSK_.num_vgpr, 0
	.set _ZN7rocprim17ROCPRIM_400000_NS6detail17trampoline_kernelINS0_14default_configENS1_38merge_sort_block_merge_config_selectorIyNS0_10empty_typeEEEZZNS1_27merge_sort_block_merge_implIS3_N6thrust23THRUST_200600_302600_NS6detail15normal_iteratorINS9_10device_ptrIyEEEEPS5_m11less_div_10IyEEE10hipError_tT0_T1_T2_jT3_P12ihipStream_tbPNSt15iterator_traitsISJ_E10value_typeEPNSP_ISK_E10value_typeEPSL_NS1_7vsmem_tEENKUlT_SJ_SK_SL_E_clISE_PySF_SF_EESI_SY_SJ_SK_SL_EUlSY_E1_NS1_11comp_targetILNS1_3genE9ELNS1_11target_archE1100ELNS1_3gpuE3ELNS1_3repE0EEENS1_36merge_oddeven_config_static_selectorELNS0_4arch9wavefront6targetE0EEEvSK_.num_agpr, 0
	.set _ZN7rocprim17ROCPRIM_400000_NS6detail17trampoline_kernelINS0_14default_configENS1_38merge_sort_block_merge_config_selectorIyNS0_10empty_typeEEEZZNS1_27merge_sort_block_merge_implIS3_N6thrust23THRUST_200600_302600_NS6detail15normal_iteratorINS9_10device_ptrIyEEEEPS5_m11less_div_10IyEEE10hipError_tT0_T1_T2_jT3_P12ihipStream_tbPNSt15iterator_traitsISJ_E10value_typeEPNSP_ISK_E10value_typeEPSL_NS1_7vsmem_tEENKUlT_SJ_SK_SL_E_clISE_PySF_SF_EESI_SY_SJ_SK_SL_EUlSY_E1_NS1_11comp_targetILNS1_3genE9ELNS1_11target_archE1100ELNS1_3gpuE3ELNS1_3repE0EEENS1_36merge_oddeven_config_static_selectorELNS0_4arch9wavefront6targetE0EEEvSK_.numbered_sgpr, 0
	.set _ZN7rocprim17ROCPRIM_400000_NS6detail17trampoline_kernelINS0_14default_configENS1_38merge_sort_block_merge_config_selectorIyNS0_10empty_typeEEEZZNS1_27merge_sort_block_merge_implIS3_N6thrust23THRUST_200600_302600_NS6detail15normal_iteratorINS9_10device_ptrIyEEEEPS5_m11less_div_10IyEEE10hipError_tT0_T1_T2_jT3_P12ihipStream_tbPNSt15iterator_traitsISJ_E10value_typeEPNSP_ISK_E10value_typeEPSL_NS1_7vsmem_tEENKUlT_SJ_SK_SL_E_clISE_PySF_SF_EESI_SY_SJ_SK_SL_EUlSY_E1_NS1_11comp_targetILNS1_3genE9ELNS1_11target_archE1100ELNS1_3gpuE3ELNS1_3repE0EEENS1_36merge_oddeven_config_static_selectorELNS0_4arch9wavefront6targetE0EEEvSK_.num_named_barrier, 0
	.set _ZN7rocprim17ROCPRIM_400000_NS6detail17trampoline_kernelINS0_14default_configENS1_38merge_sort_block_merge_config_selectorIyNS0_10empty_typeEEEZZNS1_27merge_sort_block_merge_implIS3_N6thrust23THRUST_200600_302600_NS6detail15normal_iteratorINS9_10device_ptrIyEEEEPS5_m11less_div_10IyEEE10hipError_tT0_T1_T2_jT3_P12ihipStream_tbPNSt15iterator_traitsISJ_E10value_typeEPNSP_ISK_E10value_typeEPSL_NS1_7vsmem_tEENKUlT_SJ_SK_SL_E_clISE_PySF_SF_EESI_SY_SJ_SK_SL_EUlSY_E1_NS1_11comp_targetILNS1_3genE9ELNS1_11target_archE1100ELNS1_3gpuE3ELNS1_3repE0EEENS1_36merge_oddeven_config_static_selectorELNS0_4arch9wavefront6targetE0EEEvSK_.private_seg_size, 0
	.set _ZN7rocprim17ROCPRIM_400000_NS6detail17trampoline_kernelINS0_14default_configENS1_38merge_sort_block_merge_config_selectorIyNS0_10empty_typeEEEZZNS1_27merge_sort_block_merge_implIS3_N6thrust23THRUST_200600_302600_NS6detail15normal_iteratorINS9_10device_ptrIyEEEEPS5_m11less_div_10IyEEE10hipError_tT0_T1_T2_jT3_P12ihipStream_tbPNSt15iterator_traitsISJ_E10value_typeEPNSP_ISK_E10value_typeEPSL_NS1_7vsmem_tEENKUlT_SJ_SK_SL_E_clISE_PySF_SF_EESI_SY_SJ_SK_SL_EUlSY_E1_NS1_11comp_targetILNS1_3genE9ELNS1_11target_archE1100ELNS1_3gpuE3ELNS1_3repE0EEENS1_36merge_oddeven_config_static_selectorELNS0_4arch9wavefront6targetE0EEEvSK_.uses_vcc, 0
	.set _ZN7rocprim17ROCPRIM_400000_NS6detail17trampoline_kernelINS0_14default_configENS1_38merge_sort_block_merge_config_selectorIyNS0_10empty_typeEEEZZNS1_27merge_sort_block_merge_implIS3_N6thrust23THRUST_200600_302600_NS6detail15normal_iteratorINS9_10device_ptrIyEEEEPS5_m11less_div_10IyEEE10hipError_tT0_T1_T2_jT3_P12ihipStream_tbPNSt15iterator_traitsISJ_E10value_typeEPNSP_ISK_E10value_typeEPSL_NS1_7vsmem_tEENKUlT_SJ_SK_SL_E_clISE_PySF_SF_EESI_SY_SJ_SK_SL_EUlSY_E1_NS1_11comp_targetILNS1_3genE9ELNS1_11target_archE1100ELNS1_3gpuE3ELNS1_3repE0EEENS1_36merge_oddeven_config_static_selectorELNS0_4arch9wavefront6targetE0EEEvSK_.uses_flat_scratch, 0
	.set _ZN7rocprim17ROCPRIM_400000_NS6detail17trampoline_kernelINS0_14default_configENS1_38merge_sort_block_merge_config_selectorIyNS0_10empty_typeEEEZZNS1_27merge_sort_block_merge_implIS3_N6thrust23THRUST_200600_302600_NS6detail15normal_iteratorINS9_10device_ptrIyEEEEPS5_m11less_div_10IyEEE10hipError_tT0_T1_T2_jT3_P12ihipStream_tbPNSt15iterator_traitsISJ_E10value_typeEPNSP_ISK_E10value_typeEPSL_NS1_7vsmem_tEENKUlT_SJ_SK_SL_E_clISE_PySF_SF_EESI_SY_SJ_SK_SL_EUlSY_E1_NS1_11comp_targetILNS1_3genE9ELNS1_11target_archE1100ELNS1_3gpuE3ELNS1_3repE0EEENS1_36merge_oddeven_config_static_selectorELNS0_4arch9wavefront6targetE0EEEvSK_.has_dyn_sized_stack, 0
	.set _ZN7rocprim17ROCPRIM_400000_NS6detail17trampoline_kernelINS0_14default_configENS1_38merge_sort_block_merge_config_selectorIyNS0_10empty_typeEEEZZNS1_27merge_sort_block_merge_implIS3_N6thrust23THRUST_200600_302600_NS6detail15normal_iteratorINS9_10device_ptrIyEEEEPS5_m11less_div_10IyEEE10hipError_tT0_T1_T2_jT3_P12ihipStream_tbPNSt15iterator_traitsISJ_E10value_typeEPNSP_ISK_E10value_typeEPSL_NS1_7vsmem_tEENKUlT_SJ_SK_SL_E_clISE_PySF_SF_EESI_SY_SJ_SK_SL_EUlSY_E1_NS1_11comp_targetILNS1_3genE9ELNS1_11target_archE1100ELNS1_3gpuE3ELNS1_3repE0EEENS1_36merge_oddeven_config_static_selectorELNS0_4arch9wavefront6targetE0EEEvSK_.has_recursion, 0
	.set _ZN7rocprim17ROCPRIM_400000_NS6detail17trampoline_kernelINS0_14default_configENS1_38merge_sort_block_merge_config_selectorIyNS0_10empty_typeEEEZZNS1_27merge_sort_block_merge_implIS3_N6thrust23THRUST_200600_302600_NS6detail15normal_iteratorINS9_10device_ptrIyEEEEPS5_m11less_div_10IyEEE10hipError_tT0_T1_T2_jT3_P12ihipStream_tbPNSt15iterator_traitsISJ_E10value_typeEPNSP_ISK_E10value_typeEPSL_NS1_7vsmem_tEENKUlT_SJ_SK_SL_E_clISE_PySF_SF_EESI_SY_SJ_SK_SL_EUlSY_E1_NS1_11comp_targetILNS1_3genE9ELNS1_11target_archE1100ELNS1_3gpuE3ELNS1_3repE0EEENS1_36merge_oddeven_config_static_selectorELNS0_4arch9wavefront6targetE0EEEvSK_.has_indirect_call, 0
	.section	.AMDGPU.csdata,"",@progbits
; Kernel info:
; codeLenInByte = 0
; TotalNumSgprs: 0
; NumVgprs: 0
; ScratchSize: 0
; MemoryBound: 0
; FloatMode: 240
; IeeeMode: 1
; LDSByteSize: 0 bytes/workgroup (compile time only)
; SGPRBlocks: 0
; VGPRBlocks: 0
; NumSGPRsForWavesPerEU: 1
; NumVGPRsForWavesPerEU: 1
; Occupancy: 16
; WaveLimiterHint : 0
; COMPUTE_PGM_RSRC2:SCRATCH_EN: 0
; COMPUTE_PGM_RSRC2:USER_SGPR: 6
; COMPUTE_PGM_RSRC2:TRAP_HANDLER: 0
; COMPUTE_PGM_RSRC2:TGID_X_EN: 1
; COMPUTE_PGM_RSRC2:TGID_Y_EN: 0
; COMPUTE_PGM_RSRC2:TGID_Z_EN: 0
; COMPUTE_PGM_RSRC2:TIDIG_COMP_CNT: 0
	.section	.text._ZN7rocprim17ROCPRIM_400000_NS6detail17trampoline_kernelINS0_14default_configENS1_38merge_sort_block_merge_config_selectorIyNS0_10empty_typeEEEZZNS1_27merge_sort_block_merge_implIS3_N6thrust23THRUST_200600_302600_NS6detail15normal_iteratorINS9_10device_ptrIyEEEEPS5_m11less_div_10IyEEE10hipError_tT0_T1_T2_jT3_P12ihipStream_tbPNSt15iterator_traitsISJ_E10value_typeEPNSP_ISK_E10value_typeEPSL_NS1_7vsmem_tEENKUlT_SJ_SK_SL_E_clISE_PySF_SF_EESI_SY_SJ_SK_SL_EUlSY_E1_NS1_11comp_targetILNS1_3genE8ELNS1_11target_archE1030ELNS1_3gpuE2ELNS1_3repE0EEENS1_36merge_oddeven_config_static_selectorELNS0_4arch9wavefront6targetE0EEEvSK_,"axG",@progbits,_ZN7rocprim17ROCPRIM_400000_NS6detail17trampoline_kernelINS0_14default_configENS1_38merge_sort_block_merge_config_selectorIyNS0_10empty_typeEEEZZNS1_27merge_sort_block_merge_implIS3_N6thrust23THRUST_200600_302600_NS6detail15normal_iteratorINS9_10device_ptrIyEEEEPS5_m11less_div_10IyEEE10hipError_tT0_T1_T2_jT3_P12ihipStream_tbPNSt15iterator_traitsISJ_E10value_typeEPNSP_ISK_E10value_typeEPSL_NS1_7vsmem_tEENKUlT_SJ_SK_SL_E_clISE_PySF_SF_EESI_SY_SJ_SK_SL_EUlSY_E1_NS1_11comp_targetILNS1_3genE8ELNS1_11target_archE1030ELNS1_3gpuE2ELNS1_3repE0EEENS1_36merge_oddeven_config_static_selectorELNS0_4arch9wavefront6targetE0EEEvSK_,comdat
	.protected	_ZN7rocprim17ROCPRIM_400000_NS6detail17trampoline_kernelINS0_14default_configENS1_38merge_sort_block_merge_config_selectorIyNS0_10empty_typeEEEZZNS1_27merge_sort_block_merge_implIS3_N6thrust23THRUST_200600_302600_NS6detail15normal_iteratorINS9_10device_ptrIyEEEEPS5_m11less_div_10IyEEE10hipError_tT0_T1_T2_jT3_P12ihipStream_tbPNSt15iterator_traitsISJ_E10value_typeEPNSP_ISK_E10value_typeEPSL_NS1_7vsmem_tEENKUlT_SJ_SK_SL_E_clISE_PySF_SF_EESI_SY_SJ_SK_SL_EUlSY_E1_NS1_11comp_targetILNS1_3genE8ELNS1_11target_archE1030ELNS1_3gpuE2ELNS1_3repE0EEENS1_36merge_oddeven_config_static_selectorELNS0_4arch9wavefront6targetE0EEEvSK_ ; -- Begin function _ZN7rocprim17ROCPRIM_400000_NS6detail17trampoline_kernelINS0_14default_configENS1_38merge_sort_block_merge_config_selectorIyNS0_10empty_typeEEEZZNS1_27merge_sort_block_merge_implIS3_N6thrust23THRUST_200600_302600_NS6detail15normal_iteratorINS9_10device_ptrIyEEEEPS5_m11less_div_10IyEEE10hipError_tT0_T1_T2_jT3_P12ihipStream_tbPNSt15iterator_traitsISJ_E10value_typeEPNSP_ISK_E10value_typeEPSL_NS1_7vsmem_tEENKUlT_SJ_SK_SL_E_clISE_PySF_SF_EESI_SY_SJ_SK_SL_EUlSY_E1_NS1_11comp_targetILNS1_3genE8ELNS1_11target_archE1030ELNS1_3gpuE2ELNS1_3repE0EEENS1_36merge_oddeven_config_static_selectorELNS0_4arch9wavefront6targetE0EEEvSK_
	.globl	_ZN7rocprim17ROCPRIM_400000_NS6detail17trampoline_kernelINS0_14default_configENS1_38merge_sort_block_merge_config_selectorIyNS0_10empty_typeEEEZZNS1_27merge_sort_block_merge_implIS3_N6thrust23THRUST_200600_302600_NS6detail15normal_iteratorINS9_10device_ptrIyEEEEPS5_m11less_div_10IyEEE10hipError_tT0_T1_T2_jT3_P12ihipStream_tbPNSt15iterator_traitsISJ_E10value_typeEPNSP_ISK_E10value_typeEPSL_NS1_7vsmem_tEENKUlT_SJ_SK_SL_E_clISE_PySF_SF_EESI_SY_SJ_SK_SL_EUlSY_E1_NS1_11comp_targetILNS1_3genE8ELNS1_11target_archE1030ELNS1_3gpuE2ELNS1_3repE0EEENS1_36merge_oddeven_config_static_selectorELNS0_4arch9wavefront6targetE0EEEvSK_
	.p2align	8
	.type	_ZN7rocprim17ROCPRIM_400000_NS6detail17trampoline_kernelINS0_14default_configENS1_38merge_sort_block_merge_config_selectorIyNS0_10empty_typeEEEZZNS1_27merge_sort_block_merge_implIS3_N6thrust23THRUST_200600_302600_NS6detail15normal_iteratorINS9_10device_ptrIyEEEEPS5_m11less_div_10IyEEE10hipError_tT0_T1_T2_jT3_P12ihipStream_tbPNSt15iterator_traitsISJ_E10value_typeEPNSP_ISK_E10value_typeEPSL_NS1_7vsmem_tEENKUlT_SJ_SK_SL_E_clISE_PySF_SF_EESI_SY_SJ_SK_SL_EUlSY_E1_NS1_11comp_targetILNS1_3genE8ELNS1_11target_archE1030ELNS1_3gpuE2ELNS1_3repE0EEENS1_36merge_oddeven_config_static_selectorELNS0_4arch9wavefront6targetE0EEEvSK_,@function
_ZN7rocprim17ROCPRIM_400000_NS6detail17trampoline_kernelINS0_14default_configENS1_38merge_sort_block_merge_config_selectorIyNS0_10empty_typeEEEZZNS1_27merge_sort_block_merge_implIS3_N6thrust23THRUST_200600_302600_NS6detail15normal_iteratorINS9_10device_ptrIyEEEEPS5_m11less_div_10IyEEE10hipError_tT0_T1_T2_jT3_P12ihipStream_tbPNSt15iterator_traitsISJ_E10value_typeEPNSP_ISK_E10value_typeEPSL_NS1_7vsmem_tEENKUlT_SJ_SK_SL_E_clISE_PySF_SF_EESI_SY_SJ_SK_SL_EUlSY_E1_NS1_11comp_targetILNS1_3genE8ELNS1_11target_archE1030ELNS1_3gpuE2ELNS1_3repE0EEENS1_36merge_oddeven_config_static_selectorELNS0_4arch9wavefront6targetE0EEEvSK_: ; @_ZN7rocprim17ROCPRIM_400000_NS6detail17trampoline_kernelINS0_14default_configENS1_38merge_sort_block_merge_config_selectorIyNS0_10empty_typeEEEZZNS1_27merge_sort_block_merge_implIS3_N6thrust23THRUST_200600_302600_NS6detail15normal_iteratorINS9_10device_ptrIyEEEEPS5_m11less_div_10IyEEE10hipError_tT0_T1_T2_jT3_P12ihipStream_tbPNSt15iterator_traitsISJ_E10value_typeEPNSP_ISK_E10value_typeEPSL_NS1_7vsmem_tEENKUlT_SJ_SK_SL_E_clISE_PySF_SF_EESI_SY_SJ_SK_SL_EUlSY_E1_NS1_11comp_targetILNS1_3genE8ELNS1_11target_archE1030ELNS1_3gpuE2ELNS1_3repE0EEENS1_36merge_oddeven_config_static_selectorELNS0_4arch9wavefront6targetE0EEEvSK_
; %bb.0:
	s_load_dword s7, s[4:5], 0x20
	s_waitcnt lgkmcnt(0)
	s_lshr_b32 s0, s7, 8
	s_cmp_lg_u32 s6, s0
	s_cselect_b32 s13, -1, 0
	s_cmp_eq_u32 s6, s0
	s_cselect_b32 s12, -1, 0
	s_lshl_b32 s2, s6, 8
	s_sub_i32 s0, s7, s2
	v_cmp_gt_u32_e64 s1, s0, v0
	s_or_b32 s0, s13, s1
	s_and_saveexec_b32 s3, s0
	s_cbranch_execz .LBB71_20
; %bb.1:
	s_load_dwordx4 s[8:11], s[4:5], 0x0
	s_mov_b32 s3, 0
	v_lshlrev_b32_e32 v1, 3, v0
	s_lshl_b64 s[14:15], s[2:3], 3
	s_load_dword s5, s[4:5], 0x28
	v_add_nc_u32_e32 v3, s2, v0
	s_waitcnt lgkmcnt(0)
	s_add_u32 s14, s8, s14
	s_addc_u32 s15, s9, s15
	global_load_dwordx2 v[1:2], v1, s[14:15]
	s_lshr_b32 s0, s5, 8
	s_sub_i32 s4, 0, s0
	s_and_b32 s4, s6, s4
	s_and_b32 s0, s4, s0
	s_lshl_b32 s6, s4, 8
	s_sub_i32 s4, 0, s5
	s_cmp_eq_u32 s0, 0
	s_cselect_b32 s0, -1, 0
	s_and_b32 s14, s0, exec_lo
	s_cselect_b32 s4, s5, s4
	s_add_i32 s4, s4, s6
	s_cmp_lt_u32 s4, s7
	s_cbranch_scc1 .LBB71_3
; %bb.2:
	v_cmp_gt_u32_e32 vcc_lo, s7, v3
	s_or_b32 s3, vcc_lo, s13
	s_and_b32 s3, s3, exec_lo
	s_cbranch_execz .LBB71_4
	s_branch .LBB71_18
.LBB71_3:
.LBB71_4:
	s_waitcnt vmcnt(0)
	v_mul_hi_i32 v0, 0x66666667, v1
	s_min_u32 s2, s4, s7
	s_and_b32 vcc_lo, exec_lo, s12
	s_add_i32 s13, s6, s2
	s_min_u32 s6, s6, s2
	v_subrev_nc_u32_e32 v3, s13, v3
	s_add_i32 s5, s2, s5
	s_min_u32 s5, s5, s7
	v_lshrrev_b32_e32 v4, 31, v0
	v_ashrrev_i32_e32 v5, 2, v0
	v_add_nc_u32_e32 v0, s6, v3
	v_add_nc_u32_e32 v5, v5, v4
	s_cbranch_vccz .LBB71_12
; %bb.5:
                                        ; implicit-def: $vgpr3
	s_and_saveexec_b32 s6, s1
	s_cbranch_execz .LBB71_11
; %bb.6:
	v_mov_b32_e32 v6, s2
	s_cmp_ge_u32 s4, s5
	s_cbranch_scc1 .LBB71_10
; %bb.7:
	v_mov_b32_e32 v7, s5
	v_mov_b32_e32 v6, s2
	;; [unrolled: 1-line block ×3, first 2 shown]
	s_mov_b32 s1, 0
	s_inst_prefetch 0x1
	.p2align	6
.LBB71_8:                               ; =>This Inner Loop Header: Depth=1
	v_add_nc_u32_e32 v3, v6, v7
	v_lshrrev_b32_e32 v3, 1, v3
	v_lshlrev_b64 v[8:9], 3, v[3:4]
	v_add_co_u32 v8, vcc_lo, s8, v8
	v_add_co_ci_u32_e64 v9, null, s9, v9, vcc_lo
	global_load_dword v8, v[8:9], off
	s_waitcnt vmcnt(0)
	v_mul_hi_i32 v8, 0x66666667, v8
	v_lshrrev_b32_e32 v9, 31, v8
	v_ashrrev_i32_e32 v8, 2, v8
	v_add_nc_u32_e32 v8, v8, v9
	v_cmp_lt_i32_e32 vcc_lo, v8, v5
	v_cndmask_b32_e64 v9, 0, 1, vcc_lo
	v_cmp_ge_i32_e32 vcc_lo, v5, v8
	v_cndmask_b32_e64 v8, 0, 1, vcc_lo
	v_cndmask_b32_e64 v8, v8, v9, s0
	v_add_nc_u32_e32 v9, 1, v3
	v_and_b32_e32 v8, 1, v8
	v_cmp_eq_u32_e32 vcc_lo, 1, v8
	v_cndmask_b32_e32 v7, v3, v7, vcc_lo
	v_cndmask_b32_e32 v6, v6, v9, vcc_lo
	v_cmp_ge_u32_e32 vcc_lo, v6, v7
	s_or_b32 s1, vcc_lo, s1
	s_andn2_b32 exec_lo, exec_lo, s1
	s_cbranch_execnz .LBB71_8
; %bb.9:
	s_inst_prefetch 0x2
	s_or_b32 exec_lo, exec_lo, s1
.LBB71_10:
	v_add_nc_u32_e32 v3, v6, v0
	s_or_b32 s3, s3, exec_lo
.LBB71_11:
	s_or_b32 exec_lo, exec_lo, s6
	s_branch .LBB71_18
.LBB71_12:
                                        ; implicit-def: $vgpr3
	s_cbranch_execz .LBB71_18
; %bb.13:
	v_mov_b32_e32 v6, s2
	s_cmp_ge_u32 s4, s5
	s_cbranch_scc1 .LBB71_17
; %bb.14:
	v_mov_b32_e32 v7, s5
	v_mov_b32_e32 v6, s2
	;; [unrolled: 1-line block ×3, first 2 shown]
	s_mov_b32 s1, 0
	s_inst_prefetch 0x1
	.p2align	6
.LBB71_15:                              ; =>This Inner Loop Header: Depth=1
	v_add_nc_u32_e32 v3, v6, v7
	v_lshrrev_b32_e32 v3, 1, v3
	v_lshlrev_b64 v[8:9], 3, v[3:4]
	v_add_co_u32 v8, vcc_lo, s8, v8
	v_add_co_ci_u32_e64 v9, null, s9, v9, vcc_lo
	global_load_dword v8, v[8:9], off
	s_waitcnt vmcnt(0)
	v_mul_hi_i32 v8, 0x66666667, v8
	v_lshrrev_b32_e32 v9, 31, v8
	v_ashrrev_i32_e32 v8, 2, v8
	v_add_nc_u32_e32 v8, v8, v9
	v_cmp_lt_i32_e32 vcc_lo, v8, v5
	v_cndmask_b32_e64 v9, 0, 1, vcc_lo
	v_cmp_ge_i32_e32 vcc_lo, v5, v8
	v_cndmask_b32_e64 v8, 0, 1, vcc_lo
	v_cndmask_b32_e64 v8, v8, v9, s0
	v_add_nc_u32_e32 v9, 1, v3
	v_and_b32_e32 v8, 1, v8
	v_cmp_eq_u32_e32 vcc_lo, 1, v8
	v_cndmask_b32_e32 v7, v3, v7, vcc_lo
	v_cndmask_b32_e32 v6, v6, v9, vcc_lo
	v_cmp_ge_u32_e32 vcc_lo, v6, v7
	s_or_b32 s1, vcc_lo, s1
	s_andn2_b32 exec_lo, exec_lo, s1
	s_cbranch_execnz .LBB71_15
; %bb.16:
	s_inst_prefetch 0x2
	s_or_b32 exec_lo, exec_lo, s1
.LBB71_17:
	v_add_nc_u32_e32 v3, v6, v0
	s_mov_b32 s3, -1
.LBB71_18:
	s_and_b32 exec_lo, exec_lo, s3
	s_cbranch_execz .LBB71_20
; %bb.19:
	v_mov_b32_e32 v4, 0
	v_lshlrev_b64 v[3:4], 3, v[3:4]
	v_add_co_u32 v3, vcc_lo, s10, v3
	v_add_co_ci_u32_e64 v4, null, s11, v4, vcc_lo
	s_waitcnt vmcnt(0)
	global_store_dwordx2 v[3:4], v[1:2], off
.LBB71_20:
	s_endpgm
	.section	.rodata,"a",@progbits
	.p2align	6, 0x0
	.amdhsa_kernel _ZN7rocprim17ROCPRIM_400000_NS6detail17trampoline_kernelINS0_14default_configENS1_38merge_sort_block_merge_config_selectorIyNS0_10empty_typeEEEZZNS1_27merge_sort_block_merge_implIS3_N6thrust23THRUST_200600_302600_NS6detail15normal_iteratorINS9_10device_ptrIyEEEEPS5_m11less_div_10IyEEE10hipError_tT0_T1_T2_jT3_P12ihipStream_tbPNSt15iterator_traitsISJ_E10value_typeEPNSP_ISK_E10value_typeEPSL_NS1_7vsmem_tEENKUlT_SJ_SK_SL_E_clISE_PySF_SF_EESI_SY_SJ_SK_SL_EUlSY_E1_NS1_11comp_targetILNS1_3genE8ELNS1_11target_archE1030ELNS1_3gpuE2ELNS1_3repE0EEENS1_36merge_oddeven_config_static_selectorELNS0_4arch9wavefront6targetE0EEEvSK_
		.amdhsa_group_segment_fixed_size 0
		.amdhsa_private_segment_fixed_size 0
		.amdhsa_kernarg_size 56
		.amdhsa_user_sgpr_count 6
		.amdhsa_user_sgpr_private_segment_buffer 1
		.amdhsa_user_sgpr_dispatch_ptr 0
		.amdhsa_user_sgpr_queue_ptr 0
		.amdhsa_user_sgpr_kernarg_segment_ptr 1
		.amdhsa_user_sgpr_dispatch_id 0
		.amdhsa_user_sgpr_flat_scratch_init 0
		.amdhsa_user_sgpr_private_segment_size 0
		.amdhsa_wavefront_size32 1
		.amdhsa_uses_dynamic_stack 0
		.amdhsa_system_sgpr_private_segment_wavefront_offset 0
		.amdhsa_system_sgpr_workgroup_id_x 1
		.amdhsa_system_sgpr_workgroup_id_y 0
		.amdhsa_system_sgpr_workgroup_id_z 0
		.amdhsa_system_sgpr_workgroup_info 0
		.amdhsa_system_vgpr_workitem_id 0
		.amdhsa_next_free_vgpr 10
		.amdhsa_next_free_sgpr 16
		.amdhsa_reserve_vcc 1
		.amdhsa_reserve_flat_scratch 0
		.amdhsa_float_round_mode_32 0
		.amdhsa_float_round_mode_16_64 0
		.amdhsa_float_denorm_mode_32 3
		.amdhsa_float_denorm_mode_16_64 3
		.amdhsa_dx10_clamp 1
		.amdhsa_ieee_mode 1
		.amdhsa_fp16_overflow 0
		.amdhsa_workgroup_processor_mode 1
		.amdhsa_memory_ordered 1
		.amdhsa_forward_progress 1
		.amdhsa_shared_vgpr_count 0
		.amdhsa_exception_fp_ieee_invalid_op 0
		.amdhsa_exception_fp_denorm_src 0
		.amdhsa_exception_fp_ieee_div_zero 0
		.amdhsa_exception_fp_ieee_overflow 0
		.amdhsa_exception_fp_ieee_underflow 0
		.amdhsa_exception_fp_ieee_inexact 0
		.amdhsa_exception_int_div_zero 0
	.end_amdhsa_kernel
	.section	.text._ZN7rocprim17ROCPRIM_400000_NS6detail17trampoline_kernelINS0_14default_configENS1_38merge_sort_block_merge_config_selectorIyNS0_10empty_typeEEEZZNS1_27merge_sort_block_merge_implIS3_N6thrust23THRUST_200600_302600_NS6detail15normal_iteratorINS9_10device_ptrIyEEEEPS5_m11less_div_10IyEEE10hipError_tT0_T1_T2_jT3_P12ihipStream_tbPNSt15iterator_traitsISJ_E10value_typeEPNSP_ISK_E10value_typeEPSL_NS1_7vsmem_tEENKUlT_SJ_SK_SL_E_clISE_PySF_SF_EESI_SY_SJ_SK_SL_EUlSY_E1_NS1_11comp_targetILNS1_3genE8ELNS1_11target_archE1030ELNS1_3gpuE2ELNS1_3repE0EEENS1_36merge_oddeven_config_static_selectorELNS0_4arch9wavefront6targetE0EEEvSK_,"axG",@progbits,_ZN7rocprim17ROCPRIM_400000_NS6detail17trampoline_kernelINS0_14default_configENS1_38merge_sort_block_merge_config_selectorIyNS0_10empty_typeEEEZZNS1_27merge_sort_block_merge_implIS3_N6thrust23THRUST_200600_302600_NS6detail15normal_iteratorINS9_10device_ptrIyEEEEPS5_m11less_div_10IyEEE10hipError_tT0_T1_T2_jT3_P12ihipStream_tbPNSt15iterator_traitsISJ_E10value_typeEPNSP_ISK_E10value_typeEPSL_NS1_7vsmem_tEENKUlT_SJ_SK_SL_E_clISE_PySF_SF_EESI_SY_SJ_SK_SL_EUlSY_E1_NS1_11comp_targetILNS1_3genE8ELNS1_11target_archE1030ELNS1_3gpuE2ELNS1_3repE0EEENS1_36merge_oddeven_config_static_selectorELNS0_4arch9wavefront6targetE0EEEvSK_,comdat
.Lfunc_end71:
	.size	_ZN7rocprim17ROCPRIM_400000_NS6detail17trampoline_kernelINS0_14default_configENS1_38merge_sort_block_merge_config_selectorIyNS0_10empty_typeEEEZZNS1_27merge_sort_block_merge_implIS3_N6thrust23THRUST_200600_302600_NS6detail15normal_iteratorINS9_10device_ptrIyEEEEPS5_m11less_div_10IyEEE10hipError_tT0_T1_T2_jT3_P12ihipStream_tbPNSt15iterator_traitsISJ_E10value_typeEPNSP_ISK_E10value_typeEPSL_NS1_7vsmem_tEENKUlT_SJ_SK_SL_E_clISE_PySF_SF_EESI_SY_SJ_SK_SL_EUlSY_E1_NS1_11comp_targetILNS1_3genE8ELNS1_11target_archE1030ELNS1_3gpuE2ELNS1_3repE0EEENS1_36merge_oddeven_config_static_selectorELNS0_4arch9wavefront6targetE0EEEvSK_, .Lfunc_end71-_ZN7rocprim17ROCPRIM_400000_NS6detail17trampoline_kernelINS0_14default_configENS1_38merge_sort_block_merge_config_selectorIyNS0_10empty_typeEEEZZNS1_27merge_sort_block_merge_implIS3_N6thrust23THRUST_200600_302600_NS6detail15normal_iteratorINS9_10device_ptrIyEEEEPS5_m11less_div_10IyEEE10hipError_tT0_T1_T2_jT3_P12ihipStream_tbPNSt15iterator_traitsISJ_E10value_typeEPNSP_ISK_E10value_typeEPSL_NS1_7vsmem_tEENKUlT_SJ_SK_SL_E_clISE_PySF_SF_EESI_SY_SJ_SK_SL_EUlSY_E1_NS1_11comp_targetILNS1_3genE8ELNS1_11target_archE1030ELNS1_3gpuE2ELNS1_3repE0EEENS1_36merge_oddeven_config_static_selectorELNS0_4arch9wavefront6targetE0EEEvSK_
                                        ; -- End function
	.set _ZN7rocprim17ROCPRIM_400000_NS6detail17trampoline_kernelINS0_14default_configENS1_38merge_sort_block_merge_config_selectorIyNS0_10empty_typeEEEZZNS1_27merge_sort_block_merge_implIS3_N6thrust23THRUST_200600_302600_NS6detail15normal_iteratorINS9_10device_ptrIyEEEEPS5_m11less_div_10IyEEE10hipError_tT0_T1_T2_jT3_P12ihipStream_tbPNSt15iterator_traitsISJ_E10value_typeEPNSP_ISK_E10value_typeEPSL_NS1_7vsmem_tEENKUlT_SJ_SK_SL_E_clISE_PySF_SF_EESI_SY_SJ_SK_SL_EUlSY_E1_NS1_11comp_targetILNS1_3genE8ELNS1_11target_archE1030ELNS1_3gpuE2ELNS1_3repE0EEENS1_36merge_oddeven_config_static_selectorELNS0_4arch9wavefront6targetE0EEEvSK_.num_vgpr, 10
	.set _ZN7rocprim17ROCPRIM_400000_NS6detail17trampoline_kernelINS0_14default_configENS1_38merge_sort_block_merge_config_selectorIyNS0_10empty_typeEEEZZNS1_27merge_sort_block_merge_implIS3_N6thrust23THRUST_200600_302600_NS6detail15normal_iteratorINS9_10device_ptrIyEEEEPS5_m11less_div_10IyEEE10hipError_tT0_T1_T2_jT3_P12ihipStream_tbPNSt15iterator_traitsISJ_E10value_typeEPNSP_ISK_E10value_typeEPSL_NS1_7vsmem_tEENKUlT_SJ_SK_SL_E_clISE_PySF_SF_EESI_SY_SJ_SK_SL_EUlSY_E1_NS1_11comp_targetILNS1_3genE8ELNS1_11target_archE1030ELNS1_3gpuE2ELNS1_3repE0EEENS1_36merge_oddeven_config_static_selectorELNS0_4arch9wavefront6targetE0EEEvSK_.num_agpr, 0
	.set _ZN7rocprim17ROCPRIM_400000_NS6detail17trampoline_kernelINS0_14default_configENS1_38merge_sort_block_merge_config_selectorIyNS0_10empty_typeEEEZZNS1_27merge_sort_block_merge_implIS3_N6thrust23THRUST_200600_302600_NS6detail15normal_iteratorINS9_10device_ptrIyEEEEPS5_m11less_div_10IyEEE10hipError_tT0_T1_T2_jT3_P12ihipStream_tbPNSt15iterator_traitsISJ_E10value_typeEPNSP_ISK_E10value_typeEPSL_NS1_7vsmem_tEENKUlT_SJ_SK_SL_E_clISE_PySF_SF_EESI_SY_SJ_SK_SL_EUlSY_E1_NS1_11comp_targetILNS1_3genE8ELNS1_11target_archE1030ELNS1_3gpuE2ELNS1_3repE0EEENS1_36merge_oddeven_config_static_selectorELNS0_4arch9wavefront6targetE0EEEvSK_.numbered_sgpr, 16
	.set _ZN7rocprim17ROCPRIM_400000_NS6detail17trampoline_kernelINS0_14default_configENS1_38merge_sort_block_merge_config_selectorIyNS0_10empty_typeEEEZZNS1_27merge_sort_block_merge_implIS3_N6thrust23THRUST_200600_302600_NS6detail15normal_iteratorINS9_10device_ptrIyEEEEPS5_m11less_div_10IyEEE10hipError_tT0_T1_T2_jT3_P12ihipStream_tbPNSt15iterator_traitsISJ_E10value_typeEPNSP_ISK_E10value_typeEPSL_NS1_7vsmem_tEENKUlT_SJ_SK_SL_E_clISE_PySF_SF_EESI_SY_SJ_SK_SL_EUlSY_E1_NS1_11comp_targetILNS1_3genE8ELNS1_11target_archE1030ELNS1_3gpuE2ELNS1_3repE0EEENS1_36merge_oddeven_config_static_selectorELNS0_4arch9wavefront6targetE0EEEvSK_.num_named_barrier, 0
	.set _ZN7rocprim17ROCPRIM_400000_NS6detail17trampoline_kernelINS0_14default_configENS1_38merge_sort_block_merge_config_selectorIyNS0_10empty_typeEEEZZNS1_27merge_sort_block_merge_implIS3_N6thrust23THRUST_200600_302600_NS6detail15normal_iteratorINS9_10device_ptrIyEEEEPS5_m11less_div_10IyEEE10hipError_tT0_T1_T2_jT3_P12ihipStream_tbPNSt15iterator_traitsISJ_E10value_typeEPNSP_ISK_E10value_typeEPSL_NS1_7vsmem_tEENKUlT_SJ_SK_SL_E_clISE_PySF_SF_EESI_SY_SJ_SK_SL_EUlSY_E1_NS1_11comp_targetILNS1_3genE8ELNS1_11target_archE1030ELNS1_3gpuE2ELNS1_3repE0EEENS1_36merge_oddeven_config_static_selectorELNS0_4arch9wavefront6targetE0EEEvSK_.private_seg_size, 0
	.set _ZN7rocprim17ROCPRIM_400000_NS6detail17trampoline_kernelINS0_14default_configENS1_38merge_sort_block_merge_config_selectorIyNS0_10empty_typeEEEZZNS1_27merge_sort_block_merge_implIS3_N6thrust23THRUST_200600_302600_NS6detail15normal_iteratorINS9_10device_ptrIyEEEEPS5_m11less_div_10IyEEE10hipError_tT0_T1_T2_jT3_P12ihipStream_tbPNSt15iterator_traitsISJ_E10value_typeEPNSP_ISK_E10value_typeEPSL_NS1_7vsmem_tEENKUlT_SJ_SK_SL_E_clISE_PySF_SF_EESI_SY_SJ_SK_SL_EUlSY_E1_NS1_11comp_targetILNS1_3genE8ELNS1_11target_archE1030ELNS1_3gpuE2ELNS1_3repE0EEENS1_36merge_oddeven_config_static_selectorELNS0_4arch9wavefront6targetE0EEEvSK_.uses_vcc, 1
	.set _ZN7rocprim17ROCPRIM_400000_NS6detail17trampoline_kernelINS0_14default_configENS1_38merge_sort_block_merge_config_selectorIyNS0_10empty_typeEEEZZNS1_27merge_sort_block_merge_implIS3_N6thrust23THRUST_200600_302600_NS6detail15normal_iteratorINS9_10device_ptrIyEEEEPS5_m11less_div_10IyEEE10hipError_tT0_T1_T2_jT3_P12ihipStream_tbPNSt15iterator_traitsISJ_E10value_typeEPNSP_ISK_E10value_typeEPSL_NS1_7vsmem_tEENKUlT_SJ_SK_SL_E_clISE_PySF_SF_EESI_SY_SJ_SK_SL_EUlSY_E1_NS1_11comp_targetILNS1_3genE8ELNS1_11target_archE1030ELNS1_3gpuE2ELNS1_3repE0EEENS1_36merge_oddeven_config_static_selectorELNS0_4arch9wavefront6targetE0EEEvSK_.uses_flat_scratch, 0
	.set _ZN7rocprim17ROCPRIM_400000_NS6detail17trampoline_kernelINS0_14default_configENS1_38merge_sort_block_merge_config_selectorIyNS0_10empty_typeEEEZZNS1_27merge_sort_block_merge_implIS3_N6thrust23THRUST_200600_302600_NS6detail15normal_iteratorINS9_10device_ptrIyEEEEPS5_m11less_div_10IyEEE10hipError_tT0_T1_T2_jT3_P12ihipStream_tbPNSt15iterator_traitsISJ_E10value_typeEPNSP_ISK_E10value_typeEPSL_NS1_7vsmem_tEENKUlT_SJ_SK_SL_E_clISE_PySF_SF_EESI_SY_SJ_SK_SL_EUlSY_E1_NS1_11comp_targetILNS1_3genE8ELNS1_11target_archE1030ELNS1_3gpuE2ELNS1_3repE0EEENS1_36merge_oddeven_config_static_selectorELNS0_4arch9wavefront6targetE0EEEvSK_.has_dyn_sized_stack, 0
	.set _ZN7rocprim17ROCPRIM_400000_NS6detail17trampoline_kernelINS0_14default_configENS1_38merge_sort_block_merge_config_selectorIyNS0_10empty_typeEEEZZNS1_27merge_sort_block_merge_implIS3_N6thrust23THRUST_200600_302600_NS6detail15normal_iteratorINS9_10device_ptrIyEEEEPS5_m11less_div_10IyEEE10hipError_tT0_T1_T2_jT3_P12ihipStream_tbPNSt15iterator_traitsISJ_E10value_typeEPNSP_ISK_E10value_typeEPSL_NS1_7vsmem_tEENKUlT_SJ_SK_SL_E_clISE_PySF_SF_EESI_SY_SJ_SK_SL_EUlSY_E1_NS1_11comp_targetILNS1_3genE8ELNS1_11target_archE1030ELNS1_3gpuE2ELNS1_3repE0EEENS1_36merge_oddeven_config_static_selectorELNS0_4arch9wavefront6targetE0EEEvSK_.has_recursion, 0
	.set _ZN7rocprim17ROCPRIM_400000_NS6detail17trampoline_kernelINS0_14default_configENS1_38merge_sort_block_merge_config_selectorIyNS0_10empty_typeEEEZZNS1_27merge_sort_block_merge_implIS3_N6thrust23THRUST_200600_302600_NS6detail15normal_iteratorINS9_10device_ptrIyEEEEPS5_m11less_div_10IyEEE10hipError_tT0_T1_T2_jT3_P12ihipStream_tbPNSt15iterator_traitsISJ_E10value_typeEPNSP_ISK_E10value_typeEPSL_NS1_7vsmem_tEENKUlT_SJ_SK_SL_E_clISE_PySF_SF_EESI_SY_SJ_SK_SL_EUlSY_E1_NS1_11comp_targetILNS1_3genE8ELNS1_11target_archE1030ELNS1_3gpuE2ELNS1_3repE0EEENS1_36merge_oddeven_config_static_selectorELNS0_4arch9wavefront6targetE0EEEvSK_.has_indirect_call, 0
	.section	.AMDGPU.csdata,"",@progbits
; Kernel info:
; codeLenInByte = 780
; TotalNumSgprs: 18
; NumVgprs: 10
; ScratchSize: 0
; MemoryBound: 0
; FloatMode: 240
; IeeeMode: 1
; LDSByteSize: 0 bytes/workgroup (compile time only)
; SGPRBlocks: 0
; VGPRBlocks: 1
; NumSGPRsForWavesPerEU: 18
; NumVGPRsForWavesPerEU: 10
; Occupancy: 16
; WaveLimiterHint : 0
; COMPUTE_PGM_RSRC2:SCRATCH_EN: 0
; COMPUTE_PGM_RSRC2:USER_SGPR: 6
; COMPUTE_PGM_RSRC2:TRAP_HANDLER: 0
; COMPUTE_PGM_RSRC2:TGID_X_EN: 1
; COMPUTE_PGM_RSRC2:TGID_Y_EN: 0
; COMPUTE_PGM_RSRC2:TGID_Z_EN: 0
; COMPUTE_PGM_RSRC2:TIDIG_COMP_CNT: 0
	.section	.text._ZN7rocprim17ROCPRIM_400000_NS6detail17trampoline_kernelINS0_14default_configENS1_25transform_config_selectorIyLb0EEEZNS1_14transform_implILb0ES3_S5_PyN6thrust23THRUST_200600_302600_NS6detail15normal_iteratorINS9_10device_ptrIyEEEENS0_8identityIyEEEE10hipError_tT2_T3_mT4_P12ihipStream_tbEUlT_E_NS1_11comp_targetILNS1_3genE0ELNS1_11target_archE4294967295ELNS1_3gpuE0ELNS1_3repE0EEENS1_30default_config_static_selectorELNS0_4arch9wavefront6targetE0EEEvT1_,"axG",@progbits,_ZN7rocprim17ROCPRIM_400000_NS6detail17trampoline_kernelINS0_14default_configENS1_25transform_config_selectorIyLb0EEEZNS1_14transform_implILb0ES3_S5_PyN6thrust23THRUST_200600_302600_NS6detail15normal_iteratorINS9_10device_ptrIyEEEENS0_8identityIyEEEE10hipError_tT2_T3_mT4_P12ihipStream_tbEUlT_E_NS1_11comp_targetILNS1_3genE0ELNS1_11target_archE4294967295ELNS1_3gpuE0ELNS1_3repE0EEENS1_30default_config_static_selectorELNS0_4arch9wavefront6targetE0EEEvT1_,comdat
	.protected	_ZN7rocprim17ROCPRIM_400000_NS6detail17trampoline_kernelINS0_14default_configENS1_25transform_config_selectorIyLb0EEEZNS1_14transform_implILb0ES3_S5_PyN6thrust23THRUST_200600_302600_NS6detail15normal_iteratorINS9_10device_ptrIyEEEENS0_8identityIyEEEE10hipError_tT2_T3_mT4_P12ihipStream_tbEUlT_E_NS1_11comp_targetILNS1_3genE0ELNS1_11target_archE4294967295ELNS1_3gpuE0ELNS1_3repE0EEENS1_30default_config_static_selectorELNS0_4arch9wavefront6targetE0EEEvT1_ ; -- Begin function _ZN7rocprim17ROCPRIM_400000_NS6detail17trampoline_kernelINS0_14default_configENS1_25transform_config_selectorIyLb0EEEZNS1_14transform_implILb0ES3_S5_PyN6thrust23THRUST_200600_302600_NS6detail15normal_iteratorINS9_10device_ptrIyEEEENS0_8identityIyEEEE10hipError_tT2_T3_mT4_P12ihipStream_tbEUlT_E_NS1_11comp_targetILNS1_3genE0ELNS1_11target_archE4294967295ELNS1_3gpuE0ELNS1_3repE0EEENS1_30default_config_static_selectorELNS0_4arch9wavefront6targetE0EEEvT1_
	.globl	_ZN7rocprim17ROCPRIM_400000_NS6detail17trampoline_kernelINS0_14default_configENS1_25transform_config_selectorIyLb0EEEZNS1_14transform_implILb0ES3_S5_PyN6thrust23THRUST_200600_302600_NS6detail15normal_iteratorINS9_10device_ptrIyEEEENS0_8identityIyEEEE10hipError_tT2_T3_mT4_P12ihipStream_tbEUlT_E_NS1_11comp_targetILNS1_3genE0ELNS1_11target_archE4294967295ELNS1_3gpuE0ELNS1_3repE0EEENS1_30default_config_static_selectorELNS0_4arch9wavefront6targetE0EEEvT1_
	.p2align	8
	.type	_ZN7rocprim17ROCPRIM_400000_NS6detail17trampoline_kernelINS0_14default_configENS1_25transform_config_selectorIyLb0EEEZNS1_14transform_implILb0ES3_S5_PyN6thrust23THRUST_200600_302600_NS6detail15normal_iteratorINS9_10device_ptrIyEEEENS0_8identityIyEEEE10hipError_tT2_T3_mT4_P12ihipStream_tbEUlT_E_NS1_11comp_targetILNS1_3genE0ELNS1_11target_archE4294967295ELNS1_3gpuE0ELNS1_3repE0EEENS1_30default_config_static_selectorELNS0_4arch9wavefront6targetE0EEEvT1_,@function
_ZN7rocprim17ROCPRIM_400000_NS6detail17trampoline_kernelINS0_14default_configENS1_25transform_config_selectorIyLb0EEEZNS1_14transform_implILb0ES3_S5_PyN6thrust23THRUST_200600_302600_NS6detail15normal_iteratorINS9_10device_ptrIyEEEENS0_8identityIyEEEE10hipError_tT2_T3_mT4_P12ihipStream_tbEUlT_E_NS1_11comp_targetILNS1_3genE0ELNS1_11target_archE4294967295ELNS1_3gpuE0ELNS1_3repE0EEENS1_30default_config_static_selectorELNS0_4arch9wavefront6targetE0EEEvT1_: ; @_ZN7rocprim17ROCPRIM_400000_NS6detail17trampoline_kernelINS0_14default_configENS1_25transform_config_selectorIyLb0EEEZNS1_14transform_implILb0ES3_S5_PyN6thrust23THRUST_200600_302600_NS6detail15normal_iteratorINS9_10device_ptrIyEEEENS0_8identityIyEEEE10hipError_tT2_T3_mT4_P12ihipStream_tbEUlT_E_NS1_11comp_targetILNS1_3genE0ELNS1_11target_archE4294967295ELNS1_3gpuE0ELNS1_3repE0EEENS1_30default_config_static_selectorELNS0_4arch9wavefront6targetE0EEEvT1_
; %bb.0:
	.section	.rodata,"a",@progbits
	.p2align	6, 0x0
	.amdhsa_kernel _ZN7rocprim17ROCPRIM_400000_NS6detail17trampoline_kernelINS0_14default_configENS1_25transform_config_selectorIyLb0EEEZNS1_14transform_implILb0ES3_S5_PyN6thrust23THRUST_200600_302600_NS6detail15normal_iteratorINS9_10device_ptrIyEEEENS0_8identityIyEEEE10hipError_tT2_T3_mT4_P12ihipStream_tbEUlT_E_NS1_11comp_targetILNS1_3genE0ELNS1_11target_archE4294967295ELNS1_3gpuE0ELNS1_3repE0EEENS1_30default_config_static_selectorELNS0_4arch9wavefront6targetE0EEEvT1_
		.amdhsa_group_segment_fixed_size 0
		.amdhsa_private_segment_fixed_size 0
		.amdhsa_kernarg_size 40
		.amdhsa_user_sgpr_count 6
		.amdhsa_user_sgpr_private_segment_buffer 1
		.amdhsa_user_sgpr_dispatch_ptr 0
		.amdhsa_user_sgpr_queue_ptr 0
		.amdhsa_user_sgpr_kernarg_segment_ptr 1
		.amdhsa_user_sgpr_dispatch_id 0
		.amdhsa_user_sgpr_flat_scratch_init 0
		.amdhsa_user_sgpr_private_segment_size 0
		.amdhsa_wavefront_size32 1
		.amdhsa_uses_dynamic_stack 0
		.amdhsa_system_sgpr_private_segment_wavefront_offset 0
		.amdhsa_system_sgpr_workgroup_id_x 1
		.amdhsa_system_sgpr_workgroup_id_y 0
		.amdhsa_system_sgpr_workgroup_id_z 0
		.amdhsa_system_sgpr_workgroup_info 0
		.amdhsa_system_vgpr_workitem_id 0
		.amdhsa_next_free_vgpr 1
		.amdhsa_next_free_sgpr 1
		.amdhsa_reserve_vcc 0
		.amdhsa_reserve_flat_scratch 0
		.amdhsa_float_round_mode_32 0
		.amdhsa_float_round_mode_16_64 0
		.amdhsa_float_denorm_mode_32 3
		.amdhsa_float_denorm_mode_16_64 3
		.amdhsa_dx10_clamp 1
		.amdhsa_ieee_mode 1
		.amdhsa_fp16_overflow 0
		.amdhsa_workgroup_processor_mode 1
		.amdhsa_memory_ordered 1
		.amdhsa_forward_progress 1
		.amdhsa_shared_vgpr_count 0
		.amdhsa_exception_fp_ieee_invalid_op 0
		.amdhsa_exception_fp_denorm_src 0
		.amdhsa_exception_fp_ieee_div_zero 0
		.amdhsa_exception_fp_ieee_overflow 0
		.amdhsa_exception_fp_ieee_underflow 0
		.amdhsa_exception_fp_ieee_inexact 0
		.amdhsa_exception_int_div_zero 0
	.end_amdhsa_kernel
	.section	.text._ZN7rocprim17ROCPRIM_400000_NS6detail17trampoline_kernelINS0_14default_configENS1_25transform_config_selectorIyLb0EEEZNS1_14transform_implILb0ES3_S5_PyN6thrust23THRUST_200600_302600_NS6detail15normal_iteratorINS9_10device_ptrIyEEEENS0_8identityIyEEEE10hipError_tT2_T3_mT4_P12ihipStream_tbEUlT_E_NS1_11comp_targetILNS1_3genE0ELNS1_11target_archE4294967295ELNS1_3gpuE0ELNS1_3repE0EEENS1_30default_config_static_selectorELNS0_4arch9wavefront6targetE0EEEvT1_,"axG",@progbits,_ZN7rocprim17ROCPRIM_400000_NS6detail17trampoline_kernelINS0_14default_configENS1_25transform_config_selectorIyLb0EEEZNS1_14transform_implILb0ES3_S5_PyN6thrust23THRUST_200600_302600_NS6detail15normal_iteratorINS9_10device_ptrIyEEEENS0_8identityIyEEEE10hipError_tT2_T3_mT4_P12ihipStream_tbEUlT_E_NS1_11comp_targetILNS1_3genE0ELNS1_11target_archE4294967295ELNS1_3gpuE0ELNS1_3repE0EEENS1_30default_config_static_selectorELNS0_4arch9wavefront6targetE0EEEvT1_,comdat
.Lfunc_end72:
	.size	_ZN7rocprim17ROCPRIM_400000_NS6detail17trampoline_kernelINS0_14default_configENS1_25transform_config_selectorIyLb0EEEZNS1_14transform_implILb0ES3_S5_PyN6thrust23THRUST_200600_302600_NS6detail15normal_iteratorINS9_10device_ptrIyEEEENS0_8identityIyEEEE10hipError_tT2_T3_mT4_P12ihipStream_tbEUlT_E_NS1_11comp_targetILNS1_3genE0ELNS1_11target_archE4294967295ELNS1_3gpuE0ELNS1_3repE0EEENS1_30default_config_static_selectorELNS0_4arch9wavefront6targetE0EEEvT1_, .Lfunc_end72-_ZN7rocprim17ROCPRIM_400000_NS6detail17trampoline_kernelINS0_14default_configENS1_25transform_config_selectorIyLb0EEEZNS1_14transform_implILb0ES3_S5_PyN6thrust23THRUST_200600_302600_NS6detail15normal_iteratorINS9_10device_ptrIyEEEENS0_8identityIyEEEE10hipError_tT2_T3_mT4_P12ihipStream_tbEUlT_E_NS1_11comp_targetILNS1_3genE0ELNS1_11target_archE4294967295ELNS1_3gpuE0ELNS1_3repE0EEENS1_30default_config_static_selectorELNS0_4arch9wavefront6targetE0EEEvT1_
                                        ; -- End function
	.set _ZN7rocprim17ROCPRIM_400000_NS6detail17trampoline_kernelINS0_14default_configENS1_25transform_config_selectorIyLb0EEEZNS1_14transform_implILb0ES3_S5_PyN6thrust23THRUST_200600_302600_NS6detail15normal_iteratorINS9_10device_ptrIyEEEENS0_8identityIyEEEE10hipError_tT2_T3_mT4_P12ihipStream_tbEUlT_E_NS1_11comp_targetILNS1_3genE0ELNS1_11target_archE4294967295ELNS1_3gpuE0ELNS1_3repE0EEENS1_30default_config_static_selectorELNS0_4arch9wavefront6targetE0EEEvT1_.num_vgpr, 0
	.set _ZN7rocprim17ROCPRIM_400000_NS6detail17trampoline_kernelINS0_14default_configENS1_25transform_config_selectorIyLb0EEEZNS1_14transform_implILb0ES3_S5_PyN6thrust23THRUST_200600_302600_NS6detail15normal_iteratorINS9_10device_ptrIyEEEENS0_8identityIyEEEE10hipError_tT2_T3_mT4_P12ihipStream_tbEUlT_E_NS1_11comp_targetILNS1_3genE0ELNS1_11target_archE4294967295ELNS1_3gpuE0ELNS1_3repE0EEENS1_30default_config_static_selectorELNS0_4arch9wavefront6targetE0EEEvT1_.num_agpr, 0
	.set _ZN7rocprim17ROCPRIM_400000_NS6detail17trampoline_kernelINS0_14default_configENS1_25transform_config_selectorIyLb0EEEZNS1_14transform_implILb0ES3_S5_PyN6thrust23THRUST_200600_302600_NS6detail15normal_iteratorINS9_10device_ptrIyEEEENS0_8identityIyEEEE10hipError_tT2_T3_mT4_P12ihipStream_tbEUlT_E_NS1_11comp_targetILNS1_3genE0ELNS1_11target_archE4294967295ELNS1_3gpuE0ELNS1_3repE0EEENS1_30default_config_static_selectorELNS0_4arch9wavefront6targetE0EEEvT1_.numbered_sgpr, 0
	.set _ZN7rocprim17ROCPRIM_400000_NS6detail17trampoline_kernelINS0_14default_configENS1_25transform_config_selectorIyLb0EEEZNS1_14transform_implILb0ES3_S5_PyN6thrust23THRUST_200600_302600_NS6detail15normal_iteratorINS9_10device_ptrIyEEEENS0_8identityIyEEEE10hipError_tT2_T3_mT4_P12ihipStream_tbEUlT_E_NS1_11comp_targetILNS1_3genE0ELNS1_11target_archE4294967295ELNS1_3gpuE0ELNS1_3repE0EEENS1_30default_config_static_selectorELNS0_4arch9wavefront6targetE0EEEvT1_.num_named_barrier, 0
	.set _ZN7rocprim17ROCPRIM_400000_NS6detail17trampoline_kernelINS0_14default_configENS1_25transform_config_selectorIyLb0EEEZNS1_14transform_implILb0ES3_S5_PyN6thrust23THRUST_200600_302600_NS6detail15normal_iteratorINS9_10device_ptrIyEEEENS0_8identityIyEEEE10hipError_tT2_T3_mT4_P12ihipStream_tbEUlT_E_NS1_11comp_targetILNS1_3genE0ELNS1_11target_archE4294967295ELNS1_3gpuE0ELNS1_3repE0EEENS1_30default_config_static_selectorELNS0_4arch9wavefront6targetE0EEEvT1_.private_seg_size, 0
	.set _ZN7rocprim17ROCPRIM_400000_NS6detail17trampoline_kernelINS0_14default_configENS1_25transform_config_selectorIyLb0EEEZNS1_14transform_implILb0ES3_S5_PyN6thrust23THRUST_200600_302600_NS6detail15normal_iteratorINS9_10device_ptrIyEEEENS0_8identityIyEEEE10hipError_tT2_T3_mT4_P12ihipStream_tbEUlT_E_NS1_11comp_targetILNS1_3genE0ELNS1_11target_archE4294967295ELNS1_3gpuE0ELNS1_3repE0EEENS1_30default_config_static_selectorELNS0_4arch9wavefront6targetE0EEEvT1_.uses_vcc, 0
	.set _ZN7rocprim17ROCPRIM_400000_NS6detail17trampoline_kernelINS0_14default_configENS1_25transform_config_selectorIyLb0EEEZNS1_14transform_implILb0ES3_S5_PyN6thrust23THRUST_200600_302600_NS6detail15normal_iteratorINS9_10device_ptrIyEEEENS0_8identityIyEEEE10hipError_tT2_T3_mT4_P12ihipStream_tbEUlT_E_NS1_11comp_targetILNS1_3genE0ELNS1_11target_archE4294967295ELNS1_3gpuE0ELNS1_3repE0EEENS1_30default_config_static_selectorELNS0_4arch9wavefront6targetE0EEEvT1_.uses_flat_scratch, 0
	.set _ZN7rocprim17ROCPRIM_400000_NS6detail17trampoline_kernelINS0_14default_configENS1_25transform_config_selectorIyLb0EEEZNS1_14transform_implILb0ES3_S5_PyN6thrust23THRUST_200600_302600_NS6detail15normal_iteratorINS9_10device_ptrIyEEEENS0_8identityIyEEEE10hipError_tT2_T3_mT4_P12ihipStream_tbEUlT_E_NS1_11comp_targetILNS1_3genE0ELNS1_11target_archE4294967295ELNS1_3gpuE0ELNS1_3repE0EEENS1_30default_config_static_selectorELNS0_4arch9wavefront6targetE0EEEvT1_.has_dyn_sized_stack, 0
	.set _ZN7rocprim17ROCPRIM_400000_NS6detail17trampoline_kernelINS0_14default_configENS1_25transform_config_selectorIyLb0EEEZNS1_14transform_implILb0ES3_S5_PyN6thrust23THRUST_200600_302600_NS6detail15normal_iteratorINS9_10device_ptrIyEEEENS0_8identityIyEEEE10hipError_tT2_T3_mT4_P12ihipStream_tbEUlT_E_NS1_11comp_targetILNS1_3genE0ELNS1_11target_archE4294967295ELNS1_3gpuE0ELNS1_3repE0EEENS1_30default_config_static_selectorELNS0_4arch9wavefront6targetE0EEEvT1_.has_recursion, 0
	.set _ZN7rocprim17ROCPRIM_400000_NS6detail17trampoline_kernelINS0_14default_configENS1_25transform_config_selectorIyLb0EEEZNS1_14transform_implILb0ES3_S5_PyN6thrust23THRUST_200600_302600_NS6detail15normal_iteratorINS9_10device_ptrIyEEEENS0_8identityIyEEEE10hipError_tT2_T3_mT4_P12ihipStream_tbEUlT_E_NS1_11comp_targetILNS1_3genE0ELNS1_11target_archE4294967295ELNS1_3gpuE0ELNS1_3repE0EEENS1_30default_config_static_selectorELNS0_4arch9wavefront6targetE0EEEvT1_.has_indirect_call, 0
	.section	.AMDGPU.csdata,"",@progbits
; Kernel info:
; codeLenInByte = 0
; TotalNumSgprs: 0
; NumVgprs: 0
; ScratchSize: 0
; MemoryBound: 0
; FloatMode: 240
; IeeeMode: 1
; LDSByteSize: 0 bytes/workgroup (compile time only)
; SGPRBlocks: 0
; VGPRBlocks: 0
; NumSGPRsForWavesPerEU: 1
; NumVGPRsForWavesPerEU: 1
; Occupancy: 16
; WaveLimiterHint : 0
; COMPUTE_PGM_RSRC2:SCRATCH_EN: 0
; COMPUTE_PGM_RSRC2:USER_SGPR: 6
; COMPUTE_PGM_RSRC2:TRAP_HANDLER: 0
; COMPUTE_PGM_RSRC2:TGID_X_EN: 1
; COMPUTE_PGM_RSRC2:TGID_Y_EN: 0
; COMPUTE_PGM_RSRC2:TGID_Z_EN: 0
; COMPUTE_PGM_RSRC2:TIDIG_COMP_CNT: 0
	.section	.text._ZN7rocprim17ROCPRIM_400000_NS6detail17trampoline_kernelINS0_14default_configENS1_25transform_config_selectorIyLb0EEEZNS1_14transform_implILb0ES3_S5_PyN6thrust23THRUST_200600_302600_NS6detail15normal_iteratorINS9_10device_ptrIyEEEENS0_8identityIyEEEE10hipError_tT2_T3_mT4_P12ihipStream_tbEUlT_E_NS1_11comp_targetILNS1_3genE5ELNS1_11target_archE942ELNS1_3gpuE9ELNS1_3repE0EEENS1_30default_config_static_selectorELNS0_4arch9wavefront6targetE0EEEvT1_,"axG",@progbits,_ZN7rocprim17ROCPRIM_400000_NS6detail17trampoline_kernelINS0_14default_configENS1_25transform_config_selectorIyLb0EEEZNS1_14transform_implILb0ES3_S5_PyN6thrust23THRUST_200600_302600_NS6detail15normal_iteratorINS9_10device_ptrIyEEEENS0_8identityIyEEEE10hipError_tT2_T3_mT4_P12ihipStream_tbEUlT_E_NS1_11comp_targetILNS1_3genE5ELNS1_11target_archE942ELNS1_3gpuE9ELNS1_3repE0EEENS1_30default_config_static_selectorELNS0_4arch9wavefront6targetE0EEEvT1_,comdat
	.protected	_ZN7rocprim17ROCPRIM_400000_NS6detail17trampoline_kernelINS0_14default_configENS1_25transform_config_selectorIyLb0EEEZNS1_14transform_implILb0ES3_S5_PyN6thrust23THRUST_200600_302600_NS6detail15normal_iteratorINS9_10device_ptrIyEEEENS0_8identityIyEEEE10hipError_tT2_T3_mT4_P12ihipStream_tbEUlT_E_NS1_11comp_targetILNS1_3genE5ELNS1_11target_archE942ELNS1_3gpuE9ELNS1_3repE0EEENS1_30default_config_static_selectorELNS0_4arch9wavefront6targetE0EEEvT1_ ; -- Begin function _ZN7rocprim17ROCPRIM_400000_NS6detail17trampoline_kernelINS0_14default_configENS1_25transform_config_selectorIyLb0EEEZNS1_14transform_implILb0ES3_S5_PyN6thrust23THRUST_200600_302600_NS6detail15normal_iteratorINS9_10device_ptrIyEEEENS0_8identityIyEEEE10hipError_tT2_T3_mT4_P12ihipStream_tbEUlT_E_NS1_11comp_targetILNS1_3genE5ELNS1_11target_archE942ELNS1_3gpuE9ELNS1_3repE0EEENS1_30default_config_static_selectorELNS0_4arch9wavefront6targetE0EEEvT1_
	.globl	_ZN7rocprim17ROCPRIM_400000_NS6detail17trampoline_kernelINS0_14default_configENS1_25transform_config_selectorIyLb0EEEZNS1_14transform_implILb0ES3_S5_PyN6thrust23THRUST_200600_302600_NS6detail15normal_iteratorINS9_10device_ptrIyEEEENS0_8identityIyEEEE10hipError_tT2_T3_mT4_P12ihipStream_tbEUlT_E_NS1_11comp_targetILNS1_3genE5ELNS1_11target_archE942ELNS1_3gpuE9ELNS1_3repE0EEENS1_30default_config_static_selectorELNS0_4arch9wavefront6targetE0EEEvT1_
	.p2align	8
	.type	_ZN7rocprim17ROCPRIM_400000_NS6detail17trampoline_kernelINS0_14default_configENS1_25transform_config_selectorIyLb0EEEZNS1_14transform_implILb0ES3_S5_PyN6thrust23THRUST_200600_302600_NS6detail15normal_iteratorINS9_10device_ptrIyEEEENS0_8identityIyEEEE10hipError_tT2_T3_mT4_P12ihipStream_tbEUlT_E_NS1_11comp_targetILNS1_3genE5ELNS1_11target_archE942ELNS1_3gpuE9ELNS1_3repE0EEENS1_30default_config_static_selectorELNS0_4arch9wavefront6targetE0EEEvT1_,@function
_ZN7rocprim17ROCPRIM_400000_NS6detail17trampoline_kernelINS0_14default_configENS1_25transform_config_selectorIyLb0EEEZNS1_14transform_implILb0ES3_S5_PyN6thrust23THRUST_200600_302600_NS6detail15normal_iteratorINS9_10device_ptrIyEEEENS0_8identityIyEEEE10hipError_tT2_T3_mT4_P12ihipStream_tbEUlT_E_NS1_11comp_targetILNS1_3genE5ELNS1_11target_archE942ELNS1_3gpuE9ELNS1_3repE0EEENS1_30default_config_static_selectorELNS0_4arch9wavefront6targetE0EEEvT1_: ; @_ZN7rocprim17ROCPRIM_400000_NS6detail17trampoline_kernelINS0_14default_configENS1_25transform_config_selectorIyLb0EEEZNS1_14transform_implILb0ES3_S5_PyN6thrust23THRUST_200600_302600_NS6detail15normal_iteratorINS9_10device_ptrIyEEEENS0_8identityIyEEEE10hipError_tT2_T3_mT4_P12ihipStream_tbEUlT_E_NS1_11comp_targetILNS1_3genE5ELNS1_11target_archE942ELNS1_3gpuE9ELNS1_3repE0EEENS1_30default_config_static_selectorELNS0_4arch9wavefront6targetE0EEEvT1_
; %bb.0:
	.section	.rodata,"a",@progbits
	.p2align	6, 0x0
	.amdhsa_kernel _ZN7rocprim17ROCPRIM_400000_NS6detail17trampoline_kernelINS0_14default_configENS1_25transform_config_selectorIyLb0EEEZNS1_14transform_implILb0ES3_S5_PyN6thrust23THRUST_200600_302600_NS6detail15normal_iteratorINS9_10device_ptrIyEEEENS0_8identityIyEEEE10hipError_tT2_T3_mT4_P12ihipStream_tbEUlT_E_NS1_11comp_targetILNS1_3genE5ELNS1_11target_archE942ELNS1_3gpuE9ELNS1_3repE0EEENS1_30default_config_static_selectorELNS0_4arch9wavefront6targetE0EEEvT1_
		.amdhsa_group_segment_fixed_size 0
		.amdhsa_private_segment_fixed_size 0
		.amdhsa_kernarg_size 40
		.amdhsa_user_sgpr_count 6
		.amdhsa_user_sgpr_private_segment_buffer 1
		.amdhsa_user_sgpr_dispatch_ptr 0
		.amdhsa_user_sgpr_queue_ptr 0
		.amdhsa_user_sgpr_kernarg_segment_ptr 1
		.amdhsa_user_sgpr_dispatch_id 0
		.amdhsa_user_sgpr_flat_scratch_init 0
		.amdhsa_user_sgpr_private_segment_size 0
		.amdhsa_wavefront_size32 1
		.amdhsa_uses_dynamic_stack 0
		.amdhsa_system_sgpr_private_segment_wavefront_offset 0
		.amdhsa_system_sgpr_workgroup_id_x 1
		.amdhsa_system_sgpr_workgroup_id_y 0
		.amdhsa_system_sgpr_workgroup_id_z 0
		.amdhsa_system_sgpr_workgroup_info 0
		.amdhsa_system_vgpr_workitem_id 0
		.amdhsa_next_free_vgpr 1
		.amdhsa_next_free_sgpr 1
		.amdhsa_reserve_vcc 0
		.amdhsa_reserve_flat_scratch 0
		.amdhsa_float_round_mode_32 0
		.amdhsa_float_round_mode_16_64 0
		.amdhsa_float_denorm_mode_32 3
		.amdhsa_float_denorm_mode_16_64 3
		.amdhsa_dx10_clamp 1
		.amdhsa_ieee_mode 1
		.amdhsa_fp16_overflow 0
		.amdhsa_workgroup_processor_mode 1
		.amdhsa_memory_ordered 1
		.amdhsa_forward_progress 1
		.amdhsa_shared_vgpr_count 0
		.amdhsa_exception_fp_ieee_invalid_op 0
		.amdhsa_exception_fp_denorm_src 0
		.amdhsa_exception_fp_ieee_div_zero 0
		.amdhsa_exception_fp_ieee_overflow 0
		.amdhsa_exception_fp_ieee_underflow 0
		.amdhsa_exception_fp_ieee_inexact 0
		.amdhsa_exception_int_div_zero 0
	.end_amdhsa_kernel
	.section	.text._ZN7rocprim17ROCPRIM_400000_NS6detail17trampoline_kernelINS0_14default_configENS1_25transform_config_selectorIyLb0EEEZNS1_14transform_implILb0ES3_S5_PyN6thrust23THRUST_200600_302600_NS6detail15normal_iteratorINS9_10device_ptrIyEEEENS0_8identityIyEEEE10hipError_tT2_T3_mT4_P12ihipStream_tbEUlT_E_NS1_11comp_targetILNS1_3genE5ELNS1_11target_archE942ELNS1_3gpuE9ELNS1_3repE0EEENS1_30default_config_static_selectorELNS0_4arch9wavefront6targetE0EEEvT1_,"axG",@progbits,_ZN7rocprim17ROCPRIM_400000_NS6detail17trampoline_kernelINS0_14default_configENS1_25transform_config_selectorIyLb0EEEZNS1_14transform_implILb0ES3_S5_PyN6thrust23THRUST_200600_302600_NS6detail15normal_iteratorINS9_10device_ptrIyEEEENS0_8identityIyEEEE10hipError_tT2_T3_mT4_P12ihipStream_tbEUlT_E_NS1_11comp_targetILNS1_3genE5ELNS1_11target_archE942ELNS1_3gpuE9ELNS1_3repE0EEENS1_30default_config_static_selectorELNS0_4arch9wavefront6targetE0EEEvT1_,comdat
.Lfunc_end73:
	.size	_ZN7rocprim17ROCPRIM_400000_NS6detail17trampoline_kernelINS0_14default_configENS1_25transform_config_selectorIyLb0EEEZNS1_14transform_implILb0ES3_S5_PyN6thrust23THRUST_200600_302600_NS6detail15normal_iteratorINS9_10device_ptrIyEEEENS0_8identityIyEEEE10hipError_tT2_T3_mT4_P12ihipStream_tbEUlT_E_NS1_11comp_targetILNS1_3genE5ELNS1_11target_archE942ELNS1_3gpuE9ELNS1_3repE0EEENS1_30default_config_static_selectorELNS0_4arch9wavefront6targetE0EEEvT1_, .Lfunc_end73-_ZN7rocprim17ROCPRIM_400000_NS6detail17trampoline_kernelINS0_14default_configENS1_25transform_config_selectorIyLb0EEEZNS1_14transform_implILb0ES3_S5_PyN6thrust23THRUST_200600_302600_NS6detail15normal_iteratorINS9_10device_ptrIyEEEENS0_8identityIyEEEE10hipError_tT2_T3_mT4_P12ihipStream_tbEUlT_E_NS1_11comp_targetILNS1_3genE5ELNS1_11target_archE942ELNS1_3gpuE9ELNS1_3repE0EEENS1_30default_config_static_selectorELNS0_4arch9wavefront6targetE0EEEvT1_
                                        ; -- End function
	.set _ZN7rocprim17ROCPRIM_400000_NS6detail17trampoline_kernelINS0_14default_configENS1_25transform_config_selectorIyLb0EEEZNS1_14transform_implILb0ES3_S5_PyN6thrust23THRUST_200600_302600_NS6detail15normal_iteratorINS9_10device_ptrIyEEEENS0_8identityIyEEEE10hipError_tT2_T3_mT4_P12ihipStream_tbEUlT_E_NS1_11comp_targetILNS1_3genE5ELNS1_11target_archE942ELNS1_3gpuE9ELNS1_3repE0EEENS1_30default_config_static_selectorELNS0_4arch9wavefront6targetE0EEEvT1_.num_vgpr, 0
	.set _ZN7rocprim17ROCPRIM_400000_NS6detail17trampoline_kernelINS0_14default_configENS1_25transform_config_selectorIyLb0EEEZNS1_14transform_implILb0ES3_S5_PyN6thrust23THRUST_200600_302600_NS6detail15normal_iteratorINS9_10device_ptrIyEEEENS0_8identityIyEEEE10hipError_tT2_T3_mT4_P12ihipStream_tbEUlT_E_NS1_11comp_targetILNS1_3genE5ELNS1_11target_archE942ELNS1_3gpuE9ELNS1_3repE0EEENS1_30default_config_static_selectorELNS0_4arch9wavefront6targetE0EEEvT1_.num_agpr, 0
	.set _ZN7rocprim17ROCPRIM_400000_NS6detail17trampoline_kernelINS0_14default_configENS1_25transform_config_selectorIyLb0EEEZNS1_14transform_implILb0ES3_S5_PyN6thrust23THRUST_200600_302600_NS6detail15normal_iteratorINS9_10device_ptrIyEEEENS0_8identityIyEEEE10hipError_tT2_T3_mT4_P12ihipStream_tbEUlT_E_NS1_11comp_targetILNS1_3genE5ELNS1_11target_archE942ELNS1_3gpuE9ELNS1_3repE0EEENS1_30default_config_static_selectorELNS0_4arch9wavefront6targetE0EEEvT1_.numbered_sgpr, 0
	.set _ZN7rocprim17ROCPRIM_400000_NS6detail17trampoline_kernelINS0_14default_configENS1_25transform_config_selectorIyLb0EEEZNS1_14transform_implILb0ES3_S5_PyN6thrust23THRUST_200600_302600_NS6detail15normal_iteratorINS9_10device_ptrIyEEEENS0_8identityIyEEEE10hipError_tT2_T3_mT4_P12ihipStream_tbEUlT_E_NS1_11comp_targetILNS1_3genE5ELNS1_11target_archE942ELNS1_3gpuE9ELNS1_3repE0EEENS1_30default_config_static_selectorELNS0_4arch9wavefront6targetE0EEEvT1_.num_named_barrier, 0
	.set _ZN7rocprim17ROCPRIM_400000_NS6detail17trampoline_kernelINS0_14default_configENS1_25transform_config_selectorIyLb0EEEZNS1_14transform_implILb0ES3_S5_PyN6thrust23THRUST_200600_302600_NS6detail15normal_iteratorINS9_10device_ptrIyEEEENS0_8identityIyEEEE10hipError_tT2_T3_mT4_P12ihipStream_tbEUlT_E_NS1_11comp_targetILNS1_3genE5ELNS1_11target_archE942ELNS1_3gpuE9ELNS1_3repE0EEENS1_30default_config_static_selectorELNS0_4arch9wavefront6targetE0EEEvT1_.private_seg_size, 0
	.set _ZN7rocprim17ROCPRIM_400000_NS6detail17trampoline_kernelINS0_14default_configENS1_25transform_config_selectorIyLb0EEEZNS1_14transform_implILb0ES3_S5_PyN6thrust23THRUST_200600_302600_NS6detail15normal_iteratorINS9_10device_ptrIyEEEENS0_8identityIyEEEE10hipError_tT2_T3_mT4_P12ihipStream_tbEUlT_E_NS1_11comp_targetILNS1_3genE5ELNS1_11target_archE942ELNS1_3gpuE9ELNS1_3repE0EEENS1_30default_config_static_selectorELNS0_4arch9wavefront6targetE0EEEvT1_.uses_vcc, 0
	.set _ZN7rocprim17ROCPRIM_400000_NS6detail17trampoline_kernelINS0_14default_configENS1_25transform_config_selectorIyLb0EEEZNS1_14transform_implILb0ES3_S5_PyN6thrust23THRUST_200600_302600_NS6detail15normal_iteratorINS9_10device_ptrIyEEEENS0_8identityIyEEEE10hipError_tT2_T3_mT4_P12ihipStream_tbEUlT_E_NS1_11comp_targetILNS1_3genE5ELNS1_11target_archE942ELNS1_3gpuE9ELNS1_3repE0EEENS1_30default_config_static_selectorELNS0_4arch9wavefront6targetE0EEEvT1_.uses_flat_scratch, 0
	.set _ZN7rocprim17ROCPRIM_400000_NS6detail17trampoline_kernelINS0_14default_configENS1_25transform_config_selectorIyLb0EEEZNS1_14transform_implILb0ES3_S5_PyN6thrust23THRUST_200600_302600_NS6detail15normal_iteratorINS9_10device_ptrIyEEEENS0_8identityIyEEEE10hipError_tT2_T3_mT4_P12ihipStream_tbEUlT_E_NS1_11comp_targetILNS1_3genE5ELNS1_11target_archE942ELNS1_3gpuE9ELNS1_3repE0EEENS1_30default_config_static_selectorELNS0_4arch9wavefront6targetE0EEEvT1_.has_dyn_sized_stack, 0
	.set _ZN7rocprim17ROCPRIM_400000_NS6detail17trampoline_kernelINS0_14default_configENS1_25transform_config_selectorIyLb0EEEZNS1_14transform_implILb0ES3_S5_PyN6thrust23THRUST_200600_302600_NS6detail15normal_iteratorINS9_10device_ptrIyEEEENS0_8identityIyEEEE10hipError_tT2_T3_mT4_P12ihipStream_tbEUlT_E_NS1_11comp_targetILNS1_3genE5ELNS1_11target_archE942ELNS1_3gpuE9ELNS1_3repE0EEENS1_30default_config_static_selectorELNS0_4arch9wavefront6targetE0EEEvT1_.has_recursion, 0
	.set _ZN7rocprim17ROCPRIM_400000_NS6detail17trampoline_kernelINS0_14default_configENS1_25transform_config_selectorIyLb0EEEZNS1_14transform_implILb0ES3_S5_PyN6thrust23THRUST_200600_302600_NS6detail15normal_iteratorINS9_10device_ptrIyEEEENS0_8identityIyEEEE10hipError_tT2_T3_mT4_P12ihipStream_tbEUlT_E_NS1_11comp_targetILNS1_3genE5ELNS1_11target_archE942ELNS1_3gpuE9ELNS1_3repE0EEENS1_30default_config_static_selectorELNS0_4arch9wavefront6targetE0EEEvT1_.has_indirect_call, 0
	.section	.AMDGPU.csdata,"",@progbits
; Kernel info:
; codeLenInByte = 0
; TotalNumSgprs: 0
; NumVgprs: 0
; ScratchSize: 0
; MemoryBound: 0
; FloatMode: 240
; IeeeMode: 1
; LDSByteSize: 0 bytes/workgroup (compile time only)
; SGPRBlocks: 0
; VGPRBlocks: 0
; NumSGPRsForWavesPerEU: 1
; NumVGPRsForWavesPerEU: 1
; Occupancy: 16
; WaveLimiterHint : 0
; COMPUTE_PGM_RSRC2:SCRATCH_EN: 0
; COMPUTE_PGM_RSRC2:USER_SGPR: 6
; COMPUTE_PGM_RSRC2:TRAP_HANDLER: 0
; COMPUTE_PGM_RSRC2:TGID_X_EN: 1
; COMPUTE_PGM_RSRC2:TGID_Y_EN: 0
; COMPUTE_PGM_RSRC2:TGID_Z_EN: 0
; COMPUTE_PGM_RSRC2:TIDIG_COMP_CNT: 0
	.section	.text._ZN7rocprim17ROCPRIM_400000_NS6detail17trampoline_kernelINS0_14default_configENS1_25transform_config_selectorIyLb0EEEZNS1_14transform_implILb0ES3_S5_PyN6thrust23THRUST_200600_302600_NS6detail15normal_iteratorINS9_10device_ptrIyEEEENS0_8identityIyEEEE10hipError_tT2_T3_mT4_P12ihipStream_tbEUlT_E_NS1_11comp_targetILNS1_3genE4ELNS1_11target_archE910ELNS1_3gpuE8ELNS1_3repE0EEENS1_30default_config_static_selectorELNS0_4arch9wavefront6targetE0EEEvT1_,"axG",@progbits,_ZN7rocprim17ROCPRIM_400000_NS6detail17trampoline_kernelINS0_14default_configENS1_25transform_config_selectorIyLb0EEEZNS1_14transform_implILb0ES3_S5_PyN6thrust23THRUST_200600_302600_NS6detail15normal_iteratorINS9_10device_ptrIyEEEENS0_8identityIyEEEE10hipError_tT2_T3_mT4_P12ihipStream_tbEUlT_E_NS1_11comp_targetILNS1_3genE4ELNS1_11target_archE910ELNS1_3gpuE8ELNS1_3repE0EEENS1_30default_config_static_selectorELNS0_4arch9wavefront6targetE0EEEvT1_,comdat
	.protected	_ZN7rocprim17ROCPRIM_400000_NS6detail17trampoline_kernelINS0_14default_configENS1_25transform_config_selectorIyLb0EEEZNS1_14transform_implILb0ES3_S5_PyN6thrust23THRUST_200600_302600_NS6detail15normal_iteratorINS9_10device_ptrIyEEEENS0_8identityIyEEEE10hipError_tT2_T3_mT4_P12ihipStream_tbEUlT_E_NS1_11comp_targetILNS1_3genE4ELNS1_11target_archE910ELNS1_3gpuE8ELNS1_3repE0EEENS1_30default_config_static_selectorELNS0_4arch9wavefront6targetE0EEEvT1_ ; -- Begin function _ZN7rocprim17ROCPRIM_400000_NS6detail17trampoline_kernelINS0_14default_configENS1_25transform_config_selectorIyLb0EEEZNS1_14transform_implILb0ES3_S5_PyN6thrust23THRUST_200600_302600_NS6detail15normal_iteratorINS9_10device_ptrIyEEEENS0_8identityIyEEEE10hipError_tT2_T3_mT4_P12ihipStream_tbEUlT_E_NS1_11comp_targetILNS1_3genE4ELNS1_11target_archE910ELNS1_3gpuE8ELNS1_3repE0EEENS1_30default_config_static_selectorELNS0_4arch9wavefront6targetE0EEEvT1_
	.globl	_ZN7rocprim17ROCPRIM_400000_NS6detail17trampoline_kernelINS0_14default_configENS1_25transform_config_selectorIyLb0EEEZNS1_14transform_implILb0ES3_S5_PyN6thrust23THRUST_200600_302600_NS6detail15normal_iteratorINS9_10device_ptrIyEEEENS0_8identityIyEEEE10hipError_tT2_T3_mT4_P12ihipStream_tbEUlT_E_NS1_11comp_targetILNS1_3genE4ELNS1_11target_archE910ELNS1_3gpuE8ELNS1_3repE0EEENS1_30default_config_static_selectorELNS0_4arch9wavefront6targetE0EEEvT1_
	.p2align	8
	.type	_ZN7rocprim17ROCPRIM_400000_NS6detail17trampoline_kernelINS0_14default_configENS1_25transform_config_selectorIyLb0EEEZNS1_14transform_implILb0ES3_S5_PyN6thrust23THRUST_200600_302600_NS6detail15normal_iteratorINS9_10device_ptrIyEEEENS0_8identityIyEEEE10hipError_tT2_T3_mT4_P12ihipStream_tbEUlT_E_NS1_11comp_targetILNS1_3genE4ELNS1_11target_archE910ELNS1_3gpuE8ELNS1_3repE0EEENS1_30default_config_static_selectorELNS0_4arch9wavefront6targetE0EEEvT1_,@function
_ZN7rocprim17ROCPRIM_400000_NS6detail17trampoline_kernelINS0_14default_configENS1_25transform_config_selectorIyLb0EEEZNS1_14transform_implILb0ES3_S5_PyN6thrust23THRUST_200600_302600_NS6detail15normal_iteratorINS9_10device_ptrIyEEEENS0_8identityIyEEEE10hipError_tT2_T3_mT4_P12ihipStream_tbEUlT_E_NS1_11comp_targetILNS1_3genE4ELNS1_11target_archE910ELNS1_3gpuE8ELNS1_3repE0EEENS1_30default_config_static_selectorELNS0_4arch9wavefront6targetE0EEEvT1_: ; @_ZN7rocprim17ROCPRIM_400000_NS6detail17trampoline_kernelINS0_14default_configENS1_25transform_config_selectorIyLb0EEEZNS1_14transform_implILb0ES3_S5_PyN6thrust23THRUST_200600_302600_NS6detail15normal_iteratorINS9_10device_ptrIyEEEENS0_8identityIyEEEE10hipError_tT2_T3_mT4_P12ihipStream_tbEUlT_E_NS1_11comp_targetILNS1_3genE4ELNS1_11target_archE910ELNS1_3gpuE8ELNS1_3repE0EEENS1_30default_config_static_selectorELNS0_4arch9wavefront6targetE0EEEvT1_
; %bb.0:
	.section	.rodata,"a",@progbits
	.p2align	6, 0x0
	.amdhsa_kernel _ZN7rocprim17ROCPRIM_400000_NS6detail17trampoline_kernelINS0_14default_configENS1_25transform_config_selectorIyLb0EEEZNS1_14transform_implILb0ES3_S5_PyN6thrust23THRUST_200600_302600_NS6detail15normal_iteratorINS9_10device_ptrIyEEEENS0_8identityIyEEEE10hipError_tT2_T3_mT4_P12ihipStream_tbEUlT_E_NS1_11comp_targetILNS1_3genE4ELNS1_11target_archE910ELNS1_3gpuE8ELNS1_3repE0EEENS1_30default_config_static_selectorELNS0_4arch9wavefront6targetE0EEEvT1_
		.amdhsa_group_segment_fixed_size 0
		.amdhsa_private_segment_fixed_size 0
		.amdhsa_kernarg_size 40
		.amdhsa_user_sgpr_count 6
		.amdhsa_user_sgpr_private_segment_buffer 1
		.amdhsa_user_sgpr_dispatch_ptr 0
		.amdhsa_user_sgpr_queue_ptr 0
		.amdhsa_user_sgpr_kernarg_segment_ptr 1
		.amdhsa_user_sgpr_dispatch_id 0
		.amdhsa_user_sgpr_flat_scratch_init 0
		.amdhsa_user_sgpr_private_segment_size 0
		.amdhsa_wavefront_size32 1
		.amdhsa_uses_dynamic_stack 0
		.amdhsa_system_sgpr_private_segment_wavefront_offset 0
		.amdhsa_system_sgpr_workgroup_id_x 1
		.amdhsa_system_sgpr_workgroup_id_y 0
		.amdhsa_system_sgpr_workgroup_id_z 0
		.amdhsa_system_sgpr_workgroup_info 0
		.amdhsa_system_vgpr_workitem_id 0
		.amdhsa_next_free_vgpr 1
		.amdhsa_next_free_sgpr 1
		.amdhsa_reserve_vcc 0
		.amdhsa_reserve_flat_scratch 0
		.amdhsa_float_round_mode_32 0
		.amdhsa_float_round_mode_16_64 0
		.amdhsa_float_denorm_mode_32 3
		.amdhsa_float_denorm_mode_16_64 3
		.amdhsa_dx10_clamp 1
		.amdhsa_ieee_mode 1
		.amdhsa_fp16_overflow 0
		.amdhsa_workgroup_processor_mode 1
		.amdhsa_memory_ordered 1
		.amdhsa_forward_progress 1
		.amdhsa_shared_vgpr_count 0
		.amdhsa_exception_fp_ieee_invalid_op 0
		.amdhsa_exception_fp_denorm_src 0
		.amdhsa_exception_fp_ieee_div_zero 0
		.amdhsa_exception_fp_ieee_overflow 0
		.amdhsa_exception_fp_ieee_underflow 0
		.amdhsa_exception_fp_ieee_inexact 0
		.amdhsa_exception_int_div_zero 0
	.end_amdhsa_kernel
	.section	.text._ZN7rocprim17ROCPRIM_400000_NS6detail17trampoline_kernelINS0_14default_configENS1_25transform_config_selectorIyLb0EEEZNS1_14transform_implILb0ES3_S5_PyN6thrust23THRUST_200600_302600_NS6detail15normal_iteratorINS9_10device_ptrIyEEEENS0_8identityIyEEEE10hipError_tT2_T3_mT4_P12ihipStream_tbEUlT_E_NS1_11comp_targetILNS1_3genE4ELNS1_11target_archE910ELNS1_3gpuE8ELNS1_3repE0EEENS1_30default_config_static_selectorELNS0_4arch9wavefront6targetE0EEEvT1_,"axG",@progbits,_ZN7rocprim17ROCPRIM_400000_NS6detail17trampoline_kernelINS0_14default_configENS1_25transform_config_selectorIyLb0EEEZNS1_14transform_implILb0ES3_S5_PyN6thrust23THRUST_200600_302600_NS6detail15normal_iteratorINS9_10device_ptrIyEEEENS0_8identityIyEEEE10hipError_tT2_T3_mT4_P12ihipStream_tbEUlT_E_NS1_11comp_targetILNS1_3genE4ELNS1_11target_archE910ELNS1_3gpuE8ELNS1_3repE0EEENS1_30default_config_static_selectorELNS0_4arch9wavefront6targetE0EEEvT1_,comdat
.Lfunc_end74:
	.size	_ZN7rocprim17ROCPRIM_400000_NS6detail17trampoline_kernelINS0_14default_configENS1_25transform_config_selectorIyLb0EEEZNS1_14transform_implILb0ES3_S5_PyN6thrust23THRUST_200600_302600_NS6detail15normal_iteratorINS9_10device_ptrIyEEEENS0_8identityIyEEEE10hipError_tT2_T3_mT4_P12ihipStream_tbEUlT_E_NS1_11comp_targetILNS1_3genE4ELNS1_11target_archE910ELNS1_3gpuE8ELNS1_3repE0EEENS1_30default_config_static_selectorELNS0_4arch9wavefront6targetE0EEEvT1_, .Lfunc_end74-_ZN7rocprim17ROCPRIM_400000_NS6detail17trampoline_kernelINS0_14default_configENS1_25transform_config_selectorIyLb0EEEZNS1_14transform_implILb0ES3_S5_PyN6thrust23THRUST_200600_302600_NS6detail15normal_iteratorINS9_10device_ptrIyEEEENS0_8identityIyEEEE10hipError_tT2_T3_mT4_P12ihipStream_tbEUlT_E_NS1_11comp_targetILNS1_3genE4ELNS1_11target_archE910ELNS1_3gpuE8ELNS1_3repE0EEENS1_30default_config_static_selectorELNS0_4arch9wavefront6targetE0EEEvT1_
                                        ; -- End function
	.set _ZN7rocprim17ROCPRIM_400000_NS6detail17trampoline_kernelINS0_14default_configENS1_25transform_config_selectorIyLb0EEEZNS1_14transform_implILb0ES3_S5_PyN6thrust23THRUST_200600_302600_NS6detail15normal_iteratorINS9_10device_ptrIyEEEENS0_8identityIyEEEE10hipError_tT2_T3_mT4_P12ihipStream_tbEUlT_E_NS1_11comp_targetILNS1_3genE4ELNS1_11target_archE910ELNS1_3gpuE8ELNS1_3repE0EEENS1_30default_config_static_selectorELNS0_4arch9wavefront6targetE0EEEvT1_.num_vgpr, 0
	.set _ZN7rocprim17ROCPRIM_400000_NS6detail17trampoline_kernelINS0_14default_configENS1_25transform_config_selectorIyLb0EEEZNS1_14transform_implILb0ES3_S5_PyN6thrust23THRUST_200600_302600_NS6detail15normal_iteratorINS9_10device_ptrIyEEEENS0_8identityIyEEEE10hipError_tT2_T3_mT4_P12ihipStream_tbEUlT_E_NS1_11comp_targetILNS1_3genE4ELNS1_11target_archE910ELNS1_3gpuE8ELNS1_3repE0EEENS1_30default_config_static_selectorELNS0_4arch9wavefront6targetE0EEEvT1_.num_agpr, 0
	.set _ZN7rocprim17ROCPRIM_400000_NS6detail17trampoline_kernelINS0_14default_configENS1_25transform_config_selectorIyLb0EEEZNS1_14transform_implILb0ES3_S5_PyN6thrust23THRUST_200600_302600_NS6detail15normal_iteratorINS9_10device_ptrIyEEEENS0_8identityIyEEEE10hipError_tT2_T3_mT4_P12ihipStream_tbEUlT_E_NS1_11comp_targetILNS1_3genE4ELNS1_11target_archE910ELNS1_3gpuE8ELNS1_3repE0EEENS1_30default_config_static_selectorELNS0_4arch9wavefront6targetE0EEEvT1_.numbered_sgpr, 0
	.set _ZN7rocprim17ROCPRIM_400000_NS6detail17trampoline_kernelINS0_14default_configENS1_25transform_config_selectorIyLb0EEEZNS1_14transform_implILb0ES3_S5_PyN6thrust23THRUST_200600_302600_NS6detail15normal_iteratorINS9_10device_ptrIyEEEENS0_8identityIyEEEE10hipError_tT2_T3_mT4_P12ihipStream_tbEUlT_E_NS1_11comp_targetILNS1_3genE4ELNS1_11target_archE910ELNS1_3gpuE8ELNS1_3repE0EEENS1_30default_config_static_selectorELNS0_4arch9wavefront6targetE0EEEvT1_.num_named_barrier, 0
	.set _ZN7rocprim17ROCPRIM_400000_NS6detail17trampoline_kernelINS0_14default_configENS1_25transform_config_selectorIyLb0EEEZNS1_14transform_implILb0ES3_S5_PyN6thrust23THRUST_200600_302600_NS6detail15normal_iteratorINS9_10device_ptrIyEEEENS0_8identityIyEEEE10hipError_tT2_T3_mT4_P12ihipStream_tbEUlT_E_NS1_11comp_targetILNS1_3genE4ELNS1_11target_archE910ELNS1_3gpuE8ELNS1_3repE0EEENS1_30default_config_static_selectorELNS0_4arch9wavefront6targetE0EEEvT1_.private_seg_size, 0
	.set _ZN7rocprim17ROCPRIM_400000_NS6detail17trampoline_kernelINS0_14default_configENS1_25transform_config_selectorIyLb0EEEZNS1_14transform_implILb0ES3_S5_PyN6thrust23THRUST_200600_302600_NS6detail15normal_iteratorINS9_10device_ptrIyEEEENS0_8identityIyEEEE10hipError_tT2_T3_mT4_P12ihipStream_tbEUlT_E_NS1_11comp_targetILNS1_3genE4ELNS1_11target_archE910ELNS1_3gpuE8ELNS1_3repE0EEENS1_30default_config_static_selectorELNS0_4arch9wavefront6targetE0EEEvT1_.uses_vcc, 0
	.set _ZN7rocprim17ROCPRIM_400000_NS6detail17trampoline_kernelINS0_14default_configENS1_25transform_config_selectorIyLb0EEEZNS1_14transform_implILb0ES3_S5_PyN6thrust23THRUST_200600_302600_NS6detail15normal_iteratorINS9_10device_ptrIyEEEENS0_8identityIyEEEE10hipError_tT2_T3_mT4_P12ihipStream_tbEUlT_E_NS1_11comp_targetILNS1_3genE4ELNS1_11target_archE910ELNS1_3gpuE8ELNS1_3repE0EEENS1_30default_config_static_selectorELNS0_4arch9wavefront6targetE0EEEvT1_.uses_flat_scratch, 0
	.set _ZN7rocprim17ROCPRIM_400000_NS6detail17trampoline_kernelINS0_14default_configENS1_25transform_config_selectorIyLb0EEEZNS1_14transform_implILb0ES3_S5_PyN6thrust23THRUST_200600_302600_NS6detail15normal_iteratorINS9_10device_ptrIyEEEENS0_8identityIyEEEE10hipError_tT2_T3_mT4_P12ihipStream_tbEUlT_E_NS1_11comp_targetILNS1_3genE4ELNS1_11target_archE910ELNS1_3gpuE8ELNS1_3repE0EEENS1_30default_config_static_selectorELNS0_4arch9wavefront6targetE0EEEvT1_.has_dyn_sized_stack, 0
	.set _ZN7rocprim17ROCPRIM_400000_NS6detail17trampoline_kernelINS0_14default_configENS1_25transform_config_selectorIyLb0EEEZNS1_14transform_implILb0ES3_S5_PyN6thrust23THRUST_200600_302600_NS6detail15normal_iteratorINS9_10device_ptrIyEEEENS0_8identityIyEEEE10hipError_tT2_T3_mT4_P12ihipStream_tbEUlT_E_NS1_11comp_targetILNS1_3genE4ELNS1_11target_archE910ELNS1_3gpuE8ELNS1_3repE0EEENS1_30default_config_static_selectorELNS0_4arch9wavefront6targetE0EEEvT1_.has_recursion, 0
	.set _ZN7rocprim17ROCPRIM_400000_NS6detail17trampoline_kernelINS0_14default_configENS1_25transform_config_selectorIyLb0EEEZNS1_14transform_implILb0ES3_S5_PyN6thrust23THRUST_200600_302600_NS6detail15normal_iteratorINS9_10device_ptrIyEEEENS0_8identityIyEEEE10hipError_tT2_T3_mT4_P12ihipStream_tbEUlT_E_NS1_11comp_targetILNS1_3genE4ELNS1_11target_archE910ELNS1_3gpuE8ELNS1_3repE0EEENS1_30default_config_static_selectorELNS0_4arch9wavefront6targetE0EEEvT1_.has_indirect_call, 0
	.section	.AMDGPU.csdata,"",@progbits
; Kernel info:
; codeLenInByte = 0
; TotalNumSgprs: 0
; NumVgprs: 0
; ScratchSize: 0
; MemoryBound: 0
; FloatMode: 240
; IeeeMode: 1
; LDSByteSize: 0 bytes/workgroup (compile time only)
; SGPRBlocks: 0
; VGPRBlocks: 0
; NumSGPRsForWavesPerEU: 1
; NumVGPRsForWavesPerEU: 1
; Occupancy: 16
; WaveLimiterHint : 0
; COMPUTE_PGM_RSRC2:SCRATCH_EN: 0
; COMPUTE_PGM_RSRC2:USER_SGPR: 6
; COMPUTE_PGM_RSRC2:TRAP_HANDLER: 0
; COMPUTE_PGM_RSRC2:TGID_X_EN: 1
; COMPUTE_PGM_RSRC2:TGID_Y_EN: 0
; COMPUTE_PGM_RSRC2:TGID_Z_EN: 0
; COMPUTE_PGM_RSRC2:TIDIG_COMP_CNT: 0
	.section	.text._ZN7rocprim17ROCPRIM_400000_NS6detail17trampoline_kernelINS0_14default_configENS1_25transform_config_selectorIyLb0EEEZNS1_14transform_implILb0ES3_S5_PyN6thrust23THRUST_200600_302600_NS6detail15normal_iteratorINS9_10device_ptrIyEEEENS0_8identityIyEEEE10hipError_tT2_T3_mT4_P12ihipStream_tbEUlT_E_NS1_11comp_targetILNS1_3genE3ELNS1_11target_archE908ELNS1_3gpuE7ELNS1_3repE0EEENS1_30default_config_static_selectorELNS0_4arch9wavefront6targetE0EEEvT1_,"axG",@progbits,_ZN7rocprim17ROCPRIM_400000_NS6detail17trampoline_kernelINS0_14default_configENS1_25transform_config_selectorIyLb0EEEZNS1_14transform_implILb0ES3_S5_PyN6thrust23THRUST_200600_302600_NS6detail15normal_iteratorINS9_10device_ptrIyEEEENS0_8identityIyEEEE10hipError_tT2_T3_mT4_P12ihipStream_tbEUlT_E_NS1_11comp_targetILNS1_3genE3ELNS1_11target_archE908ELNS1_3gpuE7ELNS1_3repE0EEENS1_30default_config_static_selectorELNS0_4arch9wavefront6targetE0EEEvT1_,comdat
	.protected	_ZN7rocprim17ROCPRIM_400000_NS6detail17trampoline_kernelINS0_14default_configENS1_25transform_config_selectorIyLb0EEEZNS1_14transform_implILb0ES3_S5_PyN6thrust23THRUST_200600_302600_NS6detail15normal_iteratorINS9_10device_ptrIyEEEENS0_8identityIyEEEE10hipError_tT2_T3_mT4_P12ihipStream_tbEUlT_E_NS1_11comp_targetILNS1_3genE3ELNS1_11target_archE908ELNS1_3gpuE7ELNS1_3repE0EEENS1_30default_config_static_selectorELNS0_4arch9wavefront6targetE0EEEvT1_ ; -- Begin function _ZN7rocprim17ROCPRIM_400000_NS6detail17trampoline_kernelINS0_14default_configENS1_25transform_config_selectorIyLb0EEEZNS1_14transform_implILb0ES3_S5_PyN6thrust23THRUST_200600_302600_NS6detail15normal_iteratorINS9_10device_ptrIyEEEENS0_8identityIyEEEE10hipError_tT2_T3_mT4_P12ihipStream_tbEUlT_E_NS1_11comp_targetILNS1_3genE3ELNS1_11target_archE908ELNS1_3gpuE7ELNS1_3repE0EEENS1_30default_config_static_selectorELNS0_4arch9wavefront6targetE0EEEvT1_
	.globl	_ZN7rocprim17ROCPRIM_400000_NS6detail17trampoline_kernelINS0_14default_configENS1_25transform_config_selectorIyLb0EEEZNS1_14transform_implILb0ES3_S5_PyN6thrust23THRUST_200600_302600_NS6detail15normal_iteratorINS9_10device_ptrIyEEEENS0_8identityIyEEEE10hipError_tT2_T3_mT4_P12ihipStream_tbEUlT_E_NS1_11comp_targetILNS1_3genE3ELNS1_11target_archE908ELNS1_3gpuE7ELNS1_3repE0EEENS1_30default_config_static_selectorELNS0_4arch9wavefront6targetE0EEEvT1_
	.p2align	8
	.type	_ZN7rocprim17ROCPRIM_400000_NS6detail17trampoline_kernelINS0_14default_configENS1_25transform_config_selectorIyLb0EEEZNS1_14transform_implILb0ES3_S5_PyN6thrust23THRUST_200600_302600_NS6detail15normal_iteratorINS9_10device_ptrIyEEEENS0_8identityIyEEEE10hipError_tT2_T3_mT4_P12ihipStream_tbEUlT_E_NS1_11comp_targetILNS1_3genE3ELNS1_11target_archE908ELNS1_3gpuE7ELNS1_3repE0EEENS1_30default_config_static_selectorELNS0_4arch9wavefront6targetE0EEEvT1_,@function
_ZN7rocprim17ROCPRIM_400000_NS6detail17trampoline_kernelINS0_14default_configENS1_25transform_config_selectorIyLb0EEEZNS1_14transform_implILb0ES3_S5_PyN6thrust23THRUST_200600_302600_NS6detail15normal_iteratorINS9_10device_ptrIyEEEENS0_8identityIyEEEE10hipError_tT2_T3_mT4_P12ihipStream_tbEUlT_E_NS1_11comp_targetILNS1_3genE3ELNS1_11target_archE908ELNS1_3gpuE7ELNS1_3repE0EEENS1_30default_config_static_selectorELNS0_4arch9wavefront6targetE0EEEvT1_: ; @_ZN7rocprim17ROCPRIM_400000_NS6detail17trampoline_kernelINS0_14default_configENS1_25transform_config_selectorIyLb0EEEZNS1_14transform_implILb0ES3_S5_PyN6thrust23THRUST_200600_302600_NS6detail15normal_iteratorINS9_10device_ptrIyEEEENS0_8identityIyEEEE10hipError_tT2_T3_mT4_P12ihipStream_tbEUlT_E_NS1_11comp_targetILNS1_3genE3ELNS1_11target_archE908ELNS1_3gpuE7ELNS1_3repE0EEENS1_30default_config_static_selectorELNS0_4arch9wavefront6targetE0EEEvT1_
; %bb.0:
	.section	.rodata,"a",@progbits
	.p2align	6, 0x0
	.amdhsa_kernel _ZN7rocprim17ROCPRIM_400000_NS6detail17trampoline_kernelINS0_14default_configENS1_25transform_config_selectorIyLb0EEEZNS1_14transform_implILb0ES3_S5_PyN6thrust23THRUST_200600_302600_NS6detail15normal_iteratorINS9_10device_ptrIyEEEENS0_8identityIyEEEE10hipError_tT2_T3_mT4_P12ihipStream_tbEUlT_E_NS1_11comp_targetILNS1_3genE3ELNS1_11target_archE908ELNS1_3gpuE7ELNS1_3repE0EEENS1_30default_config_static_selectorELNS0_4arch9wavefront6targetE0EEEvT1_
		.amdhsa_group_segment_fixed_size 0
		.amdhsa_private_segment_fixed_size 0
		.amdhsa_kernarg_size 40
		.amdhsa_user_sgpr_count 6
		.amdhsa_user_sgpr_private_segment_buffer 1
		.amdhsa_user_sgpr_dispatch_ptr 0
		.amdhsa_user_sgpr_queue_ptr 0
		.amdhsa_user_sgpr_kernarg_segment_ptr 1
		.amdhsa_user_sgpr_dispatch_id 0
		.amdhsa_user_sgpr_flat_scratch_init 0
		.amdhsa_user_sgpr_private_segment_size 0
		.amdhsa_wavefront_size32 1
		.amdhsa_uses_dynamic_stack 0
		.amdhsa_system_sgpr_private_segment_wavefront_offset 0
		.amdhsa_system_sgpr_workgroup_id_x 1
		.amdhsa_system_sgpr_workgroup_id_y 0
		.amdhsa_system_sgpr_workgroup_id_z 0
		.amdhsa_system_sgpr_workgroup_info 0
		.amdhsa_system_vgpr_workitem_id 0
		.amdhsa_next_free_vgpr 1
		.amdhsa_next_free_sgpr 1
		.amdhsa_reserve_vcc 0
		.amdhsa_reserve_flat_scratch 0
		.amdhsa_float_round_mode_32 0
		.amdhsa_float_round_mode_16_64 0
		.amdhsa_float_denorm_mode_32 3
		.amdhsa_float_denorm_mode_16_64 3
		.amdhsa_dx10_clamp 1
		.amdhsa_ieee_mode 1
		.amdhsa_fp16_overflow 0
		.amdhsa_workgroup_processor_mode 1
		.amdhsa_memory_ordered 1
		.amdhsa_forward_progress 1
		.amdhsa_shared_vgpr_count 0
		.amdhsa_exception_fp_ieee_invalid_op 0
		.amdhsa_exception_fp_denorm_src 0
		.amdhsa_exception_fp_ieee_div_zero 0
		.amdhsa_exception_fp_ieee_overflow 0
		.amdhsa_exception_fp_ieee_underflow 0
		.amdhsa_exception_fp_ieee_inexact 0
		.amdhsa_exception_int_div_zero 0
	.end_amdhsa_kernel
	.section	.text._ZN7rocprim17ROCPRIM_400000_NS6detail17trampoline_kernelINS0_14default_configENS1_25transform_config_selectorIyLb0EEEZNS1_14transform_implILb0ES3_S5_PyN6thrust23THRUST_200600_302600_NS6detail15normal_iteratorINS9_10device_ptrIyEEEENS0_8identityIyEEEE10hipError_tT2_T3_mT4_P12ihipStream_tbEUlT_E_NS1_11comp_targetILNS1_3genE3ELNS1_11target_archE908ELNS1_3gpuE7ELNS1_3repE0EEENS1_30default_config_static_selectorELNS0_4arch9wavefront6targetE0EEEvT1_,"axG",@progbits,_ZN7rocprim17ROCPRIM_400000_NS6detail17trampoline_kernelINS0_14default_configENS1_25transform_config_selectorIyLb0EEEZNS1_14transform_implILb0ES3_S5_PyN6thrust23THRUST_200600_302600_NS6detail15normal_iteratorINS9_10device_ptrIyEEEENS0_8identityIyEEEE10hipError_tT2_T3_mT4_P12ihipStream_tbEUlT_E_NS1_11comp_targetILNS1_3genE3ELNS1_11target_archE908ELNS1_3gpuE7ELNS1_3repE0EEENS1_30default_config_static_selectorELNS0_4arch9wavefront6targetE0EEEvT1_,comdat
.Lfunc_end75:
	.size	_ZN7rocprim17ROCPRIM_400000_NS6detail17trampoline_kernelINS0_14default_configENS1_25transform_config_selectorIyLb0EEEZNS1_14transform_implILb0ES3_S5_PyN6thrust23THRUST_200600_302600_NS6detail15normal_iteratorINS9_10device_ptrIyEEEENS0_8identityIyEEEE10hipError_tT2_T3_mT4_P12ihipStream_tbEUlT_E_NS1_11comp_targetILNS1_3genE3ELNS1_11target_archE908ELNS1_3gpuE7ELNS1_3repE0EEENS1_30default_config_static_selectorELNS0_4arch9wavefront6targetE0EEEvT1_, .Lfunc_end75-_ZN7rocprim17ROCPRIM_400000_NS6detail17trampoline_kernelINS0_14default_configENS1_25transform_config_selectorIyLb0EEEZNS1_14transform_implILb0ES3_S5_PyN6thrust23THRUST_200600_302600_NS6detail15normal_iteratorINS9_10device_ptrIyEEEENS0_8identityIyEEEE10hipError_tT2_T3_mT4_P12ihipStream_tbEUlT_E_NS1_11comp_targetILNS1_3genE3ELNS1_11target_archE908ELNS1_3gpuE7ELNS1_3repE0EEENS1_30default_config_static_selectorELNS0_4arch9wavefront6targetE0EEEvT1_
                                        ; -- End function
	.set _ZN7rocprim17ROCPRIM_400000_NS6detail17trampoline_kernelINS0_14default_configENS1_25transform_config_selectorIyLb0EEEZNS1_14transform_implILb0ES3_S5_PyN6thrust23THRUST_200600_302600_NS6detail15normal_iteratorINS9_10device_ptrIyEEEENS0_8identityIyEEEE10hipError_tT2_T3_mT4_P12ihipStream_tbEUlT_E_NS1_11comp_targetILNS1_3genE3ELNS1_11target_archE908ELNS1_3gpuE7ELNS1_3repE0EEENS1_30default_config_static_selectorELNS0_4arch9wavefront6targetE0EEEvT1_.num_vgpr, 0
	.set _ZN7rocprim17ROCPRIM_400000_NS6detail17trampoline_kernelINS0_14default_configENS1_25transform_config_selectorIyLb0EEEZNS1_14transform_implILb0ES3_S5_PyN6thrust23THRUST_200600_302600_NS6detail15normal_iteratorINS9_10device_ptrIyEEEENS0_8identityIyEEEE10hipError_tT2_T3_mT4_P12ihipStream_tbEUlT_E_NS1_11comp_targetILNS1_3genE3ELNS1_11target_archE908ELNS1_3gpuE7ELNS1_3repE0EEENS1_30default_config_static_selectorELNS0_4arch9wavefront6targetE0EEEvT1_.num_agpr, 0
	.set _ZN7rocprim17ROCPRIM_400000_NS6detail17trampoline_kernelINS0_14default_configENS1_25transform_config_selectorIyLb0EEEZNS1_14transform_implILb0ES3_S5_PyN6thrust23THRUST_200600_302600_NS6detail15normal_iteratorINS9_10device_ptrIyEEEENS0_8identityIyEEEE10hipError_tT2_T3_mT4_P12ihipStream_tbEUlT_E_NS1_11comp_targetILNS1_3genE3ELNS1_11target_archE908ELNS1_3gpuE7ELNS1_3repE0EEENS1_30default_config_static_selectorELNS0_4arch9wavefront6targetE0EEEvT1_.numbered_sgpr, 0
	.set _ZN7rocprim17ROCPRIM_400000_NS6detail17trampoline_kernelINS0_14default_configENS1_25transform_config_selectorIyLb0EEEZNS1_14transform_implILb0ES3_S5_PyN6thrust23THRUST_200600_302600_NS6detail15normal_iteratorINS9_10device_ptrIyEEEENS0_8identityIyEEEE10hipError_tT2_T3_mT4_P12ihipStream_tbEUlT_E_NS1_11comp_targetILNS1_3genE3ELNS1_11target_archE908ELNS1_3gpuE7ELNS1_3repE0EEENS1_30default_config_static_selectorELNS0_4arch9wavefront6targetE0EEEvT1_.num_named_barrier, 0
	.set _ZN7rocprim17ROCPRIM_400000_NS6detail17trampoline_kernelINS0_14default_configENS1_25transform_config_selectorIyLb0EEEZNS1_14transform_implILb0ES3_S5_PyN6thrust23THRUST_200600_302600_NS6detail15normal_iteratorINS9_10device_ptrIyEEEENS0_8identityIyEEEE10hipError_tT2_T3_mT4_P12ihipStream_tbEUlT_E_NS1_11comp_targetILNS1_3genE3ELNS1_11target_archE908ELNS1_3gpuE7ELNS1_3repE0EEENS1_30default_config_static_selectorELNS0_4arch9wavefront6targetE0EEEvT1_.private_seg_size, 0
	.set _ZN7rocprim17ROCPRIM_400000_NS6detail17trampoline_kernelINS0_14default_configENS1_25transform_config_selectorIyLb0EEEZNS1_14transform_implILb0ES3_S5_PyN6thrust23THRUST_200600_302600_NS6detail15normal_iteratorINS9_10device_ptrIyEEEENS0_8identityIyEEEE10hipError_tT2_T3_mT4_P12ihipStream_tbEUlT_E_NS1_11comp_targetILNS1_3genE3ELNS1_11target_archE908ELNS1_3gpuE7ELNS1_3repE0EEENS1_30default_config_static_selectorELNS0_4arch9wavefront6targetE0EEEvT1_.uses_vcc, 0
	.set _ZN7rocprim17ROCPRIM_400000_NS6detail17trampoline_kernelINS0_14default_configENS1_25transform_config_selectorIyLb0EEEZNS1_14transform_implILb0ES3_S5_PyN6thrust23THRUST_200600_302600_NS6detail15normal_iteratorINS9_10device_ptrIyEEEENS0_8identityIyEEEE10hipError_tT2_T3_mT4_P12ihipStream_tbEUlT_E_NS1_11comp_targetILNS1_3genE3ELNS1_11target_archE908ELNS1_3gpuE7ELNS1_3repE0EEENS1_30default_config_static_selectorELNS0_4arch9wavefront6targetE0EEEvT1_.uses_flat_scratch, 0
	.set _ZN7rocprim17ROCPRIM_400000_NS6detail17trampoline_kernelINS0_14default_configENS1_25transform_config_selectorIyLb0EEEZNS1_14transform_implILb0ES3_S5_PyN6thrust23THRUST_200600_302600_NS6detail15normal_iteratorINS9_10device_ptrIyEEEENS0_8identityIyEEEE10hipError_tT2_T3_mT4_P12ihipStream_tbEUlT_E_NS1_11comp_targetILNS1_3genE3ELNS1_11target_archE908ELNS1_3gpuE7ELNS1_3repE0EEENS1_30default_config_static_selectorELNS0_4arch9wavefront6targetE0EEEvT1_.has_dyn_sized_stack, 0
	.set _ZN7rocprim17ROCPRIM_400000_NS6detail17trampoline_kernelINS0_14default_configENS1_25transform_config_selectorIyLb0EEEZNS1_14transform_implILb0ES3_S5_PyN6thrust23THRUST_200600_302600_NS6detail15normal_iteratorINS9_10device_ptrIyEEEENS0_8identityIyEEEE10hipError_tT2_T3_mT4_P12ihipStream_tbEUlT_E_NS1_11comp_targetILNS1_3genE3ELNS1_11target_archE908ELNS1_3gpuE7ELNS1_3repE0EEENS1_30default_config_static_selectorELNS0_4arch9wavefront6targetE0EEEvT1_.has_recursion, 0
	.set _ZN7rocprim17ROCPRIM_400000_NS6detail17trampoline_kernelINS0_14default_configENS1_25transform_config_selectorIyLb0EEEZNS1_14transform_implILb0ES3_S5_PyN6thrust23THRUST_200600_302600_NS6detail15normal_iteratorINS9_10device_ptrIyEEEENS0_8identityIyEEEE10hipError_tT2_T3_mT4_P12ihipStream_tbEUlT_E_NS1_11comp_targetILNS1_3genE3ELNS1_11target_archE908ELNS1_3gpuE7ELNS1_3repE0EEENS1_30default_config_static_selectorELNS0_4arch9wavefront6targetE0EEEvT1_.has_indirect_call, 0
	.section	.AMDGPU.csdata,"",@progbits
; Kernel info:
; codeLenInByte = 0
; TotalNumSgprs: 0
; NumVgprs: 0
; ScratchSize: 0
; MemoryBound: 0
; FloatMode: 240
; IeeeMode: 1
; LDSByteSize: 0 bytes/workgroup (compile time only)
; SGPRBlocks: 0
; VGPRBlocks: 0
; NumSGPRsForWavesPerEU: 1
; NumVGPRsForWavesPerEU: 1
; Occupancy: 16
; WaveLimiterHint : 0
; COMPUTE_PGM_RSRC2:SCRATCH_EN: 0
; COMPUTE_PGM_RSRC2:USER_SGPR: 6
; COMPUTE_PGM_RSRC2:TRAP_HANDLER: 0
; COMPUTE_PGM_RSRC2:TGID_X_EN: 1
; COMPUTE_PGM_RSRC2:TGID_Y_EN: 0
; COMPUTE_PGM_RSRC2:TGID_Z_EN: 0
; COMPUTE_PGM_RSRC2:TIDIG_COMP_CNT: 0
	.section	.text._ZN7rocprim17ROCPRIM_400000_NS6detail17trampoline_kernelINS0_14default_configENS1_25transform_config_selectorIyLb0EEEZNS1_14transform_implILb0ES3_S5_PyN6thrust23THRUST_200600_302600_NS6detail15normal_iteratorINS9_10device_ptrIyEEEENS0_8identityIyEEEE10hipError_tT2_T3_mT4_P12ihipStream_tbEUlT_E_NS1_11comp_targetILNS1_3genE2ELNS1_11target_archE906ELNS1_3gpuE6ELNS1_3repE0EEENS1_30default_config_static_selectorELNS0_4arch9wavefront6targetE0EEEvT1_,"axG",@progbits,_ZN7rocprim17ROCPRIM_400000_NS6detail17trampoline_kernelINS0_14default_configENS1_25transform_config_selectorIyLb0EEEZNS1_14transform_implILb0ES3_S5_PyN6thrust23THRUST_200600_302600_NS6detail15normal_iteratorINS9_10device_ptrIyEEEENS0_8identityIyEEEE10hipError_tT2_T3_mT4_P12ihipStream_tbEUlT_E_NS1_11comp_targetILNS1_3genE2ELNS1_11target_archE906ELNS1_3gpuE6ELNS1_3repE0EEENS1_30default_config_static_selectorELNS0_4arch9wavefront6targetE0EEEvT1_,comdat
	.protected	_ZN7rocprim17ROCPRIM_400000_NS6detail17trampoline_kernelINS0_14default_configENS1_25transform_config_selectorIyLb0EEEZNS1_14transform_implILb0ES3_S5_PyN6thrust23THRUST_200600_302600_NS6detail15normal_iteratorINS9_10device_ptrIyEEEENS0_8identityIyEEEE10hipError_tT2_T3_mT4_P12ihipStream_tbEUlT_E_NS1_11comp_targetILNS1_3genE2ELNS1_11target_archE906ELNS1_3gpuE6ELNS1_3repE0EEENS1_30default_config_static_selectorELNS0_4arch9wavefront6targetE0EEEvT1_ ; -- Begin function _ZN7rocprim17ROCPRIM_400000_NS6detail17trampoline_kernelINS0_14default_configENS1_25transform_config_selectorIyLb0EEEZNS1_14transform_implILb0ES3_S5_PyN6thrust23THRUST_200600_302600_NS6detail15normal_iteratorINS9_10device_ptrIyEEEENS0_8identityIyEEEE10hipError_tT2_T3_mT4_P12ihipStream_tbEUlT_E_NS1_11comp_targetILNS1_3genE2ELNS1_11target_archE906ELNS1_3gpuE6ELNS1_3repE0EEENS1_30default_config_static_selectorELNS0_4arch9wavefront6targetE0EEEvT1_
	.globl	_ZN7rocprim17ROCPRIM_400000_NS6detail17trampoline_kernelINS0_14default_configENS1_25transform_config_selectorIyLb0EEEZNS1_14transform_implILb0ES3_S5_PyN6thrust23THRUST_200600_302600_NS6detail15normal_iteratorINS9_10device_ptrIyEEEENS0_8identityIyEEEE10hipError_tT2_T3_mT4_P12ihipStream_tbEUlT_E_NS1_11comp_targetILNS1_3genE2ELNS1_11target_archE906ELNS1_3gpuE6ELNS1_3repE0EEENS1_30default_config_static_selectorELNS0_4arch9wavefront6targetE0EEEvT1_
	.p2align	8
	.type	_ZN7rocprim17ROCPRIM_400000_NS6detail17trampoline_kernelINS0_14default_configENS1_25transform_config_selectorIyLb0EEEZNS1_14transform_implILb0ES3_S5_PyN6thrust23THRUST_200600_302600_NS6detail15normal_iteratorINS9_10device_ptrIyEEEENS0_8identityIyEEEE10hipError_tT2_T3_mT4_P12ihipStream_tbEUlT_E_NS1_11comp_targetILNS1_3genE2ELNS1_11target_archE906ELNS1_3gpuE6ELNS1_3repE0EEENS1_30default_config_static_selectorELNS0_4arch9wavefront6targetE0EEEvT1_,@function
_ZN7rocprim17ROCPRIM_400000_NS6detail17trampoline_kernelINS0_14default_configENS1_25transform_config_selectorIyLb0EEEZNS1_14transform_implILb0ES3_S5_PyN6thrust23THRUST_200600_302600_NS6detail15normal_iteratorINS9_10device_ptrIyEEEENS0_8identityIyEEEE10hipError_tT2_T3_mT4_P12ihipStream_tbEUlT_E_NS1_11comp_targetILNS1_3genE2ELNS1_11target_archE906ELNS1_3gpuE6ELNS1_3repE0EEENS1_30default_config_static_selectorELNS0_4arch9wavefront6targetE0EEEvT1_: ; @_ZN7rocprim17ROCPRIM_400000_NS6detail17trampoline_kernelINS0_14default_configENS1_25transform_config_selectorIyLb0EEEZNS1_14transform_implILb0ES3_S5_PyN6thrust23THRUST_200600_302600_NS6detail15normal_iteratorINS9_10device_ptrIyEEEENS0_8identityIyEEEE10hipError_tT2_T3_mT4_P12ihipStream_tbEUlT_E_NS1_11comp_targetILNS1_3genE2ELNS1_11target_archE906ELNS1_3gpuE6ELNS1_3repE0EEENS1_30default_config_static_selectorELNS0_4arch9wavefront6targetE0EEEvT1_
; %bb.0:
	.section	.rodata,"a",@progbits
	.p2align	6, 0x0
	.amdhsa_kernel _ZN7rocprim17ROCPRIM_400000_NS6detail17trampoline_kernelINS0_14default_configENS1_25transform_config_selectorIyLb0EEEZNS1_14transform_implILb0ES3_S5_PyN6thrust23THRUST_200600_302600_NS6detail15normal_iteratorINS9_10device_ptrIyEEEENS0_8identityIyEEEE10hipError_tT2_T3_mT4_P12ihipStream_tbEUlT_E_NS1_11comp_targetILNS1_3genE2ELNS1_11target_archE906ELNS1_3gpuE6ELNS1_3repE0EEENS1_30default_config_static_selectorELNS0_4arch9wavefront6targetE0EEEvT1_
		.amdhsa_group_segment_fixed_size 0
		.amdhsa_private_segment_fixed_size 0
		.amdhsa_kernarg_size 40
		.amdhsa_user_sgpr_count 6
		.amdhsa_user_sgpr_private_segment_buffer 1
		.amdhsa_user_sgpr_dispatch_ptr 0
		.amdhsa_user_sgpr_queue_ptr 0
		.amdhsa_user_sgpr_kernarg_segment_ptr 1
		.amdhsa_user_sgpr_dispatch_id 0
		.amdhsa_user_sgpr_flat_scratch_init 0
		.amdhsa_user_sgpr_private_segment_size 0
		.amdhsa_wavefront_size32 1
		.amdhsa_uses_dynamic_stack 0
		.amdhsa_system_sgpr_private_segment_wavefront_offset 0
		.amdhsa_system_sgpr_workgroup_id_x 1
		.amdhsa_system_sgpr_workgroup_id_y 0
		.amdhsa_system_sgpr_workgroup_id_z 0
		.amdhsa_system_sgpr_workgroup_info 0
		.amdhsa_system_vgpr_workitem_id 0
		.amdhsa_next_free_vgpr 1
		.amdhsa_next_free_sgpr 1
		.amdhsa_reserve_vcc 0
		.amdhsa_reserve_flat_scratch 0
		.amdhsa_float_round_mode_32 0
		.amdhsa_float_round_mode_16_64 0
		.amdhsa_float_denorm_mode_32 3
		.amdhsa_float_denorm_mode_16_64 3
		.amdhsa_dx10_clamp 1
		.amdhsa_ieee_mode 1
		.amdhsa_fp16_overflow 0
		.amdhsa_workgroup_processor_mode 1
		.amdhsa_memory_ordered 1
		.amdhsa_forward_progress 1
		.amdhsa_shared_vgpr_count 0
		.amdhsa_exception_fp_ieee_invalid_op 0
		.amdhsa_exception_fp_denorm_src 0
		.amdhsa_exception_fp_ieee_div_zero 0
		.amdhsa_exception_fp_ieee_overflow 0
		.amdhsa_exception_fp_ieee_underflow 0
		.amdhsa_exception_fp_ieee_inexact 0
		.amdhsa_exception_int_div_zero 0
	.end_amdhsa_kernel
	.section	.text._ZN7rocprim17ROCPRIM_400000_NS6detail17trampoline_kernelINS0_14default_configENS1_25transform_config_selectorIyLb0EEEZNS1_14transform_implILb0ES3_S5_PyN6thrust23THRUST_200600_302600_NS6detail15normal_iteratorINS9_10device_ptrIyEEEENS0_8identityIyEEEE10hipError_tT2_T3_mT4_P12ihipStream_tbEUlT_E_NS1_11comp_targetILNS1_3genE2ELNS1_11target_archE906ELNS1_3gpuE6ELNS1_3repE0EEENS1_30default_config_static_selectorELNS0_4arch9wavefront6targetE0EEEvT1_,"axG",@progbits,_ZN7rocprim17ROCPRIM_400000_NS6detail17trampoline_kernelINS0_14default_configENS1_25transform_config_selectorIyLb0EEEZNS1_14transform_implILb0ES3_S5_PyN6thrust23THRUST_200600_302600_NS6detail15normal_iteratorINS9_10device_ptrIyEEEENS0_8identityIyEEEE10hipError_tT2_T3_mT4_P12ihipStream_tbEUlT_E_NS1_11comp_targetILNS1_3genE2ELNS1_11target_archE906ELNS1_3gpuE6ELNS1_3repE0EEENS1_30default_config_static_selectorELNS0_4arch9wavefront6targetE0EEEvT1_,comdat
.Lfunc_end76:
	.size	_ZN7rocprim17ROCPRIM_400000_NS6detail17trampoline_kernelINS0_14default_configENS1_25transform_config_selectorIyLb0EEEZNS1_14transform_implILb0ES3_S5_PyN6thrust23THRUST_200600_302600_NS6detail15normal_iteratorINS9_10device_ptrIyEEEENS0_8identityIyEEEE10hipError_tT2_T3_mT4_P12ihipStream_tbEUlT_E_NS1_11comp_targetILNS1_3genE2ELNS1_11target_archE906ELNS1_3gpuE6ELNS1_3repE0EEENS1_30default_config_static_selectorELNS0_4arch9wavefront6targetE0EEEvT1_, .Lfunc_end76-_ZN7rocprim17ROCPRIM_400000_NS6detail17trampoline_kernelINS0_14default_configENS1_25transform_config_selectorIyLb0EEEZNS1_14transform_implILb0ES3_S5_PyN6thrust23THRUST_200600_302600_NS6detail15normal_iteratorINS9_10device_ptrIyEEEENS0_8identityIyEEEE10hipError_tT2_T3_mT4_P12ihipStream_tbEUlT_E_NS1_11comp_targetILNS1_3genE2ELNS1_11target_archE906ELNS1_3gpuE6ELNS1_3repE0EEENS1_30default_config_static_selectorELNS0_4arch9wavefront6targetE0EEEvT1_
                                        ; -- End function
	.set _ZN7rocprim17ROCPRIM_400000_NS6detail17trampoline_kernelINS0_14default_configENS1_25transform_config_selectorIyLb0EEEZNS1_14transform_implILb0ES3_S5_PyN6thrust23THRUST_200600_302600_NS6detail15normal_iteratorINS9_10device_ptrIyEEEENS0_8identityIyEEEE10hipError_tT2_T3_mT4_P12ihipStream_tbEUlT_E_NS1_11comp_targetILNS1_3genE2ELNS1_11target_archE906ELNS1_3gpuE6ELNS1_3repE0EEENS1_30default_config_static_selectorELNS0_4arch9wavefront6targetE0EEEvT1_.num_vgpr, 0
	.set _ZN7rocprim17ROCPRIM_400000_NS6detail17trampoline_kernelINS0_14default_configENS1_25transform_config_selectorIyLb0EEEZNS1_14transform_implILb0ES3_S5_PyN6thrust23THRUST_200600_302600_NS6detail15normal_iteratorINS9_10device_ptrIyEEEENS0_8identityIyEEEE10hipError_tT2_T3_mT4_P12ihipStream_tbEUlT_E_NS1_11comp_targetILNS1_3genE2ELNS1_11target_archE906ELNS1_3gpuE6ELNS1_3repE0EEENS1_30default_config_static_selectorELNS0_4arch9wavefront6targetE0EEEvT1_.num_agpr, 0
	.set _ZN7rocprim17ROCPRIM_400000_NS6detail17trampoline_kernelINS0_14default_configENS1_25transform_config_selectorIyLb0EEEZNS1_14transform_implILb0ES3_S5_PyN6thrust23THRUST_200600_302600_NS6detail15normal_iteratorINS9_10device_ptrIyEEEENS0_8identityIyEEEE10hipError_tT2_T3_mT4_P12ihipStream_tbEUlT_E_NS1_11comp_targetILNS1_3genE2ELNS1_11target_archE906ELNS1_3gpuE6ELNS1_3repE0EEENS1_30default_config_static_selectorELNS0_4arch9wavefront6targetE0EEEvT1_.numbered_sgpr, 0
	.set _ZN7rocprim17ROCPRIM_400000_NS6detail17trampoline_kernelINS0_14default_configENS1_25transform_config_selectorIyLb0EEEZNS1_14transform_implILb0ES3_S5_PyN6thrust23THRUST_200600_302600_NS6detail15normal_iteratorINS9_10device_ptrIyEEEENS0_8identityIyEEEE10hipError_tT2_T3_mT4_P12ihipStream_tbEUlT_E_NS1_11comp_targetILNS1_3genE2ELNS1_11target_archE906ELNS1_3gpuE6ELNS1_3repE0EEENS1_30default_config_static_selectorELNS0_4arch9wavefront6targetE0EEEvT1_.num_named_barrier, 0
	.set _ZN7rocprim17ROCPRIM_400000_NS6detail17trampoline_kernelINS0_14default_configENS1_25transform_config_selectorIyLb0EEEZNS1_14transform_implILb0ES3_S5_PyN6thrust23THRUST_200600_302600_NS6detail15normal_iteratorINS9_10device_ptrIyEEEENS0_8identityIyEEEE10hipError_tT2_T3_mT4_P12ihipStream_tbEUlT_E_NS1_11comp_targetILNS1_3genE2ELNS1_11target_archE906ELNS1_3gpuE6ELNS1_3repE0EEENS1_30default_config_static_selectorELNS0_4arch9wavefront6targetE0EEEvT1_.private_seg_size, 0
	.set _ZN7rocprim17ROCPRIM_400000_NS6detail17trampoline_kernelINS0_14default_configENS1_25transform_config_selectorIyLb0EEEZNS1_14transform_implILb0ES3_S5_PyN6thrust23THRUST_200600_302600_NS6detail15normal_iteratorINS9_10device_ptrIyEEEENS0_8identityIyEEEE10hipError_tT2_T3_mT4_P12ihipStream_tbEUlT_E_NS1_11comp_targetILNS1_3genE2ELNS1_11target_archE906ELNS1_3gpuE6ELNS1_3repE0EEENS1_30default_config_static_selectorELNS0_4arch9wavefront6targetE0EEEvT1_.uses_vcc, 0
	.set _ZN7rocprim17ROCPRIM_400000_NS6detail17trampoline_kernelINS0_14default_configENS1_25transform_config_selectorIyLb0EEEZNS1_14transform_implILb0ES3_S5_PyN6thrust23THRUST_200600_302600_NS6detail15normal_iteratorINS9_10device_ptrIyEEEENS0_8identityIyEEEE10hipError_tT2_T3_mT4_P12ihipStream_tbEUlT_E_NS1_11comp_targetILNS1_3genE2ELNS1_11target_archE906ELNS1_3gpuE6ELNS1_3repE0EEENS1_30default_config_static_selectorELNS0_4arch9wavefront6targetE0EEEvT1_.uses_flat_scratch, 0
	.set _ZN7rocprim17ROCPRIM_400000_NS6detail17trampoline_kernelINS0_14default_configENS1_25transform_config_selectorIyLb0EEEZNS1_14transform_implILb0ES3_S5_PyN6thrust23THRUST_200600_302600_NS6detail15normal_iteratorINS9_10device_ptrIyEEEENS0_8identityIyEEEE10hipError_tT2_T3_mT4_P12ihipStream_tbEUlT_E_NS1_11comp_targetILNS1_3genE2ELNS1_11target_archE906ELNS1_3gpuE6ELNS1_3repE0EEENS1_30default_config_static_selectorELNS0_4arch9wavefront6targetE0EEEvT1_.has_dyn_sized_stack, 0
	.set _ZN7rocprim17ROCPRIM_400000_NS6detail17trampoline_kernelINS0_14default_configENS1_25transform_config_selectorIyLb0EEEZNS1_14transform_implILb0ES3_S5_PyN6thrust23THRUST_200600_302600_NS6detail15normal_iteratorINS9_10device_ptrIyEEEENS0_8identityIyEEEE10hipError_tT2_T3_mT4_P12ihipStream_tbEUlT_E_NS1_11comp_targetILNS1_3genE2ELNS1_11target_archE906ELNS1_3gpuE6ELNS1_3repE0EEENS1_30default_config_static_selectorELNS0_4arch9wavefront6targetE0EEEvT1_.has_recursion, 0
	.set _ZN7rocprim17ROCPRIM_400000_NS6detail17trampoline_kernelINS0_14default_configENS1_25transform_config_selectorIyLb0EEEZNS1_14transform_implILb0ES3_S5_PyN6thrust23THRUST_200600_302600_NS6detail15normal_iteratorINS9_10device_ptrIyEEEENS0_8identityIyEEEE10hipError_tT2_T3_mT4_P12ihipStream_tbEUlT_E_NS1_11comp_targetILNS1_3genE2ELNS1_11target_archE906ELNS1_3gpuE6ELNS1_3repE0EEENS1_30default_config_static_selectorELNS0_4arch9wavefront6targetE0EEEvT1_.has_indirect_call, 0
	.section	.AMDGPU.csdata,"",@progbits
; Kernel info:
; codeLenInByte = 0
; TotalNumSgprs: 0
; NumVgprs: 0
; ScratchSize: 0
; MemoryBound: 0
; FloatMode: 240
; IeeeMode: 1
; LDSByteSize: 0 bytes/workgroup (compile time only)
; SGPRBlocks: 0
; VGPRBlocks: 0
; NumSGPRsForWavesPerEU: 1
; NumVGPRsForWavesPerEU: 1
; Occupancy: 16
; WaveLimiterHint : 0
; COMPUTE_PGM_RSRC2:SCRATCH_EN: 0
; COMPUTE_PGM_RSRC2:USER_SGPR: 6
; COMPUTE_PGM_RSRC2:TRAP_HANDLER: 0
; COMPUTE_PGM_RSRC2:TGID_X_EN: 1
; COMPUTE_PGM_RSRC2:TGID_Y_EN: 0
; COMPUTE_PGM_RSRC2:TGID_Z_EN: 0
; COMPUTE_PGM_RSRC2:TIDIG_COMP_CNT: 0
	.section	.text._ZN7rocprim17ROCPRIM_400000_NS6detail17trampoline_kernelINS0_14default_configENS1_25transform_config_selectorIyLb0EEEZNS1_14transform_implILb0ES3_S5_PyN6thrust23THRUST_200600_302600_NS6detail15normal_iteratorINS9_10device_ptrIyEEEENS0_8identityIyEEEE10hipError_tT2_T3_mT4_P12ihipStream_tbEUlT_E_NS1_11comp_targetILNS1_3genE10ELNS1_11target_archE1201ELNS1_3gpuE5ELNS1_3repE0EEENS1_30default_config_static_selectorELNS0_4arch9wavefront6targetE0EEEvT1_,"axG",@progbits,_ZN7rocprim17ROCPRIM_400000_NS6detail17trampoline_kernelINS0_14default_configENS1_25transform_config_selectorIyLb0EEEZNS1_14transform_implILb0ES3_S5_PyN6thrust23THRUST_200600_302600_NS6detail15normal_iteratorINS9_10device_ptrIyEEEENS0_8identityIyEEEE10hipError_tT2_T3_mT4_P12ihipStream_tbEUlT_E_NS1_11comp_targetILNS1_3genE10ELNS1_11target_archE1201ELNS1_3gpuE5ELNS1_3repE0EEENS1_30default_config_static_selectorELNS0_4arch9wavefront6targetE0EEEvT1_,comdat
	.protected	_ZN7rocprim17ROCPRIM_400000_NS6detail17trampoline_kernelINS0_14default_configENS1_25transform_config_selectorIyLb0EEEZNS1_14transform_implILb0ES3_S5_PyN6thrust23THRUST_200600_302600_NS6detail15normal_iteratorINS9_10device_ptrIyEEEENS0_8identityIyEEEE10hipError_tT2_T3_mT4_P12ihipStream_tbEUlT_E_NS1_11comp_targetILNS1_3genE10ELNS1_11target_archE1201ELNS1_3gpuE5ELNS1_3repE0EEENS1_30default_config_static_selectorELNS0_4arch9wavefront6targetE0EEEvT1_ ; -- Begin function _ZN7rocprim17ROCPRIM_400000_NS6detail17trampoline_kernelINS0_14default_configENS1_25transform_config_selectorIyLb0EEEZNS1_14transform_implILb0ES3_S5_PyN6thrust23THRUST_200600_302600_NS6detail15normal_iteratorINS9_10device_ptrIyEEEENS0_8identityIyEEEE10hipError_tT2_T3_mT4_P12ihipStream_tbEUlT_E_NS1_11comp_targetILNS1_3genE10ELNS1_11target_archE1201ELNS1_3gpuE5ELNS1_3repE0EEENS1_30default_config_static_selectorELNS0_4arch9wavefront6targetE0EEEvT1_
	.globl	_ZN7rocprim17ROCPRIM_400000_NS6detail17trampoline_kernelINS0_14default_configENS1_25transform_config_selectorIyLb0EEEZNS1_14transform_implILb0ES3_S5_PyN6thrust23THRUST_200600_302600_NS6detail15normal_iteratorINS9_10device_ptrIyEEEENS0_8identityIyEEEE10hipError_tT2_T3_mT4_P12ihipStream_tbEUlT_E_NS1_11comp_targetILNS1_3genE10ELNS1_11target_archE1201ELNS1_3gpuE5ELNS1_3repE0EEENS1_30default_config_static_selectorELNS0_4arch9wavefront6targetE0EEEvT1_
	.p2align	8
	.type	_ZN7rocprim17ROCPRIM_400000_NS6detail17trampoline_kernelINS0_14default_configENS1_25transform_config_selectorIyLb0EEEZNS1_14transform_implILb0ES3_S5_PyN6thrust23THRUST_200600_302600_NS6detail15normal_iteratorINS9_10device_ptrIyEEEENS0_8identityIyEEEE10hipError_tT2_T3_mT4_P12ihipStream_tbEUlT_E_NS1_11comp_targetILNS1_3genE10ELNS1_11target_archE1201ELNS1_3gpuE5ELNS1_3repE0EEENS1_30default_config_static_selectorELNS0_4arch9wavefront6targetE0EEEvT1_,@function
_ZN7rocprim17ROCPRIM_400000_NS6detail17trampoline_kernelINS0_14default_configENS1_25transform_config_selectorIyLb0EEEZNS1_14transform_implILb0ES3_S5_PyN6thrust23THRUST_200600_302600_NS6detail15normal_iteratorINS9_10device_ptrIyEEEENS0_8identityIyEEEE10hipError_tT2_T3_mT4_P12ihipStream_tbEUlT_E_NS1_11comp_targetILNS1_3genE10ELNS1_11target_archE1201ELNS1_3gpuE5ELNS1_3repE0EEENS1_30default_config_static_selectorELNS0_4arch9wavefront6targetE0EEEvT1_: ; @_ZN7rocprim17ROCPRIM_400000_NS6detail17trampoline_kernelINS0_14default_configENS1_25transform_config_selectorIyLb0EEEZNS1_14transform_implILb0ES3_S5_PyN6thrust23THRUST_200600_302600_NS6detail15normal_iteratorINS9_10device_ptrIyEEEENS0_8identityIyEEEE10hipError_tT2_T3_mT4_P12ihipStream_tbEUlT_E_NS1_11comp_targetILNS1_3genE10ELNS1_11target_archE1201ELNS1_3gpuE5ELNS1_3repE0EEENS1_30default_config_static_selectorELNS0_4arch9wavefront6targetE0EEEvT1_
; %bb.0:
	.section	.rodata,"a",@progbits
	.p2align	6, 0x0
	.amdhsa_kernel _ZN7rocprim17ROCPRIM_400000_NS6detail17trampoline_kernelINS0_14default_configENS1_25transform_config_selectorIyLb0EEEZNS1_14transform_implILb0ES3_S5_PyN6thrust23THRUST_200600_302600_NS6detail15normal_iteratorINS9_10device_ptrIyEEEENS0_8identityIyEEEE10hipError_tT2_T3_mT4_P12ihipStream_tbEUlT_E_NS1_11comp_targetILNS1_3genE10ELNS1_11target_archE1201ELNS1_3gpuE5ELNS1_3repE0EEENS1_30default_config_static_selectorELNS0_4arch9wavefront6targetE0EEEvT1_
		.amdhsa_group_segment_fixed_size 0
		.amdhsa_private_segment_fixed_size 0
		.amdhsa_kernarg_size 40
		.amdhsa_user_sgpr_count 6
		.amdhsa_user_sgpr_private_segment_buffer 1
		.amdhsa_user_sgpr_dispatch_ptr 0
		.amdhsa_user_sgpr_queue_ptr 0
		.amdhsa_user_sgpr_kernarg_segment_ptr 1
		.amdhsa_user_sgpr_dispatch_id 0
		.amdhsa_user_sgpr_flat_scratch_init 0
		.amdhsa_user_sgpr_private_segment_size 0
		.amdhsa_wavefront_size32 1
		.amdhsa_uses_dynamic_stack 0
		.amdhsa_system_sgpr_private_segment_wavefront_offset 0
		.amdhsa_system_sgpr_workgroup_id_x 1
		.amdhsa_system_sgpr_workgroup_id_y 0
		.amdhsa_system_sgpr_workgroup_id_z 0
		.amdhsa_system_sgpr_workgroup_info 0
		.amdhsa_system_vgpr_workitem_id 0
		.amdhsa_next_free_vgpr 1
		.amdhsa_next_free_sgpr 1
		.amdhsa_reserve_vcc 0
		.amdhsa_reserve_flat_scratch 0
		.amdhsa_float_round_mode_32 0
		.amdhsa_float_round_mode_16_64 0
		.amdhsa_float_denorm_mode_32 3
		.amdhsa_float_denorm_mode_16_64 3
		.amdhsa_dx10_clamp 1
		.amdhsa_ieee_mode 1
		.amdhsa_fp16_overflow 0
		.amdhsa_workgroup_processor_mode 1
		.amdhsa_memory_ordered 1
		.amdhsa_forward_progress 1
		.amdhsa_shared_vgpr_count 0
		.amdhsa_exception_fp_ieee_invalid_op 0
		.amdhsa_exception_fp_denorm_src 0
		.amdhsa_exception_fp_ieee_div_zero 0
		.amdhsa_exception_fp_ieee_overflow 0
		.amdhsa_exception_fp_ieee_underflow 0
		.amdhsa_exception_fp_ieee_inexact 0
		.amdhsa_exception_int_div_zero 0
	.end_amdhsa_kernel
	.section	.text._ZN7rocprim17ROCPRIM_400000_NS6detail17trampoline_kernelINS0_14default_configENS1_25transform_config_selectorIyLb0EEEZNS1_14transform_implILb0ES3_S5_PyN6thrust23THRUST_200600_302600_NS6detail15normal_iteratorINS9_10device_ptrIyEEEENS0_8identityIyEEEE10hipError_tT2_T3_mT4_P12ihipStream_tbEUlT_E_NS1_11comp_targetILNS1_3genE10ELNS1_11target_archE1201ELNS1_3gpuE5ELNS1_3repE0EEENS1_30default_config_static_selectorELNS0_4arch9wavefront6targetE0EEEvT1_,"axG",@progbits,_ZN7rocprim17ROCPRIM_400000_NS6detail17trampoline_kernelINS0_14default_configENS1_25transform_config_selectorIyLb0EEEZNS1_14transform_implILb0ES3_S5_PyN6thrust23THRUST_200600_302600_NS6detail15normal_iteratorINS9_10device_ptrIyEEEENS0_8identityIyEEEE10hipError_tT2_T3_mT4_P12ihipStream_tbEUlT_E_NS1_11comp_targetILNS1_3genE10ELNS1_11target_archE1201ELNS1_3gpuE5ELNS1_3repE0EEENS1_30default_config_static_selectorELNS0_4arch9wavefront6targetE0EEEvT1_,comdat
.Lfunc_end77:
	.size	_ZN7rocprim17ROCPRIM_400000_NS6detail17trampoline_kernelINS0_14default_configENS1_25transform_config_selectorIyLb0EEEZNS1_14transform_implILb0ES3_S5_PyN6thrust23THRUST_200600_302600_NS6detail15normal_iteratorINS9_10device_ptrIyEEEENS0_8identityIyEEEE10hipError_tT2_T3_mT4_P12ihipStream_tbEUlT_E_NS1_11comp_targetILNS1_3genE10ELNS1_11target_archE1201ELNS1_3gpuE5ELNS1_3repE0EEENS1_30default_config_static_selectorELNS0_4arch9wavefront6targetE0EEEvT1_, .Lfunc_end77-_ZN7rocprim17ROCPRIM_400000_NS6detail17trampoline_kernelINS0_14default_configENS1_25transform_config_selectorIyLb0EEEZNS1_14transform_implILb0ES3_S5_PyN6thrust23THRUST_200600_302600_NS6detail15normal_iteratorINS9_10device_ptrIyEEEENS0_8identityIyEEEE10hipError_tT2_T3_mT4_P12ihipStream_tbEUlT_E_NS1_11comp_targetILNS1_3genE10ELNS1_11target_archE1201ELNS1_3gpuE5ELNS1_3repE0EEENS1_30default_config_static_selectorELNS0_4arch9wavefront6targetE0EEEvT1_
                                        ; -- End function
	.set _ZN7rocprim17ROCPRIM_400000_NS6detail17trampoline_kernelINS0_14default_configENS1_25transform_config_selectorIyLb0EEEZNS1_14transform_implILb0ES3_S5_PyN6thrust23THRUST_200600_302600_NS6detail15normal_iteratorINS9_10device_ptrIyEEEENS0_8identityIyEEEE10hipError_tT2_T3_mT4_P12ihipStream_tbEUlT_E_NS1_11comp_targetILNS1_3genE10ELNS1_11target_archE1201ELNS1_3gpuE5ELNS1_3repE0EEENS1_30default_config_static_selectorELNS0_4arch9wavefront6targetE0EEEvT1_.num_vgpr, 0
	.set _ZN7rocprim17ROCPRIM_400000_NS6detail17trampoline_kernelINS0_14default_configENS1_25transform_config_selectorIyLb0EEEZNS1_14transform_implILb0ES3_S5_PyN6thrust23THRUST_200600_302600_NS6detail15normal_iteratorINS9_10device_ptrIyEEEENS0_8identityIyEEEE10hipError_tT2_T3_mT4_P12ihipStream_tbEUlT_E_NS1_11comp_targetILNS1_3genE10ELNS1_11target_archE1201ELNS1_3gpuE5ELNS1_3repE0EEENS1_30default_config_static_selectorELNS0_4arch9wavefront6targetE0EEEvT1_.num_agpr, 0
	.set _ZN7rocprim17ROCPRIM_400000_NS6detail17trampoline_kernelINS0_14default_configENS1_25transform_config_selectorIyLb0EEEZNS1_14transform_implILb0ES3_S5_PyN6thrust23THRUST_200600_302600_NS6detail15normal_iteratorINS9_10device_ptrIyEEEENS0_8identityIyEEEE10hipError_tT2_T3_mT4_P12ihipStream_tbEUlT_E_NS1_11comp_targetILNS1_3genE10ELNS1_11target_archE1201ELNS1_3gpuE5ELNS1_3repE0EEENS1_30default_config_static_selectorELNS0_4arch9wavefront6targetE0EEEvT1_.numbered_sgpr, 0
	.set _ZN7rocprim17ROCPRIM_400000_NS6detail17trampoline_kernelINS0_14default_configENS1_25transform_config_selectorIyLb0EEEZNS1_14transform_implILb0ES3_S5_PyN6thrust23THRUST_200600_302600_NS6detail15normal_iteratorINS9_10device_ptrIyEEEENS0_8identityIyEEEE10hipError_tT2_T3_mT4_P12ihipStream_tbEUlT_E_NS1_11comp_targetILNS1_3genE10ELNS1_11target_archE1201ELNS1_3gpuE5ELNS1_3repE0EEENS1_30default_config_static_selectorELNS0_4arch9wavefront6targetE0EEEvT1_.num_named_barrier, 0
	.set _ZN7rocprim17ROCPRIM_400000_NS6detail17trampoline_kernelINS0_14default_configENS1_25transform_config_selectorIyLb0EEEZNS1_14transform_implILb0ES3_S5_PyN6thrust23THRUST_200600_302600_NS6detail15normal_iteratorINS9_10device_ptrIyEEEENS0_8identityIyEEEE10hipError_tT2_T3_mT4_P12ihipStream_tbEUlT_E_NS1_11comp_targetILNS1_3genE10ELNS1_11target_archE1201ELNS1_3gpuE5ELNS1_3repE0EEENS1_30default_config_static_selectorELNS0_4arch9wavefront6targetE0EEEvT1_.private_seg_size, 0
	.set _ZN7rocprim17ROCPRIM_400000_NS6detail17trampoline_kernelINS0_14default_configENS1_25transform_config_selectorIyLb0EEEZNS1_14transform_implILb0ES3_S5_PyN6thrust23THRUST_200600_302600_NS6detail15normal_iteratorINS9_10device_ptrIyEEEENS0_8identityIyEEEE10hipError_tT2_T3_mT4_P12ihipStream_tbEUlT_E_NS1_11comp_targetILNS1_3genE10ELNS1_11target_archE1201ELNS1_3gpuE5ELNS1_3repE0EEENS1_30default_config_static_selectorELNS0_4arch9wavefront6targetE0EEEvT1_.uses_vcc, 0
	.set _ZN7rocprim17ROCPRIM_400000_NS6detail17trampoline_kernelINS0_14default_configENS1_25transform_config_selectorIyLb0EEEZNS1_14transform_implILb0ES3_S5_PyN6thrust23THRUST_200600_302600_NS6detail15normal_iteratorINS9_10device_ptrIyEEEENS0_8identityIyEEEE10hipError_tT2_T3_mT4_P12ihipStream_tbEUlT_E_NS1_11comp_targetILNS1_3genE10ELNS1_11target_archE1201ELNS1_3gpuE5ELNS1_3repE0EEENS1_30default_config_static_selectorELNS0_4arch9wavefront6targetE0EEEvT1_.uses_flat_scratch, 0
	.set _ZN7rocprim17ROCPRIM_400000_NS6detail17trampoline_kernelINS0_14default_configENS1_25transform_config_selectorIyLb0EEEZNS1_14transform_implILb0ES3_S5_PyN6thrust23THRUST_200600_302600_NS6detail15normal_iteratorINS9_10device_ptrIyEEEENS0_8identityIyEEEE10hipError_tT2_T3_mT4_P12ihipStream_tbEUlT_E_NS1_11comp_targetILNS1_3genE10ELNS1_11target_archE1201ELNS1_3gpuE5ELNS1_3repE0EEENS1_30default_config_static_selectorELNS0_4arch9wavefront6targetE0EEEvT1_.has_dyn_sized_stack, 0
	.set _ZN7rocprim17ROCPRIM_400000_NS6detail17trampoline_kernelINS0_14default_configENS1_25transform_config_selectorIyLb0EEEZNS1_14transform_implILb0ES3_S5_PyN6thrust23THRUST_200600_302600_NS6detail15normal_iteratorINS9_10device_ptrIyEEEENS0_8identityIyEEEE10hipError_tT2_T3_mT4_P12ihipStream_tbEUlT_E_NS1_11comp_targetILNS1_3genE10ELNS1_11target_archE1201ELNS1_3gpuE5ELNS1_3repE0EEENS1_30default_config_static_selectorELNS0_4arch9wavefront6targetE0EEEvT1_.has_recursion, 0
	.set _ZN7rocprim17ROCPRIM_400000_NS6detail17trampoline_kernelINS0_14default_configENS1_25transform_config_selectorIyLb0EEEZNS1_14transform_implILb0ES3_S5_PyN6thrust23THRUST_200600_302600_NS6detail15normal_iteratorINS9_10device_ptrIyEEEENS0_8identityIyEEEE10hipError_tT2_T3_mT4_P12ihipStream_tbEUlT_E_NS1_11comp_targetILNS1_3genE10ELNS1_11target_archE1201ELNS1_3gpuE5ELNS1_3repE0EEENS1_30default_config_static_selectorELNS0_4arch9wavefront6targetE0EEEvT1_.has_indirect_call, 0
	.section	.AMDGPU.csdata,"",@progbits
; Kernel info:
; codeLenInByte = 0
; TotalNumSgprs: 0
; NumVgprs: 0
; ScratchSize: 0
; MemoryBound: 0
; FloatMode: 240
; IeeeMode: 1
; LDSByteSize: 0 bytes/workgroup (compile time only)
; SGPRBlocks: 0
; VGPRBlocks: 0
; NumSGPRsForWavesPerEU: 1
; NumVGPRsForWavesPerEU: 1
; Occupancy: 16
; WaveLimiterHint : 0
; COMPUTE_PGM_RSRC2:SCRATCH_EN: 0
; COMPUTE_PGM_RSRC2:USER_SGPR: 6
; COMPUTE_PGM_RSRC2:TRAP_HANDLER: 0
; COMPUTE_PGM_RSRC2:TGID_X_EN: 1
; COMPUTE_PGM_RSRC2:TGID_Y_EN: 0
; COMPUTE_PGM_RSRC2:TGID_Z_EN: 0
; COMPUTE_PGM_RSRC2:TIDIG_COMP_CNT: 0
	.section	.text._ZN7rocprim17ROCPRIM_400000_NS6detail17trampoline_kernelINS0_14default_configENS1_25transform_config_selectorIyLb0EEEZNS1_14transform_implILb0ES3_S5_PyN6thrust23THRUST_200600_302600_NS6detail15normal_iteratorINS9_10device_ptrIyEEEENS0_8identityIyEEEE10hipError_tT2_T3_mT4_P12ihipStream_tbEUlT_E_NS1_11comp_targetILNS1_3genE10ELNS1_11target_archE1200ELNS1_3gpuE4ELNS1_3repE0EEENS1_30default_config_static_selectorELNS0_4arch9wavefront6targetE0EEEvT1_,"axG",@progbits,_ZN7rocprim17ROCPRIM_400000_NS6detail17trampoline_kernelINS0_14default_configENS1_25transform_config_selectorIyLb0EEEZNS1_14transform_implILb0ES3_S5_PyN6thrust23THRUST_200600_302600_NS6detail15normal_iteratorINS9_10device_ptrIyEEEENS0_8identityIyEEEE10hipError_tT2_T3_mT4_P12ihipStream_tbEUlT_E_NS1_11comp_targetILNS1_3genE10ELNS1_11target_archE1200ELNS1_3gpuE4ELNS1_3repE0EEENS1_30default_config_static_selectorELNS0_4arch9wavefront6targetE0EEEvT1_,comdat
	.protected	_ZN7rocprim17ROCPRIM_400000_NS6detail17trampoline_kernelINS0_14default_configENS1_25transform_config_selectorIyLb0EEEZNS1_14transform_implILb0ES3_S5_PyN6thrust23THRUST_200600_302600_NS6detail15normal_iteratorINS9_10device_ptrIyEEEENS0_8identityIyEEEE10hipError_tT2_T3_mT4_P12ihipStream_tbEUlT_E_NS1_11comp_targetILNS1_3genE10ELNS1_11target_archE1200ELNS1_3gpuE4ELNS1_3repE0EEENS1_30default_config_static_selectorELNS0_4arch9wavefront6targetE0EEEvT1_ ; -- Begin function _ZN7rocprim17ROCPRIM_400000_NS6detail17trampoline_kernelINS0_14default_configENS1_25transform_config_selectorIyLb0EEEZNS1_14transform_implILb0ES3_S5_PyN6thrust23THRUST_200600_302600_NS6detail15normal_iteratorINS9_10device_ptrIyEEEENS0_8identityIyEEEE10hipError_tT2_T3_mT4_P12ihipStream_tbEUlT_E_NS1_11comp_targetILNS1_3genE10ELNS1_11target_archE1200ELNS1_3gpuE4ELNS1_3repE0EEENS1_30default_config_static_selectorELNS0_4arch9wavefront6targetE0EEEvT1_
	.globl	_ZN7rocprim17ROCPRIM_400000_NS6detail17trampoline_kernelINS0_14default_configENS1_25transform_config_selectorIyLb0EEEZNS1_14transform_implILb0ES3_S5_PyN6thrust23THRUST_200600_302600_NS6detail15normal_iteratorINS9_10device_ptrIyEEEENS0_8identityIyEEEE10hipError_tT2_T3_mT4_P12ihipStream_tbEUlT_E_NS1_11comp_targetILNS1_3genE10ELNS1_11target_archE1200ELNS1_3gpuE4ELNS1_3repE0EEENS1_30default_config_static_selectorELNS0_4arch9wavefront6targetE0EEEvT1_
	.p2align	8
	.type	_ZN7rocprim17ROCPRIM_400000_NS6detail17trampoline_kernelINS0_14default_configENS1_25transform_config_selectorIyLb0EEEZNS1_14transform_implILb0ES3_S5_PyN6thrust23THRUST_200600_302600_NS6detail15normal_iteratorINS9_10device_ptrIyEEEENS0_8identityIyEEEE10hipError_tT2_T3_mT4_P12ihipStream_tbEUlT_E_NS1_11comp_targetILNS1_3genE10ELNS1_11target_archE1200ELNS1_3gpuE4ELNS1_3repE0EEENS1_30default_config_static_selectorELNS0_4arch9wavefront6targetE0EEEvT1_,@function
_ZN7rocprim17ROCPRIM_400000_NS6detail17trampoline_kernelINS0_14default_configENS1_25transform_config_selectorIyLb0EEEZNS1_14transform_implILb0ES3_S5_PyN6thrust23THRUST_200600_302600_NS6detail15normal_iteratorINS9_10device_ptrIyEEEENS0_8identityIyEEEE10hipError_tT2_T3_mT4_P12ihipStream_tbEUlT_E_NS1_11comp_targetILNS1_3genE10ELNS1_11target_archE1200ELNS1_3gpuE4ELNS1_3repE0EEENS1_30default_config_static_selectorELNS0_4arch9wavefront6targetE0EEEvT1_: ; @_ZN7rocprim17ROCPRIM_400000_NS6detail17trampoline_kernelINS0_14default_configENS1_25transform_config_selectorIyLb0EEEZNS1_14transform_implILb0ES3_S5_PyN6thrust23THRUST_200600_302600_NS6detail15normal_iteratorINS9_10device_ptrIyEEEENS0_8identityIyEEEE10hipError_tT2_T3_mT4_P12ihipStream_tbEUlT_E_NS1_11comp_targetILNS1_3genE10ELNS1_11target_archE1200ELNS1_3gpuE4ELNS1_3repE0EEENS1_30default_config_static_selectorELNS0_4arch9wavefront6targetE0EEEvT1_
; %bb.0:
	.section	.rodata,"a",@progbits
	.p2align	6, 0x0
	.amdhsa_kernel _ZN7rocprim17ROCPRIM_400000_NS6detail17trampoline_kernelINS0_14default_configENS1_25transform_config_selectorIyLb0EEEZNS1_14transform_implILb0ES3_S5_PyN6thrust23THRUST_200600_302600_NS6detail15normal_iteratorINS9_10device_ptrIyEEEENS0_8identityIyEEEE10hipError_tT2_T3_mT4_P12ihipStream_tbEUlT_E_NS1_11comp_targetILNS1_3genE10ELNS1_11target_archE1200ELNS1_3gpuE4ELNS1_3repE0EEENS1_30default_config_static_selectorELNS0_4arch9wavefront6targetE0EEEvT1_
		.amdhsa_group_segment_fixed_size 0
		.amdhsa_private_segment_fixed_size 0
		.amdhsa_kernarg_size 40
		.amdhsa_user_sgpr_count 6
		.amdhsa_user_sgpr_private_segment_buffer 1
		.amdhsa_user_sgpr_dispatch_ptr 0
		.amdhsa_user_sgpr_queue_ptr 0
		.amdhsa_user_sgpr_kernarg_segment_ptr 1
		.amdhsa_user_sgpr_dispatch_id 0
		.amdhsa_user_sgpr_flat_scratch_init 0
		.amdhsa_user_sgpr_private_segment_size 0
		.amdhsa_wavefront_size32 1
		.amdhsa_uses_dynamic_stack 0
		.amdhsa_system_sgpr_private_segment_wavefront_offset 0
		.amdhsa_system_sgpr_workgroup_id_x 1
		.amdhsa_system_sgpr_workgroup_id_y 0
		.amdhsa_system_sgpr_workgroup_id_z 0
		.amdhsa_system_sgpr_workgroup_info 0
		.amdhsa_system_vgpr_workitem_id 0
		.amdhsa_next_free_vgpr 1
		.amdhsa_next_free_sgpr 1
		.amdhsa_reserve_vcc 0
		.amdhsa_reserve_flat_scratch 0
		.amdhsa_float_round_mode_32 0
		.amdhsa_float_round_mode_16_64 0
		.amdhsa_float_denorm_mode_32 3
		.amdhsa_float_denorm_mode_16_64 3
		.amdhsa_dx10_clamp 1
		.amdhsa_ieee_mode 1
		.amdhsa_fp16_overflow 0
		.amdhsa_workgroup_processor_mode 1
		.amdhsa_memory_ordered 1
		.amdhsa_forward_progress 1
		.amdhsa_shared_vgpr_count 0
		.amdhsa_exception_fp_ieee_invalid_op 0
		.amdhsa_exception_fp_denorm_src 0
		.amdhsa_exception_fp_ieee_div_zero 0
		.amdhsa_exception_fp_ieee_overflow 0
		.amdhsa_exception_fp_ieee_underflow 0
		.amdhsa_exception_fp_ieee_inexact 0
		.amdhsa_exception_int_div_zero 0
	.end_amdhsa_kernel
	.section	.text._ZN7rocprim17ROCPRIM_400000_NS6detail17trampoline_kernelINS0_14default_configENS1_25transform_config_selectorIyLb0EEEZNS1_14transform_implILb0ES3_S5_PyN6thrust23THRUST_200600_302600_NS6detail15normal_iteratorINS9_10device_ptrIyEEEENS0_8identityIyEEEE10hipError_tT2_T3_mT4_P12ihipStream_tbEUlT_E_NS1_11comp_targetILNS1_3genE10ELNS1_11target_archE1200ELNS1_3gpuE4ELNS1_3repE0EEENS1_30default_config_static_selectorELNS0_4arch9wavefront6targetE0EEEvT1_,"axG",@progbits,_ZN7rocprim17ROCPRIM_400000_NS6detail17trampoline_kernelINS0_14default_configENS1_25transform_config_selectorIyLb0EEEZNS1_14transform_implILb0ES3_S5_PyN6thrust23THRUST_200600_302600_NS6detail15normal_iteratorINS9_10device_ptrIyEEEENS0_8identityIyEEEE10hipError_tT2_T3_mT4_P12ihipStream_tbEUlT_E_NS1_11comp_targetILNS1_3genE10ELNS1_11target_archE1200ELNS1_3gpuE4ELNS1_3repE0EEENS1_30default_config_static_selectorELNS0_4arch9wavefront6targetE0EEEvT1_,comdat
.Lfunc_end78:
	.size	_ZN7rocprim17ROCPRIM_400000_NS6detail17trampoline_kernelINS0_14default_configENS1_25transform_config_selectorIyLb0EEEZNS1_14transform_implILb0ES3_S5_PyN6thrust23THRUST_200600_302600_NS6detail15normal_iteratorINS9_10device_ptrIyEEEENS0_8identityIyEEEE10hipError_tT2_T3_mT4_P12ihipStream_tbEUlT_E_NS1_11comp_targetILNS1_3genE10ELNS1_11target_archE1200ELNS1_3gpuE4ELNS1_3repE0EEENS1_30default_config_static_selectorELNS0_4arch9wavefront6targetE0EEEvT1_, .Lfunc_end78-_ZN7rocprim17ROCPRIM_400000_NS6detail17trampoline_kernelINS0_14default_configENS1_25transform_config_selectorIyLb0EEEZNS1_14transform_implILb0ES3_S5_PyN6thrust23THRUST_200600_302600_NS6detail15normal_iteratorINS9_10device_ptrIyEEEENS0_8identityIyEEEE10hipError_tT2_T3_mT4_P12ihipStream_tbEUlT_E_NS1_11comp_targetILNS1_3genE10ELNS1_11target_archE1200ELNS1_3gpuE4ELNS1_3repE0EEENS1_30default_config_static_selectorELNS0_4arch9wavefront6targetE0EEEvT1_
                                        ; -- End function
	.set _ZN7rocprim17ROCPRIM_400000_NS6detail17trampoline_kernelINS0_14default_configENS1_25transform_config_selectorIyLb0EEEZNS1_14transform_implILb0ES3_S5_PyN6thrust23THRUST_200600_302600_NS6detail15normal_iteratorINS9_10device_ptrIyEEEENS0_8identityIyEEEE10hipError_tT2_T3_mT4_P12ihipStream_tbEUlT_E_NS1_11comp_targetILNS1_3genE10ELNS1_11target_archE1200ELNS1_3gpuE4ELNS1_3repE0EEENS1_30default_config_static_selectorELNS0_4arch9wavefront6targetE0EEEvT1_.num_vgpr, 0
	.set _ZN7rocprim17ROCPRIM_400000_NS6detail17trampoline_kernelINS0_14default_configENS1_25transform_config_selectorIyLb0EEEZNS1_14transform_implILb0ES3_S5_PyN6thrust23THRUST_200600_302600_NS6detail15normal_iteratorINS9_10device_ptrIyEEEENS0_8identityIyEEEE10hipError_tT2_T3_mT4_P12ihipStream_tbEUlT_E_NS1_11comp_targetILNS1_3genE10ELNS1_11target_archE1200ELNS1_3gpuE4ELNS1_3repE0EEENS1_30default_config_static_selectorELNS0_4arch9wavefront6targetE0EEEvT1_.num_agpr, 0
	.set _ZN7rocprim17ROCPRIM_400000_NS6detail17trampoline_kernelINS0_14default_configENS1_25transform_config_selectorIyLb0EEEZNS1_14transform_implILb0ES3_S5_PyN6thrust23THRUST_200600_302600_NS6detail15normal_iteratorINS9_10device_ptrIyEEEENS0_8identityIyEEEE10hipError_tT2_T3_mT4_P12ihipStream_tbEUlT_E_NS1_11comp_targetILNS1_3genE10ELNS1_11target_archE1200ELNS1_3gpuE4ELNS1_3repE0EEENS1_30default_config_static_selectorELNS0_4arch9wavefront6targetE0EEEvT1_.numbered_sgpr, 0
	.set _ZN7rocprim17ROCPRIM_400000_NS6detail17trampoline_kernelINS0_14default_configENS1_25transform_config_selectorIyLb0EEEZNS1_14transform_implILb0ES3_S5_PyN6thrust23THRUST_200600_302600_NS6detail15normal_iteratorINS9_10device_ptrIyEEEENS0_8identityIyEEEE10hipError_tT2_T3_mT4_P12ihipStream_tbEUlT_E_NS1_11comp_targetILNS1_3genE10ELNS1_11target_archE1200ELNS1_3gpuE4ELNS1_3repE0EEENS1_30default_config_static_selectorELNS0_4arch9wavefront6targetE0EEEvT1_.num_named_barrier, 0
	.set _ZN7rocprim17ROCPRIM_400000_NS6detail17trampoline_kernelINS0_14default_configENS1_25transform_config_selectorIyLb0EEEZNS1_14transform_implILb0ES3_S5_PyN6thrust23THRUST_200600_302600_NS6detail15normal_iteratorINS9_10device_ptrIyEEEENS0_8identityIyEEEE10hipError_tT2_T3_mT4_P12ihipStream_tbEUlT_E_NS1_11comp_targetILNS1_3genE10ELNS1_11target_archE1200ELNS1_3gpuE4ELNS1_3repE0EEENS1_30default_config_static_selectorELNS0_4arch9wavefront6targetE0EEEvT1_.private_seg_size, 0
	.set _ZN7rocprim17ROCPRIM_400000_NS6detail17trampoline_kernelINS0_14default_configENS1_25transform_config_selectorIyLb0EEEZNS1_14transform_implILb0ES3_S5_PyN6thrust23THRUST_200600_302600_NS6detail15normal_iteratorINS9_10device_ptrIyEEEENS0_8identityIyEEEE10hipError_tT2_T3_mT4_P12ihipStream_tbEUlT_E_NS1_11comp_targetILNS1_3genE10ELNS1_11target_archE1200ELNS1_3gpuE4ELNS1_3repE0EEENS1_30default_config_static_selectorELNS0_4arch9wavefront6targetE0EEEvT1_.uses_vcc, 0
	.set _ZN7rocprim17ROCPRIM_400000_NS6detail17trampoline_kernelINS0_14default_configENS1_25transform_config_selectorIyLb0EEEZNS1_14transform_implILb0ES3_S5_PyN6thrust23THRUST_200600_302600_NS6detail15normal_iteratorINS9_10device_ptrIyEEEENS0_8identityIyEEEE10hipError_tT2_T3_mT4_P12ihipStream_tbEUlT_E_NS1_11comp_targetILNS1_3genE10ELNS1_11target_archE1200ELNS1_3gpuE4ELNS1_3repE0EEENS1_30default_config_static_selectorELNS0_4arch9wavefront6targetE0EEEvT1_.uses_flat_scratch, 0
	.set _ZN7rocprim17ROCPRIM_400000_NS6detail17trampoline_kernelINS0_14default_configENS1_25transform_config_selectorIyLb0EEEZNS1_14transform_implILb0ES3_S5_PyN6thrust23THRUST_200600_302600_NS6detail15normal_iteratorINS9_10device_ptrIyEEEENS0_8identityIyEEEE10hipError_tT2_T3_mT4_P12ihipStream_tbEUlT_E_NS1_11comp_targetILNS1_3genE10ELNS1_11target_archE1200ELNS1_3gpuE4ELNS1_3repE0EEENS1_30default_config_static_selectorELNS0_4arch9wavefront6targetE0EEEvT1_.has_dyn_sized_stack, 0
	.set _ZN7rocprim17ROCPRIM_400000_NS6detail17trampoline_kernelINS0_14default_configENS1_25transform_config_selectorIyLb0EEEZNS1_14transform_implILb0ES3_S5_PyN6thrust23THRUST_200600_302600_NS6detail15normal_iteratorINS9_10device_ptrIyEEEENS0_8identityIyEEEE10hipError_tT2_T3_mT4_P12ihipStream_tbEUlT_E_NS1_11comp_targetILNS1_3genE10ELNS1_11target_archE1200ELNS1_3gpuE4ELNS1_3repE0EEENS1_30default_config_static_selectorELNS0_4arch9wavefront6targetE0EEEvT1_.has_recursion, 0
	.set _ZN7rocprim17ROCPRIM_400000_NS6detail17trampoline_kernelINS0_14default_configENS1_25transform_config_selectorIyLb0EEEZNS1_14transform_implILb0ES3_S5_PyN6thrust23THRUST_200600_302600_NS6detail15normal_iteratorINS9_10device_ptrIyEEEENS0_8identityIyEEEE10hipError_tT2_T3_mT4_P12ihipStream_tbEUlT_E_NS1_11comp_targetILNS1_3genE10ELNS1_11target_archE1200ELNS1_3gpuE4ELNS1_3repE0EEENS1_30default_config_static_selectorELNS0_4arch9wavefront6targetE0EEEvT1_.has_indirect_call, 0
	.section	.AMDGPU.csdata,"",@progbits
; Kernel info:
; codeLenInByte = 0
; TotalNumSgprs: 0
; NumVgprs: 0
; ScratchSize: 0
; MemoryBound: 0
; FloatMode: 240
; IeeeMode: 1
; LDSByteSize: 0 bytes/workgroup (compile time only)
; SGPRBlocks: 0
; VGPRBlocks: 0
; NumSGPRsForWavesPerEU: 1
; NumVGPRsForWavesPerEU: 1
; Occupancy: 16
; WaveLimiterHint : 0
; COMPUTE_PGM_RSRC2:SCRATCH_EN: 0
; COMPUTE_PGM_RSRC2:USER_SGPR: 6
; COMPUTE_PGM_RSRC2:TRAP_HANDLER: 0
; COMPUTE_PGM_RSRC2:TGID_X_EN: 1
; COMPUTE_PGM_RSRC2:TGID_Y_EN: 0
; COMPUTE_PGM_RSRC2:TGID_Z_EN: 0
; COMPUTE_PGM_RSRC2:TIDIG_COMP_CNT: 0
	.section	.text._ZN7rocprim17ROCPRIM_400000_NS6detail17trampoline_kernelINS0_14default_configENS1_25transform_config_selectorIyLb0EEEZNS1_14transform_implILb0ES3_S5_PyN6thrust23THRUST_200600_302600_NS6detail15normal_iteratorINS9_10device_ptrIyEEEENS0_8identityIyEEEE10hipError_tT2_T3_mT4_P12ihipStream_tbEUlT_E_NS1_11comp_targetILNS1_3genE9ELNS1_11target_archE1100ELNS1_3gpuE3ELNS1_3repE0EEENS1_30default_config_static_selectorELNS0_4arch9wavefront6targetE0EEEvT1_,"axG",@progbits,_ZN7rocprim17ROCPRIM_400000_NS6detail17trampoline_kernelINS0_14default_configENS1_25transform_config_selectorIyLb0EEEZNS1_14transform_implILb0ES3_S5_PyN6thrust23THRUST_200600_302600_NS6detail15normal_iteratorINS9_10device_ptrIyEEEENS0_8identityIyEEEE10hipError_tT2_T3_mT4_P12ihipStream_tbEUlT_E_NS1_11comp_targetILNS1_3genE9ELNS1_11target_archE1100ELNS1_3gpuE3ELNS1_3repE0EEENS1_30default_config_static_selectorELNS0_4arch9wavefront6targetE0EEEvT1_,comdat
	.protected	_ZN7rocprim17ROCPRIM_400000_NS6detail17trampoline_kernelINS0_14default_configENS1_25transform_config_selectorIyLb0EEEZNS1_14transform_implILb0ES3_S5_PyN6thrust23THRUST_200600_302600_NS6detail15normal_iteratorINS9_10device_ptrIyEEEENS0_8identityIyEEEE10hipError_tT2_T3_mT4_P12ihipStream_tbEUlT_E_NS1_11comp_targetILNS1_3genE9ELNS1_11target_archE1100ELNS1_3gpuE3ELNS1_3repE0EEENS1_30default_config_static_selectorELNS0_4arch9wavefront6targetE0EEEvT1_ ; -- Begin function _ZN7rocprim17ROCPRIM_400000_NS6detail17trampoline_kernelINS0_14default_configENS1_25transform_config_selectorIyLb0EEEZNS1_14transform_implILb0ES3_S5_PyN6thrust23THRUST_200600_302600_NS6detail15normal_iteratorINS9_10device_ptrIyEEEENS0_8identityIyEEEE10hipError_tT2_T3_mT4_P12ihipStream_tbEUlT_E_NS1_11comp_targetILNS1_3genE9ELNS1_11target_archE1100ELNS1_3gpuE3ELNS1_3repE0EEENS1_30default_config_static_selectorELNS0_4arch9wavefront6targetE0EEEvT1_
	.globl	_ZN7rocprim17ROCPRIM_400000_NS6detail17trampoline_kernelINS0_14default_configENS1_25transform_config_selectorIyLb0EEEZNS1_14transform_implILb0ES3_S5_PyN6thrust23THRUST_200600_302600_NS6detail15normal_iteratorINS9_10device_ptrIyEEEENS0_8identityIyEEEE10hipError_tT2_T3_mT4_P12ihipStream_tbEUlT_E_NS1_11comp_targetILNS1_3genE9ELNS1_11target_archE1100ELNS1_3gpuE3ELNS1_3repE0EEENS1_30default_config_static_selectorELNS0_4arch9wavefront6targetE0EEEvT1_
	.p2align	8
	.type	_ZN7rocprim17ROCPRIM_400000_NS6detail17trampoline_kernelINS0_14default_configENS1_25transform_config_selectorIyLb0EEEZNS1_14transform_implILb0ES3_S5_PyN6thrust23THRUST_200600_302600_NS6detail15normal_iteratorINS9_10device_ptrIyEEEENS0_8identityIyEEEE10hipError_tT2_T3_mT4_P12ihipStream_tbEUlT_E_NS1_11comp_targetILNS1_3genE9ELNS1_11target_archE1100ELNS1_3gpuE3ELNS1_3repE0EEENS1_30default_config_static_selectorELNS0_4arch9wavefront6targetE0EEEvT1_,@function
_ZN7rocprim17ROCPRIM_400000_NS6detail17trampoline_kernelINS0_14default_configENS1_25transform_config_selectorIyLb0EEEZNS1_14transform_implILb0ES3_S5_PyN6thrust23THRUST_200600_302600_NS6detail15normal_iteratorINS9_10device_ptrIyEEEENS0_8identityIyEEEE10hipError_tT2_T3_mT4_P12ihipStream_tbEUlT_E_NS1_11comp_targetILNS1_3genE9ELNS1_11target_archE1100ELNS1_3gpuE3ELNS1_3repE0EEENS1_30default_config_static_selectorELNS0_4arch9wavefront6targetE0EEEvT1_: ; @_ZN7rocprim17ROCPRIM_400000_NS6detail17trampoline_kernelINS0_14default_configENS1_25transform_config_selectorIyLb0EEEZNS1_14transform_implILb0ES3_S5_PyN6thrust23THRUST_200600_302600_NS6detail15normal_iteratorINS9_10device_ptrIyEEEENS0_8identityIyEEEE10hipError_tT2_T3_mT4_P12ihipStream_tbEUlT_E_NS1_11comp_targetILNS1_3genE9ELNS1_11target_archE1100ELNS1_3gpuE3ELNS1_3repE0EEENS1_30default_config_static_selectorELNS0_4arch9wavefront6targetE0EEEvT1_
; %bb.0:
	.section	.rodata,"a",@progbits
	.p2align	6, 0x0
	.amdhsa_kernel _ZN7rocprim17ROCPRIM_400000_NS6detail17trampoline_kernelINS0_14default_configENS1_25transform_config_selectorIyLb0EEEZNS1_14transform_implILb0ES3_S5_PyN6thrust23THRUST_200600_302600_NS6detail15normal_iteratorINS9_10device_ptrIyEEEENS0_8identityIyEEEE10hipError_tT2_T3_mT4_P12ihipStream_tbEUlT_E_NS1_11comp_targetILNS1_3genE9ELNS1_11target_archE1100ELNS1_3gpuE3ELNS1_3repE0EEENS1_30default_config_static_selectorELNS0_4arch9wavefront6targetE0EEEvT1_
		.amdhsa_group_segment_fixed_size 0
		.amdhsa_private_segment_fixed_size 0
		.amdhsa_kernarg_size 40
		.amdhsa_user_sgpr_count 6
		.amdhsa_user_sgpr_private_segment_buffer 1
		.amdhsa_user_sgpr_dispatch_ptr 0
		.amdhsa_user_sgpr_queue_ptr 0
		.amdhsa_user_sgpr_kernarg_segment_ptr 1
		.amdhsa_user_sgpr_dispatch_id 0
		.amdhsa_user_sgpr_flat_scratch_init 0
		.amdhsa_user_sgpr_private_segment_size 0
		.amdhsa_wavefront_size32 1
		.amdhsa_uses_dynamic_stack 0
		.amdhsa_system_sgpr_private_segment_wavefront_offset 0
		.amdhsa_system_sgpr_workgroup_id_x 1
		.amdhsa_system_sgpr_workgroup_id_y 0
		.amdhsa_system_sgpr_workgroup_id_z 0
		.amdhsa_system_sgpr_workgroup_info 0
		.amdhsa_system_vgpr_workitem_id 0
		.amdhsa_next_free_vgpr 1
		.amdhsa_next_free_sgpr 1
		.amdhsa_reserve_vcc 0
		.amdhsa_reserve_flat_scratch 0
		.amdhsa_float_round_mode_32 0
		.amdhsa_float_round_mode_16_64 0
		.amdhsa_float_denorm_mode_32 3
		.amdhsa_float_denorm_mode_16_64 3
		.amdhsa_dx10_clamp 1
		.amdhsa_ieee_mode 1
		.amdhsa_fp16_overflow 0
		.amdhsa_workgroup_processor_mode 1
		.amdhsa_memory_ordered 1
		.amdhsa_forward_progress 1
		.amdhsa_shared_vgpr_count 0
		.amdhsa_exception_fp_ieee_invalid_op 0
		.amdhsa_exception_fp_denorm_src 0
		.amdhsa_exception_fp_ieee_div_zero 0
		.amdhsa_exception_fp_ieee_overflow 0
		.amdhsa_exception_fp_ieee_underflow 0
		.amdhsa_exception_fp_ieee_inexact 0
		.amdhsa_exception_int_div_zero 0
	.end_amdhsa_kernel
	.section	.text._ZN7rocprim17ROCPRIM_400000_NS6detail17trampoline_kernelINS0_14default_configENS1_25transform_config_selectorIyLb0EEEZNS1_14transform_implILb0ES3_S5_PyN6thrust23THRUST_200600_302600_NS6detail15normal_iteratorINS9_10device_ptrIyEEEENS0_8identityIyEEEE10hipError_tT2_T3_mT4_P12ihipStream_tbEUlT_E_NS1_11comp_targetILNS1_3genE9ELNS1_11target_archE1100ELNS1_3gpuE3ELNS1_3repE0EEENS1_30default_config_static_selectorELNS0_4arch9wavefront6targetE0EEEvT1_,"axG",@progbits,_ZN7rocprim17ROCPRIM_400000_NS6detail17trampoline_kernelINS0_14default_configENS1_25transform_config_selectorIyLb0EEEZNS1_14transform_implILb0ES3_S5_PyN6thrust23THRUST_200600_302600_NS6detail15normal_iteratorINS9_10device_ptrIyEEEENS0_8identityIyEEEE10hipError_tT2_T3_mT4_P12ihipStream_tbEUlT_E_NS1_11comp_targetILNS1_3genE9ELNS1_11target_archE1100ELNS1_3gpuE3ELNS1_3repE0EEENS1_30default_config_static_selectorELNS0_4arch9wavefront6targetE0EEEvT1_,comdat
.Lfunc_end79:
	.size	_ZN7rocprim17ROCPRIM_400000_NS6detail17trampoline_kernelINS0_14default_configENS1_25transform_config_selectorIyLb0EEEZNS1_14transform_implILb0ES3_S5_PyN6thrust23THRUST_200600_302600_NS6detail15normal_iteratorINS9_10device_ptrIyEEEENS0_8identityIyEEEE10hipError_tT2_T3_mT4_P12ihipStream_tbEUlT_E_NS1_11comp_targetILNS1_3genE9ELNS1_11target_archE1100ELNS1_3gpuE3ELNS1_3repE0EEENS1_30default_config_static_selectorELNS0_4arch9wavefront6targetE0EEEvT1_, .Lfunc_end79-_ZN7rocprim17ROCPRIM_400000_NS6detail17trampoline_kernelINS0_14default_configENS1_25transform_config_selectorIyLb0EEEZNS1_14transform_implILb0ES3_S5_PyN6thrust23THRUST_200600_302600_NS6detail15normal_iteratorINS9_10device_ptrIyEEEENS0_8identityIyEEEE10hipError_tT2_T3_mT4_P12ihipStream_tbEUlT_E_NS1_11comp_targetILNS1_3genE9ELNS1_11target_archE1100ELNS1_3gpuE3ELNS1_3repE0EEENS1_30default_config_static_selectorELNS0_4arch9wavefront6targetE0EEEvT1_
                                        ; -- End function
	.set _ZN7rocprim17ROCPRIM_400000_NS6detail17trampoline_kernelINS0_14default_configENS1_25transform_config_selectorIyLb0EEEZNS1_14transform_implILb0ES3_S5_PyN6thrust23THRUST_200600_302600_NS6detail15normal_iteratorINS9_10device_ptrIyEEEENS0_8identityIyEEEE10hipError_tT2_T3_mT4_P12ihipStream_tbEUlT_E_NS1_11comp_targetILNS1_3genE9ELNS1_11target_archE1100ELNS1_3gpuE3ELNS1_3repE0EEENS1_30default_config_static_selectorELNS0_4arch9wavefront6targetE0EEEvT1_.num_vgpr, 0
	.set _ZN7rocprim17ROCPRIM_400000_NS6detail17trampoline_kernelINS0_14default_configENS1_25transform_config_selectorIyLb0EEEZNS1_14transform_implILb0ES3_S5_PyN6thrust23THRUST_200600_302600_NS6detail15normal_iteratorINS9_10device_ptrIyEEEENS0_8identityIyEEEE10hipError_tT2_T3_mT4_P12ihipStream_tbEUlT_E_NS1_11comp_targetILNS1_3genE9ELNS1_11target_archE1100ELNS1_3gpuE3ELNS1_3repE0EEENS1_30default_config_static_selectorELNS0_4arch9wavefront6targetE0EEEvT1_.num_agpr, 0
	.set _ZN7rocprim17ROCPRIM_400000_NS6detail17trampoline_kernelINS0_14default_configENS1_25transform_config_selectorIyLb0EEEZNS1_14transform_implILb0ES3_S5_PyN6thrust23THRUST_200600_302600_NS6detail15normal_iteratorINS9_10device_ptrIyEEEENS0_8identityIyEEEE10hipError_tT2_T3_mT4_P12ihipStream_tbEUlT_E_NS1_11comp_targetILNS1_3genE9ELNS1_11target_archE1100ELNS1_3gpuE3ELNS1_3repE0EEENS1_30default_config_static_selectorELNS0_4arch9wavefront6targetE0EEEvT1_.numbered_sgpr, 0
	.set _ZN7rocprim17ROCPRIM_400000_NS6detail17trampoline_kernelINS0_14default_configENS1_25transform_config_selectorIyLb0EEEZNS1_14transform_implILb0ES3_S5_PyN6thrust23THRUST_200600_302600_NS6detail15normal_iteratorINS9_10device_ptrIyEEEENS0_8identityIyEEEE10hipError_tT2_T3_mT4_P12ihipStream_tbEUlT_E_NS1_11comp_targetILNS1_3genE9ELNS1_11target_archE1100ELNS1_3gpuE3ELNS1_3repE0EEENS1_30default_config_static_selectorELNS0_4arch9wavefront6targetE0EEEvT1_.num_named_barrier, 0
	.set _ZN7rocprim17ROCPRIM_400000_NS6detail17trampoline_kernelINS0_14default_configENS1_25transform_config_selectorIyLb0EEEZNS1_14transform_implILb0ES3_S5_PyN6thrust23THRUST_200600_302600_NS6detail15normal_iteratorINS9_10device_ptrIyEEEENS0_8identityIyEEEE10hipError_tT2_T3_mT4_P12ihipStream_tbEUlT_E_NS1_11comp_targetILNS1_3genE9ELNS1_11target_archE1100ELNS1_3gpuE3ELNS1_3repE0EEENS1_30default_config_static_selectorELNS0_4arch9wavefront6targetE0EEEvT1_.private_seg_size, 0
	.set _ZN7rocprim17ROCPRIM_400000_NS6detail17trampoline_kernelINS0_14default_configENS1_25transform_config_selectorIyLb0EEEZNS1_14transform_implILb0ES3_S5_PyN6thrust23THRUST_200600_302600_NS6detail15normal_iteratorINS9_10device_ptrIyEEEENS0_8identityIyEEEE10hipError_tT2_T3_mT4_P12ihipStream_tbEUlT_E_NS1_11comp_targetILNS1_3genE9ELNS1_11target_archE1100ELNS1_3gpuE3ELNS1_3repE0EEENS1_30default_config_static_selectorELNS0_4arch9wavefront6targetE0EEEvT1_.uses_vcc, 0
	.set _ZN7rocprim17ROCPRIM_400000_NS6detail17trampoline_kernelINS0_14default_configENS1_25transform_config_selectorIyLb0EEEZNS1_14transform_implILb0ES3_S5_PyN6thrust23THRUST_200600_302600_NS6detail15normal_iteratorINS9_10device_ptrIyEEEENS0_8identityIyEEEE10hipError_tT2_T3_mT4_P12ihipStream_tbEUlT_E_NS1_11comp_targetILNS1_3genE9ELNS1_11target_archE1100ELNS1_3gpuE3ELNS1_3repE0EEENS1_30default_config_static_selectorELNS0_4arch9wavefront6targetE0EEEvT1_.uses_flat_scratch, 0
	.set _ZN7rocprim17ROCPRIM_400000_NS6detail17trampoline_kernelINS0_14default_configENS1_25transform_config_selectorIyLb0EEEZNS1_14transform_implILb0ES3_S5_PyN6thrust23THRUST_200600_302600_NS6detail15normal_iteratorINS9_10device_ptrIyEEEENS0_8identityIyEEEE10hipError_tT2_T3_mT4_P12ihipStream_tbEUlT_E_NS1_11comp_targetILNS1_3genE9ELNS1_11target_archE1100ELNS1_3gpuE3ELNS1_3repE0EEENS1_30default_config_static_selectorELNS0_4arch9wavefront6targetE0EEEvT1_.has_dyn_sized_stack, 0
	.set _ZN7rocprim17ROCPRIM_400000_NS6detail17trampoline_kernelINS0_14default_configENS1_25transform_config_selectorIyLb0EEEZNS1_14transform_implILb0ES3_S5_PyN6thrust23THRUST_200600_302600_NS6detail15normal_iteratorINS9_10device_ptrIyEEEENS0_8identityIyEEEE10hipError_tT2_T3_mT4_P12ihipStream_tbEUlT_E_NS1_11comp_targetILNS1_3genE9ELNS1_11target_archE1100ELNS1_3gpuE3ELNS1_3repE0EEENS1_30default_config_static_selectorELNS0_4arch9wavefront6targetE0EEEvT1_.has_recursion, 0
	.set _ZN7rocprim17ROCPRIM_400000_NS6detail17trampoline_kernelINS0_14default_configENS1_25transform_config_selectorIyLb0EEEZNS1_14transform_implILb0ES3_S5_PyN6thrust23THRUST_200600_302600_NS6detail15normal_iteratorINS9_10device_ptrIyEEEENS0_8identityIyEEEE10hipError_tT2_T3_mT4_P12ihipStream_tbEUlT_E_NS1_11comp_targetILNS1_3genE9ELNS1_11target_archE1100ELNS1_3gpuE3ELNS1_3repE0EEENS1_30default_config_static_selectorELNS0_4arch9wavefront6targetE0EEEvT1_.has_indirect_call, 0
	.section	.AMDGPU.csdata,"",@progbits
; Kernel info:
; codeLenInByte = 0
; TotalNumSgprs: 0
; NumVgprs: 0
; ScratchSize: 0
; MemoryBound: 0
; FloatMode: 240
; IeeeMode: 1
; LDSByteSize: 0 bytes/workgroup (compile time only)
; SGPRBlocks: 0
; VGPRBlocks: 0
; NumSGPRsForWavesPerEU: 1
; NumVGPRsForWavesPerEU: 1
; Occupancy: 16
; WaveLimiterHint : 0
; COMPUTE_PGM_RSRC2:SCRATCH_EN: 0
; COMPUTE_PGM_RSRC2:USER_SGPR: 6
; COMPUTE_PGM_RSRC2:TRAP_HANDLER: 0
; COMPUTE_PGM_RSRC2:TGID_X_EN: 1
; COMPUTE_PGM_RSRC2:TGID_Y_EN: 0
; COMPUTE_PGM_RSRC2:TGID_Z_EN: 0
; COMPUTE_PGM_RSRC2:TIDIG_COMP_CNT: 0
	.section	.text._ZN7rocprim17ROCPRIM_400000_NS6detail17trampoline_kernelINS0_14default_configENS1_25transform_config_selectorIyLb0EEEZNS1_14transform_implILb0ES3_S5_PyN6thrust23THRUST_200600_302600_NS6detail15normal_iteratorINS9_10device_ptrIyEEEENS0_8identityIyEEEE10hipError_tT2_T3_mT4_P12ihipStream_tbEUlT_E_NS1_11comp_targetILNS1_3genE8ELNS1_11target_archE1030ELNS1_3gpuE2ELNS1_3repE0EEENS1_30default_config_static_selectorELNS0_4arch9wavefront6targetE0EEEvT1_,"axG",@progbits,_ZN7rocprim17ROCPRIM_400000_NS6detail17trampoline_kernelINS0_14default_configENS1_25transform_config_selectorIyLb0EEEZNS1_14transform_implILb0ES3_S5_PyN6thrust23THRUST_200600_302600_NS6detail15normal_iteratorINS9_10device_ptrIyEEEENS0_8identityIyEEEE10hipError_tT2_T3_mT4_P12ihipStream_tbEUlT_E_NS1_11comp_targetILNS1_3genE8ELNS1_11target_archE1030ELNS1_3gpuE2ELNS1_3repE0EEENS1_30default_config_static_selectorELNS0_4arch9wavefront6targetE0EEEvT1_,comdat
	.protected	_ZN7rocprim17ROCPRIM_400000_NS6detail17trampoline_kernelINS0_14default_configENS1_25transform_config_selectorIyLb0EEEZNS1_14transform_implILb0ES3_S5_PyN6thrust23THRUST_200600_302600_NS6detail15normal_iteratorINS9_10device_ptrIyEEEENS0_8identityIyEEEE10hipError_tT2_T3_mT4_P12ihipStream_tbEUlT_E_NS1_11comp_targetILNS1_3genE8ELNS1_11target_archE1030ELNS1_3gpuE2ELNS1_3repE0EEENS1_30default_config_static_selectorELNS0_4arch9wavefront6targetE0EEEvT1_ ; -- Begin function _ZN7rocprim17ROCPRIM_400000_NS6detail17trampoline_kernelINS0_14default_configENS1_25transform_config_selectorIyLb0EEEZNS1_14transform_implILb0ES3_S5_PyN6thrust23THRUST_200600_302600_NS6detail15normal_iteratorINS9_10device_ptrIyEEEENS0_8identityIyEEEE10hipError_tT2_T3_mT4_P12ihipStream_tbEUlT_E_NS1_11comp_targetILNS1_3genE8ELNS1_11target_archE1030ELNS1_3gpuE2ELNS1_3repE0EEENS1_30default_config_static_selectorELNS0_4arch9wavefront6targetE0EEEvT1_
	.globl	_ZN7rocprim17ROCPRIM_400000_NS6detail17trampoline_kernelINS0_14default_configENS1_25transform_config_selectorIyLb0EEEZNS1_14transform_implILb0ES3_S5_PyN6thrust23THRUST_200600_302600_NS6detail15normal_iteratorINS9_10device_ptrIyEEEENS0_8identityIyEEEE10hipError_tT2_T3_mT4_P12ihipStream_tbEUlT_E_NS1_11comp_targetILNS1_3genE8ELNS1_11target_archE1030ELNS1_3gpuE2ELNS1_3repE0EEENS1_30default_config_static_selectorELNS0_4arch9wavefront6targetE0EEEvT1_
	.p2align	8
	.type	_ZN7rocprim17ROCPRIM_400000_NS6detail17trampoline_kernelINS0_14default_configENS1_25transform_config_selectorIyLb0EEEZNS1_14transform_implILb0ES3_S5_PyN6thrust23THRUST_200600_302600_NS6detail15normal_iteratorINS9_10device_ptrIyEEEENS0_8identityIyEEEE10hipError_tT2_T3_mT4_P12ihipStream_tbEUlT_E_NS1_11comp_targetILNS1_3genE8ELNS1_11target_archE1030ELNS1_3gpuE2ELNS1_3repE0EEENS1_30default_config_static_selectorELNS0_4arch9wavefront6targetE0EEEvT1_,@function
_ZN7rocprim17ROCPRIM_400000_NS6detail17trampoline_kernelINS0_14default_configENS1_25transform_config_selectorIyLb0EEEZNS1_14transform_implILb0ES3_S5_PyN6thrust23THRUST_200600_302600_NS6detail15normal_iteratorINS9_10device_ptrIyEEEENS0_8identityIyEEEE10hipError_tT2_T3_mT4_P12ihipStream_tbEUlT_E_NS1_11comp_targetILNS1_3genE8ELNS1_11target_archE1030ELNS1_3gpuE2ELNS1_3repE0EEENS1_30default_config_static_selectorELNS0_4arch9wavefront6targetE0EEEvT1_: ; @_ZN7rocprim17ROCPRIM_400000_NS6detail17trampoline_kernelINS0_14default_configENS1_25transform_config_selectorIyLb0EEEZNS1_14transform_implILb0ES3_S5_PyN6thrust23THRUST_200600_302600_NS6detail15normal_iteratorINS9_10device_ptrIyEEEENS0_8identityIyEEEE10hipError_tT2_T3_mT4_P12ihipStream_tbEUlT_E_NS1_11comp_targetILNS1_3genE8ELNS1_11target_archE1030ELNS1_3gpuE2ELNS1_3repE0EEENS1_30default_config_static_selectorELNS0_4arch9wavefront6targetE0EEEvT1_
; %bb.0:
	s_clause 0x1
	s_load_dwordx8 s[8:15], s[4:5], 0x0
	s_load_dword s4, s[4:5], 0x28
	s_mov_b32 s1, 0
	v_lshlrev_b32_e32 v7, 3, v0
	s_waitcnt lgkmcnt(0)
	s_lshl_b64 s[2:3], s[10:11], 3
	s_add_u32 s5, s8, s2
	s_addc_u32 s9, s9, s3
	s_add_u32 s7, s14, s2
	s_addc_u32 s8, s15, s3
	s_lshl_b32 s0, s6, 10
	s_add_i32 s10, s4, -1
	s_lshl_b64 s[2:3], s[0:1], 3
	s_add_u32 s4, s5, s2
	s_addc_u32 s5, s9, s3
	s_cmp_lg_u32 s6, s10
	s_mov_b32 s6, -1
	s_cbranch_scc0 .LBB80_2
; %bb.1:
	v_add_co_u32 v1, s1, s4, v7
	v_add_co_ci_u32_e64 v2, null, s5, 0, s1
	s_add_u32 s1, s7, s2
	v_add_co_u32 v1, vcc_lo, 0x1000, v1
	v_add_co_ci_u32_e64 v2, null, 0, v2, vcc_lo
	s_addc_u32 s6, s8, s3
	s_clause 0x1
	global_load_dwordx2 v[3:4], v7, s[4:5]
	global_load_dwordx2 v[5:6], v[1:2], off
	v_add_co_u32 v1, s1, s1, v7
	v_add_co_ci_u32_e64 v2, null, s6, 0, s1
	s_mov_b32 s1, -1
	s_waitcnt vmcnt(1)
	flat_store_dwordx2 v[1:2], v[3:4]
	s_cbranch_execz .LBB80_3
	s_branch .LBB80_12
.LBB80_2:
                                        ; implicit-def: $vgpr5_vgpr6
                                        ; implicit-def: $vgpr1_vgpr2
	s_andn2_b32 vcc_lo, exec_lo, s6
	s_cbranch_vccnz .LBB80_12
.LBB80_3:
	v_mov_b32_e32 v1, 0
	s_sub_i32 s0, s12, s0
	v_cmp_gt_u32_e32 vcc_lo, s0, v0
	v_mov_b32_e32 v2, v1
	v_mov_b32_e32 v3, v1
	;; [unrolled: 1-line block ×3, first 2 shown]
	s_and_saveexec_b32 s6, vcc_lo
	s_cbranch_execz .LBB80_5
; %bb.4:
	global_load_dwordx2 v[2:3], v7, s[4:5]
	s_waitcnt vmcnt(1)
	v_mov_b32_e32 v5, v1
	v_mov_b32_e32 v4, v1
	s_waitcnt vmcnt(0)
	v_mov_b32_e32 v1, v2
	v_mov_b32_e32 v2, v3
	;; [unrolled: 1-line block ×4, first 2 shown]
.LBB80_5:
	s_or_b32 exec_lo, exec_lo, s6
	v_or_b32_e32 v0, 0x200, v0
	v_cmp_gt_u32_e64 s0, s0, v0
	s_and_saveexec_b32 s6, s0
	s_cbranch_execz .LBB80_7
; %bb.6:
	v_lshlrev_b32_e32 v0, 3, v0
	global_load_dwordx2 v[3:4], v0, s[4:5]
.LBB80_7:
	s_or_b32 exec_lo, exec_lo, s6
	s_add_u32 s2, s7, s2
	s_waitcnt vmcnt(0)
	v_cndmask_b32_e32 v5, 0, v1, vcc_lo
	s_addc_u32 s3, s8, s3
	v_add_co_u32 v1, s2, s2, v7
	v_cndmask_b32_e32 v6, 0, v2, vcc_lo
	v_add_co_ci_u32_e64 v2, null, s3, 0, s2
	s_and_saveexec_b32 s2, vcc_lo
	s_cbranch_execz .LBB80_9
; %bb.8:
	flat_store_dwordx2 v[1:2], v[5:6]
.LBB80_9:
	s_or_b32 exec_lo, exec_lo, s2
                                        ; implicit-def: $vgpr5_vgpr6
	s_and_saveexec_b32 s2, s0
; %bb.10:
	v_cndmask_b32_e64 v6, 0, v4, s0
	v_cndmask_b32_e64 v5, 0, v3, s0
	s_or_b32 s1, s1, exec_lo
; %bb.11:
	s_or_b32 exec_lo, exec_lo, s2
.LBB80_12:
	s_and_saveexec_b32 s0, s1
	s_cbranch_execnz .LBB80_14
; %bb.13:
	s_endpgm
.LBB80_14:
	v_add_co_u32 v0, vcc_lo, 0x1000, v1
	v_add_co_ci_u32_e64 v1, null, 0, v2, vcc_lo
	s_waitcnt vmcnt(0)
	flat_store_dwordx2 v[0:1], v[5:6]
	s_endpgm
	.section	.rodata,"a",@progbits
	.p2align	6, 0x0
	.amdhsa_kernel _ZN7rocprim17ROCPRIM_400000_NS6detail17trampoline_kernelINS0_14default_configENS1_25transform_config_selectorIyLb0EEEZNS1_14transform_implILb0ES3_S5_PyN6thrust23THRUST_200600_302600_NS6detail15normal_iteratorINS9_10device_ptrIyEEEENS0_8identityIyEEEE10hipError_tT2_T3_mT4_P12ihipStream_tbEUlT_E_NS1_11comp_targetILNS1_3genE8ELNS1_11target_archE1030ELNS1_3gpuE2ELNS1_3repE0EEENS1_30default_config_static_selectorELNS0_4arch9wavefront6targetE0EEEvT1_
		.amdhsa_group_segment_fixed_size 0
		.amdhsa_private_segment_fixed_size 0
		.amdhsa_kernarg_size 296
		.amdhsa_user_sgpr_count 6
		.amdhsa_user_sgpr_private_segment_buffer 1
		.amdhsa_user_sgpr_dispatch_ptr 0
		.amdhsa_user_sgpr_queue_ptr 0
		.amdhsa_user_sgpr_kernarg_segment_ptr 1
		.amdhsa_user_sgpr_dispatch_id 0
		.amdhsa_user_sgpr_flat_scratch_init 0
		.amdhsa_user_sgpr_private_segment_size 0
		.amdhsa_wavefront_size32 1
		.amdhsa_uses_dynamic_stack 0
		.amdhsa_system_sgpr_private_segment_wavefront_offset 0
		.amdhsa_system_sgpr_workgroup_id_x 1
		.amdhsa_system_sgpr_workgroup_id_y 0
		.amdhsa_system_sgpr_workgroup_id_z 0
		.amdhsa_system_sgpr_workgroup_info 0
		.amdhsa_system_vgpr_workitem_id 0
		.amdhsa_next_free_vgpr 8
		.amdhsa_next_free_sgpr 16
		.amdhsa_reserve_vcc 1
		.amdhsa_reserve_flat_scratch 0
		.amdhsa_float_round_mode_32 0
		.amdhsa_float_round_mode_16_64 0
		.amdhsa_float_denorm_mode_32 3
		.amdhsa_float_denorm_mode_16_64 3
		.amdhsa_dx10_clamp 1
		.amdhsa_ieee_mode 1
		.amdhsa_fp16_overflow 0
		.amdhsa_workgroup_processor_mode 1
		.amdhsa_memory_ordered 1
		.amdhsa_forward_progress 1
		.amdhsa_shared_vgpr_count 0
		.amdhsa_exception_fp_ieee_invalid_op 0
		.amdhsa_exception_fp_denorm_src 0
		.amdhsa_exception_fp_ieee_div_zero 0
		.amdhsa_exception_fp_ieee_overflow 0
		.amdhsa_exception_fp_ieee_underflow 0
		.amdhsa_exception_fp_ieee_inexact 0
		.amdhsa_exception_int_div_zero 0
	.end_amdhsa_kernel
	.section	.text._ZN7rocprim17ROCPRIM_400000_NS6detail17trampoline_kernelINS0_14default_configENS1_25transform_config_selectorIyLb0EEEZNS1_14transform_implILb0ES3_S5_PyN6thrust23THRUST_200600_302600_NS6detail15normal_iteratorINS9_10device_ptrIyEEEENS0_8identityIyEEEE10hipError_tT2_T3_mT4_P12ihipStream_tbEUlT_E_NS1_11comp_targetILNS1_3genE8ELNS1_11target_archE1030ELNS1_3gpuE2ELNS1_3repE0EEENS1_30default_config_static_selectorELNS0_4arch9wavefront6targetE0EEEvT1_,"axG",@progbits,_ZN7rocprim17ROCPRIM_400000_NS6detail17trampoline_kernelINS0_14default_configENS1_25transform_config_selectorIyLb0EEEZNS1_14transform_implILb0ES3_S5_PyN6thrust23THRUST_200600_302600_NS6detail15normal_iteratorINS9_10device_ptrIyEEEENS0_8identityIyEEEE10hipError_tT2_T3_mT4_P12ihipStream_tbEUlT_E_NS1_11comp_targetILNS1_3genE8ELNS1_11target_archE1030ELNS1_3gpuE2ELNS1_3repE0EEENS1_30default_config_static_selectorELNS0_4arch9wavefront6targetE0EEEvT1_,comdat
.Lfunc_end80:
	.size	_ZN7rocprim17ROCPRIM_400000_NS6detail17trampoline_kernelINS0_14default_configENS1_25transform_config_selectorIyLb0EEEZNS1_14transform_implILb0ES3_S5_PyN6thrust23THRUST_200600_302600_NS6detail15normal_iteratorINS9_10device_ptrIyEEEENS0_8identityIyEEEE10hipError_tT2_T3_mT4_P12ihipStream_tbEUlT_E_NS1_11comp_targetILNS1_3genE8ELNS1_11target_archE1030ELNS1_3gpuE2ELNS1_3repE0EEENS1_30default_config_static_selectorELNS0_4arch9wavefront6targetE0EEEvT1_, .Lfunc_end80-_ZN7rocprim17ROCPRIM_400000_NS6detail17trampoline_kernelINS0_14default_configENS1_25transform_config_selectorIyLb0EEEZNS1_14transform_implILb0ES3_S5_PyN6thrust23THRUST_200600_302600_NS6detail15normal_iteratorINS9_10device_ptrIyEEEENS0_8identityIyEEEE10hipError_tT2_T3_mT4_P12ihipStream_tbEUlT_E_NS1_11comp_targetILNS1_3genE8ELNS1_11target_archE1030ELNS1_3gpuE2ELNS1_3repE0EEENS1_30default_config_static_selectorELNS0_4arch9wavefront6targetE0EEEvT1_
                                        ; -- End function
	.set _ZN7rocprim17ROCPRIM_400000_NS6detail17trampoline_kernelINS0_14default_configENS1_25transform_config_selectorIyLb0EEEZNS1_14transform_implILb0ES3_S5_PyN6thrust23THRUST_200600_302600_NS6detail15normal_iteratorINS9_10device_ptrIyEEEENS0_8identityIyEEEE10hipError_tT2_T3_mT4_P12ihipStream_tbEUlT_E_NS1_11comp_targetILNS1_3genE8ELNS1_11target_archE1030ELNS1_3gpuE2ELNS1_3repE0EEENS1_30default_config_static_selectorELNS0_4arch9wavefront6targetE0EEEvT1_.num_vgpr, 8
	.set _ZN7rocprim17ROCPRIM_400000_NS6detail17trampoline_kernelINS0_14default_configENS1_25transform_config_selectorIyLb0EEEZNS1_14transform_implILb0ES3_S5_PyN6thrust23THRUST_200600_302600_NS6detail15normal_iteratorINS9_10device_ptrIyEEEENS0_8identityIyEEEE10hipError_tT2_T3_mT4_P12ihipStream_tbEUlT_E_NS1_11comp_targetILNS1_3genE8ELNS1_11target_archE1030ELNS1_3gpuE2ELNS1_3repE0EEENS1_30default_config_static_selectorELNS0_4arch9wavefront6targetE0EEEvT1_.num_agpr, 0
	.set _ZN7rocprim17ROCPRIM_400000_NS6detail17trampoline_kernelINS0_14default_configENS1_25transform_config_selectorIyLb0EEEZNS1_14transform_implILb0ES3_S5_PyN6thrust23THRUST_200600_302600_NS6detail15normal_iteratorINS9_10device_ptrIyEEEENS0_8identityIyEEEE10hipError_tT2_T3_mT4_P12ihipStream_tbEUlT_E_NS1_11comp_targetILNS1_3genE8ELNS1_11target_archE1030ELNS1_3gpuE2ELNS1_3repE0EEENS1_30default_config_static_selectorELNS0_4arch9wavefront6targetE0EEEvT1_.numbered_sgpr, 16
	.set _ZN7rocprim17ROCPRIM_400000_NS6detail17trampoline_kernelINS0_14default_configENS1_25transform_config_selectorIyLb0EEEZNS1_14transform_implILb0ES3_S5_PyN6thrust23THRUST_200600_302600_NS6detail15normal_iteratorINS9_10device_ptrIyEEEENS0_8identityIyEEEE10hipError_tT2_T3_mT4_P12ihipStream_tbEUlT_E_NS1_11comp_targetILNS1_3genE8ELNS1_11target_archE1030ELNS1_3gpuE2ELNS1_3repE0EEENS1_30default_config_static_selectorELNS0_4arch9wavefront6targetE0EEEvT1_.num_named_barrier, 0
	.set _ZN7rocprim17ROCPRIM_400000_NS6detail17trampoline_kernelINS0_14default_configENS1_25transform_config_selectorIyLb0EEEZNS1_14transform_implILb0ES3_S5_PyN6thrust23THRUST_200600_302600_NS6detail15normal_iteratorINS9_10device_ptrIyEEEENS0_8identityIyEEEE10hipError_tT2_T3_mT4_P12ihipStream_tbEUlT_E_NS1_11comp_targetILNS1_3genE8ELNS1_11target_archE1030ELNS1_3gpuE2ELNS1_3repE0EEENS1_30default_config_static_selectorELNS0_4arch9wavefront6targetE0EEEvT1_.private_seg_size, 0
	.set _ZN7rocprim17ROCPRIM_400000_NS6detail17trampoline_kernelINS0_14default_configENS1_25transform_config_selectorIyLb0EEEZNS1_14transform_implILb0ES3_S5_PyN6thrust23THRUST_200600_302600_NS6detail15normal_iteratorINS9_10device_ptrIyEEEENS0_8identityIyEEEE10hipError_tT2_T3_mT4_P12ihipStream_tbEUlT_E_NS1_11comp_targetILNS1_3genE8ELNS1_11target_archE1030ELNS1_3gpuE2ELNS1_3repE0EEENS1_30default_config_static_selectorELNS0_4arch9wavefront6targetE0EEEvT1_.uses_vcc, 1
	.set _ZN7rocprim17ROCPRIM_400000_NS6detail17trampoline_kernelINS0_14default_configENS1_25transform_config_selectorIyLb0EEEZNS1_14transform_implILb0ES3_S5_PyN6thrust23THRUST_200600_302600_NS6detail15normal_iteratorINS9_10device_ptrIyEEEENS0_8identityIyEEEE10hipError_tT2_T3_mT4_P12ihipStream_tbEUlT_E_NS1_11comp_targetILNS1_3genE8ELNS1_11target_archE1030ELNS1_3gpuE2ELNS1_3repE0EEENS1_30default_config_static_selectorELNS0_4arch9wavefront6targetE0EEEvT1_.uses_flat_scratch, 0
	.set _ZN7rocprim17ROCPRIM_400000_NS6detail17trampoline_kernelINS0_14default_configENS1_25transform_config_selectorIyLb0EEEZNS1_14transform_implILb0ES3_S5_PyN6thrust23THRUST_200600_302600_NS6detail15normal_iteratorINS9_10device_ptrIyEEEENS0_8identityIyEEEE10hipError_tT2_T3_mT4_P12ihipStream_tbEUlT_E_NS1_11comp_targetILNS1_3genE8ELNS1_11target_archE1030ELNS1_3gpuE2ELNS1_3repE0EEENS1_30default_config_static_selectorELNS0_4arch9wavefront6targetE0EEEvT1_.has_dyn_sized_stack, 0
	.set _ZN7rocprim17ROCPRIM_400000_NS6detail17trampoline_kernelINS0_14default_configENS1_25transform_config_selectorIyLb0EEEZNS1_14transform_implILb0ES3_S5_PyN6thrust23THRUST_200600_302600_NS6detail15normal_iteratorINS9_10device_ptrIyEEEENS0_8identityIyEEEE10hipError_tT2_T3_mT4_P12ihipStream_tbEUlT_E_NS1_11comp_targetILNS1_3genE8ELNS1_11target_archE1030ELNS1_3gpuE2ELNS1_3repE0EEENS1_30default_config_static_selectorELNS0_4arch9wavefront6targetE0EEEvT1_.has_recursion, 0
	.set _ZN7rocprim17ROCPRIM_400000_NS6detail17trampoline_kernelINS0_14default_configENS1_25transform_config_selectorIyLb0EEEZNS1_14transform_implILb0ES3_S5_PyN6thrust23THRUST_200600_302600_NS6detail15normal_iteratorINS9_10device_ptrIyEEEENS0_8identityIyEEEE10hipError_tT2_T3_mT4_P12ihipStream_tbEUlT_E_NS1_11comp_targetILNS1_3genE8ELNS1_11target_archE1030ELNS1_3gpuE2ELNS1_3repE0EEENS1_30default_config_static_selectorELNS0_4arch9wavefront6targetE0EEEvT1_.has_indirect_call, 0
	.section	.AMDGPU.csdata,"",@progbits
; Kernel info:
; codeLenInByte = 444
; TotalNumSgprs: 18
; NumVgprs: 8
; ScratchSize: 0
; MemoryBound: 0
; FloatMode: 240
; IeeeMode: 1
; LDSByteSize: 0 bytes/workgroup (compile time only)
; SGPRBlocks: 0
; VGPRBlocks: 0
; NumSGPRsForWavesPerEU: 18
; NumVGPRsForWavesPerEU: 8
; Occupancy: 16
; WaveLimiterHint : 1
; COMPUTE_PGM_RSRC2:SCRATCH_EN: 0
; COMPUTE_PGM_RSRC2:USER_SGPR: 6
; COMPUTE_PGM_RSRC2:TRAP_HANDLER: 0
; COMPUTE_PGM_RSRC2:TGID_X_EN: 1
; COMPUTE_PGM_RSRC2:TGID_Y_EN: 0
; COMPUTE_PGM_RSRC2:TGID_Z_EN: 0
; COMPUTE_PGM_RSRC2:TIDIG_COMP_CNT: 0
	.section	.text._ZN7rocprim17ROCPRIM_400000_NS6detail17trampoline_kernelINS0_14default_configENS1_25transform_config_selectorINS0_10empty_typeELb1EEEZNS1_14transform_implILb1ES3_S6_PS5_S8_NS0_8identityIS5_EEEE10hipError_tT2_T3_mT4_P12ihipStream_tbEUlT_E_NS1_11comp_targetILNS1_3genE0ELNS1_11target_archE4294967295ELNS1_3gpuE0ELNS1_3repE0EEENS1_30default_config_static_selectorELNS0_4arch9wavefront6targetE0EEEvT1_,"axG",@progbits,_ZN7rocprim17ROCPRIM_400000_NS6detail17trampoline_kernelINS0_14default_configENS1_25transform_config_selectorINS0_10empty_typeELb1EEEZNS1_14transform_implILb1ES3_S6_PS5_S8_NS0_8identityIS5_EEEE10hipError_tT2_T3_mT4_P12ihipStream_tbEUlT_E_NS1_11comp_targetILNS1_3genE0ELNS1_11target_archE4294967295ELNS1_3gpuE0ELNS1_3repE0EEENS1_30default_config_static_selectorELNS0_4arch9wavefront6targetE0EEEvT1_,comdat
	.protected	_ZN7rocprim17ROCPRIM_400000_NS6detail17trampoline_kernelINS0_14default_configENS1_25transform_config_selectorINS0_10empty_typeELb1EEEZNS1_14transform_implILb1ES3_S6_PS5_S8_NS0_8identityIS5_EEEE10hipError_tT2_T3_mT4_P12ihipStream_tbEUlT_E_NS1_11comp_targetILNS1_3genE0ELNS1_11target_archE4294967295ELNS1_3gpuE0ELNS1_3repE0EEENS1_30default_config_static_selectorELNS0_4arch9wavefront6targetE0EEEvT1_ ; -- Begin function _ZN7rocprim17ROCPRIM_400000_NS6detail17trampoline_kernelINS0_14default_configENS1_25transform_config_selectorINS0_10empty_typeELb1EEEZNS1_14transform_implILb1ES3_S6_PS5_S8_NS0_8identityIS5_EEEE10hipError_tT2_T3_mT4_P12ihipStream_tbEUlT_E_NS1_11comp_targetILNS1_3genE0ELNS1_11target_archE4294967295ELNS1_3gpuE0ELNS1_3repE0EEENS1_30default_config_static_selectorELNS0_4arch9wavefront6targetE0EEEvT1_
	.globl	_ZN7rocprim17ROCPRIM_400000_NS6detail17trampoline_kernelINS0_14default_configENS1_25transform_config_selectorINS0_10empty_typeELb1EEEZNS1_14transform_implILb1ES3_S6_PS5_S8_NS0_8identityIS5_EEEE10hipError_tT2_T3_mT4_P12ihipStream_tbEUlT_E_NS1_11comp_targetILNS1_3genE0ELNS1_11target_archE4294967295ELNS1_3gpuE0ELNS1_3repE0EEENS1_30default_config_static_selectorELNS0_4arch9wavefront6targetE0EEEvT1_
	.p2align	8
	.type	_ZN7rocprim17ROCPRIM_400000_NS6detail17trampoline_kernelINS0_14default_configENS1_25transform_config_selectorINS0_10empty_typeELb1EEEZNS1_14transform_implILb1ES3_S6_PS5_S8_NS0_8identityIS5_EEEE10hipError_tT2_T3_mT4_P12ihipStream_tbEUlT_E_NS1_11comp_targetILNS1_3genE0ELNS1_11target_archE4294967295ELNS1_3gpuE0ELNS1_3repE0EEENS1_30default_config_static_selectorELNS0_4arch9wavefront6targetE0EEEvT1_,@function
_ZN7rocprim17ROCPRIM_400000_NS6detail17trampoline_kernelINS0_14default_configENS1_25transform_config_selectorINS0_10empty_typeELb1EEEZNS1_14transform_implILb1ES3_S6_PS5_S8_NS0_8identityIS5_EEEE10hipError_tT2_T3_mT4_P12ihipStream_tbEUlT_E_NS1_11comp_targetILNS1_3genE0ELNS1_11target_archE4294967295ELNS1_3gpuE0ELNS1_3repE0EEENS1_30default_config_static_selectorELNS0_4arch9wavefront6targetE0EEEvT1_: ; @_ZN7rocprim17ROCPRIM_400000_NS6detail17trampoline_kernelINS0_14default_configENS1_25transform_config_selectorINS0_10empty_typeELb1EEEZNS1_14transform_implILb1ES3_S6_PS5_S8_NS0_8identityIS5_EEEE10hipError_tT2_T3_mT4_P12ihipStream_tbEUlT_E_NS1_11comp_targetILNS1_3genE0ELNS1_11target_archE4294967295ELNS1_3gpuE0ELNS1_3repE0EEENS1_30default_config_static_selectorELNS0_4arch9wavefront6targetE0EEEvT1_
; %bb.0:
	.section	.rodata,"a",@progbits
	.p2align	6, 0x0
	.amdhsa_kernel _ZN7rocprim17ROCPRIM_400000_NS6detail17trampoline_kernelINS0_14default_configENS1_25transform_config_selectorINS0_10empty_typeELb1EEEZNS1_14transform_implILb1ES3_S6_PS5_S8_NS0_8identityIS5_EEEE10hipError_tT2_T3_mT4_P12ihipStream_tbEUlT_E_NS1_11comp_targetILNS1_3genE0ELNS1_11target_archE4294967295ELNS1_3gpuE0ELNS1_3repE0EEENS1_30default_config_static_selectorELNS0_4arch9wavefront6targetE0EEEvT1_
		.amdhsa_group_segment_fixed_size 0
		.amdhsa_private_segment_fixed_size 0
		.amdhsa_kernarg_size 40
		.amdhsa_user_sgpr_count 6
		.amdhsa_user_sgpr_private_segment_buffer 1
		.amdhsa_user_sgpr_dispatch_ptr 0
		.amdhsa_user_sgpr_queue_ptr 0
		.amdhsa_user_sgpr_kernarg_segment_ptr 1
		.amdhsa_user_sgpr_dispatch_id 0
		.amdhsa_user_sgpr_flat_scratch_init 0
		.amdhsa_user_sgpr_private_segment_size 0
		.amdhsa_wavefront_size32 1
		.amdhsa_uses_dynamic_stack 0
		.amdhsa_system_sgpr_private_segment_wavefront_offset 0
		.amdhsa_system_sgpr_workgroup_id_x 1
		.amdhsa_system_sgpr_workgroup_id_y 0
		.amdhsa_system_sgpr_workgroup_id_z 0
		.amdhsa_system_sgpr_workgroup_info 0
		.amdhsa_system_vgpr_workitem_id 0
		.amdhsa_next_free_vgpr 1
		.amdhsa_next_free_sgpr 1
		.amdhsa_reserve_vcc 0
		.amdhsa_reserve_flat_scratch 0
		.amdhsa_float_round_mode_32 0
		.amdhsa_float_round_mode_16_64 0
		.amdhsa_float_denorm_mode_32 3
		.amdhsa_float_denorm_mode_16_64 3
		.amdhsa_dx10_clamp 1
		.amdhsa_ieee_mode 1
		.amdhsa_fp16_overflow 0
		.amdhsa_workgroup_processor_mode 1
		.amdhsa_memory_ordered 1
		.amdhsa_forward_progress 1
		.amdhsa_shared_vgpr_count 0
		.amdhsa_exception_fp_ieee_invalid_op 0
		.amdhsa_exception_fp_denorm_src 0
		.amdhsa_exception_fp_ieee_div_zero 0
		.amdhsa_exception_fp_ieee_overflow 0
		.amdhsa_exception_fp_ieee_underflow 0
		.amdhsa_exception_fp_ieee_inexact 0
		.amdhsa_exception_int_div_zero 0
	.end_amdhsa_kernel
	.section	.text._ZN7rocprim17ROCPRIM_400000_NS6detail17trampoline_kernelINS0_14default_configENS1_25transform_config_selectorINS0_10empty_typeELb1EEEZNS1_14transform_implILb1ES3_S6_PS5_S8_NS0_8identityIS5_EEEE10hipError_tT2_T3_mT4_P12ihipStream_tbEUlT_E_NS1_11comp_targetILNS1_3genE0ELNS1_11target_archE4294967295ELNS1_3gpuE0ELNS1_3repE0EEENS1_30default_config_static_selectorELNS0_4arch9wavefront6targetE0EEEvT1_,"axG",@progbits,_ZN7rocprim17ROCPRIM_400000_NS6detail17trampoline_kernelINS0_14default_configENS1_25transform_config_selectorINS0_10empty_typeELb1EEEZNS1_14transform_implILb1ES3_S6_PS5_S8_NS0_8identityIS5_EEEE10hipError_tT2_T3_mT4_P12ihipStream_tbEUlT_E_NS1_11comp_targetILNS1_3genE0ELNS1_11target_archE4294967295ELNS1_3gpuE0ELNS1_3repE0EEENS1_30default_config_static_selectorELNS0_4arch9wavefront6targetE0EEEvT1_,comdat
.Lfunc_end81:
	.size	_ZN7rocprim17ROCPRIM_400000_NS6detail17trampoline_kernelINS0_14default_configENS1_25transform_config_selectorINS0_10empty_typeELb1EEEZNS1_14transform_implILb1ES3_S6_PS5_S8_NS0_8identityIS5_EEEE10hipError_tT2_T3_mT4_P12ihipStream_tbEUlT_E_NS1_11comp_targetILNS1_3genE0ELNS1_11target_archE4294967295ELNS1_3gpuE0ELNS1_3repE0EEENS1_30default_config_static_selectorELNS0_4arch9wavefront6targetE0EEEvT1_, .Lfunc_end81-_ZN7rocprim17ROCPRIM_400000_NS6detail17trampoline_kernelINS0_14default_configENS1_25transform_config_selectorINS0_10empty_typeELb1EEEZNS1_14transform_implILb1ES3_S6_PS5_S8_NS0_8identityIS5_EEEE10hipError_tT2_T3_mT4_P12ihipStream_tbEUlT_E_NS1_11comp_targetILNS1_3genE0ELNS1_11target_archE4294967295ELNS1_3gpuE0ELNS1_3repE0EEENS1_30default_config_static_selectorELNS0_4arch9wavefront6targetE0EEEvT1_
                                        ; -- End function
	.set _ZN7rocprim17ROCPRIM_400000_NS6detail17trampoline_kernelINS0_14default_configENS1_25transform_config_selectorINS0_10empty_typeELb1EEEZNS1_14transform_implILb1ES3_S6_PS5_S8_NS0_8identityIS5_EEEE10hipError_tT2_T3_mT4_P12ihipStream_tbEUlT_E_NS1_11comp_targetILNS1_3genE0ELNS1_11target_archE4294967295ELNS1_3gpuE0ELNS1_3repE0EEENS1_30default_config_static_selectorELNS0_4arch9wavefront6targetE0EEEvT1_.num_vgpr, 0
	.set _ZN7rocprim17ROCPRIM_400000_NS6detail17trampoline_kernelINS0_14default_configENS1_25transform_config_selectorINS0_10empty_typeELb1EEEZNS1_14transform_implILb1ES3_S6_PS5_S8_NS0_8identityIS5_EEEE10hipError_tT2_T3_mT4_P12ihipStream_tbEUlT_E_NS1_11comp_targetILNS1_3genE0ELNS1_11target_archE4294967295ELNS1_3gpuE0ELNS1_3repE0EEENS1_30default_config_static_selectorELNS0_4arch9wavefront6targetE0EEEvT1_.num_agpr, 0
	.set _ZN7rocprim17ROCPRIM_400000_NS6detail17trampoline_kernelINS0_14default_configENS1_25transform_config_selectorINS0_10empty_typeELb1EEEZNS1_14transform_implILb1ES3_S6_PS5_S8_NS0_8identityIS5_EEEE10hipError_tT2_T3_mT4_P12ihipStream_tbEUlT_E_NS1_11comp_targetILNS1_3genE0ELNS1_11target_archE4294967295ELNS1_3gpuE0ELNS1_3repE0EEENS1_30default_config_static_selectorELNS0_4arch9wavefront6targetE0EEEvT1_.numbered_sgpr, 0
	.set _ZN7rocprim17ROCPRIM_400000_NS6detail17trampoline_kernelINS0_14default_configENS1_25transform_config_selectorINS0_10empty_typeELb1EEEZNS1_14transform_implILb1ES3_S6_PS5_S8_NS0_8identityIS5_EEEE10hipError_tT2_T3_mT4_P12ihipStream_tbEUlT_E_NS1_11comp_targetILNS1_3genE0ELNS1_11target_archE4294967295ELNS1_3gpuE0ELNS1_3repE0EEENS1_30default_config_static_selectorELNS0_4arch9wavefront6targetE0EEEvT1_.num_named_barrier, 0
	.set _ZN7rocprim17ROCPRIM_400000_NS6detail17trampoline_kernelINS0_14default_configENS1_25transform_config_selectorINS0_10empty_typeELb1EEEZNS1_14transform_implILb1ES3_S6_PS5_S8_NS0_8identityIS5_EEEE10hipError_tT2_T3_mT4_P12ihipStream_tbEUlT_E_NS1_11comp_targetILNS1_3genE0ELNS1_11target_archE4294967295ELNS1_3gpuE0ELNS1_3repE0EEENS1_30default_config_static_selectorELNS0_4arch9wavefront6targetE0EEEvT1_.private_seg_size, 0
	.set _ZN7rocprim17ROCPRIM_400000_NS6detail17trampoline_kernelINS0_14default_configENS1_25transform_config_selectorINS0_10empty_typeELb1EEEZNS1_14transform_implILb1ES3_S6_PS5_S8_NS0_8identityIS5_EEEE10hipError_tT2_T3_mT4_P12ihipStream_tbEUlT_E_NS1_11comp_targetILNS1_3genE0ELNS1_11target_archE4294967295ELNS1_3gpuE0ELNS1_3repE0EEENS1_30default_config_static_selectorELNS0_4arch9wavefront6targetE0EEEvT1_.uses_vcc, 0
	.set _ZN7rocprim17ROCPRIM_400000_NS6detail17trampoline_kernelINS0_14default_configENS1_25transform_config_selectorINS0_10empty_typeELb1EEEZNS1_14transform_implILb1ES3_S6_PS5_S8_NS0_8identityIS5_EEEE10hipError_tT2_T3_mT4_P12ihipStream_tbEUlT_E_NS1_11comp_targetILNS1_3genE0ELNS1_11target_archE4294967295ELNS1_3gpuE0ELNS1_3repE0EEENS1_30default_config_static_selectorELNS0_4arch9wavefront6targetE0EEEvT1_.uses_flat_scratch, 0
	.set _ZN7rocprim17ROCPRIM_400000_NS6detail17trampoline_kernelINS0_14default_configENS1_25transform_config_selectorINS0_10empty_typeELb1EEEZNS1_14transform_implILb1ES3_S6_PS5_S8_NS0_8identityIS5_EEEE10hipError_tT2_T3_mT4_P12ihipStream_tbEUlT_E_NS1_11comp_targetILNS1_3genE0ELNS1_11target_archE4294967295ELNS1_3gpuE0ELNS1_3repE0EEENS1_30default_config_static_selectorELNS0_4arch9wavefront6targetE0EEEvT1_.has_dyn_sized_stack, 0
	.set _ZN7rocprim17ROCPRIM_400000_NS6detail17trampoline_kernelINS0_14default_configENS1_25transform_config_selectorINS0_10empty_typeELb1EEEZNS1_14transform_implILb1ES3_S6_PS5_S8_NS0_8identityIS5_EEEE10hipError_tT2_T3_mT4_P12ihipStream_tbEUlT_E_NS1_11comp_targetILNS1_3genE0ELNS1_11target_archE4294967295ELNS1_3gpuE0ELNS1_3repE0EEENS1_30default_config_static_selectorELNS0_4arch9wavefront6targetE0EEEvT1_.has_recursion, 0
	.set _ZN7rocprim17ROCPRIM_400000_NS6detail17trampoline_kernelINS0_14default_configENS1_25transform_config_selectorINS0_10empty_typeELb1EEEZNS1_14transform_implILb1ES3_S6_PS5_S8_NS0_8identityIS5_EEEE10hipError_tT2_T3_mT4_P12ihipStream_tbEUlT_E_NS1_11comp_targetILNS1_3genE0ELNS1_11target_archE4294967295ELNS1_3gpuE0ELNS1_3repE0EEENS1_30default_config_static_selectorELNS0_4arch9wavefront6targetE0EEEvT1_.has_indirect_call, 0
	.section	.AMDGPU.csdata,"",@progbits
; Kernel info:
; codeLenInByte = 0
; TotalNumSgprs: 0
; NumVgprs: 0
; ScratchSize: 0
; MemoryBound: 0
; FloatMode: 240
; IeeeMode: 1
; LDSByteSize: 0 bytes/workgroup (compile time only)
; SGPRBlocks: 0
; VGPRBlocks: 0
; NumSGPRsForWavesPerEU: 1
; NumVGPRsForWavesPerEU: 1
; Occupancy: 16
; WaveLimiterHint : 0
; COMPUTE_PGM_RSRC2:SCRATCH_EN: 0
; COMPUTE_PGM_RSRC2:USER_SGPR: 6
; COMPUTE_PGM_RSRC2:TRAP_HANDLER: 0
; COMPUTE_PGM_RSRC2:TGID_X_EN: 1
; COMPUTE_PGM_RSRC2:TGID_Y_EN: 0
; COMPUTE_PGM_RSRC2:TGID_Z_EN: 0
; COMPUTE_PGM_RSRC2:TIDIG_COMP_CNT: 0
	.section	.text._ZN7rocprim17ROCPRIM_400000_NS6detail17trampoline_kernelINS0_14default_configENS1_25transform_config_selectorINS0_10empty_typeELb1EEEZNS1_14transform_implILb1ES3_S6_PS5_S8_NS0_8identityIS5_EEEE10hipError_tT2_T3_mT4_P12ihipStream_tbEUlT_E_NS1_11comp_targetILNS1_3genE10ELNS1_11target_archE1201ELNS1_3gpuE5ELNS1_3repE0EEENS1_30default_config_static_selectorELNS0_4arch9wavefront6targetE0EEEvT1_,"axG",@progbits,_ZN7rocprim17ROCPRIM_400000_NS6detail17trampoline_kernelINS0_14default_configENS1_25transform_config_selectorINS0_10empty_typeELb1EEEZNS1_14transform_implILb1ES3_S6_PS5_S8_NS0_8identityIS5_EEEE10hipError_tT2_T3_mT4_P12ihipStream_tbEUlT_E_NS1_11comp_targetILNS1_3genE10ELNS1_11target_archE1201ELNS1_3gpuE5ELNS1_3repE0EEENS1_30default_config_static_selectorELNS0_4arch9wavefront6targetE0EEEvT1_,comdat
	.protected	_ZN7rocprim17ROCPRIM_400000_NS6detail17trampoline_kernelINS0_14default_configENS1_25transform_config_selectorINS0_10empty_typeELb1EEEZNS1_14transform_implILb1ES3_S6_PS5_S8_NS0_8identityIS5_EEEE10hipError_tT2_T3_mT4_P12ihipStream_tbEUlT_E_NS1_11comp_targetILNS1_3genE10ELNS1_11target_archE1201ELNS1_3gpuE5ELNS1_3repE0EEENS1_30default_config_static_selectorELNS0_4arch9wavefront6targetE0EEEvT1_ ; -- Begin function _ZN7rocprim17ROCPRIM_400000_NS6detail17trampoline_kernelINS0_14default_configENS1_25transform_config_selectorINS0_10empty_typeELb1EEEZNS1_14transform_implILb1ES3_S6_PS5_S8_NS0_8identityIS5_EEEE10hipError_tT2_T3_mT4_P12ihipStream_tbEUlT_E_NS1_11comp_targetILNS1_3genE10ELNS1_11target_archE1201ELNS1_3gpuE5ELNS1_3repE0EEENS1_30default_config_static_selectorELNS0_4arch9wavefront6targetE0EEEvT1_
	.globl	_ZN7rocprim17ROCPRIM_400000_NS6detail17trampoline_kernelINS0_14default_configENS1_25transform_config_selectorINS0_10empty_typeELb1EEEZNS1_14transform_implILb1ES3_S6_PS5_S8_NS0_8identityIS5_EEEE10hipError_tT2_T3_mT4_P12ihipStream_tbEUlT_E_NS1_11comp_targetILNS1_3genE10ELNS1_11target_archE1201ELNS1_3gpuE5ELNS1_3repE0EEENS1_30default_config_static_selectorELNS0_4arch9wavefront6targetE0EEEvT1_
	.p2align	8
	.type	_ZN7rocprim17ROCPRIM_400000_NS6detail17trampoline_kernelINS0_14default_configENS1_25transform_config_selectorINS0_10empty_typeELb1EEEZNS1_14transform_implILb1ES3_S6_PS5_S8_NS0_8identityIS5_EEEE10hipError_tT2_T3_mT4_P12ihipStream_tbEUlT_E_NS1_11comp_targetILNS1_3genE10ELNS1_11target_archE1201ELNS1_3gpuE5ELNS1_3repE0EEENS1_30default_config_static_selectorELNS0_4arch9wavefront6targetE0EEEvT1_,@function
_ZN7rocprim17ROCPRIM_400000_NS6detail17trampoline_kernelINS0_14default_configENS1_25transform_config_selectorINS0_10empty_typeELb1EEEZNS1_14transform_implILb1ES3_S6_PS5_S8_NS0_8identityIS5_EEEE10hipError_tT2_T3_mT4_P12ihipStream_tbEUlT_E_NS1_11comp_targetILNS1_3genE10ELNS1_11target_archE1201ELNS1_3gpuE5ELNS1_3repE0EEENS1_30default_config_static_selectorELNS0_4arch9wavefront6targetE0EEEvT1_: ; @_ZN7rocprim17ROCPRIM_400000_NS6detail17trampoline_kernelINS0_14default_configENS1_25transform_config_selectorINS0_10empty_typeELb1EEEZNS1_14transform_implILb1ES3_S6_PS5_S8_NS0_8identityIS5_EEEE10hipError_tT2_T3_mT4_P12ihipStream_tbEUlT_E_NS1_11comp_targetILNS1_3genE10ELNS1_11target_archE1201ELNS1_3gpuE5ELNS1_3repE0EEENS1_30default_config_static_selectorELNS0_4arch9wavefront6targetE0EEEvT1_
; %bb.0:
	.section	.rodata,"a",@progbits
	.p2align	6, 0x0
	.amdhsa_kernel _ZN7rocprim17ROCPRIM_400000_NS6detail17trampoline_kernelINS0_14default_configENS1_25transform_config_selectorINS0_10empty_typeELb1EEEZNS1_14transform_implILb1ES3_S6_PS5_S8_NS0_8identityIS5_EEEE10hipError_tT2_T3_mT4_P12ihipStream_tbEUlT_E_NS1_11comp_targetILNS1_3genE10ELNS1_11target_archE1201ELNS1_3gpuE5ELNS1_3repE0EEENS1_30default_config_static_selectorELNS0_4arch9wavefront6targetE0EEEvT1_
		.amdhsa_group_segment_fixed_size 0
		.amdhsa_private_segment_fixed_size 0
		.amdhsa_kernarg_size 40
		.amdhsa_user_sgpr_count 6
		.amdhsa_user_sgpr_private_segment_buffer 1
		.amdhsa_user_sgpr_dispatch_ptr 0
		.amdhsa_user_sgpr_queue_ptr 0
		.amdhsa_user_sgpr_kernarg_segment_ptr 1
		.amdhsa_user_sgpr_dispatch_id 0
		.amdhsa_user_sgpr_flat_scratch_init 0
		.amdhsa_user_sgpr_private_segment_size 0
		.amdhsa_wavefront_size32 1
		.amdhsa_uses_dynamic_stack 0
		.amdhsa_system_sgpr_private_segment_wavefront_offset 0
		.amdhsa_system_sgpr_workgroup_id_x 1
		.amdhsa_system_sgpr_workgroup_id_y 0
		.amdhsa_system_sgpr_workgroup_id_z 0
		.amdhsa_system_sgpr_workgroup_info 0
		.amdhsa_system_vgpr_workitem_id 0
		.amdhsa_next_free_vgpr 1
		.amdhsa_next_free_sgpr 1
		.amdhsa_reserve_vcc 0
		.amdhsa_reserve_flat_scratch 0
		.amdhsa_float_round_mode_32 0
		.amdhsa_float_round_mode_16_64 0
		.amdhsa_float_denorm_mode_32 3
		.amdhsa_float_denorm_mode_16_64 3
		.amdhsa_dx10_clamp 1
		.amdhsa_ieee_mode 1
		.amdhsa_fp16_overflow 0
		.amdhsa_workgroup_processor_mode 1
		.amdhsa_memory_ordered 1
		.amdhsa_forward_progress 1
		.amdhsa_shared_vgpr_count 0
		.amdhsa_exception_fp_ieee_invalid_op 0
		.amdhsa_exception_fp_denorm_src 0
		.amdhsa_exception_fp_ieee_div_zero 0
		.amdhsa_exception_fp_ieee_overflow 0
		.amdhsa_exception_fp_ieee_underflow 0
		.amdhsa_exception_fp_ieee_inexact 0
		.amdhsa_exception_int_div_zero 0
	.end_amdhsa_kernel
	.section	.text._ZN7rocprim17ROCPRIM_400000_NS6detail17trampoline_kernelINS0_14default_configENS1_25transform_config_selectorINS0_10empty_typeELb1EEEZNS1_14transform_implILb1ES3_S6_PS5_S8_NS0_8identityIS5_EEEE10hipError_tT2_T3_mT4_P12ihipStream_tbEUlT_E_NS1_11comp_targetILNS1_3genE10ELNS1_11target_archE1201ELNS1_3gpuE5ELNS1_3repE0EEENS1_30default_config_static_selectorELNS0_4arch9wavefront6targetE0EEEvT1_,"axG",@progbits,_ZN7rocprim17ROCPRIM_400000_NS6detail17trampoline_kernelINS0_14default_configENS1_25transform_config_selectorINS0_10empty_typeELb1EEEZNS1_14transform_implILb1ES3_S6_PS5_S8_NS0_8identityIS5_EEEE10hipError_tT2_T3_mT4_P12ihipStream_tbEUlT_E_NS1_11comp_targetILNS1_3genE10ELNS1_11target_archE1201ELNS1_3gpuE5ELNS1_3repE0EEENS1_30default_config_static_selectorELNS0_4arch9wavefront6targetE0EEEvT1_,comdat
.Lfunc_end82:
	.size	_ZN7rocprim17ROCPRIM_400000_NS6detail17trampoline_kernelINS0_14default_configENS1_25transform_config_selectorINS0_10empty_typeELb1EEEZNS1_14transform_implILb1ES3_S6_PS5_S8_NS0_8identityIS5_EEEE10hipError_tT2_T3_mT4_P12ihipStream_tbEUlT_E_NS1_11comp_targetILNS1_3genE10ELNS1_11target_archE1201ELNS1_3gpuE5ELNS1_3repE0EEENS1_30default_config_static_selectorELNS0_4arch9wavefront6targetE0EEEvT1_, .Lfunc_end82-_ZN7rocprim17ROCPRIM_400000_NS6detail17trampoline_kernelINS0_14default_configENS1_25transform_config_selectorINS0_10empty_typeELb1EEEZNS1_14transform_implILb1ES3_S6_PS5_S8_NS0_8identityIS5_EEEE10hipError_tT2_T3_mT4_P12ihipStream_tbEUlT_E_NS1_11comp_targetILNS1_3genE10ELNS1_11target_archE1201ELNS1_3gpuE5ELNS1_3repE0EEENS1_30default_config_static_selectorELNS0_4arch9wavefront6targetE0EEEvT1_
                                        ; -- End function
	.set _ZN7rocprim17ROCPRIM_400000_NS6detail17trampoline_kernelINS0_14default_configENS1_25transform_config_selectorINS0_10empty_typeELb1EEEZNS1_14transform_implILb1ES3_S6_PS5_S8_NS0_8identityIS5_EEEE10hipError_tT2_T3_mT4_P12ihipStream_tbEUlT_E_NS1_11comp_targetILNS1_3genE10ELNS1_11target_archE1201ELNS1_3gpuE5ELNS1_3repE0EEENS1_30default_config_static_selectorELNS0_4arch9wavefront6targetE0EEEvT1_.num_vgpr, 0
	.set _ZN7rocprim17ROCPRIM_400000_NS6detail17trampoline_kernelINS0_14default_configENS1_25transform_config_selectorINS0_10empty_typeELb1EEEZNS1_14transform_implILb1ES3_S6_PS5_S8_NS0_8identityIS5_EEEE10hipError_tT2_T3_mT4_P12ihipStream_tbEUlT_E_NS1_11comp_targetILNS1_3genE10ELNS1_11target_archE1201ELNS1_3gpuE5ELNS1_3repE0EEENS1_30default_config_static_selectorELNS0_4arch9wavefront6targetE0EEEvT1_.num_agpr, 0
	.set _ZN7rocprim17ROCPRIM_400000_NS6detail17trampoline_kernelINS0_14default_configENS1_25transform_config_selectorINS0_10empty_typeELb1EEEZNS1_14transform_implILb1ES3_S6_PS5_S8_NS0_8identityIS5_EEEE10hipError_tT2_T3_mT4_P12ihipStream_tbEUlT_E_NS1_11comp_targetILNS1_3genE10ELNS1_11target_archE1201ELNS1_3gpuE5ELNS1_3repE0EEENS1_30default_config_static_selectorELNS0_4arch9wavefront6targetE0EEEvT1_.numbered_sgpr, 0
	.set _ZN7rocprim17ROCPRIM_400000_NS6detail17trampoline_kernelINS0_14default_configENS1_25transform_config_selectorINS0_10empty_typeELb1EEEZNS1_14transform_implILb1ES3_S6_PS5_S8_NS0_8identityIS5_EEEE10hipError_tT2_T3_mT4_P12ihipStream_tbEUlT_E_NS1_11comp_targetILNS1_3genE10ELNS1_11target_archE1201ELNS1_3gpuE5ELNS1_3repE0EEENS1_30default_config_static_selectorELNS0_4arch9wavefront6targetE0EEEvT1_.num_named_barrier, 0
	.set _ZN7rocprim17ROCPRIM_400000_NS6detail17trampoline_kernelINS0_14default_configENS1_25transform_config_selectorINS0_10empty_typeELb1EEEZNS1_14transform_implILb1ES3_S6_PS5_S8_NS0_8identityIS5_EEEE10hipError_tT2_T3_mT4_P12ihipStream_tbEUlT_E_NS1_11comp_targetILNS1_3genE10ELNS1_11target_archE1201ELNS1_3gpuE5ELNS1_3repE0EEENS1_30default_config_static_selectorELNS0_4arch9wavefront6targetE0EEEvT1_.private_seg_size, 0
	.set _ZN7rocprim17ROCPRIM_400000_NS6detail17trampoline_kernelINS0_14default_configENS1_25transform_config_selectorINS0_10empty_typeELb1EEEZNS1_14transform_implILb1ES3_S6_PS5_S8_NS0_8identityIS5_EEEE10hipError_tT2_T3_mT4_P12ihipStream_tbEUlT_E_NS1_11comp_targetILNS1_3genE10ELNS1_11target_archE1201ELNS1_3gpuE5ELNS1_3repE0EEENS1_30default_config_static_selectorELNS0_4arch9wavefront6targetE0EEEvT1_.uses_vcc, 0
	.set _ZN7rocprim17ROCPRIM_400000_NS6detail17trampoline_kernelINS0_14default_configENS1_25transform_config_selectorINS0_10empty_typeELb1EEEZNS1_14transform_implILb1ES3_S6_PS5_S8_NS0_8identityIS5_EEEE10hipError_tT2_T3_mT4_P12ihipStream_tbEUlT_E_NS1_11comp_targetILNS1_3genE10ELNS1_11target_archE1201ELNS1_3gpuE5ELNS1_3repE0EEENS1_30default_config_static_selectorELNS0_4arch9wavefront6targetE0EEEvT1_.uses_flat_scratch, 0
	.set _ZN7rocprim17ROCPRIM_400000_NS6detail17trampoline_kernelINS0_14default_configENS1_25transform_config_selectorINS0_10empty_typeELb1EEEZNS1_14transform_implILb1ES3_S6_PS5_S8_NS0_8identityIS5_EEEE10hipError_tT2_T3_mT4_P12ihipStream_tbEUlT_E_NS1_11comp_targetILNS1_3genE10ELNS1_11target_archE1201ELNS1_3gpuE5ELNS1_3repE0EEENS1_30default_config_static_selectorELNS0_4arch9wavefront6targetE0EEEvT1_.has_dyn_sized_stack, 0
	.set _ZN7rocprim17ROCPRIM_400000_NS6detail17trampoline_kernelINS0_14default_configENS1_25transform_config_selectorINS0_10empty_typeELb1EEEZNS1_14transform_implILb1ES3_S6_PS5_S8_NS0_8identityIS5_EEEE10hipError_tT2_T3_mT4_P12ihipStream_tbEUlT_E_NS1_11comp_targetILNS1_3genE10ELNS1_11target_archE1201ELNS1_3gpuE5ELNS1_3repE0EEENS1_30default_config_static_selectorELNS0_4arch9wavefront6targetE0EEEvT1_.has_recursion, 0
	.set _ZN7rocprim17ROCPRIM_400000_NS6detail17trampoline_kernelINS0_14default_configENS1_25transform_config_selectorINS0_10empty_typeELb1EEEZNS1_14transform_implILb1ES3_S6_PS5_S8_NS0_8identityIS5_EEEE10hipError_tT2_T3_mT4_P12ihipStream_tbEUlT_E_NS1_11comp_targetILNS1_3genE10ELNS1_11target_archE1201ELNS1_3gpuE5ELNS1_3repE0EEENS1_30default_config_static_selectorELNS0_4arch9wavefront6targetE0EEEvT1_.has_indirect_call, 0
	.section	.AMDGPU.csdata,"",@progbits
; Kernel info:
; codeLenInByte = 0
; TotalNumSgprs: 0
; NumVgprs: 0
; ScratchSize: 0
; MemoryBound: 0
; FloatMode: 240
; IeeeMode: 1
; LDSByteSize: 0 bytes/workgroup (compile time only)
; SGPRBlocks: 0
; VGPRBlocks: 0
; NumSGPRsForWavesPerEU: 1
; NumVGPRsForWavesPerEU: 1
; Occupancy: 16
; WaveLimiterHint : 0
; COMPUTE_PGM_RSRC2:SCRATCH_EN: 0
; COMPUTE_PGM_RSRC2:USER_SGPR: 6
; COMPUTE_PGM_RSRC2:TRAP_HANDLER: 0
; COMPUTE_PGM_RSRC2:TGID_X_EN: 1
; COMPUTE_PGM_RSRC2:TGID_Y_EN: 0
; COMPUTE_PGM_RSRC2:TGID_Z_EN: 0
; COMPUTE_PGM_RSRC2:TIDIG_COMP_CNT: 0
	.section	.text._ZN7rocprim17ROCPRIM_400000_NS6detail17trampoline_kernelINS0_14default_configENS1_25transform_config_selectorINS0_10empty_typeELb1EEEZNS1_14transform_implILb1ES3_S6_PS5_S8_NS0_8identityIS5_EEEE10hipError_tT2_T3_mT4_P12ihipStream_tbEUlT_E_NS1_11comp_targetILNS1_3genE5ELNS1_11target_archE942ELNS1_3gpuE9ELNS1_3repE0EEENS1_30default_config_static_selectorELNS0_4arch9wavefront6targetE0EEEvT1_,"axG",@progbits,_ZN7rocprim17ROCPRIM_400000_NS6detail17trampoline_kernelINS0_14default_configENS1_25transform_config_selectorINS0_10empty_typeELb1EEEZNS1_14transform_implILb1ES3_S6_PS5_S8_NS0_8identityIS5_EEEE10hipError_tT2_T3_mT4_P12ihipStream_tbEUlT_E_NS1_11comp_targetILNS1_3genE5ELNS1_11target_archE942ELNS1_3gpuE9ELNS1_3repE0EEENS1_30default_config_static_selectorELNS0_4arch9wavefront6targetE0EEEvT1_,comdat
	.protected	_ZN7rocprim17ROCPRIM_400000_NS6detail17trampoline_kernelINS0_14default_configENS1_25transform_config_selectorINS0_10empty_typeELb1EEEZNS1_14transform_implILb1ES3_S6_PS5_S8_NS0_8identityIS5_EEEE10hipError_tT2_T3_mT4_P12ihipStream_tbEUlT_E_NS1_11comp_targetILNS1_3genE5ELNS1_11target_archE942ELNS1_3gpuE9ELNS1_3repE0EEENS1_30default_config_static_selectorELNS0_4arch9wavefront6targetE0EEEvT1_ ; -- Begin function _ZN7rocprim17ROCPRIM_400000_NS6detail17trampoline_kernelINS0_14default_configENS1_25transform_config_selectorINS0_10empty_typeELb1EEEZNS1_14transform_implILb1ES3_S6_PS5_S8_NS0_8identityIS5_EEEE10hipError_tT2_T3_mT4_P12ihipStream_tbEUlT_E_NS1_11comp_targetILNS1_3genE5ELNS1_11target_archE942ELNS1_3gpuE9ELNS1_3repE0EEENS1_30default_config_static_selectorELNS0_4arch9wavefront6targetE0EEEvT1_
	.globl	_ZN7rocprim17ROCPRIM_400000_NS6detail17trampoline_kernelINS0_14default_configENS1_25transform_config_selectorINS0_10empty_typeELb1EEEZNS1_14transform_implILb1ES3_S6_PS5_S8_NS0_8identityIS5_EEEE10hipError_tT2_T3_mT4_P12ihipStream_tbEUlT_E_NS1_11comp_targetILNS1_3genE5ELNS1_11target_archE942ELNS1_3gpuE9ELNS1_3repE0EEENS1_30default_config_static_selectorELNS0_4arch9wavefront6targetE0EEEvT1_
	.p2align	8
	.type	_ZN7rocprim17ROCPRIM_400000_NS6detail17trampoline_kernelINS0_14default_configENS1_25transform_config_selectorINS0_10empty_typeELb1EEEZNS1_14transform_implILb1ES3_S6_PS5_S8_NS0_8identityIS5_EEEE10hipError_tT2_T3_mT4_P12ihipStream_tbEUlT_E_NS1_11comp_targetILNS1_3genE5ELNS1_11target_archE942ELNS1_3gpuE9ELNS1_3repE0EEENS1_30default_config_static_selectorELNS0_4arch9wavefront6targetE0EEEvT1_,@function
_ZN7rocprim17ROCPRIM_400000_NS6detail17trampoline_kernelINS0_14default_configENS1_25transform_config_selectorINS0_10empty_typeELb1EEEZNS1_14transform_implILb1ES3_S6_PS5_S8_NS0_8identityIS5_EEEE10hipError_tT2_T3_mT4_P12ihipStream_tbEUlT_E_NS1_11comp_targetILNS1_3genE5ELNS1_11target_archE942ELNS1_3gpuE9ELNS1_3repE0EEENS1_30default_config_static_selectorELNS0_4arch9wavefront6targetE0EEEvT1_: ; @_ZN7rocprim17ROCPRIM_400000_NS6detail17trampoline_kernelINS0_14default_configENS1_25transform_config_selectorINS0_10empty_typeELb1EEEZNS1_14transform_implILb1ES3_S6_PS5_S8_NS0_8identityIS5_EEEE10hipError_tT2_T3_mT4_P12ihipStream_tbEUlT_E_NS1_11comp_targetILNS1_3genE5ELNS1_11target_archE942ELNS1_3gpuE9ELNS1_3repE0EEENS1_30default_config_static_selectorELNS0_4arch9wavefront6targetE0EEEvT1_
; %bb.0:
	.section	.rodata,"a",@progbits
	.p2align	6, 0x0
	.amdhsa_kernel _ZN7rocprim17ROCPRIM_400000_NS6detail17trampoline_kernelINS0_14default_configENS1_25transform_config_selectorINS0_10empty_typeELb1EEEZNS1_14transform_implILb1ES3_S6_PS5_S8_NS0_8identityIS5_EEEE10hipError_tT2_T3_mT4_P12ihipStream_tbEUlT_E_NS1_11comp_targetILNS1_3genE5ELNS1_11target_archE942ELNS1_3gpuE9ELNS1_3repE0EEENS1_30default_config_static_selectorELNS0_4arch9wavefront6targetE0EEEvT1_
		.amdhsa_group_segment_fixed_size 0
		.amdhsa_private_segment_fixed_size 0
		.amdhsa_kernarg_size 40
		.amdhsa_user_sgpr_count 6
		.amdhsa_user_sgpr_private_segment_buffer 1
		.amdhsa_user_sgpr_dispatch_ptr 0
		.amdhsa_user_sgpr_queue_ptr 0
		.amdhsa_user_sgpr_kernarg_segment_ptr 1
		.amdhsa_user_sgpr_dispatch_id 0
		.amdhsa_user_sgpr_flat_scratch_init 0
		.amdhsa_user_sgpr_private_segment_size 0
		.amdhsa_wavefront_size32 1
		.amdhsa_uses_dynamic_stack 0
		.amdhsa_system_sgpr_private_segment_wavefront_offset 0
		.amdhsa_system_sgpr_workgroup_id_x 1
		.amdhsa_system_sgpr_workgroup_id_y 0
		.amdhsa_system_sgpr_workgroup_id_z 0
		.amdhsa_system_sgpr_workgroup_info 0
		.amdhsa_system_vgpr_workitem_id 0
		.amdhsa_next_free_vgpr 1
		.amdhsa_next_free_sgpr 1
		.amdhsa_reserve_vcc 0
		.amdhsa_reserve_flat_scratch 0
		.amdhsa_float_round_mode_32 0
		.amdhsa_float_round_mode_16_64 0
		.amdhsa_float_denorm_mode_32 3
		.amdhsa_float_denorm_mode_16_64 3
		.amdhsa_dx10_clamp 1
		.amdhsa_ieee_mode 1
		.amdhsa_fp16_overflow 0
		.amdhsa_workgroup_processor_mode 1
		.amdhsa_memory_ordered 1
		.amdhsa_forward_progress 1
		.amdhsa_shared_vgpr_count 0
		.amdhsa_exception_fp_ieee_invalid_op 0
		.amdhsa_exception_fp_denorm_src 0
		.amdhsa_exception_fp_ieee_div_zero 0
		.amdhsa_exception_fp_ieee_overflow 0
		.amdhsa_exception_fp_ieee_underflow 0
		.amdhsa_exception_fp_ieee_inexact 0
		.amdhsa_exception_int_div_zero 0
	.end_amdhsa_kernel
	.section	.text._ZN7rocprim17ROCPRIM_400000_NS6detail17trampoline_kernelINS0_14default_configENS1_25transform_config_selectorINS0_10empty_typeELb1EEEZNS1_14transform_implILb1ES3_S6_PS5_S8_NS0_8identityIS5_EEEE10hipError_tT2_T3_mT4_P12ihipStream_tbEUlT_E_NS1_11comp_targetILNS1_3genE5ELNS1_11target_archE942ELNS1_3gpuE9ELNS1_3repE0EEENS1_30default_config_static_selectorELNS0_4arch9wavefront6targetE0EEEvT1_,"axG",@progbits,_ZN7rocprim17ROCPRIM_400000_NS6detail17trampoline_kernelINS0_14default_configENS1_25transform_config_selectorINS0_10empty_typeELb1EEEZNS1_14transform_implILb1ES3_S6_PS5_S8_NS0_8identityIS5_EEEE10hipError_tT2_T3_mT4_P12ihipStream_tbEUlT_E_NS1_11comp_targetILNS1_3genE5ELNS1_11target_archE942ELNS1_3gpuE9ELNS1_3repE0EEENS1_30default_config_static_selectorELNS0_4arch9wavefront6targetE0EEEvT1_,comdat
.Lfunc_end83:
	.size	_ZN7rocprim17ROCPRIM_400000_NS6detail17trampoline_kernelINS0_14default_configENS1_25transform_config_selectorINS0_10empty_typeELb1EEEZNS1_14transform_implILb1ES3_S6_PS5_S8_NS0_8identityIS5_EEEE10hipError_tT2_T3_mT4_P12ihipStream_tbEUlT_E_NS1_11comp_targetILNS1_3genE5ELNS1_11target_archE942ELNS1_3gpuE9ELNS1_3repE0EEENS1_30default_config_static_selectorELNS0_4arch9wavefront6targetE0EEEvT1_, .Lfunc_end83-_ZN7rocprim17ROCPRIM_400000_NS6detail17trampoline_kernelINS0_14default_configENS1_25transform_config_selectorINS0_10empty_typeELb1EEEZNS1_14transform_implILb1ES3_S6_PS5_S8_NS0_8identityIS5_EEEE10hipError_tT2_T3_mT4_P12ihipStream_tbEUlT_E_NS1_11comp_targetILNS1_3genE5ELNS1_11target_archE942ELNS1_3gpuE9ELNS1_3repE0EEENS1_30default_config_static_selectorELNS0_4arch9wavefront6targetE0EEEvT1_
                                        ; -- End function
	.set _ZN7rocprim17ROCPRIM_400000_NS6detail17trampoline_kernelINS0_14default_configENS1_25transform_config_selectorINS0_10empty_typeELb1EEEZNS1_14transform_implILb1ES3_S6_PS5_S8_NS0_8identityIS5_EEEE10hipError_tT2_T3_mT4_P12ihipStream_tbEUlT_E_NS1_11comp_targetILNS1_3genE5ELNS1_11target_archE942ELNS1_3gpuE9ELNS1_3repE0EEENS1_30default_config_static_selectorELNS0_4arch9wavefront6targetE0EEEvT1_.num_vgpr, 0
	.set _ZN7rocprim17ROCPRIM_400000_NS6detail17trampoline_kernelINS0_14default_configENS1_25transform_config_selectorINS0_10empty_typeELb1EEEZNS1_14transform_implILb1ES3_S6_PS5_S8_NS0_8identityIS5_EEEE10hipError_tT2_T3_mT4_P12ihipStream_tbEUlT_E_NS1_11comp_targetILNS1_3genE5ELNS1_11target_archE942ELNS1_3gpuE9ELNS1_3repE0EEENS1_30default_config_static_selectorELNS0_4arch9wavefront6targetE0EEEvT1_.num_agpr, 0
	.set _ZN7rocprim17ROCPRIM_400000_NS6detail17trampoline_kernelINS0_14default_configENS1_25transform_config_selectorINS0_10empty_typeELb1EEEZNS1_14transform_implILb1ES3_S6_PS5_S8_NS0_8identityIS5_EEEE10hipError_tT2_T3_mT4_P12ihipStream_tbEUlT_E_NS1_11comp_targetILNS1_3genE5ELNS1_11target_archE942ELNS1_3gpuE9ELNS1_3repE0EEENS1_30default_config_static_selectorELNS0_4arch9wavefront6targetE0EEEvT1_.numbered_sgpr, 0
	.set _ZN7rocprim17ROCPRIM_400000_NS6detail17trampoline_kernelINS0_14default_configENS1_25transform_config_selectorINS0_10empty_typeELb1EEEZNS1_14transform_implILb1ES3_S6_PS5_S8_NS0_8identityIS5_EEEE10hipError_tT2_T3_mT4_P12ihipStream_tbEUlT_E_NS1_11comp_targetILNS1_3genE5ELNS1_11target_archE942ELNS1_3gpuE9ELNS1_3repE0EEENS1_30default_config_static_selectorELNS0_4arch9wavefront6targetE0EEEvT1_.num_named_barrier, 0
	.set _ZN7rocprim17ROCPRIM_400000_NS6detail17trampoline_kernelINS0_14default_configENS1_25transform_config_selectorINS0_10empty_typeELb1EEEZNS1_14transform_implILb1ES3_S6_PS5_S8_NS0_8identityIS5_EEEE10hipError_tT2_T3_mT4_P12ihipStream_tbEUlT_E_NS1_11comp_targetILNS1_3genE5ELNS1_11target_archE942ELNS1_3gpuE9ELNS1_3repE0EEENS1_30default_config_static_selectorELNS0_4arch9wavefront6targetE0EEEvT1_.private_seg_size, 0
	.set _ZN7rocprim17ROCPRIM_400000_NS6detail17trampoline_kernelINS0_14default_configENS1_25transform_config_selectorINS0_10empty_typeELb1EEEZNS1_14transform_implILb1ES3_S6_PS5_S8_NS0_8identityIS5_EEEE10hipError_tT2_T3_mT4_P12ihipStream_tbEUlT_E_NS1_11comp_targetILNS1_3genE5ELNS1_11target_archE942ELNS1_3gpuE9ELNS1_3repE0EEENS1_30default_config_static_selectorELNS0_4arch9wavefront6targetE0EEEvT1_.uses_vcc, 0
	.set _ZN7rocprim17ROCPRIM_400000_NS6detail17trampoline_kernelINS0_14default_configENS1_25transform_config_selectorINS0_10empty_typeELb1EEEZNS1_14transform_implILb1ES3_S6_PS5_S8_NS0_8identityIS5_EEEE10hipError_tT2_T3_mT4_P12ihipStream_tbEUlT_E_NS1_11comp_targetILNS1_3genE5ELNS1_11target_archE942ELNS1_3gpuE9ELNS1_3repE0EEENS1_30default_config_static_selectorELNS0_4arch9wavefront6targetE0EEEvT1_.uses_flat_scratch, 0
	.set _ZN7rocprim17ROCPRIM_400000_NS6detail17trampoline_kernelINS0_14default_configENS1_25transform_config_selectorINS0_10empty_typeELb1EEEZNS1_14transform_implILb1ES3_S6_PS5_S8_NS0_8identityIS5_EEEE10hipError_tT2_T3_mT4_P12ihipStream_tbEUlT_E_NS1_11comp_targetILNS1_3genE5ELNS1_11target_archE942ELNS1_3gpuE9ELNS1_3repE0EEENS1_30default_config_static_selectorELNS0_4arch9wavefront6targetE0EEEvT1_.has_dyn_sized_stack, 0
	.set _ZN7rocprim17ROCPRIM_400000_NS6detail17trampoline_kernelINS0_14default_configENS1_25transform_config_selectorINS0_10empty_typeELb1EEEZNS1_14transform_implILb1ES3_S6_PS5_S8_NS0_8identityIS5_EEEE10hipError_tT2_T3_mT4_P12ihipStream_tbEUlT_E_NS1_11comp_targetILNS1_3genE5ELNS1_11target_archE942ELNS1_3gpuE9ELNS1_3repE0EEENS1_30default_config_static_selectorELNS0_4arch9wavefront6targetE0EEEvT1_.has_recursion, 0
	.set _ZN7rocprim17ROCPRIM_400000_NS6detail17trampoline_kernelINS0_14default_configENS1_25transform_config_selectorINS0_10empty_typeELb1EEEZNS1_14transform_implILb1ES3_S6_PS5_S8_NS0_8identityIS5_EEEE10hipError_tT2_T3_mT4_P12ihipStream_tbEUlT_E_NS1_11comp_targetILNS1_3genE5ELNS1_11target_archE942ELNS1_3gpuE9ELNS1_3repE0EEENS1_30default_config_static_selectorELNS0_4arch9wavefront6targetE0EEEvT1_.has_indirect_call, 0
	.section	.AMDGPU.csdata,"",@progbits
; Kernel info:
; codeLenInByte = 0
; TotalNumSgprs: 0
; NumVgprs: 0
; ScratchSize: 0
; MemoryBound: 0
; FloatMode: 240
; IeeeMode: 1
; LDSByteSize: 0 bytes/workgroup (compile time only)
; SGPRBlocks: 0
; VGPRBlocks: 0
; NumSGPRsForWavesPerEU: 1
; NumVGPRsForWavesPerEU: 1
; Occupancy: 16
; WaveLimiterHint : 0
; COMPUTE_PGM_RSRC2:SCRATCH_EN: 0
; COMPUTE_PGM_RSRC2:USER_SGPR: 6
; COMPUTE_PGM_RSRC2:TRAP_HANDLER: 0
; COMPUTE_PGM_RSRC2:TGID_X_EN: 1
; COMPUTE_PGM_RSRC2:TGID_Y_EN: 0
; COMPUTE_PGM_RSRC2:TGID_Z_EN: 0
; COMPUTE_PGM_RSRC2:TIDIG_COMP_CNT: 0
	.section	.text._ZN7rocprim17ROCPRIM_400000_NS6detail17trampoline_kernelINS0_14default_configENS1_25transform_config_selectorINS0_10empty_typeELb1EEEZNS1_14transform_implILb1ES3_S6_PS5_S8_NS0_8identityIS5_EEEE10hipError_tT2_T3_mT4_P12ihipStream_tbEUlT_E_NS1_11comp_targetILNS1_3genE4ELNS1_11target_archE910ELNS1_3gpuE8ELNS1_3repE0EEENS1_30default_config_static_selectorELNS0_4arch9wavefront6targetE0EEEvT1_,"axG",@progbits,_ZN7rocprim17ROCPRIM_400000_NS6detail17trampoline_kernelINS0_14default_configENS1_25transform_config_selectorINS0_10empty_typeELb1EEEZNS1_14transform_implILb1ES3_S6_PS5_S8_NS0_8identityIS5_EEEE10hipError_tT2_T3_mT4_P12ihipStream_tbEUlT_E_NS1_11comp_targetILNS1_3genE4ELNS1_11target_archE910ELNS1_3gpuE8ELNS1_3repE0EEENS1_30default_config_static_selectorELNS0_4arch9wavefront6targetE0EEEvT1_,comdat
	.protected	_ZN7rocprim17ROCPRIM_400000_NS6detail17trampoline_kernelINS0_14default_configENS1_25transform_config_selectorINS0_10empty_typeELb1EEEZNS1_14transform_implILb1ES3_S6_PS5_S8_NS0_8identityIS5_EEEE10hipError_tT2_T3_mT4_P12ihipStream_tbEUlT_E_NS1_11comp_targetILNS1_3genE4ELNS1_11target_archE910ELNS1_3gpuE8ELNS1_3repE0EEENS1_30default_config_static_selectorELNS0_4arch9wavefront6targetE0EEEvT1_ ; -- Begin function _ZN7rocprim17ROCPRIM_400000_NS6detail17trampoline_kernelINS0_14default_configENS1_25transform_config_selectorINS0_10empty_typeELb1EEEZNS1_14transform_implILb1ES3_S6_PS5_S8_NS0_8identityIS5_EEEE10hipError_tT2_T3_mT4_P12ihipStream_tbEUlT_E_NS1_11comp_targetILNS1_3genE4ELNS1_11target_archE910ELNS1_3gpuE8ELNS1_3repE0EEENS1_30default_config_static_selectorELNS0_4arch9wavefront6targetE0EEEvT1_
	.globl	_ZN7rocprim17ROCPRIM_400000_NS6detail17trampoline_kernelINS0_14default_configENS1_25transform_config_selectorINS0_10empty_typeELb1EEEZNS1_14transform_implILb1ES3_S6_PS5_S8_NS0_8identityIS5_EEEE10hipError_tT2_T3_mT4_P12ihipStream_tbEUlT_E_NS1_11comp_targetILNS1_3genE4ELNS1_11target_archE910ELNS1_3gpuE8ELNS1_3repE0EEENS1_30default_config_static_selectorELNS0_4arch9wavefront6targetE0EEEvT1_
	.p2align	8
	.type	_ZN7rocprim17ROCPRIM_400000_NS6detail17trampoline_kernelINS0_14default_configENS1_25transform_config_selectorINS0_10empty_typeELb1EEEZNS1_14transform_implILb1ES3_S6_PS5_S8_NS0_8identityIS5_EEEE10hipError_tT2_T3_mT4_P12ihipStream_tbEUlT_E_NS1_11comp_targetILNS1_3genE4ELNS1_11target_archE910ELNS1_3gpuE8ELNS1_3repE0EEENS1_30default_config_static_selectorELNS0_4arch9wavefront6targetE0EEEvT1_,@function
_ZN7rocprim17ROCPRIM_400000_NS6detail17trampoline_kernelINS0_14default_configENS1_25transform_config_selectorINS0_10empty_typeELb1EEEZNS1_14transform_implILb1ES3_S6_PS5_S8_NS0_8identityIS5_EEEE10hipError_tT2_T3_mT4_P12ihipStream_tbEUlT_E_NS1_11comp_targetILNS1_3genE4ELNS1_11target_archE910ELNS1_3gpuE8ELNS1_3repE0EEENS1_30default_config_static_selectorELNS0_4arch9wavefront6targetE0EEEvT1_: ; @_ZN7rocprim17ROCPRIM_400000_NS6detail17trampoline_kernelINS0_14default_configENS1_25transform_config_selectorINS0_10empty_typeELb1EEEZNS1_14transform_implILb1ES3_S6_PS5_S8_NS0_8identityIS5_EEEE10hipError_tT2_T3_mT4_P12ihipStream_tbEUlT_E_NS1_11comp_targetILNS1_3genE4ELNS1_11target_archE910ELNS1_3gpuE8ELNS1_3repE0EEENS1_30default_config_static_selectorELNS0_4arch9wavefront6targetE0EEEvT1_
; %bb.0:
	.section	.rodata,"a",@progbits
	.p2align	6, 0x0
	.amdhsa_kernel _ZN7rocprim17ROCPRIM_400000_NS6detail17trampoline_kernelINS0_14default_configENS1_25transform_config_selectorINS0_10empty_typeELb1EEEZNS1_14transform_implILb1ES3_S6_PS5_S8_NS0_8identityIS5_EEEE10hipError_tT2_T3_mT4_P12ihipStream_tbEUlT_E_NS1_11comp_targetILNS1_3genE4ELNS1_11target_archE910ELNS1_3gpuE8ELNS1_3repE0EEENS1_30default_config_static_selectorELNS0_4arch9wavefront6targetE0EEEvT1_
		.amdhsa_group_segment_fixed_size 0
		.amdhsa_private_segment_fixed_size 0
		.amdhsa_kernarg_size 40
		.amdhsa_user_sgpr_count 6
		.amdhsa_user_sgpr_private_segment_buffer 1
		.amdhsa_user_sgpr_dispatch_ptr 0
		.amdhsa_user_sgpr_queue_ptr 0
		.amdhsa_user_sgpr_kernarg_segment_ptr 1
		.amdhsa_user_sgpr_dispatch_id 0
		.amdhsa_user_sgpr_flat_scratch_init 0
		.amdhsa_user_sgpr_private_segment_size 0
		.amdhsa_wavefront_size32 1
		.amdhsa_uses_dynamic_stack 0
		.amdhsa_system_sgpr_private_segment_wavefront_offset 0
		.amdhsa_system_sgpr_workgroup_id_x 1
		.amdhsa_system_sgpr_workgroup_id_y 0
		.amdhsa_system_sgpr_workgroup_id_z 0
		.amdhsa_system_sgpr_workgroup_info 0
		.amdhsa_system_vgpr_workitem_id 0
		.amdhsa_next_free_vgpr 1
		.amdhsa_next_free_sgpr 1
		.amdhsa_reserve_vcc 0
		.amdhsa_reserve_flat_scratch 0
		.amdhsa_float_round_mode_32 0
		.amdhsa_float_round_mode_16_64 0
		.amdhsa_float_denorm_mode_32 3
		.amdhsa_float_denorm_mode_16_64 3
		.amdhsa_dx10_clamp 1
		.amdhsa_ieee_mode 1
		.amdhsa_fp16_overflow 0
		.amdhsa_workgroup_processor_mode 1
		.amdhsa_memory_ordered 1
		.amdhsa_forward_progress 1
		.amdhsa_shared_vgpr_count 0
		.amdhsa_exception_fp_ieee_invalid_op 0
		.amdhsa_exception_fp_denorm_src 0
		.amdhsa_exception_fp_ieee_div_zero 0
		.amdhsa_exception_fp_ieee_overflow 0
		.amdhsa_exception_fp_ieee_underflow 0
		.amdhsa_exception_fp_ieee_inexact 0
		.amdhsa_exception_int_div_zero 0
	.end_amdhsa_kernel
	.section	.text._ZN7rocprim17ROCPRIM_400000_NS6detail17trampoline_kernelINS0_14default_configENS1_25transform_config_selectorINS0_10empty_typeELb1EEEZNS1_14transform_implILb1ES3_S6_PS5_S8_NS0_8identityIS5_EEEE10hipError_tT2_T3_mT4_P12ihipStream_tbEUlT_E_NS1_11comp_targetILNS1_3genE4ELNS1_11target_archE910ELNS1_3gpuE8ELNS1_3repE0EEENS1_30default_config_static_selectorELNS0_4arch9wavefront6targetE0EEEvT1_,"axG",@progbits,_ZN7rocprim17ROCPRIM_400000_NS6detail17trampoline_kernelINS0_14default_configENS1_25transform_config_selectorINS0_10empty_typeELb1EEEZNS1_14transform_implILb1ES3_S6_PS5_S8_NS0_8identityIS5_EEEE10hipError_tT2_T3_mT4_P12ihipStream_tbEUlT_E_NS1_11comp_targetILNS1_3genE4ELNS1_11target_archE910ELNS1_3gpuE8ELNS1_3repE0EEENS1_30default_config_static_selectorELNS0_4arch9wavefront6targetE0EEEvT1_,comdat
.Lfunc_end84:
	.size	_ZN7rocprim17ROCPRIM_400000_NS6detail17trampoline_kernelINS0_14default_configENS1_25transform_config_selectorINS0_10empty_typeELb1EEEZNS1_14transform_implILb1ES3_S6_PS5_S8_NS0_8identityIS5_EEEE10hipError_tT2_T3_mT4_P12ihipStream_tbEUlT_E_NS1_11comp_targetILNS1_3genE4ELNS1_11target_archE910ELNS1_3gpuE8ELNS1_3repE0EEENS1_30default_config_static_selectorELNS0_4arch9wavefront6targetE0EEEvT1_, .Lfunc_end84-_ZN7rocprim17ROCPRIM_400000_NS6detail17trampoline_kernelINS0_14default_configENS1_25transform_config_selectorINS0_10empty_typeELb1EEEZNS1_14transform_implILb1ES3_S6_PS5_S8_NS0_8identityIS5_EEEE10hipError_tT2_T3_mT4_P12ihipStream_tbEUlT_E_NS1_11comp_targetILNS1_3genE4ELNS1_11target_archE910ELNS1_3gpuE8ELNS1_3repE0EEENS1_30default_config_static_selectorELNS0_4arch9wavefront6targetE0EEEvT1_
                                        ; -- End function
	.set _ZN7rocprim17ROCPRIM_400000_NS6detail17trampoline_kernelINS0_14default_configENS1_25transform_config_selectorINS0_10empty_typeELb1EEEZNS1_14transform_implILb1ES3_S6_PS5_S8_NS0_8identityIS5_EEEE10hipError_tT2_T3_mT4_P12ihipStream_tbEUlT_E_NS1_11comp_targetILNS1_3genE4ELNS1_11target_archE910ELNS1_3gpuE8ELNS1_3repE0EEENS1_30default_config_static_selectorELNS0_4arch9wavefront6targetE0EEEvT1_.num_vgpr, 0
	.set _ZN7rocprim17ROCPRIM_400000_NS6detail17trampoline_kernelINS0_14default_configENS1_25transform_config_selectorINS0_10empty_typeELb1EEEZNS1_14transform_implILb1ES3_S6_PS5_S8_NS0_8identityIS5_EEEE10hipError_tT2_T3_mT4_P12ihipStream_tbEUlT_E_NS1_11comp_targetILNS1_3genE4ELNS1_11target_archE910ELNS1_3gpuE8ELNS1_3repE0EEENS1_30default_config_static_selectorELNS0_4arch9wavefront6targetE0EEEvT1_.num_agpr, 0
	.set _ZN7rocprim17ROCPRIM_400000_NS6detail17trampoline_kernelINS0_14default_configENS1_25transform_config_selectorINS0_10empty_typeELb1EEEZNS1_14transform_implILb1ES3_S6_PS5_S8_NS0_8identityIS5_EEEE10hipError_tT2_T3_mT4_P12ihipStream_tbEUlT_E_NS1_11comp_targetILNS1_3genE4ELNS1_11target_archE910ELNS1_3gpuE8ELNS1_3repE0EEENS1_30default_config_static_selectorELNS0_4arch9wavefront6targetE0EEEvT1_.numbered_sgpr, 0
	.set _ZN7rocprim17ROCPRIM_400000_NS6detail17trampoline_kernelINS0_14default_configENS1_25transform_config_selectorINS0_10empty_typeELb1EEEZNS1_14transform_implILb1ES3_S6_PS5_S8_NS0_8identityIS5_EEEE10hipError_tT2_T3_mT4_P12ihipStream_tbEUlT_E_NS1_11comp_targetILNS1_3genE4ELNS1_11target_archE910ELNS1_3gpuE8ELNS1_3repE0EEENS1_30default_config_static_selectorELNS0_4arch9wavefront6targetE0EEEvT1_.num_named_barrier, 0
	.set _ZN7rocprim17ROCPRIM_400000_NS6detail17trampoline_kernelINS0_14default_configENS1_25transform_config_selectorINS0_10empty_typeELb1EEEZNS1_14transform_implILb1ES3_S6_PS5_S8_NS0_8identityIS5_EEEE10hipError_tT2_T3_mT4_P12ihipStream_tbEUlT_E_NS1_11comp_targetILNS1_3genE4ELNS1_11target_archE910ELNS1_3gpuE8ELNS1_3repE0EEENS1_30default_config_static_selectorELNS0_4arch9wavefront6targetE0EEEvT1_.private_seg_size, 0
	.set _ZN7rocprim17ROCPRIM_400000_NS6detail17trampoline_kernelINS0_14default_configENS1_25transform_config_selectorINS0_10empty_typeELb1EEEZNS1_14transform_implILb1ES3_S6_PS5_S8_NS0_8identityIS5_EEEE10hipError_tT2_T3_mT4_P12ihipStream_tbEUlT_E_NS1_11comp_targetILNS1_3genE4ELNS1_11target_archE910ELNS1_3gpuE8ELNS1_3repE0EEENS1_30default_config_static_selectorELNS0_4arch9wavefront6targetE0EEEvT1_.uses_vcc, 0
	.set _ZN7rocprim17ROCPRIM_400000_NS6detail17trampoline_kernelINS0_14default_configENS1_25transform_config_selectorINS0_10empty_typeELb1EEEZNS1_14transform_implILb1ES3_S6_PS5_S8_NS0_8identityIS5_EEEE10hipError_tT2_T3_mT4_P12ihipStream_tbEUlT_E_NS1_11comp_targetILNS1_3genE4ELNS1_11target_archE910ELNS1_3gpuE8ELNS1_3repE0EEENS1_30default_config_static_selectorELNS0_4arch9wavefront6targetE0EEEvT1_.uses_flat_scratch, 0
	.set _ZN7rocprim17ROCPRIM_400000_NS6detail17trampoline_kernelINS0_14default_configENS1_25transform_config_selectorINS0_10empty_typeELb1EEEZNS1_14transform_implILb1ES3_S6_PS5_S8_NS0_8identityIS5_EEEE10hipError_tT2_T3_mT4_P12ihipStream_tbEUlT_E_NS1_11comp_targetILNS1_3genE4ELNS1_11target_archE910ELNS1_3gpuE8ELNS1_3repE0EEENS1_30default_config_static_selectorELNS0_4arch9wavefront6targetE0EEEvT1_.has_dyn_sized_stack, 0
	.set _ZN7rocprim17ROCPRIM_400000_NS6detail17trampoline_kernelINS0_14default_configENS1_25transform_config_selectorINS0_10empty_typeELb1EEEZNS1_14transform_implILb1ES3_S6_PS5_S8_NS0_8identityIS5_EEEE10hipError_tT2_T3_mT4_P12ihipStream_tbEUlT_E_NS1_11comp_targetILNS1_3genE4ELNS1_11target_archE910ELNS1_3gpuE8ELNS1_3repE0EEENS1_30default_config_static_selectorELNS0_4arch9wavefront6targetE0EEEvT1_.has_recursion, 0
	.set _ZN7rocprim17ROCPRIM_400000_NS6detail17trampoline_kernelINS0_14default_configENS1_25transform_config_selectorINS0_10empty_typeELb1EEEZNS1_14transform_implILb1ES3_S6_PS5_S8_NS0_8identityIS5_EEEE10hipError_tT2_T3_mT4_P12ihipStream_tbEUlT_E_NS1_11comp_targetILNS1_3genE4ELNS1_11target_archE910ELNS1_3gpuE8ELNS1_3repE0EEENS1_30default_config_static_selectorELNS0_4arch9wavefront6targetE0EEEvT1_.has_indirect_call, 0
	.section	.AMDGPU.csdata,"",@progbits
; Kernel info:
; codeLenInByte = 0
; TotalNumSgprs: 0
; NumVgprs: 0
; ScratchSize: 0
; MemoryBound: 0
; FloatMode: 240
; IeeeMode: 1
; LDSByteSize: 0 bytes/workgroup (compile time only)
; SGPRBlocks: 0
; VGPRBlocks: 0
; NumSGPRsForWavesPerEU: 1
; NumVGPRsForWavesPerEU: 1
; Occupancy: 16
; WaveLimiterHint : 0
; COMPUTE_PGM_RSRC2:SCRATCH_EN: 0
; COMPUTE_PGM_RSRC2:USER_SGPR: 6
; COMPUTE_PGM_RSRC2:TRAP_HANDLER: 0
; COMPUTE_PGM_RSRC2:TGID_X_EN: 1
; COMPUTE_PGM_RSRC2:TGID_Y_EN: 0
; COMPUTE_PGM_RSRC2:TGID_Z_EN: 0
; COMPUTE_PGM_RSRC2:TIDIG_COMP_CNT: 0
	.section	.text._ZN7rocprim17ROCPRIM_400000_NS6detail17trampoline_kernelINS0_14default_configENS1_25transform_config_selectorINS0_10empty_typeELb1EEEZNS1_14transform_implILb1ES3_S6_PS5_S8_NS0_8identityIS5_EEEE10hipError_tT2_T3_mT4_P12ihipStream_tbEUlT_E_NS1_11comp_targetILNS1_3genE3ELNS1_11target_archE908ELNS1_3gpuE7ELNS1_3repE0EEENS1_30default_config_static_selectorELNS0_4arch9wavefront6targetE0EEEvT1_,"axG",@progbits,_ZN7rocprim17ROCPRIM_400000_NS6detail17trampoline_kernelINS0_14default_configENS1_25transform_config_selectorINS0_10empty_typeELb1EEEZNS1_14transform_implILb1ES3_S6_PS5_S8_NS0_8identityIS5_EEEE10hipError_tT2_T3_mT4_P12ihipStream_tbEUlT_E_NS1_11comp_targetILNS1_3genE3ELNS1_11target_archE908ELNS1_3gpuE7ELNS1_3repE0EEENS1_30default_config_static_selectorELNS0_4arch9wavefront6targetE0EEEvT1_,comdat
	.protected	_ZN7rocprim17ROCPRIM_400000_NS6detail17trampoline_kernelINS0_14default_configENS1_25transform_config_selectorINS0_10empty_typeELb1EEEZNS1_14transform_implILb1ES3_S6_PS5_S8_NS0_8identityIS5_EEEE10hipError_tT2_T3_mT4_P12ihipStream_tbEUlT_E_NS1_11comp_targetILNS1_3genE3ELNS1_11target_archE908ELNS1_3gpuE7ELNS1_3repE0EEENS1_30default_config_static_selectorELNS0_4arch9wavefront6targetE0EEEvT1_ ; -- Begin function _ZN7rocprim17ROCPRIM_400000_NS6detail17trampoline_kernelINS0_14default_configENS1_25transform_config_selectorINS0_10empty_typeELb1EEEZNS1_14transform_implILb1ES3_S6_PS5_S8_NS0_8identityIS5_EEEE10hipError_tT2_T3_mT4_P12ihipStream_tbEUlT_E_NS1_11comp_targetILNS1_3genE3ELNS1_11target_archE908ELNS1_3gpuE7ELNS1_3repE0EEENS1_30default_config_static_selectorELNS0_4arch9wavefront6targetE0EEEvT1_
	.globl	_ZN7rocprim17ROCPRIM_400000_NS6detail17trampoline_kernelINS0_14default_configENS1_25transform_config_selectorINS0_10empty_typeELb1EEEZNS1_14transform_implILb1ES3_S6_PS5_S8_NS0_8identityIS5_EEEE10hipError_tT2_T3_mT4_P12ihipStream_tbEUlT_E_NS1_11comp_targetILNS1_3genE3ELNS1_11target_archE908ELNS1_3gpuE7ELNS1_3repE0EEENS1_30default_config_static_selectorELNS0_4arch9wavefront6targetE0EEEvT1_
	.p2align	8
	.type	_ZN7rocprim17ROCPRIM_400000_NS6detail17trampoline_kernelINS0_14default_configENS1_25transform_config_selectorINS0_10empty_typeELb1EEEZNS1_14transform_implILb1ES3_S6_PS5_S8_NS0_8identityIS5_EEEE10hipError_tT2_T3_mT4_P12ihipStream_tbEUlT_E_NS1_11comp_targetILNS1_3genE3ELNS1_11target_archE908ELNS1_3gpuE7ELNS1_3repE0EEENS1_30default_config_static_selectorELNS0_4arch9wavefront6targetE0EEEvT1_,@function
_ZN7rocprim17ROCPRIM_400000_NS6detail17trampoline_kernelINS0_14default_configENS1_25transform_config_selectorINS0_10empty_typeELb1EEEZNS1_14transform_implILb1ES3_S6_PS5_S8_NS0_8identityIS5_EEEE10hipError_tT2_T3_mT4_P12ihipStream_tbEUlT_E_NS1_11comp_targetILNS1_3genE3ELNS1_11target_archE908ELNS1_3gpuE7ELNS1_3repE0EEENS1_30default_config_static_selectorELNS0_4arch9wavefront6targetE0EEEvT1_: ; @_ZN7rocprim17ROCPRIM_400000_NS6detail17trampoline_kernelINS0_14default_configENS1_25transform_config_selectorINS0_10empty_typeELb1EEEZNS1_14transform_implILb1ES3_S6_PS5_S8_NS0_8identityIS5_EEEE10hipError_tT2_T3_mT4_P12ihipStream_tbEUlT_E_NS1_11comp_targetILNS1_3genE3ELNS1_11target_archE908ELNS1_3gpuE7ELNS1_3repE0EEENS1_30default_config_static_selectorELNS0_4arch9wavefront6targetE0EEEvT1_
; %bb.0:
	.section	.rodata,"a",@progbits
	.p2align	6, 0x0
	.amdhsa_kernel _ZN7rocprim17ROCPRIM_400000_NS6detail17trampoline_kernelINS0_14default_configENS1_25transform_config_selectorINS0_10empty_typeELb1EEEZNS1_14transform_implILb1ES3_S6_PS5_S8_NS0_8identityIS5_EEEE10hipError_tT2_T3_mT4_P12ihipStream_tbEUlT_E_NS1_11comp_targetILNS1_3genE3ELNS1_11target_archE908ELNS1_3gpuE7ELNS1_3repE0EEENS1_30default_config_static_selectorELNS0_4arch9wavefront6targetE0EEEvT1_
		.amdhsa_group_segment_fixed_size 0
		.amdhsa_private_segment_fixed_size 0
		.amdhsa_kernarg_size 40
		.amdhsa_user_sgpr_count 6
		.amdhsa_user_sgpr_private_segment_buffer 1
		.amdhsa_user_sgpr_dispatch_ptr 0
		.amdhsa_user_sgpr_queue_ptr 0
		.amdhsa_user_sgpr_kernarg_segment_ptr 1
		.amdhsa_user_sgpr_dispatch_id 0
		.amdhsa_user_sgpr_flat_scratch_init 0
		.amdhsa_user_sgpr_private_segment_size 0
		.amdhsa_wavefront_size32 1
		.amdhsa_uses_dynamic_stack 0
		.amdhsa_system_sgpr_private_segment_wavefront_offset 0
		.amdhsa_system_sgpr_workgroup_id_x 1
		.amdhsa_system_sgpr_workgroup_id_y 0
		.amdhsa_system_sgpr_workgroup_id_z 0
		.amdhsa_system_sgpr_workgroup_info 0
		.amdhsa_system_vgpr_workitem_id 0
		.amdhsa_next_free_vgpr 1
		.amdhsa_next_free_sgpr 1
		.amdhsa_reserve_vcc 0
		.amdhsa_reserve_flat_scratch 0
		.amdhsa_float_round_mode_32 0
		.amdhsa_float_round_mode_16_64 0
		.amdhsa_float_denorm_mode_32 3
		.amdhsa_float_denorm_mode_16_64 3
		.amdhsa_dx10_clamp 1
		.amdhsa_ieee_mode 1
		.amdhsa_fp16_overflow 0
		.amdhsa_workgroup_processor_mode 1
		.amdhsa_memory_ordered 1
		.amdhsa_forward_progress 1
		.amdhsa_shared_vgpr_count 0
		.amdhsa_exception_fp_ieee_invalid_op 0
		.amdhsa_exception_fp_denorm_src 0
		.amdhsa_exception_fp_ieee_div_zero 0
		.amdhsa_exception_fp_ieee_overflow 0
		.amdhsa_exception_fp_ieee_underflow 0
		.amdhsa_exception_fp_ieee_inexact 0
		.amdhsa_exception_int_div_zero 0
	.end_amdhsa_kernel
	.section	.text._ZN7rocprim17ROCPRIM_400000_NS6detail17trampoline_kernelINS0_14default_configENS1_25transform_config_selectorINS0_10empty_typeELb1EEEZNS1_14transform_implILb1ES3_S6_PS5_S8_NS0_8identityIS5_EEEE10hipError_tT2_T3_mT4_P12ihipStream_tbEUlT_E_NS1_11comp_targetILNS1_3genE3ELNS1_11target_archE908ELNS1_3gpuE7ELNS1_3repE0EEENS1_30default_config_static_selectorELNS0_4arch9wavefront6targetE0EEEvT1_,"axG",@progbits,_ZN7rocprim17ROCPRIM_400000_NS6detail17trampoline_kernelINS0_14default_configENS1_25transform_config_selectorINS0_10empty_typeELb1EEEZNS1_14transform_implILb1ES3_S6_PS5_S8_NS0_8identityIS5_EEEE10hipError_tT2_T3_mT4_P12ihipStream_tbEUlT_E_NS1_11comp_targetILNS1_3genE3ELNS1_11target_archE908ELNS1_3gpuE7ELNS1_3repE0EEENS1_30default_config_static_selectorELNS0_4arch9wavefront6targetE0EEEvT1_,comdat
.Lfunc_end85:
	.size	_ZN7rocprim17ROCPRIM_400000_NS6detail17trampoline_kernelINS0_14default_configENS1_25transform_config_selectorINS0_10empty_typeELb1EEEZNS1_14transform_implILb1ES3_S6_PS5_S8_NS0_8identityIS5_EEEE10hipError_tT2_T3_mT4_P12ihipStream_tbEUlT_E_NS1_11comp_targetILNS1_3genE3ELNS1_11target_archE908ELNS1_3gpuE7ELNS1_3repE0EEENS1_30default_config_static_selectorELNS0_4arch9wavefront6targetE0EEEvT1_, .Lfunc_end85-_ZN7rocprim17ROCPRIM_400000_NS6detail17trampoline_kernelINS0_14default_configENS1_25transform_config_selectorINS0_10empty_typeELb1EEEZNS1_14transform_implILb1ES3_S6_PS5_S8_NS0_8identityIS5_EEEE10hipError_tT2_T3_mT4_P12ihipStream_tbEUlT_E_NS1_11comp_targetILNS1_3genE3ELNS1_11target_archE908ELNS1_3gpuE7ELNS1_3repE0EEENS1_30default_config_static_selectorELNS0_4arch9wavefront6targetE0EEEvT1_
                                        ; -- End function
	.set _ZN7rocprim17ROCPRIM_400000_NS6detail17trampoline_kernelINS0_14default_configENS1_25transform_config_selectorINS0_10empty_typeELb1EEEZNS1_14transform_implILb1ES3_S6_PS5_S8_NS0_8identityIS5_EEEE10hipError_tT2_T3_mT4_P12ihipStream_tbEUlT_E_NS1_11comp_targetILNS1_3genE3ELNS1_11target_archE908ELNS1_3gpuE7ELNS1_3repE0EEENS1_30default_config_static_selectorELNS0_4arch9wavefront6targetE0EEEvT1_.num_vgpr, 0
	.set _ZN7rocprim17ROCPRIM_400000_NS6detail17trampoline_kernelINS0_14default_configENS1_25transform_config_selectorINS0_10empty_typeELb1EEEZNS1_14transform_implILb1ES3_S6_PS5_S8_NS0_8identityIS5_EEEE10hipError_tT2_T3_mT4_P12ihipStream_tbEUlT_E_NS1_11comp_targetILNS1_3genE3ELNS1_11target_archE908ELNS1_3gpuE7ELNS1_3repE0EEENS1_30default_config_static_selectorELNS0_4arch9wavefront6targetE0EEEvT1_.num_agpr, 0
	.set _ZN7rocprim17ROCPRIM_400000_NS6detail17trampoline_kernelINS0_14default_configENS1_25transform_config_selectorINS0_10empty_typeELb1EEEZNS1_14transform_implILb1ES3_S6_PS5_S8_NS0_8identityIS5_EEEE10hipError_tT2_T3_mT4_P12ihipStream_tbEUlT_E_NS1_11comp_targetILNS1_3genE3ELNS1_11target_archE908ELNS1_3gpuE7ELNS1_3repE0EEENS1_30default_config_static_selectorELNS0_4arch9wavefront6targetE0EEEvT1_.numbered_sgpr, 0
	.set _ZN7rocprim17ROCPRIM_400000_NS6detail17trampoline_kernelINS0_14default_configENS1_25transform_config_selectorINS0_10empty_typeELb1EEEZNS1_14transform_implILb1ES3_S6_PS5_S8_NS0_8identityIS5_EEEE10hipError_tT2_T3_mT4_P12ihipStream_tbEUlT_E_NS1_11comp_targetILNS1_3genE3ELNS1_11target_archE908ELNS1_3gpuE7ELNS1_3repE0EEENS1_30default_config_static_selectorELNS0_4arch9wavefront6targetE0EEEvT1_.num_named_barrier, 0
	.set _ZN7rocprim17ROCPRIM_400000_NS6detail17trampoline_kernelINS0_14default_configENS1_25transform_config_selectorINS0_10empty_typeELb1EEEZNS1_14transform_implILb1ES3_S6_PS5_S8_NS0_8identityIS5_EEEE10hipError_tT2_T3_mT4_P12ihipStream_tbEUlT_E_NS1_11comp_targetILNS1_3genE3ELNS1_11target_archE908ELNS1_3gpuE7ELNS1_3repE0EEENS1_30default_config_static_selectorELNS0_4arch9wavefront6targetE0EEEvT1_.private_seg_size, 0
	.set _ZN7rocprim17ROCPRIM_400000_NS6detail17trampoline_kernelINS0_14default_configENS1_25transform_config_selectorINS0_10empty_typeELb1EEEZNS1_14transform_implILb1ES3_S6_PS5_S8_NS0_8identityIS5_EEEE10hipError_tT2_T3_mT4_P12ihipStream_tbEUlT_E_NS1_11comp_targetILNS1_3genE3ELNS1_11target_archE908ELNS1_3gpuE7ELNS1_3repE0EEENS1_30default_config_static_selectorELNS0_4arch9wavefront6targetE0EEEvT1_.uses_vcc, 0
	.set _ZN7rocprim17ROCPRIM_400000_NS6detail17trampoline_kernelINS0_14default_configENS1_25transform_config_selectorINS0_10empty_typeELb1EEEZNS1_14transform_implILb1ES3_S6_PS5_S8_NS0_8identityIS5_EEEE10hipError_tT2_T3_mT4_P12ihipStream_tbEUlT_E_NS1_11comp_targetILNS1_3genE3ELNS1_11target_archE908ELNS1_3gpuE7ELNS1_3repE0EEENS1_30default_config_static_selectorELNS0_4arch9wavefront6targetE0EEEvT1_.uses_flat_scratch, 0
	.set _ZN7rocprim17ROCPRIM_400000_NS6detail17trampoline_kernelINS0_14default_configENS1_25transform_config_selectorINS0_10empty_typeELb1EEEZNS1_14transform_implILb1ES3_S6_PS5_S8_NS0_8identityIS5_EEEE10hipError_tT2_T3_mT4_P12ihipStream_tbEUlT_E_NS1_11comp_targetILNS1_3genE3ELNS1_11target_archE908ELNS1_3gpuE7ELNS1_3repE0EEENS1_30default_config_static_selectorELNS0_4arch9wavefront6targetE0EEEvT1_.has_dyn_sized_stack, 0
	.set _ZN7rocprim17ROCPRIM_400000_NS6detail17trampoline_kernelINS0_14default_configENS1_25transform_config_selectorINS0_10empty_typeELb1EEEZNS1_14transform_implILb1ES3_S6_PS5_S8_NS0_8identityIS5_EEEE10hipError_tT2_T3_mT4_P12ihipStream_tbEUlT_E_NS1_11comp_targetILNS1_3genE3ELNS1_11target_archE908ELNS1_3gpuE7ELNS1_3repE0EEENS1_30default_config_static_selectorELNS0_4arch9wavefront6targetE0EEEvT1_.has_recursion, 0
	.set _ZN7rocprim17ROCPRIM_400000_NS6detail17trampoline_kernelINS0_14default_configENS1_25transform_config_selectorINS0_10empty_typeELb1EEEZNS1_14transform_implILb1ES3_S6_PS5_S8_NS0_8identityIS5_EEEE10hipError_tT2_T3_mT4_P12ihipStream_tbEUlT_E_NS1_11comp_targetILNS1_3genE3ELNS1_11target_archE908ELNS1_3gpuE7ELNS1_3repE0EEENS1_30default_config_static_selectorELNS0_4arch9wavefront6targetE0EEEvT1_.has_indirect_call, 0
	.section	.AMDGPU.csdata,"",@progbits
; Kernel info:
; codeLenInByte = 0
; TotalNumSgprs: 0
; NumVgprs: 0
; ScratchSize: 0
; MemoryBound: 0
; FloatMode: 240
; IeeeMode: 1
; LDSByteSize: 0 bytes/workgroup (compile time only)
; SGPRBlocks: 0
; VGPRBlocks: 0
; NumSGPRsForWavesPerEU: 1
; NumVGPRsForWavesPerEU: 1
; Occupancy: 16
; WaveLimiterHint : 0
; COMPUTE_PGM_RSRC2:SCRATCH_EN: 0
; COMPUTE_PGM_RSRC2:USER_SGPR: 6
; COMPUTE_PGM_RSRC2:TRAP_HANDLER: 0
; COMPUTE_PGM_RSRC2:TGID_X_EN: 1
; COMPUTE_PGM_RSRC2:TGID_Y_EN: 0
; COMPUTE_PGM_RSRC2:TGID_Z_EN: 0
; COMPUTE_PGM_RSRC2:TIDIG_COMP_CNT: 0
	.section	.text._ZN7rocprim17ROCPRIM_400000_NS6detail17trampoline_kernelINS0_14default_configENS1_25transform_config_selectorINS0_10empty_typeELb1EEEZNS1_14transform_implILb1ES3_S6_PS5_S8_NS0_8identityIS5_EEEE10hipError_tT2_T3_mT4_P12ihipStream_tbEUlT_E_NS1_11comp_targetILNS1_3genE2ELNS1_11target_archE906ELNS1_3gpuE6ELNS1_3repE0EEENS1_30default_config_static_selectorELNS0_4arch9wavefront6targetE0EEEvT1_,"axG",@progbits,_ZN7rocprim17ROCPRIM_400000_NS6detail17trampoline_kernelINS0_14default_configENS1_25transform_config_selectorINS0_10empty_typeELb1EEEZNS1_14transform_implILb1ES3_S6_PS5_S8_NS0_8identityIS5_EEEE10hipError_tT2_T3_mT4_P12ihipStream_tbEUlT_E_NS1_11comp_targetILNS1_3genE2ELNS1_11target_archE906ELNS1_3gpuE6ELNS1_3repE0EEENS1_30default_config_static_selectorELNS0_4arch9wavefront6targetE0EEEvT1_,comdat
	.protected	_ZN7rocprim17ROCPRIM_400000_NS6detail17trampoline_kernelINS0_14default_configENS1_25transform_config_selectorINS0_10empty_typeELb1EEEZNS1_14transform_implILb1ES3_S6_PS5_S8_NS0_8identityIS5_EEEE10hipError_tT2_T3_mT4_P12ihipStream_tbEUlT_E_NS1_11comp_targetILNS1_3genE2ELNS1_11target_archE906ELNS1_3gpuE6ELNS1_3repE0EEENS1_30default_config_static_selectorELNS0_4arch9wavefront6targetE0EEEvT1_ ; -- Begin function _ZN7rocprim17ROCPRIM_400000_NS6detail17trampoline_kernelINS0_14default_configENS1_25transform_config_selectorINS0_10empty_typeELb1EEEZNS1_14transform_implILb1ES3_S6_PS5_S8_NS0_8identityIS5_EEEE10hipError_tT2_T3_mT4_P12ihipStream_tbEUlT_E_NS1_11comp_targetILNS1_3genE2ELNS1_11target_archE906ELNS1_3gpuE6ELNS1_3repE0EEENS1_30default_config_static_selectorELNS0_4arch9wavefront6targetE0EEEvT1_
	.globl	_ZN7rocprim17ROCPRIM_400000_NS6detail17trampoline_kernelINS0_14default_configENS1_25transform_config_selectorINS0_10empty_typeELb1EEEZNS1_14transform_implILb1ES3_S6_PS5_S8_NS0_8identityIS5_EEEE10hipError_tT2_T3_mT4_P12ihipStream_tbEUlT_E_NS1_11comp_targetILNS1_3genE2ELNS1_11target_archE906ELNS1_3gpuE6ELNS1_3repE0EEENS1_30default_config_static_selectorELNS0_4arch9wavefront6targetE0EEEvT1_
	.p2align	8
	.type	_ZN7rocprim17ROCPRIM_400000_NS6detail17trampoline_kernelINS0_14default_configENS1_25transform_config_selectorINS0_10empty_typeELb1EEEZNS1_14transform_implILb1ES3_S6_PS5_S8_NS0_8identityIS5_EEEE10hipError_tT2_T3_mT4_P12ihipStream_tbEUlT_E_NS1_11comp_targetILNS1_3genE2ELNS1_11target_archE906ELNS1_3gpuE6ELNS1_3repE0EEENS1_30default_config_static_selectorELNS0_4arch9wavefront6targetE0EEEvT1_,@function
_ZN7rocprim17ROCPRIM_400000_NS6detail17trampoline_kernelINS0_14default_configENS1_25transform_config_selectorINS0_10empty_typeELb1EEEZNS1_14transform_implILb1ES3_S6_PS5_S8_NS0_8identityIS5_EEEE10hipError_tT2_T3_mT4_P12ihipStream_tbEUlT_E_NS1_11comp_targetILNS1_3genE2ELNS1_11target_archE906ELNS1_3gpuE6ELNS1_3repE0EEENS1_30default_config_static_selectorELNS0_4arch9wavefront6targetE0EEEvT1_: ; @_ZN7rocprim17ROCPRIM_400000_NS6detail17trampoline_kernelINS0_14default_configENS1_25transform_config_selectorINS0_10empty_typeELb1EEEZNS1_14transform_implILb1ES3_S6_PS5_S8_NS0_8identityIS5_EEEE10hipError_tT2_T3_mT4_P12ihipStream_tbEUlT_E_NS1_11comp_targetILNS1_3genE2ELNS1_11target_archE906ELNS1_3gpuE6ELNS1_3repE0EEENS1_30default_config_static_selectorELNS0_4arch9wavefront6targetE0EEEvT1_
; %bb.0:
	.section	.rodata,"a",@progbits
	.p2align	6, 0x0
	.amdhsa_kernel _ZN7rocprim17ROCPRIM_400000_NS6detail17trampoline_kernelINS0_14default_configENS1_25transform_config_selectorINS0_10empty_typeELb1EEEZNS1_14transform_implILb1ES3_S6_PS5_S8_NS0_8identityIS5_EEEE10hipError_tT2_T3_mT4_P12ihipStream_tbEUlT_E_NS1_11comp_targetILNS1_3genE2ELNS1_11target_archE906ELNS1_3gpuE6ELNS1_3repE0EEENS1_30default_config_static_selectorELNS0_4arch9wavefront6targetE0EEEvT1_
		.amdhsa_group_segment_fixed_size 0
		.amdhsa_private_segment_fixed_size 0
		.amdhsa_kernarg_size 40
		.amdhsa_user_sgpr_count 6
		.amdhsa_user_sgpr_private_segment_buffer 1
		.amdhsa_user_sgpr_dispatch_ptr 0
		.amdhsa_user_sgpr_queue_ptr 0
		.amdhsa_user_sgpr_kernarg_segment_ptr 1
		.amdhsa_user_sgpr_dispatch_id 0
		.amdhsa_user_sgpr_flat_scratch_init 0
		.amdhsa_user_sgpr_private_segment_size 0
		.amdhsa_wavefront_size32 1
		.amdhsa_uses_dynamic_stack 0
		.amdhsa_system_sgpr_private_segment_wavefront_offset 0
		.amdhsa_system_sgpr_workgroup_id_x 1
		.amdhsa_system_sgpr_workgroup_id_y 0
		.amdhsa_system_sgpr_workgroup_id_z 0
		.amdhsa_system_sgpr_workgroup_info 0
		.amdhsa_system_vgpr_workitem_id 0
		.amdhsa_next_free_vgpr 1
		.amdhsa_next_free_sgpr 1
		.amdhsa_reserve_vcc 0
		.amdhsa_reserve_flat_scratch 0
		.amdhsa_float_round_mode_32 0
		.amdhsa_float_round_mode_16_64 0
		.amdhsa_float_denorm_mode_32 3
		.amdhsa_float_denorm_mode_16_64 3
		.amdhsa_dx10_clamp 1
		.amdhsa_ieee_mode 1
		.amdhsa_fp16_overflow 0
		.amdhsa_workgroup_processor_mode 1
		.amdhsa_memory_ordered 1
		.amdhsa_forward_progress 1
		.amdhsa_shared_vgpr_count 0
		.amdhsa_exception_fp_ieee_invalid_op 0
		.amdhsa_exception_fp_denorm_src 0
		.amdhsa_exception_fp_ieee_div_zero 0
		.amdhsa_exception_fp_ieee_overflow 0
		.amdhsa_exception_fp_ieee_underflow 0
		.amdhsa_exception_fp_ieee_inexact 0
		.amdhsa_exception_int_div_zero 0
	.end_amdhsa_kernel
	.section	.text._ZN7rocprim17ROCPRIM_400000_NS6detail17trampoline_kernelINS0_14default_configENS1_25transform_config_selectorINS0_10empty_typeELb1EEEZNS1_14transform_implILb1ES3_S6_PS5_S8_NS0_8identityIS5_EEEE10hipError_tT2_T3_mT4_P12ihipStream_tbEUlT_E_NS1_11comp_targetILNS1_3genE2ELNS1_11target_archE906ELNS1_3gpuE6ELNS1_3repE0EEENS1_30default_config_static_selectorELNS0_4arch9wavefront6targetE0EEEvT1_,"axG",@progbits,_ZN7rocprim17ROCPRIM_400000_NS6detail17trampoline_kernelINS0_14default_configENS1_25transform_config_selectorINS0_10empty_typeELb1EEEZNS1_14transform_implILb1ES3_S6_PS5_S8_NS0_8identityIS5_EEEE10hipError_tT2_T3_mT4_P12ihipStream_tbEUlT_E_NS1_11comp_targetILNS1_3genE2ELNS1_11target_archE906ELNS1_3gpuE6ELNS1_3repE0EEENS1_30default_config_static_selectorELNS0_4arch9wavefront6targetE0EEEvT1_,comdat
.Lfunc_end86:
	.size	_ZN7rocprim17ROCPRIM_400000_NS6detail17trampoline_kernelINS0_14default_configENS1_25transform_config_selectorINS0_10empty_typeELb1EEEZNS1_14transform_implILb1ES3_S6_PS5_S8_NS0_8identityIS5_EEEE10hipError_tT2_T3_mT4_P12ihipStream_tbEUlT_E_NS1_11comp_targetILNS1_3genE2ELNS1_11target_archE906ELNS1_3gpuE6ELNS1_3repE0EEENS1_30default_config_static_selectorELNS0_4arch9wavefront6targetE0EEEvT1_, .Lfunc_end86-_ZN7rocprim17ROCPRIM_400000_NS6detail17trampoline_kernelINS0_14default_configENS1_25transform_config_selectorINS0_10empty_typeELb1EEEZNS1_14transform_implILb1ES3_S6_PS5_S8_NS0_8identityIS5_EEEE10hipError_tT2_T3_mT4_P12ihipStream_tbEUlT_E_NS1_11comp_targetILNS1_3genE2ELNS1_11target_archE906ELNS1_3gpuE6ELNS1_3repE0EEENS1_30default_config_static_selectorELNS0_4arch9wavefront6targetE0EEEvT1_
                                        ; -- End function
	.set _ZN7rocprim17ROCPRIM_400000_NS6detail17trampoline_kernelINS0_14default_configENS1_25transform_config_selectorINS0_10empty_typeELb1EEEZNS1_14transform_implILb1ES3_S6_PS5_S8_NS0_8identityIS5_EEEE10hipError_tT2_T3_mT4_P12ihipStream_tbEUlT_E_NS1_11comp_targetILNS1_3genE2ELNS1_11target_archE906ELNS1_3gpuE6ELNS1_3repE0EEENS1_30default_config_static_selectorELNS0_4arch9wavefront6targetE0EEEvT1_.num_vgpr, 0
	.set _ZN7rocprim17ROCPRIM_400000_NS6detail17trampoline_kernelINS0_14default_configENS1_25transform_config_selectorINS0_10empty_typeELb1EEEZNS1_14transform_implILb1ES3_S6_PS5_S8_NS0_8identityIS5_EEEE10hipError_tT2_T3_mT4_P12ihipStream_tbEUlT_E_NS1_11comp_targetILNS1_3genE2ELNS1_11target_archE906ELNS1_3gpuE6ELNS1_3repE0EEENS1_30default_config_static_selectorELNS0_4arch9wavefront6targetE0EEEvT1_.num_agpr, 0
	.set _ZN7rocprim17ROCPRIM_400000_NS6detail17trampoline_kernelINS0_14default_configENS1_25transform_config_selectorINS0_10empty_typeELb1EEEZNS1_14transform_implILb1ES3_S6_PS5_S8_NS0_8identityIS5_EEEE10hipError_tT2_T3_mT4_P12ihipStream_tbEUlT_E_NS1_11comp_targetILNS1_3genE2ELNS1_11target_archE906ELNS1_3gpuE6ELNS1_3repE0EEENS1_30default_config_static_selectorELNS0_4arch9wavefront6targetE0EEEvT1_.numbered_sgpr, 0
	.set _ZN7rocprim17ROCPRIM_400000_NS6detail17trampoline_kernelINS0_14default_configENS1_25transform_config_selectorINS0_10empty_typeELb1EEEZNS1_14transform_implILb1ES3_S6_PS5_S8_NS0_8identityIS5_EEEE10hipError_tT2_T3_mT4_P12ihipStream_tbEUlT_E_NS1_11comp_targetILNS1_3genE2ELNS1_11target_archE906ELNS1_3gpuE6ELNS1_3repE0EEENS1_30default_config_static_selectorELNS0_4arch9wavefront6targetE0EEEvT1_.num_named_barrier, 0
	.set _ZN7rocprim17ROCPRIM_400000_NS6detail17trampoline_kernelINS0_14default_configENS1_25transform_config_selectorINS0_10empty_typeELb1EEEZNS1_14transform_implILb1ES3_S6_PS5_S8_NS0_8identityIS5_EEEE10hipError_tT2_T3_mT4_P12ihipStream_tbEUlT_E_NS1_11comp_targetILNS1_3genE2ELNS1_11target_archE906ELNS1_3gpuE6ELNS1_3repE0EEENS1_30default_config_static_selectorELNS0_4arch9wavefront6targetE0EEEvT1_.private_seg_size, 0
	.set _ZN7rocprim17ROCPRIM_400000_NS6detail17trampoline_kernelINS0_14default_configENS1_25transform_config_selectorINS0_10empty_typeELb1EEEZNS1_14transform_implILb1ES3_S6_PS5_S8_NS0_8identityIS5_EEEE10hipError_tT2_T3_mT4_P12ihipStream_tbEUlT_E_NS1_11comp_targetILNS1_3genE2ELNS1_11target_archE906ELNS1_3gpuE6ELNS1_3repE0EEENS1_30default_config_static_selectorELNS0_4arch9wavefront6targetE0EEEvT1_.uses_vcc, 0
	.set _ZN7rocprim17ROCPRIM_400000_NS6detail17trampoline_kernelINS0_14default_configENS1_25transform_config_selectorINS0_10empty_typeELb1EEEZNS1_14transform_implILb1ES3_S6_PS5_S8_NS0_8identityIS5_EEEE10hipError_tT2_T3_mT4_P12ihipStream_tbEUlT_E_NS1_11comp_targetILNS1_3genE2ELNS1_11target_archE906ELNS1_3gpuE6ELNS1_3repE0EEENS1_30default_config_static_selectorELNS0_4arch9wavefront6targetE0EEEvT1_.uses_flat_scratch, 0
	.set _ZN7rocprim17ROCPRIM_400000_NS6detail17trampoline_kernelINS0_14default_configENS1_25transform_config_selectorINS0_10empty_typeELb1EEEZNS1_14transform_implILb1ES3_S6_PS5_S8_NS0_8identityIS5_EEEE10hipError_tT2_T3_mT4_P12ihipStream_tbEUlT_E_NS1_11comp_targetILNS1_3genE2ELNS1_11target_archE906ELNS1_3gpuE6ELNS1_3repE0EEENS1_30default_config_static_selectorELNS0_4arch9wavefront6targetE0EEEvT1_.has_dyn_sized_stack, 0
	.set _ZN7rocprim17ROCPRIM_400000_NS6detail17trampoline_kernelINS0_14default_configENS1_25transform_config_selectorINS0_10empty_typeELb1EEEZNS1_14transform_implILb1ES3_S6_PS5_S8_NS0_8identityIS5_EEEE10hipError_tT2_T3_mT4_P12ihipStream_tbEUlT_E_NS1_11comp_targetILNS1_3genE2ELNS1_11target_archE906ELNS1_3gpuE6ELNS1_3repE0EEENS1_30default_config_static_selectorELNS0_4arch9wavefront6targetE0EEEvT1_.has_recursion, 0
	.set _ZN7rocprim17ROCPRIM_400000_NS6detail17trampoline_kernelINS0_14default_configENS1_25transform_config_selectorINS0_10empty_typeELb1EEEZNS1_14transform_implILb1ES3_S6_PS5_S8_NS0_8identityIS5_EEEE10hipError_tT2_T3_mT4_P12ihipStream_tbEUlT_E_NS1_11comp_targetILNS1_3genE2ELNS1_11target_archE906ELNS1_3gpuE6ELNS1_3repE0EEENS1_30default_config_static_selectorELNS0_4arch9wavefront6targetE0EEEvT1_.has_indirect_call, 0
	.section	.AMDGPU.csdata,"",@progbits
; Kernel info:
; codeLenInByte = 0
; TotalNumSgprs: 0
; NumVgprs: 0
; ScratchSize: 0
; MemoryBound: 0
; FloatMode: 240
; IeeeMode: 1
; LDSByteSize: 0 bytes/workgroup (compile time only)
; SGPRBlocks: 0
; VGPRBlocks: 0
; NumSGPRsForWavesPerEU: 1
; NumVGPRsForWavesPerEU: 1
; Occupancy: 16
; WaveLimiterHint : 0
; COMPUTE_PGM_RSRC2:SCRATCH_EN: 0
; COMPUTE_PGM_RSRC2:USER_SGPR: 6
; COMPUTE_PGM_RSRC2:TRAP_HANDLER: 0
; COMPUTE_PGM_RSRC2:TGID_X_EN: 1
; COMPUTE_PGM_RSRC2:TGID_Y_EN: 0
; COMPUTE_PGM_RSRC2:TGID_Z_EN: 0
; COMPUTE_PGM_RSRC2:TIDIG_COMP_CNT: 0
	.section	.text._ZN7rocprim17ROCPRIM_400000_NS6detail17trampoline_kernelINS0_14default_configENS1_25transform_config_selectorINS0_10empty_typeELb1EEEZNS1_14transform_implILb1ES3_S6_PS5_S8_NS0_8identityIS5_EEEE10hipError_tT2_T3_mT4_P12ihipStream_tbEUlT_E_NS1_11comp_targetILNS1_3genE9ELNS1_11target_archE1100ELNS1_3gpuE3ELNS1_3repE0EEENS1_30default_config_static_selectorELNS0_4arch9wavefront6targetE0EEEvT1_,"axG",@progbits,_ZN7rocprim17ROCPRIM_400000_NS6detail17trampoline_kernelINS0_14default_configENS1_25transform_config_selectorINS0_10empty_typeELb1EEEZNS1_14transform_implILb1ES3_S6_PS5_S8_NS0_8identityIS5_EEEE10hipError_tT2_T3_mT4_P12ihipStream_tbEUlT_E_NS1_11comp_targetILNS1_3genE9ELNS1_11target_archE1100ELNS1_3gpuE3ELNS1_3repE0EEENS1_30default_config_static_selectorELNS0_4arch9wavefront6targetE0EEEvT1_,comdat
	.protected	_ZN7rocprim17ROCPRIM_400000_NS6detail17trampoline_kernelINS0_14default_configENS1_25transform_config_selectorINS0_10empty_typeELb1EEEZNS1_14transform_implILb1ES3_S6_PS5_S8_NS0_8identityIS5_EEEE10hipError_tT2_T3_mT4_P12ihipStream_tbEUlT_E_NS1_11comp_targetILNS1_3genE9ELNS1_11target_archE1100ELNS1_3gpuE3ELNS1_3repE0EEENS1_30default_config_static_selectorELNS0_4arch9wavefront6targetE0EEEvT1_ ; -- Begin function _ZN7rocprim17ROCPRIM_400000_NS6detail17trampoline_kernelINS0_14default_configENS1_25transform_config_selectorINS0_10empty_typeELb1EEEZNS1_14transform_implILb1ES3_S6_PS5_S8_NS0_8identityIS5_EEEE10hipError_tT2_T3_mT4_P12ihipStream_tbEUlT_E_NS1_11comp_targetILNS1_3genE9ELNS1_11target_archE1100ELNS1_3gpuE3ELNS1_3repE0EEENS1_30default_config_static_selectorELNS0_4arch9wavefront6targetE0EEEvT1_
	.globl	_ZN7rocprim17ROCPRIM_400000_NS6detail17trampoline_kernelINS0_14default_configENS1_25transform_config_selectorINS0_10empty_typeELb1EEEZNS1_14transform_implILb1ES3_S6_PS5_S8_NS0_8identityIS5_EEEE10hipError_tT2_T3_mT4_P12ihipStream_tbEUlT_E_NS1_11comp_targetILNS1_3genE9ELNS1_11target_archE1100ELNS1_3gpuE3ELNS1_3repE0EEENS1_30default_config_static_selectorELNS0_4arch9wavefront6targetE0EEEvT1_
	.p2align	8
	.type	_ZN7rocprim17ROCPRIM_400000_NS6detail17trampoline_kernelINS0_14default_configENS1_25transform_config_selectorINS0_10empty_typeELb1EEEZNS1_14transform_implILb1ES3_S6_PS5_S8_NS0_8identityIS5_EEEE10hipError_tT2_T3_mT4_P12ihipStream_tbEUlT_E_NS1_11comp_targetILNS1_3genE9ELNS1_11target_archE1100ELNS1_3gpuE3ELNS1_3repE0EEENS1_30default_config_static_selectorELNS0_4arch9wavefront6targetE0EEEvT1_,@function
_ZN7rocprim17ROCPRIM_400000_NS6detail17trampoline_kernelINS0_14default_configENS1_25transform_config_selectorINS0_10empty_typeELb1EEEZNS1_14transform_implILb1ES3_S6_PS5_S8_NS0_8identityIS5_EEEE10hipError_tT2_T3_mT4_P12ihipStream_tbEUlT_E_NS1_11comp_targetILNS1_3genE9ELNS1_11target_archE1100ELNS1_3gpuE3ELNS1_3repE0EEENS1_30default_config_static_selectorELNS0_4arch9wavefront6targetE0EEEvT1_: ; @_ZN7rocprim17ROCPRIM_400000_NS6detail17trampoline_kernelINS0_14default_configENS1_25transform_config_selectorINS0_10empty_typeELb1EEEZNS1_14transform_implILb1ES3_S6_PS5_S8_NS0_8identityIS5_EEEE10hipError_tT2_T3_mT4_P12ihipStream_tbEUlT_E_NS1_11comp_targetILNS1_3genE9ELNS1_11target_archE1100ELNS1_3gpuE3ELNS1_3repE0EEENS1_30default_config_static_selectorELNS0_4arch9wavefront6targetE0EEEvT1_
; %bb.0:
	.section	.rodata,"a",@progbits
	.p2align	6, 0x0
	.amdhsa_kernel _ZN7rocprim17ROCPRIM_400000_NS6detail17trampoline_kernelINS0_14default_configENS1_25transform_config_selectorINS0_10empty_typeELb1EEEZNS1_14transform_implILb1ES3_S6_PS5_S8_NS0_8identityIS5_EEEE10hipError_tT2_T3_mT4_P12ihipStream_tbEUlT_E_NS1_11comp_targetILNS1_3genE9ELNS1_11target_archE1100ELNS1_3gpuE3ELNS1_3repE0EEENS1_30default_config_static_selectorELNS0_4arch9wavefront6targetE0EEEvT1_
		.amdhsa_group_segment_fixed_size 0
		.amdhsa_private_segment_fixed_size 0
		.amdhsa_kernarg_size 40
		.amdhsa_user_sgpr_count 6
		.amdhsa_user_sgpr_private_segment_buffer 1
		.amdhsa_user_sgpr_dispatch_ptr 0
		.amdhsa_user_sgpr_queue_ptr 0
		.amdhsa_user_sgpr_kernarg_segment_ptr 1
		.amdhsa_user_sgpr_dispatch_id 0
		.amdhsa_user_sgpr_flat_scratch_init 0
		.amdhsa_user_sgpr_private_segment_size 0
		.amdhsa_wavefront_size32 1
		.amdhsa_uses_dynamic_stack 0
		.amdhsa_system_sgpr_private_segment_wavefront_offset 0
		.amdhsa_system_sgpr_workgroup_id_x 1
		.amdhsa_system_sgpr_workgroup_id_y 0
		.amdhsa_system_sgpr_workgroup_id_z 0
		.amdhsa_system_sgpr_workgroup_info 0
		.amdhsa_system_vgpr_workitem_id 0
		.amdhsa_next_free_vgpr 1
		.amdhsa_next_free_sgpr 1
		.amdhsa_reserve_vcc 0
		.amdhsa_reserve_flat_scratch 0
		.amdhsa_float_round_mode_32 0
		.amdhsa_float_round_mode_16_64 0
		.amdhsa_float_denorm_mode_32 3
		.amdhsa_float_denorm_mode_16_64 3
		.amdhsa_dx10_clamp 1
		.amdhsa_ieee_mode 1
		.amdhsa_fp16_overflow 0
		.amdhsa_workgroup_processor_mode 1
		.amdhsa_memory_ordered 1
		.amdhsa_forward_progress 1
		.amdhsa_shared_vgpr_count 0
		.amdhsa_exception_fp_ieee_invalid_op 0
		.amdhsa_exception_fp_denorm_src 0
		.amdhsa_exception_fp_ieee_div_zero 0
		.amdhsa_exception_fp_ieee_overflow 0
		.amdhsa_exception_fp_ieee_underflow 0
		.amdhsa_exception_fp_ieee_inexact 0
		.amdhsa_exception_int_div_zero 0
	.end_amdhsa_kernel
	.section	.text._ZN7rocprim17ROCPRIM_400000_NS6detail17trampoline_kernelINS0_14default_configENS1_25transform_config_selectorINS0_10empty_typeELb1EEEZNS1_14transform_implILb1ES3_S6_PS5_S8_NS0_8identityIS5_EEEE10hipError_tT2_T3_mT4_P12ihipStream_tbEUlT_E_NS1_11comp_targetILNS1_3genE9ELNS1_11target_archE1100ELNS1_3gpuE3ELNS1_3repE0EEENS1_30default_config_static_selectorELNS0_4arch9wavefront6targetE0EEEvT1_,"axG",@progbits,_ZN7rocprim17ROCPRIM_400000_NS6detail17trampoline_kernelINS0_14default_configENS1_25transform_config_selectorINS0_10empty_typeELb1EEEZNS1_14transform_implILb1ES3_S6_PS5_S8_NS0_8identityIS5_EEEE10hipError_tT2_T3_mT4_P12ihipStream_tbEUlT_E_NS1_11comp_targetILNS1_3genE9ELNS1_11target_archE1100ELNS1_3gpuE3ELNS1_3repE0EEENS1_30default_config_static_selectorELNS0_4arch9wavefront6targetE0EEEvT1_,comdat
.Lfunc_end87:
	.size	_ZN7rocprim17ROCPRIM_400000_NS6detail17trampoline_kernelINS0_14default_configENS1_25transform_config_selectorINS0_10empty_typeELb1EEEZNS1_14transform_implILb1ES3_S6_PS5_S8_NS0_8identityIS5_EEEE10hipError_tT2_T3_mT4_P12ihipStream_tbEUlT_E_NS1_11comp_targetILNS1_3genE9ELNS1_11target_archE1100ELNS1_3gpuE3ELNS1_3repE0EEENS1_30default_config_static_selectorELNS0_4arch9wavefront6targetE0EEEvT1_, .Lfunc_end87-_ZN7rocprim17ROCPRIM_400000_NS6detail17trampoline_kernelINS0_14default_configENS1_25transform_config_selectorINS0_10empty_typeELb1EEEZNS1_14transform_implILb1ES3_S6_PS5_S8_NS0_8identityIS5_EEEE10hipError_tT2_T3_mT4_P12ihipStream_tbEUlT_E_NS1_11comp_targetILNS1_3genE9ELNS1_11target_archE1100ELNS1_3gpuE3ELNS1_3repE0EEENS1_30default_config_static_selectorELNS0_4arch9wavefront6targetE0EEEvT1_
                                        ; -- End function
	.set _ZN7rocprim17ROCPRIM_400000_NS6detail17trampoline_kernelINS0_14default_configENS1_25transform_config_selectorINS0_10empty_typeELb1EEEZNS1_14transform_implILb1ES3_S6_PS5_S8_NS0_8identityIS5_EEEE10hipError_tT2_T3_mT4_P12ihipStream_tbEUlT_E_NS1_11comp_targetILNS1_3genE9ELNS1_11target_archE1100ELNS1_3gpuE3ELNS1_3repE0EEENS1_30default_config_static_selectorELNS0_4arch9wavefront6targetE0EEEvT1_.num_vgpr, 0
	.set _ZN7rocprim17ROCPRIM_400000_NS6detail17trampoline_kernelINS0_14default_configENS1_25transform_config_selectorINS0_10empty_typeELb1EEEZNS1_14transform_implILb1ES3_S6_PS5_S8_NS0_8identityIS5_EEEE10hipError_tT2_T3_mT4_P12ihipStream_tbEUlT_E_NS1_11comp_targetILNS1_3genE9ELNS1_11target_archE1100ELNS1_3gpuE3ELNS1_3repE0EEENS1_30default_config_static_selectorELNS0_4arch9wavefront6targetE0EEEvT1_.num_agpr, 0
	.set _ZN7rocprim17ROCPRIM_400000_NS6detail17trampoline_kernelINS0_14default_configENS1_25transform_config_selectorINS0_10empty_typeELb1EEEZNS1_14transform_implILb1ES3_S6_PS5_S8_NS0_8identityIS5_EEEE10hipError_tT2_T3_mT4_P12ihipStream_tbEUlT_E_NS1_11comp_targetILNS1_3genE9ELNS1_11target_archE1100ELNS1_3gpuE3ELNS1_3repE0EEENS1_30default_config_static_selectorELNS0_4arch9wavefront6targetE0EEEvT1_.numbered_sgpr, 0
	.set _ZN7rocprim17ROCPRIM_400000_NS6detail17trampoline_kernelINS0_14default_configENS1_25transform_config_selectorINS0_10empty_typeELb1EEEZNS1_14transform_implILb1ES3_S6_PS5_S8_NS0_8identityIS5_EEEE10hipError_tT2_T3_mT4_P12ihipStream_tbEUlT_E_NS1_11comp_targetILNS1_3genE9ELNS1_11target_archE1100ELNS1_3gpuE3ELNS1_3repE0EEENS1_30default_config_static_selectorELNS0_4arch9wavefront6targetE0EEEvT1_.num_named_barrier, 0
	.set _ZN7rocprim17ROCPRIM_400000_NS6detail17trampoline_kernelINS0_14default_configENS1_25transform_config_selectorINS0_10empty_typeELb1EEEZNS1_14transform_implILb1ES3_S6_PS5_S8_NS0_8identityIS5_EEEE10hipError_tT2_T3_mT4_P12ihipStream_tbEUlT_E_NS1_11comp_targetILNS1_3genE9ELNS1_11target_archE1100ELNS1_3gpuE3ELNS1_3repE0EEENS1_30default_config_static_selectorELNS0_4arch9wavefront6targetE0EEEvT1_.private_seg_size, 0
	.set _ZN7rocprim17ROCPRIM_400000_NS6detail17trampoline_kernelINS0_14default_configENS1_25transform_config_selectorINS0_10empty_typeELb1EEEZNS1_14transform_implILb1ES3_S6_PS5_S8_NS0_8identityIS5_EEEE10hipError_tT2_T3_mT4_P12ihipStream_tbEUlT_E_NS1_11comp_targetILNS1_3genE9ELNS1_11target_archE1100ELNS1_3gpuE3ELNS1_3repE0EEENS1_30default_config_static_selectorELNS0_4arch9wavefront6targetE0EEEvT1_.uses_vcc, 0
	.set _ZN7rocprim17ROCPRIM_400000_NS6detail17trampoline_kernelINS0_14default_configENS1_25transform_config_selectorINS0_10empty_typeELb1EEEZNS1_14transform_implILb1ES3_S6_PS5_S8_NS0_8identityIS5_EEEE10hipError_tT2_T3_mT4_P12ihipStream_tbEUlT_E_NS1_11comp_targetILNS1_3genE9ELNS1_11target_archE1100ELNS1_3gpuE3ELNS1_3repE0EEENS1_30default_config_static_selectorELNS0_4arch9wavefront6targetE0EEEvT1_.uses_flat_scratch, 0
	.set _ZN7rocprim17ROCPRIM_400000_NS6detail17trampoline_kernelINS0_14default_configENS1_25transform_config_selectorINS0_10empty_typeELb1EEEZNS1_14transform_implILb1ES3_S6_PS5_S8_NS0_8identityIS5_EEEE10hipError_tT2_T3_mT4_P12ihipStream_tbEUlT_E_NS1_11comp_targetILNS1_3genE9ELNS1_11target_archE1100ELNS1_3gpuE3ELNS1_3repE0EEENS1_30default_config_static_selectorELNS0_4arch9wavefront6targetE0EEEvT1_.has_dyn_sized_stack, 0
	.set _ZN7rocprim17ROCPRIM_400000_NS6detail17trampoline_kernelINS0_14default_configENS1_25transform_config_selectorINS0_10empty_typeELb1EEEZNS1_14transform_implILb1ES3_S6_PS5_S8_NS0_8identityIS5_EEEE10hipError_tT2_T3_mT4_P12ihipStream_tbEUlT_E_NS1_11comp_targetILNS1_3genE9ELNS1_11target_archE1100ELNS1_3gpuE3ELNS1_3repE0EEENS1_30default_config_static_selectorELNS0_4arch9wavefront6targetE0EEEvT1_.has_recursion, 0
	.set _ZN7rocprim17ROCPRIM_400000_NS6detail17trampoline_kernelINS0_14default_configENS1_25transform_config_selectorINS0_10empty_typeELb1EEEZNS1_14transform_implILb1ES3_S6_PS5_S8_NS0_8identityIS5_EEEE10hipError_tT2_T3_mT4_P12ihipStream_tbEUlT_E_NS1_11comp_targetILNS1_3genE9ELNS1_11target_archE1100ELNS1_3gpuE3ELNS1_3repE0EEENS1_30default_config_static_selectorELNS0_4arch9wavefront6targetE0EEEvT1_.has_indirect_call, 0
	.section	.AMDGPU.csdata,"",@progbits
; Kernel info:
; codeLenInByte = 0
; TotalNumSgprs: 0
; NumVgprs: 0
; ScratchSize: 0
; MemoryBound: 0
; FloatMode: 240
; IeeeMode: 1
; LDSByteSize: 0 bytes/workgroup (compile time only)
; SGPRBlocks: 0
; VGPRBlocks: 0
; NumSGPRsForWavesPerEU: 1
; NumVGPRsForWavesPerEU: 1
; Occupancy: 16
; WaveLimiterHint : 0
; COMPUTE_PGM_RSRC2:SCRATCH_EN: 0
; COMPUTE_PGM_RSRC2:USER_SGPR: 6
; COMPUTE_PGM_RSRC2:TRAP_HANDLER: 0
; COMPUTE_PGM_RSRC2:TGID_X_EN: 1
; COMPUTE_PGM_RSRC2:TGID_Y_EN: 0
; COMPUTE_PGM_RSRC2:TGID_Z_EN: 0
; COMPUTE_PGM_RSRC2:TIDIG_COMP_CNT: 0
	.section	.text._ZN7rocprim17ROCPRIM_400000_NS6detail17trampoline_kernelINS0_14default_configENS1_25transform_config_selectorINS0_10empty_typeELb1EEEZNS1_14transform_implILb1ES3_S6_PS5_S8_NS0_8identityIS5_EEEE10hipError_tT2_T3_mT4_P12ihipStream_tbEUlT_E_NS1_11comp_targetILNS1_3genE8ELNS1_11target_archE1030ELNS1_3gpuE2ELNS1_3repE0EEENS1_30default_config_static_selectorELNS0_4arch9wavefront6targetE0EEEvT1_,"axG",@progbits,_ZN7rocprim17ROCPRIM_400000_NS6detail17trampoline_kernelINS0_14default_configENS1_25transform_config_selectorINS0_10empty_typeELb1EEEZNS1_14transform_implILb1ES3_S6_PS5_S8_NS0_8identityIS5_EEEE10hipError_tT2_T3_mT4_P12ihipStream_tbEUlT_E_NS1_11comp_targetILNS1_3genE8ELNS1_11target_archE1030ELNS1_3gpuE2ELNS1_3repE0EEENS1_30default_config_static_selectorELNS0_4arch9wavefront6targetE0EEEvT1_,comdat
	.protected	_ZN7rocprim17ROCPRIM_400000_NS6detail17trampoline_kernelINS0_14default_configENS1_25transform_config_selectorINS0_10empty_typeELb1EEEZNS1_14transform_implILb1ES3_S6_PS5_S8_NS0_8identityIS5_EEEE10hipError_tT2_T3_mT4_P12ihipStream_tbEUlT_E_NS1_11comp_targetILNS1_3genE8ELNS1_11target_archE1030ELNS1_3gpuE2ELNS1_3repE0EEENS1_30default_config_static_selectorELNS0_4arch9wavefront6targetE0EEEvT1_ ; -- Begin function _ZN7rocprim17ROCPRIM_400000_NS6detail17trampoline_kernelINS0_14default_configENS1_25transform_config_selectorINS0_10empty_typeELb1EEEZNS1_14transform_implILb1ES3_S6_PS5_S8_NS0_8identityIS5_EEEE10hipError_tT2_T3_mT4_P12ihipStream_tbEUlT_E_NS1_11comp_targetILNS1_3genE8ELNS1_11target_archE1030ELNS1_3gpuE2ELNS1_3repE0EEENS1_30default_config_static_selectorELNS0_4arch9wavefront6targetE0EEEvT1_
	.globl	_ZN7rocprim17ROCPRIM_400000_NS6detail17trampoline_kernelINS0_14default_configENS1_25transform_config_selectorINS0_10empty_typeELb1EEEZNS1_14transform_implILb1ES3_S6_PS5_S8_NS0_8identityIS5_EEEE10hipError_tT2_T3_mT4_P12ihipStream_tbEUlT_E_NS1_11comp_targetILNS1_3genE8ELNS1_11target_archE1030ELNS1_3gpuE2ELNS1_3repE0EEENS1_30default_config_static_selectorELNS0_4arch9wavefront6targetE0EEEvT1_
	.p2align	8
	.type	_ZN7rocprim17ROCPRIM_400000_NS6detail17trampoline_kernelINS0_14default_configENS1_25transform_config_selectorINS0_10empty_typeELb1EEEZNS1_14transform_implILb1ES3_S6_PS5_S8_NS0_8identityIS5_EEEE10hipError_tT2_T3_mT4_P12ihipStream_tbEUlT_E_NS1_11comp_targetILNS1_3genE8ELNS1_11target_archE1030ELNS1_3gpuE2ELNS1_3repE0EEENS1_30default_config_static_selectorELNS0_4arch9wavefront6targetE0EEEvT1_,@function
_ZN7rocprim17ROCPRIM_400000_NS6detail17trampoline_kernelINS0_14default_configENS1_25transform_config_selectorINS0_10empty_typeELb1EEEZNS1_14transform_implILb1ES3_S6_PS5_S8_NS0_8identityIS5_EEEE10hipError_tT2_T3_mT4_P12ihipStream_tbEUlT_E_NS1_11comp_targetILNS1_3genE8ELNS1_11target_archE1030ELNS1_3gpuE2ELNS1_3repE0EEENS1_30default_config_static_selectorELNS0_4arch9wavefront6targetE0EEEvT1_: ; @_ZN7rocprim17ROCPRIM_400000_NS6detail17trampoline_kernelINS0_14default_configENS1_25transform_config_selectorINS0_10empty_typeELb1EEEZNS1_14transform_implILb1ES3_S6_PS5_S8_NS0_8identityIS5_EEEE10hipError_tT2_T3_mT4_P12ihipStream_tbEUlT_E_NS1_11comp_targetILNS1_3genE8ELNS1_11target_archE1030ELNS1_3gpuE2ELNS1_3repE0EEENS1_30default_config_static_selectorELNS0_4arch9wavefront6targetE0EEEvT1_
; %bb.0:
	s_endpgm
	.section	.rodata,"a",@progbits
	.p2align	6, 0x0
	.amdhsa_kernel _ZN7rocprim17ROCPRIM_400000_NS6detail17trampoline_kernelINS0_14default_configENS1_25transform_config_selectorINS0_10empty_typeELb1EEEZNS1_14transform_implILb1ES3_S6_PS5_S8_NS0_8identityIS5_EEEE10hipError_tT2_T3_mT4_P12ihipStream_tbEUlT_E_NS1_11comp_targetILNS1_3genE8ELNS1_11target_archE1030ELNS1_3gpuE2ELNS1_3repE0EEENS1_30default_config_static_selectorELNS0_4arch9wavefront6targetE0EEEvT1_
		.amdhsa_group_segment_fixed_size 0
		.amdhsa_private_segment_fixed_size 0
		.amdhsa_kernarg_size 40
		.amdhsa_user_sgpr_count 6
		.amdhsa_user_sgpr_private_segment_buffer 1
		.amdhsa_user_sgpr_dispatch_ptr 0
		.amdhsa_user_sgpr_queue_ptr 0
		.amdhsa_user_sgpr_kernarg_segment_ptr 1
		.amdhsa_user_sgpr_dispatch_id 0
		.amdhsa_user_sgpr_flat_scratch_init 0
		.amdhsa_user_sgpr_private_segment_size 0
		.amdhsa_wavefront_size32 1
		.amdhsa_uses_dynamic_stack 0
		.amdhsa_system_sgpr_private_segment_wavefront_offset 0
		.amdhsa_system_sgpr_workgroup_id_x 1
		.amdhsa_system_sgpr_workgroup_id_y 0
		.amdhsa_system_sgpr_workgroup_id_z 0
		.amdhsa_system_sgpr_workgroup_info 0
		.amdhsa_system_vgpr_workitem_id 0
		.amdhsa_next_free_vgpr 1
		.amdhsa_next_free_sgpr 1
		.amdhsa_reserve_vcc 0
		.amdhsa_reserve_flat_scratch 0
		.amdhsa_float_round_mode_32 0
		.amdhsa_float_round_mode_16_64 0
		.amdhsa_float_denorm_mode_32 3
		.amdhsa_float_denorm_mode_16_64 3
		.amdhsa_dx10_clamp 1
		.amdhsa_ieee_mode 1
		.amdhsa_fp16_overflow 0
		.amdhsa_workgroup_processor_mode 1
		.amdhsa_memory_ordered 1
		.amdhsa_forward_progress 1
		.amdhsa_shared_vgpr_count 0
		.amdhsa_exception_fp_ieee_invalid_op 0
		.amdhsa_exception_fp_denorm_src 0
		.amdhsa_exception_fp_ieee_div_zero 0
		.amdhsa_exception_fp_ieee_overflow 0
		.amdhsa_exception_fp_ieee_underflow 0
		.amdhsa_exception_fp_ieee_inexact 0
		.amdhsa_exception_int_div_zero 0
	.end_amdhsa_kernel
	.section	.text._ZN7rocprim17ROCPRIM_400000_NS6detail17trampoline_kernelINS0_14default_configENS1_25transform_config_selectorINS0_10empty_typeELb1EEEZNS1_14transform_implILb1ES3_S6_PS5_S8_NS0_8identityIS5_EEEE10hipError_tT2_T3_mT4_P12ihipStream_tbEUlT_E_NS1_11comp_targetILNS1_3genE8ELNS1_11target_archE1030ELNS1_3gpuE2ELNS1_3repE0EEENS1_30default_config_static_selectorELNS0_4arch9wavefront6targetE0EEEvT1_,"axG",@progbits,_ZN7rocprim17ROCPRIM_400000_NS6detail17trampoline_kernelINS0_14default_configENS1_25transform_config_selectorINS0_10empty_typeELb1EEEZNS1_14transform_implILb1ES3_S6_PS5_S8_NS0_8identityIS5_EEEE10hipError_tT2_T3_mT4_P12ihipStream_tbEUlT_E_NS1_11comp_targetILNS1_3genE8ELNS1_11target_archE1030ELNS1_3gpuE2ELNS1_3repE0EEENS1_30default_config_static_selectorELNS0_4arch9wavefront6targetE0EEEvT1_,comdat
.Lfunc_end88:
	.size	_ZN7rocprim17ROCPRIM_400000_NS6detail17trampoline_kernelINS0_14default_configENS1_25transform_config_selectorINS0_10empty_typeELb1EEEZNS1_14transform_implILb1ES3_S6_PS5_S8_NS0_8identityIS5_EEEE10hipError_tT2_T3_mT4_P12ihipStream_tbEUlT_E_NS1_11comp_targetILNS1_3genE8ELNS1_11target_archE1030ELNS1_3gpuE2ELNS1_3repE0EEENS1_30default_config_static_selectorELNS0_4arch9wavefront6targetE0EEEvT1_, .Lfunc_end88-_ZN7rocprim17ROCPRIM_400000_NS6detail17trampoline_kernelINS0_14default_configENS1_25transform_config_selectorINS0_10empty_typeELb1EEEZNS1_14transform_implILb1ES3_S6_PS5_S8_NS0_8identityIS5_EEEE10hipError_tT2_T3_mT4_P12ihipStream_tbEUlT_E_NS1_11comp_targetILNS1_3genE8ELNS1_11target_archE1030ELNS1_3gpuE2ELNS1_3repE0EEENS1_30default_config_static_selectorELNS0_4arch9wavefront6targetE0EEEvT1_
                                        ; -- End function
	.set _ZN7rocprim17ROCPRIM_400000_NS6detail17trampoline_kernelINS0_14default_configENS1_25transform_config_selectorINS0_10empty_typeELb1EEEZNS1_14transform_implILb1ES3_S6_PS5_S8_NS0_8identityIS5_EEEE10hipError_tT2_T3_mT4_P12ihipStream_tbEUlT_E_NS1_11comp_targetILNS1_3genE8ELNS1_11target_archE1030ELNS1_3gpuE2ELNS1_3repE0EEENS1_30default_config_static_selectorELNS0_4arch9wavefront6targetE0EEEvT1_.num_vgpr, 0
	.set _ZN7rocprim17ROCPRIM_400000_NS6detail17trampoline_kernelINS0_14default_configENS1_25transform_config_selectorINS0_10empty_typeELb1EEEZNS1_14transform_implILb1ES3_S6_PS5_S8_NS0_8identityIS5_EEEE10hipError_tT2_T3_mT4_P12ihipStream_tbEUlT_E_NS1_11comp_targetILNS1_3genE8ELNS1_11target_archE1030ELNS1_3gpuE2ELNS1_3repE0EEENS1_30default_config_static_selectorELNS0_4arch9wavefront6targetE0EEEvT1_.num_agpr, 0
	.set _ZN7rocprim17ROCPRIM_400000_NS6detail17trampoline_kernelINS0_14default_configENS1_25transform_config_selectorINS0_10empty_typeELb1EEEZNS1_14transform_implILb1ES3_S6_PS5_S8_NS0_8identityIS5_EEEE10hipError_tT2_T3_mT4_P12ihipStream_tbEUlT_E_NS1_11comp_targetILNS1_3genE8ELNS1_11target_archE1030ELNS1_3gpuE2ELNS1_3repE0EEENS1_30default_config_static_selectorELNS0_4arch9wavefront6targetE0EEEvT1_.numbered_sgpr, 0
	.set _ZN7rocprim17ROCPRIM_400000_NS6detail17trampoline_kernelINS0_14default_configENS1_25transform_config_selectorINS0_10empty_typeELb1EEEZNS1_14transform_implILb1ES3_S6_PS5_S8_NS0_8identityIS5_EEEE10hipError_tT2_T3_mT4_P12ihipStream_tbEUlT_E_NS1_11comp_targetILNS1_3genE8ELNS1_11target_archE1030ELNS1_3gpuE2ELNS1_3repE0EEENS1_30default_config_static_selectorELNS0_4arch9wavefront6targetE0EEEvT1_.num_named_barrier, 0
	.set _ZN7rocprim17ROCPRIM_400000_NS6detail17trampoline_kernelINS0_14default_configENS1_25transform_config_selectorINS0_10empty_typeELb1EEEZNS1_14transform_implILb1ES3_S6_PS5_S8_NS0_8identityIS5_EEEE10hipError_tT2_T3_mT4_P12ihipStream_tbEUlT_E_NS1_11comp_targetILNS1_3genE8ELNS1_11target_archE1030ELNS1_3gpuE2ELNS1_3repE0EEENS1_30default_config_static_selectorELNS0_4arch9wavefront6targetE0EEEvT1_.private_seg_size, 0
	.set _ZN7rocprim17ROCPRIM_400000_NS6detail17trampoline_kernelINS0_14default_configENS1_25transform_config_selectorINS0_10empty_typeELb1EEEZNS1_14transform_implILb1ES3_S6_PS5_S8_NS0_8identityIS5_EEEE10hipError_tT2_T3_mT4_P12ihipStream_tbEUlT_E_NS1_11comp_targetILNS1_3genE8ELNS1_11target_archE1030ELNS1_3gpuE2ELNS1_3repE0EEENS1_30default_config_static_selectorELNS0_4arch9wavefront6targetE0EEEvT1_.uses_vcc, 0
	.set _ZN7rocprim17ROCPRIM_400000_NS6detail17trampoline_kernelINS0_14default_configENS1_25transform_config_selectorINS0_10empty_typeELb1EEEZNS1_14transform_implILb1ES3_S6_PS5_S8_NS0_8identityIS5_EEEE10hipError_tT2_T3_mT4_P12ihipStream_tbEUlT_E_NS1_11comp_targetILNS1_3genE8ELNS1_11target_archE1030ELNS1_3gpuE2ELNS1_3repE0EEENS1_30default_config_static_selectorELNS0_4arch9wavefront6targetE0EEEvT1_.uses_flat_scratch, 0
	.set _ZN7rocprim17ROCPRIM_400000_NS6detail17trampoline_kernelINS0_14default_configENS1_25transform_config_selectorINS0_10empty_typeELb1EEEZNS1_14transform_implILb1ES3_S6_PS5_S8_NS0_8identityIS5_EEEE10hipError_tT2_T3_mT4_P12ihipStream_tbEUlT_E_NS1_11comp_targetILNS1_3genE8ELNS1_11target_archE1030ELNS1_3gpuE2ELNS1_3repE0EEENS1_30default_config_static_selectorELNS0_4arch9wavefront6targetE0EEEvT1_.has_dyn_sized_stack, 0
	.set _ZN7rocprim17ROCPRIM_400000_NS6detail17trampoline_kernelINS0_14default_configENS1_25transform_config_selectorINS0_10empty_typeELb1EEEZNS1_14transform_implILb1ES3_S6_PS5_S8_NS0_8identityIS5_EEEE10hipError_tT2_T3_mT4_P12ihipStream_tbEUlT_E_NS1_11comp_targetILNS1_3genE8ELNS1_11target_archE1030ELNS1_3gpuE2ELNS1_3repE0EEENS1_30default_config_static_selectorELNS0_4arch9wavefront6targetE0EEEvT1_.has_recursion, 0
	.set _ZN7rocprim17ROCPRIM_400000_NS6detail17trampoline_kernelINS0_14default_configENS1_25transform_config_selectorINS0_10empty_typeELb1EEEZNS1_14transform_implILb1ES3_S6_PS5_S8_NS0_8identityIS5_EEEE10hipError_tT2_T3_mT4_P12ihipStream_tbEUlT_E_NS1_11comp_targetILNS1_3genE8ELNS1_11target_archE1030ELNS1_3gpuE2ELNS1_3repE0EEENS1_30default_config_static_selectorELNS0_4arch9wavefront6targetE0EEEvT1_.has_indirect_call, 0
	.section	.AMDGPU.csdata,"",@progbits
; Kernel info:
; codeLenInByte = 4
; TotalNumSgprs: 0
; NumVgprs: 0
; ScratchSize: 0
; MemoryBound: 0
; FloatMode: 240
; IeeeMode: 1
; LDSByteSize: 0 bytes/workgroup (compile time only)
; SGPRBlocks: 0
; VGPRBlocks: 0
; NumSGPRsForWavesPerEU: 1
; NumVGPRsForWavesPerEU: 1
; Occupancy: 16
; WaveLimiterHint : 0
; COMPUTE_PGM_RSRC2:SCRATCH_EN: 0
; COMPUTE_PGM_RSRC2:USER_SGPR: 6
; COMPUTE_PGM_RSRC2:TRAP_HANDLER: 0
; COMPUTE_PGM_RSRC2:TGID_X_EN: 1
; COMPUTE_PGM_RSRC2:TGID_Y_EN: 0
; COMPUTE_PGM_RSRC2:TGID_Z_EN: 0
; COMPUTE_PGM_RSRC2:TIDIG_COMP_CNT: 0
	.section	.text._ZN7rocprim17ROCPRIM_400000_NS6detail17trampoline_kernelINS0_14default_configENS1_22reduce_config_selectorIN6thrust23THRUST_200600_302600_NS5tupleIblNS6_9null_typeES8_S8_S8_S8_S8_S8_S8_EEEEZNS1_11reduce_implILb1ES3_PS9_SC_S9_NS6_11hip_rocprim9__find_if7functorIS9_EEEE10hipError_tPvRmT1_T2_T3_mT4_P12ihipStream_tbEUlT_E0_NS1_11comp_targetILNS1_3genE0ELNS1_11target_archE4294967295ELNS1_3gpuE0ELNS1_3repE0EEENS1_30default_config_static_selectorELNS0_4arch9wavefront6targetE0EEEvSK_,"axG",@progbits,_ZN7rocprim17ROCPRIM_400000_NS6detail17trampoline_kernelINS0_14default_configENS1_22reduce_config_selectorIN6thrust23THRUST_200600_302600_NS5tupleIblNS6_9null_typeES8_S8_S8_S8_S8_S8_S8_EEEEZNS1_11reduce_implILb1ES3_PS9_SC_S9_NS6_11hip_rocprim9__find_if7functorIS9_EEEE10hipError_tPvRmT1_T2_T3_mT4_P12ihipStream_tbEUlT_E0_NS1_11comp_targetILNS1_3genE0ELNS1_11target_archE4294967295ELNS1_3gpuE0ELNS1_3repE0EEENS1_30default_config_static_selectorELNS0_4arch9wavefront6targetE0EEEvSK_,comdat
	.protected	_ZN7rocprim17ROCPRIM_400000_NS6detail17trampoline_kernelINS0_14default_configENS1_22reduce_config_selectorIN6thrust23THRUST_200600_302600_NS5tupleIblNS6_9null_typeES8_S8_S8_S8_S8_S8_S8_EEEEZNS1_11reduce_implILb1ES3_PS9_SC_S9_NS6_11hip_rocprim9__find_if7functorIS9_EEEE10hipError_tPvRmT1_T2_T3_mT4_P12ihipStream_tbEUlT_E0_NS1_11comp_targetILNS1_3genE0ELNS1_11target_archE4294967295ELNS1_3gpuE0ELNS1_3repE0EEENS1_30default_config_static_selectorELNS0_4arch9wavefront6targetE0EEEvSK_ ; -- Begin function _ZN7rocprim17ROCPRIM_400000_NS6detail17trampoline_kernelINS0_14default_configENS1_22reduce_config_selectorIN6thrust23THRUST_200600_302600_NS5tupleIblNS6_9null_typeES8_S8_S8_S8_S8_S8_S8_EEEEZNS1_11reduce_implILb1ES3_PS9_SC_S9_NS6_11hip_rocprim9__find_if7functorIS9_EEEE10hipError_tPvRmT1_T2_T3_mT4_P12ihipStream_tbEUlT_E0_NS1_11comp_targetILNS1_3genE0ELNS1_11target_archE4294967295ELNS1_3gpuE0ELNS1_3repE0EEENS1_30default_config_static_selectorELNS0_4arch9wavefront6targetE0EEEvSK_
	.globl	_ZN7rocprim17ROCPRIM_400000_NS6detail17trampoline_kernelINS0_14default_configENS1_22reduce_config_selectorIN6thrust23THRUST_200600_302600_NS5tupleIblNS6_9null_typeES8_S8_S8_S8_S8_S8_S8_EEEEZNS1_11reduce_implILb1ES3_PS9_SC_S9_NS6_11hip_rocprim9__find_if7functorIS9_EEEE10hipError_tPvRmT1_T2_T3_mT4_P12ihipStream_tbEUlT_E0_NS1_11comp_targetILNS1_3genE0ELNS1_11target_archE4294967295ELNS1_3gpuE0ELNS1_3repE0EEENS1_30default_config_static_selectorELNS0_4arch9wavefront6targetE0EEEvSK_
	.p2align	8
	.type	_ZN7rocprim17ROCPRIM_400000_NS6detail17trampoline_kernelINS0_14default_configENS1_22reduce_config_selectorIN6thrust23THRUST_200600_302600_NS5tupleIblNS6_9null_typeES8_S8_S8_S8_S8_S8_S8_EEEEZNS1_11reduce_implILb1ES3_PS9_SC_S9_NS6_11hip_rocprim9__find_if7functorIS9_EEEE10hipError_tPvRmT1_T2_T3_mT4_P12ihipStream_tbEUlT_E0_NS1_11comp_targetILNS1_3genE0ELNS1_11target_archE4294967295ELNS1_3gpuE0ELNS1_3repE0EEENS1_30default_config_static_selectorELNS0_4arch9wavefront6targetE0EEEvSK_,@function
_ZN7rocprim17ROCPRIM_400000_NS6detail17trampoline_kernelINS0_14default_configENS1_22reduce_config_selectorIN6thrust23THRUST_200600_302600_NS5tupleIblNS6_9null_typeES8_S8_S8_S8_S8_S8_S8_EEEEZNS1_11reduce_implILb1ES3_PS9_SC_S9_NS6_11hip_rocprim9__find_if7functorIS9_EEEE10hipError_tPvRmT1_T2_T3_mT4_P12ihipStream_tbEUlT_E0_NS1_11comp_targetILNS1_3genE0ELNS1_11target_archE4294967295ELNS1_3gpuE0ELNS1_3repE0EEENS1_30default_config_static_selectorELNS0_4arch9wavefront6targetE0EEEvSK_: ; @_ZN7rocprim17ROCPRIM_400000_NS6detail17trampoline_kernelINS0_14default_configENS1_22reduce_config_selectorIN6thrust23THRUST_200600_302600_NS5tupleIblNS6_9null_typeES8_S8_S8_S8_S8_S8_S8_EEEEZNS1_11reduce_implILb1ES3_PS9_SC_S9_NS6_11hip_rocprim9__find_if7functorIS9_EEEE10hipError_tPvRmT1_T2_T3_mT4_P12ihipStream_tbEUlT_E0_NS1_11comp_targetILNS1_3genE0ELNS1_11target_archE4294967295ELNS1_3gpuE0ELNS1_3repE0EEENS1_30default_config_static_selectorELNS0_4arch9wavefront6targetE0EEEvSK_
; %bb.0:
	.section	.rodata,"a",@progbits
	.p2align	6, 0x0
	.amdhsa_kernel _ZN7rocprim17ROCPRIM_400000_NS6detail17trampoline_kernelINS0_14default_configENS1_22reduce_config_selectorIN6thrust23THRUST_200600_302600_NS5tupleIblNS6_9null_typeES8_S8_S8_S8_S8_S8_S8_EEEEZNS1_11reduce_implILb1ES3_PS9_SC_S9_NS6_11hip_rocprim9__find_if7functorIS9_EEEE10hipError_tPvRmT1_T2_T3_mT4_P12ihipStream_tbEUlT_E0_NS1_11comp_targetILNS1_3genE0ELNS1_11target_archE4294967295ELNS1_3gpuE0ELNS1_3repE0EEENS1_30default_config_static_selectorELNS0_4arch9wavefront6targetE0EEEvSK_
		.amdhsa_group_segment_fixed_size 0
		.amdhsa_private_segment_fixed_size 0
		.amdhsa_kernarg_size 72
		.amdhsa_user_sgpr_count 6
		.amdhsa_user_sgpr_private_segment_buffer 1
		.amdhsa_user_sgpr_dispatch_ptr 0
		.amdhsa_user_sgpr_queue_ptr 0
		.amdhsa_user_sgpr_kernarg_segment_ptr 1
		.amdhsa_user_sgpr_dispatch_id 0
		.amdhsa_user_sgpr_flat_scratch_init 0
		.amdhsa_user_sgpr_private_segment_size 0
		.amdhsa_wavefront_size32 1
		.amdhsa_uses_dynamic_stack 0
		.amdhsa_system_sgpr_private_segment_wavefront_offset 0
		.amdhsa_system_sgpr_workgroup_id_x 1
		.amdhsa_system_sgpr_workgroup_id_y 0
		.amdhsa_system_sgpr_workgroup_id_z 0
		.amdhsa_system_sgpr_workgroup_info 0
		.amdhsa_system_vgpr_workitem_id 0
		.amdhsa_next_free_vgpr 1
		.amdhsa_next_free_sgpr 1
		.amdhsa_reserve_vcc 0
		.amdhsa_reserve_flat_scratch 0
		.amdhsa_float_round_mode_32 0
		.amdhsa_float_round_mode_16_64 0
		.amdhsa_float_denorm_mode_32 3
		.amdhsa_float_denorm_mode_16_64 3
		.amdhsa_dx10_clamp 1
		.amdhsa_ieee_mode 1
		.amdhsa_fp16_overflow 0
		.amdhsa_workgroup_processor_mode 1
		.amdhsa_memory_ordered 1
		.amdhsa_forward_progress 1
		.amdhsa_shared_vgpr_count 0
		.amdhsa_exception_fp_ieee_invalid_op 0
		.amdhsa_exception_fp_denorm_src 0
		.amdhsa_exception_fp_ieee_div_zero 0
		.amdhsa_exception_fp_ieee_overflow 0
		.amdhsa_exception_fp_ieee_underflow 0
		.amdhsa_exception_fp_ieee_inexact 0
		.amdhsa_exception_int_div_zero 0
	.end_amdhsa_kernel
	.section	.text._ZN7rocprim17ROCPRIM_400000_NS6detail17trampoline_kernelINS0_14default_configENS1_22reduce_config_selectorIN6thrust23THRUST_200600_302600_NS5tupleIblNS6_9null_typeES8_S8_S8_S8_S8_S8_S8_EEEEZNS1_11reduce_implILb1ES3_PS9_SC_S9_NS6_11hip_rocprim9__find_if7functorIS9_EEEE10hipError_tPvRmT1_T2_T3_mT4_P12ihipStream_tbEUlT_E0_NS1_11comp_targetILNS1_3genE0ELNS1_11target_archE4294967295ELNS1_3gpuE0ELNS1_3repE0EEENS1_30default_config_static_selectorELNS0_4arch9wavefront6targetE0EEEvSK_,"axG",@progbits,_ZN7rocprim17ROCPRIM_400000_NS6detail17trampoline_kernelINS0_14default_configENS1_22reduce_config_selectorIN6thrust23THRUST_200600_302600_NS5tupleIblNS6_9null_typeES8_S8_S8_S8_S8_S8_S8_EEEEZNS1_11reduce_implILb1ES3_PS9_SC_S9_NS6_11hip_rocprim9__find_if7functorIS9_EEEE10hipError_tPvRmT1_T2_T3_mT4_P12ihipStream_tbEUlT_E0_NS1_11comp_targetILNS1_3genE0ELNS1_11target_archE4294967295ELNS1_3gpuE0ELNS1_3repE0EEENS1_30default_config_static_selectorELNS0_4arch9wavefront6targetE0EEEvSK_,comdat
.Lfunc_end89:
	.size	_ZN7rocprim17ROCPRIM_400000_NS6detail17trampoline_kernelINS0_14default_configENS1_22reduce_config_selectorIN6thrust23THRUST_200600_302600_NS5tupleIblNS6_9null_typeES8_S8_S8_S8_S8_S8_S8_EEEEZNS1_11reduce_implILb1ES3_PS9_SC_S9_NS6_11hip_rocprim9__find_if7functorIS9_EEEE10hipError_tPvRmT1_T2_T3_mT4_P12ihipStream_tbEUlT_E0_NS1_11comp_targetILNS1_3genE0ELNS1_11target_archE4294967295ELNS1_3gpuE0ELNS1_3repE0EEENS1_30default_config_static_selectorELNS0_4arch9wavefront6targetE0EEEvSK_, .Lfunc_end89-_ZN7rocprim17ROCPRIM_400000_NS6detail17trampoline_kernelINS0_14default_configENS1_22reduce_config_selectorIN6thrust23THRUST_200600_302600_NS5tupleIblNS6_9null_typeES8_S8_S8_S8_S8_S8_S8_EEEEZNS1_11reduce_implILb1ES3_PS9_SC_S9_NS6_11hip_rocprim9__find_if7functorIS9_EEEE10hipError_tPvRmT1_T2_T3_mT4_P12ihipStream_tbEUlT_E0_NS1_11comp_targetILNS1_3genE0ELNS1_11target_archE4294967295ELNS1_3gpuE0ELNS1_3repE0EEENS1_30default_config_static_selectorELNS0_4arch9wavefront6targetE0EEEvSK_
                                        ; -- End function
	.set _ZN7rocprim17ROCPRIM_400000_NS6detail17trampoline_kernelINS0_14default_configENS1_22reduce_config_selectorIN6thrust23THRUST_200600_302600_NS5tupleIblNS6_9null_typeES8_S8_S8_S8_S8_S8_S8_EEEEZNS1_11reduce_implILb1ES3_PS9_SC_S9_NS6_11hip_rocprim9__find_if7functorIS9_EEEE10hipError_tPvRmT1_T2_T3_mT4_P12ihipStream_tbEUlT_E0_NS1_11comp_targetILNS1_3genE0ELNS1_11target_archE4294967295ELNS1_3gpuE0ELNS1_3repE0EEENS1_30default_config_static_selectorELNS0_4arch9wavefront6targetE0EEEvSK_.num_vgpr, 0
	.set _ZN7rocprim17ROCPRIM_400000_NS6detail17trampoline_kernelINS0_14default_configENS1_22reduce_config_selectorIN6thrust23THRUST_200600_302600_NS5tupleIblNS6_9null_typeES8_S8_S8_S8_S8_S8_S8_EEEEZNS1_11reduce_implILb1ES3_PS9_SC_S9_NS6_11hip_rocprim9__find_if7functorIS9_EEEE10hipError_tPvRmT1_T2_T3_mT4_P12ihipStream_tbEUlT_E0_NS1_11comp_targetILNS1_3genE0ELNS1_11target_archE4294967295ELNS1_3gpuE0ELNS1_3repE0EEENS1_30default_config_static_selectorELNS0_4arch9wavefront6targetE0EEEvSK_.num_agpr, 0
	.set _ZN7rocprim17ROCPRIM_400000_NS6detail17trampoline_kernelINS0_14default_configENS1_22reduce_config_selectorIN6thrust23THRUST_200600_302600_NS5tupleIblNS6_9null_typeES8_S8_S8_S8_S8_S8_S8_EEEEZNS1_11reduce_implILb1ES3_PS9_SC_S9_NS6_11hip_rocprim9__find_if7functorIS9_EEEE10hipError_tPvRmT1_T2_T3_mT4_P12ihipStream_tbEUlT_E0_NS1_11comp_targetILNS1_3genE0ELNS1_11target_archE4294967295ELNS1_3gpuE0ELNS1_3repE0EEENS1_30default_config_static_selectorELNS0_4arch9wavefront6targetE0EEEvSK_.numbered_sgpr, 0
	.set _ZN7rocprim17ROCPRIM_400000_NS6detail17trampoline_kernelINS0_14default_configENS1_22reduce_config_selectorIN6thrust23THRUST_200600_302600_NS5tupleIblNS6_9null_typeES8_S8_S8_S8_S8_S8_S8_EEEEZNS1_11reduce_implILb1ES3_PS9_SC_S9_NS6_11hip_rocprim9__find_if7functorIS9_EEEE10hipError_tPvRmT1_T2_T3_mT4_P12ihipStream_tbEUlT_E0_NS1_11comp_targetILNS1_3genE0ELNS1_11target_archE4294967295ELNS1_3gpuE0ELNS1_3repE0EEENS1_30default_config_static_selectorELNS0_4arch9wavefront6targetE0EEEvSK_.num_named_barrier, 0
	.set _ZN7rocprim17ROCPRIM_400000_NS6detail17trampoline_kernelINS0_14default_configENS1_22reduce_config_selectorIN6thrust23THRUST_200600_302600_NS5tupleIblNS6_9null_typeES8_S8_S8_S8_S8_S8_S8_EEEEZNS1_11reduce_implILb1ES3_PS9_SC_S9_NS6_11hip_rocprim9__find_if7functorIS9_EEEE10hipError_tPvRmT1_T2_T3_mT4_P12ihipStream_tbEUlT_E0_NS1_11comp_targetILNS1_3genE0ELNS1_11target_archE4294967295ELNS1_3gpuE0ELNS1_3repE0EEENS1_30default_config_static_selectorELNS0_4arch9wavefront6targetE0EEEvSK_.private_seg_size, 0
	.set _ZN7rocprim17ROCPRIM_400000_NS6detail17trampoline_kernelINS0_14default_configENS1_22reduce_config_selectorIN6thrust23THRUST_200600_302600_NS5tupleIblNS6_9null_typeES8_S8_S8_S8_S8_S8_S8_EEEEZNS1_11reduce_implILb1ES3_PS9_SC_S9_NS6_11hip_rocprim9__find_if7functorIS9_EEEE10hipError_tPvRmT1_T2_T3_mT4_P12ihipStream_tbEUlT_E0_NS1_11comp_targetILNS1_3genE0ELNS1_11target_archE4294967295ELNS1_3gpuE0ELNS1_3repE0EEENS1_30default_config_static_selectorELNS0_4arch9wavefront6targetE0EEEvSK_.uses_vcc, 0
	.set _ZN7rocprim17ROCPRIM_400000_NS6detail17trampoline_kernelINS0_14default_configENS1_22reduce_config_selectorIN6thrust23THRUST_200600_302600_NS5tupleIblNS6_9null_typeES8_S8_S8_S8_S8_S8_S8_EEEEZNS1_11reduce_implILb1ES3_PS9_SC_S9_NS6_11hip_rocprim9__find_if7functorIS9_EEEE10hipError_tPvRmT1_T2_T3_mT4_P12ihipStream_tbEUlT_E0_NS1_11comp_targetILNS1_3genE0ELNS1_11target_archE4294967295ELNS1_3gpuE0ELNS1_3repE0EEENS1_30default_config_static_selectorELNS0_4arch9wavefront6targetE0EEEvSK_.uses_flat_scratch, 0
	.set _ZN7rocprim17ROCPRIM_400000_NS6detail17trampoline_kernelINS0_14default_configENS1_22reduce_config_selectorIN6thrust23THRUST_200600_302600_NS5tupleIblNS6_9null_typeES8_S8_S8_S8_S8_S8_S8_EEEEZNS1_11reduce_implILb1ES3_PS9_SC_S9_NS6_11hip_rocprim9__find_if7functorIS9_EEEE10hipError_tPvRmT1_T2_T3_mT4_P12ihipStream_tbEUlT_E0_NS1_11comp_targetILNS1_3genE0ELNS1_11target_archE4294967295ELNS1_3gpuE0ELNS1_3repE0EEENS1_30default_config_static_selectorELNS0_4arch9wavefront6targetE0EEEvSK_.has_dyn_sized_stack, 0
	.set _ZN7rocprim17ROCPRIM_400000_NS6detail17trampoline_kernelINS0_14default_configENS1_22reduce_config_selectorIN6thrust23THRUST_200600_302600_NS5tupleIblNS6_9null_typeES8_S8_S8_S8_S8_S8_S8_EEEEZNS1_11reduce_implILb1ES3_PS9_SC_S9_NS6_11hip_rocprim9__find_if7functorIS9_EEEE10hipError_tPvRmT1_T2_T3_mT4_P12ihipStream_tbEUlT_E0_NS1_11comp_targetILNS1_3genE0ELNS1_11target_archE4294967295ELNS1_3gpuE0ELNS1_3repE0EEENS1_30default_config_static_selectorELNS0_4arch9wavefront6targetE0EEEvSK_.has_recursion, 0
	.set _ZN7rocprim17ROCPRIM_400000_NS6detail17trampoline_kernelINS0_14default_configENS1_22reduce_config_selectorIN6thrust23THRUST_200600_302600_NS5tupleIblNS6_9null_typeES8_S8_S8_S8_S8_S8_S8_EEEEZNS1_11reduce_implILb1ES3_PS9_SC_S9_NS6_11hip_rocprim9__find_if7functorIS9_EEEE10hipError_tPvRmT1_T2_T3_mT4_P12ihipStream_tbEUlT_E0_NS1_11comp_targetILNS1_3genE0ELNS1_11target_archE4294967295ELNS1_3gpuE0ELNS1_3repE0EEENS1_30default_config_static_selectorELNS0_4arch9wavefront6targetE0EEEvSK_.has_indirect_call, 0
	.section	.AMDGPU.csdata,"",@progbits
; Kernel info:
; codeLenInByte = 0
; TotalNumSgprs: 0
; NumVgprs: 0
; ScratchSize: 0
; MemoryBound: 0
; FloatMode: 240
; IeeeMode: 1
; LDSByteSize: 0 bytes/workgroup (compile time only)
; SGPRBlocks: 0
; VGPRBlocks: 0
; NumSGPRsForWavesPerEU: 1
; NumVGPRsForWavesPerEU: 1
; Occupancy: 16
; WaveLimiterHint : 0
; COMPUTE_PGM_RSRC2:SCRATCH_EN: 0
; COMPUTE_PGM_RSRC2:USER_SGPR: 6
; COMPUTE_PGM_RSRC2:TRAP_HANDLER: 0
; COMPUTE_PGM_RSRC2:TGID_X_EN: 1
; COMPUTE_PGM_RSRC2:TGID_Y_EN: 0
; COMPUTE_PGM_RSRC2:TGID_Z_EN: 0
; COMPUTE_PGM_RSRC2:TIDIG_COMP_CNT: 0
	.section	.text._ZN7rocprim17ROCPRIM_400000_NS6detail17trampoline_kernelINS0_14default_configENS1_22reduce_config_selectorIN6thrust23THRUST_200600_302600_NS5tupleIblNS6_9null_typeES8_S8_S8_S8_S8_S8_S8_EEEEZNS1_11reduce_implILb1ES3_PS9_SC_S9_NS6_11hip_rocprim9__find_if7functorIS9_EEEE10hipError_tPvRmT1_T2_T3_mT4_P12ihipStream_tbEUlT_E0_NS1_11comp_targetILNS1_3genE5ELNS1_11target_archE942ELNS1_3gpuE9ELNS1_3repE0EEENS1_30default_config_static_selectorELNS0_4arch9wavefront6targetE0EEEvSK_,"axG",@progbits,_ZN7rocprim17ROCPRIM_400000_NS6detail17trampoline_kernelINS0_14default_configENS1_22reduce_config_selectorIN6thrust23THRUST_200600_302600_NS5tupleIblNS6_9null_typeES8_S8_S8_S8_S8_S8_S8_EEEEZNS1_11reduce_implILb1ES3_PS9_SC_S9_NS6_11hip_rocprim9__find_if7functorIS9_EEEE10hipError_tPvRmT1_T2_T3_mT4_P12ihipStream_tbEUlT_E0_NS1_11comp_targetILNS1_3genE5ELNS1_11target_archE942ELNS1_3gpuE9ELNS1_3repE0EEENS1_30default_config_static_selectorELNS0_4arch9wavefront6targetE0EEEvSK_,comdat
	.protected	_ZN7rocprim17ROCPRIM_400000_NS6detail17trampoline_kernelINS0_14default_configENS1_22reduce_config_selectorIN6thrust23THRUST_200600_302600_NS5tupleIblNS6_9null_typeES8_S8_S8_S8_S8_S8_S8_EEEEZNS1_11reduce_implILb1ES3_PS9_SC_S9_NS6_11hip_rocprim9__find_if7functorIS9_EEEE10hipError_tPvRmT1_T2_T3_mT4_P12ihipStream_tbEUlT_E0_NS1_11comp_targetILNS1_3genE5ELNS1_11target_archE942ELNS1_3gpuE9ELNS1_3repE0EEENS1_30default_config_static_selectorELNS0_4arch9wavefront6targetE0EEEvSK_ ; -- Begin function _ZN7rocprim17ROCPRIM_400000_NS6detail17trampoline_kernelINS0_14default_configENS1_22reduce_config_selectorIN6thrust23THRUST_200600_302600_NS5tupleIblNS6_9null_typeES8_S8_S8_S8_S8_S8_S8_EEEEZNS1_11reduce_implILb1ES3_PS9_SC_S9_NS6_11hip_rocprim9__find_if7functorIS9_EEEE10hipError_tPvRmT1_T2_T3_mT4_P12ihipStream_tbEUlT_E0_NS1_11comp_targetILNS1_3genE5ELNS1_11target_archE942ELNS1_3gpuE9ELNS1_3repE0EEENS1_30default_config_static_selectorELNS0_4arch9wavefront6targetE0EEEvSK_
	.globl	_ZN7rocprim17ROCPRIM_400000_NS6detail17trampoline_kernelINS0_14default_configENS1_22reduce_config_selectorIN6thrust23THRUST_200600_302600_NS5tupleIblNS6_9null_typeES8_S8_S8_S8_S8_S8_S8_EEEEZNS1_11reduce_implILb1ES3_PS9_SC_S9_NS6_11hip_rocprim9__find_if7functorIS9_EEEE10hipError_tPvRmT1_T2_T3_mT4_P12ihipStream_tbEUlT_E0_NS1_11comp_targetILNS1_3genE5ELNS1_11target_archE942ELNS1_3gpuE9ELNS1_3repE0EEENS1_30default_config_static_selectorELNS0_4arch9wavefront6targetE0EEEvSK_
	.p2align	8
	.type	_ZN7rocprim17ROCPRIM_400000_NS6detail17trampoline_kernelINS0_14default_configENS1_22reduce_config_selectorIN6thrust23THRUST_200600_302600_NS5tupleIblNS6_9null_typeES8_S8_S8_S8_S8_S8_S8_EEEEZNS1_11reduce_implILb1ES3_PS9_SC_S9_NS6_11hip_rocprim9__find_if7functorIS9_EEEE10hipError_tPvRmT1_T2_T3_mT4_P12ihipStream_tbEUlT_E0_NS1_11comp_targetILNS1_3genE5ELNS1_11target_archE942ELNS1_3gpuE9ELNS1_3repE0EEENS1_30default_config_static_selectorELNS0_4arch9wavefront6targetE0EEEvSK_,@function
_ZN7rocprim17ROCPRIM_400000_NS6detail17trampoline_kernelINS0_14default_configENS1_22reduce_config_selectorIN6thrust23THRUST_200600_302600_NS5tupleIblNS6_9null_typeES8_S8_S8_S8_S8_S8_S8_EEEEZNS1_11reduce_implILb1ES3_PS9_SC_S9_NS6_11hip_rocprim9__find_if7functorIS9_EEEE10hipError_tPvRmT1_T2_T3_mT4_P12ihipStream_tbEUlT_E0_NS1_11comp_targetILNS1_3genE5ELNS1_11target_archE942ELNS1_3gpuE9ELNS1_3repE0EEENS1_30default_config_static_selectorELNS0_4arch9wavefront6targetE0EEEvSK_: ; @_ZN7rocprim17ROCPRIM_400000_NS6detail17trampoline_kernelINS0_14default_configENS1_22reduce_config_selectorIN6thrust23THRUST_200600_302600_NS5tupleIblNS6_9null_typeES8_S8_S8_S8_S8_S8_S8_EEEEZNS1_11reduce_implILb1ES3_PS9_SC_S9_NS6_11hip_rocprim9__find_if7functorIS9_EEEE10hipError_tPvRmT1_T2_T3_mT4_P12ihipStream_tbEUlT_E0_NS1_11comp_targetILNS1_3genE5ELNS1_11target_archE942ELNS1_3gpuE9ELNS1_3repE0EEENS1_30default_config_static_selectorELNS0_4arch9wavefront6targetE0EEEvSK_
; %bb.0:
	.section	.rodata,"a",@progbits
	.p2align	6, 0x0
	.amdhsa_kernel _ZN7rocprim17ROCPRIM_400000_NS6detail17trampoline_kernelINS0_14default_configENS1_22reduce_config_selectorIN6thrust23THRUST_200600_302600_NS5tupleIblNS6_9null_typeES8_S8_S8_S8_S8_S8_S8_EEEEZNS1_11reduce_implILb1ES3_PS9_SC_S9_NS6_11hip_rocprim9__find_if7functorIS9_EEEE10hipError_tPvRmT1_T2_T3_mT4_P12ihipStream_tbEUlT_E0_NS1_11comp_targetILNS1_3genE5ELNS1_11target_archE942ELNS1_3gpuE9ELNS1_3repE0EEENS1_30default_config_static_selectorELNS0_4arch9wavefront6targetE0EEEvSK_
		.amdhsa_group_segment_fixed_size 0
		.amdhsa_private_segment_fixed_size 0
		.amdhsa_kernarg_size 72
		.amdhsa_user_sgpr_count 6
		.amdhsa_user_sgpr_private_segment_buffer 1
		.amdhsa_user_sgpr_dispatch_ptr 0
		.amdhsa_user_sgpr_queue_ptr 0
		.amdhsa_user_sgpr_kernarg_segment_ptr 1
		.amdhsa_user_sgpr_dispatch_id 0
		.amdhsa_user_sgpr_flat_scratch_init 0
		.amdhsa_user_sgpr_private_segment_size 0
		.amdhsa_wavefront_size32 1
		.amdhsa_uses_dynamic_stack 0
		.amdhsa_system_sgpr_private_segment_wavefront_offset 0
		.amdhsa_system_sgpr_workgroup_id_x 1
		.amdhsa_system_sgpr_workgroup_id_y 0
		.amdhsa_system_sgpr_workgroup_id_z 0
		.amdhsa_system_sgpr_workgroup_info 0
		.amdhsa_system_vgpr_workitem_id 0
		.amdhsa_next_free_vgpr 1
		.amdhsa_next_free_sgpr 1
		.amdhsa_reserve_vcc 0
		.amdhsa_reserve_flat_scratch 0
		.amdhsa_float_round_mode_32 0
		.amdhsa_float_round_mode_16_64 0
		.amdhsa_float_denorm_mode_32 3
		.amdhsa_float_denorm_mode_16_64 3
		.amdhsa_dx10_clamp 1
		.amdhsa_ieee_mode 1
		.amdhsa_fp16_overflow 0
		.amdhsa_workgroup_processor_mode 1
		.amdhsa_memory_ordered 1
		.amdhsa_forward_progress 1
		.amdhsa_shared_vgpr_count 0
		.amdhsa_exception_fp_ieee_invalid_op 0
		.amdhsa_exception_fp_denorm_src 0
		.amdhsa_exception_fp_ieee_div_zero 0
		.amdhsa_exception_fp_ieee_overflow 0
		.amdhsa_exception_fp_ieee_underflow 0
		.amdhsa_exception_fp_ieee_inexact 0
		.amdhsa_exception_int_div_zero 0
	.end_amdhsa_kernel
	.section	.text._ZN7rocprim17ROCPRIM_400000_NS6detail17trampoline_kernelINS0_14default_configENS1_22reduce_config_selectorIN6thrust23THRUST_200600_302600_NS5tupleIblNS6_9null_typeES8_S8_S8_S8_S8_S8_S8_EEEEZNS1_11reduce_implILb1ES3_PS9_SC_S9_NS6_11hip_rocprim9__find_if7functorIS9_EEEE10hipError_tPvRmT1_T2_T3_mT4_P12ihipStream_tbEUlT_E0_NS1_11comp_targetILNS1_3genE5ELNS1_11target_archE942ELNS1_3gpuE9ELNS1_3repE0EEENS1_30default_config_static_selectorELNS0_4arch9wavefront6targetE0EEEvSK_,"axG",@progbits,_ZN7rocprim17ROCPRIM_400000_NS6detail17trampoline_kernelINS0_14default_configENS1_22reduce_config_selectorIN6thrust23THRUST_200600_302600_NS5tupleIblNS6_9null_typeES8_S8_S8_S8_S8_S8_S8_EEEEZNS1_11reduce_implILb1ES3_PS9_SC_S9_NS6_11hip_rocprim9__find_if7functorIS9_EEEE10hipError_tPvRmT1_T2_T3_mT4_P12ihipStream_tbEUlT_E0_NS1_11comp_targetILNS1_3genE5ELNS1_11target_archE942ELNS1_3gpuE9ELNS1_3repE0EEENS1_30default_config_static_selectorELNS0_4arch9wavefront6targetE0EEEvSK_,comdat
.Lfunc_end90:
	.size	_ZN7rocprim17ROCPRIM_400000_NS6detail17trampoline_kernelINS0_14default_configENS1_22reduce_config_selectorIN6thrust23THRUST_200600_302600_NS5tupleIblNS6_9null_typeES8_S8_S8_S8_S8_S8_S8_EEEEZNS1_11reduce_implILb1ES3_PS9_SC_S9_NS6_11hip_rocprim9__find_if7functorIS9_EEEE10hipError_tPvRmT1_T2_T3_mT4_P12ihipStream_tbEUlT_E0_NS1_11comp_targetILNS1_3genE5ELNS1_11target_archE942ELNS1_3gpuE9ELNS1_3repE0EEENS1_30default_config_static_selectorELNS0_4arch9wavefront6targetE0EEEvSK_, .Lfunc_end90-_ZN7rocprim17ROCPRIM_400000_NS6detail17trampoline_kernelINS0_14default_configENS1_22reduce_config_selectorIN6thrust23THRUST_200600_302600_NS5tupleIblNS6_9null_typeES8_S8_S8_S8_S8_S8_S8_EEEEZNS1_11reduce_implILb1ES3_PS9_SC_S9_NS6_11hip_rocprim9__find_if7functorIS9_EEEE10hipError_tPvRmT1_T2_T3_mT4_P12ihipStream_tbEUlT_E0_NS1_11comp_targetILNS1_3genE5ELNS1_11target_archE942ELNS1_3gpuE9ELNS1_3repE0EEENS1_30default_config_static_selectorELNS0_4arch9wavefront6targetE0EEEvSK_
                                        ; -- End function
	.set _ZN7rocprim17ROCPRIM_400000_NS6detail17trampoline_kernelINS0_14default_configENS1_22reduce_config_selectorIN6thrust23THRUST_200600_302600_NS5tupleIblNS6_9null_typeES8_S8_S8_S8_S8_S8_S8_EEEEZNS1_11reduce_implILb1ES3_PS9_SC_S9_NS6_11hip_rocprim9__find_if7functorIS9_EEEE10hipError_tPvRmT1_T2_T3_mT4_P12ihipStream_tbEUlT_E0_NS1_11comp_targetILNS1_3genE5ELNS1_11target_archE942ELNS1_3gpuE9ELNS1_3repE0EEENS1_30default_config_static_selectorELNS0_4arch9wavefront6targetE0EEEvSK_.num_vgpr, 0
	.set _ZN7rocprim17ROCPRIM_400000_NS6detail17trampoline_kernelINS0_14default_configENS1_22reduce_config_selectorIN6thrust23THRUST_200600_302600_NS5tupleIblNS6_9null_typeES8_S8_S8_S8_S8_S8_S8_EEEEZNS1_11reduce_implILb1ES3_PS9_SC_S9_NS6_11hip_rocprim9__find_if7functorIS9_EEEE10hipError_tPvRmT1_T2_T3_mT4_P12ihipStream_tbEUlT_E0_NS1_11comp_targetILNS1_3genE5ELNS1_11target_archE942ELNS1_3gpuE9ELNS1_3repE0EEENS1_30default_config_static_selectorELNS0_4arch9wavefront6targetE0EEEvSK_.num_agpr, 0
	.set _ZN7rocprim17ROCPRIM_400000_NS6detail17trampoline_kernelINS0_14default_configENS1_22reduce_config_selectorIN6thrust23THRUST_200600_302600_NS5tupleIblNS6_9null_typeES8_S8_S8_S8_S8_S8_S8_EEEEZNS1_11reduce_implILb1ES3_PS9_SC_S9_NS6_11hip_rocprim9__find_if7functorIS9_EEEE10hipError_tPvRmT1_T2_T3_mT4_P12ihipStream_tbEUlT_E0_NS1_11comp_targetILNS1_3genE5ELNS1_11target_archE942ELNS1_3gpuE9ELNS1_3repE0EEENS1_30default_config_static_selectorELNS0_4arch9wavefront6targetE0EEEvSK_.numbered_sgpr, 0
	.set _ZN7rocprim17ROCPRIM_400000_NS6detail17trampoline_kernelINS0_14default_configENS1_22reduce_config_selectorIN6thrust23THRUST_200600_302600_NS5tupleIblNS6_9null_typeES8_S8_S8_S8_S8_S8_S8_EEEEZNS1_11reduce_implILb1ES3_PS9_SC_S9_NS6_11hip_rocprim9__find_if7functorIS9_EEEE10hipError_tPvRmT1_T2_T3_mT4_P12ihipStream_tbEUlT_E0_NS1_11comp_targetILNS1_3genE5ELNS1_11target_archE942ELNS1_3gpuE9ELNS1_3repE0EEENS1_30default_config_static_selectorELNS0_4arch9wavefront6targetE0EEEvSK_.num_named_barrier, 0
	.set _ZN7rocprim17ROCPRIM_400000_NS6detail17trampoline_kernelINS0_14default_configENS1_22reduce_config_selectorIN6thrust23THRUST_200600_302600_NS5tupleIblNS6_9null_typeES8_S8_S8_S8_S8_S8_S8_EEEEZNS1_11reduce_implILb1ES3_PS9_SC_S9_NS6_11hip_rocprim9__find_if7functorIS9_EEEE10hipError_tPvRmT1_T2_T3_mT4_P12ihipStream_tbEUlT_E0_NS1_11comp_targetILNS1_3genE5ELNS1_11target_archE942ELNS1_3gpuE9ELNS1_3repE0EEENS1_30default_config_static_selectorELNS0_4arch9wavefront6targetE0EEEvSK_.private_seg_size, 0
	.set _ZN7rocprim17ROCPRIM_400000_NS6detail17trampoline_kernelINS0_14default_configENS1_22reduce_config_selectorIN6thrust23THRUST_200600_302600_NS5tupleIblNS6_9null_typeES8_S8_S8_S8_S8_S8_S8_EEEEZNS1_11reduce_implILb1ES3_PS9_SC_S9_NS6_11hip_rocprim9__find_if7functorIS9_EEEE10hipError_tPvRmT1_T2_T3_mT4_P12ihipStream_tbEUlT_E0_NS1_11comp_targetILNS1_3genE5ELNS1_11target_archE942ELNS1_3gpuE9ELNS1_3repE0EEENS1_30default_config_static_selectorELNS0_4arch9wavefront6targetE0EEEvSK_.uses_vcc, 0
	.set _ZN7rocprim17ROCPRIM_400000_NS6detail17trampoline_kernelINS0_14default_configENS1_22reduce_config_selectorIN6thrust23THRUST_200600_302600_NS5tupleIblNS6_9null_typeES8_S8_S8_S8_S8_S8_S8_EEEEZNS1_11reduce_implILb1ES3_PS9_SC_S9_NS6_11hip_rocprim9__find_if7functorIS9_EEEE10hipError_tPvRmT1_T2_T3_mT4_P12ihipStream_tbEUlT_E0_NS1_11comp_targetILNS1_3genE5ELNS1_11target_archE942ELNS1_3gpuE9ELNS1_3repE0EEENS1_30default_config_static_selectorELNS0_4arch9wavefront6targetE0EEEvSK_.uses_flat_scratch, 0
	.set _ZN7rocprim17ROCPRIM_400000_NS6detail17trampoline_kernelINS0_14default_configENS1_22reduce_config_selectorIN6thrust23THRUST_200600_302600_NS5tupleIblNS6_9null_typeES8_S8_S8_S8_S8_S8_S8_EEEEZNS1_11reduce_implILb1ES3_PS9_SC_S9_NS6_11hip_rocprim9__find_if7functorIS9_EEEE10hipError_tPvRmT1_T2_T3_mT4_P12ihipStream_tbEUlT_E0_NS1_11comp_targetILNS1_3genE5ELNS1_11target_archE942ELNS1_3gpuE9ELNS1_3repE0EEENS1_30default_config_static_selectorELNS0_4arch9wavefront6targetE0EEEvSK_.has_dyn_sized_stack, 0
	.set _ZN7rocprim17ROCPRIM_400000_NS6detail17trampoline_kernelINS0_14default_configENS1_22reduce_config_selectorIN6thrust23THRUST_200600_302600_NS5tupleIblNS6_9null_typeES8_S8_S8_S8_S8_S8_S8_EEEEZNS1_11reduce_implILb1ES3_PS9_SC_S9_NS6_11hip_rocprim9__find_if7functorIS9_EEEE10hipError_tPvRmT1_T2_T3_mT4_P12ihipStream_tbEUlT_E0_NS1_11comp_targetILNS1_3genE5ELNS1_11target_archE942ELNS1_3gpuE9ELNS1_3repE0EEENS1_30default_config_static_selectorELNS0_4arch9wavefront6targetE0EEEvSK_.has_recursion, 0
	.set _ZN7rocprim17ROCPRIM_400000_NS6detail17trampoline_kernelINS0_14default_configENS1_22reduce_config_selectorIN6thrust23THRUST_200600_302600_NS5tupleIblNS6_9null_typeES8_S8_S8_S8_S8_S8_S8_EEEEZNS1_11reduce_implILb1ES3_PS9_SC_S9_NS6_11hip_rocprim9__find_if7functorIS9_EEEE10hipError_tPvRmT1_T2_T3_mT4_P12ihipStream_tbEUlT_E0_NS1_11comp_targetILNS1_3genE5ELNS1_11target_archE942ELNS1_3gpuE9ELNS1_3repE0EEENS1_30default_config_static_selectorELNS0_4arch9wavefront6targetE0EEEvSK_.has_indirect_call, 0
	.section	.AMDGPU.csdata,"",@progbits
; Kernel info:
; codeLenInByte = 0
; TotalNumSgprs: 0
; NumVgprs: 0
; ScratchSize: 0
; MemoryBound: 0
; FloatMode: 240
; IeeeMode: 1
; LDSByteSize: 0 bytes/workgroup (compile time only)
; SGPRBlocks: 0
; VGPRBlocks: 0
; NumSGPRsForWavesPerEU: 1
; NumVGPRsForWavesPerEU: 1
; Occupancy: 16
; WaveLimiterHint : 0
; COMPUTE_PGM_RSRC2:SCRATCH_EN: 0
; COMPUTE_PGM_RSRC2:USER_SGPR: 6
; COMPUTE_PGM_RSRC2:TRAP_HANDLER: 0
; COMPUTE_PGM_RSRC2:TGID_X_EN: 1
; COMPUTE_PGM_RSRC2:TGID_Y_EN: 0
; COMPUTE_PGM_RSRC2:TGID_Z_EN: 0
; COMPUTE_PGM_RSRC2:TIDIG_COMP_CNT: 0
	.section	.text._ZN7rocprim17ROCPRIM_400000_NS6detail17trampoline_kernelINS0_14default_configENS1_22reduce_config_selectorIN6thrust23THRUST_200600_302600_NS5tupleIblNS6_9null_typeES8_S8_S8_S8_S8_S8_S8_EEEEZNS1_11reduce_implILb1ES3_PS9_SC_S9_NS6_11hip_rocprim9__find_if7functorIS9_EEEE10hipError_tPvRmT1_T2_T3_mT4_P12ihipStream_tbEUlT_E0_NS1_11comp_targetILNS1_3genE4ELNS1_11target_archE910ELNS1_3gpuE8ELNS1_3repE0EEENS1_30default_config_static_selectorELNS0_4arch9wavefront6targetE0EEEvSK_,"axG",@progbits,_ZN7rocprim17ROCPRIM_400000_NS6detail17trampoline_kernelINS0_14default_configENS1_22reduce_config_selectorIN6thrust23THRUST_200600_302600_NS5tupleIblNS6_9null_typeES8_S8_S8_S8_S8_S8_S8_EEEEZNS1_11reduce_implILb1ES3_PS9_SC_S9_NS6_11hip_rocprim9__find_if7functorIS9_EEEE10hipError_tPvRmT1_T2_T3_mT4_P12ihipStream_tbEUlT_E0_NS1_11comp_targetILNS1_3genE4ELNS1_11target_archE910ELNS1_3gpuE8ELNS1_3repE0EEENS1_30default_config_static_selectorELNS0_4arch9wavefront6targetE0EEEvSK_,comdat
	.protected	_ZN7rocprim17ROCPRIM_400000_NS6detail17trampoline_kernelINS0_14default_configENS1_22reduce_config_selectorIN6thrust23THRUST_200600_302600_NS5tupleIblNS6_9null_typeES8_S8_S8_S8_S8_S8_S8_EEEEZNS1_11reduce_implILb1ES3_PS9_SC_S9_NS6_11hip_rocprim9__find_if7functorIS9_EEEE10hipError_tPvRmT1_T2_T3_mT4_P12ihipStream_tbEUlT_E0_NS1_11comp_targetILNS1_3genE4ELNS1_11target_archE910ELNS1_3gpuE8ELNS1_3repE0EEENS1_30default_config_static_selectorELNS0_4arch9wavefront6targetE0EEEvSK_ ; -- Begin function _ZN7rocprim17ROCPRIM_400000_NS6detail17trampoline_kernelINS0_14default_configENS1_22reduce_config_selectorIN6thrust23THRUST_200600_302600_NS5tupleIblNS6_9null_typeES8_S8_S8_S8_S8_S8_S8_EEEEZNS1_11reduce_implILb1ES3_PS9_SC_S9_NS6_11hip_rocprim9__find_if7functorIS9_EEEE10hipError_tPvRmT1_T2_T3_mT4_P12ihipStream_tbEUlT_E0_NS1_11comp_targetILNS1_3genE4ELNS1_11target_archE910ELNS1_3gpuE8ELNS1_3repE0EEENS1_30default_config_static_selectorELNS0_4arch9wavefront6targetE0EEEvSK_
	.globl	_ZN7rocprim17ROCPRIM_400000_NS6detail17trampoline_kernelINS0_14default_configENS1_22reduce_config_selectorIN6thrust23THRUST_200600_302600_NS5tupleIblNS6_9null_typeES8_S8_S8_S8_S8_S8_S8_EEEEZNS1_11reduce_implILb1ES3_PS9_SC_S9_NS6_11hip_rocprim9__find_if7functorIS9_EEEE10hipError_tPvRmT1_T2_T3_mT4_P12ihipStream_tbEUlT_E0_NS1_11comp_targetILNS1_3genE4ELNS1_11target_archE910ELNS1_3gpuE8ELNS1_3repE0EEENS1_30default_config_static_selectorELNS0_4arch9wavefront6targetE0EEEvSK_
	.p2align	8
	.type	_ZN7rocprim17ROCPRIM_400000_NS6detail17trampoline_kernelINS0_14default_configENS1_22reduce_config_selectorIN6thrust23THRUST_200600_302600_NS5tupleIblNS6_9null_typeES8_S8_S8_S8_S8_S8_S8_EEEEZNS1_11reduce_implILb1ES3_PS9_SC_S9_NS6_11hip_rocprim9__find_if7functorIS9_EEEE10hipError_tPvRmT1_T2_T3_mT4_P12ihipStream_tbEUlT_E0_NS1_11comp_targetILNS1_3genE4ELNS1_11target_archE910ELNS1_3gpuE8ELNS1_3repE0EEENS1_30default_config_static_selectorELNS0_4arch9wavefront6targetE0EEEvSK_,@function
_ZN7rocprim17ROCPRIM_400000_NS6detail17trampoline_kernelINS0_14default_configENS1_22reduce_config_selectorIN6thrust23THRUST_200600_302600_NS5tupleIblNS6_9null_typeES8_S8_S8_S8_S8_S8_S8_EEEEZNS1_11reduce_implILb1ES3_PS9_SC_S9_NS6_11hip_rocprim9__find_if7functorIS9_EEEE10hipError_tPvRmT1_T2_T3_mT4_P12ihipStream_tbEUlT_E0_NS1_11comp_targetILNS1_3genE4ELNS1_11target_archE910ELNS1_3gpuE8ELNS1_3repE0EEENS1_30default_config_static_selectorELNS0_4arch9wavefront6targetE0EEEvSK_: ; @_ZN7rocprim17ROCPRIM_400000_NS6detail17trampoline_kernelINS0_14default_configENS1_22reduce_config_selectorIN6thrust23THRUST_200600_302600_NS5tupleIblNS6_9null_typeES8_S8_S8_S8_S8_S8_S8_EEEEZNS1_11reduce_implILb1ES3_PS9_SC_S9_NS6_11hip_rocprim9__find_if7functorIS9_EEEE10hipError_tPvRmT1_T2_T3_mT4_P12ihipStream_tbEUlT_E0_NS1_11comp_targetILNS1_3genE4ELNS1_11target_archE910ELNS1_3gpuE8ELNS1_3repE0EEENS1_30default_config_static_selectorELNS0_4arch9wavefront6targetE0EEEvSK_
; %bb.0:
	.section	.rodata,"a",@progbits
	.p2align	6, 0x0
	.amdhsa_kernel _ZN7rocprim17ROCPRIM_400000_NS6detail17trampoline_kernelINS0_14default_configENS1_22reduce_config_selectorIN6thrust23THRUST_200600_302600_NS5tupleIblNS6_9null_typeES8_S8_S8_S8_S8_S8_S8_EEEEZNS1_11reduce_implILb1ES3_PS9_SC_S9_NS6_11hip_rocprim9__find_if7functorIS9_EEEE10hipError_tPvRmT1_T2_T3_mT4_P12ihipStream_tbEUlT_E0_NS1_11comp_targetILNS1_3genE4ELNS1_11target_archE910ELNS1_3gpuE8ELNS1_3repE0EEENS1_30default_config_static_selectorELNS0_4arch9wavefront6targetE0EEEvSK_
		.amdhsa_group_segment_fixed_size 0
		.amdhsa_private_segment_fixed_size 0
		.amdhsa_kernarg_size 72
		.amdhsa_user_sgpr_count 6
		.amdhsa_user_sgpr_private_segment_buffer 1
		.amdhsa_user_sgpr_dispatch_ptr 0
		.amdhsa_user_sgpr_queue_ptr 0
		.amdhsa_user_sgpr_kernarg_segment_ptr 1
		.amdhsa_user_sgpr_dispatch_id 0
		.amdhsa_user_sgpr_flat_scratch_init 0
		.amdhsa_user_sgpr_private_segment_size 0
		.amdhsa_wavefront_size32 1
		.amdhsa_uses_dynamic_stack 0
		.amdhsa_system_sgpr_private_segment_wavefront_offset 0
		.amdhsa_system_sgpr_workgroup_id_x 1
		.amdhsa_system_sgpr_workgroup_id_y 0
		.amdhsa_system_sgpr_workgroup_id_z 0
		.amdhsa_system_sgpr_workgroup_info 0
		.amdhsa_system_vgpr_workitem_id 0
		.amdhsa_next_free_vgpr 1
		.amdhsa_next_free_sgpr 1
		.amdhsa_reserve_vcc 0
		.amdhsa_reserve_flat_scratch 0
		.amdhsa_float_round_mode_32 0
		.amdhsa_float_round_mode_16_64 0
		.amdhsa_float_denorm_mode_32 3
		.amdhsa_float_denorm_mode_16_64 3
		.amdhsa_dx10_clamp 1
		.amdhsa_ieee_mode 1
		.amdhsa_fp16_overflow 0
		.amdhsa_workgroup_processor_mode 1
		.amdhsa_memory_ordered 1
		.amdhsa_forward_progress 1
		.amdhsa_shared_vgpr_count 0
		.amdhsa_exception_fp_ieee_invalid_op 0
		.amdhsa_exception_fp_denorm_src 0
		.amdhsa_exception_fp_ieee_div_zero 0
		.amdhsa_exception_fp_ieee_overflow 0
		.amdhsa_exception_fp_ieee_underflow 0
		.amdhsa_exception_fp_ieee_inexact 0
		.amdhsa_exception_int_div_zero 0
	.end_amdhsa_kernel
	.section	.text._ZN7rocprim17ROCPRIM_400000_NS6detail17trampoline_kernelINS0_14default_configENS1_22reduce_config_selectorIN6thrust23THRUST_200600_302600_NS5tupleIblNS6_9null_typeES8_S8_S8_S8_S8_S8_S8_EEEEZNS1_11reduce_implILb1ES3_PS9_SC_S9_NS6_11hip_rocprim9__find_if7functorIS9_EEEE10hipError_tPvRmT1_T2_T3_mT4_P12ihipStream_tbEUlT_E0_NS1_11comp_targetILNS1_3genE4ELNS1_11target_archE910ELNS1_3gpuE8ELNS1_3repE0EEENS1_30default_config_static_selectorELNS0_4arch9wavefront6targetE0EEEvSK_,"axG",@progbits,_ZN7rocprim17ROCPRIM_400000_NS6detail17trampoline_kernelINS0_14default_configENS1_22reduce_config_selectorIN6thrust23THRUST_200600_302600_NS5tupleIblNS6_9null_typeES8_S8_S8_S8_S8_S8_S8_EEEEZNS1_11reduce_implILb1ES3_PS9_SC_S9_NS6_11hip_rocprim9__find_if7functorIS9_EEEE10hipError_tPvRmT1_T2_T3_mT4_P12ihipStream_tbEUlT_E0_NS1_11comp_targetILNS1_3genE4ELNS1_11target_archE910ELNS1_3gpuE8ELNS1_3repE0EEENS1_30default_config_static_selectorELNS0_4arch9wavefront6targetE0EEEvSK_,comdat
.Lfunc_end91:
	.size	_ZN7rocprim17ROCPRIM_400000_NS6detail17trampoline_kernelINS0_14default_configENS1_22reduce_config_selectorIN6thrust23THRUST_200600_302600_NS5tupleIblNS6_9null_typeES8_S8_S8_S8_S8_S8_S8_EEEEZNS1_11reduce_implILb1ES3_PS9_SC_S9_NS6_11hip_rocprim9__find_if7functorIS9_EEEE10hipError_tPvRmT1_T2_T3_mT4_P12ihipStream_tbEUlT_E0_NS1_11comp_targetILNS1_3genE4ELNS1_11target_archE910ELNS1_3gpuE8ELNS1_3repE0EEENS1_30default_config_static_selectorELNS0_4arch9wavefront6targetE0EEEvSK_, .Lfunc_end91-_ZN7rocprim17ROCPRIM_400000_NS6detail17trampoline_kernelINS0_14default_configENS1_22reduce_config_selectorIN6thrust23THRUST_200600_302600_NS5tupleIblNS6_9null_typeES8_S8_S8_S8_S8_S8_S8_EEEEZNS1_11reduce_implILb1ES3_PS9_SC_S9_NS6_11hip_rocprim9__find_if7functorIS9_EEEE10hipError_tPvRmT1_T2_T3_mT4_P12ihipStream_tbEUlT_E0_NS1_11comp_targetILNS1_3genE4ELNS1_11target_archE910ELNS1_3gpuE8ELNS1_3repE0EEENS1_30default_config_static_selectorELNS0_4arch9wavefront6targetE0EEEvSK_
                                        ; -- End function
	.set _ZN7rocprim17ROCPRIM_400000_NS6detail17trampoline_kernelINS0_14default_configENS1_22reduce_config_selectorIN6thrust23THRUST_200600_302600_NS5tupleIblNS6_9null_typeES8_S8_S8_S8_S8_S8_S8_EEEEZNS1_11reduce_implILb1ES3_PS9_SC_S9_NS6_11hip_rocprim9__find_if7functorIS9_EEEE10hipError_tPvRmT1_T2_T3_mT4_P12ihipStream_tbEUlT_E0_NS1_11comp_targetILNS1_3genE4ELNS1_11target_archE910ELNS1_3gpuE8ELNS1_3repE0EEENS1_30default_config_static_selectorELNS0_4arch9wavefront6targetE0EEEvSK_.num_vgpr, 0
	.set _ZN7rocprim17ROCPRIM_400000_NS6detail17trampoline_kernelINS0_14default_configENS1_22reduce_config_selectorIN6thrust23THRUST_200600_302600_NS5tupleIblNS6_9null_typeES8_S8_S8_S8_S8_S8_S8_EEEEZNS1_11reduce_implILb1ES3_PS9_SC_S9_NS6_11hip_rocprim9__find_if7functorIS9_EEEE10hipError_tPvRmT1_T2_T3_mT4_P12ihipStream_tbEUlT_E0_NS1_11comp_targetILNS1_3genE4ELNS1_11target_archE910ELNS1_3gpuE8ELNS1_3repE0EEENS1_30default_config_static_selectorELNS0_4arch9wavefront6targetE0EEEvSK_.num_agpr, 0
	.set _ZN7rocprim17ROCPRIM_400000_NS6detail17trampoline_kernelINS0_14default_configENS1_22reduce_config_selectorIN6thrust23THRUST_200600_302600_NS5tupleIblNS6_9null_typeES8_S8_S8_S8_S8_S8_S8_EEEEZNS1_11reduce_implILb1ES3_PS9_SC_S9_NS6_11hip_rocprim9__find_if7functorIS9_EEEE10hipError_tPvRmT1_T2_T3_mT4_P12ihipStream_tbEUlT_E0_NS1_11comp_targetILNS1_3genE4ELNS1_11target_archE910ELNS1_3gpuE8ELNS1_3repE0EEENS1_30default_config_static_selectorELNS0_4arch9wavefront6targetE0EEEvSK_.numbered_sgpr, 0
	.set _ZN7rocprim17ROCPRIM_400000_NS6detail17trampoline_kernelINS0_14default_configENS1_22reduce_config_selectorIN6thrust23THRUST_200600_302600_NS5tupleIblNS6_9null_typeES8_S8_S8_S8_S8_S8_S8_EEEEZNS1_11reduce_implILb1ES3_PS9_SC_S9_NS6_11hip_rocprim9__find_if7functorIS9_EEEE10hipError_tPvRmT1_T2_T3_mT4_P12ihipStream_tbEUlT_E0_NS1_11comp_targetILNS1_3genE4ELNS1_11target_archE910ELNS1_3gpuE8ELNS1_3repE0EEENS1_30default_config_static_selectorELNS0_4arch9wavefront6targetE0EEEvSK_.num_named_barrier, 0
	.set _ZN7rocprim17ROCPRIM_400000_NS6detail17trampoline_kernelINS0_14default_configENS1_22reduce_config_selectorIN6thrust23THRUST_200600_302600_NS5tupleIblNS6_9null_typeES8_S8_S8_S8_S8_S8_S8_EEEEZNS1_11reduce_implILb1ES3_PS9_SC_S9_NS6_11hip_rocprim9__find_if7functorIS9_EEEE10hipError_tPvRmT1_T2_T3_mT4_P12ihipStream_tbEUlT_E0_NS1_11comp_targetILNS1_3genE4ELNS1_11target_archE910ELNS1_3gpuE8ELNS1_3repE0EEENS1_30default_config_static_selectorELNS0_4arch9wavefront6targetE0EEEvSK_.private_seg_size, 0
	.set _ZN7rocprim17ROCPRIM_400000_NS6detail17trampoline_kernelINS0_14default_configENS1_22reduce_config_selectorIN6thrust23THRUST_200600_302600_NS5tupleIblNS6_9null_typeES8_S8_S8_S8_S8_S8_S8_EEEEZNS1_11reduce_implILb1ES3_PS9_SC_S9_NS6_11hip_rocprim9__find_if7functorIS9_EEEE10hipError_tPvRmT1_T2_T3_mT4_P12ihipStream_tbEUlT_E0_NS1_11comp_targetILNS1_3genE4ELNS1_11target_archE910ELNS1_3gpuE8ELNS1_3repE0EEENS1_30default_config_static_selectorELNS0_4arch9wavefront6targetE0EEEvSK_.uses_vcc, 0
	.set _ZN7rocprim17ROCPRIM_400000_NS6detail17trampoline_kernelINS0_14default_configENS1_22reduce_config_selectorIN6thrust23THRUST_200600_302600_NS5tupleIblNS6_9null_typeES8_S8_S8_S8_S8_S8_S8_EEEEZNS1_11reduce_implILb1ES3_PS9_SC_S9_NS6_11hip_rocprim9__find_if7functorIS9_EEEE10hipError_tPvRmT1_T2_T3_mT4_P12ihipStream_tbEUlT_E0_NS1_11comp_targetILNS1_3genE4ELNS1_11target_archE910ELNS1_3gpuE8ELNS1_3repE0EEENS1_30default_config_static_selectorELNS0_4arch9wavefront6targetE0EEEvSK_.uses_flat_scratch, 0
	.set _ZN7rocprim17ROCPRIM_400000_NS6detail17trampoline_kernelINS0_14default_configENS1_22reduce_config_selectorIN6thrust23THRUST_200600_302600_NS5tupleIblNS6_9null_typeES8_S8_S8_S8_S8_S8_S8_EEEEZNS1_11reduce_implILb1ES3_PS9_SC_S9_NS6_11hip_rocprim9__find_if7functorIS9_EEEE10hipError_tPvRmT1_T2_T3_mT4_P12ihipStream_tbEUlT_E0_NS1_11comp_targetILNS1_3genE4ELNS1_11target_archE910ELNS1_3gpuE8ELNS1_3repE0EEENS1_30default_config_static_selectorELNS0_4arch9wavefront6targetE0EEEvSK_.has_dyn_sized_stack, 0
	.set _ZN7rocprim17ROCPRIM_400000_NS6detail17trampoline_kernelINS0_14default_configENS1_22reduce_config_selectorIN6thrust23THRUST_200600_302600_NS5tupleIblNS6_9null_typeES8_S8_S8_S8_S8_S8_S8_EEEEZNS1_11reduce_implILb1ES3_PS9_SC_S9_NS6_11hip_rocprim9__find_if7functorIS9_EEEE10hipError_tPvRmT1_T2_T3_mT4_P12ihipStream_tbEUlT_E0_NS1_11comp_targetILNS1_3genE4ELNS1_11target_archE910ELNS1_3gpuE8ELNS1_3repE0EEENS1_30default_config_static_selectorELNS0_4arch9wavefront6targetE0EEEvSK_.has_recursion, 0
	.set _ZN7rocprim17ROCPRIM_400000_NS6detail17trampoline_kernelINS0_14default_configENS1_22reduce_config_selectorIN6thrust23THRUST_200600_302600_NS5tupleIblNS6_9null_typeES8_S8_S8_S8_S8_S8_S8_EEEEZNS1_11reduce_implILb1ES3_PS9_SC_S9_NS6_11hip_rocprim9__find_if7functorIS9_EEEE10hipError_tPvRmT1_T2_T3_mT4_P12ihipStream_tbEUlT_E0_NS1_11comp_targetILNS1_3genE4ELNS1_11target_archE910ELNS1_3gpuE8ELNS1_3repE0EEENS1_30default_config_static_selectorELNS0_4arch9wavefront6targetE0EEEvSK_.has_indirect_call, 0
	.section	.AMDGPU.csdata,"",@progbits
; Kernel info:
; codeLenInByte = 0
; TotalNumSgprs: 0
; NumVgprs: 0
; ScratchSize: 0
; MemoryBound: 0
; FloatMode: 240
; IeeeMode: 1
; LDSByteSize: 0 bytes/workgroup (compile time only)
; SGPRBlocks: 0
; VGPRBlocks: 0
; NumSGPRsForWavesPerEU: 1
; NumVGPRsForWavesPerEU: 1
; Occupancy: 16
; WaveLimiterHint : 0
; COMPUTE_PGM_RSRC2:SCRATCH_EN: 0
; COMPUTE_PGM_RSRC2:USER_SGPR: 6
; COMPUTE_PGM_RSRC2:TRAP_HANDLER: 0
; COMPUTE_PGM_RSRC2:TGID_X_EN: 1
; COMPUTE_PGM_RSRC2:TGID_Y_EN: 0
; COMPUTE_PGM_RSRC2:TGID_Z_EN: 0
; COMPUTE_PGM_RSRC2:TIDIG_COMP_CNT: 0
	.section	.text._ZN7rocprim17ROCPRIM_400000_NS6detail17trampoline_kernelINS0_14default_configENS1_22reduce_config_selectorIN6thrust23THRUST_200600_302600_NS5tupleIblNS6_9null_typeES8_S8_S8_S8_S8_S8_S8_EEEEZNS1_11reduce_implILb1ES3_PS9_SC_S9_NS6_11hip_rocprim9__find_if7functorIS9_EEEE10hipError_tPvRmT1_T2_T3_mT4_P12ihipStream_tbEUlT_E0_NS1_11comp_targetILNS1_3genE3ELNS1_11target_archE908ELNS1_3gpuE7ELNS1_3repE0EEENS1_30default_config_static_selectorELNS0_4arch9wavefront6targetE0EEEvSK_,"axG",@progbits,_ZN7rocprim17ROCPRIM_400000_NS6detail17trampoline_kernelINS0_14default_configENS1_22reduce_config_selectorIN6thrust23THRUST_200600_302600_NS5tupleIblNS6_9null_typeES8_S8_S8_S8_S8_S8_S8_EEEEZNS1_11reduce_implILb1ES3_PS9_SC_S9_NS6_11hip_rocprim9__find_if7functorIS9_EEEE10hipError_tPvRmT1_T2_T3_mT4_P12ihipStream_tbEUlT_E0_NS1_11comp_targetILNS1_3genE3ELNS1_11target_archE908ELNS1_3gpuE7ELNS1_3repE0EEENS1_30default_config_static_selectorELNS0_4arch9wavefront6targetE0EEEvSK_,comdat
	.protected	_ZN7rocprim17ROCPRIM_400000_NS6detail17trampoline_kernelINS0_14default_configENS1_22reduce_config_selectorIN6thrust23THRUST_200600_302600_NS5tupleIblNS6_9null_typeES8_S8_S8_S8_S8_S8_S8_EEEEZNS1_11reduce_implILb1ES3_PS9_SC_S9_NS6_11hip_rocprim9__find_if7functorIS9_EEEE10hipError_tPvRmT1_T2_T3_mT4_P12ihipStream_tbEUlT_E0_NS1_11comp_targetILNS1_3genE3ELNS1_11target_archE908ELNS1_3gpuE7ELNS1_3repE0EEENS1_30default_config_static_selectorELNS0_4arch9wavefront6targetE0EEEvSK_ ; -- Begin function _ZN7rocprim17ROCPRIM_400000_NS6detail17trampoline_kernelINS0_14default_configENS1_22reduce_config_selectorIN6thrust23THRUST_200600_302600_NS5tupleIblNS6_9null_typeES8_S8_S8_S8_S8_S8_S8_EEEEZNS1_11reduce_implILb1ES3_PS9_SC_S9_NS6_11hip_rocprim9__find_if7functorIS9_EEEE10hipError_tPvRmT1_T2_T3_mT4_P12ihipStream_tbEUlT_E0_NS1_11comp_targetILNS1_3genE3ELNS1_11target_archE908ELNS1_3gpuE7ELNS1_3repE0EEENS1_30default_config_static_selectorELNS0_4arch9wavefront6targetE0EEEvSK_
	.globl	_ZN7rocprim17ROCPRIM_400000_NS6detail17trampoline_kernelINS0_14default_configENS1_22reduce_config_selectorIN6thrust23THRUST_200600_302600_NS5tupleIblNS6_9null_typeES8_S8_S8_S8_S8_S8_S8_EEEEZNS1_11reduce_implILb1ES3_PS9_SC_S9_NS6_11hip_rocprim9__find_if7functorIS9_EEEE10hipError_tPvRmT1_T2_T3_mT4_P12ihipStream_tbEUlT_E0_NS1_11comp_targetILNS1_3genE3ELNS1_11target_archE908ELNS1_3gpuE7ELNS1_3repE0EEENS1_30default_config_static_selectorELNS0_4arch9wavefront6targetE0EEEvSK_
	.p2align	8
	.type	_ZN7rocprim17ROCPRIM_400000_NS6detail17trampoline_kernelINS0_14default_configENS1_22reduce_config_selectorIN6thrust23THRUST_200600_302600_NS5tupleIblNS6_9null_typeES8_S8_S8_S8_S8_S8_S8_EEEEZNS1_11reduce_implILb1ES3_PS9_SC_S9_NS6_11hip_rocprim9__find_if7functorIS9_EEEE10hipError_tPvRmT1_T2_T3_mT4_P12ihipStream_tbEUlT_E0_NS1_11comp_targetILNS1_3genE3ELNS1_11target_archE908ELNS1_3gpuE7ELNS1_3repE0EEENS1_30default_config_static_selectorELNS0_4arch9wavefront6targetE0EEEvSK_,@function
_ZN7rocprim17ROCPRIM_400000_NS6detail17trampoline_kernelINS0_14default_configENS1_22reduce_config_selectorIN6thrust23THRUST_200600_302600_NS5tupleIblNS6_9null_typeES8_S8_S8_S8_S8_S8_S8_EEEEZNS1_11reduce_implILb1ES3_PS9_SC_S9_NS6_11hip_rocprim9__find_if7functorIS9_EEEE10hipError_tPvRmT1_T2_T3_mT4_P12ihipStream_tbEUlT_E0_NS1_11comp_targetILNS1_3genE3ELNS1_11target_archE908ELNS1_3gpuE7ELNS1_3repE0EEENS1_30default_config_static_selectorELNS0_4arch9wavefront6targetE0EEEvSK_: ; @_ZN7rocprim17ROCPRIM_400000_NS6detail17trampoline_kernelINS0_14default_configENS1_22reduce_config_selectorIN6thrust23THRUST_200600_302600_NS5tupleIblNS6_9null_typeES8_S8_S8_S8_S8_S8_S8_EEEEZNS1_11reduce_implILb1ES3_PS9_SC_S9_NS6_11hip_rocprim9__find_if7functorIS9_EEEE10hipError_tPvRmT1_T2_T3_mT4_P12ihipStream_tbEUlT_E0_NS1_11comp_targetILNS1_3genE3ELNS1_11target_archE908ELNS1_3gpuE7ELNS1_3repE0EEENS1_30default_config_static_selectorELNS0_4arch9wavefront6targetE0EEEvSK_
; %bb.0:
	.section	.rodata,"a",@progbits
	.p2align	6, 0x0
	.amdhsa_kernel _ZN7rocprim17ROCPRIM_400000_NS6detail17trampoline_kernelINS0_14default_configENS1_22reduce_config_selectorIN6thrust23THRUST_200600_302600_NS5tupleIblNS6_9null_typeES8_S8_S8_S8_S8_S8_S8_EEEEZNS1_11reduce_implILb1ES3_PS9_SC_S9_NS6_11hip_rocprim9__find_if7functorIS9_EEEE10hipError_tPvRmT1_T2_T3_mT4_P12ihipStream_tbEUlT_E0_NS1_11comp_targetILNS1_3genE3ELNS1_11target_archE908ELNS1_3gpuE7ELNS1_3repE0EEENS1_30default_config_static_selectorELNS0_4arch9wavefront6targetE0EEEvSK_
		.amdhsa_group_segment_fixed_size 0
		.amdhsa_private_segment_fixed_size 0
		.amdhsa_kernarg_size 72
		.amdhsa_user_sgpr_count 6
		.amdhsa_user_sgpr_private_segment_buffer 1
		.amdhsa_user_sgpr_dispatch_ptr 0
		.amdhsa_user_sgpr_queue_ptr 0
		.amdhsa_user_sgpr_kernarg_segment_ptr 1
		.amdhsa_user_sgpr_dispatch_id 0
		.amdhsa_user_sgpr_flat_scratch_init 0
		.amdhsa_user_sgpr_private_segment_size 0
		.amdhsa_wavefront_size32 1
		.amdhsa_uses_dynamic_stack 0
		.amdhsa_system_sgpr_private_segment_wavefront_offset 0
		.amdhsa_system_sgpr_workgroup_id_x 1
		.amdhsa_system_sgpr_workgroup_id_y 0
		.amdhsa_system_sgpr_workgroup_id_z 0
		.amdhsa_system_sgpr_workgroup_info 0
		.amdhsa_system_vgpr_workitem_id 0
		.amdhsa_next_free_vgpr 1
		.amdhsa_next_free_sgpr 1
		.amdhsa_reserve_vcc 0
		.amdhsa_reserve_flat_scratch 0
		.amdhsa_float_round_mode_32 0
		.amdhsa_float_round_mode_16_64 0
		.amdhsa_float_denorm_mode_32 3
		.amdhsa_float_denorm_mode_16_64 3
		.amdhsa_dx10_clamp 1
		.amdhsa_ieee_mode 1
		.amdhsa_fp16_overflow 0
		.amdhsa_workgroup_processor_mode 1
		.amdhsa_memory_ordered 1
		.amdhsa_forward_progress 1
		.amdhsa_shared_vgpr_count 0
		.amdhsa_exception_fp_ieee_invalid_op 0
		.amdhsa_exception_fp_denorm_src 0
		.amdhsa_exception_fp_ieee_div_zero 0
		.amdhsa_exception_fp_ieee_overflow 0
		.amdhsa_exception_fp_ieee_underflow 0
		.amdhsa_exception_fp_ieee_inexact 0
		.amdhsa_exception_int_div_zero 0
	.end_amdhsa_kernel
	.section	.text._ZN7rocprim17ROCPRIM_400000_NS6detail17trampoline_kernelINS0_14default_configENS1_22reduce_config_selectorIN6thrust23THRUST_200600_302600_NS5tupleIblNS6_9null_typeES8_S8_S8_S8_S8_S8_S8_EEEEZNS1_11reduce_implILb1ES3_PS9_SC_S9_NS6_11hip_rocprim9__find_if7functorIS9_EEEE10hipError_tPvRmT1_T2_T3_mT4_P12ihipStream_tbEUlT_E0_NS1_11comp_targetILNS1_3genE3ELNS1_11target_archE908ELNS1_3gpuE7ELNS1_3repE0EEENS1_30default_config_static_selectorELNS0_4arch9wavefront6targetE0EEEvSK_,"axG",@progbits,_ZN7rocprim17ROCPRIM_400000_NS6detail17trampoline_kernelINS0_14default_configENS1_22reduce_config_selectorIN6thrust23THRUST_200600_302600_NS5tupleIblNS6_9null_typeES8_S8_S8_S8_S8_S8_S8_EEEEZNS1_11reduce_implILb1ES3_PS9_SC_S9_NS6_11hip_rocprim9__find_if7functorIS9_EEEE10hipError_tPvRmT1_T2_T3_mT4_P12ihipStream_tbEUlT_E0_NS1_11comp_targetILNS1_3genE3ELNS1_11target_archE908ELNS1_3gpuE7ELNS1_3repE0EEENS1_30default_config_static_selectorELNS0_4arch9wavefront6targetE0EEEvSK_,comdat
.Lfunc_end92:
	.size	_ZN7rocprim17ROCPRIM_400000_NS6detail17trampoline_kernelINS0_14default_configENS1_22reduce_config_selectorIN6thrust23THRUST_200600_302600_NS5tupleIblNS6_9null_typeES8_S8_S8_S8_S8_S8_S8_EEEEZNS1_11reduce_implILb1ES3_PS9_SC_S9_NS6_11hip_rocprim9__find_if7functorIS9_EEEE10hipError_tPvRmT1_T2_T3_mT4_P12ihipStream_tbEUlT_E0_NS1_11comp_targetILNS1_3genE3ELNS1_11target_archE908ELNS1_3gpuE7ELNS1_3repE0EEENS1_30default_config_static_selectorELNS0_4arch9wavefront6targetE0EEEvSK_, .Lfunc_end92-_ZN7rocprim17ROCPRIM_400000_NS6detail17trampoline_kernelINS0_14default_configENS1_22reduce_config_selectorIN6thrust23THRUST_200600_302600_NS5tupleIblNS6_9null_typeES8_S8_S8_S8_S8_S8_S8_EEEEZNS1_11reduce_implILb1ES3_PS9_SC_S9_NS6_11hip_rocprim9__find_if7functorIS9_EEEE10hipError_tPvRmT1_T2_T3_mT4_P12ihipStream_tbEUlT_E0_NS1_11comp_targetILNS1_3genE3ELNS1_11target_archE908ELNS1_3gpuE7ELNS1_3repE0EEENS1_30default_config_static_selectorELNS0_4arch9wavefront6targetE0EEEvSK_
                                        ; -- End function
	.set _ZN7rocprim17ROCPRIM_400000_NS6detail17trampoline_kernelINS0_14default_configENS1_22reduce_config_selectorIN6thrust23THRUST_200600_302600_NS5tupleIblNS6_9null_typeES8_S8_S8_S8_S8_S8_S8_EEEEZNS1_11reduce_implILb1ES3_PS9_SC_S9_NS6_11hip_rocprim9__find_if7functorIS9_EEEE10hipError_tPvRmT1_T2_T3_mT4_P12ihipStream_tbEUlT_E0_NS1_11comp_targetILNS1_3genE3ELNS1_11target_archE908ELNS1_3gpuE7ELNS1_3repE0EEENS1_30default_config_static_selectorELNS0_4arch9wavefront6targetE0EEEvSK_.num_vgpr, 0
	.set _ZN7rocprim17ROCPRIM_400000_NS6detail17trampoline_kernelINS0_14default_configENS1_22reduce_config_selectorIN6thrust23THRUST_200600_302600_NS5tupleIblNS6_9null_typeES8_S8_S8_S8_S8_S8_S8_EEEEZNS1_11reduce_implILb1ES3_PS9_SC_S9_NS6_11hip_rocprim9__find_if7functorIS9_EEEE10hipError_tPvRmT1_T2_T3_mT4_P12ihipStream_tbEUlT_E0_NS1_11comp_targetILNS1_3genE3ELNS1_11target_archE908ELNS1_3gpuE7ELNS1_3repE0EEENS1_30default_config_static_selectorELNS0_4arch9wavefront6targetE0EEEvSK_.num_agpr, 0
	.set _ZN7rocprim17ROCPRIM_400000_NS6detail17trampoline_kernelINS0_14default_configENS1_22reduce_config_selectorIN6thrust23THRUST_200600_302600_NS5tupleIblNS6_9null_typeES8_S8_S8_S8_S8_S8_S8_EEEEZNS1_11reduce_implILb1ES3_PS9_SC_S9_NS6_11hip_rocprim9__find_if7functorIS9_EEEE10hipError_tPvRmT1_T2_T3_mT4_P12ihipStream_tbEUlT_E0_NS1_11comp_targetILNS1_3genE3ELNS1_11target_archE908ELNS1_3gpuE7ELNS1_3repE0EEENS1_30default_config_static_selectorELNS0_4arch9wavefront6targetE0EEEvSK_.numbered_sgpr, 0
	.set _ZN7rocprim17ROCPRIM_400000_NS6detail17trampoline_kernelINS0_14default_configENS1_22reduce_config_selectorIN6thrust23THRUST_200600_302600_NS5tupleIblNS6_9null_typeES8_S8_S8_S8_S8_S8_S8_EEEEZNS1_11reduce_implILb1ES3_PS9_SC_S9_NS6_11hip_rocprim9__find_if7functorIS9_EEEE10hipError_tPvRmT1_T2_T3_mT4_P12ihipStream_tbEUlT_E0_NS1_11comp_targetILNS1_3genE3ELNS1_11target_archE908ELNS1_3gpuE7ELNS1_3repE0EEENS1_30default_config_static_selectorELNS0_4arch9wavefront6targetE0EEEvSK_.num_named_barrier, 0
	.set _ZN7rocprim17ROCPRIM_400000_NS6detail17trampoline_kernelINS0_14default_configENS1_22reduce_config_selectorIN6thrust23THRUST_200600_302600_NS5tupleIblNS6_9null_typeES8_S8_S8_S8_S8_S8_S8_EEEEZNS1_11reduce_implILb1ES3_PS9_SC_S9_NS6_11hip_rocprim9__find_if7functorIS9_EEEE10hipError_tPvRmT1_T2_T3_mT4_P12ihipStream_tbEUlT_E0_NS1_11comp_targetILNS1_3genE3ELNS1_11target_archE908ELNS1_3gpuE7ELNS1_3repE0EEENS1_30default_config_static_selectorELNS0_4arch9wavefront6targetE0EEEvSK_.private_seg_size, 0
	.set _ZN7rocprim17ROCPRIM_400000_NS6detail17trampoline_kernelINS0_14default_configENS1_22reduce_config_selectorIN6thrust23THRUST_200600_302600_NS5tupleIblNS6_9null_typeES8_S8_S8_S8_S8_S8_S8_EEEEZNS1_11reduce_implILb1ES3_PS9_SC_S9_NS6_11hip_rocprim9__find_if7functorIS9_EEEE10hipError_tPvRmT1_T2_T3_mT4_P12ihipStream_tbEUlT_E0_NS1_11comp_targetILNS1_3genE3ELNS1_11target_archE908ELNS1_3gpuE7ELNS1_3repE0EEENS1_30default_config_static_selectorELNS0_4arch9wavefront6targetE0EEEvSK_.uses_vcc, 0
	.set _ZN7rocprim17ROCPRIM_400000_NS6detail17trampoline_kernelINS0_14default_configENS1_22reduce_config_selectorIN6thrust23THRUST_200600_302600_NS5tupleIblNS6_9null_typeES8_S8_S8_S8_S8_S8_S8_EEEEZNS1_11reduce_implILb1ES3_PS9_SC_S9_NS6_11hip_rocprim9__find_if7functorIS9_EEEE10hipError_tPvRmT1_T2_T3_mT4_P12ihipStream_tbEUlT_E0_NS1_11comp_targetILNS1_3genE3ELNS1_11target_archE908ELNS1_3gpuE7ELNS1_3repE0EEENS1_30default_config_static_selectorELNS0_4arch9wavefront6targetE0EEEvSK_.uses_flat_scratch, 0
	.set _ZN7rocprim17ROCPRIM_400000_NS6detail17trampoline_kernelINS0_14default_configENS1_22reduce_config_selectorIN6thrust23THRUST_200600_302600_NS5tupleIblNS6_9null_typeES8_S8_S8_S8_S8_S8_S8_EEEEZNS1_11reduce_implILb1ES3_PS9_SC_S9_NS6_11hip_rocprim9__find_if7functorIS9_EEEE10hipError_tPvRmT1_T2_T3_mT4_P12ihipStream_tbEUlT_E0_NS1_11comp_targetILNS1_3genE3ELNS1_11target_archE908ELNS1_3gpuE7ELNS1_3repE0EEENS1_30default_config_static_selectorELNS0_4arch9wavefront6targetE0EEEvSK_.has_dyn_sized_stack, 0
	.set _ZN7rocprim17ROCPRIM_400000_NS6detail17trampoline_kernelINS0_14default_configENS1_22reduce_config_selectorIN6thrust23THRUST_200600_302600_NS5tupleIblNS6_9null_typeES8_S8_S8_S8_S8_S8_S8_EEEEZNS1_11reduce_implILb1ES3_PS9_SC_S9_NS6_11hip_rocprim9__find_if7functorIS9_EEEE10hipError_tPvRmT1_T2_T3_mT4_P12ihipStream_tbEUlT_E0_NS1_11comp_targetILNS1_3genE3ELNS1_11target_archE908ELNS1_3gpuE7ELNS1_3repE0EEENS1_30default_config_static_selectorELNS0_4arch9wavefront6targetE0EEEvSK_.has_recursion, 0
	.set _ZN7rocprim17ROCPRIM_400000_NS6detail17trampoline_kernelINS0_14default_configENS1_22reduce_config_selectorIN6thrust23THRUST_200600_302600_NS5tupleIblNS6_9null_typeES8_S8_S8_S8_S8_S8_S8_EEEEZNS1_11reduce_implILb1ES3_PS9_SC_S9_NS6_11hip_rocprim9__find_if7functorIS9_EEEE10hipError_tPvRmT1_T2_T3_mT4_P12ihipStream_tbEUlT_E0_NS1_11comp_targetILNS1_3genE3ELNS1_11target_archE908ELNS1_3gpuE7ELNS1_3repE0EEENS1_30default_config_static_selectorELNS0_4arch9wavefront6targetE0EEEvSK_.has_indirect_call, 0
	.section	.AMDGPU.csdata,"",@progbits
; Kernel info:
; codeLenInByte = 0
; TotalNumSgprs: 0
; NumVgprs: 0
; ScratchSize: 0
; MemoryBound: 0
; FloatMode: 240
; IeeeMode: 1
; LDSByteSize: 0 bytes/workgroup (compile time only)
; SGPRBlocks: 0
; VGPRBlocks: 0
; NumSGPRsForWavesPerEU: 1
; NumVGPRsForWavesPerEU: 1
; Occupancy: 16
; WaveLimiterHint : 0
; COMPUTE_PGM_RSRC2:SCRATCH_EN: 0
; COMPUTE_PGM_RSRC2:USER_SGPR: 6
; COMPUTE_PGM_RSRC2:TRAP_HANDLER: 0
; COMPUTE_PGM_RSRC2:TGID_X_EN: 1
; COMPUTE_PGM_RSRC2:TGID_Y_EN: 0
; COMPUTE_PGM_RSRC2:TGID_Z_EN: 0
; COMPUTE_PGM_RSRC2:TIDIG_COMP_CNT: 0
	.section	.text._ZN7rocprim17ROCPRIM_400000_NS6detail17trampoline_kernelINS0_14default_configENS1_22reduce_config_selectorIN6thrust23THRUST_200600_302600_NS5tupleIblNS6_9null_typeES8_S8_S8_S8_S8_S8_S8_EEEEZNS1_11reduce_implILb1ES3_PS9_SC_S9_NS6_11hip_rocprim9__find_if7functorIS9_EEEE10hipError_tPvRmT1_T2_T3_mT4_P12ihipStream_tbEUlT_E0_NS1_11comp_targetILNS1_3genE2ELNS1_11target_archE906ELNS1_3gpuE6ELNS1_3repE0EEENS1_30default_config_static_selectorELNS0_4arch9wavefront6targetE0EEEvSK_,"axG",@progbits,_ZN7rocprim17ROCPRIM_400000_NS6detail17trampoline_kernelINS0_14default_configENS1_22reduce_config_selectorIN6thrust23THRUST_200600_302600_NS5tupleIblNS6_9null_typeES8_S8_S8_S8_S8_S8_S8_EEEEZNS1_11reduce_implILb1ES3_PS9_SC_S9_NS6_11hip_rocprim9__find_if7functorIS9_EEEE10hipError_tPvRmT1_T2_T3_mT4_P12ihipStream_tbEUlT_E0_NS1_11comp_targetILNS1_3genE2ELNS1_11target_archE906ELNS1_3gpuE6ELNS1_3repE0EEENS1_30default_config_static_selectorELNS0_4arch9wavefront6targetE0EEEvSK_,comdat
	.protected	_ZN7rocprim17ROCPRIM_400000_NS6detail17trampoline_kernelINS0_14default_configENS1_22reduce_config_selectorIN6thrust23THRUST_200600_302600_NS5tupleIblNS6_9null_typeES8_S8_S8_S8_S8_S8_S8_EEEEZNS1_11reduce_implILb1ES3_PS9_SC_S9_NS6_11hip_rocprim9__find_if7functorIS9_EEEE10hipError_tPvRmT1_T2_T3_mT4_P12ihipStream_tbEUlT_E0_NS1_11comp_targetILNS1_3genE2ELNS1_11target_archE906ELNS1_3gpuE6ELNS1_3repE0EEENS1_30default_config_static_selectorELNS0_4arch9wavefront6targetE0EEEvSK_ ; -- Begin function _ZN7rocprim17ROCPRIM_400000_NS6detail17trampoline_kernelINS0_14default_configENS1_22reduce_config_selectorIN6thrust23THRUST_200600_302600_NS5tupleIblNS6_9null_typeES8_S8_S8_S8_S8_S8_S8_EEEEZNS1_11reduce_implILb1ES3_PS9_SC_S9_NS6_11hip_rocprim9__find_if7functorIS9_EEEE10hipError_tPvRmT1_T2_T3_mT4_P12ihipStream_tbEUlT_E0_NS1_11comp_targetILNS1_3genE2ELNS1_11target_archE906ELNS1_3gpuE6ELNS1_3repE0EEENS1_30default_config_static_selectorELNS0_4arch9wavefront6targetE0EEEvSK_
	.globl	_ZN7rocprim17ROCPRIM_400000_NS6detail17trampoline_kernelINS0_14default_configENS1_22reduce_config_selectorIN6thrust23THRUST_200600_302600_NS5tupleIblNS6_9null_typeES8_S8_S8_S8_S8_S8_S8_EEEEZNS1_11reduce_implILb1ES3_PS9_SC_S9_NS6_11hip_rocprim9__find_if7functorIS9_EEEE10hipError_tPvRmT1_T2_T3_mT4_P12ihipStream_tbEUlT_E0_NS1_11comp_targetILNS1_3genE2ELNS1_11target_archE906ELNS1_3gpuE6ELNS1_3repE0EEENS1_30default_config_static_selectorELNS0_4arch9wavefront6targetE0EEEvSK_
	.p2align	8
	.type	_ZN7rocprim17ROCPRIM_400000_NS6detail17trampoline_kernelINS0_14default_configENS1_22reduce_config_selectorIN6thrust23THRUST_200600_302600_NS5tupleIblNS6_9null_typeES8_S8_S8_S8_S8_S8_S8_EEEEZNS1_11reduce_implILb1ES3_PS9_SC_S9_NS6_11hip_rocprim9__find_if7functorIS9_EEEE10hipError_tPvRmT1_T2_T3_mT4_P12ihipStream_tbEUlT_E0_NS1_11comp_targetILNS1_3genE2ELNS1_11target_archE906ELNS1_3gpuE6ELNS1_3repE0EEENS1_30default_config_static_selectorELNS0_4arch9wavefront6targetE0EEEvSK_,@function
_ZN7rocprim17ROCPRIM_400000_NS6detail17trampoline_kernelINS0_14default_configENS1_22reduce_config_selectorIN6thrust23THRUST_200600_302600_NS5tupleIblNS6_9null_typeES8_S8_S8_S8_S8_S8_S8_EEEEZNS1_11reduce_implILb1ES3_PS9_SC_S9_NS6_11hip_rocprim9__find_if7functorIS9_EEEE10hipError_tPvRmT1_T2_T3_mT4_P12ihipStream_tbEUlT_E0_NS1_11comp_targetILNS1_3genE2ELNS1_11target_archE906ELNS1_3gpuE6ELNS1_3repE0EEENS1_30default_config_static_selectorELNS0_4arch9wavefront6targetE0EEEvSK_: ; @_ZN7rocprim17ROCPRIM_400000_NS6detail17trampoline_kernelINS0_14default_configENS1_22reduce_config_selectorIN6thrust23THRUST_200600_302600_NS5tupleIblNS6_9null_typeES8_S8_S8_S8_S8_S8_S8_EEEEZNS1_11reduce_implILb1ES3_PS9_SC_S9_NS6_11hip_rocprim9__find_if7functorIS9_EEEE10hipError_tPvRmT1_T2_T3_mT4_P12ihipStream_tbEUlT_E0_NS1_11comp_targetILNS1_3genE2ELNS1_11target_archE906ELNS1_3gpuE6ELNS1_3repE0EEENS1_30default_config_static_selectorELNS0_4arch9wavefront6targetE0EEEvSK_
; %bb.0:
	.section	.rodata,"a",@progbits
	.p2align	6, 0x0
	.amdhsa_kernel _ZN7rocprim17ROCPRIM_400000_NS6detail17trampoline_kernelINS0_14default_configENS1_22reduce_config_selectorIN6thrust23THRUST_200600_302600_NS5tupleIblNS6_9null_typeES8_S8_S8_S8_S8_S8_S8_EEEEZNS1_11reduce_implILb1ES3_PS9_SC_S9_NS6_11hip_rocprim9__find_if7functorIS9_EEEE10hipError_tPvRmT1_T2_T3_mT4_P12ihipStream_tbEUlT_E0_NS1_11comp_targetILNS1_3genE2ELNS1_11target_archE906ELNS1_3gpuE6ELNS1_3repE0EEENS1_30default_config_static_selectorELNS0_4arch9wavefront6targetE0EEEvSK_
		.amdhsa_group_segment_fixed_size 0
		.amdhsa_private_segment_fixed_size 0
		.amdhsa_kernarg_size 72
		.amdhsa_user_sgpr_count 6
		.amdhsa_user_sgpr_private_segment_buffer 1
		.amdhsa_user_sgpr_dispatch_ptr 0
		.amdhsa_user_sgpr_queue_ptr 0
		.amdhsa_user_sgpr_kernarg_segment_ptr 1
		.amdhsa_user_sgpr_dispatch_id 0
		.amdhsa_user_sgpr_flat_scratch_init 0
		.amdhsa_user_sgpr_private_segment_size 0
		.amdhsa_wavefront_size32 1
		.amdhsa_uses_dynamic_stack 0
		.amdhsa_system_sgpr_private_segment_wavefront_offset 0
		.amdhsa_system_sgpr_workgroup_id_x 1
		.amdhsa_system_sgpr_workgroup_id_y 0
		.amdhsa_system_sgpr_workgroup_id_z 0
		.amdhsa_system_sgpr_workgroup_info 0
		.amdhsa_system_vgpr_workitem_id 0
		.amdhsa_next_free_vgpr 1
		.amdhsa_next_free_sgpr 1
		.amdhsa_reserve_vcc 0
		.amdhsa_reserve_flat_scratch 0
		.amdhsa_float_round_mode_32 0
		.amdhsa_float_round_mode_16_64 0
		.amdhsa_float_denorm_mode_32 3
		.amdhsa_float_denorm_mode_16_64 3
		.amdhsa_dx10_clamp 1
		.amdhsa_ieee_mode 1
		.amdhsa_fp16_overflow 0
		.amdhsa_workgroup_processor_mode 1
		.amdhsa_memory_ordered 1
		.amdhsa_forward_progress 1
		.amdhsa_shared_vgpr_count 0
		.amdhsa_exception_fp_ieee_invalid_op 0
		.amdhsa_exception_fp_denorm_src 0
		.amdhsa_exception_fp_ieee_div_zero 0
		.amdhsa_exception_fp_ieee_overflow 0
		.amdhsa_exception_fp_ieee_underflow 0
		.amdhsa_exception_fp_ieee_inexact 0
		.amdhsa_exception_int_div_zero 0
	.end_amdhsa_kernel
	.section	.text._ZN7rocprim17ROCPRIM_400000_NS6detail17trampoline_kernelINS0_14default_configENS1_22reduce_config_selectorIN6thrust23THRUST_200600_302600_NS5tupleIblNS6_9null_typeES8_S8_S8_S8_S8_S8_S8_EEEEZNS1_11reduce_implILb1ES3_PS9_SC_S9_NS6_11hip_rocprim9__find_if7functorIS9_EEEE10hipError_tPvRmT1_T2_T3_mT4_P12ihipStream_tbEUlT_E0_NS1_11comp_targetILNS1_3genE2ELNS1_11target_archE906ELNS1_3gpuE6ELNS1_3repE0EEENS1_30default_config_static_selectorELNS0_4arch9wavefront6targetE0EEEvSK_,"axG",@progbits,_ZN7rocprim17ROCPRIM_400000_NS6detail17trampoline_kernelINS0_14default_configENS1_22reduce_config_selectorIN6thrust23THRUST_200600_302600_NS5tupleIblNS6_9null_typeES8_S8_S8_S8_S8_S8_S8_EEEEZNS1_11reduce_implILb1ES3_PS9_SC_S9_NS6_11hip_rocprim9__find_if7functorIS9_EEEE10hipError_tPvRmT1_T2_T3_mT4_P12ihipStream_tbEUlT_E0_NS1_11comp_targetILNS1_3genE2ELNS1_11target_archE906ELNS1_3gpuE6ELNS1_3repE0EEENS1_30default_config_static_selectorELNS0_4arch9wavefront6targetE0EEEvSK_,comdat
.Lfunc_end93:
	.size	_ZN7rocprim17ROCPRIM_400000_NS6detail17trampoline_kernelINS0_14default_configENS1_22reduce_config_selectorIN6thrust23THRUST_200600_302600_NS5tupleIblNS6_9null_typeES8_S8_S8_S8_S8_S8_S8_EEEEZNS1_11reduce_implILb1ES3_PS9_SC_S9_NS6_11hip_rocprim9__find_if7functorIS9_EEEE10hipError_tPvRmT1_T2_T3_mT4_P12ihipStream_tbEUlT_E0_NS1_11comp_targetILNS1_3genE2ELNS1_11target_archE906ELNS1_3gpuE6ELNS1_3repE0EEENS1_30default_config_static_selectorELNS0_4arch9wavefront6targetE0EEEvSK_, .Lfunc_end93-_ZN7rocprim17ROCPRIM_400000_NS6detail17trampoline_kernelINS0_14default_configENS1_22reduce_config_selectorIN6thrust23THRUST_200600_302600_NS5tupleIblNS6_9null_typeES8_S8_S8_S8_S8_S8_S8_EEEEZNS1_11reduce_implILb1ES3_PS9_SC_S9_NS6_11hip_rocprim9__find_if7functorIS9_EEEE10hipError_tPvRmT1_T2_T3_mT4_P12ihipStream_tbEUlT_E0_NS1_11comp_targetILNS1_3genE2ELNS1_11target_archE906ELNS1_3gpuE6ELNS1_3repE0EEENS1_30default_config_static_selectorELNS0_4arch9wavefront6targetE0EEEvSK_
                                        ; -- End function
	.set _ZN7rocprim17ROCPRIM_400000_NS6detail17trampoline_kernelINS0_14default_configENS1_22reduce_config_selectorIN6thrust23THRUST_200600_302600_NS5tupleIblNS6_9null_typeES8_S8_S8_S8_S8_S8_S8_EEEEZNS1_11reduce_implILb1ES3_PS9_SC_S9_NS6_11hip_rocprim9__find_if7functorIS9_EEEE10hipError_tPvRmT1_T2_T3_mT4_P12ihipStream_tbEUlT_E0_NS1_11comp_targetILNS1_3genE2ELNS1_11target_archE906ELNS1_3gpuE6ELNS1_3repE0EEENS1_30default_config_static_selectorELNS0_4arch9wavefront6targetE0EEEvSK_.num_vgpr, 0
	.set _ZN7rocprim17ROCPRIM_400000_NS6detail17trampoline_kernelINS0_14default_configENS1_22reduce_config_selectorIN6thrust23THRUST_200600_302600_NS5tupleIblNS6_9null_typeES8_S8_S8_S8_S8_S8_S8_EEEEZNS1_11reduce_implILb1ES3_PS9_SC_S9_NS6_11hip_rocprim9__find_if7functorIS9_EEEE10hipError_tPvRmT1_T2_T3_mT4_P12ihipStream_tbEUlT_E0_NS1_11comp_targetILNS1_3genE2ELNS1_11target_archE906ELNS1_3gpuE6ELNS1_3repE0EEENS1_30default_config_static_selectorELNS0_4arch9wavefront6targetE0EEEvSK_.num_agpr, 0
	.set _ZN7rocprim17ROCPRIM_400000_NS6detail17trampoline_kernelINS0_14default_configENS1_22reduce_config_selectorIN6thrust23THRUST_200600_302600_NS5tupleIblNS6_9null_typeES8_S8_S8_S8_S8_S8_S8_EEEEZNS1_11reduce_implILb1ES3_PS9_SC_S9_NS6_11hip_rocprim9__find_if7functorIS9_EEEE10hipError_tPvRmT1_T2_T3_mT4_P12ihipStream_tbEUlT_E0_NS1_11comp_targetILNS1_3genE2ELNS1_11target_archE906ELNS1_3gpuE6ELNS1_3repE0EEENS1_30default_config_static_selectorELNS0_4arch9wavefront6targetE0EEEvSK_.numbered_sgpr, 0
	.set _ZN7rocprim17ROCPRIM_400000_NS6detail17trampoline_kernelINS0_14default_configENS1_22reduce_config_selectorIN6thrust23THRUST_200600_302600_NS5tupleIblNS6_9null_typeES8_S8_S8_S8_S8_S8_S8_EEEEZNS1_11reduce_implILb1ES3_PS9_SC_S9_NS6_11hip_rocprim9__find_if7functorIS9_EEEE10hipError_tPvRmT1_T2_T3_mT4_P12ihipStream_tbEUlT_E0_NS1_11comp_targetILNS1_3genE2ELNS1_11target_archE906ELNS1_3gpuE6ELNS1_3repE0EEENS1_30default_config_static_selectorELNS0_4arch9wavefront6targetE0EEEvSK_.num_named_barrier, 0
	.set _ZN7rocprim17ROCPRIM_400000_NS6detail17trampoline_kernelINS0_14default_configENS1_22reduce_config_selectorIN6thrust23THRUST_200600_302600_NS5tupleIblNS6_9null_typeES8_S8_S8_S8_S8_S8_S8_EEEEZNS1_11reduce_implILb1ES3_PS9_SC_S9_NS6_11hip_rocprim9__find_if7functorIS9_EEEE10hipError_tPvRmT1_T2_T3_mT4_P12ihipStream_tbEUlT_E0_NS1_11comp_targetILNS1_3genE2ELNS1_11target_archE906ELNS1_3gpuE6ELNS1_3repE0EEENS1_30default_config_static_selectorELNS0_4arch9wavefront6targetE0EEEvSK_.private_seg_size, 0
	.set _ZN7rocprim17ROCPRIM_400000_NS6detail17trampoline_kernelINS0_14default_configENS1_22reduce_config_selectorIN6thrust23THRUST_200600_302600_NS5tupleIblNS6_9null_typeES8_S8_S8_S8_S8_S8_S8_EEEEZNS1_11reduce_implILb1ES3_PS9_SC_S9_NS6_11hip_rocprim9__find_if7functorIS9_EEEE10hipError_tPvRmT1_T2_T3_mT4_P12ihipStream_tbEUlT_E0_NS1_11comp_targetILNS1_3genE2ELNS1_11target_archE906ELNS1_3gpuE6ELNS1_3repE0EEENS1_30default_config_static_selectorELNS0_4arch9wavefront6targetE0EEEvSK_.uses_vcc, 0
	.set _ZN7rocprim17ROCPRIM_400000_NS6detail17trampoline_kernelINS0_14default_configENS1_22reduce_config_selectorIN6thrust23THRUST_200600_302600_NS5tupleIblNS6_9null_typeES8_S8_S8_S8_S8_S8_S8_EEEEZNS1_11reduce_implILb1ES3_PS9_SC_S9_NS6_11hip_rocprim9__find_if7functorIS9_EEEE10hipError_tPvRmT1_T2_T3_mT4_P12ihipStream_tbEUlT_E0_NS1_11comp_targetILNS1_3genE2ELNS1_11target_archE906ELNS1_3gpuE6ELNS1_3repE0EEENS1_30default_config_static_selectorELNS0_4arch9wavefront6targetE0EEEvSK_.uses_flat_scratch, 0
	.set _ZN7rocprim17ROCPRIM_400000_NS6detail17trampoline_kernelINS0_14default_configENS1_22reduce_config_selectorIN6thrust23THRUST_200600_302600_NS5tupleIblNS6_9null_typeES8_S8_S8_S8_S8_S8_S8_EEEEZNS1_11reduce_implILb1ES3_PS9_SC_S9_NS6_11hip_rocprim9__find_if7functorIS9_EEEE10hipError_tPvRmT1_T2_T3_mT4_P12ihipStream_tbEUlT_E0_NS1_11comp_targetILNS1_3genE2ELNS1_11target_archE906ELNS1_3gpuE6ELNS1_3repE0EEENS1_30default_config_static_selectorELNS0_4arch9wavefront6targetE0EEEvSK_.has_dyn_sized_stack, 0
	.set _ZN7rocprim17ROCPRIM_400000_NS6detail17trampoline_kernelINS0_14default_configENS1_22reduce_config_selectorIN6thrust23THRUST_200600_302600_NS5tupleIblNS6_9null_typeES8_S8_S8_S8_S8_S8_S8_EEEEZNS1_11reduce_implILb1ES3_PS9_SC_S9_NS6_11hip_rocprim9__find_if7functorIS9_EEEE10hipError_tPvRmT1_T2_T3_mT4_P12ihipStream_tbEUlT_E0_NS1_11comp_targetILNS1_3genE2ELNS1_11target_archE906ELNS1_3gpuE6ELNS1_3repE0EEENS1_30default_config_static_selectorELNS0_4arch9wavefront6targetE0EEEvSK_.has_recursion, 0
	.set _ZN7rocprim17ROCPRIM_400000_NS6detail17trampoline_kernelINS0_14default_configENS1_22reduce_config_selectorIN6thrust23THRUST_200600_302600_NS5tupleIblNS6_9null_typeES8_S8_S8_S8_S8_S8_S8_EEEEZNS1_11reduce_implILb1ES3_PS9_SC_S9_NS6_11hip_rocprim9__find_if7functorIS9_EEEE10hipError_tPvRmT1_T2_T3_mT4_P12ihipStream_tbEUlT_E0_NS1_11comp_targetILNS1_3genE2ELNS1_11target_archE906ELNS1_3gpuE6ELNS1_3repE0EEENS1_30default_config_static_selectorELNS0_4arch9wavefront6targetE0EEEvSK_.has_indirect_call, 0
	.section	.AMDGPU.csdata,"",@progbits
; Kernel info:
; codeLenInByte = 0
; TotalNumSgprs: 0
; NumVgprs: 0
; ScratchSize: 0
; MemoryBound: 0
; FloatMode: 240
; IeeeMode: 1
; LDSByteSize: 0 bytes/workgroup (compile time only)
; SGPRBlocks: 0
; VGPRBlocks: 0
; NumSGPRsForWavesPerEU: 1
; NumVGPRsForWavesPerEU: 1
; Occupancy: 16
; WaveLimiterHint : 0
; COMPUTE_PGM_RSRC2:SCRATCH_EN: 0
; COMPUTE_PGM_RSRC2:USER_SGPR: 6
; COMPUTE_PGM_RSRC2:TRAP_HANDLER: 0
; COMPUTE_PGM_RSRC2:TGID_X_EN: 1
; COMPUTE_PGM_RSRC2:TGID_Y_EN: 0
; COMPUTE_PGM_RSRC2:TGID_Z_EN: 0
; COMPUTE_PGM_RSRC2:TIDIG_COMP_CNT: 0
	.section	.text._ZN7rocprim17ROCPRIM_400000_NS6detail17trampoline_kernelINS0_14default_configENS1_22reduce_config_selectorIN6thrust23THRUST_200600_302600_NS5tupleIblNS6_9null_typeES8_S8_S8_S8_S8_S8_S8_EEEEZNS1_11reduce_implILb1ES3_PS9_SC_S9_NS6_11hip_rocprim9__find_if7functorIS9_EEEE10hipError_tPvRmT1_T2_T3_mT4_P12ihipStream_tbEUlT_E0_NS1_11comp_targetILNS1_3genE10ELNS1_11target_archE1201ELNS1_3gpuE5ELNS1_3repE0EEENS1_30default_config_static_selectorELNS0_4arch9wavefront6targetE0EEEvSK_,"axG",@progbits,_ZN7rocprim17ROCPRIM_400000_NS6detail17trampoline_kernelINS0_14default_configENS1_22reduce_config_selectorIN6thrust23THRUST_200600_302600_NS5tupleIblNS6_9null_typeES8_S8_S8_S8_S8_S8_S8_EEEEZNS1_11reduce_implILb1ES3_PS9_SC_S9_NS6_11hip_rocprim9__find_if7functorIS9_EEEE10hipError_tPvRmT1_T2_T3_mT4_P12ihipStream_tbEUlT_E0_NS1_11comp_targetILNS1_3genE10ELNS1_11target_archE1201ELNS1_3gpuE5ELNS1_3repE0EEENS1_30default_config_static_selectorELNS0_4arch9wavefront6targetE0EEEvSK_,comdat
	.protected	_ZN7rocprim17ROCPRIM_400000_NS6detail17trampoline_kernelINS0_14default_configENS1_22reduce_config_selectorIN6thrust23THRUST_200600_302600_NS5tupleIblNS6_9null_typeES8_S8_S8_S8_S8_S8_S8_EEEEZNS1_11reduce_implILb1ES3_PS9_SC_S9_NS6_11hip_rocprim9__find_if7functorIS9_EEEE10hipError_tPvRmT1_T2_T3_mT4_P12ihipStream_tbEUlT_E0_NS1_11comp_targetILNS1_3genE10ELNS1_11target_archE1201ELNS1_3gpuE5ELNS1_3repE0EEENS1_30default_config_static_selectorELNS0_4arch9wavefront6targetE0EEEvSK_ ; -- Begin function _ZN7rocprim17ROCPRIM_400000_NS6detail17trampoline_kernelINS0_14default_configENS1_22reduce_config_selectorIN6thrust23THRUST_200600_302600_NS5tupleIblNS6_9null_typeES8_S8_S8_S8_S8_S8_S8_EEEEZNS1_11reduce_implILb1ES3_PS9_SC_S9_NS6_11hip_rocprim9__find_if7functorIS9_EEEE10hipError_tPvRmT1_T2_T3_mT4_P12ihipStream_tbEUlT_E0_NS1_11comp_targetILNS1_3genE10ELNS1_11target_archE1201ELNS1_3gpuE5ELNS1_3repE0EEENS1_30default_config_static_selectorELNS0_4arch9wavefront6targetE0EEEvSK_
	.globl	_ZN7rocprim17ROCPRIM_400000_NS6detail17trampoline_kernelINS0_14default_configENS1_22reduce_config_selectorIN6thrust23THRUST_200600_302600_NS5tupleIblNS6_9null_typeES8_S8_S8_S8_S8_S8_S8_EEEEZNS1_11reduce_implILb1ES3_PS9_SC_S9_NS6_11hip_rocprim9__find_if7functorIS9_EEEE10hipError_tPvRmT1_T2_T3_mT4_P12ihipStream_tbEUlT_E0_NS1_11comp_targetILNS1_3genE10ELNS1_11target_archE1201ELNS1_3gpuE5ELNS1_3repE0EEENS1_30default_config_static_selectorELNS0_4arch9wavefront6targetE0EEEvSK_
	.p2align	8
	.type	_ZN7rocprim17ROCPRIM_400000_NS6detail17trampoline_kernelINS0_14default_configENS1_22reduce_config_selectorIN6thrust23THRUST_200600_302600_NS5tupleIblNS6_9null_typeES8_S8_S8_S8_S8_S8_S8_EEEEZNS1_11reduce_implILb1ES3_PS9_SC_S9_NS6_11hip_rocprim9__find_if7functorIS9_EEEE10hipError_tPvRmT1_T2_T3_mT4_P12ihipStream_tbEUlT_E0_NS1_11comp_targetILNS1_3genE10ELNS1_11target_archE1201ELNS1_3gpuE5ELNS1_3repE0EEENS1_30default_config_static_selectorELNS0_4arch9wavefront6targetE0EEEvSK_,@function
_ZN7rocprim17ROCPRIM_400000_NS6detail17trampoline_kernelINS0_14default_configENS1_22reduce_config_selectorIN6thrust23THRUST_200600_302600_NS5tupleIblNS6_9null_typeES8_S8_S8_S8_S8_S8_S8_EEEEZNS1_11reduce_implILb1ES3_PS9_SC_S9_NS6_11hip_rocprim9__find_if7functorIS9_EEEE10hipError_tPvRmT1_T2_T3_mT4_P12ihipStream_tbEUlT_E0_NS1_11comp_targetILNS1_3genE10ELNS1_11target_archE1201ELNS1_3gpuE5ELNS1_3repE0EEENS1_30default_config_static_selectorELNS0_4arch9wavefront6targetE0EEEvSK_: ; @_ZN7rocprim17ROCPRIM_400000_NS6detail17trampoline_kernelINS0_14default_configENS1_22reduce_config_selectorIN6thrust23THRUST_200600_302600_NS5tupleIblNS6_9null_typeES8_S8_S8_S8_S8_S8_S8_EEEEZNS1_11reduce_implILb1ES3_PS9_SC_S9_NS6_11hip_rocprim9__find_if7functorIS9_EEEE10hipError_tPvRmT1_T2_T3_mT4_P12ihipStream_tbEUlT_E0_NS1_11comp_targetILNS1_3genE10ELNS1_11target_archE1201ELNS1_3gpuE5ELNS1_3repE0EEENS1_30default_config_static_selectorELNS0_4arch9wavefront6targetE0EEEvSK_
; %bb.0:
	.section	.rodata,"a",@progbits
	.p2align	6, 0x0
	.amdhsa_kernel _ZN7rocprim17ROCPRIM_400000_NS6detail17trampoline_kernelINS0_14default_configENS1_22reduce_config_selectorIN6thrust23THRUST_200600_302600_NS5tupleIblNS6_9null_typeES8_S8_S8_S8_S8_S8_S8_EEEEZNS1_11reduce_implILb1ES3_PS9_SC_S9_NS6_11hip_rocprim9__find_if7functorIS9_EEEE10hipError_tPvRmT1_T2_T3_mT4_P12ihipStream_tbEUlT_E0_NS1_11comp_targetILNS1_3genE10ELNS1_11target_archE1201ELNS1_3gpuE5ELNS1_3repE0EEENS1_30default_config_static_selectorELNS0_4arch9wavefront6targetE0EEEvSK_
		.amdhsa_group_segment_fixed_size 0
		.amdhsa_private_segment_fixed_size 0
		.amdhsa_kernarg_size 72
		.amdhsa_user_sgpr_count 6
		.amdhsa_user_sgpr_private_segment_buffer 1
		.amdhsa_user_sgpr_dispatch_ptr 0
		.amdhsa_user_sgpr_queue_ptr 0
		.amdhsa_user_sgpr_kernarg_segment_ptr 1
		.amdhsa_user_sgpr_dispatch_id 0
		.amdhsa_user_sgpr_flat_scratch_init 0
		.amdhsa_user_sgpr_private_segment_size 0
		.amdhsa_wavefront_size32 1
		.amdhsa_uses_dynamic_stack 0
		.amdhsa_system_sgpr_private_segment_wavefront_offset 0
		.amdhsa_system_sgpr_workgroup_id_x 1
		.amdhsa_system_sgpr_workgroup_id_y 0
		.amdhsa_system_sgpr_workgroup_id_z 0
		.amdhsa_system_sgpr_workgroup_info 0
		.amdhsa_system_vgpr_workitem_id 0
		.amdhsa_next_free_vgpr 1
		.amdhsa_next_free_sgpr 1
		.amdhsa_reserve_vcc 0
		.amdhsa_reserve_flat_scratch 0
		.amdhsa_float_round_mode_32 0
		.amdhsa_float_round_mode_16_64 0
		.amdhsa_float_denorm_mode_32 3
		.amdhsa_float_denorm_mode_16_64 3
		.amdhsa_dx10_clamp 1
		.amdhsa_ieee_mode 1
		.amdhsa_fp16_overflow 0
		.amdhsa_workgroup_processor_mode 1
		.amdhsa_memory_ordered 1
		.amdhsa_forward_progress 1
		.amdhsa_shared_vgpr_count 0
		.amdhsa_exception_fp_ieee_invalid_op 0
		.amdhsa_exception_fp_denorm_src 0
		.amdhsa_exception_fp_ieee_div_zero 0
		.amdhsa_exception_fp_ieee_overflow 0
		.amdhsa_exception_fp_ieee_underflow 0
		.amdhsa_exception_fp_ieee_inexact 0
		.amdhsa_exception_int_div_zero 0
	.end_amdhsa_kernel
	.section	.text._ZN7rocprim17ROCPRIM_400000_NS6detail17trampoline_kernelINS0_14default_configENS1_22reduce_config_selectorIN6thrust23THRUST_200600_302600_NS5tupleIblNS6_9null_typeES8_S8_S8_S8_S8_S8_S8_EEEEZNS1_11reduce_implILb1ES3_PS9_SC_S9_NS6_11hip_rocprim9__find_if7functorIS9_EEEE10hipError_tPvRmT1_T2_T3_mT4_P12ihipStream_tbEUlT_E0_NS1_11comp_targetILNS1_3genE10ELNS1_11target_archE1201ELNS1_3gpuE5ELNS1_3repE0EEENS1_30default_config_static_selectorELNS0_4arch9wavefront6targetE0EEEvSK_,"axG",@progbits,_ZN7rocprim17ROCPRIM_400000_NS6detail17trampoline_kernelINS0_14default_configENS1_22reduce_config_selectorIN6thrust23THRUST_200600_302600_NS5tupleIblNS6_9null_typeES8_S8_S8_S8_S8_S8_S8_EEEEZNS1_11reduce_implILb1ES3_PS9_SC_S9_NS6_11hip_rocprim9__find_if7functorIS9_EEEE10hipError_tPvRmT1_T2_T3_mT4_P12ihipStream_tbEUlT_E0_NS1_11comp_targetILNS1_3genE10ELNS1_11target_archE1201ELNS1_3gpuE5ELNS1_3repE0EEENS1_30default_config_static_selectorELNS0_4arch9wavefront6targetE0EEEvSK_,comdat
.Lfunc_end94:
	.size	_ZN7rocprim17ROCPRIM_400000_NS6detail17trampoline_kernelINS0_14default_configENS1_22reduce_config_selectorIN6thrust23THRUST_200600_302600_NS5tupleIblNS6_9null_typeES8_S8_S8_S8_S8_S8_S8_EEEEZNS1_11reduce_implILb1ES3_PS9_SC_S9_NS6_11hip_rocprim9__find_if7functorIS9_EEEE10hipError_tPvRmT1_T2_T3_mT4_P12ihipStream_tbEUlT_E0_NS1_11comp_targetILNS1_3genE10ELNS1_11target_archE1201ELNS1_3gpuE5ELNS1_3repE0EEENS1_30default_config_static_selectorELNS0_4arch9wavefront6targetE0EEEvSK_, .Lfunc_end94-_ZN7rocprim17ROCPRIM_400000_NS6detail17trampoline_kernelINS0_14default_configENS1_22reduce_config_selectorIN6thrust23THRUST_200600_302600_NS5tupleIblNS6_9null_typeES8_S8_S8_S8_S8_S8_S8_EEEEZNS1_11reduce_implILb1ES3_PS9_SC_S9_NS6_11hip_rocprim9__find_if7functorIS9_EEEE10hipError_tPvRmT1_T2_T3_mT4_P12ihipStream_tbEUlT_E0_NS1_11comp_targetILNS1_3genE10ELNS1_11target_archE1201ELNS1_3gpuE5ELNS1_3repE0EEENS1_30default_config_static_selectorELNS0_4arch9wavefront6targetE0EEEvSK_
                                        ; -- End function
	.set _ZN7rocprim17ROCPRIM_400000_NS6detail17trampoline_kernelINS0_14default_configENS1_22reduce_config_selectorIN6thrust23THRUST_200600_302600_NS5tupleIblNS6_9null_typeES8_S8_S8_S8_S8_S8_S8_EEEEZNS1_11reduce_implILb1ES3_PS9_SC_S9_NS6_11hip_rocprim9__find_if7functorIS9_EEEE10hipError_tPvRmT1_T2_T3_mT4_P12ihipStream_tbEUlT_E0_NS1_11comp_targetILNS1_3genE10ELNS1_11target_archE1201ELNS1_3gpuE5ELNS1_3repE0EEENS1_30default_config_static_selectorELNS0_4arch9wavefront6targetE0EEEvSK_.num_vgpr, 0
	.set _ZN7rocprim17ROCPRIM_400000_NS6detail17trampoline_kernelINS0_14default_configENS1_22reduce_config_selectorIN6thrust23THRUST_200600_302600_NS5tupleIblNS6_9null_typeES8_S8_S8_S8_S8_S8_S8_EEEEZNS1_11reduce_implILb1ES3_PS9_SC_S9_NS6_11hip_rocprim9__find_if7functorIS9_EEEE10hipError_tPvRmT1_T2_T3_mT4_P12ihipStream_tbEUlT_E0_NS1_11comp_targetILNS1_3genE10ELNS1_11target_archE1201ELNS1_3gpuE5ELNS1_3repE0EEENS1_30default_config_static_selectorELNS0_4arch9wavefront6targetE0EEEvSK_.num_agpr, 0
	.set _ZN7rocprim17ROCPRIM_400000_NS6detail17trampoline_kernelINS0_14default_configENS1_22reduce_config_selectorIN6thrust23THRUST_200600_302600_NS5tupleIblNS6_9null_typeES8_S8_S8_S8_S8_S8_S8_EEEEZNS1_11reduce_implILb1ES3_PS9_SC_S9_NS6_11hip_rocprim9__find_if7functorIS9_EEEE10hipError_tPvRmT1_T2_T3_mT4_P12ihipStream_tbEUlT_E0_NS1_11comp_targetILNS1_3genE10ELNS1_11target_archE1201ELNS1_3gpuE5ELNS1_3repE0EEENS1_30default_config_static_selectorELNS0_4arch9wavefront6targetE0EEEvSK_.numbered_sgpr, 0
	.set _ZN7rocprim17ROCPRIM_400000_NS6detail17trampoline_kernelINS0_14default_configENS1_22reduce_config_selectorIN6thrust23THRUST_200600_302600_NS5tupleIblNS6_9null_typeES8_S8_S8_S8_S8_S8_S8_EEEEZNS1_11reduce_implILb1ES3_PS9_SC_S9_NS6_11hip_rocprim9__find_if7functorIS9_EEEE10hipError_tPvRmT1_T2_T3_mT4_P12ihipStream_tbEUlT_E0_NS1_11comp_targetILNS1_3genE10ELNS1_11target_archE1201ELNS1_3gpuE5ELNS1_3repE0EEENS1_30default_config_static_selectorELNS0_4arch9wavefront6targetE0EEEvSK_.num_named_barrier, 0
	.set _ZN7rocprim17ROCPRIM_400000_NS6detail17trampoline_kernelINS0_14default_configENS1_22reduce_config_selectorIN6thrust23THRUST_200600_302600_NS5tupleIblNS6_9null_typeES8_S8_S8_S8_S8_S8_S8_EEEEZNS1_11reduce_implILb1ES3_PS9_SC_S9_NS6_11hip_rocprim9__find_if7functorIS9_EEEE10hipError_tPvRmT1_T2_T3_mT4_P12ihipStream_tbEUlT_E0_NS1_11comp_targetILNS1_3genE10ELNS1_11target_archE1201ELNS1_3gpuE5ELNS1_3repE0EEENS1_30default_config_static_selectorELNS0_4arch9wavefront6targetE0EEEvSK_.private_seg_size, 0
	.set _ZN7rocprim17ROCPRIM_400000_NS6detail17trampoline_kernelINS0_14default_configENS1_22reduce_config_selectorIN6thrust23THRUST_200600_302600_NS5tupleIblNS6_9null_typeES8_S8_S8_S8_S8_S8_S8_EEEEZNS1_11reduce_implILb1ES3_PS9_SC_S9_NS6_11hip_rocprim9__find_if7functorIS9_EEEE10hipError_tPvRmT1_T2_T3_mT4_P12ihipStream_tbEUlT_E0_NS1_11comp_targetILNS1_3genE10ELNS1_11target_archE1201ELNS1_3gpuE5ELNS1_3repE0EEENS1_30default_config_static_selectorELNS0_4arch9wavefront6targetE0EEEvSK_.uses_vcc, 0
	.set _ZN7rocprim17ROCPRIM_400000_NS6detail17trampoline_kernelINS0_14default_configENS1_22reduce_config_selectorIN6thrust23THRUST_200600_302600_NS5tupleIblNS6_9null_typeES8_S8_S8_S8_S8_S8_S8_EEEEZNS1_11reduce_implILb1ES3_PS9_SC_S9_NS6_11hip_rocprim9__find_if7functorIS9_EEEE10hipError_tPvRmT1_T2_T3_mT4_P12ihipStream_tbEUlT_E0_NS1_11comp_targetILNS1_3genE10ELNS1_11target_archE1201ELNS1_3gpuE5ELNS1_3repE0EEENS1_30default_config_static_selectorELNS0_4arch9wavefront6targetE0EEEvSK_.uses_flat_scratch, 0
	.set _ZN7rocprim17ROCPRIM_400000_NS6detail17trampoline_kernelINS0_14default_configENS1_22reduce_config_selectorIN6thrust23THRUST_200600_302600_NS5tupleIblNS6_9null_typeES8_S8_S8_S8_S8_S8_S8_EEEEZNS1_11reduce_implILb1ES3_PS9_SC_S9_NS6_11hip_rocprim9__find_if7functorIS9_EEEE10hipError_tPvRmT1_T2_T3_mT4_P12ihipStream_tbEUlT_E0_NS1_11comp_targetILNS1_3genE10ELNS1_11target_archE1201ELNS1_3gpuE5ELNS1_3repE0EEENS1_30default_config_static_selectorELNS0_4arch9wavefront6targetE0EEEvSK_.has_dyn_sized_stack, 0
	.set _ZN7rocprim17ROCPRIM_400000_NS6detail17trampoline_kernelINS0_14default_configENS1_22reduce_config_selectorIN6thrust23THRUST_200600_302600_NS5tupleIblNS6_9null_typeES8_S8_S8_S8_S8_S8_S8_EEEEZNS1_11reduce_implILb1ES3_PS9_SC_S9_NS6_11hip_rocprim9__find_if7functorIS9_EEEE10hipError_tPvRmT1_T2_T3_mT4_P12ihipStream_tbEUlT_E0_NS1_11comp_targetILNS1_3genE10ELNS1_11target_archE1201ELNS1_3gpuE5ELNS1_3repE0EEENS1_30default_config_static_selectorELNS0_4arch9wavefront6targetE0EEEvSK_.has_recursion, 0
	.set _ZN7rocprim17ROCPRIM_400000_NS6detail17trampoline_kernelINS0_14default_configENS1_22reduce_config_selectorIN6thrust23THRUST_200600_302600_NS5tupleIblNS6_9null_typeES8_S8_S8_S8_S8_S8_S8_EEEEZNS1_11reduce_implILb1ES3_PS9_SC_S9_NS6_11hip_rocprim9__find_if7functorIS9_EEEE10hipError_tPvRmT1_T2_T3_mT4_P12ihipStream_tbEUlT_E0_NS1_11comp_targetILNS1_3genE10ELNS1_11target_archE1201ELNS1_3gpuE5ELNS1_3repE0EEENS1_30default_config_static_selectorELNS0_4arch9wavefront6targetE0EEEvSK_.has_indirect_call, 0
	.section	.AMDGPU.csdata,"",@progbits
; Kernel info:
; codeLenInByte = 0
; TotalNumSgprs: 0
; NumVgprs: 0
; ScratchSize: 0
; MemoryBound: 0
; FloatMode: 240
; IeeeMode: 1
; LDSByteSize: 0 bytes/workgroup (compile time only)
; SGPRBlocks: 0
; VGPRBlocks: 0
; NumSGPRsForWavesPerEU: 1
; NumVGPRsForWavesPerEU: 1
; Occupancy: 16
; WaveLimiterHint : 0
; COMPUTE_PGM_RSRC2:SCRATCH_EN: 0
; COMPUTE_PGM_RSRC2:USER_SGPR: 6
; COMPUTE_PGM_RSRC2:TRAP_HANDLER: 0
; COMPUTE_PGM_RSRC2:TGID_X_EN: 1
; COMPUTE_PGM_RSRC2:TGID_Y_EN: 0
; COMPUTE_PGM_RSRC2:TGID_Z_EN: 0
; COMPUTE_PGM_RSRC2:TIDIG_COMP_CNT: 0
	.section	.text._ZN7rocprim17ROCPRIM_400000_NS6detail17trampoline_kernelINS0_14default_configENS1_22reduce_config_selectorIN6thrust23THRUST_200600_302600_NS5tupleIblNS6_9null_typeES8_S8_S8_S8_S8_S8_S8_EEEEZNS1_11reduce_implILb1ES3_PS9_SC_S9_NS6_11hip_rocprim9__find_if7functorIS9_EEEE10hipError_tPvRmT1_T2_T3_mT4_P12ihipStream_tbEUlT_E0_NS1_11comp_targetILNS1_3genE10ELNS1_11target_archE1200ELNS1_3gpuE4ELNS1_3repE0EEENS1_30default_config_static_selectorELNS0_4arch9wavefront6targetE0EEEvSK_,"axG",@progbits,_ZN7rocprim17ROCPRIM_400000_NS6detail17trampoline_kernelINS0_14default_configENS1_22reduce_config_selectorIN6thrust23THRUST_200600_302600_NS5tupleIblNS6_9null_typeES8_S8_S8_S8_S8_S8_S8_EEEEZNS1_11reduce_implILb1ES3_PS9_SC_S9_NS6_11hip_rocprim9__find_if7functorIS9_EEEE10hipError_tPvRmT1_T2_T3_mT4_P12ihipStream_tbEUlT_E0_NS1_11comp_targetILNS1_3genE10ELNS1_11target_archE1200ELNS1_3gpuE4ELNS1_3repE0EEENS1_30default_config_static_selectorELNS0_4arch9wavefront6targetE0EEEvSK_,comdat
	.protected	_ZN7rocprim17ROCPRIM_400000_NS6detail17trampoline_kernelINS0_14default_configENS1_22reduce_config_selectorIN6thrust23THRUST_200600_302600_NS5tupleIblNS6_9null_typeES8_S8_S8_S8_S8_S8_S8_EEEEZNS1_11reduce_implILb1ES3_PS9_SC_S9_NS6_11hip_rocprim9__find_if7functorIS9_EEEE10hipError_tPvRmT1_T2_T3_mT4_P12ihipStream_tbEUlT_E0_NS1_11comp_targetILNS1_3genE10ELNS1_11target_archE1200ELNS1_3gpuE4ELNS1_3repE0EEENS1_30default_config_static_selectorELNS0_4arch9wavefront6targetE0EEEvSK_ ; -- Begin function _ZN7rocprim17ROCPRIM_400000_NS6detail17trampoline_kernelINS0_14default_configENS1_22reduce_config_selectorIN6thrust23THRUST_200600_302600_NS5tupleIblNS6_9null_typeES8_S8_S8_S8_S8_S8_S8_EEEEZNS1_11reduce_implILb1ES3_PS9_SC_S9_NS6_11hip_rocprim9__find_if7functorIS9_EEEE10hipError_tPvRmT1_T2_T3_mT4_P12ihipStream_tbEUlT_E0_NS1_11comp_targetILNS1_3genE10ELNS1_11target_archE1200ELNS1_3gpuE4ELNS1_3repE0EEENS1_30default_config_static_selectorELNS0_4arch9wavefront6targetE0EEEvSK_
	.globl	_ZN7rocprim17ROCPRIM_400000_NS6detail17trampoline_kernelINS0_14default_configENS1_22reduce_config_selectorIN6thrust23THRUST_200600_302600_NS5tupleIblNS6_9null_typeES8_S8_S8_S8_S8_S8_S8_EEEEZNS1_11reduce_implILb1ES3_PS9_SC_S9_NS6_11hip_rocprim9__find_if7functorIS9_EEEE10hipError_tPvRmT1_T2_T3_mT4_P12ihipStream_tbEUlT_E0_NS1_11comp_targetILNS1_3genE10ELNS1_11target_archE1200ELNS1_3gpuE4ELNS1_3repE0EEENS1_30default_config_static_selectorELNS0_4arch9wavefront6targetE0EEEvSK_
	.p2align	8
	.type	_ZN7rocprim17ROCPRIM_400000_NS6detail17trampoline_kernelINS0_14default_configENS1_22reduce_config_selectorIN6thrust23THRUST_200600_302600_NS5tupleIblNS6_9null_typeES8_S8_S8_S8_S8_S8_S8_EEEEZNS1_11reduce_implILb1ES3_PS9_SC_S9_NS6_11hip_rocprim9__find_if7functorIS9_EEEE10hipError_tPvRmT1_T2_T3_mT4_P12ihipStream_tbEUlT_E0_NS1_11comp_targetILNS1_3genE10ELNS1_11target_archE1200ELNS1_3gpuE4ELNS1_3repE0EEENS1_30default_config_static_selectorELNS0_4arch9wavefront6targetE0EEEvSK_,@function
_ZN7rocprim17ROCPRIM_400000_NS6detail17trampoline_kernelINS0_14default_configENS1_22reduce_config_selectorIN6thrust23THRUST_200600_302600_NS5tupleIblNS6_9null_typeES8_S8_S8_S8_S8_S8_S8_EEEEZNS1_11reduce_implILb1ES3_PS9_SC_S9_NS6_11hip_rocprim9__find_if7functorIS9_EEEE10hipError_tPvRmT1_T2_T3_mT4_P12ihipStream_tbEUlT_E0_NS1_11comp_targetILNS1_3genE10ELNS1_11target_archE1200ELNS1_3gpuE4ELNS1_3repE0EEENS1_30default_config_static_selectorELNS0_4arch9wavefront6targetE0EEEvSK_: ; @_ZN7rocprim17ROCPRIM_400000_NS6detail17trampoline_kernelINS0_14default_configENS1_22reduce_config_selectorIN6thrust23THRUST_200600_302600_NS5tupleIblNS6_9null_typeES8_S8_S8_S8_S8_S8_S8_EEEEZNS1_11reduce_implILb1ES3_PS9_SC_S9_NS6_11hip_rocprim9__find_if7functorIS9_EEEE10hipError_tPvRmT1_T2_T3_mT4_P12ihipStream_tbEUlT_E0_NS1_11comp_targetILNS1_3genE10ELNS1_11target_archE1200ELNS1_3gpuE4ELNS1_3repE0EEENS1_30default_config_static_selectorELNS0_4arch9wavefront6targetE0EEEvSK_
; %bb.0:
	.section	.rodata,"a",@progbits
	.p2align	6, 0x0
	.amdhsa_kernel _ZN7rocprim17ROCPRIM_400000_NS6detail17trampoline_kernelINS0_14default_configENS1_22reduce_config_selectorIN6thrust23THRUST_200600_302600_NS5tupleIblNS6_9null_typeES8_S8_S8_S8_S8_S8_S8_EEEEZNS1_11reduce_implILb1ES3_PS9_SC_S9_NS6_11hip_rocprim9__find_if7functorIS9_EEEE10hipError_tPvRmT1_T2_T3_mT4_P12ihipStream_tbEUlT_E0_NS1_11comp_targetILNS1_3genE10ELNS1_11target_archE1200ELNS1_3gpuE4ELNS1_3repE0EEENS1_30default_config_static_selectorELNS0_4arch9wavefront6targetE0EEEvSK_
		.amdhsa_group_segment_fixed_size 0
		.amdhsa_private_segment_fixed_size 0
		.amdhsa_kernarg_size 72
		.amdhsa_user_sgpr_count 6
		.amdhsa_user_sgpr_private_segment_buffer 1
		.amdhsa_user_sgpr_dispatch_ptr 0
		.amdhsa_user_sgpr_queue_ptr 0
		.amdhsa_user_sgpr_kernarg_segment_ptr 1
		.amdhsa_user_sgpr_dispatch_id 0
		.amdhsa_user_sgpr_flat_scratch_init 0
		.amdhsa_user_sgpr_private_segment_size 0
		.amdhsa_wavefront_size32 1
		.amdhsa_uses_dynamic_stack 0
		.amdhsa_system_sgpr_private_segment_wavefront_offset 0
		.amdhsa_system_sgpr_workgroup_id_x 1
		.amdhsa_system_sgpr_workgroup_id_y 0
		.amdhsa_system_sgpr_workgroup_id_z 0
		.amdhsa_system_sgpr_workgroup_info 0
		.amdhsa_system_vgpr_workitem_id 0
		.amdhsa_next_free_vgpr 1
		.amdhsa_next_free_sgpr 1
		.amdhsa_reserve_vcc 0
		.amdhsa_reserve_flat_scratch 0
		.amdhsa_float_round_mode_32 0
		.amdhsa_float_round_mode_16_64 0
		.amdhsa_float_denorm_mode_32 3
		.amdhsa_float_denorm_mode_16_64 3
		.amdhsa_dx10_clamp 1
		.amdhsa_ieee_mode 1
		.amdhsa_fp16_overflow 0
		.amdhsa_workgroup_processor_mode 1
		.amdhsa_memory_ordered 1
		.amdhsa_forward_progress 1
		.amdhsa_shared_vgpr_count 0
		.amdhsa_exception_fp_ieee_invalid_op 0
		.amdhsa_exception_fp_denorm_src 0
		.amdhsa_exception_fp_ieee_div_zero 0
		.amdhsa_exception_fp_ieee_overflow 0
		.amdhsa_exception_fp_ieee_underflow 0
		.amdhsa_exception_fp_ieee_inexact 0
		.amdhsa_exception_int_div_zero 0
	.end_amdhsa_kernel
	.section	.text._ZN7rocprim17ROCPRIM_400000_NS6detail17trampoline_kernelINS0_14default_configENS1_22reduce_config_selectorIN6thrust23THRUST_200600_302600_NS5tupleIblNS6_9null_typeES8_S8_S8_S8_S8_S8_S8_EEEEZNS1_11reduce_implILb1ES3_PS9_SC_S9_NS6_11hip_rocprim9__find_if7functorIS9_EEEE10hipError_tPvRmT1_T2_T3_mT4_P12ihipStream_tbEUlT_E0_NS1_11comp_targetILNS1_3genE10ELNS1_11target_archE1200ELNS1_3gpuE4ELNS1_3repE0EEENS1_30default_config_static_selectorELNS0_4arch9wavefront6targetE0EEEvSK_,"axG",@progbits,_ZN7rocprim17ROCPRIM_400000_NS6detail17trampoline_kernelINS0_14default_configENS1_22reduce_config_selectorIN6thrust23THRUST_200600_302600_NS5tupleIblNS6_9null_typeES8_S8_S8_S8_S8_S8_S8_EEEEZNS1_11reduce_implILb1ES3_PS9_SC_S9_NS6_11hip_rocprim9__find_if7functorIS9_EEEE10hipError_tPvRmT1_T2_T3_mT4_P12ihipStream_tbEUlT_E0_NS1_11comp_targetILNS1_3genE10ELNS1_11target_archE1200ELNS1_3gpuE4ELNS1_3repE0EEENS1_30default_config_static_selectorELNS0_4arch9wavefront6targetE0EEEvSK_,comdat
.Lfunc_end95:
	.size	_ZN7rocprim17ROCPRIM_400000_NS6detail17trampoline_kernelINS0_14default_configENS1_22reduce_config_selectorIN6thrust23THRUST_200600_302600_NS5tupleIblNS6_9null_typeES8_S8_S8_S8_S8_S8_S8_EEEEZNS1_11reduce_implILb1ES3_PS9_SC_S9_NS6_11hip_rocprim9__find_if7functorIS9_EEEE10hipError_tPvRmT1_T2_T3_mT4_P12ihipStream_tbEUlT_E0_NS1_11comp_targetILNS1_3genE10ELNS1_11target_archE1200ELNS1_3gpuE4ELNS1_3repE0EEENS1_30default_config_static_selectorELNS0_4arch9wavefront6targetE0EEEvSK_, .Lfunc_end95-_ZN7rocprim17ROCPRIM_400000_NS6detail17trampoline_kernelINS0_14default_configENS1_22reduce_config_selectorIN6thrust23THRUST_200600_302600_NS5tupleIblNS6_9null_typeES8_S8_S8_S8_S8_S8_S8_EEEEZNS1_11reduce_implILb1ES3_PS9_SC_S9_NS6_11hip_rocprim9__find_if7functorIS9_EEEE10hipError_tPvRmT1_T2_T3_mT4_P12ihipStream_tbEUlT_E0_NS1_11comp_targetILNS1_3genE10ELNS1_11target_archE1200ELNS1_3gpuE4ELNS1_3repE0EEENS1_30default_config_static_selectorELNS0_4arch9wavefront6targetE0EEEvSK_
                                        ; -- End function
	.set _ZN7rocprim17ROCPRIM_400000_NS6detail17trampoline_kernelINS0_14default_configENS1_22reduce_config_selectorIN6thrust23THRUST_200600_302600_NS5tupleIblNS6_9null_typeES8_S8_S8_S8_S8_S8_S8_EEEEZNS1_11reduce_implILb1ES3_PS9_SC_S9_NS6_11hip_rocprim9__find_if7functorIS9_EEEE10hipError_tPvRmT1_T2_T3_mT4_P12ihipStream_tbEUlT_E0_NS1_11comp_targetILNS1_3genE10ELNS1_11target_archE1200ELNS1_3gpuE4ELNS1_3repE0EEENS1_30default_config_static_selectorELNS0_4arch9wavefront6targetE0EEEvSK_.num_vgpr, 0
	.set _ZN7rocprim17ROCPRIM_400000_NS6detail17trampoline_kernelINS0_14default_configENS1_22reduce_config_selectorIN6thrust23THRUST_200600_302600_NS5tupleIblNS6_9null_typeES8_S8_S8_S8_S8_S8_S8_EEEEZNS1_11reduce_implILb1ES3_PS9_SC_S9_NS6_11hip_rocprim9__find_if7functorIS9_EEEE10hipError_tPvRmT1_T2_T3_mT4_P12ihipStream_tbEUlT_E0_NS1_11comp_targetILNS1_3genE10ELNS1_11target_archE1200ELNS1_3gpuE4ELNS1_3repE0EEENS1_30default_config_static_selectorELNS0_4arch9wavefront6targetE0EEEvSK_.num_agpr, 0
	.set _ZN7rocprim17ROCPRIM_400000_NS6detail17trampoline_kernelINS0_14default_configENS1_22reduce_config_selectorIN6thrust23THRUST_200600_302600_NS5tupleIblNS6_9null_typeES8_S8_S8_S8_S8_S8_S8_EEEEZNS1_11reduce_implILb1ES3_PS9_SC_S9_NS6_11hip_rocprim9__find_if7functorIS9_EEEE10hipError_tPvRmT1_T2_T3_mT4_P12ihipStream_tbEUlT_E0_NS1_11comp_targetILNS1_3genE10ELNS1_11target_archE1200ELNS1_3gpuE4ELNS1_3repE0EEENS1_30default_config_static_selectorELNS0_4arch9wavefront6targetE0EEEvSK_.numbered_sgpr, 0
	.set _ZN7rocprim17ROCPRIM_400000_NS6detail17trampoline_kernelINS0_14default_configENS1_22reduce_config_selectorIN6thrust23THRUST_200600_302600_NS5tupleIblNS6_9null_typeES8_S8_S8_S8_S8_S8_S8_EEEEZNS1_11reduce_implILb1ES3_PS9_SC_S9_NS6_11hip_rocprim9__find_if7functorIS9_EEEE10hipError_tPvRmT1_T2_T3_mT4_P12ihipStream_tbEUlT_E0_NS1_11comp_targetILNS1_3genE10ELNS1_11target_archE1200ELNS1_3gpuE4ELNS1_3repE0EEENS1_30default_config_static_selectorELNS0_4arch9wavefront6targetE0EEEvSK_.num_named_barrier, 0
	.set _ZN7rocprim17ROCPRIM_400000_NS6detail17trampoline_kernelINS0_14default_configENS1_22reduce_config_selectorIN6thrust23THRUST_200600_302600_NS5tupleIblNS6_9null_typeES8_S8_S8_S8_S8_S8_S8_EEEEZNS1_11reduce_implILb1ES3_PS9_SC_S9_NS6_11hip_rocprim9__find_if7functorIS9_EEEE10hipError_tPvRmT1_T2_T3_mT4_P12ihipStream_tbEUlT_E0_NS1_11comp_targetILNS1_3genE10ELNS1_11target_archE1200ELNS1_3gpuE4ELNS1_3repE0EEENS1_30default_config_static_selectorELNS0_4arch9wavefront6targetE0EEEvSK_.private_seg_size, 0
	.set _ZN7rocprim17ROCPRIM_400000_NS6detail17trampoline_kernelINS0_14default_configENS1_22reduce_config_selectorIN6thrust23THRUST_200600_302600_NS5tupleIblNS6_9null_typeES8_S8_S8_S8_S8_S8_S8_EEEEZNS1_11reduce_implILb1ES3_PS9_SC_S9_NS6_11hip_rocprim9__find_if7functorIS9_EEEE10hipError_tPvRmT1_T2_T3_mT4_P12ihipStream_tbEUlT_E0_NS1_11comp_targetILNS1_3genE10ELNS1_11target_archE1200ELNS1_3gpuE4ELNS1_3repE0EEENS1_30default_config_static_selectorELNS0_4arch9wavefront6targetE0EEEvSK_.uses_vcc, 0
	.set _ZN7rocprim17ROCPRIM_400000_NS6detail17trampoline_kernelINS0_14default_configENS1_22reduce_config_selectorIN6thrust23THRUST_200600_302600_NS5tupleIblNS6_9null_typeES8_S8_S8_S8_S8_S8_S8_EEEEZNS1_11reduce_implILb1ES3_PS9_SC_S9_NS6_11hip_rocprim9__find_if7functorIS9_EEEE10hipError_tPvRmT1_T2_T3_mT4_P12ihipStream_tbEUlT_E0_NS1_11comp_targetILNS1_3genE10ELNS1_11target_archE1200ELNS1_3gpuE4ELNS1_3repE0EEENS1_30default_config_static_selectorELNS0_4arch9wavefront6targetE0EEEvSK_.uses_flat_scratch, 0
	.set _ZN7rocprim17ROCPRIM_400000_NS6detail17trampoline_kernelINS0_14default_configENS1_22reduce_config_selectorIN6thrust23THRUST_200600_302600_NS5tupleIblNS6_9null_typeES8_S8_S8_S8_S8_S8_S8_EEEEZNS1_11reduce_implILb1ES3_PS9_SC_S9_NS6_11hip_rocprim9__find_if7functorIS9_EEEE10hipError_tPvRmT1_T2_T3_mT4_P12ihipStream_tbEUlT_E0_NS1_11comp_targetILNS1_3genE10ELNS1_11target_archE1200ELNS1_3gpuE4ELNS1_3repE0EEENS1_30default_config_static_selectorELNS0_4arch9wavefront6targetE0EEEvSK_.has_dyn_sized_stack, 0
	.set _ZN7rocprim17ROCPRIM_400000_NS6detail17trampoline_kernelINS0_14default_configENS1_22reduce_config_selectorIN6thrust23THRUST_200600_302600_NS5tupleIblNS6_9null_typeES8_S8_S8_S8_S8_S8_S8_EEEEZNS1_11reduce_implILb1ES3_PS9_SC_S9_NS6_11hip_rocprim9__find_if7functorIS9_EEEE10hipError_tPvRmT1_T2_T3_mT4_P12ihipStream_tbEUlT_E0_NS1_11comp_targetILNS1_3genE10ELNS1_11target_archE1200ELNS1_3gpuE4ELNS1_3repE0EEENS1_30default_config_static_selectorELNS0_4arch9wavefront6targetE0EEEvSK_.has_recursion, 0
	.set _ZN7rocprim17ROCPRIM_400000_NS6detail17trampoline_kernelINS0_14default_configENS1_22reduce_config_selectorIN6thrust23THRUST_200600_302600_NS5tupleIblNS6_9null_typeES8_S8_S8_S8_S8_S8_S8_EEEEZNS1_11reduce_implILb1ES3_PS9_SC_S9_NS6_11hip_rocprim9__find_if7functorIS9_EEEE10hipError_tPvRmT1_T2_T3_mT4_P12ihipStream_tbEUlT_E0_NS1_11comp_targetILNS1_3genE10ELNS1_11target_archE1200ELNS1_3gpuE4ELNS1_3repE0EEENS1_30default_config_static_selectorELNS0_4arch9wavefront6targetE0EEEvSK_.has_indirect_call, 0
	.section	.AMDGPU.csdata,"",@progbits
; Kernel info:
; codeLenInByte = 0
; TotalNumSgprs: 0
; NumVgprs: 0
; ScratchSize: 0
; MemoryBound: 0
; FloatMode: 240
; IeeeMode: 1
; LDSByteSize: 0 bytes/workgroup (compile time only)
; SGPRBlocks: 0
; VGPRBlocks: 0
; NumSGPRsForWavesPerEU: 1
; NumVGPRsForWavesPerEU: 1
; Occupancy: 16
; WaveLimiterHint : 0
; COMPUTE_PGM_RSRC2:SCRATCH_EN: 0
; COMPUTE_PGM_RSRC2:USER_SGPR: 6
; COMPUTE_PGM_RSRC2:TRAP_HANDLER: 0
; COMPUTE_PGM_RSRC2:TGID_X_EN: 1
; COMPUTE_PGM_RSRC2:TGID_Y_EN: 0
; COMPUTE_PGM_RSRC2:TGID_Z_EN: 0
; COMPUTE_PGM_RSRC2:TIDIG_COMP_CNT: 0
	.section	.text._ZN7rocprim17ROCPRIM_400000_NS6detail17trampoline_kernelINS0_14default_configENS1_22reduce_config_selectorIN6thrust23THRUST_200600_302600_NS5tupleIblNS6_9null_typeES8_S8_S8_S8_S8_S8_S8_EEEEZNS1_11reduce_implILb1ES3_PS9_SC_S9_NS6_11hip_rocprim9__find_if7functorIS9_EEEE10hipError_tPvRmT1_T2_T3_mT4_P12ihipStream_tbEUlT_E0_NS1_11comp_targetILNS1_3genE9ELNS1_11target_archE1100ELNS1_3gpuE3ELNS1_3repE0EEENS1_30default_config_static_selectorELNS0_4arch9wavefront6targetE0EEEvSK_,"axG",@progbits,_ZN7rocprim17ROCPRIM_400000_NS6detail17trampoline_kernelINS0_14default_configENS1_22reduce_config_selectorIN6thrust23THRUST_200600_302600_NS5tupleIblNS6_9null_typeES8_S8_S8_S8_S8_S8_S8_EEEEZNS1_11reduce_implILb1ES3_PS9_SC_S9_NS6_11hip_rocprim9__find_if7functorIS9_EEEE10hipError_tPvRmT1_T2_T3_mT4_P12ihipStream_tbEUlT_E0_NS1_11comp_targetILNS1_3genE9ELNS1_11target_archE1100ELNS1_3gpuE3ELNS1_3repE0EEENS1_30default_config_static_selectorELNS0_4arch9wavefront6targetE0EEEvSK_,comdat
	.protected	_ZN7rocprim17ROCPRIM_400000_NS6detail17trampoline_kernelINS0_14default_configENS1_22reduce_config_selectorIN6thrust23THRUST_200600_302600_NS5tupleIblNS6_9null_typeES8_S8_S8_S8_S8_S8_S8_EEEEZNS1_11reduce_implILb1ES3_PS9_SC_S9_NS6_11hip_rocprim9__find_if7functorIS9_EEEE10hipError_tPvRmT1_T2_T3_mT4_P12ihipStream_tbEUlT_E0_NS1_11comp_targetILNS1_3genE9ELNS1_11target_archE1100ELNS1_3gpuE3ELNS1_3repE0EEENS1_30default_config_static_selectorELNS0_4arch9wavefront6targetE0EEEvSK_ ; -- Begin function _ZN7rocprim17ROCPRIM_400000_NS6detail17trampoline_kernelINS0_14default_configENS1_22reduce_config_selectorIN6thrust23THRUST_200600_302600_NS5tupleIblNS6_9null_typeES8_S8_S8_S8_S8_S8_S8_EEEEZNS1_11reduce_implILb1ES3_PS9_SC_S9_NS6_11hip_rocprim9__find_if7functorIS9_EEEE10hipError_tPvRmT1_T2_T3_mT4_P12ihipStream_tbEUlT_E0_NS1_11comp_targetILNS1_3genE9ELNS1_11target_archE1100ELNS1_3gpuE3ELNS1_3repE0EEENS1_30default_config_static_selectorELNS0_4arch9wavefront6targetE0EEEvSK_
	.globl	_ZN7rocprim17ROCPRIM_400000_NS6detail17trampoline_kernelINS0_14default_configENS1_22reduce_config_selectorIN6thrust23THRUST_200600_302600_NS5tupleIblNS6_9null_typeES8_S8_S8_S8_S8_S8_S8_EEEEZNS1_11reduce_implILb1ES3_PS9_SC_S9_NS6_11hip_rocprim9__find_if7functorIS9_EEEE10hipError_tPvRmT1_T2_T3_mT4_P12ihipStream_tbEUlT_E0_NS1_11comp_targetILNS1_3genE9ELNS1_11target_archE1100ELNS1_3gpuE3ELNS1_3repE0EEENS1_30default_config_static_selectorELNS0_4arch9wavefront6targetE0EEEvSK_
	.p2align	8
	.type	_ZN7rocprim17ROCPRIM_400000_NS6detail17trampoline_kernelINS0_14default_configENS1_22reduce_config_selectorIN6thrust23THRUST_200600_302600_NS5tupleIblNS6_9null_typeES8_S8_S8_S8_S8_S8_S8_EEEEZNS1_11reduce_implILb1ES3_PS9_SC_S9_NS6_11hip_rocprim9__find_if7functorIS9_EEEE10hipError_tPvRmT1_T2_T3_mT4_P12ihipStream_tbEUlT_E0_NS1_11comp_targetILNS1_3genE9ELNS1_11target_archE1100ELNS1_3gpuE3ELNS1_3repE0EEENS1_30default_config_static_selectorELNS0_4arch9wavefront6targetE0EEEvSK_,@function
_ZN7rocprim17ROCPRIM_400000_NS6detail17trampoline_kernelINS0_14default_configENS1_22reduce_config_selectorIN6thrust23THRUST_200600_302600_NS5tupleIblNS6_9null_typeES8_S8_S8_S8_S8_S8_S8_EEEEZNS1_11reduce_implILb1ES3_PS9_SC_S9_NS6_11hip_rocprim9__find_if7functorIS9_EEEE10hipError_tPvRmT1_T2_T3_mT4_P12ihipStream_tbEUlT_E0_NS1_11comp_targetILNS1_3genE9ELNS1_11target_archE1100ELNS1_3gpuE3ELNS1_3repE0EEENS1_30default_config_static_selectorELNS0_4arch9wavefront6targetE0EEEvSK_: ; @_ZN7rocprim17ROCPRIM_400000_NS6detail17trampoline_kernelINS0_14default_configENS1_22reduce_config_selectorIN6thrust23THRUST_200600_302600_NS5tupleIblNS6_9null_typeES8_S8_S8_S8_S8_S8_S8_EEEEZNS1_11reduce_implILb1ES3_PS9_SC_S9_NS6_11hip_rocprim9__find_if7functorIS9_EEEE10hipError_tPvRmT1_T2_T3_mT4_P12ihipStream_tbEUlT_E0_NS1_11comp_targetILNS1_3genE9ELNS1_11target_archE1100ELNS1_3gpuE3ELNS1_3repE0EEENS1_30default_config_static_selectorELNS0_4arch9wavefront6targetE0EEEvSK_
; %bb.0:
	.section	.rodata,"a",@progbits
	.p2align	6, 0x0
	.amdhsa_kernel _ZN7rocprim17ROCPRIM_400000_NS6detail17trampoline_kernelINS0_14default_configENS1_22reduce_config_selectorIN6thrust23THRUST_200600_302600_NS5tupleIblNS6_9null_typeES8_S8_S8_S8_S8_S8_S8_EEEEZNS1_11reduce_implILb1ES3_PS9_SC_S9_NS6_11hip_rocprim9__find_if7functorIS9_EEEE10hipError_tPvRmT1_T2_T3_mT4_P12ihipStream_tbEUlT_E0_NS1_11comp_targetILNS1_3genE9ELNS1_11target_archE1100ELNS1_3gpuE3ELNS1_3repE0EEENS1_30default_config_static_selectorELNS0_4arch9wavefront6targetE0EEEvSK_
		.amdhsa_group_segment_fixed_size 0
		.amdhsa_private_segment_fixed_size 0
		.amdhsa_kernarg_size 72
		.amdhsa_user_sgpr_count 6
		.amdhsa_user_sgpr_private_segment_buffer 1
		.amdhsa_user_sgpr_dispatch_ptr 0
		.amdhsa_user_sgpr_queue_ptr 0
		.amdhsa_user_sgpr_kernarg_segment_ptr 1
		.amdhsa_user_sgpr_dispatch_id 0
		.amdhsa_user_sgpr_flat_scratch_init 0
		.amdhsa_user_sgpr_private_segment_size 0
		.amdhsa_wavefront_size32 1
		.amdhsa_uses_dynamic_stack 0
		.amdhsa_system_sgpr_private_segment_wavefront_offset 0
		.amdhsa_system_sgpr_workgroup_id_x 1
		.amdhsa_system_sgpr_workgroup_id_y 0
		.amdhsa_system_sgpr_workgroup_id_z 0
		.amdhsa_system_sgpr_workgroup_info 0
		.amdhsa_system_vgpr_workitem_id 0
		.amdhsa_next_free_vgpr 1
		.amdhsa_next_free_sgpr 1
		.amdhsa_reserve_vcc 0
		.amdhsa_reserve_flat_scratch 0
		.amdhsa_float_round_mode_32 0
		.amdhsa_float_round_mode_16_64 0
		.amdhsa_float_denorm_mode_32 3
		.amdhsa_float_denorm_mode_16_64 3
		.amdhsa_dx10_clamp 1
		.amdhsa_ieee_mode 1
		.amdhsa_fp16_overflow 0
		.amdhsa_workgroup_processor_mode 1
		.amdhsa_memory_ordered 1
		.amdhsa_forward_progress 1
		.amdhsa_shared_vgpr_count 0
		.amdhsa_exception_fp_ieee_invalid_op 0
		.amdhsa_exception_fp_denorm_src 0
		.amdhsa_exception_fp_ieee_div_zero 0
		.amdhsa_exception_fp_ieee_overflow 0
		.amdhsa_exception_fp_ieee_underflow 0
		.amdhsa_exception_fp_ieee_inexact 0
		.amdhsa_exception_int_div_zero 0
	.end_amdhsa_kernel
	.section	.text._ZN7rocprim17ROCPRIM_400000_NS6detail17trampoline_kernelINS0_14default_configENS1_22reduce_config_selectorIN6thrust23THRUST_200600_302600_NS5tupleIblNS6_9null_typeES8_S8_S8_S8_S8_S8_S8_EEEEZNS1_11reduce_implILb1ES3_PS9_SC_S9_NS6_11hip_rocprim9__find_if7functorIS9_EEEE10hipError_tPvRmT1_T2_T3_mT4_P12ihipStream_tbEUlT_E0_NS1_11comp_targetILNS1_3genE9ELNS1_11target_archE1100ELNS1_3gpuE3ELNS1_3repE0EEENS1_30default_config_static_selectorELNS0_4arch9wavefront6targetE0EEEvSK_,"axG",@progbits,_ZN7rocprim17ROCPRIM_400000_NS6detail17trampoline_kernelINS0_14default_configENS1_22reduce_config_selectorIN6thrust23THRUST_200600_302600_NS5tupleIblNS6_9null_typeES8_S8_S8_S8_S8_S8_S8_EEEEZNS1_11reduce_implILb1ES3_PS9_SC_S9_NS6_11hip_rocprim9__find_if7functorIS9_EEEE10hipError_tPvRmT1_T2_T3_mT4_P12ihipStream_tbEUlT_E0_NS1_11comp_targetILNS1_3genE9ELNS1_11target_archE1100ELNS1_3gpuE3ELNS1_3repE0EEENS1_30default_config_static_selectorELNS0_4arch9wavefront6targetE0EEEvSK_,comdat
.Lfunc_end96:
	.size	_ZN7rocprim17ROCPRIM_400000_NS6detail17trampoline_kernelINS0_14default_configENS1_22reduce_config_selectorIN6thrust23THRUST_200600_302600_NS5tupleIblNS6_9null_typeES8_S8_S8_S8_S8_S8_S8_EEEEZNS1_11reduce_implILb1ES3_PS9_SC_S9_NS6_11hip_rocprim9__find_if7functorIS9_EEEE10hipError_tPvRmT1_T2_T3_mT4_P12ihipStream_tbEUlT_E0_NS1_11comp_targetILNS1_3genE9ELNS1_11target_archE1100ELNS1_3gpuE3ELNS1_3repE0EEENS1_30default_config_static_selectorELNS0_4arch9wavefront6targetE0EEEvSK_, .Lfunc_end96-_ZN7rocprim17ROCPRIM_400000_NS6detail17trampoline_kernelINS0_14default_configENS1_22reduce_config_selectorIN6thrust23THRUST_200600_302600_NS5tupleIblNS6_9null_typeES8_S8_S8_S8_S8_S8_S8_EEEEZNS1_11reduce_implILb1ES3_PS9_SC_S9_NS6_11hip_rocprim9__find_if7functorIS9_EEEE10hipError_tPvRmT1_T2_T3_mT4_P12ihipStream_tbEUlT_E0_NS1_11comp_targetILNS1_3genE9ELNS1_11target_archE1100ELNS1_3gpuE3ELNS1_3repE0EEENS1_30default_config_static_selectorELNS0_4arch9wavefront6targetE0EEEvSK_
                                        ; -- End function
	.set _ZN7rocprim17ROCPRIM_400000_NS6detail17trampoline_kernelINS0_14default_configENS1_22reduce_config_selectorIN6thrust23THRUST_200600_302600_NS5tupleIblNS6_9null_typeES8_S8_S8_S8_S8_S8_S8_EEEEZNS1_11reduce_implILb1ES3_PS9_SC_S9_NS6_11hip_rocprim9__find_if7functorIS9_EEEE10hipError_tPvRmT1_T2_T3_mT4_P12ihipStream_tbEUlT_E0_NS1_11comp_targetILNS1_3genE9ELNS1_11target_archE1100ELNS1_3gpuE3ELNS1_3repE0EEENS1_30default_config_static_selectorELNS0_4arch9wavefront6targetE0EEEvSK_.num_vgpr, 0
	.set _ZN7rocprim17ROCPRIM_400000_NS6detail17trampoline_kernelINS0_14default_configENS1_22reduce_config_selectorIN6thrust23THRUST_200600_302600_NS5tupleIblNS6_9null_typeES8_S8_S8_S8_S8_S8_S8_EEEEZNS1_11reduce_implILb1ES3_PS9_SC_S9_NS6_11hip_rocprim9__find_if7functorIS9_EEEE10hipError_tPvRmT1_T2_T3_mT4_P12ihipStream_tbEUlT_E0_NS1_11comp_targetILNS1_3genE9ELNS1_11target_archE1100ELNS1_3gpuE3ELNS1_3repE0EEENS1_30default_config_static_selectorELNS0_4arch9wavefront6targetE0EEEvSK_.num_agpr, 0
	.set _ZN7rocprim17ROCPRIM_400000_NS6detail17trampoline_kernelINS0_14default_configENS1_22reduce_config_selectorIN6thrust23THRUST_200600_302600_NS5tupleIblNS6_9null_typeES8_S8_S8_S8_S8_S8_S8_EEEEZNS1_11reduce_implILb1ES3_PS9_SC_S9_NS6_11hip_rocprim9__find_if7functorIS9_EEEE10hipError_tPvRmT1_T2_T3_mT4_P12ihipStream_tbEUlT_E0_NS1_11comp_targetILNS1_3genE9ELNS1_11target_archE1100ELNS1_3gpuE3ELNS1_3repE0EEENS1_30default_config_static_selectorELNS0_4arch9wavefront6targetE0EEEvSK_.numbered_sgpr, 0
	.set _ZN7rocprim17ROCPRIM_400000_NS6detail17trampoline_kernelINS0_14default_configENS1_22reduce_config_selectorIN6thrust23THRUST_200600_302600_NS5tupleIblNS6_9null_typeES8_S8_S8_S8_S8_S8_S8_EEEEZNS1_11reduce_implILb1ES3_PS9_SC_S9_NS6_11hip_rocprim9__find_if7functorIS9_EEEE10hipError_tPvRmT1_T2_T3_mT4_P12ihipStream_tbEUlT_E0_NS1_11comp_targetILNS1_3genE9ELNS1_11target_archE1100ELNS1_3gpuE3ELNS1_3repE0EEENS1_30default_config_static_selectorELNS0_4arch9wavefront6targetE0EEEvSK_.num_named_barrier, 0
	.set _ZN7rocprim17ROCPRIM_400000_NS6detail17trampoline_kernelINS0_14default_configENS1_22reduce_config_selectorIN6thrust23THRUST_200600_302600_NS5tupleIblNS6_9null_typeES8_S8_S8_S8_S8_S8_S8_EEEEZNS1_11reduce_implILb1ES3_PS9_SC_S9_NS6_11hip_rocprim9__find_if7functorIS9_EEEE10hipError_tPvRmT1_T2_T3_mT4_P12ihipStream_tbEUlT_E0_NS1_11comp_targetILNS1_3genE9ELNS1_11target_archE1100ELNS1_3gpuE3ELNS1_3repE0EEENS1_30default_config_static_selectorELNS0_4arch9wavefront6targetE0EEEvSK_.private_seg_size, 0
	.set _ZN7rocprim17ROCPRIM_400000_NS6detail17trampoline_kernelINS0_14default_configENS1_22reduce_config_selectorIN6thrust23THRUST_200600_302600_NS5tupleIblNS6_9null_typeES8_S8_S8_S8_S8_S8_S8_EEEEZNS1_11reduce_implILb1ES3_PS9_SC_S9_NS6_11hip_rocprim9__find_if7functorIS9_EEEE10hipError_tPvRmT1_T2_T3_mT4_P12ihipStream_tbEUlT_E0_NS1_11comp_targetILNS1_3genE9ELNS1_11target_archE1100ELNS1_3gpuE3ELNS1_3repE0EEENS1_30default_config_static_selectorELNS0_4arch9wavefront6targetE0EEEvSK_.uses_vcc, 0
	.set _ZN7rocprim17ROCPRIM_400000_NS6detail17trampoline_kernelINS0_14default_configENS1_22reduce_config_selectorIN6thrust23THRUST_200600_302600_NS5tupleIblNS6_9null_typeES8_S8_S8_S8_S8_S8_S8_EEEEZNS1_11reduce_implILb1ES3_PS9_SC_S9_NS6_11hip_rocprim9__find_if7functorIS9_EEEE10hipError_tPvRmT1_T2_T3_mT4_P12ihipStream_tbEUlT_E0_NS1_11comp_targetILNS1_3genE9ELNS1_11target_archE1100ELNS1_3gpuE3ELNS1_3repE0EEENS1_30default_config_static_selectorELNS0_4arch9wavefront6targetE0EEEvSK_.uses_flat_scratch, 0
	.set _ZN7rocprim17ROCPRIM_400000_NS6detail17trampoline_kernelINS0_14default_configENS1_22reduce_config_selectorIN6thrust23THRUST_200600_302600_NS5tupleIblNS6_9null_typeES8_S8_S8_S8_S8_S8_S8_EEEEZNS1_11reduce_implILb1ES3_PS9_SC_S9_NS6_11hip_rocprim9__find_if7functorIS9_EEEE10hipError_tPvRmT1_T2_T3_mT4_P12ihipStream_tbEUlT_E0_NS1_11comp_targetILNS1_3genE9ELNS1_11target_archE1100ELNS1_3gpuE3ELNS1_3repE0EEENS1_30default_config_static_selectorELNS0_4arch9wavefront6targetE0EEEvSK_.has_dyn_sized_stack, 0
	.set _ZN7rocprim17ROCPRIM_400000_NS6detail17trampoline_kernelINS0_14default_configENS1_22reduce_config_selectorIN6thrust23THRUST_200600_302600_NS5tupleIblNS6_9null_typeES8_S8_S8_S8_S8_S8_S8_EEEEZNS1_11reduce_implILb1ES3_PS9_SC_S9_NS6_11hip_rocprim9__find_if7functorIS9_EEEE10hipError_tPvRmT1_T2_T3_mT4_P12ihipStream_tbEUlT_E0_NS1_11comp_targetILNS1_3genE9ELNS1_11target_archE1100ELNS1_3gpuE3ELNS1_3repE0EEENS1_30default_config_static_selectorELNS0_4arch9wavefront6targetE0EEEvSK_.has_recursion, 0
	.set _ZN7rocprim17ROCPRIM_400000_NS6detail17trampoline_kernelINS0_14default_configENS1_22reduce_config_selectorIN6thrust23THRUST_200600_302600_NS5tupleIblNS6_9null_typeES8_S8_S8_S8_S8_S8_S8_EEEEZNS1_11reduce_implILb1ES3_PS9_SC_S9_NS6_11hip_rocprim9__find_if7functorIS9_EEEE10hipError_tPvRmT1_T2_T3_mT4_P12ihipStream_tbEUlT_E0_NS1_11comp_targetILNS1_3genE9ELNS1_11target_archE1100ELNS1_3gpuE3ELNS1_3repE0EEENS1_30default_config_static_selectorELNS0_4arch9wavefront6targetE0EEEvSK_.has_indirect_call, 0
	.section	.AMDGPU.csdata,"",@progbits
; Kernel info:
; codeLenInByte = 0
; TotalNumSgprs: 0
; NumVgprs: 0
; ScratchSize: 0
; MemoryBound: 0
; FloatMode: 240
; IeeeMode: 1
; LDSByteSize: 0 bytes/workgroup (compile time only)
; SGPRBlocks: 0
; VGPRBlocks: 0
; NumSGPRsForWavesPerEU: 1
; NumVGPRsForWavesPerEU: 1
; Occupancy: 16
; WaveLimiterHint : 0
; COMPUTE_PGM_RSRC2:SCRATCH_EN: 0
; COMPUTE_PGM_RSRC2:USER_SGPR: 6
; COMPUTE_PGM_RSRC2:TRAP_HANDLER: 0
; COMPUTE_PGM_RSRC2:TGID_X_EN: 1
; COMPUTE_PGM_RSRC2:TGID_Y_EN: 0
; COMPUTE_PGM_RSRC2:TGID_Z_EN: 0
; COMPUTE_PGM_RSRC2:TIDIG_COMP_CNT: 0
	.section	.text._ZN7rocprim17ROCPRIM_400000_NS6detail17trampoline_kernelINS0_14default_configENS1_22reduce_config_selectorIN6thrust23THRUST_200600_302600_NS5tupleIblNS6_9null_typeES8_S8_S8_S8_S8_S8_S8_EEEEZNS1_11reduce_implILb1ES3_PS9_SC_S9_NS6_11hip_rocprim9__find_if7functorIS9_EEEE10hipError_tPvRmT1_T2_T3_mT4_P12ihipStream_tbEUlT_E0_NS1_11comp_targetILNS1_3genE8ELNS1_11target_archE1030ELNS1_3gpuE2ELNS1_3repE0EEENS1_30default_config_static_selectorELNS0_4arch9wavefront6targetE0EEEvSK_,"axG",@progbits,_ZN7rocprim17ROCPRIM_400000_NS6detail17trampoline_kernelINS0_14default_configENS1_22reduce_config_selectorIN6thrust23THRUST_200600_302600_NS5tupleIblNS6_9null_typeES8_S8_S8_S8_S8_S8_S8_EEEEZNS1_11reduce_implILb1ES3_PS9_SC_S9_NS6_11hip_rocprim9__find_if7functorIS9_EEEE10hipError_tPvRmT1_T2_T3_mT4_P12ihipStream_tbEUlT_E0_NS1_11comp_targetILNS1_3genE8ELNS1_11target_archE1030ELNS1_3gpuE2ELNS1_3repE0EEENS1_30default_config_static_selectorELNS0_4arch9wavefront6targetE0EEEvSK_,comdat
	.protected	_ZN7rocprim17ROCPRIM_400000_NS6detail17trampoline_kernelINS0_14default_configENS1_22reduce_config_selectorIN6thrust23THRUST_200600_302600_NS5tupleIblNS6_9null_typeES8_S8_S8_S8_S8_S8_S8_EEEEZNS1_11reduce_implILb1ES3_PS9_SC_S9_NS6_11hip_rocprim9__find_if7functorIS9_EEEE10hipError_tPvRmT1_T2_T3_mT4_P12ihipStream_tbEUlT_E0_NS1_11comp_targetILNS1_3genE8ELNS1_11target_archE1030ELNS1_3gpuE2ELNS1_3repE0EEENS1_30default_config_static_selectorELNS0_4arch9wavefront6targetE0EEEvSK_ ; -- Begin function _ZN7rocprim17ROCPRIM_400000_NS6detail17trampoline_kernelINS0_14default_configENS1_22reduce_config_selectorIN6thrust23THRUST_200600_302600_NS5tupleIblNS6_9null_typeES8_S8_S8_S8_S8_S8_S8_EEEEZNS1_11reduce_implILb1ES3_PS9_SC_S9_NS6_11hip_rocprim9__find_if7functorIS9_EEEE10hipError_tPvRmT1_T2_T3_mT4_P12ihipStream_tbEUlT_E0_NS1_11comp_targetILNS1_3genE8ELNS1_11target_archE1030ELNS1_3gpuE2ELNS1_3repE0EEENS1_30default_config_static_selectorELNS0_4arch9wavefront6targetE0EEEvSK_
	.globl	_ZN7rocprim17ROCPRIM_400000_NS6detail17trampoline_kernelINS0_14default_configENS1_22reduce_config_selectorIN6thrust23THRUST_200600_302600_NS5tupleIblNS6_9null_typeES8_S8_S8_S8_S8_S8_S8_EEEEZNS1_11reduce_implILb1ES3_PS9_SC_S9_NS6_11hip_rocprim9__find_if7functorIS9_EEEE10hipError_tPvRmT1_T2_T3_mT4_P12ihipStream_tbEUlT_E0_NS1_11comp_targetILNS1_3genE8ELNS1_11target_archE1030ELNS1_3gpuE2ELNS1_3repE0EEENS1_30default_config_static_selectorELNS0_4arch9wavefront6targetE0EEEvSK_
	.p2align	8
	.type	_ZN7rocprim17ROCPRIM_400000_NS6detail17trampoline_kernelINS0_14default_configENS1_22reduce_config_selectorIN6thrust23THRUST_200600_302600_NS5tupleIblNS6_9null_typeES8_S8_S8_S8_S8_S8_S8_EEEEZNS1_11reduce_implILb1ES3_PS9_SC_S9_NS6_11hip_rocprim9__find_if7functorIS9_EEEE10hipError_tPvRmT1_T2_T3_mT4_P12ihipStream_tbEUlT_E0_NS1_11comp_targetILNS1_3genE8ELNS1_11target_archE1030ELNS1_3gpuE2ELNS1_3repE0EEENS1_30default_config_static_selectorELNS0_4arch9wavefront6targetE0EEEvSK_,@function
_ZN7rocprim17ROCPRIM_400000_NS6detail17trampoline_kernelINS0_14default_configENS1_22reduce_config_selectorIN6thrust23THRUST_200600_302600_NS5tupleIblNS6_9null_typeES8_S8_S8_S8_S8_S8_S8_EEEEZNS1_11reduce_implILb1ES3_PS9_SC_S9_NS6_11hip_rocprim9__find_if7functorIS9_EEEE10hipError_tPvRmT1_T2_T3_mT4_P12ihipStream_tbEUlT_E0_NS1_11comp_targetILNS1_3genE8ELNS1_11target_archE1030ELNS1_3gpuE2ELNS1_3repE0EEENS1_30default_config_static_selectorELNS0_4arch9wavefront6targetE0EEEvSK_: ; @_ZN7rocprim17ROCPRIM_400000_NS6detail17trampoline_kernelINS0_14default_configENS1_22reduce_config_selectorIN6thrust23THRUST_200600_302600_NS5tupleIblNS6_9null_typeES8_S8_S8_S8_S8_S8_S8_EEEEZNS1_11reduce_implILb1ES3_PS9_SC_S9_NS6_11hip_rocprim9__find_if7functorIS9_EEEE10hipError_tPvRmT1_T2_T3_mT4_P12ihipStream_tbEUlT_E0_NS1_11comp_targetILNS1_3genE8ELNS1_11target_archE1030ELNS1_3gpuE2ELNS1_3repE0EEENS1_30default_config_static_selectorELNS0_4arch9wavefront6targetE0EEEvSK_
; %bb.0:
	s_clause 0x1
	s_load_dwordx8 s[8:15], s[4:5], 0x0
	s_load_dwordx4 s[16:19], s[4:5], 0x20
	v_mbcnt_lo_u32_b32 v7, -1, 0
	s_waitcnt lgkmcnt(0)
	s_lshl_b64 s[0:1], s[10:11], 4
	s_mov_b32 s11, 0
	s_add_u32 s2, s8, s0
	s_addc_u32 s3, s9, s1
	s_lshl_b32 s10, s6, 9
	s_lshr_b64 s[8:9], s[12:13], 9
	s_lshl_b64 s[0:1], s[10:11], 4
	s_mov_b32 s7, s11
	s_add_u32 s2, s2, s0
	s_addc_u32 s3, s3, s1
	s_cmp_lg_u64 s[8:9], s[6:7]
	s_cbranch_scc0 .LBB97_18
; %bb.1:
	v_lshlrev_b32_e32 v3, 4, v0
	v_add_co_u32 v1, s0, s2, v3
	v_add_co_ci_u32_e64 v2, null, s3, 0, s0
	v_add_co_u32 v1, vcc_lo, 0x1000, v1
	v_add_co_ci_u32_e64 v2, null, 0, v2, vcc_lo
	s_clause 0x3
	global_load_ubyte v5, v[1:2], off
	global_load_ubyte v6, v3, s[2:3]
	global_load_dwordx2 v[3:4], v3, s[2:3] offset:8
	global_load_dwordx2 v[1:2], v[1:2], off offset:8
	s_waitcnt vmcnt(3)
	v_and_b32_e32 v8, 1, v5
	s_waitcnt vmcnt(2)
	v_and_b32_e32 v6, 1, v6
	s_waitcnt vmcnt(0)
	v_cmp_lt_i64_e32 vcc_lo, v[1:2], v[3:4]
	v_cmp_eq_u32_e64 s0, 1, v8
	v_cmp_eq_u32_e64 s1, 1, v6
	s_and_b32 vcc_lo, s0, vcc_lo
	v_cndmask_b32_e64 v5, v5, 1, s1
	v_cndmask_b32_e32 v3, v3, v1, vcc_lo
	v_cndmask_b32_e32 v4, v4, v2, vcc_lo
	v_and_b32_e32 v5, 1, v5
	v_cndmask_b32_e64 v1, v1, v3, s1
	v_cndmask_b32_e64 v2, v2, v4, s1
	v_mov_b32_dpp v6, v5 quad_perm:[1,0,3,2] row_mask:0xf bank_mask:0xf
	v_mov_b32_dpp v3, v1 quad_perm:[1,0,3,2] row_mask:0xf bank_mask:0xf
	;; [unrolled: 1-line block ×3, first 2 shown]
	v_cmp_eq_u32_e64 s0, 1, v5
	v_and_b32_e32 v6, 1, v6
	v_cmp_lt_i64_e32 vcc_lo, v[1:2], v[3:4]
	s_and_b32 vcc_lo, s0, vcc_lo
	v_cndmask_b32_e32 v3, v3, v1, vcc_lo
	v_cndmask_b32_e32 v4, v4, v2, vcc_lo
	v_cmp_eq_u32_e32 vcc_lo, 1, v6
	v_cndmask_b32_e32 v2, v2, v4, vcc_lo
	v_cndmask_b32_e32 v1, v1, v3, vcc_lo
	v_cndmask_b32_e64 v5, v5, 1, vcc_lo
	v_mov_b32_dpp v4, v2 quad_perm:[2,3,0,1] row_mask:0xf bank_mask:0xf
	v_mov_b32_dpp v3, v1 quad_perm:[2,3,0,1] row_mask:0xf bank_mask:0xf
	v_and_b32_e32 v8, 1, v5
	v_mov_b32_dpp v6, v5 quad_perm:[2,3,0,1] row_mask:0xf bank_mask:0xf
	v_cmp_lt_i64_e32 vcc_lo, v[1:2], v[3:4]
	v_cmp_eq_u32_e64 s0, 1, v8
	v_and_b32_e32 v6, 1, v6
	s_and_b32 vcc_lo, s0, vcc_lo
	v_cmp_eq_u32_e64 s1, 1, v6
	v_cndmask_b32_e32 v3, v3, v1, vcc_lo
	v_cndmask_b32_e32 v4, v4, v2, vcc_lo
	v_cndmask_b32_e64 v5, v5, 1, s1
	v_cndmask_b32_e64 v1, v1, v3, s1
	;; [unrolled: 1-line block ×3, first 2 shown]
	v_and_b32_e32 v8, 1, v5
	v_mov_b32_dpp v3, v1 row_ror:4 row_mask:0xf bank_mask:0xf
	v_mov_b32_dpp v4, v2 row_ror:4 row_mask:0xf bank_mask:0xf
	;; [unrolled: 1-line block ×3, first 2 shown]
	v_cmp_eq_u32_e64 s0, 1, v8
	v_cmp_lt_i64_e32 vcc_lo, v[1:2], v[3:4]
	v_and_b32_e32 v6, 1, v6
	s_and_b32 vcc_lo, s0, vcc_lo
	v_cmp_eq_u32_e64 s1, 1, v6
	v_cndmask_b32_e32 v3, v3, v1, vcc_lo
	v_cndmask_b32_e32 v4, v4, v2, vcc_lo
	v_cndmask_b32_e64 v5, v5, 1, s1
	v_cndmask_b32_e64 v1, v1, v3, s1
	;; [unrolled: 1-line block ×3, first 2 shown]
	v_and_b32_e32 v8, 1, v5
	v_mov_b32_dpp v3, v1 row_ror:8 row_mask:0xf bank_mask:0xf
	v_mov_b32_dpp v4, v2 row_ror:8 row_mask:0xf bank_mask:0xf
	;; [unrolled: 1-line block ×3, first 2 shown]
	v_cmp_eq_u32_e64 s0, 1, v8
	v_cmp_lt_i64_e32 vcc_lo, v[1:2], v[3:4]
	v_and_b32_e32 v6, 1, v6
	s_and_b32 vcc_lo, s0, vcc_lo
	v_cmp_eq_u32_e64 s1, 1, v6
	v_cndmask_b32_e32 v3, v3, v1, vcc_lo
	v_cndmask_b32_e32 v4, v4, v2, vcc_lo
	v_cndmask_b32_e64 v5, v5, 1, s1
	v_cndmask_b32_e64 v1, v1, v3, s1
	;; [unrolled: 1-line block ×3, first 2 shown]
	ds_swizzle_b32 v6, v5 offset:swizzle(BROADCAST,32,15)
	ds_swizzle_b32 v3, v1 offset:swizzle(BROADCAST,32,15)
	;; [unrolled: 1-line block ×3, first 2 shown]
	v_and_b32_e32 v8, 1, v5
	v_cmp_eq_u32_e64 s0, 1, v8
	s_waitcnt lgkmcnt(2)
	v_and_b32_e32 v6, 1, v6
	s_waitcnt lgkmcnt(0)
	v_cmp_lt_i64_e32 vcc_lo, v[1:2], v[3:4]
	v_cmp_eq_u32_e64 s1, 1, v6
	v_mov_b32_e32 v6, 0
	s_and_b32 vcc_lo, s0, vcc_lo
	s_mov_b32 s0, exec_lo
	v_cndmask_b32_e32 v3, v3, v1, vcc_lo
	v_cndmask_b32_e32 v4, v4, v2, vcc_lo
	v_cndmask_b32_e64 v5, v5, 1, s1
	v_cndmask_b32_e64 v1, v1, v3, s1
	;; [unrolled: 1-line block ×3, first 2 shown]
	ds_bpermute_b32 v8, v6, v5 offset:124
	ds_bpermute_b32 v1, v6, v1 offset:124
	;; [unrolled: 1-line block ×3, first 2 shown]
	v_cmpx_eq_u32_e32 0, v7
	s_cbranch_execz .LBB97_3
; %bb.2:
	v_lshrrev_b32_e32 v3, 1, v0
	v_and_b32_e32 v3, 0x70, v3
	s_waitcnt lgkmcnt(2)
	ds_write_b8 v3, v8
	s_waitcnt lgkmcnt(1)
	ds_write_b64 v3, v[1:2] offset:8
.LBB97_3:
	s_or_b32 exec_lo, exec_lo, s0
	s_mov_b32 s0, exec_lo
	s_waitcnt lgkmcnt(0)
	s_barrier
	buffer_gl0_inv
	v_cmpx_gt_u32_e32 32, v0
	s_cbranch_execz .LBB97_17
; %bb.4:
	v_and_b32_e32 v8, 7, v7
	v_lshlrev_b32_e32 v1, 4, v8
	v_cmp_ne_u32_e32 vcc_lo, 7, v8
	ds_read_u8 v10, v1
	ds_read_b64 v[3:4], v1 offset:8
	v_add_co_ci_u32_e64 v2, null, 0, v7, vcc_lo
	v_lshlrev_b32_e32 v2, 2, v2
	s_waitcnt lgkmcnt(1)
	v_and_b32_e32 v1, 0xff, v10
	s_waitcnt lgkmcnt(0)
	ds_bpermute_b32 v5, v2, v3
	ds_bpermute_b32 v6, v2, v4
	;; [unrolled: 1-line block ×3, first 2 shown]
	s_waitcnt lgkmcnt(0)
	v_and_b32_e32 v1, v10, v11
	v_and_b32_e32 v1, 1, v1
	v_cmp_eq_u32_e32 vcc_lo, 1, v1
                                        ; implicit-def: $vgpr1_vgpr2
	s_and_saveexec_b32 s1, vcc_lo
	s_xor_b32 s1, exec_lo, s1
; %bb.5:
	v_cmp_lt_i64_e32 vcc_lo, v[5:6], v[3:4]
                                        ; implicit-def: $vgpr10
                                        ; implicit-def: $vgpr11
	v_cndmask_b32_e32 v2, v4, v6, vcc_lo
	v_cndmask_b32_e32 v1, v3, v5, vcc_lo
                                        ; implicit-def: $vgpr5_vgpr6
                                        ; implicit-def: $vgpr3_vgpr4
; %bb.6:
	s_or_saveexec_b32 s1, s1
	v_mov_b32_e32 v9, 1
	s_xor_b32 exec_lo, exec_lo, s1
; %bb.7:
	v_and_b32_e32 v1, 1, v10
	v_and_b32_e32 v9, 0xff, v11
	v_cmp_eq_u32_e32 vcc_lo, 1, v1
	v_cndmask_b32_e32 v2, v6, v4, vcc_lo
	v_cndmask_b32_e32 v1, v5, v3, vcc_lo
	v_cndmask_b32_e64 v9, v9, 1, vcc_lo
; %bb.8:
	s_or_b32 exec_lo, exec_lo, s1
	v_cmp_gt_u32_e32 vcc_lo, 6, v8
	v_cndmask_b32_e64 v3, 0, 2, vcc_lo
	v_add_lshl_u32 v3, v3, v7, 2
	ds_bpermute_b32 v8, v3, v9
	ds_bpermute_b32 v5, v3, v1
	ds_bpermute_b32 v6, v3, v2
	s_waitcnt lgkmcnt(2)
	v_and_b32_e32 v3, v9, v8
	v_and_b32_e32 v3, 1, v3
	v_cmp_eq_u32_e32 vcc_lo, 1, v3
                                        ; implicit-def: $vgpr3_vgpr4
	s_and_saveexec_b32 s1, vcc_lo
	s_xor_b32 s1, exec_lo, s1
	s_cbranch_execz .LBB97_10
; %bb.9:
	s_waitcnt lgkmcnt(0)
	v_cmp_lt_i64_e32 vcc_lo, v[5:6], v[1:2]
                                        ; implicit-def: $vgpr9
                                        ; implicit-def: $vgpr8
	v_cndmask_b32_e32 v4, v2, v6, vcc_lo
	v_cndmask_b32_e32 v3, v1, v5, vcc_lo
                                        ; implicit-def: $vgpr5_vgpr6
                                        ; implicit-def: $vgpr1_vgpr2
.LBB97_10:
	s_or_saveexec_b32 s1, s1
	v_lshlrev_b32_e32 v11, 2, v7
	v_mov_b32_e32 v10, 1
	s_xor_b32 exec_lo, exec_lo, s1
	s_cbranch_execz .LBB97_12
; %bb.11:
	v_and_b32_e32 v3, 1, v9
	v_and_b32_e32 v8, 0xff, v8
	v_cmp_eq_u32_e32 vcc_lo, 1, v3
	s_waitcnt lgkmcnt(0)
	v_cndmask_b32_e32 v4, v6, v2, vcc_lo
	v_cndmask_b32_e32 v3, v5, v1, vcc_lo
	v_cndmask_b32_e64 v10, v8, 1, vcc_lo
.LBB97_12:
	s_or_b32 exec_lo, exec_lo, s1
	v_or_b32_e32 v1, 16, v11
	ds_bpermute_b32 v9, v1, v10
	s_waitcnt lgkmcnt(2)
	ds_bpermute_b32 v5, v1, v3
	s_waitcnt lgkmcnt(2)
	;; [unrolled: 2-line block ×3, first 2 shown]
	v_and_b32_e32 v1, v10, v9
	v_and_b32_e32 v1, 1, v1
	v_cmp_eq_u32_e32 vcc_lo, 1, v1
                                        ; implicit-def: $vgpr1_vgpr2
	s_and_saveexec_b32 s1, vcc_lo
	s_xor_b32 s1, exec_lo, s1
	s_cbranch_execz .LBB97_14
; %bb.13:
	s_waitcnt lgkmcnt(0)
	v_cmp_lt_i64_e32 vcc_lo, v[5:6], v[3:4]
                                        ; implicit-def: $vgpr10
                                        ; implicit-def: $vgpr9
	v_cndmask_b32_e32 v2, v4, v6, vcc_lo
	v_cndmask_b32_e32 v1, v3, v5, vcc_lo
                                        ; implicit-def: $vgpr5_vgpr6
                                        ; implicit-def: $vgpr3_vgpr4
.LBB97_14:
	s_or_saveexec_b32 s1, s1
	v_mov_b32_e32 v8, 1
	s_xor_b32 exec_lo, exec_lo, s1
	s_cbranch_execz .LBB97_16
; %bb.15:
	v_and_b32_e32 v1, 1, v10
	v_cmp_eq_u32_e32 vcc_lo, 1, v1
	s_waitcnt lgkmcnt(0)
	v_cndmask_b32_e32 v2, v6, v4, vcc_lo
	v_cndmask_b32_e32 v1, v5, v3, vcc_lo
	v_cndmask_b32_e64 v8, v9, 1, vcc_lo
.LBB97_16:
	s_or_b32 exec_lo, exec_lo, s1
.LBB97_17:
	s_or_b32 exec_lo, exec_lo, s0
	s_load_dwordx2 s[8:9], s[4:5], 0x38
	s_branch .LBB97_76
.LBB97_18:
                                        ; implicit-def: $vgpr1_vgpr2
                                        ; implicit-def: $vgpr8
	s_load_dwordx2 s[8:9], s[4:5], 0x38
	s_cbranch_execz .LBB97_76
; %bb.19:
	v_mov_b32_e32 v3, 0
	v_mov_b32_e32 v1, 0
	s_waitcnt lgkmcnt(0)
	v_mov_b32_e32 v5, 0
	v_mov_b32_e32 v4, 0
	;; [unrolled: 1-line block ×4, first 2 shown]
	s_sub_i32 s10, s12, s10
	s_mov_b32 s0, exec_lo
	v_cmpx_gt_u32_e64 s10, v0
	s_cbranch_execz .LBB97_21
; %bb.20:
	v_lshlrev_b32_e32 v1, 4, v0
	s_clause 0x1
	global_load_ubyte v6, v1, s[2:3]
	global_load_dwordx2 v[1:2], v1, s[2:3] offset:8
.LBB97_21:
	s_or_b32 exec_lo, exec_lo, s0
	v_or_b32_e32 v8, 0x100, v0
	v_cmp_gt_u32_e32 vcc_lo, s10, v8
	s_and_saveexec_b32 s0, vcc_lo
	s_cbranch_execz .LBB97_23
; %bb.22:
	v_lshlrev_b32_e32 v3, 4, v8
	s_clause 0x1
	global_load_ubyte v5, v3, s[2:3]
	global_load_dwordx2 v[3:4], v3, s[2:3] offset:8
.LBB97_23:
	s_or_b32 exec_lo, exec_lo, s0
	s_waitcnt vmcnt(1)
	v_and_b32_e32 v8, 1, v5
	s_waitcnt vmcnt(0)
	v_cmp_lt_i64_e64 s0, v[3:4], v[1:2]
	v_and_b32_e32 v9, 1, v6
	v_and_b32_e32 v5, 0xff, v5
	;; [unrolled: 1-line block ×3, first 2 shown]
	v_cmp_eq_u32_e64 s1, 1, v8
	v_cmp_eq_u32_e64 s2, 1, v9
	s_and_b32 s0, s1, s0
	s_mov_b32 s1, exec_lo
	v_cndmask_b32_e64 v8, v2, v4, s0
	v_cndmask_b32_e64 v9, v1, v3, s0
	v_cmp_ne_u32_e64 s0, 31, v7
	v_cndmask_b32_e64 v5, v5, 1, s2
	v_cndmask_b32_e64 v4, v4, v8, s2
	;; [unrolled: 1-line block ×3, first 2 shown]
	v_add_co_ci_u32_e64 v10, null, 0, v7, s0
	v_cndmask_b32_e32 v8, v6, v5, vcc_lo
	v_cndmask_b32_e32 v2, v2, v4, vcc_lo
	;; [unrolled: 1-line block ×3, first 2 shown]
	v_lshlrev_b32_e32 v9, 2, v10
	v_and_b32_e32 v5, 0xe0, v0
	s_min_u32 s0, s10, 0x100
	ds_bpermute_b32 v6, v9, v8
	ds_bpermute_b32 v3, v9, v1
	;; [unrolled: 1-line block ×3, first 2 shown]
	v_sub_nc_u32_e64 v5, s0, v5 clamp
	v_add_nc_u32_e32 v9, 1, v7
	v_cmpx_lt_u32_e64 v9, v5
	s_cbranch_execz .LBB97_29
; %bb.24:
	s_waitcnt lgkmcnt(2)
	v_and_b32_e32 v9, v8, v6
	s_mov_b32 s2, exec_lo
	v_cmpx_ne_u32_e32 0, v9
	s_xor_b32 s2, exec_lo, s2
	s_cbranch_execz .LBB97_26
; %bb.25:
	s_waitcnt lgkmcnt(0)
	v_cmp_lt_i64_e32 vcc_lo, v[3:4], v[1:2]
                                        ; implicit-def: $vgpr8
                                        ; implicit-def: $vgpr6
	v_cndmask_b32_e32 v2, v2, v4, vcc_lo
	v_cndmask_b32_e32 v1, v1, v3, vcc_lo
                                        ; implicit-def: $vgpr3_vgpr4
.LBB97_26:
	s_or_saveexec_b32 s2, s2
	v_mov_b32_e32 v9, 1
	s_xor_b32 exec_lo, exec_lo, s2
	s_cbranch_execz .LBB97_28
; %bb.27:
	v_and_b32_e32 v8, 1, v8
	v_and_b32_e32 v6, 0xff, v6
	v_cmp_eq_u32_e32 vcc_lo, 1, v8
	s_waitcnt lgkmcnt(0)
	v_cndmask_b32_e32 v2, v4, v2, vcc_lo
	v_cndmask_b32_e32 v1, v3, v1, vcc_lo
	v_cndmask_b32_e64 v9, v6, 1, vcc_lo
.LBB97_28:
	s_or_b32 exec_lo, exec_lo, s2
	v_mov_b32_e32 v8, v9
.LBB97_29:
	s_or_b32 exec_lo, exec_lo, s1
	v_cmp_gt_u32_e32 vcc_lo, 30, v7
	v_add_nc_u32_e32 v9, 2, v7
	s_mov_b32 s1, exec_lo
	s_waitcnt lgkmcnt(1)
	v_cndmask_b32_e64 v3, 0, 2, vcc_lo
	s_waitcnt lgkmcnt(0)
	v_add_lshl_u32 v4, v3, v7, 2
	ds_bpermute_b32 v6, v4, v8
	ds_bpermute_b32 v3, v4, v1
	ds_bpermute_b32 v4, v4, v2
	v_cmpx_lt_u32_e64 v9, v5
	s_cbranch_execz .LBB97_35
; %bb.30:
	s_waitcnt lgkmcnt(2)
	v_and_b32_e32 v9, v8, v6
	s_mov_b32 s2, exec_lo
	v_and_b32_e32 v9, 1, v9
	v_cmpx_eq_u32_e32 1, v9
	s_xor_b32 s2, exec_lo, s2
	s_cbranch_execz .LBB97_32
; %bb.31:
	s_waitcnt lgkmcnt(0)
	v_cmp_lt_i64_e32 vcc_lo, v[3:4], v[1:2]
                                        ; implicit-def: $vgpr8
                                        ; implicit-def: $vgpr6
	v_cndmask_b32_e32 v2, v2, v4, vcc_lo
	v_cndmask_b32_e32 v1, v1, v3, vcc_lo
                                        ; implicit-def: $vgpr3_vgpr4
.LBB97_32:
	s_or_saveexec_b32 s2, s2
	v_mov_b32_e32 v9, 1
	s_xor_b32 exec_lo, exec_lo, s2
	s_cbranch_execz .LBB97_34
; %bb.33:
	v_and_b32_e32 v8, 1, v8
	v_and_b32_e32 v6, 0xff, v6
	v_cmp_eq_u32_e32 vcc_lo, 1, v8
	s_waitcnt lgkmcnt(0)
	v_cndmask_b32_e32 v2, v4, v2, vcc_lo
	v_cndmask_b32_e32 v1, v3, v1, vcc_lo
	v_cndmask_b32_e64 v9, v6, 1, vcc_lo
.LBB97_34:
	s_or_b32 exec_lo, exec_lo, s2
	v_mov_b32_e32 v8, v9
.LBB97_35:
	s_or_b32 exec_lo, exec_lo, s1
	v_cmp_gt_u32_e32 vcc_lo, 28, v7
	v_add_nc_u32_e32 v9, 4, v7
	s_mov_b32 s1, exec_lo
	s_waitcnt lgkmcnt(1)
	v_cndmask_b32_e64 v3, 0, 4, vcc_lo
	s_waitcnt lgkmcnt(0)
	v_add_lshl_u32 v4, v3, v7, 2
	ds_bpermute_b32 v6, v4, v8
	ds_bpermute_b32 v3, v4, v1
	ds_bpermute_b32 v4, v4, v2
	v_cmpx_lt_u32_e64 v9, v5
	s_cbranch_execz .LBB97_41
; %bb.36:
	s_waitcnt lgkmcnt(2)
	v_and_b32_e32 v9, v8, v6
	s_mov_b32 s2, exec_lo
	v_and_b32_e32 v9, 1, v9
	v_cmpx_eq_u32_e32 1, v9
	s_xor_b32 s2, exec_lo, s2
	s_cbranch_execz .LBB97_38
; %bb.37:
	s_waitcnt lgkmcnt(0)
	v_cmp_lt_i64_e32 vcc_lo, v[3:4], v[1:2]
                                        ; implicit-def: $vgpr8
                                        ; implicit-def: $vgpr6
	v_cndmask_b32_e32 v2, v2, v4, vcc_lo
	v_cndmask_b32_e32 v1, v1, v3, vcc_lo
                                        ; implicit-def: $vgpr3_vgpr4
.LBB97_38:
	s_or_saveexec_b32 s2, s2
	v_mov_b32_e32 v9, 1
	s_xor_b32 exec_lo, exec_lo, s2
	s_cbranch_execz .LBB97_40
; %bb.39:
	v_and_b32_e32 v8, 1, v8
	v_and_b32_e32 v6, 0xff, v6
	v_cmp_eq_u32_e32 vcc_lo, 1, v8
	s_waitcnt lgkmcnt(0)
	v_cndmask_b32_e32 v2, v4, v2, vcc_lo
	v_cndmask_b32_e32 v1, v3, v1, vcc_lo
	v_cndmask_b32_e64 v9, v6, 1, vcc_lo
.LBB97_40:
	s_or_b32 exec_lo, exec_lo, s2
	v_mov_b32_e32 v8, v9
.LBB97_41:
	;; [unrolled: 46-line block ×3, first 2 shown]
	s_or_b32 exec_lo, exec_lo, s1
	s_waitcnt lgkmcnt(2)
	v_lshlrev_b32_e32 v6, 2, v7
	v_add_nc_u32_e32 v10, 16, v7
	s_waitcnt lgkmcnt(0)
	v_or_b32_e32 v4, 64, v6
	v_cmp_lt_u32_e32 vcc_lo, v10, v5
	v_mov_b32_e32 v5, v8
	ds_bpermute_b32 v9, v4, v8
	ds_bpermute_b32 v3, v4, v1
	;; [unrolled: 1-line block ×3, first 2 shown]
	s_and_saveexec_b32 s1, vcc_lo
	s_cbranch_execz .LBB97_53
; %bb.48:
	s_waitcnt lgkmcnt(2)
	v_and_b32_e32 v5, v8, v9
	s_mov_b32 s2, exec_lo
	v_and_b32_e32 v5, 1, v5
	v_cmpx_eq_u32_e32 1, v5
	s_xor_b32 s2, exec_lo, s2
	s_cbranch_execz .LBB97_50
; %bb.49:
	s_waitcnt lgkmcnt(0)
	v_cmp_lt_i64_e32 vcc_lo, v[3:4], v[1:2]
                                        ; implicit-def: $vgpr8
                                        ; implicit-def: $vgpr9
	v_cndmask_b32_e32 v2, v2, v4, vcc_lo
	v_cndmask_b32_e32 v1, v1, v3, vcc_lo
                                        ; implicit-def: $vgpr3_vgpr4
.LBB97_50:
	s_or_saveexec_b32 s2, s2
	v_mov_b32_e32 v5, 1
	s_xor_b32 exec_lo, exec_lo, s2
	s_cbranch_execz .LBB97_52
; %bb.51:
	v_and_b32_e32 v5, 1, v8
	v_cmp_eq_u32_e32 vcc_lo, 1, v5
	v_cndmask_b32_e64 v5, v9, 1, vcc_lo
	s_waitcnt lgkmcnt(0)
	v_cndmask_b32_e32 v2, v4, v2, vcc_lo
	v_cndmask_b32_e32 v1, v3, v1, vcc_lo
.LBB97_52:
	s_or_b32 exec_lo, exec_lo, s2
	v_and_b32_e32 v8, 0xff, v5
.LBB97_53:
	s_or_b32 exec_lo, exec_lo, s1
	s_mov_b32 s1, exec_lo
	v_cmpx_eq_u32_e32 0, v7
	s_cbranch_execz .LBB97_55
; %bb.54:
	s_waitcnt lgkmcnt(1)
	v_lshrrev_b32_e32 v3, 1, v0
	v_and_b32_e32 v3, 0x70, v3
	ds_write_b8 v3, v5 offset:128
	ds_write_b64 v3, v[1:2] offset:136
.LBB97_55:
	s_or_b32 exec_lo, exec_lo, s1
	s_mov_b32 s1, exec_lo
	s_waitcnt lgkmcnt(0)
	s_barrier
	buffer_gl0_inv
	v_cmpx_gt_u32_e32 8, v0
	s_cbranch_execz .LBB97_75
; %bb.56:
	v_lshlrev_b32_e32 v1, 4, v7
	v_and_b32_e32 v5, 7, v7
	s_add_i32 s0, s0, 31
	s_mov_b32 s2, exec_lo
	s_lshr_b32 s0, s0, 5
	ds_read_u8 v9, v1 offset:128
	ds_read_b64 v[1:2], v1 offset:136
	v_cmp_ne_u32_e32 vcc_lo, 7, v5
	v_add_nc_u32_e32 v11, 1, v5
	v_add_co_ci_u32_e64 v3, null, 0, v7, vcc_lo
	v_lshlrev_b32_e32 v4, 2, v3
	s_waitcnt lgkmcnt(1)
	v_and_b32_e32 v8, 0xff, v9
	s_waitcnt lgkmcnt(0)
	ds_bpermute_b32 v3, v4, v1
	ds_bpermute_b32 v10, v4, v8
	ds_bpermute_b32 v4, v4, v2
	v_cmpx_gt_u32_e64 s0, v11
	s_cbranch_execz .LBB97_62
; %bb.57:
	s_waitcnt lgkmcnt(1)
	v_and_b32_e32 v8, v8, v10
	s_mov_b32 s3, exec_lo
	v_and_b32_e32 v8, 1, v8
	v_cmpx_eq_u32_e32 1, v8
	s_xor_b32 s3, exec_lo, s3
	s_cbranch_execz .LBB97_59
; %bb.58:
	s_waitcnt lgkmcnt(0)
	v_cmp_lt_i64_e32 vcc_lo, v[3:4], v[1:2]
                                        ; implicit-def: $vgpr9
                                        ; implicit-def: $vgpr10
	v_cndmask_b32_e32 v2, v2, v4, vcc_lo
	v_cndmask_b32_e32 v1, v1, v3, vcc_lo
                                        ; implicit-def: $vgpr3_vgpr4
.LBB97_59:
	s_or_saveexec_b32 s3, s3
	v_mov_b32_e32 v8, 1
	s_xor_b32 exec_lo, exec_lo, s3
	s_cbranch_execz .LBB97_61
; %bb.60:
	v_and_b32_e32 v8, 1, v9
	v_cmp_eq_u32_e32 vcc_lo, 1, v8
	v_and_b32_e32 v8, 0xff, v10
	s_waitcnt lgkmcnt(0)
	v_cndmask_b32_e32 v2, v4, v2, vcc_lo
	v_cndmask_b32_e32 v1, v3, v1, vcc_lo
	v_cndmask_b32_e64 v8, v8, 1, vcc_lo
.LBB97_61:
	s_or_b32 exec_lo, exec_lo, s3
.LBB97_62:
	s_or_b32 exec_lo, exec_lo, s2
	v_cmp_gt_u32_e32 vcc_lo, 6, v5
	v_add_nc_u32_e32 v9, 2, v5
	s_mov_b32 s2, exec_lo
	s_waitcnt lgkmcnt(2)
	v_cndmask_b32_e64 v3, 0, 2, vcc_lo
	s_waitcnt lgkmcnt(0)
	v_add_lshl_u32 v4, v3, v7, 2
	ds_bpermute_b32 v7, v4, v8
	ds_bpermute_b32 v3, v4, v1
	;; [unrolled: 1-line block ×3, first 2 shown]
	v_cmpx_gt_u32_e64 s0, v9
	s_cbranch_execz .LBB97_68
; %bb.63:
	s_waitcnt lgkmcnt(2)
	v_and_b32_e32 v9, v8, v7
	s_mov_b32 s3, exec_lo
	v_and_b32_e32 v9, 1, v9
	v_cmpx_eq_u32_e32 1, v9
	s_xor_b32 s3, exec_lo, s3
	s_cbranch_execz .LBB97_65
; %bb.64:
	s_waitcnt lgkmcnt(0)
	v_cmp_lt_i64_e32 vcc_lo, v[3:4], v[1:2]
                                        ; implicit-def: $vgpr8
                                        ; implicit-def: $vgpr7
	v_cndmask_b32_e32 v2, v2, v4, vcc_lo
	v_cndmask_b32_e32 v1, v1, v3, vcc_lo
                                        ; implicit-def: $vgpr3_vgpr4
.LBB97_65:
	s_or_saveexec_b32 s3, s3
	v_mov_b32_e32 v9, 1
	s_xor_b32 exec_lo, exec_lo, s3
	s_cbranch_execz .LBB97_67
; %bb.66:
	v_and_b32_e32 v8, 1, v8
	v_and_b32_e32 v7, 0xff, v7
	v_cmp_eq_u32_e32 vcc_lo, 1, v8
	s_waitcnt lgkmcnt(0)
	v_cndmask_b32_e32 v2, v4, v2, vcc_lo
	v_cndmask_b32_e32 v1, v3, v1, vcc_lo
	v_cndmask_b32_e64 v9, v7, 1, vcc_lo
.LBB97_67:
	s_or_b32 exec_lo, exec_lo, s3
	v_mov_b32_e32 v8, v9
.LBB97_68:
	s_or_b32 exec_lo, exec_lo, s2
	s_waitcnt lgkmcnt(0)
	v_or_b32_e32 v4, 16, v6
	v_add_nc_u32_e32 v5, 4, v5
	ds_bpermute_b32 v6, v4, v8
	ds_bpermute_b32 v3, v4, v1
	;; [unrolled: 1-line block ×3, first 2 shown]
	v_cmp_gt_u32_e32 vcc_lo, s0, v5
	s_and_saveexec_b32 s0, vcc_lo
	s_cbranch_execz .LBB97_74
; %bb.69:
	s_waitcnt lgkmcnt(2)
	v_and_b32_e32 v5, v8, v6
	s_mov_b32 s2, exec_lo
	v_and_b32_e32 v5, 1, v5
	v_cmpx_eq_u32_e32 1, v5
	s_xor_b32 s2, exec_lo, s2
	s_cbranch_execz .LBB97_71
; %bb.70:
	s_waitcnt lgkmcnt(0)
	v_cmp_lt_i64_e32 vcc_lo, v[3:4], v[1:2]
                                        ; implicit-def: $vgpr8
                                        ; implicit-def: $vgpr6
	v_cndmask_b32_e32 v2, v2, v4, vcc_lo
	v_cndmask_b32_e32 v1, v1, v3, vcc_lo
                                        ; implicit-def: $vgpr3_vgpr4
.LBB97_71:
	s_or_saveexec_b32 s2, s2
	v_mov_b32_e32 v5, 1
	s_xor_b32 exec_lo, exec_lo, s2
	s_cbranch_execz .LBB97_73
; %bb.72:
	v_and_b32_e32 v5, 1, v8
	v_cmp_eq_u32_e32 vcc_lo, 1, v5
	s_waitcnt lgkmcnt(0)
	v_cndmask_b32_e32 v2, v4, v2, vcc_lo
	v_cndmask_b32_e32 v1, v3, v1, vcc_lo
	v_cndmask_b32_e64 v5, v6, 1, vcc_lo
.LBB97_73:
	s_or_b32 exec_lo, exec_lo, s2
	v_mov_b32_e32 v8, v5
.LBB97_74:
	s_or_b32 exec_lo, exec_lo, s0
.LBB97_75:
	s_or_b32 exec_lo, exec_lo, s1
.LBB97_76:
	s_load_dword s0, s[4:5], 0x30
	s_mov_b32 s1, exec_lo
	v_cmpx_eq_u32_e32 0, v0
	s_cbranch_execz .LBB97_78
; %bb.77:
	s_mul_i32 s1, s18, s17
	s_mul_hi_u32 s2, s18, s16
	s_mul_i32 s3, s19, s16
	s_add_i32 s1, s2, s1
	s_mul_i32 s2, s18, s16
	s_add_i32 s3, s1, s3
	v_mov_b32_e32 v0, 0
	s_lshl_b64 s[2:3], s[2:3], 4
	s_add_u32 s1, s14, s2
	s_addc_u32 s4, s15, s3
	s_cmp_eq_u64 s[12:13], 0
	s_cselect_b32 s5, -1, 0
	s_lshl_b64 s[2:3], s[6:7], 4
	s_waitcnt lgkmcnt(0)
	v_cndmask_b32_e64 v3, v8, s0, s5
	v_cndmask_b32_e64 v2, v2, s9, s5
	;; [unrolled: 1-line block ×3, first 2 shown]
	s_add_u32 s0, s1, s2
	s_addc_u32 s1, s4, s3
	global_store_byte v0, v3, s[0:1]
	global_store_dwordx2 v0, v[1:2], s[0:1] offset:8
.LBB97_78:
	s_endpgm
	.section	.rodata,"a",@progbits
	.p2align	6, 0x0
	.amdhsa_kernel _ZN7rocprim17ROCPRIM_400000_NS6detail17trampoline_kernelINS0_14default_configENS1_22reduce_config_selectorIN6thrust23THRUST_200600_302600_NS5tupleIblNS6_9null_typeES8_S8_S8_S8_S8_S8_S8_EEEEZNS1_11reduce_implILb1ES3_PS9_SC_S9_NS6_11hip_rocprim9__find_if7functorIS9_EEEE10hipError_tPvRmT1_T2_T3_mT4_P12ihipStream_tbEUlT_E0_NS1_11comp_targetILNS1_3genE8ELNS1_11target_archE1030ELNS1_3gpuE2ELNS1_3repE0EEENS1_30default_config_static_selectorELNS0_4arch9wavefront6targetE0EEEvSK_
		.amdhsa_group_segment_fixed_size 256
		.amdhsa_private_segment_fixed_size 0
		.amdhsa_kernarg_size 72
		.amdhsa_user_sgpr_count 6
		.amdhsa_user_sgpr_private_segment_buffer 1
		.amdhsa_user_sgpr_dispatch_ptr 0
		.amdhsa_user_sgpr_queue_ptr 0
		.amdhsa_user_sgpr_kernarg_segment_ptr 1
		.amdhsa_user_sgpr_dispatch_id 0
		.amdhsa_user_sgpr_flat_scratch_init 0
		.amdhsa_user_sgpr_private_segment_size 0
		.amdhsa_wavefront_size32 1
		.amdhsa_uses_dynamic_stack 0
		.amdhsa_system_sgpr_private_segment_wavefront_offset 0
		.amdhsa_system_sgpr_workgroup_id_x 1
		.amdhsa_system_sgpr_workgroup_id_y 0
		.amdhsa_system_sgpr_workgroup_id_z 0
		.amdhsa_system_sgpr_workgroup_info 0
		.amdhsa_system_vgpr_workitem_id 0
		.amdhsa_next_free_vgpr 12
		.amdhsa_next_free_sgpr 20
		.amdhsa_reserve_vcc 1
		.amdhsa_reserve_flat_scratch 0
		.amdhsa_float_round_mode_32 0
		.amdhsa_float_round_mode_16_64 0
		.amdhsa_float_denorm_mode_32 3
		.amdhsa_float_denorm_mode_16_64 3
		.amdhsa_dx10_clamp 1
		.amdhsa_ieee_mode 1
		.amdhsa_fp16_overflow 0
		.amdhsa_workgroup_processor_mode 1
		.amdhsa_memory_ordered 1
		.amdhsa_forward_progress 1
		.amdhsa_shared_vgpr_count 0
		.amdhsa_exception_fp_ieee_invalid_op 0
		.amdhsa_exception_fp_denorm_src 0
		.amdhsa_exception_fp_ieee_div_zero 0
		.amdhsa_exception_fp_ieee_overflow 0
		.amdhsa_exception_fp_ieee_underflow 0
		.amdhsa_exception_fp_ieee_inexact 0
		.amdhsa_exception_int_div_zero 0
	.end_amdhsa_kernel
	.section	.text._ZN7rocprim17ROCPRIM_400000_NS6detail17trampoline_kernelINS0_14default_configENS1_22reduce_config_selectorIN6thrust23THRUST_200600_302600_NS5tupleIblNS6_9null_typeES8_S8_S8_S8_S8_S8_S8_EEEEZNS1_11reduce_implILb1ES3_PS9_SC_S9_NS6_11hip_rocprim9__find_if7functorIS9_EEEE10hipError_tPvRmT1_T2_T3_mT4_P12ihipStream_tbEUlT_E0_NS1_11comp_targetILNS1_3genE8ELNS1_11target_archE1030ELNS1_3gpuE2ELNS1_3repE0EEENS1_30default_config_static_selectorELNS0_4arch9wavefront6targetE0EEEvSK_,"axG",@progbits,_ZN7rocprim17ROCPRIM_400000_NS6detail17trampoline_kernelINS0_14default_configENS1_22reduce_config_selectorIN6thrust23THRUST_200600_302600_NS5tupleIblNS6_9null_typeES8_S8_S8_S8_S8_S8_S8_EEEEZNS1_11reduce_implILb1ES3_PS9_SC_S9_NS6_11hip_rocprim9__find_if7functorIS9_EEEE10hipError_tPvRmT1_T2_T3_mT4_P12ihipStream_tbEUlT_E0_NS1_11comp_targetILNS1_3genE8ELNS1_11target_archE1030ELNS1_3gpuE2ELNS1_3repE0EEENS1_30default_config_static_selectorELNS0_4arch9wavefront6targetE0EEEvSK_,comdat
.Lfunc_end97:
	.size	_ZN7rocprim17ROCPRIM_400000_NS6detail17trampoline_kernelINS0_14default_configENS1_22reduce_config_selectorIN6thrust23THRUST_200600_302600_NS5tupleIblNS6_9null_typeES8_S8_S8_S8_S8_S8_S8_EEEEZNS1_11reduce_implILb1ES3_PS9_SC_S9_NS6_11hip_rocprim9__find_if7functorIS9_EEEE10hipError_tPvRmT1_T2_T3_mT4_P12ihipStream_tbEUlT_E0_NS1_11comp_targetILNS1_3genE8ELNS1_11target_archE1030ELNS1_3gpuE2ELNS1_3repE0EEENS1_30default_config_static_selectorELNS0_4arch9wavefront6targetE0EEEvSK_, .Lfunc_end97-_ZN7rocprim17ROCPRIM_400000_NS6detail17trampoline_kernelINS0_14default_configENS1_22reduce_config_selectorIN6thrust23THRUST_200600_302600_NS5tupleIblNS6_9null_typeES8_S8_S8_S8_S8_S8_S8_EEEEZNS1_11reduce_implILb1ES3_PS9_SC_S9_NS6_11hip_rocprim9__find_if7functorIS9_EEEE10hipError_tPvRmT1_T2_T3_mT4_P12ihipStream_tbEUlT_E0_NS1_11comp_targetILNS1_3genE8ELNS1_11target_archE1030ELNS1_3gpuE2ELNS1_3repE0EEENS1_30default_config_static_selectorELNS0_4arch9wavefront6targetE0EEEvSK_
                                        ; -- End function
	.set _ZN7rocprim17ROCPRIM_400000_NS6detail17trampoline_kernelINS0_14default_configENS1_22reduce_config_selectorIN6thrust23THRUST_200600_302600_NS5tupleIblNS6_9null_typeES8_S8_S8_S8_S8_S8_S8_EEEEZNS1_11reduce_implILb1ES3_PS9_SC_S9_NS6_11hip_rocprim9__find_if7functorIS9_EEEE10hipError_tPvRmT1_T2_T3_mT4_P12ihipStream_tbEUlT_E0_NS1_11comp_targetILNS1_3genE8ELNS1_11target_archE1030ELNS1_3gpuE2ELNS1_3repE0EEENS1_30default_config_static_selectorELNS0_4arch9wavefront6targetE0EEEvSK_.num_vgpr, 12
	.set _ZN7rocprim17ROCPRIM_400000_NS6detail17trampoline_kernelINS0_14default_configENS1_22reduce_config_selectorIN6thrust23THRUST_200600_302600_NS5tupleIblNS6_9null_typeES8_S8_S8_S8_S8_S8_S8_EEEEZNS1_11reduce_implILb1ES3_PS9_SC_S9_NS6_11hip_rocprim9__find_if7functorIS9_EEEE10hipError_tPvRmT1_T2_T3_mT4_P12ihipStream_tbEUlT_E0_NS1_11comp_targetILNS1_3genE8ELNS1_11target_archE1030ELNS1_3gpuE2ELNS1_3repE0EEENS1_30default_config_static_selectorELNS0_4arch9wavefront6targetE0EEEvSK_.num_agpr, 0
	.set _ZN7rocprim17ROCPRIM_400000_NS6detail17trampoline_kernelINS0_14default_configENS1_22reduce_config_selectorIN6thrust23THRUST_200600_302600_NS5tupleIblNS6_9null_typeES8_S8_S8_S8_S8_S8_S8_EEEEZNS1_11reduce_implILb1ES3_PS9_SC_S9_NS6_11hip_rocprim9__find_if7functorIS9_EEEE10hipError_tPvRmT1_T2_T3_mT4_P12ihipStream_tbEUlT_E0_NS1_11comp_targetILNS1_3genE8ELNS1_11target_archE1030ELNS1_3gpuE2ELNS1_3repE0EEENS1_30default_config_static_selectorELNS0_4arch9wavefront6targetE0EEEvSK_.numbered_sgpr, 20
	.set _ZN7rocprim17ROCPRIM_400000_NS6detail17trampoline_kernelINS0_14default_configENS1_22reduce_config_selectorIN6thrust23THRUST_200600_302600_NS5tupleIblNS6_9null_typeES8_S8_S8_S8_S8_S8_S8_EEEEZNS1_11reduce_implILb1ES3_PS9_SC_S9_NS6_11hip_rocprim9__find_if7functorIS9_EEEE10hipError_tPvRmT1_T2_T3_mT4_P12ihipStream_tbEUlT_E0_NS1_11comp_targetILNS1_3genE8ELNS1_11target_archE1030ELNS1_3gpuE2ELNS1_3repE0EEENS1_30default_config_static_selectorELNS0_4arch9wavefront6targetE0EEEvSK_.num_named_barrier, 0
	.set _ZN7rocprim17ROCPRIM_400000_NS6detail17trampoline_kernelINS0_14default_configENS1_22reduce_config_selectorIN6thrust23THRUST_200600_302600_NS5tupleIblNS6_9null_typeES8_S8_S8_S8_S8_S8_S8_EEEEZNS1_11reduce_implILb1ES3_PS9_SC_S9_NS6_11hip_rocprim9__find_if7functorIS9_EEEE10hipError_tPvRmT1_T2_T3_mT4_P12ihipStream_tbEUlT_E0_NS1_11comp_targetILNS1_3genE8ELNS1_11target_archE1030ELNS1_3gpuE2ELNS1_3repE0EEENS1_30default_config_static_selectorELNS0_4arch9wavefront6targetE0EEEvSK_.private_seg_size, 0
	.set _ZN7rocprim17ROCPRIM_400000_NS6detail17trampoline_kernelINS0_14default_configENS1_22reduce_config_selectorIN6thrust23THRUST_200600_302600_NS5tupleIblNS6_9null_typeES8_S8_S8_S8_S8_S8_S8_EEEEZNS1_11reduce_implILb1ES3_PS9_SC_S9_NS6_11hip_rocprim9__find_if7functorIS9_EEEE10hipError_tPvRmT1_T2_T3_mT4_P12ihipStream_tbEUlT_E0_NS1_11comp_targetILNS1_3genE8ELNS1_11target_archE1030ELNS1_3gpuE2ELNS1_3repE0EEENS1_30default_config_static_selectorELNS0_4arch9wavefront6targetE0EEEvSK_.uses_vcc, 1
	.set _ZN7rocprim17ROCPRIM_400000_NS6detail17trampoline_kernelINS0_14default_configENS1_22reduce_config_selectorIN6thrust23THRUST_200600_302600_NS5tupleIblNS6_9null_typeES8_S8_S8_S8_S8_S8_S8_EEEEZNS1_11reduce_implILb1ES3_PS9_SC_S9_NS6_11hip_rocprim9__find_if7functorIS9_EEEE10hipError_tPvRmT1_T2_T3_mT4_P12ihipStream_tbEUlT_E0_NS1_11comp_targetILNS1_3genE8ELNS1_11target_archE1030ELNS1_3gpuE2ELNS1_3repE0EEENS1_30default_config_static_selectorELNS0_4arch9wavefront6targetE0EEEvSK_.uses_flat_scratch, 0
	.set _ZN7rocprim17ROCPRIM_400000_NS6detail17trampoline_kernelINS0_14default_configENS1_22reduce_config_selectorIN6thrust23THRUST_200600_302600_NS5tupleIblNS6_9null_typeES8_S8_S8_S8_S8_S8_S8_EEEEZNS1_11reduce_implILb1ES3_PS9_SC_S9_NS6_11hip_rocprim9__find_if7functorIS9_EEEE10hipError_tPvRmT1_T2_T3_mT4_P12ihipStream_tbEUlT_E0_NS1_11comp_targetILNS1_3genE8ELNS1_11target_archE1030ELNS1_3gpuE2ELNS1_3repE0EEENS1_30default_config_static_selectorELNS0_4arch9wavefront6targetE0EEEvSK_.has_dyn_sized_stack, 0
	.set _ZN7rocprim17ROCPRIM_400000_NS6detail17trampoline_kernelINS0_14default_configENS1_22reduce_config_selectorIN6thrust23THRUST_200600_302600_NS5tupleIblNS6_9null_typeES8_S8_S8_S8_S8_S8_S8_EEEEZNS1_11reduce_implILb1ES3_PS9_SC_S9_NS6_11hip_rocprim9__find_if7functorIS9_EEEE10hipError_tPvRmT1_T2_T3_mT4_P12ihipStream_tbEUlT_E0_NS1_11comp_targetILNS1_3genE8ELNS1_11target_archE1030ELNS1_3gpuE2ELNS1_3repE0EEENS1_30default_config_static_selectorELNS0_4arch9wavefront6targetE0EEEvSK_.has_recursion, 0
	.set _ZN7rocprim17ROCPRIM_400000_NS6detail17trampoline_kernelINS0_14default_configENS1_22reduce_config_selectorIN6thrust23THRUST_200600_302600_NS5tupleIblNS6_9null_typeES8_S8_S8_S8_S8_S8_S8_EEEEZNS1_11reduce_implILb1ES3_PS9_SC_S9_NS6_11hip_rocprim9__find_if7functorIS9_EEEE10hipError_tPvRmT1_T2_T3_mT4_P12ihipStream_tbEUlT_E0_NS1_11comp_targetILNS1_3genE8ELNS1_11target_archE1030ELNS1_3gpuE2ELNS1_3repE0EEENS1_30default_config_static_selectorELNS0_4arch9wavefront6targetE0EEEvSK_.has_indirect_call, 0
	.section	.AMDGPU.csdata,"",@progbits
; Kernel info:
; codeLenInByte = 3124
; TotalNumSgprs: 22
; NumVgprs: 12
; ScratchSize: 0
; MemoryBound: 0
; FloatMode: 240
; IeeeMode: 1
; LDSByteSize: 256 bytes/workgroup (compile time only)
; SGPRBlocks: 0
; VGPRBlocks: 1
; NumSGPRsForWavesPerEU: 22
; NumVGPRsForWavesPerEU: 12
; Occupancy: 16
; WaveLimiterHint : 1
; COMPUTE_PGM_RSRC2:SCRATCH_EN: 0
; COMPUTE_PGM_RSRC2:USER_SGPR: 6
; COMPUTE_PGM_RSRC2:TRAP_HANDLER: 0
; COMPUTE_PGM_RSRC2:TGID_X_EN: 1
; COMPUTE_PGM_RSRC2:TGID_Y_EN: 0
; COMPUTE_PGM_RSRC2:TGID_Z_EN: 0
; COMPUTE_PGM_RSRC2:TIDIG_COMP_CNT: 0
	.section	.text._ZN7rocprim17ROCPRIM_400000_NS6detail17trampoline_kernelINS0_14default_configENS1_22reduce_config_selectorIN6thrust23THRUST_200600_302600_NS5tupleIblNS6_9null_typeES8_S8_S8_S8_S8_S8_S8_EEEEZNS1_11reduce_implILb1ES3_PS9_SC_S9_NS6_11hip_rocprim9__find_if7functorIS9_EEEE10hipError_tPvRmT1_T2_T3_mT4_P12ihipStream_tbEUlT_E1_NS1_11comp_targetILNS1_3genE0ELNS1_11target_archE4294967295ELNS1_3gpuE0ELNS1_3repE0EEENS1_30default_config_static_selectorELNS0_4arch9wavefront6targetE0EEEvSK_,"axG",@progbits,_ZN7rocprim17ROCPRIM_400000_NS6detail17trampoline_kernelINS0_14default_configENS1_22reduce_config_selectorIN6thrust23THRUST_200600_302600_NS5tupleIblNS6_9null_typeES8_S8_S8_S8_S8_S8_S8_EEEEZNS1_11reduce_implILb1ES3_PS9_SC_S9_NS6_11hip_rocprim9__find_if7functorIS9_EEEE10hipError_tPvRmT1_T2_T3_mT4_P12ihipStream_tbEUlT_E1_NS1_11comp_targetILNS1_3genE0ELNS1_11target_archE4294967295ELNS1_3gpuE0ELNS1_3repE0EEENS1_30default_config_static_selectorELNS0_4arch9wavefront6targetE0EEEvSK_,comdat
	.protected	_ZN7rocprim17ROCPRIM_400000_NS6detail17trampoline_kernelINS0_14default_configENS1_22reduce_config_selectorIN6thrust23THRUST_200600_302600_NS5tupleIblNS6_9null_typeES8_S8_S8_S8_S8_S8_S8_EEEEZNS1_11reduce_implILb1ES3_PS9_SC_S9_NS6_11hip_rocprim9__find_if7functorIS9_EEEE10hipError_tPvRmT1_T2_T3_mT4_P12ihipStream_tbEUlT_E1_NS1_11comp_targetILNS1_3genE0ELNS1_11target_archE4294967295ELNS1_3gpuE0ELNS1_3repE0EEENS1_30default_config_static_selectorELNS0_4arch9wavefront6targetE0EEEvSK_ ; -- Begin function _ZN7rocprim17ROCPRIM_400000_NS6detail17trampoline_kernelINS0_14default_configENS1_22reduce_config_selectorIN6thrust23THRUST_200600_302600_NS5tupleIblNS6_9null_typeES8_S8_S8_S8_S8_S8_S8_EEEEZNS1_11reduce_implILb1ES3_PS9_SC_S9_NS6_11hip_rocprim9__find_if7functorIS9_EEEE10hipError_tPvRmT1_T2_T3_mT4_P12ihipStream_tbEUlT_E1_NS1_11comp_targetILNS1_3genE0ELNS1_11target_archE4294967295ELNS1_3gpuE0ELNS1_3repE0EEENS1_30default_config_static_selectorELNS0_4arch9wavefront6targetE0EEEvSK_
	.globl	_ZN7rocprim17ROCPRIM_400000_NS6detail17trampoline_kernelINS0_14default_configENS1_22reduce_config_selectorIN6thrust23THRUST_200600_302600_NS5tupleIblNS6_9null_typeES8_S8_S8_S8_S8_S8_S8_EEEEZNS1_11reduce_implILb1ES3_PS9_SC_S9_NS6_11hip_rocprim9__find_if7functorIS9_EEEE10hipError_tPvRmT1_T2_T3_mT4_P12ihipStream_tbEUlT_E1_NS1_11comp_targetILNS1_3genE0ELNS1_11target_archE4294967295ELNS1_3gpuE0ELNS1_3repE0EEENS1_30default_config_static_selectorELNS0_4arch9wavefront6targetE0EEEvSK_
	.p2align	8
	.type	_ZN7rocprim17ROCPRIM_400000_NS6detail17trampoline_kernelINS0_14default_configENS1_22reduce_config_selectorIN6thrust23THRUST_200600_302600_NS5tupleIblNS6_9null_typeES8_S8_S8_S8_S8_S8_S8_EEEEZNS1_11reduce_implILb1ES3_PS9_SC_S9_NS6_11hip_rocprim9__find_if7functorIS9_EEEE10hipError_tPvRmT1_T2_T3_mT4_P12ihipStream_tbEUlT_E1_NS1_11comp_targetILNS1_3genE0ELNS1_11target_archE4294967295ELNS1_3gpuE0ELNS1_3repE0EEENS1_30default_config_static_selectorELNS0_4arch9wavefront6targetE0EEEvSK_,@function
_ZN7rocprim17ROCPRIM_400000_NS6detail17trampoline_kernelINS0_14default_configENS1_22reduce_config_selectorIN6thrust23THRUST_200600_302600_NS5tupleIblNS6_9null_typeES8_S8_S8_S8_S8_S8_S8_EEEEZNS1_11reduce_implILb1ES3_PS9_SC_S9_NS6_11hip_rocprim9__find_if7functorIS9_EEEE10hipError_tPvRmT1_T2_T3_mT4_P12ihipStream_tbEUlT_E1_NS1_11comp_targetILNS1_3genE0ELNS1_11target_archE4294967295ELNS1_3gpuE0ELNS1_3repE0EEENS1_30default_config_static_selectorELNS0_4arch9wavefront6targetE0EEEvSK_: ; @_ZN7rocprim17ROCPRIM_400000_NS6detail17trampoline_kernelINS0_14default_configENS1_22reduce_config_selectorIN6thrust23THRUST_200600_302600_NS5tupleIblNS6_9null_typeES8_S8_S8_S8_S8_S8_S8_EEEEZNS1_11reduce_implILb1ES3_PS9_SC_S9_NS6_11hip_rocprim9__find_if7functorIS9_EEEE10hipError_tPvRmT1_T2_T3_mT4_P12ihipStream_tbEUlT_E1_NS1_11comp_targetILNS1_3genE0ELNS1_11target_archE4294967295ELNS1_3gpuE0ELNS1_3repE0EEENS1_30default_config_static_selectorELNS0_4arch9wavefront6targetE0EEEvSK_
; %bb.0:
	.section	.rodata,"a",@progbits
	.p2align	6, 0x0
	.amdhsa_kernel _ZN7rocprim17ROCPRIM_400000_NS6detail17trampoline_kernelINS0_14default_configENS1_22reduce_config_selectorIN6thrust23THRUST_200600_302600_NS5tupleIblNS6_9null_typeES8_S8_S8_S8_S8_S8_S8_EEEEZNS1_11reduce_implILb1ES3_PS9_SC_S9_NS6_11hip_rocprim9__find_if7functorIS9_EEEE10hipError_tPvRmT1_T2_T3_mT4_P12ihipStream_tbEUlT_E1_NS1_11comp_targetILNS1_3genE0ELNS1_11target_archE4294967295ELNS1_3gpuE0ELNS1_3repE0EEENS1_30default_config_static_selectorELNS0_4arch9wavefront6targetE0EEEvSK_
		.amdhsa_group_segment_fixed_size 0
		.amdhsa_private_segment_fixed_size 0
		.amdhsa_kernarg_size 56
		.amdhsa_user_sgpr_count 6
		.amdhsa_user_sgpr_private_segment_buffer 1
		.amdhsa_user_sgpr_dispatch_ptr 0
		.amdhsa_user_sgpr_queue_ptr 0
		.amdhsa_user_sgpr_kernarg_segment_ptr 1
		.amdhsa_user_sgpr_dispatch_id 0
		.amdhsa_user_sgpr_flat_scratch_init 0
		.amdhsa_user_sgpr_private_segment_size 0
		.amdhsa_wavefront_size32 1
		.amdhsa_uses_dynamic_stack 0
		.amdhsa_system_sgpr_private_segment_wavefront_offset 0
		.amdhsa_system_sgpr_workgroup_id_x 1
		.amdhsa_system_sgpr_workgroup_id_y 0
		.amdhsa_system_sgpr_workgroup_id_z 0
		.amdhsa_system_sgpr_workgroup_info 0
		.amdhsa_system_vgpr_workitem_id 0
		.amdhsa_next_free_vgpr 1
		.amdhsa_next_free_sgpr 1
		.amdhsa_reserve_vcc 0
		.amdhsa_reserve_flat_scratch 0
		.amdhsa_float_round_mode_32 0
		.amdhsa_float_round_mode_16_64 0
		.amdhsa_float_denorm_mode_32 3
		.amdhsa_float_denorm_mode_16_64 3
		.amdhsa_dx10_clamp 1
		.amdhsa_ieee_mode 1
		.amdhsa_fp16_overflow 0
		.amdhsa_workgroup_processor_mode 1
		.amdhsa_memory_ordered 1
		.amdhsa_forward_progress 1
		.amdhsa_shared_vgpr_count 0
		.amdhsa_exception_fp_ieee_invalid_op 0
		.amdhsa_exception_fp_denorm_src 0
		.amdhsa_exception_fp_ieee_div_zero 0
		.amdhsa_exception_fp_ieee_overflow 0
		.amdhsa_exception_fp_ieee_underflow 0
		.amdhsa_exception_fp_ieee_inexact 0
		.amdhsa_exception_int_div_zero 0
	.end_amdhsa_kernel
	.section	.text._ZN7rocprim17ROCPRIM_400000_NS6detail17trampoline_kernelINS0_14default_configENS1_22reduce_config_selectorIN6thrust23THRUST_200600_302600_NS5tupleIblNS6_9null_typeES8_S8_S8_S8_S8_S8_S8_EEEEZNS1_11reduce_implILb1ES3_PS9_SC_S9_NS6_11hip_rocprim9__find_if7functorIS9_EEEE10hipError_tPvRmT1_T2_T3_mT4_P12ihipStream_tbEUlT_E1_NS1_11comp_targetILNS1_3genE0ELNS1_11target_archE4294967295ELNS1_3gpuE0ELNS1_3repE0EEENS1_30default_config_static_selectorELNS0_4arch9wavefront6targetE0EEEvSK_,"axG",@progbits,_ZN7rocprim17ROCPRIM_400000_NS6detail17trampoline_kernelINS0_14default_configENS1_22reduce_config_selectorIN6thrust23THRUST_200600_302600_NS5tupleIblNS6_9null_typeES8_S8_S8_S8_S8_S8_S8_EEEEZNS1_11reduce_implILb1ES3_PS9_SC_S9_NS6_11hip_rocprim9__find_if7functorIS9_EEEE10hipError_tPvRmT1_T2_T3_mT4_P12ihipStream_tbEUlT_E1_NS1_11comp_targetILNS1_3genE0ELNS1_11target_archE4294967295ELNS1_3gpuE0ELNS1_3repE0EEENS1_30default_config_static_selectorELNS0_4arch9wavefront6targetE0EEEvSK_,comdat
.Lfunc_end98:
	.size	_ZN7rocprim17ROCPRIM_400000_NS6detail17trampoline_kernelINS0_14default_configENS1_22reduce_config_selectorIN6thrust23THRUST_200600_302600_NS5tupleIblNS6_9null_typeES8_S8_S8_S8_S8_S8_S8_EEEEZNS1_11reduce_implILb1ES3_PS9_SC_S9_NS6_11hip_rocprim9__find_if7functorIS9_EEEE10hipError_tPvRmT1_T2_T3_mT4_P12ihipStream_tbEUlT_E1_NS1_11comp_targetILNS1_3genE0ELNS1_11target_archE4294967295ELNS1_3gpuE0ELNS1_3repE0EEENS1_30default_config_static_selectorELNS0_4arch9wavefront6targetE0EEEvSK_, .Lfunc_end98-_ZN7rocprim17ROCPRIM_400000_NS6detail17trampoline_kernelINS0_14default_configENS1_22reduce_config_selectorIN6thrust23THRUST_200600_302600_NS5tupleIblNS6_9null_typeES8_S8_S8_S8_S8_S8_S8_EEEEZNS1_11reduce_implILb1ES3_PS9_SC_S9_NS6_11hip_rocprim9__find_if7functorIS9_EEEE10hipError_tPvRmT1_T2_T3_mT4_P12ihipStream_tbEUlT_E1_NS1_11comp_targetILNS1_3genE0ELNS1_11target_archE4294967295ELNS1_3gpuE0ELNS1_3repE0EEENS1_30default_config_static_selectorELNS0_4arch9wavefront6targetE0EEEvSK_
                                        ; -- End function
	.set _ZN7rocprim17ROCPRIM_400000_NS6detail17trampoline_kernelINS0_14default_configENS1_22reduce_config_selectorIN6thrust23THRUST_200600_302600_NS5tupleIblNS6_9null_typeES8_S8_S8_S8_S8_S8_S8_EEEEZNS1_11reduce_implILb1ES3_PS9_SC_S9_NS6_11hip_rocprim9__find_if7functorIS9_EEEE10hipError_tPvRmT1_T2_T3_mT4_P12ihipStream_tbEUlT_E1_NS1_11comp_targetILNS1_3genE0ELNS1_11target_archE4294967295ELNS1_3gpuE0ELNS1_3repE0EEENS1_30default_config_static_selectorELNS0_4arch9wavefront6targetE0EEEvSK_.num_vgpr, 0
	.set _ZN7rocprim17ROCPRIM_400000_NS6detail17trampoline_kernelINS0_14default_configENS1_22reduce_config_selectorIN6thrust23THRUST_200600_302600_NS5tupleIblNS6_9null_typeES8_S8_S8_S8_S8_S8_S8_EEEEZNS1_11reduce_implILb1ES3_PS9_SC_S9_NS6_11hip_rocprim9__find_if7functorIS9_EEEE10hipError_tPvRmT1_T2_T3_mT4_P12ihipStream_tbEUlT_E1_NS1_11comp_targetILNS1_3genE0ELNS1_11target_archE4294967295ELNS1_3gpuE0ELNS1_3repE0EEENS1_30default_config_static_selectorELNS0_4arch9wavefront6targetE0EEEvSK_.num_agpr, 0
	.set _ZN7rocprim17ROCPRIM_400000_NS6detail17trampoline_kernelINS0_14default_configENS1_22reduce_config_selectorIN6thrust23THRUST_200600_302600_NS5tupleIblNS6_9null_typeES8_S8_S8_S8_S8_S8_S8_EEEEZNS1_11reduce_implILb1ES3_PS9_SC_S9_NS6_11hip_rocprim9__find_if7functorIS9_EEEE10hipError_tPvRmT1_T2_T3_mT4_P12ihipStream_tbEUlT_E1_NS1_11comp_targetILNS1_3genE0ELNS1_11target_archE4294967295ELNS1_3gpuE0ELNS1_3repE0EEENS1_30default_config_static_selectorELNS0_4arch9wavefront6targetE0EEEvSK_.numbered_sgpr, 0
	.set _ZN7rocprim17ROCPRIM_400000_NS6detail17trampoline_kernelINS0_14default_configENS1_22reduce_config_selectorIN6thrust23THRUST_200600_302600_NS5tupleIblNS6_9null_typeES8_S8_S8_S8_S8_S8_S8_EEEEZNS1_11reduce_implILb1ES3_PS9_SC_S9_NS6_11hip_rocprim9__find_if7functorIS9_EEEE10hipError_tPvRmT1_T2_T3_mT4_P12ihipStream_tbEUlT_E1_NS1_11comp_targetILNS1_3genE0ELNS1_11target_archE4294967295ELNS1_3gpuE0ELNS1_3repE0EEENS1_30default_config_static_selectorELNS0_4arch9wavefront6targetE0EEEvSK_.num_named_barrier, 0
	.set _ZN7rocprim17ROCPRIM_400000_NS6detail17trampoline_kernelINS0_14default_configENS1_22reduce_config_selectorIN6thrust23THRUST_200600_302600_NS5tupleIblNS6_9null_typeES8_S8_S8_S8_S8_S8_S8_EEEEZNS1_11reduce_implILb1ES3_PS9_SC_S9_NS6_11hip_rocprim9__find_if7functorIS9_EEEE10hipError_tPvRmT1_T2_T3_mT4_P12ihipStream_tbEUlT_E1_NS1_11comp_targetILNS1_3genE0ELNS1_11target_archE4294967295ELNS1_3gpuE0ELNS1_3repE0EEENS1_30default_config_static_selectorELNS0_4arch9wavefront6targetE0EEEvSK_.private_seg_size, 0
	.set _ZN7rocprim17ROCPRIM_400000_NS6detail17trampoline_kernelINS0_14default_configENS1_22reduce_config_selectorIN6thrust23THRUST_200600_302600_NS5tupleIblNS6_9null_typeES8_S8_S8_S8_S8_S8_S8_EEEEZNS1_11reduce_implILb1ES3_PS9_SC_S9_NS6_11hip_rocprim9__find_if7functorIS9_EEEE10hipError_tPvRmT1_T2_T3_mT4_P12ihipStream_tbEUlT_E1_NS1_11comp_targetILNS1_3genE0ELNS1_11target_archE4294967295ELNS1_3gpuE0ELNS1_3repE0EEENS1_30default_config_static_selectorELNS0_4arch9wavefront6targetE0EEEvSK_.uses_vcc, 0
	.set _ZN7rocprim17ROCPRIM_400000_NS6detail17trampoline_kernelINS0_14default_configENS1_22reduce_config_selectorIN6thrust23THRUST_200600_302600_NS5tupleIblNS6_9null_typeES8_S8_S8_S8_S8_S8_S8_EEEEZNS1_11reduce_implILb1ES3_PS9_SC_S9_NS6_11hip_rocprim9__find_if7functorIS9_EEEE10hipError_tPvRmT1_T2_T3_mT4_P12ihipStream_tbEUlT_E1_NS1_11comp_targetILNS1_3genE0ELNS1_11target_archE4294967295ELNS1_3gpuE0ELNS1_3repE0EEENS1_30default_config_static_selectorELNS0_4arch9wavefront6targetE0EEEvSK_.uses_flat_scratch, 0
	.set _ZN7rocprim17ROCPRIM_400000_NS6detail17trampoline_kernelINS0_14default_configENS1_22reduce_config_selectorIN6thrust23THRUST_200600_302600_NS5tupleIblNS6_9null_typeES8_S8_S8_S8_S8_S8_S8_EEEEZNS1_11reduce_implILb1ES3_PS9_SC_S9_NS6_11hip_rocprim9__find_if7functorIS9_EEEE10hipError_tPvRmT1_T2_T3_mT4_P12ihipStream_tbEUlT_E1_NS1_11comp_targetILNS1_3genE0ELNS1_11target_archE4294967295ELNS1_3gpuE0ELNS1_3repE0EEENS1_30default_config_static_selectorELNS0_4arch9wavefront6targetE0EEEvSK_.has_dyn_sized_stack, 0
	.set _ZN7rocprim17ROCPRIM_400000_NS6detail17trampoline_kernelINS0_14default_configENS1_22reduce_config_selectorIN6thrust23THRUST_200600_302600_NS5tupleIblNS6_9null_typeES8_S8_S8_S8_S8_S8_S8_EEEEZNS1_11reduce_implILb1ES3_PS9_SC_S9_NS6_11hip_rocprim9__find_if7functorIS9_EEEE10hipError_tPvRmT1_T2_T3_mT4_P12ihipStream_tbEUlT_E1_NS1_11comp_targetILNS1_3genE0ELNS1_11target_archE4294967295ELNS1_3gpuE0ELNS1_3repE0EEENS1_30default_config_static_selectorELNS0_4arch9wavefront6targetE0EEEvSK_.has_recursion, 0
	.set _ZN7rocprim17ROCPRIM_400000_NS6detail17trampoline_kernelINS0_14default_configENS1_22reduce_config_selectorIN6thrust23THRUST_200600_302600_NS5tupleIblNS6_9null_typeES8_S8_S8_S8_S8_S8_S8_EEEEZNS1_11reduce_implILb1ES3_PS9_SC_S9_NS6_11hip_rocprim9__find_if7functorIS9_EEEE10hipError_tPvRmT1_T2_T3_mT4_P12ihipStream_tbEUlT_E1_NS1_11comp_targetILNS1_3genE0ELNS1_11target_archE4294967295ELNS1_3gpuE0ELNS1_3repE0EEENS1_30default_config_static_selectorELNS0_4arch9wavefront6targetE0EEEvSK_.has_indirect_call, 0
	.section	.AMDGPU.csdata,"",@progbits
; Kernel info:
; codeLenInByte = 0
; TotalNumSgprs: 0
; NumVgprs: 0
; ScratchSize: 0
; MemoryBound: 0
; FloatMode: 240
; IeeeMode: 1
; LDSByteSize: 0 bytes/workgroup (compile time only)
; SGPRBlocks: 0
; VGPRBlocks: 0
; NumSGPRsForWavesPerEU: 1
; NumVGPRsForWavesPerEU: 1
; Occupancy: 16
; WaveLimiterHint : 0
; COMPUTE_PGM_RSRC2:SCRATCH_EN: 0
; COMPUTE_PGM_RSRC2:USER_SGPR: 6
; COMPUTE_PGM_RSRC2:TRAP_HANDLER: 0
; COMPUTE_PGM_RSRC2:TGID_X_EN: 1
; COMPUTE_PGM_RSRC2:TGID_Y_EN: 0
; COMPUTE_PGM_RSRC2:TGID_Z_EN: 0
; COMPUTE_PGM_RSRC2:TIDIG_COMP_CNT: 0
	.section	.text._ZN7rocprim17ROCPRIM_400000_NS6detail17trampoline_kernelINS0_14default_configENS1_22reduce_config_selectorIN6thrust23THRUST_200600_302600_NS5tupleIblNS6_9null_typeES8_S8_S8_S8_S8_S8_S8_EEEEZNS1_11reduce_implILb1ES3_PS9_SC_S9_NS6_11hip_rocprim9__find_if7functorIS9_EEEE10hipError_tPvRmT1_T2_T3_mT4_P12ihipStream_tbEUlT_E1_NS1_11comp_targetILNS1_3genE5ELNS1_11target_archE942ELNS1_3gpuE9ELNS1_3repE0EEENS1_30default_config_static_selectorELNS0_4arch9wavefront6targetE0EEEvSK_,"axG",@progbits,_ZN7rocprim17ROCPRIM_400000_NS6detail17trampoline_kernelINS0_14default_configENS1_22reduce_config_selectorIN6thrust23THRUST_200600_302600_NS5tupleIblNS6_9null_typeES8_S8_S8_S8_S8_S8_S8_EEEEZNS1_11reduce_implILb1ES3_PS9_SC_S9_NS6_11hip_rocprim9__find_if7functorIS9_EEEE10hipError_tPvRmT1_T2_T3_mT4_P12ihipStream_tbEUlT_E1_NS1_11comp_targetILNS1_3genE5ELNS1_11target_archE942ELNS1_3gpuE9ELNS1_3repE0EEENS1_30default_config_static_selectorELNS0_4arch9wavefront6targetE0EEEvSK_,comdat
	.protected	_ZN7rocprim17ROCPRIM_400000_NS6detail17trampoline_kernelINS0_14default_configENS1_22reduce_config_selectorIN6thrust23THRUST_200600_302600_NS5tupleIblNS6_9null_typeES8_S8_S8_S8_S8_S8_S8_EEEEZNS1_11reduce_implILb1ES3_PS9_SC_S9_NS6_11hip_rocprim9__find_if7functorIS9_EEEE10hipError_tPvRmT1_T2_T3_mT4_P12ihipStream_tbEUlT_E1_NS1_11comp_targetILNS1_3genE5ELNS1_11target_archE942ELNS1_3gpuE9ELNS1_3repE0EEENS1_30default_config_static_selectorELNS0_4arch9wavefront6targetE0EEEvSK_ ; -- Begin function _ZN7rocprim17ROCPRIM_400000_NS6detail17trampoline_kernelINS0_14default_configENS1_22reduce_config_selectorIN6thrust23THRUST_200600_302600_NS5tupleIblNS6_9null_typeES8_S8_S8_S8_S8_S8_S8_EEEEZNS1_11reduce_implILb1ES3_PS9_SC_S9_NS6_11hip_rocprim9__find_if7functorIS9_EEEE10hipError_tPvRmT1_T2_T3_mT4_P12ihipStream_tbEUlT_E1_NS1_11comp_targetILNS1_3genE5ELNS1_11target_archE942ELNS1_3gpuE9ELNS1_3repE0EEENS1_30default_config_static_selectorELNS0_4arch9wavefront6targetE0EEEvSK_
	.globl	_ZN7rocprim17ROCPRIM_400000_NS6detail17trampoline_kernelINS0_14default_configENS1_22reduce_config_selectorIN6thrust23THRUST_200600_302600_NS5tupleIblNS6_9null_typeES8_S8_S8_S8_S8_S8_S8_EEEEZNS1_11reduce_implILb1ES3_PS9_SC_S9_NS6_11hip_rocprim9__find_if7functorIS9_EEEE10hipError_tPvRmT1_T2_T3_mT4_P12ihipStream_tbEUlT_E1_NS1_11comp_targetILNS1_3genE5ELNS1_11target_archE942ELNS1_3gpuE9ELNS1_3repE0EEENS1_30default_config_static_selectorELNS0_4arch9wavefront6targetE0EEEvSK_
	.p2align	8
	.type	_ZN7rocprim17ROCPRIM_400000_NS6detail17trampoline_kernelINS0_14default_configENS1_22reduce_config_selectorIN6thrust23THRUST_200600_302600_NS5tupleIblNS6_9null_typeES8_S8_S8_S8_S8_S8_S8_EEEEZNS1_11reduce_implILb1ES3_PS9_SC_S9_NS6_11hip_rocprim9__find_if7functorIS9_EEEE10hipError_tPvRmT1_T2_T3_mT4_P12ihipStream_tbEUlT_E1_NS1_11comp_targetILNS1_3genE5ELNS1_11target_archE942ELNS1_3gpuE9ELNS1_3repE0EEENS1_30default_config_static_selectorELNS0_4arch9wavefront6targetE0EEEvSK_,@function
_ZN7rocprim17ROCPRIM_400000_NS6detail17trampoline_kernelINS0_14default_configENS1_22reduce_config_selectorIN6thrust23THRUST_200600_302600_NS5tupleIblNS6_9null_typeES8_S8_S8_S8_S8_S8_S8_EEEEZNS1_11reduce_implILb1ES3_PS9_SC_S9_NS6_11hip_rocprim9__find_if7functorIS9_EEEE10hipError_tPvRmT1_T2_T3_mT4_P12ihipStream_tbEUlT_E1_NS1_11comp_targetILNS1_3genE5ELNS1_11target_archE942ELNS1_3gpuE9ELNS1_3repE0EEENS1_30default_config_static_selectorELNS0_4arch9wavefront6targetE0EEEvSK_: ; @_ZN7rocprim17ROCPRIM_400000_NS6detail17trampoline_kernelINS0_14default_configENS1_22reduce_config_selectorIN6thrust23THRUST_200600_302600_NS5tupleIblNS6_9null_typeES8_S8_S8_S8_S8_S8_S8_EEEEZNS1_11reduce_implILb1ES3_PS9_SC_S9_NS6_11hip_rocprim9__find_if7functorIS9_EEEE10hipError_tPvRmT1_T2_T3_mT4_P12ihipStream_tbEUlT_E1_NS1_11comp_targetILNS1_3genE5ELNS1_11target_archE942ELNS1_3gpuE9ELNS1_3repE0EEENS1_30default_config_static_selectorELNS0_4arch9wavefront6targetE0EEEvSK_
; %bb.0:
	.section	.rodata,"a",@progbits
	.p2align	6, 0x0
	.amdhsa_kernel _ZN7rocprim17ROCPRIM_400000_NS6detail17trampoline_kernelINS0_14default_configENS1_22reduce_config_selectorIN6thrust23THRUST_200600_302600_NS5tupleIblNS6_9null_typeES8_S8_S8_S8_S8_S8_S8_EEEEZNS1_11reduce_implILb1ES3_PS9_SC_S9_NS6_11hip_rocprim9__find_if7functorIS9_EEEE10hipError_tPvRmT1_T2_T3_mT4_P12ihipStream_tbEUlT_E1_NS1_11comp_targetILNS1_3genE5ELNS1_11target_archE942ELNS1_3gpuE9ELNS1_3repE0EEENS1_30default_config_static_selectorELNS0_4arch9wavefront6targetE0EEEvSK_
		.amdhsa_group_segment_fixed_size 0
		.amdhsa_private_segment_fixed_size 0
		.amdhsa_kernarg_size 56
		.amdhsa_user_sgpr_count 6
		.amdhsa_user_sgpr_private_segment_buffer 1
		.amdhsa_user_sgpr_dispatch_ptr 0
		.amdhsa_user_sgpr_queue_ptr 0
		.amdhsa_user_sgpr_kernarg_segment_ptr 1
		.amdhsa_user_sgpr_dispatch_id 0
		.amdhsa_user_sgpr_flat_scratch_init 0
		.amdhsa_user_sgpr_private_segment_size 0
		.amdhsa_wavefront_size32 1
		.amdhsa_uses_dynamic_stack 0
		.amdhsa_system_sgpr_private_segment_wavefront_offset 0
		.amdhsa_system_sgpr_workgroup_id_x 1
		.amdhsa_system_sgpr_workgroup_id_y 0
		.amdhsa_system_sgpr_workgroup_id_z 0
		.amdhsa_system_sgpr_workgroup_info 0
		.amdhsa_system_vgpr_workitem_id 0
		.amdhsa_next_free_vgpr 1
		.amdhsa_next_free_sgpr 1
		.amdhsa_reserve_vcc 0
		.amdhsa_reserve_flat_scratch 0
		.amdhsa_float_round_mode_32 0
		.amdhsa_float_round_mode_16_64 0
		.amdhsa_float_denorm_mode_32 3
		.amdhsa_float_denorm_mode_16_64 3
		.amdhsa_dx10_clamp 1
		.amdhsa_ieee_mode 1
		.amdhsa_fp16_overflow 0
		.amdhsa_workgroup_processor_mode 1
		.amdhsa_memory_ordered 1
		.amdhsa_forward_progress 1
		.amdhsa_shared_vgpr_count 0
		.amdhsa_exception_fp_ieee_invalid_op 0
		.amdhsa_exception_fp_denorm_src 0
		.amdhsa_exception_fp_ieee_div_zero 0
		.amdhsa_exception_fp_ieee_overflow 0
		.amdhsa_exception_fp_ieee_underflow 0
		.amdhsa_exception_fp_ieee_inexact 0
		.amdhsa_exception_int_div_zero 0
	.end_amdhsa_kernel
	.section	.text._ZN7rocprim17ROCPRIM_400000_NS6detail17trampoline_kernelINS0_14default_configENS1_22reduce_config_selectorIN6thrust23THRUST_200600_302600_NS5tupleIblNS6_9null_typeES8_S8_S8_S8_S8_S8_S8_EEEEZNS1_11reduce_implILb1ES3_PS9_SC_S9_NS6_11hip_rocprim9__find_if7functorIS9_EEEE10hipError_tPvRmT1_T2_T3_mT4_P12ihipStream_tbEUlT_E1_NS1_11comp_targetILNS1_3genE5ELNS1_11target_archE942ELNS1_3gpuE9ELNS1_3repE0EEENS1_30default_config_static_selectorELNS0_4arch9wavefront6targetE0EEEvSK_,"axG",@progbits,_ZN7rocprim17ROCPRIM_400000_NS6detail17trampoline_kernelINS0_14default_configENS1_22reduce_config_selectorIN6thrust23THRUST_200600_302600_NS5tupleIblNS6_9null_typeES8_S8_S8_S8_S8_S8_S8_EEEEZNS1_11reduce_implILb1ES3_PS9_SC_S9_NS6_11hip_rocprim9__find_if7functorIS9_EEEE10hipError_tPvRmT1_T2_T3_mT4_P12ihipStream_tbEUlT_E1_NS1_11comp_targetILNS1_3genE5ELNS1_11target_archE942ELNS1_3gpuE9ELNS1_3repE0EEENS1_30default_config_static_selectorELNS0_4arch9wavefront6targetE0EEEvSK_,comdat
.Lfunc_end99:
	.size	_ZN7rocprim17ROCPRIM_400000_NS6detail17trampoline_kernelINS0_14default_configENS1_22reduce_config_selectorIN6thrust23THRUST_200600_302600_NS5tupleIblNS6_9null_typeES8_S8_S8_S8_S8_S8_S8_EEEEZNS1_11reduce_implILb1ES3_PS9_SC_S9_NS6_11hip_rocprim9__find_if7functorIS9_EEEE10hipError_tPvRmT1_T2_T3_mT4_P12ihipStream_tbEUlT_E1_NS1_11comp_targetILNS1_3genE5ELNS1_11target_archE942ELNS1_3gpuE9ELNS1_3repE0EEENS1_30default_config_static_selectorELNS0_4arch9wavefront6targetE0EEEvSK_, .Lfunc_end99-_ZN7rocprim17ROCPRIM_400000_NS6detail17trampoline_kernelINS0_14default_configENS1_22reduce_config_selectorIN6thrust23THRUST_200600_302600_NS5tupleIblNS6_9null_typeES8_S8_S8_S8_S8_S8_S8_EEEEZNS1_11reduce_implILb1ES3_PS9_SC_S9_NS6_11hip_rocprim9__find_if7functorIS9_EEEE10hipError_tPvRmT1_T2_T3_mT4_P12ihipStream_tbEUlT_E1_NS1_11comp_targetILNS1_3genE5ELNS1_11target_archE942ELNS1_3gpuE9ELNS1_3repE0EEENS1_30default_config_static_selectorELNS0_4arch9wavefront6targetE0EEEvSK_
                                        ; -- End function
	.set _ZN7rocprim17ROCPRIM_400000_NS6detail17trampoline_kernelINS0_14default_configENS1_22reduce_config_selectorIN6thrust23THRUST_200600_302600_NS5tupleIblNS6_9null_typeES8_S8_S8_S8_S8_S8_S8_EEEEZNS1_11reduce_implILb1ES3_PS9_SC_S9_NS6_11hip_rocprim9__find_if7functorIS9_EEEE10hipError_tPvRmT1_T2_T3_mT4_P12ihipStream_tbEUlT_E1_NS1_11comp_targetILNS1_3genE5ELNS1_11target_archE942ELNS1_3gpuE9ELNS1_3repE0EEENS1_30default_config_static_selectorELNS0_4arch9wavefront6targetE0EEEvSK_.num_vgpr, 0
	.set _ZN7rocprim17ROCPRIM_400000_NS6detail17trampoline_kernelINS0_14default_configENS1_22reduce_config_selectorIN6thrust23THRUST_200600_302600_NS5tupleIblNS6_9null_typeES8_S8_S8_S8_S8_S8_S8_EEEEZNS1_11reduce_implILb1ES3_PS9_SC_S9_NS6_11hip_rocprim9__find_if7functorIS9_EEEE10hipError_tPvRmT1_T2_T3_mT4_P12ihipStream_tbEUlT_E1_NS1_11comp_targetILNS1_3genE5ELNS1_11target_archE942ELNS1_3gpuE9ELNS1_3repE0EEENS1_30default_config_static_selectorELNS0_4arch9wavefront6targetE0EEEvSK_.num_agpr, 0
	.set _ZN7rocprim17ROCPRIM_400000_NS6detail17trampoline_kernelINS0_14default_configENS1_22reduce_config_selectorIN6thrust23THRUST_200600_302600_NS5tupleIblNS6_9null_typeES8_S8_S8_S8_S8_S8_S8_EEEEZNS1_11reduce_implILb1ES3_PS9_SC_S9_NS6_11hip_rocprim9__find_if7functorIS9_EEEE10hipError_tPvRmT1_T2_T3_mT4_P12ihipStream_tbEUlT_E1_NS1_11comp_targetILNS1_3genE5ELNS1_11target_archE942ELNS1_3gpuE9ELNS1_3repE0EEENS1_30default_config_static_selectorELNS0_4arch9wavefront6targetE0EEEvSK_.numbered_sgpr, 0
	.set _ZN7rocprim17ROCPRIM_400000_NS6detail17trampoline_kernelINS0_14default_configENS1_22reduce_config_selectorIN6thrust23THRUST_200600_302600_NS5tupleIblNS6_9null_typeES8_S8_S8_S8_S8_S8_S8_EEEEZNS1_11reduce_implILb1ES3_PS9_SC_S9_NS6_11hip_rocprim9__find_if7functorIS9_EEEE10hipError_tPvRmT1_T2_T3_mT4_P12ihipStream_tbEUlT_E1_NS1_11comp_targetILNS1_3genE5ELNS1_11target_archE942ELNS1_3gpuE9ELNS1_3repE0EEENS1_30default_config_static_selectorELNS0_4arch9wavefront6targetE0EEEvSK_.num_named_barrier, 0
	.set _ZN7rocprim17ROCPRIM_400000_NS6detail17trampoline_kernelINS0_14default_configENS1_22reduce_config_selectorIN6thrust23THRUST_200600_302600_NS5tupleIblNS6_9null_typeES8_S8_S8_S8_S8_S8_S8_EEEEZNS1_11reduce_implILb1ES3_PS9_SC_S9_NS6_11hip_rocprim9__find_if7functorIS9_EEEE10hipError_tPvRmT1_T2_T3_mT4_P12ihipStream_tbEUlT_E1_NS1_11comp_targetILNS1_3genE5ELNS1_11target_archE942ELNS1_3gpuE9ELNS1_3repE0EEENS1_30default_config_static_selectorELNS0_4arch9wavefront6targetE0EEEvSK_.private_seg_size, 0
	.set _ZN7rocprim17ROCPRIM_400000_NS6detail17trampoline_kernelINS0_14default_configENS1_22reduce_config_selectorIN6thrust23THRUST_200600_302600_NS5tupleIblNS6_9null_typeES8_S8_S8_S8_S8_S8_S8_EEEEZNS1_11reduce_implILb1ES3_PS9_SC_S9_NS6_11hip_rocprim9__find_if7functorIS9_EEEE10hipError_tPvRmT1_T2_T3_mT4_P12ihipStream_tbEUlT_E1_NS1_11comp_targetILNS1_3genE5ELNS1_11target_archE942ELNS1_3gpuE9ELNS1_3repE0EEENS1_30default_config_static_selectorELNS0_4arch9wavefront6targetE0EEEvSK_.uses_vcc, 0
	.set _ZN7rocprim17ROCPRIM_400000_NS6detail17trampoline_kernelINS0_14default_configENS1_22reduce_config_selectorIN6thrust23THRUST_200600_302600_NS5tupleIblNS6_9null_typeES8_S8_S8_S8_S8_S8_S8_EEEEZNS1_11reduce_implILb1ES3_PS9_SC_S9_NS6_11hip_rocprim9__find_if7functorIS9_EEEE10hipError_tPvRmT1_T2_T3_mT4_P12ihipStream_tbEUlT_E1_NS1_11comp_targetILNS1_3genE5ELNS1_11target_archE942ELNS1_3gpuE9ELNS1_3repE0EEENS1_30default_config_static_selectorELNS0_4arch9wavefront6targetE0EEEvSK_.uses_flat_scratch, 0
	.set _ZN7rocprim17ROCPRIM_400000_NS6detail17trampoline_kernelINS0_14default_configENS1_22reduce_config_selectorIN6thrust23THRUST_200600_302600_NS5tupleIblNS6_9null_typeES8_S8_S8_S8_S8_S8_S8_EEEEZNS1_11reduce_implILb1ES3_PS9_SC_S9_NS6_11hip_rocprim9__find_if7functorIS9_EEEE10hipError_tPvRmT1_T2_T3_mT4_P12ihipStream_tbEUlT_E1_NS1_11comp_targetILNS1_3genE5ELNS1_11target_archE942ELNS1_3gpuE9ELNS1_3repE0EEENS1_30default_config_static_selectorELNS0_4arch9wavefront6targetE0EEEvSK_.has_dyn_sized_stack, 0
	.set _ZN7rocprim17ROCPRIM_400000_NS6detail17trampoline_kernelINS0_14default_configENS1_22reduce_config_selectorIN6thrust23THRUST_200600_302600_NS5tupleIblNS6_9null_typeES8_S8_S8_S8_S8_S8_S8_EEEEZNS1_11reduce_implILb1ES3_PS9_SC_S9_NS6_11hip_rocprim9__find_if7functorIS9_EEEE10hipError_tPvRmT1_T2_T3_mT4_P12ihipStream_tbEUlT_E1_NS1_11comp_targetILNS1_3genE5ELNS1_11target_archE942ELNS1_3gpuE9ELNS1_3repE0EEENS1_30default_config_static_selectorELNS0_4arch9wavefront6targetE0EEEvSK_.has_recursion, 0
	.set _ZN7rocprim17ROCPRIM_400000_NS6detail17trampoline_kernelINS0_14default_configENS1_22reduce_config_selectorIN6thrust23THRUST_200600_302600_NS5tupleIblNS6_9null_typeES8_S8_S8_S8_S8_S8_S8_EEEEZNS1_11reduce_implILb1ES3_PS9_SC_S9_NS6_11hip_rocprim9__find_if7functorIS9_EEEE10hipError_tPvRmT1_T2_T3_mT4_P12ihipStream_tbEUlT_E1_NS1_11comp_targetILNS1_3genE5ELNS1_11target_archE942ELNS1_3gpuE9ELNS1_3repE0EEENS1_30default_config_static_selectorELNS0_4arch9wavefront6targetE0EEEvSK_.has_indirect_call, 0
	.section	.AMDGPU.csdata,"",@progbits
; Kernel info:
; codeLenInByte = 0
; TotalNumSgprs: 0
; NumVgprs: 0
; ScratchSize: 0
; MemoryBound: 0
; FloatMode: 240
; IeeeMode: 1
; LDSByteSize: 0 bytes/workgroup (compile time only)
; SGPRBlocks: 0
; VGPRBlocks: 0
; NumSGPRsForWavesPerEU: 1
; NumVGPRsForWavesPerEU: 1
; Occupancy: 16
; WaveLimiterHint : 0
; COMPUTE_PGM_RSRC2:SCRATCH_EN: 0
; COMPUTE_PGM_RSRC2:USER_SGPR: 6
; COMPUTE_PGM_RSRC2:TRAP_HANDLER: 0
; COMPUTE_PGM_RSRC2:TGID_X_EN: 1
; COMPUTE_PGM_RSRC2:TGID_Y_EN: 0
; COMPUTE_PGM_RSRC2:TGID_Z_EN: 0
; COMPUTE_PGM_RSRC2:TIDIG_COMP_CNT: 0
	.section	.text._ZN7rocprim17ROCPRIM_400000_NS6detail17trampoline_kernelINS0_14default_configENS1_22reduce_config_selectorIN6thrust23THRUST_200600_302600_NS5tupleIblNS6_9null_typeES8_S8_S8_S8_S8_S8_S8_EEEEZNS1_11reduce_implILb1ES3_PS9_SC_S9_NS6_11hip_rocprim9__find_if7functorIS9_EEEE10hipError_tPvRmT1_T2_T3_mT4_P12ihipStream_tbEUlT_E1_NS1_11comp_targetILNS1_3genE4ELNS1_11target_archE910ELNS1_3gpuE8ELNS1_3repE0EEENS1_30default_config_static_selectorELNS0_4arch9wavefront6targetE0EEEvSK_,"axG",@progbits,_ZN7rocprim17ROCPRIM_400000_NS6detail17trampoline_kernelINS0_14default_configENS1_22reduce_config_selectorIN6thrust23THRUST_200600_302600_NS5tupleIblNS6_9null_typeES8_S8_S8_S8_S8_S8_S8_EEEEZNS1_11reduce_implILb1ES3_PS9_SC_S9_NS6_11hip_rocprim9__find_if7functorIS9_EEEE10hipError_tPvRmT1_T2_T3_mT4_P12ihipStream_tbEUlT_E1_NS1_11comp_targetILNS1_3genE4ELNS1_11target_archE910ELNS1_3gpuE8ELNS1_3repE0EEENS1_30default_config_static_selectorELNS0_4arch9wavefront6targetE0EEEvSK_,comdat
	.protected	_ZN7rocprim17ROCPRIM_400000_NS6detail17trampoline_kernelINS0_14default_configENS1_22reduce_config_selectorIN6thrust23THRUST_200600_302600_NS5tupleIblNS6_9null_typeES8_S8_S8_S8_S8_S8_S8_EEEEZNS1_11reduce_implILb1ES3_PS9_SC_S9_NS6_11hip_rocprim9__find_if7functorIS9_EEEE10hipError_tPvRmT1_T2_T3_mT4_P12ihipStream_tbEUlT_E1_NS1_11comp_targetILNS1_3genE4ELNS1_11target_archE910ELNS1_3gpuE8ELNS1_3repE0EEENS1_30default_config_static_selectorELNS0_4arch9wavefront6targetE0EEEvSK_ ; -- Begin function _ZN7rocprim17ROCPRIM_400000_NS6detail17trampoline_kernelINS0_14default_configENS1_22reduce_config_selectorIN6thrust23THRUST_200600_302600_NS5tupleIblNS6_9null_typeES8_S8_S8_S8_S8_S8_S8_EEEEZNS1_11reduce_implILb1ES3_PS9_SC_S9_NS6_11hip_rocprim9__find_if7functorIS9_EEEE10hipError_tPvRmT1_T2_T3_mT4_P12ihipStream_tbEUlT_E1_NS1_11comp_targetILNS1_3genE4ELNS1_11target_archE910ELNS1_3gpuE8ELNS1_3repE0EEENS1_30default_config_static_selectorELNS0_4arch9wavefront6targetE0EEEvSK_
	.globl	_ZN7rocprim17ROCPRIM_400000_NS6detail17trampoline_kernelINS0_14default_configENS1_22reduce_config_selectorIN6thrust23THRUST_200600_302600_NS5tupleIblNS6_9null_typeES8_S8_S8_S8_S8_S8_S8_EEEEZNS1_11reduce_implILb1ES3_PS9_SC_S9_NS6_11hip_rocprim9__find_if7functorIS9_EEEE10hipError_tPvRmT1_T2_T3_mT4_P12ihipStream_tbEUlT_E1_NS1_11comp_targetILNS1_3genE4ELNS1_11target_archE910ELNS1_3gpuE8ELNS1_3repE0EEENS1_30default_config_static_selectorELNS0_4arch9wavefront6targetE0EEEvSK_
	.p2align	8
	.type	_ZN7rocprim17ROCPRIM_400000_NS6detail17trampoline_kernelINS0_14default_configENS1_22reduce_config_selectorIN6thrust23THRUST_200600_302600_NS5tupleIblNS6_9null_typeES8_S8_S8_S8_S8_S8_S8_EEEEZNS1_11reduce_implILb1ES3_PS9_SC_S9_NS6_11hip_rocprim9__find_if7functorIS9_EEEE10hipError_tPvRmT1_T2_T3_mT4_P12ihipStream_tbEUlT_E1_NS1_11comp_targetILNS1_3genE4ELNS1_11target_archE910ELNS1_3gpuE8ELNS1_3repE0EEENS1_30default_config_static_selectorELNS0_4arch9wavefront6targetE0EEEvSK_,@function
_ZN7rocprim17ROCPRIM_400000_NS6detail17trampoline_kernelINS0_14default_configENS1_22reduce_config_selectorIN6thrust23THRUST_200600_302600_NS5tupleIblNS6_9null_typeES8_S8_S8_S8_S8_S8_S8_EEEEZNS1_11reduce_implILb1ES3_PS9_SC_S9_NS6_11hip_rocprim9__find_if7functorIS9_EEEE10hipError_tPvRmT1_T2_T3_mT4_P12ihipStream_tbEUlT_E1_NS1_11comp_targetILNS1_3genE4ELNS1_11target_archE910ELNS1_3gpuE8ELNS1_3repE0EEENS1_30default_config_static_selectorELNS0_4arch9wavefront6targetE0EEEvSK_: ; @_ZN7rocprim17ROCPRIM_400000_NS6detail17trampoline_kernelINS0_14default_configENS1_22reduce_config_selectorIN6thrust23THRUST_200600_302600_NS5tupleIblNS6_9null_typeES8_S8_S8_S8_S8_S8_S8_EEEEZNS1_11reduce_implILb1ES3_PS9_SC_S9_NS6_11hip_rocprim9__find_if7functorIS9_EEEE10hipError_tPvRmT1_T2_T3_mT4_P12ihipStream_tbEUlT_E1_NS1_11comp_targetILNS1_3genE4ELNS1_11target_archE910ELNS1_3gpuE8ELNS1_3repE0EEENS1_30default_config_static_selectorELNS0_4arch9wavefront6targetE0EEEvSK_
; %bb.0:
	.section	.rodata,"a",@progbits
	.p2align	6, 0x0
	.amdhsa_kernel _ZN7rocprim17ROCPRIM_400000_NS6detail17trampoline_kernelINS0_14default_configENS1_22reduce_config_selectorIN6thrust23THRUST_200600_302600_NS5tupleIblNS6_9null_typeES8_S8_S8_S8_S8_S8_S8_EEEEZNS1_11reduce_implILb1ES3_PS9_SC_S9_NS6_11hip_rocprim9__find_if7functorIS9_EEEE10hipError_tPvRmT1_T2_T3_mT4_P12ihipStream_tbEUlT_E1_NS1_11comp_targetILNS1_3genE4ELNS1_11target_archE910ELNS1_3gpuE8ELNS1_3repE0EEENS1_30default_config_static_selectorELNS0_4arch9wavefront6targetE0EEEvSK_
		.amdhsa_group_segment_fixed_size 0
		.amdhsa_private_segment_fixed_size 0
		.amdhsa_kernarg_size 56
		.amdhsa_user_sgpr_count 6
		.amdhsa_user_sgpr_private_segment_buffer 1
		.amdhsa_user_sgpr_dispatch_ptr 0
		.amdhsa_user_sgpr_queue_ptr 0
		.amdhsa_user_sgpr_kernarg_segment_ptr 1
		.amdhsa_user_sgpr_dispatch_id 0
		.amdhsa_user_sgpr_flat_scratch_init 0
		.amdhsa_user_sgpr_private_segment_size 0
		.amdhsa_wavefront_size32 1
		.amdhsa_uses_dynamic_stack 0
		.amdhsa_system_sgpr_private_segment_wavefront_offset 0
		.amdhsa_system_sgpr_workgroup_id_x 1
		.amdhsa_system_sgpr_workgroup_id_y 0
		.amdhsa_system_sgpr_workgroup_id_z 0
		.amdhsa_system_sgpr_workgroup_info 0
		.amdhsa_system_vgpr_workitem_id 0
		.amdhsa_next_free_vgpr 1
		.amdhsa_next_free_sgpr 1
		.amdhsa_reserve_vcc 0
		.amdhsa_reserve_flat_scratch 0
		.amdhsa_float_round_mode_32 0
		.amdhsa_float_round_mode_16_64 0
		.amdhsa_float_denorm_mode_32 3
		.amdhsa_float_denorm_mode_16_64 3
		.amdhsa_dx10_clamp 1
		.amdhsa_ieee_mode 1
		.amdhsa_fp16_overflow 0
		.amdhsa_workgroup_processor_mode 1
		.amdhsa_memory_ordered 1
		.amdhsa_forward_progress 1
		.amdhsa_shared_vgpr_count 0
		.amdhsa_exception_fp_ieee_invalid_op 0
		.amdhsa_exception_fp_denorm_src 0
		.amdhsa_exception_fp_ieee_div_zero 0
		.amdhsa_exception_fp_ieee_overflow 0
		.amdhsa_exception_fp_ieee_underflow 0
		.amdhsa_exception_fp_ieee_inexact 0
		.amdhsa_exception_int_div_zero 0
	.end_amdhsa_kernel
	.section	.text._ZN7rocprim17ROCPRIM_400000_NS6detail17trampoline_kernelINS0_14default_configENS1_22reduce_config_selectorIN6thrust23THRUST_200600_302600_NS5tupleIblNS6_9null_typeES8_S8_S8_S8_S8_S8_S8_EEEEZNS1_11reduce_implILb1ES3_PS9_SC_S9_NS6_11hip_rocprim9__find_if7functorIS9_EEEE10hipError_tPvRmT1_T2_T3_mT4_P12ihipStream_tbEUlT_E1_NS1_11comp_targetILNS1_3genE4ELNS1_11target_archE910ELNS1_3gpuE8ELNS1_3repE0EEENS1_30default_config_static_selectorELNS0_4arch9wavefront6targetE0EEEvSK_,"axG",@progbits,_ZN7rocprim17ROCPRIM_400000_NS6detail17trampoline_kernelINS0_14default_configENS1_22reduce_config_selectorIN6thrust23THRUST_200600_302600_NS5tupleIblNS6_9null_typeES8_S8_S8_S8_S8_S8_S8_EEEEZNS1_11reduce_implILb1ES3_PS9_SC_S9_NS6_11hip_rocprim9__find_if7functorIS9_EEEE10hipError_tPvRmT1_T2_T3_mT4_P12ihipStream_tbEUlT_E1_NS1_11comp_targetILNS1_3genE4ELNS1_11target_archE910ELNS1_3gpuE8ELNS1_3repE0EEENS1_30default_config_static_selectorELNS0_4arch9wavefront6targetE0EEEvSK_,comdat
.Lfunc_end100:
	.size	_ZN7rocprim17ROCPRIM_400000_NS6detail17trampoline_kernelINS0_14default_configENS1_22reduce_config_selectorIN6thrust23THRUST_200600_302600_NS5tupleIblNS6_9null_typeES8_S8_S8_S8_S8_S8_S8_EEEEZNS1_11reduce_implILb1ES3_PS9_SC_S9_NS6_11hip_rocprim9__find_if7functorIS9_EEEE10hipError_tPvRmT1_T2_T3_mT4_P12ihipStream_tbEUlT_E1_NS1_11comp_targetILNS1_3genE4ELNS1_11target_archE910ELNS1_3gpuE8ELNS1_3repE0EEENS1_30default_config_static_selectorELNS0_4arch9wavefront6targetE0EEEvSK_, .Lfunc_end100-_ZN7rocprim17ROCPRIM_400000_NS6detail17trampoline_kernelINS0_14default_configENS1_22reduce_config_selectorIN6thrust23THRUST_200600_302600_NS5tupleIblNS6_9null_typeES8_S8_S8_S8_S8_S8_S8_EEEEZNS1_11reduce_implILb1ES3_PS9_SC_S9_NS6_11hip_rocprim9__find_if7functorIS9_EEEE10hipError_tPvRmT1_T2_T3_mT4_P12ihipStream_tbEUlT_E1_NS1_11comp_targetILNS1_3genE4ELNS1_11target_archE910ELNS1_3gpuE8ELNS1_3repE0EEENS1_30default_config_static_selectorELNS0_4arch9wavefront6targetE0EEEvSK_
                                        ; -- End function
	.set _ZN7rocprim17ROCPRIM_400000_NS6detail17trampoline_kernelINS0_14default_configENS1_22reduce_config_selectorIN6thrust23THRUST_200600_302600_NS5tupleIblNS6_9null_typeES8_S8_S8_S8_S8_S8_S8_EEEEZNS1_11reduce_implILb1ES3_PS9_SC_S9_NS6_11hip_rocprim9__find_if7functorIS9_EEEE10hipError_tPvRmT1_T2_T3_mT4_P12ihipStream_tbEUlT_E1_NS1_11comp_targetILNS1_3genE4ELNS1_11target_archE910ELNS1_3gpuE8ELNS1_3repE0EEENS1_30default_config_static_selectorELNS0_4arch9wavefront6targetE0EEEvSK_.num_vgpr, 0
	.set _ZN7rocprim17ROCPRIM_400000_NS6detail17trampoline_kernelINS0_14default_configENS1_22reduce_config_selectorIN6thrust23THRUST_200600_302600_NS5tupleIblNS6_9null_typeES8_S8_S8_S8_S8_S8_S8_EEEEZNS1_11reduce_implILb1ES3_PS9_SC_S9_NS6_11hip_rocprim9__find_if7functorIS9_EEEE10hipError_tPvRmT1_T2_T3_mT4_P12ihipStream_tbEUlT_E1_NS1_11comp_targetILNS1_3genE4ELNS1_11target_archE910ELNS1_3gpuE8ELNS1_3repE0EEENS1_30default_config_static_selectorELNS0_4arch9wavefront6targetE0EEEvSK_.num_agpr, 0
	.set _ZN7rocprim17ROCPRIM_400000_NS6detail17trampoline_kernelINS0_14default_configENS1_22reduce_config_selectorIN6thrust23THRUST_200600_302600_NS5tupleIblNS6_9null_typeES8_S8_S8_S8_S8_S8_S8_EEEEZNS1_11reduce_implILb1ES3_PS9_SC_S9_NS6_11hip_rocprim9__find_if7functorIS9_EEEE10hipError_tPvRmT1_T2_T3_mT4_P12ihipStream_tbEUlT_E1_NS1_11comp_targetILNS1_3genE4ELNS1_11target_archE910ELNS1_3gpuE8ELNS1_3repE0EEENS1_30default_config_static_selectorELNS0_4arch9wavefront6targetE0EEEvSK_.numbered_sgpr, 0
	.set _ZN7rocprim17ROCPRIM_400000_NS6detail17trampoline_kernelINS0_14default_configENS1_22reduce_config_selectorIN6thrust23THRUST_200600_302600_NS5tupleIblNS6_9null_typeES8_S8_S8_S8_S8_S8_S8_EEEEZNS1_11reduce_implILb1ES3_PS9_SC_S9_NS6_11hip_rocprim9__find_if7functorIS9_EEEE10hipError_tPvRmT1_T2_T3_mT4_P12ihipStream_tbEUlT_E1_NS1_11comp_targetILNS1_3genE4ELNS1_11target_archE910ELNS1_3gpuE8ELNS1_3repE0EEENS1_30default_config_static_selectorELNS0_4arch9wavefront6targetE0EEEvSK_.num_named_barrier, 0
	.set _ZN7rocprim17ROCPRIM_400000_NS6detail17trampoline_kernelINS0_14default_configENS1_22reduce_config_selectorIN6thrust23THRUST_200600_302600_NS5tupleIblNS6_9null_typeES8_S8_S8_S8_S8_S8_S8_EEEEZNS1_11reduce_implILb1ES3_PS9_SC_S9_NS6_11hip_rocprim9__find_if7functorIS9_EEEE10hipError_tPvRmT1_T2_T3_mT4_P12ihipStream_tbEUlT_E1_NS1_11comp_targetILNS1_3genE4ELNS1_11target_archE910ELNS1_3gpuE8ELNS1_3repE0EEENS1_30default_config_static_selectorELNS0_4arch9wavefront6targetE0EEEvSK_.private_seg_size, 0
	.set _ZN7rocprim17ROCPRIM_400000_NS6detail17trampoline_kernelINS0_14default_configENS1_22reduce_config_selectorIN6thrust23THRUST_200600_302600_NS5tupleIblNS6_9null_typeES8_S8_S8_S8_S8_S8_S8_EEEEZNS1_11reduce_implILb1ES3_PS9_SC_S9_NS6_11hip_rocprim9__find_if7functorIS9_EEEE10hipError_tPvRmT1_T2_T3_mT4_P12ihipStream_tbEUlT_E1_NS1_11comp_targetILNS1_3genE4ELNS1_11target_archE910ELNS1_3gpuE8ELNS1_3repE0EEENS1_30default_config_static_selectorELNS0_4arch9wavefront6targetE0EEEvSK_.uses_vcc, 0
	.set _ZN7rocprim17ROCPRIM_400000_NS6detail17trampoline_kernelINS0_14default_configENS1_22reduce_config_selectorIN6thrust23THRUST_200600_302600_NS5tupleIblNS6_9null_typeES8_S8_S8_S8_S8_S8_S8_EEEEZNS1_11reduce_implILb1ES3_PS9_SC_S9_NS6_11hip_rocprim9__find_if7functorIS9_EEEE10hipError_tPvRmT1_T2_T3_mT4_P12ihipStream_tbEUlT_E1_NS1_11comp_targetILNS1_3genE4ELNS1_11target_archE910ELNS1_3gpuE8ELNS1_3repE0EEENS1_30default_config_static_selectorELNS0_4arch9wavefront6targetE0EEEvSK_.uses_flat_scratch, 0
	.set _ZN7rocprim17ROCPRIM_400000_NS6detail17trampoline_kernelINS0_14default_configENS1_22reduce_config_selectorIN6thrust23THRUST_200600_302600_NS5tupleIblNS6_9null_typeES8_S8_S8_S8_S8_S8_S8_EEEEZNS1_11reduce_implILb1ES3_PS9_SC_S9_NS6_11hip_rocprim9__find_if7functorIS9_EEEE10hipError_tPvRmT1_T2_T3_mT4_P12ihipStream_tbEUlT_E1_NS1_11comp_targetILNS1_3genE4ELNS1_11target_archE910ELNS1_3gpuE8ELNS1_3repE0EEENS1_30default_config_static_selectorELNS0_4arch9wavefront6targetE0EEEvSK_.has_dyn_sized_stack, 0
	.set _ZN7rocprim17ROCPRIM_400000_NS6detail17trampoline_kernelINS0_14default_configENS1_22reduce_config_selectorIN6thrust23THRUST_200600_302600_NS5tupleIblNS6_9null_typeES8_S8_S8_S8_S8_S8_S8_EEEEZNS1_11reduce_implILb1ES3_PS9_SC_S9_NS6_11hip_rocprim9__find_if7functorIS9_EEEE10hipError_tPvRmT1_T2_T3_mT4_P12ihipStream_tbEUlT_E1_NS1_11comp_targetILNS1_3genE4ELNS1_11target_archE910ELNS1_3gpuE8ELNS1_3repE0EEENS1_30default_config_static_selectorELNS0_4arch9wavefront6targetE0EEEvSK_.has_recursion, 0
	.set _ZN7rocprim17ROCPRIM_400000_NS6detail17trampoline_kernelINS0_14default_configENS1_22reduce_config_selectorIN6thrust23THRUST_200600_302600_NS5tupleIblNS6_9null_typeES8_S8_S8_S8_S8_S8_S8_EEEEZNS1_11reduce_implILb1ES3_PS9_SC_S9_NS6_11hip_rocprim9__find_if7functorIS9_EEEE10hipError_tPvRmT1_T2_T3_mT4_P12ihipStream_tbEUlT_E1_NS1_11comp_targetILNS1_3genE4ELNS1_11target_archE910ELNS1_3gpuE8ELNS1_3repE0EEENS1_30default_config_static_selectorELNS0_4arch9wavefront6targetE0EEEvSK_.has_indirect_call, 0
	.section	.AMDGPU.csdata,"",@progbits
; Kernel info:
; codeLenInByte = 0
; TotalNumSgprs: 0
; NumVgprs: 0
; ScratchSize: 0
; MemoryBound: 0
; FloatMode: 240
; IeeeMode: 1
; LDSByteSize: 0 bytes/workgroup (compile time only)
; SGPRBlocks: 0
; VGPRBlocks: 0
; NumSGPRsForWavesPerEU: 1
; NumVGPRsForWavesPerEU: 1
; Occupancy: 16
; WaveLimiterHint : 0
; COMPUTE_PGM_RSRC2:SCRATCH_EN: 0
; COMPUTE_PGM_RSRC2:USER_SGPR: 6
; COMPUTE_PGM_RSRC2:TRAP_HANDLER: 0
; COMPUTE_PGM_RSRC2:TGID_X_EN: 1
; COMPUTE_PGM_RSRC2:TGID_Y_EN: 0
; COMPUTE_PGM_RSRC2:TGID_Z_EN: 0
; COMPUTE_PGM_RSRC2:TIDIG_COMP_CNT: 0
	.section	.text._ZN7rocprim17ROCPRIM_400000_NS6detail17trampoline_kernelINS0_14default_configENS1_22reduce_config_selectorIN6thrust23THRUST_200600_302600_NS5tupleIblNS6_9null_typeES8_S8_S8_S8_S8_S8_S8_EEEEZNS1_11reduce_implILb1ES3_PS9_SC_S9_NS6_11hip_rocprim9__find_if7functorIS9_EEEE10hipError_tPvRmT1_T2_T3_mT4_P12ihipStream_tbEUlT_E1_NS1_11comp_targetILNS1_3genE3ELNS1_11target_archE908ELNS1_3gpuE7ELNS1_3repE0EEENS1_30default_config_static_selectorELNS0_4arch9wavefront6targetE0EEEvSK_,"axG",@progbits,_ZN7rocprim17ROCPRIM_400000_NS6detail17trampoline_kernelINS0_14default_configENS1_22reduce_config_selectorIN6thrust23THRUST_200600_302600_NS5tupleIblNS6_9null_typeES8_S8_S8_S8_S8_S8_S8_EEEEZNS1_11reduce_implILb1ES3_PS9_SC_S9_NS6_11hip_rocprim9__find_if7functorIS9_EEEE10hipError_tPvRmT1_T2_T3_mT4_P12ihipStream_tbEUlT_E1_NS1_11comp_targetILNS1_3genE3ELNS1_11target_archE908ELNS1_3gpuE7ELNS1_3repE0EEENS1_30default_config_static_selectorELNS0_4arch9wavefront6targetE0EEEvSK_,comdat
	.protected	_ZN7rocprim17ROCPRIM_400000_NS6detail17trampoline_kernelINS0_14default_configENS1_22reduce_config_selectorIN6thrust23THRUST_200600_302600_NS5tupleIblNS6_9null_typeES8_S8_S8_S8_S8_S8_S8_EEEEZNS1_11reduce_implILb1ES3_PS9_SC_S9_NS6_11hip_rocprim9__find_if7functorIS9_EEEE10hipError_tPvRmT1_T2_T3_mT4_P12ihipStream_tbEUlT_E1_NS1_11comp_targetILNS1_3genE3ELNS1_11target_archE908ELNS1_3gpuE7ELNS1_3repE0EEENS1_30default_config_static_selectorELNS0_4arch9wavefront6targetE0EEEvSK_ ; -- Begin function _ZN7rocprim17ROCPRIM_400000_NS6detail17trampoline_kernelINS0_14default_configENS1_22reduce_config_selectorIN6thrust23THRUST_200600_302600_NS5tupleIblNS6_9null_typeES8_S8_S8_S8_S8_S8_S8_EEEEZNS1_11reduce_implILb1ES3_PS9_SC_S9_NS6_11hip_rocprim9__find_if7functorIS9_EEEE10hipError_tPvRmT1_T2_T3_mT4_P12ihipStream_tbEUlT_E1_NS1_11comp_targetILNS1_3genE3ELNS1_11target_archE908ELNS1_3gpuE7ELNS1_3repE0EEENS1_30default_config_static_selectorELNS0_4arch9wavefront6targetE0EEEvSK_
	.globl	_ZN7rocprim17ROCPRIM_400000_NS6detail17trampoline_kernelINS0_14default_configENS1_22reduce_config_selectorIN6thrust23THRUST_200600_302600_NS5tupleIblNS6_9null_typeES8_S8_S8_S8_S8_S8_S8_EEEEZNS1_11reduce_implILb1ES3_PS9_SC_S9_NS6_11hip_rocprim9__find_if7functorIS9_EEEE10hipError_tPvRmT1_T2_T3_mT4_P12ihipStream_tbEUlT_E1_NS1_11comp_targetILNS1_3genE3ELNS1_11target_archE908ELNS1_3gpuE7ELNS1_3repE0EEENS1_30default_config_static_selectorELNS0_4arch9wavefront6targetE0EEEvSK_
	.p2align	8
	.type	_ZN7rocprim17ROCPRIM_400000_NS6detail17trampoline_kernelINS0_14default_configENS1_22reduce_config_selectorIN6thrust23THRUST_200600_302600_NS5tupleIblNS6_9null_typeES8_S8_S8_S8_S8_S8_S8_EEEEZNS1_11reduce_implILb1ES3_PS9_SC_S9_NS6_11hip_rocprim9__find_if7functorIS9_EEEE10hipError_tPvRmT1_T2_T3_mT4_P12ihipStream_tbEUlT_E1_NS1_11comp_targetILNS1_3genE3ELNS1_11target_archE908ELNS1_3gpuE7ELNS1_3repE0EEENS1_30default_config_static_selectorELNS0_4arch9wavefront6targetE0EEEvSK_,@function
_ZN7rocprim17ROCPRIM_400000_NS6detail17trampoline_kernelINS0_14default_configENS1_22reduce_config_selectorIN6thrust23THRUST_200600_302600_NS5tupleIblNS6_9null_typeES8_S8_S8_S8_S8_S8_S8_EEEEZNS1_11reduce_implILb1ES3_PS9_SC_S9_NS6_11hip_rocprim9__find_if7functorIS9_EEEE10hipError_tPvRmT1_T2_T3_mT4_P12ihipStream_tbEUlT_E1_NS1_11comp_targetILNS1_3genE3ELNS1_11target_archE908ELNS1_3gpuE7ELNS1_3repE0EEENS1_30default_config_static_selectorELNS0_4arch9wavefront6targetE0EEEvSK_: ; @_ZN7rocprim17ROCPRIM_400000_NS6detail17trampoline_kernelINS0_14default_configENS1_22reduce_config_selectorIN6thrust23THRUST_200600_302600_NS5tupleIblNS6_9null_typeES8_S8_S8_S8_S8_S8_S8_EEEEZNS1_11reduce_implILb1ES3_PS9_SC_S9_NS6_11hip_rocprim9__find_if7functorIS9_EEEE10hipError_tPvRmT1_T2_T3_mT4_P12ihipStream_tbEUlT_E1_NS1_11comp_targetILNS1_3genE3ELNS1_11target_archE908ELNS1_3gpuE7ELNS1_3repE0EEENS1_30default_config_static_selectorELNS0_4arch9wavefront6targetE0EEEvSK_
; %bb.0:
	.section	.rodata,"a",@progbits
	.p2align	6, 0x0
	.amdhsa_kernel _ZN7rocprim17ROCPRIM_400000_NS6detail17trampoline_kernelINS0_14default_configENS1_22reduce_config_selectorIN6thrust23THRUST_200600_302600_NS5tupleIblNS6_9null_typeES8_S8_S8_S8_S8_S8_S8_EEEEZNS1_11reduce_implILb1ES3_PS9_SC_S9_NS6_11hip_rocprim9__find_if7functorIS9_EEEE10hipError_tPvRmT1_T2_T3_mT4_P12ihipStream_tbEUlT_E1_NS1_11comp_targetILNS1_3genE3ELNS1_11target_archE908ELNS1_3gpuE7ELNS1_3repE0EEENS1_30default_config_static_selectorELNS0_4arch9wavefront6targetE0EEEvSK_
		.amdhsa_group_segment_fixed_size 0
		.amdhsa_private_segment_fixed_size 0
		.amdhsa_kernarg_size 56
		.amdhsa_user_sgpr_count 6
		.amdhsa_user_sgpr_private_segment_buffer 1
		.amdhsa_user_sgpr_dispatch_ptr 0
		.amdhsa_user_sgpr_queue_ptr 0
		.amdhsa_user_sgpr_kernarg_segment_ptr 1
		.amdhsa_user_sgpr_dispatch_id 0
		.amdhsa_user_sgpr_flat_scratch_init 0
		.amdhsa_user_sgpr_private_segment_size 0
		.amdhsa_wavefront_size32 1
		.amdhsa_uses_dynamic_stack 0
		.amdhsa_system_sgpr_private_segment_wavefront_offset 0
		.amdhsa_system_sgpr_workgroup_id_x 1
		.amdhsa_system_sgpr_workgroup_id_y 0
		.amdhsa_system_sgpr_workgroup_id_z 0
		.amdhsa_system_sgpr_workgroup_info 0
		.amdhsa_system_vgpr_workitem_id 0
		.amdhsa_next_free_vgpr 1
		.amdhsa_next_free_sgpr 1
		.amdhsa_reserve_vcc 0
		.amdhsa_reserve_flat_scratch 0
		.amdhsa_float_round_mode_32 0
		.amdhsa_float_round_mode_16_64 0
		.amdhsa_float_denorm_mode_32 3
		.amdhsa_float_denorm_mode_16_64 3
		.amdhsa_dx10_clamp 1
		.amdhsa_ieee_mode 1
		.amdhsa_fp16_overflow 0
		.amdhsa_workgroup_processor_mode 1
		.amdhsa_memory_ordered 1
		.amdhsa_forward_progress 1
		.amdhsa_shared_vgpr_count 0
		.amdhsa_exception_fp_ieee_invalid_op 0
		.amdhsa_exception_fp_denorm_src 0
		.amdhsa_exception_fp_ieee_div_zero 0
		.amdhsa_exception_fp_ieee_overflow 0
		.amdhsa_exception_fp_ieee_underflow 0
		.amdhsa_exception_fp_ieee_inexact 0
		.amdhsa_exception_int_div_zero 0
	.end_amdhsa_kernel
	.section	.text._ZN7rocprim17ROCPRIM_400000_NS6detail17trampoline_kernelINS0_14default_configENS1_22reduce_config_selectorIN6thrust23THRUST_200600_302600_NS5tupleIblNS6_9null_typeES8_S8_S8_S8_S8_S8_S8_EEEEZNS1_11reduce_implILb1ES3_PS9_SC_S9_NS6_11hip_rocprim9__find_if7functorIS9_EEEE10hipError_tPvRmT1_T2_T3_mT4_P12ihipStream_tbEUlT_E1_NS1_11comp_targetILNS1_3genE3ELNS1_11target_archE908ELNS1_3gpuE7ELNS1_3repE0EEENS1_30default_config_static_selectorELNS0_4arch9wavefront6targetE0EEEvSK_,"axG",@progbits,_ZN7rocprim17ROCPRIM_400000_NS6detail17trampoline_kernelINS0_14default_configENS1_22reduce_config_selectorIN6thrust23THRUST_200600_302600_NS5tupleIblNS6_9null_typeES8_S8_S8_S8_S8_S8_S8_EEEEZNS1_11reduce_implILb1ES3_PS9_SC_S9_NS6_11hip_rocprim9__find_if7functorIS9_EEEE10hipError_tPvRmT1_T2_T3_mT4_P12ihipStream_tbEUlT_E1_NS1_11comp_targetILNS1_3genE3ELNS1_11target_archE908ELNS1_3gpuE7ELNS1_3repE0EEENS1_30default_config_static_selectorELNS0_4arch9wavefront6targetE0EEEvSK_,comdat
.Lfunc_end101:
	.size	_ZN7rocprim17ROCPRIM_400000_NS6detail17trampoline_kernelINS0_14default_configENS1_22reduce_config_selectorIN6thrust23THRUST_200600_302600_NS5tupleIblNS6_9null_typeES8_S8_S8_S8_S8_S8_S8_EEEEZNS1_11reduce_implILb1ES3_PS9_SC_S9_NS6_11hip_rocprim9__find_if7functorIS9_EEEE10hipError_tPvRmT1_T2_T3_mT4_P12ihipStream_tbEUlT_E1_NS1_11comp_targetILNS1_3genE3ELNS1_11target_archE908ELNS1_3gpuE7ELNS1_3repE0EEENS1_30default_config_static_selectorELNS0_4arch9wavefront6targetE0EEEvSK_, .Lfunc_end101-_ZN7rocprim17ROCPRIM_400000_NS6detail17trampoline_kernelINS0_14default_configENS1_22reduce_config_selectorIN6thrust23THRUST_200600_302600_NS5tupleIblNS6_9null_typeES8_S8_S8_S8_S8_S8_S8_EEEEZNS1_11reduce_implILb1ES3_PS9_SC_S9_NS6_11hip_rocprim9__find_if7functorIS9_EEEE10hipError_tPvRmT1_T2_T3_mT4_P12ihipStream_tbEUlT_E1_NS1_11comp_targetILNS1_3genE3ELNS1_11target_archE908ELNS1_3gpuE7ELNS1_3repE0EEENS1_30default_config_static_selectorELNS0_4arch9wavefront6targetE0EEEvSK_
                                        ; -- End function
	.set _ZN7rocprim17ROCPRIM_400000_NS6detail17trampoline_kernelINS0_14default_configENS1_22reduce_config_selectorIN6thrust23THRUST_200600_302600_NS5tupleIblNS6_9null_typeES8_S8_S8_S8_S8_S8_S8_EEEEZNS1_11reduce_implILb1ES3_PS9_SC_S9_NS6_11hip_rocprim9__find_if7functorIS9_EEEE10hipError_tPvRmT1_T2_T3_mT4_P12ihipStream_tbEUlT_E1_NS1_11comp_targetILNS1_3genE3ELNS1_11target_archE908ELNS1_3gpuE7ELNS1_3repE0EEENS1_30default_config_static_selectorELNS0_4arch9wavefront6targetE0EEEvSK_.num_vgpr, 0
	.set _ZN7rocprim17ROCPRIM_400000_NS6detail17trampoline_kernelINS0_14default_configENS1_22reduce_config_selectorIN6thrust23THRUST_200600_302600_NS5tupleIblNS6_9null_typeES8_S8_S8_S8_S8_S8_S8_EEEEZNS1_11reduce_implILb1ES3_PS9_SC_S9_NS6_11hip_rocprim9__find_if7functorIS9_EEEE10hipError_tPvRmT1_T2_T3_mT4_P12ihipStream_tbEUlT_E1_NS1_11comp_targetILNS1_3genE3ELNS1_11target_archE908ELNS1_3gpuE7ELNS1_3repE0EEENS1_30default_config_static_selectorELNS0_4arch9wavefront6targetE0EEEvSK_.num_agpr, 0
	.set _ZN7rocprim17ROCPRIM_400000_NS6detail17trampoline_kernelINS0_14default_configENS1_22reduce_config_selectorIN6thrust23THRUST_200600_302600_NS5tupleIblNS6_9null_typeES8_S8_S8_S8_S8_S8_S8_EEEEZNS1_11reduce_implILb1ES3_PS9_SC_S9_NS6_11hip_rocprim9__find_if7functorIS9_EEEE10hipError_tPvRmT1_T2_T3_mT4_P12ihipStream_tbEUlT_E1_NS1_11comp_targetILNS1_3genE3ELNS1_11target_archE908ELNS1_3gpuE7ELNS1_3repE0EEENS1_30default_config_static_selectorELNS0_4arch9wavefront6targetE0EEEvSK_.numbered_sgpr, 0
	.set _ZN7rocprim17ROCPRIM_400000_NS6detail17trampoline_kernelINS0_14default_configENS1_22reduce_config_selectorIN6thrust23THRUST_200600_302600_NS5tupleIblNS6_9null_typeES8_S8_S8_S8_S8_S8_S8_EEEEZNS1_11reduce_implILb1ES3_PS9_SC_S9_NS6_11hip_rocprim9__find_if7functorIS9_EEEE10hipError_tPvRmT1_T2_T3_mT4_P12ihipStream_tbEUlT_E1_NS1_11comp_targetILNS1_3genE3ELNS1_11target_archE908ELNS1_3gpuE7ELNS1_3repE0EEENS1_30default_config_static_selectorELNS0_4arch9wavefront6targetE0EEEvSK_.num_named_barrier, 0
	.set _ZN7rocprim17ROCPRIM_400000_NS6detail17trampoline_kernelINS0_14default_configENS1_22reduce_config_selectorIN6thrust23THRUST_200600_302600_NS5tupleIblNS6_9null_typeES8_S8_S8_S8_S8_S8_S8_EEEEZNS1_11reduce_implILb1ES3_PS9_SC_S9_NS6_11hip_rocprim9__find_if7functorIS9_EEEE10hipError_tPvRmT1_T2_T3_mT4_P12ihipStream_tbEUlT_E1_NS1_11comp_targetILNS1_3genE3ELNS1_11target_archE908ELNS1_3gpuE7ELNS1_3repE0EEENS1_30default_config_static_selectorELNS0_4arch9wavefront6targetE0EEEvSK_.private_seg_size, 0
	.set _ZN7rocprim17ROCPRIM_400000_NS6detail17trampoline_kernelINS0_14default_configENS1_22reduce_config_selectorIN6thrust23THRUST_200600_302600_NS5tupleIblNS6_9null_typeES8_S8_S8_S8_S8_S8_S8_EEEEZNS1_11reduce_implILb1ES3_PS9_SC_S9_NS6_11hip_rocprim9__find_if7functorIS9_EEEE10hipError_tPvRmT1_T2_T3_mT4_P12ihipStream_tbEUlT_E1_NS1_11comp_targetILNS1_3genE3ELNS1_11target_archE908ELNS1_3gpuE7ELNS1_3repE0EEENS1_30default_config_static_selectorELNS0_4arch9wavefront6targetE0EEEvSK_.uses_vcc, 0
	.set _ZN7rocprim17ROCPRIM_400000_NS6detail17trampoline_kernelINS0_14default_configENS1_22reduce_config_selectorIN6thrust23THRUST_200600_302600_NS5tupleIblNS6_9null_typeES8_S8_S8_S8_S8_S8_S8_EEEEZNS1_11reduce_implILb1ES3_PS9_SC_S9_NS6_11hip_rocprim9__find_if7functorIS9_EEEE10hipError_tPvRmT1_T2_T3_mT4_P12ihipStream_tbEUlT_E1_NS1_11comp_targetILNS1_3genE3ELNS1_11target_archE908ELNS1_3gpuE7ELNS1_3repE0EEENS1_30default_config_static_selectorELNS0_4arch9wavefront6targetE0EEEvSK_.uses_flat_scratch, 0
	.set _ZN7rocprim17ROCPRIM_400000_NS6detail17trampoline_kernelINS0_14default_configENS1_22reduce_config_selectorIN6thrust23THRUST_200600_302600_NS5tupleIblNS6_9null_typeES8_S8_S8_S8_S8_S8_S8_EEEEZNS1_11reduce_implILb1ES3_PS9_SC_S9_NS6_11hip_rocprim9__find_if7functorIS9_EEEE10hipError_tPvRmT1_T2_T3_mT4_P12ihipStream_tbEUlT_E1_NS1_11comp_targetILNS1_3genE3ELNS1_11target_archE908ELNS1_3gpuE7ELNS1_3repE0EEENS1_30default_config_static_selectorELNS0_4arch9wavefront6targetE0EEEvSK_.has_dyn_sized_stack, 0
	.set _ZN7rocprim17ROCPRIM_400000_NS6detail17trampoline_kernelINS0_14default_configENS1_22reduce_config_selectorIN6thrust23THRUST_200600_302600_NS5tupleIblNS6_9null_typeES8_S8_S8_S8_S8_S8_S8_EEEEZNS1_11reduce_implILb1ES3_PS9_SC_S9_NS6_11hip_rocprim9__find_if7functorIS9_EEEE10hipError_tPvRmT1_T2_T3_mT4_P12ihipStream_tbEUlT_E1_NS1_11comp_targetILNS1_3genE3ELNS1_11target_archE908ELNS1_3gpuE7ELNS1_3repE0EEENS1_30default_config_static_selectorELNS0_4arch9wavefront6targetE0EEEvSK_.has_recursion, 0
	.set _ZN7rocprim17ROCPRIM_400000_NS6detail17trampoline_kernelINS0_14default_configENS1_22reduce_config_selectorIN6thrust23THRUST_200600_302600_NS5tupleIblNS6_9null_typeES8_S8_S8_S8_S8_S8_S8_EEEEZNS1_11reduce_implILb1ES3_PS9_SC_S9_NS6_11hip_rocprim9__find_if7functorIS9_EEEE10hipError_tPvRmT1_T2_T3_mT4_P12ihipStream_tbEUlT_E1_NS1_11comp_targetILNS1_3genE3ELNS1_11target_archE908ELNS1_3gpuE7ELNS1_3repE0EEENS1_30default_config_static_selectorELNS0_4arch9wavefront6targetE0EEEvSK_.has_indirect_call, 0
	.section	.AMDGPU.csdata,"",@progbits
; Kernel info:
; codeLenInByte = 0
; TotalNumSgprs: 0
; NumVgprs: 0
; ScratchSize: 0
; MemoryBound: 0
; FloatMode: 240
; IeeeMode: 1
; LDSByteSize: 0 bytes/workgroup (compile time only)
; SGPRBlocks: 0
; VGPRBlocks: 0
; NumSGPRsForWavesPerEU: 1
; NumVGPRsForWavesPerEU: 1
; Occupancy: 16
; WaveLimiterHint : 0
; COMPUTE_PGM_RSRC2:SCRATCH_EN: 0
; COMPUTE_PGM_RSRC2:USER_SGPR: 6
; COMPUTE_PGM_RSRC2:TRAP_HANDLER: 0
; COMPUTE_PGM_RSRC2:TGID_X_EN: 1
; COMPUTE_PGM_RSRC2:TGID_Y_EN: 0
; COMPUTE_PGM_RSRC2:TGID_Z_EN: 0
; COMPUTE_PGM_RSRC2:TIDIG_COMP_CNT: 0
	.section	.text._ZN7rocprim17ROCPRIM_400000_NS6detail17trampoline_kernelINS0_14default_configENS1_22reduce_config_selectorIN6thrust23THRUST_200600_302600_NS5tupleIblNS6_9null_typeES8_S8_S8_S8_S8_S8_S8_EEEEZNS1_11reduce_implILb1ES3_PS9_SC_S9_NS6_11hip_rocprim9__find_if7functorIS9_EEEE10hipError_tPvRmT1_T2_T3_mT4_P12ihipStream_tbEUlT_E1_NS1_11comp_targetILNS1_3genE2ELNS1_11target_archE906ELNS1_3gpuE6ELNS1_3repE0EEENS1_30default_config_static_selectorELNS0_4arch9wavefront6targetE0EEEvSK_,"axG",@progbits,_ZN7rocprim17ROCPRIM_400000_NS6detail17trampoline_kernelINS0_14default_configENS1_22reduce_config_selectorIN6thrust23THRUST_200600_302600_NS5tupleIblNS6_9null_typeES8_S8_S8_S8_S8_S8_S8_EEEEZNS1_11reduce_implILb1ES3_PS9_SC_S9_NS6_11hip_rocprim9__find_if7functorIS9_EEEE10hipError_tPvRmT1_T2_T3_mT4_P12ihipStream_tbEUlT_E1_NS1_11comp_targetILNS1_3genE2ELNS1_11target_archE906ELNS1_3gpuE6ELNS1_3repE0EEENS1_30default_config_static_selectorELNS0_4arch9wavefront6targetE0EEEvSK_,comdat
	.protected	_ZN7rocprim17ROCPRIM_400000_NS6detail17trampoline_kernelINS0_14default_configENS1_22reduce_config_selectorIN6thrust23THRUST_200600_302600_NS5tupleIblNS6_9null_typeES8_S8_S8_S8_S8_S8_S8_EEEEZNS1_11reduce_implILb1ES3_PS9_SC_S9_NS6_11hip_rocprim9__find_if7functorIS9_EEEE10hipError_tPvRmT1_T2_T3_mT4_P12ihipStream_tbEUlT_E1_NS1_11comp_targetILNS1_3genE2ELNS1_11target_archE906ELNS1_3gpuE6ELNS1_3repE0EEENS1_30default_config_static_selectorELNS0_4arch9wavefront6targetE0EEEvSK_ ; -- Begin function _ZN7rocprim17ROCPRIM_400000_NS6detail17trampoline_kernelINS0_14default_configENS1_22reduce_config_selectorIN6thrust23THRUST_200600_302600_NS5tupleIblNS6_9null_typeES8_S8_S8_S8_S8_S8_S8_EEEEZNS1_11reduce_implILb1ES3_PS9_SC_S9_NS6_11hip_rocprim9__find_if7functorIS9_EEEE10hipError_tPvRmT1_T2_T3_mT4_P12ihipStream_tbEUlT_E1_NS1_11comp_targetILNS1_3genE2ELNS1_11target_archE906ELNS1_3gpuE6ELNS1_3repE0EEENS1_30default_config_static_selectorELNS0_4arch9wavefront6targetE0EEEvSK_
	.globl	_ZN7rocprim17ROCPRIM_400000_NS6detail17trampoline_kernelINS0_14default_configENS1_22reduce_config_selectorIN6thrust23THRUST_200600_302600_NS5tupleIblNS6_9null_typeES8_S8_S8_S8_S8_S8_S8_EEEEZNS1_11reduce_implILb1ES3_PS9_SC_S9_NS6_11hip_rocprim9__find_if7functorIS9_EEEE10hipError_tPvRmT1_T2_T3_mT4_P12ihipStream_tbEUlT_E1_NS1_11comp_targetILNS1_3genE2ELNS1_11target_archE906ELNS1_3gpuE6ELNS1_3repE0EEENS1_30default_config_static_selectorELNS0_4arch9wavefront6targetE0EEEvSK_
	.p2align	8
	.type	_ZN7rocprim17ROCPRIM_400000_NS6detail17trampoline_kernelINS0_14default_configENS1_22reduce_config_selectorIN6thrust23THRUST_200600_302600_NS5tupleIblNS6_9null_typeES8_S8_S8_S8_S8_S8_S8_EEEEZNS1_11reduce_implILb1ES3_PS9_SC_S9_NS6_11hip_rocprim9__find_if7functorIS9_EEEE10hipError_tPvRmT1_T2_T3_mT4_P12ihipStream_tbEUlT_E1_NS1_11comp_targetILNS1_3genE2ELNS1_11target_archE906ELNS1_3gpuE6ELNS1_3repE0EEENS1_30default_config_static_selectorELNS0_4arch9wavefront6targetE0EEEvSK_,@function
_ZN7rocprim17ROCPRIM_400000_NS6detail17trampoline_kernelINS0_14default_configENS1_22reduce_config_selectorIN6thrust23THRUST_200600_302600_NS5tupleIblNS6_9null_typeES8_S8_S8_S8_S8_S8_S8_EEEEZNS1_11reduce_implILb1ES3_PS9_SC_S9_NS6_11hip_rocprim9__find_if7functorIS9_EEEE10hipError_tPvRmT1_T2_T3_mT4_P12ihipStream_tbEUlT_E1_NS1_11comp_targetILNS1_3genE2ELNS1_11target_archE906ELNS1_3gpuE6ELNS1_3repE0EEENS1_30default_config_static_selectorELNS0_4arch9wavefront6targetE0EEEvSK_: ; @_ZN7rocprim17ROCPRIM_400000_NS6detail17trampoline_kernelINS0_14default_configENS1_22reduce_config_selectorIN6thrust23THRUST_200600_302600_NS5tupleIblNS6_9null_typeES8_S8_S8_S8_S8_S8_S8_EEEEZNS1_11reduce_implILb1ES3_PS9_SC_S9_NS6_11hip_rocprim9__find_if7functorIS9_EEEE10hipError_tPvRmT1_T2_T3_mT4_P12ihipStream_tbEUlT_E1_NS1_11comp_targetILNS1_3genE2ELNS1_11target_archE906ELNS1_3gpuE6ELNS1_3repE0EEENS1_30default_config_static_selectorELNS0_4arch9wavefront6targetE0EEEvSK_
; %bb.0:
	.section	.rodata,"a",@progbits
	.p2align	6, 0x0
	.amdhsa_kernel _ZN7rocprim17ROCPRIM_400000_NS6detail17trampoline_kernelINS0_14default_configENS1_22reduce_config_selectorIN6thrust23THRUST_200600_302600_NS5tupleIblNS6_9null_typeES8_S8_S8_S8_S8_S8_S8_EEEEZNS1_11reduce_implILb1ES3_PS9_SC_S9_NS6_11hip_rocprim9__find_if7functorIS9_EEEE10hipError_tPvRmT1_T2_T3_mT4_P12ihipStream_tbEUlT_E1_NS1_11comp_targetILNS1_3genE2ELNS1_11target_archE906ELNS1_3gpuE6ELNS1_3repE0EEENS1_30default_config_static_selectorELNS0_4arch9wavefront6targetE0EEEvSK_
		.amdhsa_group_segment_fixed_size 0
		.amdhsa_private_segment_fixed_size 0
		.amdhsa_kernarg_size 56
		.amdhsa_user_sgpr_count 6
		.amdhsa_user_sgpr_private_segment_buffer 1
		.amdhsa_user_sgpr_dispatch_ptr 0
		.amdhsa_user_sgpr_queue_ptr 0
		.amdhsa_user_sgpr_kernarg_segment_ptr 1
		.amdhsa_user_sgpr_dispatch_id 0
		.amdhsa_user_sgpr_flat_scratch_init 0
		.amdhsa_user_sgpr_private_segment_size 0
		.amdhsa_wavefront_size32 1
		.amdhsa_uses_dynamic_stack 0
		.amdhsa_system_sgpr_private_segment_wavefront_offset 0
		.amdhsa_system_sgpr_workgroup_id_x 1
		.amdhsa_system_sgpr_workgroup_id_y 0
		.amdhsa_system_sgpr_workgroup_id_z 0
		.amdhsa_system_sgpr_workgroup_info 0
		.amdhsa_system_vgpr_workitem_id 0
		.amdhsa_next_free_vgpr 1
		.amdhsa_next_free_sgpr 1
		.amdhsa_reserve_vcc 0
		.amdhsa_reserve_flat_scratch 0
		.amdhsa_float_round_mode_32 0
		.amdhsa_float_round_mode_16_64 0
		.amdhsa_float_denorm_mode_32 3
		.amdhsa_float_denorm_mode_16_64 3
		.amdhsa_dx10_clamp 1
		.amdhsa_ieee_mode 1
		.amdhsa_fp16_overflow 0
		.amdhsa_workgroup_processor_mode 1
		.amdhsa_memory_ordered 1
		.amdhsa_forward_progress 1
		.amdhsa_shared_vgpr_count 0
		.amdhsa_exception_fp_ieee_invalid_op 0
		.amdhsa_exception_fp_denorm_src 0
		.amdhsa_exception_fp_ieee_div_zero 0
		.amdhsa_exception_fp_ieee_overflow 0
		.amdhsa_exception_fp_ieee_underflow 0
		.amdhsa_exception_fp_ieee_inexact 0
		.amdhsa_exception_int_div_zero 0
	.end_amdhsa_kernel
	.section	.text._ZN7rocprim17ROCPRIM_400000_NS6detail17trampoline_kernelINS0_14default_configENS1_22reduce_config_selectorIN6thrust23THRUST_200600_302600_NS5tupleIblNS6_9null_typeES8_S8_S8_S8_S8_S8_S8_EEEEZNS1_11reduce_implILb1ES3_PS9_SC_S9_NS6_11hip_rocprim9__find_if7functorIS9_EEEE10hipError_tPvRmT1_T2_T3_mT4_P12ihipStream_tbEUlT_E1_NS1_11comp_targetILNS1_3genE2ELNS1_11target_archE906ELNS1_3gpuE6ELNS1_3repE0EEENS1_30default_config_static_selectorELNS0_4arch9wavefront6targetE0EEEvSK_,"axG",@progbits,_ZN7rocprim17ROCPRIM_400000_NS6detail17trampoline_kernelINS0_14default_configENS1_22reduce_config_selectorIN6thrust23THRUST_200600_302600_NS5tupleIblNS6_9null_typeES8_S8_S8_S8_S8_S8_S8_EEEEZNS1_11reduce_implILb1ES3_PS9_SC_S9_NS6_11hip_rocprim9__find_if7functorIS9_EEEE10hipError_tPvRmT1_T2_T3_mT4_P12ihipStream_tbEUlT_E1_NS1_11comp_targetILNS1_3genE2ELNS1_11target_archE906ELNS1_3gpuE6ELNS1_3repE0EEENS1_30default_config_static_selectorELNS0_4arch9wavefront6targetE0EEEvSK_,comdat
.Lfunc_end102:
	.size	_ZN7rocprim17ROCPRIM_400000_NS6detail17trampoline_kernelINS0_14default_configENS1_22reduce_config_selectorIN6thrust23THRUST_200600_302600_NS5tupleIblNS6_9null_typeES8_S8_S8_S8_S8_S8_S8_EEEEZNS1_11reduce_implILb1ES3_PS9_SC_S9_NS6_11hip_rocprim9__find_if7functorIS9_EEEE10hipError_tPvRmT1_T2_T3_mT4_P12ihipStream_tbEUlT_E1_NS1_11comp_targetILNS1_3genE2ELNS1_11target_archE906ELNS1_3gpuE6ELNS1_3repE0EEENS1_30default_config_static_selectorELNS0_4arch9wavefront6targetE0EEEvSK_, .Lfunc_end102-_ZN7rocprim17ROCPRIM_400000_NS6detail17trampoline_kernelINS0_14default_configENS1_22reduce_config_selectorIN6thrust23THRUST_200600_302600_NS5tupleIblNS6_9null_typeES8_S8_S8_S8_S8_S8_S8_EEEEZNS1_11reduce_implILb1ES3_PS9_SC_S9_NS6_11hip_rocprim9__find_if7functorIS9_EEEE10hipError_tPvRmT1_T2_T3_mT4_P12ihipStream_tbEUlT_E1_NS1_11comp_targetILNS1_3genE2ELNS1_11target_archE906ELNS1_3gpuE6ELNS1_3repE0EEENS1_30default_config_static_selectorELNS0_4arch9wavefront6targetE0EEEvSK_
                                        ; -- End function
	.set _ZN7rocprim17ROCPRIM_400000_NS6detail17trampoline_kernelINS0_14default_configENS1_22reduce_config_selectorIN6thrust23THRUST_200600_302600_NS5tupleIblNS6_9null_typeES8_S8_S8_S8_S8_S8_S8_EEEEZNS1_11reduce_implILb1ES3_PS9_SC_S9_NS6_11hip_rocprim9__find_if7functorIS9_EEEE10hipError_tPvRmT1_T2_T3_mT4_P12ihipStream_tbEUlT_E1_NS1_11comp_targetILNS1_3genE2ELNS1_11target_archE906ELNS1_3gpuE6ELNS1_3repE0EEENS1_30default_config_static_selectorELNS0_4arch9wavefront6targetE0EEEvSK_.num_vgpr, 0
	.set _ZN7rocprim17ROCPRIM_400000_NS6detail17trampoline_kernelINS0_14default_configENS1_22reduce_config_selectorIN6thrust23THRUST_200600_302600_NS5tupleIblNS6_9null_typeES8_S8_S8_S8_S8_S8_S8_EEEEZNS1_11reduce_implILb1ES3_PS9_SC_S9_NS6_11hip_rocprim9__find_if7functorIS9_EEEE10hipError_tPvRmT1_T2_T3_mT4_P12ihipStream_tbEUlT_E1_NS1_11comp_targetILNS1_3genE2ELNS1_11target_archE906ELNS1_3gpuE6ELNS1_3repE0EEENS1_30default_config_static_selectorELNS0_4arch9wavefront6targetE0EEEvSK_.num_agpr, 0
	.set _ZN7rocprim17ROCPRIM_400000_NS6detail17trampoline_kernelINS0_14default_configENS1_22reduce_config_selectorIN6thrust23THRUST_200600_302600_NS5tupleIblNS6_9null_typeES8_S8_S8_S8_S8_S8_S8_EEEEZNS1_11reduce_implILb1ES3_PS9_SC_S9_NS6_11hip_rocprim9__find_if7functorIS9_EEEE10hipError_tPvRmT1_T2_T3_mT4_P12ihipStream_tbEUlT_E1_NS1_11comp_targetILNS1_3genE2ELNS1_11target_archE906ELNS1_3gpuE6ELNS1_3repE0EEENS1_30default_config_static_selectorELNS0_4arch9wavefront6targetE0EEEvSK_.numbered_sgpr, 0
	.set _ZN7rocprim17ROCPRIM_400000_NS6detail17trampoline_kernelINS0_14default_configENS1_22reduce_config_selectorIN6thrust23THRUST_200600_302600_NS5tupleIblNS6_9null_typeES8_S8_S8_S8_S8_S8_S8_EEEEZNS1_11reduce_implILb1ES3_PS9_SC_S9_NS6_11hip_rocprim9__find_if7functorIS9_EEEE10hipError_tPvRmT1_T2_T3_mT4_P12ihipStream_tbEUlT_E1_NS1_11comp_targetILNS1_3genE2ELNS1_11target_archE906ELNS1_3gpuE6ELNS1_3repE0EEENS1_30default_config_static_selectorELNS0_4arch9wavefront6targetE0EEEvSK_.num_named_barrier, 0
	.set _ZN7rocprim17ROCPRIM_400000_NS6detail17trampoline_kernelINS0_14default_configENS1_22reduce_config_selectorIN6thrust23THRUST_200600_302600_NS5tupleIblNS6_9null_typeES8_S8_S8_S8_S8_S8_S8_EEEEZNS1_11reduce_implILb1ES3_PS9_SC_S9_NS6_11hip_rocprim9__find_if7functorIS9_EEEE10hipError_tPvRmT1_T2_T3_mT4_P12ihipStream_tbEUlT_E1_NS1_11comp_targetILNS1_3genE2ELNS1_11target_archE906ELNS1_3gpuE6ELNS1_3repE0EEENS1_30default_config_static_selectorELNS0_4arch9wavefront6targetE0EEEvSK_.private_seg_size, 0
	.set _ZN7rocprim17ROCPRIM_400000_NS6detail17trampoline_kernelINS0_14default_configENS1_22reduce_config_selectorIN6thrust23THRUST_200600_302600_NS5tupleIblNS6_9null_typeES8_S8_S8_S8_S8_S8_S8_EEEEZNS1_11reduce_implILb1ES3_PS9_SC_S9_NS6_11hip_rocprim9__find_if7functorIS9_EEEE10hipError_tPvRmT1_T2_T3_mT4_P12ihipStream_tbEUlT_E1_NS1_11comp_targetILNS1_3genE2ELNS1_11target_archE906ELNS1_3gpuE6ELNS1_3repE0EEENS1_30default_config_static_selectorELNS0_4arch9wavefront6targetE0EEEvSK_.uses_vcc, 0
	.set _ZN7rocprim17ROCPRIM_400000_NS6detail17trampoline_kernelINS0_14default_configENS1_22reduce_config_selectorIN6thrust23THRUST_200600_302600_NS5tupleIblNS6_9null_typeES8_S8_S8_S8_S8_S8_S8_EEEEZNS1_11reduce_implILb1ES3_PS9_SC_S9_NS6_11hip_rocprim9__find_if7functorIS9_EEEE10hipError_tPvRmT1_T2_T3_mT4_P12ihipStream_tbEUlT_E1_NS1_11comp_targetILNS1_3genE2ELNS1_11target_archE906ELNS1_3gpuE6ELNS1_3repE0EEENS1_30default_config_static_selectorELNS0_4arch9wavefront6targetE0EEEvSK_.uses_flat_scratch, 0
	.set _ZN7rocprim17ROCPRIM_400000_NS6detail17trampoline_kernelINS0_14default_configENS1_22reduce_config_selectorIN6thrust23THRUST_200600_302600_NS5tupleIblNS6_9null_typeES8_S8_S8_S8_S8_S8_S8_EEEEZNS1_11reduce_implILb1ES3_PS9_SC_S9_NS6_11hip_rocprim9__find_if7functorIS9_EEEE10hipError_tPvRmT1_T2_T3_mT4_P12ihipStream_tbEUlT_E1_NS1_11comp_targetILNS1_3genE2ELNS1_11target_archE906ELNS1_3gpuE6ELNS1_3repE0EEENS1_30default_config_static_selectorELNS0_4arch9wavefront6targetE0EEEvSK_.has_dyn_sized_stack, 0
	.set _ZN7rocprim17ROCPRIM_400000_NS6detail17trampoline_kernelINS0_14default_configENS1_22reduce_config_selectorIN6thrust23THRUST_200600_302600_NS5tupleIblNS6_9null_typeES8_S8_S8_S8_S8_S8_S8_EEEEZNS1_11reduce_implILb1ES3_PS9_SC_S9_NS6_11hip_rocprim9__find_if7functorIS9_EEEE10hipError_tPvRmT1_T2_T3_mT4_P12ihipStream_tbEUlT_E1_NS1_11comp_targetILNS1_3genE2ELNS1_11target_archE906ELNS1_3gpuE6ELNS1_3repE0EEENS1_30default_config_static_selectorELNS0_4arch9wavefront6targetE0EEEvSK_.has_recursion, 0
	.set _ZN7rocprim17ROCPRIM_400000_NS6detail17trampoline_kernelINS0_14default_configENS1_22reduce_config_selectorIN6thrust23THRUST_200600_302600_NS5tupleIblNS6_9null_typeES8_S8_S8_S8_S8_S8_S8_EEEEZNS1_11reduce_implILb1ES3_PS9_SC_S9_NS6_11hip_rocprim9__find_if7functorIS9_EEEE10hipError_tPvRmT1_T2_T3_mT4_P12ihipStream_tbEUlT_E1_NS1_11comp_targetILNS1_3genE2ELNS1_11target_archE906ELNS1_3gpuE6ELNS1_3repE0EEENS1_30default_config_static_selectorELNS0_4arch9wavefront6targetE0EEEvSK_.has_indirect_call, 0
	.section	.AMDGPU.csdata,"",@progbits
; Kernel info:
; codeLenInByte = 0
; TotalNumSgprs: 0
; NumVgprs: 0
; ScratchSize: 0
; MemoryBound: 0
; FloatMode: 240
; IeeeMode: 1
; LDSByteSize: 0 bytes/workgroup (compile time only)
; SGPRBlocks: 0
; VGPRBlocks: 0
; NumSGPRsForWavesPerEU: 1
; NumVGPRsForWavesPerEU: 1
; Occupancy: 16
; WaveLimiterHint : 0
; COMPUTE_PGM_RSRC2:SCRATCH_EN: 0
; COMPUTE_PGM_RSRC2:USER_SGPR: 6
; COMPUTE_PGM_RSRC2:TRAP_HANDLER: 0
; COMPUTE_PGM_RSRC2:TGID_X_EN: 1
; COMPUTE_PGM_RSRC2:TGID_Y_EN: 0
; COMPUTE_PGM_RSRC2:TGID_Z_EN: 0
; COMPUTE_PGM_RSRC2:TIDIG_COMP_CNT: 0
	.section	.text._ZN7rocprim17ROCPRIM_400000_NS6detail17trampoline_kernelINS0_14default_configENS1_22reduce_config_selectorIN6thrust23THRUST_200600_302600_NS5tupleIblNS6_9null_typeES8_S8_S8_S8_S8_S8_S8_EEEEZNS1_11reduce_implILb1ES3_PS9_SC_S9_NS6_11hip_rocprim9__find_if7functorIS9_EEEE10hipError_tPvRmT1_T2_T3_mT4_P12ihipStream_tbEUlT_E1_NS1_11comp_targetILNS1_3genE10ELNS1_11target_archE1201ELNS1_3gpuE5ELNS1_3repE0EEENS1_30default_config_static_selectorELNS0_4arch9wavefront6targetE0EEEvSK_,"axG",@progbits,_ZN7rocprim17ROCPRIM_400000_NS6detail17trampoline_kernelINS0_14default_configENS1_22reduce_config_selectorIN6thrust23THRUST_200600_302600_NS5tupleIblNS6_9null_typeES8_S8_S8_S8_S8_S8_S8_EEEEZNS1_11reduce_implILb1ES3_PS9_SC_S9_NS6_11hip_rocprim9__find_if7functorIS9_EEEE10hipError_tPvRmT1_T2_T3_mT4_P12ihipStream_tbEUlT_E1_NS1_11comp_targetILNS1_3genE10ELNS1_11target_archE1201ELNS1_3gpuE5ELNS1_3repE0EEENS1_30default_config_static_selectorELNS0_4arch9wavefront6targetE0EEEvSK_,comdat
	.protected	_ZN7rocprim17ROCPRIM_400000_NS6detail17trampoline_kernelINS0_14default_configENS1_22reduce_config_selectorIN6thrust23THRUST_200600_302600_NS5tupleIblNS6_9null_typeES8_S8_S8_S8_S8_S8_S8_EEEEZNS1_11reduce_implILb1ES3_PS9_SC_S9_NS6_11hip_rocprim9__find_if7functorIS9_EEEE10hipError_tPvRmT1_T2_T3_mT4_P12ihipStream_tbEUlT_E1_NS1_11comp_targetILNS1_3genE10ELNS1_11target_archE1201ELNS1_3gpuE5ELNS1_3repE0EEENS1_30default_config_static_selectorELNS0_4arch9wavefront6targetE0EEEvSK_ ; -- Begin function _ZN7rocprim17ROCPRIM_400000_NS6detail17trampoline_kernelINS0_14default_configENS1_22reduce_config_selectorIN6thrust23THRUST_200600_302600_NS5tupleIblNS6_9null_typeES8_S8_S8_S8_S8_S8_S8_EEEEZNS1_11reduce_implILb1ES3_PS9_SC_S9_NS6_11hip_rocprim9__find_if7functorIS9_EEEE10hipError_tPvRmT1_T2_T3_mT4_P12ihipStream_tbEUlT_E1_NS1_11comp_targetILNS1_3genE10ELNS1_11target_archE1201ELNS1_3gpuE5ELNS1_3repE0EEENS1_30default_config_static_selectorELNS0_4arch9wavefront6targetE0EEEvSK_
	.globl	_ZN7rocprim17ROCPRIM_400000_NS6detail17trampoline_kernelINS0_14default_configENS1_22reduce_config_selectorIN6thrust23THRUST_200600_302600_NS5tupleIblNS6_9null_typeES8_S8_S8_S8_S8_S8_S8_EEEEZNS1_11reduce_implILb1ES3_PS9_SC_S9_NS6_11hip_rocprim9__find_if7functorIS9_EEEE10hipError_tPvRmT1_T2_T3_mT4_P12ihipStream_tbEUlT_E1_NS1_11comp_targetILNS1_3genE10ELNS1_11target_archE1201ELNS1_3gpuE5ELNS1_3repE0EEENS1_30default_config_static_selectorELNS0_4arch9wavefront6targetE0EEEvSK_
	.p2align	8
	.type	_ZN7rocprim17ROCPRIM_400000_NS6detail17trampoline_kernelINS0_14default_configENS1_22reduce_config_selectorIN6thrust23THRUST_200600_302600_NS5tupleIblNS6_9null_typeES8_S8_S8_S8_S8_S8_S8_EEEEZNS1_11reduce_implILb1ES3_PS9_SC_S9_NS6_11hip_rocprim9__find_if7functorIS9_EEEE10hipError_tPvRmT1_T2_T3_mT4_P12ihipStream_tbEUlT_E1_NS1_11comp_targetILNS1_3genE10ELNS1_11target_archE1201ELNS1_3gpuE5ELNS1_3repE0EEENS1_30default_config_static_selectorELNS0_4arch9wavefront6targetE0EEEvSK_,@function
_ZN7rocprim17ROCPRIM_400000_NS6detail17trampoline_kernelINS0_14default_configENS1_22reduce_config_selectorIN6thrust23THRUST_200600_302600_NS5tupleIblNS6_9null_typeES8_S8_S8_S8_S8_S8_S8_EEEEZNS1_11reduce_implILb1ES3_PS9_SC_S9_NS6_11hip_rocprim9__find_if7functorIS9_EEEE10hipError_tPvRmT1_T2_T3_mT4_P12ihipStream_tbEUlT_E1_NS1_11comp_targetILNS1_3genE10ELNS1_11target_archE1201ELNS1_3gpuE5ELNS1_3repE0EEENS1_30default_config_static_selectorELNS0_4arch9wavefront6targetE0EEEvSK_: ; @_ZN7rocprim17ROCPRIM_400000_NS6detail17trampoline_kernelINS0_14default_configENS1_22reduce_config_selectorIN6thrust23THRUST_200600_302600_NS5tupleIblNS6_9null_typeES8_S8_S8_S8_S8_S8_S8_EEEEZNS1_11reduce_implILb1ES3_PS9_SC_S9_NS6_11hip_rocprim9__find_if7functorIS9_EEEE10hipError_tPvRmT1_T2_T3_mT4_P12ihipStream_tbEUlT_E1_NS1_11comp_targetILNS1_3genE10ELNS1_11target_archE1201ELNS1_3gpuE5ELNS1_3repE0EEENS1_30default_config_static_selectorELNS0_4arch9wavefront6targetE0EEEvSK_
; %bb.0:
	.section	.rodata,"a",@progbits
	.p2align	6, 0x0
	.amdhsa_kernel _ZN7rocprim17ROCPRIM_400000_NS6detail17trampoline_kernelINS0_14default_configENS1_22reduce_config_selectorIN6thrust23THRUST_200600_302600_NS5tupleIblNS6_9null_typeES8_S8_S8_S8_S8_S8_S8_EEEEZNS1_11reduce_implILb1ES3_PS9_SC_S9_NS6_11hip_rocprim9__find_if7functorIS9_EEEE10hipError_tPvRmT1_T2_T3_mT4_P12ihipStream_tbEUlT_E1_NS1_11comp_targetILNS1_3genE10ELNS1_11target_archE1201ELNS1_3gpuE5ELNS1_3repE0EEENS1_30default_config_static_selectorELNS0_4arch9wavefront6targetE0EEEvSK_
		.amdhsa_group_segment_fixed_size 0
		.amdhsa_private_segment_fixed_size 0
		.amdhsa_kernarg_size 56
		.amdhsa_user_sgpr_count 6
		.amdhsa_user_sgpr_private_segment_buffer 1
		.amdhsa_user_sgpr_dispatch_ptr 0
		.amdhsa_user_sgpr_queue_ptr 0
		.amdhsa_user_sgpr_kernarg_segment_ptr 1
		.amdhsa_user_sgpr_dispatch_id 0
		.amdhsa_user_sgpr_flat_scratch_init 0
		.amdhsa_user_sgpr_private_segment_size 0
		.amdhsa_wavefront_size32 1
		.amdhsa_uses_dynamic_stack 0
		.amdhsa_system_sgpr_private_segment_wavefront_offset 0
		.amdhsa_system_sgpr_workgroup_id_x 1
		.amdhsa_system_sgpr_workgroup_id_y 0
		.amdhsa_system_sgpr_workgroup_id_z 0
		.amdhsa_system_sgpr_workgroup_info 0
		.amdhsa_system_vgpr_workitem_id 0
		.amdhsa_next_free_vgpr 1
		.amdhsa_next_free_sgpr 1
		.amdhsa_reserve_vcc 0
		.amdhsa_reserve_flat_scratch 0
		.amdhsa_float_round_mode_32 0
		.amdhsa_float_round_mode_16_64 0
		.amdhsa_float_denorm_mode_32 3
		.amdhsa_float_denorm_mode_16_64 3
		.amdhsa_dx10_clamp 1
		.amdhsa_ieee_mode 1
		.amdhsa_fp16_overflow 0
		.amdhsa_workgroup_processor_mode 1
		.amdhsa_memory_ordered 1
		.amdhsa_forward_progress 1
		.amdhsa_shared_vgpr_count 0
		.amdhsa_exception_fp_ieee_invalid_op 0
		.amdhsa_exception_fp_denorm_src 0
		.amdhsa_exception_fp_ieee_div_zero 0
		.amdhsa_exception_fp_ieee_overflow 0
		.amdhsa_exception_fp_ieee_underflow 0
		.amdhsa_exception_fp_ieee_inexact 0
		.amdhsa_exception_int_div_zero 0
	.end_amdhsa_kernel
	.section	.text._ZN7rocprim17ROCPRIM_400000_NS6detail17trampoline_kernelINS0_14default_configENS1_22reduce_config_selectorIN6thrust23THRUST_200600_302600_NS5tupleIblNS6_9null_typeES8_S8_S8_S8_S8_S8_S8_EEEEZNS1_11reduce_implILb1ES3_PS9_SC_S9_NS6_11hip_rocprim9__find_if7functorIS9_EEEE10hipError_tPvRmT1_T2_T3_mT4_P12ihipStream_tbEUlT_E1_NS1_11comp_targetILNS1_3genE10ELNS1_11target_archE1201ELNS1_3gpuE5ELNS1_3repE0EEENS1_30default_config_static_selectorELNS0_4arch9wavefront6targetE0EEEvSK_,"axG",@progbits,_ZN7rocprim17ROCPRIM_400000_NS6detail17trampoline_kernelINS0_14default_configENS1_22reduce_config_selectorIN6thrust23THRUST_200600_302600_NS5tupleIblNS6_9null_typeES8_S8_S8_S8_S8_S8_S8_EEEEZNS1_11reduce_implILb1ES3_PS9_SC_S9_NS6_11hip_rocprim9__find_if7functorIS9_EEEE10hipError_tPvRmT1_T2_T3_mT4_P12ihipStream_tbEUlT_E1_NS1_11comp_targetILNS1_3genE10ELNS1_11target_archE1201ELNS1_3gpuE5ELNS1_3repE0EEENS1_30default_config_static_selectorELNS0_4arch9wavefront6targetE0EEEvSK_,comdat
.Lfunc_end103:
	.size	_ZN7rocprim17ROCPRIM_400000_NS6detail17trampoline_kernelINS0_14default_configENS1_22reduce_config_selectorIN6thrust23THRUST_200600_302600_NS5tupleIblNS6_9null_typeES8_S8_S8_S8_S8_S8_S8_EEEEZNS1_11reduce_implILb1ES3_PS9_SC_S9_NS6_11hip_rocprim9__find_if7functorIS9_EEEE10hipError_tPvRmT1_T2_T3_mT4_P12ihipStream_tbEUlT_E1_NS1_11comp_targetILNS1_3genE10ELNS1_11target_archE1201ELNS1_3gpuE5ELNS1_3repE0EEENS1_30default_config_static_selectorELNS0_4arch9wavefront6targetE0EEEvSK_, .Lfunc_end103-_ZN7rocprim17ROCPRIM_400000_NS6detail17trampoline_kernelINS0_14default_configENS1_22reduce_config_selectorIN6thrust23THRUST_200600_302600_NS5tupleIblNS6_9null_typeES8_S8_S8_S8_S8_S8_S8_EEEEZNS1_11reduce_implILb1ES3_PS9_SC_S9_NS6_11hip_rocprim9__find_if7functorIS9_EEEE10hipError_tPvRmT1_T2_T3_mT4_P12ihipStream_tbEUlT_E1_NS1_11comp_targetILNS1_3genE10ELNS1_11target_archE1201ELNS1_3gpuE5ELNS1_3repE0EEENS1_30default_config_static_selectorELNS0_4arch9wavefront6targetE0EEEvSK_
                                        ; -- End function
	.set _ZN7rocprim17ROCPRIM_400000_NS6detail17trampoline_kernelINS0_14default_configENS1_22reduce_config_selectorIN6thrust23THRUST_200600_302600_NS5tupleIblNS6_9null_typeES8_S8_S8_S8_S8_S8_S8_EEEEZNS1_11reduce_implILb1ES3_PS9_SC_S9_NS6_11hip_rocprim9__find_if7functorIS9_EEEE10hipError_tPvRmT1_T2_T3_mT4_P12ihipStream_tbEUlT_E1_NS1_11comp_targetILNS1_3genE10ELNS1_11target_archE1201ELNS1_3gpuE5ELNS1_3repE0EEENS1_30default_config_static_selectorELNS0_4arch9wavefront6targetE0EEEvSK_.num_vgpr, 0
	.set _ZN7rocprim17ROCPRIM_400000_NS6detail17trampoline_kernelINS0_14default_configENS1_22reduce_config_selectorIN6thrust23THRUST_200600_302600_NS5tupleIblNS6_9null_typeES8_S8_S8_S8_S8_S8_S8_EEEEZNS1_11reduce_implILb1ES3_PS9_SC_S9_NS6_11hip_rocprim9__find_if7functorIS9_EEEE10hipError_tPvRmT1_T2_T3_mT4_P12ihipStream_tbEUlT_E1_NS1_11comp_targetILNS1_3genE10ELNS1_11target_archE1201ELNS1_3gpuE5ELNS1_3repE0EEENS1_30default_config_static_selectorELNS0_4arch9wavefront6targetE0EEEvSK_.num_agpr, 0
	.set _ZN7rocprim17ROCPRIM_400000_NS6detail17trampoline_kernelINS0_14default_configENS1_22reduce_config_selectorIN6thrust23THRUST_200600_302600_NS5tupleIblNS6_9null_typeES8_S8_S8_S8_S8_S8_S8_EEEEZNS1_11reduce_implILb1ES3_PS9_SC_S9_NS6_11hip_rocprim9__find_if7functorIS9_EEEE10hipError_tPvRmT1_T2_T3_mT4_P12ihipStream_tbEUlT_E1_NS1_11comp_targetILNS1_3genE10ELNS1_11target_archE1201ELNS1_3gpuE5ELNS1_3repE0EEENS1_30default_config_static_selectorELNS0_4arch9wavefront6targetE0EEEvSK_.numbered_sgpr, 0
	.set _ZN7rocprim17ROCPRIM_400000_NS6detail17trampoline_kernelINS0_14default_configENS1_22reduce_config_selectorIN6thrust23THRUST_200600_302600_NS5tupleIblNS6_9null_typeES8_S8_S8_S8_S8_S8_S8_EEEEZNS1_11reduce_implILb1ES3_PS9_SC_S9_NS6_11hip_rocprim9__find_if7functorIS9_EEEE10hipError_tPvRmT1_T2_T3_mT4_P12ihipStream_tbEUlT_E1_NS1_11comp_targetILNS1_3genE10ELNS1_11target_archE1201ELNS1_3gpuE5ELNS1_3repE0EEENS1_30default_config_static_selectorELNS0_4arch9wavefront6targetE0EEEvSK_.num_named_barrier, 0
	.set _ZN7rocprim17ROCPRIM_400000_NS6detail17trampoline_kernelINS0_14default_configENS1_22reduce_config_selectorIN6thrust23THRUST_200600_302600_NS5tupleIblNS6_9null_typeES8_S8_S8_S8_S8_S8_S8_EEEEZNS1_11reduce_implILb1ES3_PS9_SC_S9_NS6_11hip_rocprim9__find_if7functorIS9_EEEE10hipError_tPvRmT1_T2_T3_mT4_P12ihipStream_tbEUlT_E1_NS1_11comp_targetILNS1_3genE10ELNS1_11target_archE1201ELNS1_3gpuE5ELNS1_3repE0EEENS1_30default_config_static_selectorELNS0_4arch9wavefront6targetE0EEEvSK_.private_seg_size, 0
	.set _ZN7rocprim17ROCPRIM_400000_NS6detail17trampoline_kernelINS0_14default_configENS1_22reduce_config_selectorIN6thrust23THRUST_200600_302600_NS5tupleIblNS6_9null_typeES8_S8_S8_S8_S8_S8_S8_EEEEZNS1_11reduce_implILb1ES3_PS9_SC_S9_NS6_11hip_rocprim9__find_if7functorIS9_EEEE10hipError_tPvRmT1_T2_T3_mT4_P12ihipStream_tbEUlT_E1_NS1_11comp_targetILNS1_3genE10ELNS1_11target_archE1201ELNS1_3gpuE5ELNS1_3repE0EEENS1_30default_config_static_selectorELNS0_4arch9wavefront6targetE0EEEvSK_.uses_vcc, 0
	.set _ZN7rocprim17ROCPRIM_400000_NS6detail17trampoline_kernelINS0_14default_configENS1_22reduce_config_selectorIN6thrust23THRUST_200600_302600_NS5tupleIblNS6_9null_typeES8_S8_S8_S8_S8_S8_S8_EEEEZNS1_11reduce_implILb1ES3_PS9_SC_S9_NS6_11hip_rocprim9__find_if7functorIS9_EEEE10hipError_tPvRmT1_T2_T3_mT4_P12ihipStream_tbEUlT_E1_NS1_11comp_targetILNS1_3genE10ELNS1_11target_archE1201ELNS1_3gpuE5ELNS1_3repE0EEENS1_30default_config_static_selectorELNS0_4arch9wavefront6targetE0EEEvSK_.uses_flat_scratch, 0
	.set _ZN7rocprim17ROCPRIM_400000_NS6detail17trampoline_kernelINS0_14default_configENS1_22reduce_config_selectorIN6thrust23THRUST_200600_302600_NS5tupleIblNS6_9null_typeES8_S8_S8_S8_S8_S8_S8_EEEEZNS1_11reduce_implILb1ES3_PS9_SC_S9_NS6_11hip_rocprim9__find_if7functorIS9_EEEE10hipError_tPvRmT1_T2_T3_mT4_P12ihipStream_tbEUlT_E1_NS1_11comp_targetILNS1_3genE10ELNS1_11target_archE1201ELNS1_3gpuE5ELNS1_3repE0EEENS1_30default_config_static_selectorELNS0_4arch9wavefront6targetE0EEEvSK_.has_dyn_sized_stack, 0
	.set _ZN7rocprim17ROCPRIM_400000_NS6detail17trampoline_kernelINS0_14default_configENS1_22reduce_config_selectorIN6thrust23THRUST_200600_302600_NS5tupleIblNS6_9null_typeES8_S8_S8_S8_S8_S8_S8_EEEEZNS1_11reduce_implILb1ES3_PS9_SC_S9_NS6_11hip_rocprim9__find_if7functorIS9_EEEE10hipError_tPvRmT1_T2_T3_mT4_P12ihipStream_tbEUlT_E1_NS1_11comp_targetILNS1_3genE10ELNS1_11target_archE1201ELNS1_3gpuE5ELNS1_3repE0EEENS1_30default_config_static_selectorELNS0_4arch9wavefront6targetE0EEEvSK_.has_recursion, 0
	.set _ZN7rocprim17ROCPRIM_400000_NS6detail17trampoline_kernelINS0_14default_configENS1_22reduce_config_selectorIN6thrust23THRUST_200600_302600_NS5tupleIblNS6_9null_typeES8_S8_S8_S8_S8_S8_S8_EEEEZNS1_11reduce_implILb1ES3_PS9_SC_S9_NS6_11hip_rocprim9__find_if7functorIS9_EEEE10hipError_tPvRmT1_T2_T3_mT4_P12ihipStream_tbEUlT_E1_NS1_11comp_targetILNS1_3genE10ELNS1_11target_archE1201ELNS1_3gpuE5ELNS1_3repE0EEENS1_30default_config_static_selectorELNS0_4arch9wavefront6targetE0EEEvSK_.has_indirect_call, 0
	.section	.AMDGPU.csdata,"",@progbits
; Kernel info:
; codeLenInByte = 0
; TotalNumSgprs: 0
; NumVgprs: 0
; ScratchSize: 0
; MemoryBound: 0
; FloatMode: 240
; IeeeMode: 1
; LDSByteSize: 0 bytes/workgroup (compile time only)
; SGPRBlocks: 0
; VGPRBlocks: 0
; NumSGPRsForWavesPerEU: 1
; NumVGPRsForWavesPerEU: 1
; Occupancy: 16
; WaveLimiterHint : 0
; COMPUTE_PGM_RSRC2:SCRATCH_EN: 0
; COMPUTE_PGM_RSRC2:USER_SGPR: 6
; COMPUTE_PGM_RSRC2:TRAP_HANDLER: 0
; COMPUTE_PGM_RSRC2:TGID_X_EN: 1
; COMPUTE_PGM_RSRC2:TGID_Y_EN: 0
; COMPUTE_PGM_RSRC2:TGID_Z_EN: 0
; COMPUTE_PGM_RSRC2:TIDIG_COMP_CNT: 0
	.section	.text._ZN7rocprim17ROCPRIM_400000_NS6detail17trampoline_kernelINS0_14default_configENS1_22reduce_config_selectorIN6thrust23THRUST_200600_302600_NS5tupleIblNS6_9null_typeES8_S8_S8_S8_S8_S8_S8_EEEEZNS1_11reduce_implILb1ES3_PS9_SC_S9_NS6_11hip_rocprim9__find_if7functorIS9_EEEE10hipError_tPvRmT1_T2_T3_mT4_P12ihipStream_tbEUlT_E1_NS1_11comp_targetILNS1_3genE10ELNS1_11target_archE1200ELNS1_3gpuE4ELNS1_3repE0EEENS1_30default_config_static_selectorELNS0_4arch9wavefront6targetE0EEEvSK_,"axG",@progbits,_ZN7rocprim17ROCPRIM_400000_NS6detail17trampoline_kernelINS0_14default_configENS1_22reduce_config_selectorIN6thrust23THRUST_200600_302600_NS5tupleIblNS6_9null_typeES8_S8_S8_S8_S8_S8_S8_EEEEZNS1_11reduce_implILb1ES3_PS9_SC_S9_NS6_11hip_rocprim9__find_if7functorIS9_EEEE10hipError_tPvRmT1_T2_T3_mT4_P12ihipStream_tbEUlT_E1_NS1_11comp_targetILNS1_3genE10ELNS1_11target_archE1200ELNS1_3gpuE4ELNS1_3repE0EEENS1_30default_config_static_selectorELNS0_4arch9wavefront6targetE0EEEvSK_,comdat
	.protected	_ZN7rocprim17ROCPRIM_400000_NS6detail17trampoline_kernelINS0_14default_configENS1_22reduce_config_selectorIN6thrust23THRUST_200600_302600_NS5tupleIblNS6_9null_typeES8_S8_S8_S8_S8_S8_S8_EEEEZNS1_11reduce_implILb1ES3_PS9_SC_S9_NS6_11hip_rocprim9__find_if7functorIS9_EEEE10hipError_tPvRmT1_T2_T3_mT4_P12ihipStream_tbEUlT_E1_NS1_11comp_targetILNS1_3genE10ELNS1_11target_archE1200ELNS1_3gpuE4ELNS1_3repE0EEENS1_30default_config_static_selectorELNS0_4arch9wavefront6targetE0EEEvSK_ ; -- Begin function _ZN7rocprim17ROCPRIM_400000_NS6detail17trampoline_kernelINS0_14default_configENS1_22reduce_config_selectorIN6thrust23THRUST_200600_302600_NS5tupleIblNS6_9null_typeES8_S8_S8_S8_S8_S8_S8_EEEEZNS1_11reduce_implILb1ES3_PS9_SC_S9_NS6_11hip_rocprim9__find_if7functorIS9_EEEE10hipError_tPvRmT1_T2_T3_mT4_P12ihipStream_tbEUlT_E1_NS1_11comp_targetILNS1_3genE10ELNS1_11target_archE1200ELNS1_3gpuE4ELNS1_3repE0EEENS1_30default_config_static_selectorELNS0_4arch9wavefront6targetE0EEEvSK_
	.globl	_ZN7rocprim17ROCPRIM_400000_NS6detail17trampoline_kernelINS0_14default_configENS1_22reduce_config_selectorIN6thrust23THRUST_200600_302600_NS5tupleIblNS6_9null_typeES8_S8_S8_S8_S8_S8_S8_EEEEZNS1_11reduce_implILb1ES3_PS9_SC_S9_NS6_11hip_rocprim9__find_if7functorIS9_EEEE10hipError_tPvRmT1_T2_T3_mT4_P12ihipStream_tbEUlT_E1_NS1_11comp_targetILNS1_3genE10ELNS1_11target_archE1200ELNS1_3gpuE4ELNS1_3repE0EEENS1_30default_config_static_selectorELNS0_4arch9wavefront6targetE0EEEvSK_
	.p2align	8
	.type	_ZN7rocprim17ROCPRIM_400000_NS6detail17trampoline_kernelINS0_14default_configENS1_22reduce_config_selectorIN6thrust23THRUST_200600_302600_NS5tupleIblNS6_9null_typeES8_S8_S8_S8_S8_S8_S8_EEEEZNS1_11reduce_implILb1ES3_PS9_SC_S9_NS6_11hip_rocprim9__find_if7functorIS9_EEEE10hipError_tPvRmT1_T2_T3_mT4_P12ihipStream_tbEUlT_E1_NS1_11comp_targetILNS1_3genE10ELNS1_11target_archE1200ELNS1_3gpuE4ELNS1_3repE0EEENS1_30default_config_static_selectorELNS0_4arch9wavefront6targetE0EEEvSK_,@function
_ZN7rocprim17ROCPRIM_400000_NS6detail17trampoline_kernelINS0_14default_configENS1_22reduce_config_selectorIN6thrust23THRUST_200600_302600_NS5tupleIblNS6_9null_typeES8_S8_S8_S8_S8_S8_S8_EEEEZNS1_11reduce_implILb1ES3_PS9_SC_S9_NS6_11hip_rocprim9__find_if7functorIS9_EEEE10hipError_tPvRmT1_T2_T3_mT4_P12ihipStream_tbEUlT_E1_NS1_11comp_targetILNS1_3genE10ELNS1_11target_archE1200ELNS1_3gpuE4ELNS1_3repE0EEENS1_30default_config_static_selectorELNS0_4arch9wavefront6targetE0EEEvSK_: ; @_ZN7rocprim17ROCPRIM_400000_NS6detail17trampoline_kernelINS0_14default_configENS1_22reduce_config_selectorIN6thrust23THRUST_200600_302600_NS5tupleIblNS6_9null_typeES8_S8_S8_S8_S8_S8_S8_EEEEZNS1_11reduce_implILb1ES3_PS9_SC_S9_NS6_11hip_rocprim9__find_if7functorIS9_EEEE10hipError_tPvRmT1_T2_T3_mT4_P12ihipStream_tbEUlT_E1_NS1_11comp_targetILNS1_3genE10ELNS1_11target_archE1200ELNS1_3gpuE4ELNS1_3repE0EEENS1_30default_config_static_selectorELNS0_4arch9wavefront6targetE0EEEvSK_
; %bb.0:
	.section	.rodata,"a",@progbits
	.p2align	6, 0x0
	.amdhsa_kernel _ZN7rocprim17ROCPRIM_400000_NS6detail17trampoline_kernelINS0_14default_configENS1_22reduce_config_selectorIN6thrust23THRUST_200600_302600_NS5tupleIblNS6_9null_typeES8_S8_S8_S8_S8_S8_S8_EEEEZNS1_11reduce_implILb1ES3_PS9_SC_S9_NS6_11hip_rocprim9__find_if7functorIS9_EEEE10hipError_tPvRmT1_T2_T3_mT4_P12ihipStream_tbEUlT_E1_NS1_11comp_targetILNS1_3genE10ELNS1_11target_archE1200ELNS1_3gpuE4ELNS1_3repE0EEENS1_30default_config_static_selectorELNS0_4arch9wavefront6targetE0EEEvSK_
		.amdhsa_group_segment_fixed_size 0
		.amdhsa_private_segment_fixed_size 0
		.amdhsa_kernarg_size 56
		.amdhsa_user_sgpr_count 6
		.amdhsa_user_sgpr_private_segment_buffer 1
		.amdhsa_user_sgpr_dispatch_ptr 0
		.amdhsa_user_sgpr_queue_ptr 0
		.amdhsa_user_sgpr_kernarg_segment_ptr 1
		.amdhsa_user_sgpr_dispatch_id 0
		.amdhsa_user_sgpr_flat_scratch_init 0
		.amdhsa_user_sgpr_private_segment_size 0
		.amdhsa_wavefront_size32 1
		.amdhsa_uses_dynamic_stack 0
		.amdhsa_system_sgpr_private_segment_wavefront_offset 0
		.amdhsa_system_sgpr_workgroup_id_x 1
		.amdhsa_system_sgpr_workgroup_id_y 0
		.amdhsa_system_sgpr_workgroup_id_z 0
		.amdhsa_system_sgpr_workgroup_info 0
		.amdhsa_system_vgpr_workitem_id 0
		.amdhsa_next_free_vgpr 1
		.amdhsa_next_free_sgpr 1
		.amdhsa_reserve_vcc 0
		.amdhsa_reserve_flat_scratch 0
		.amdhsa_float_round_mode_32 0
		.amdhsa_float_round_mode_16_64 0
		.amdhsa_float_denorm_mode_32 3
		.amdhsa_float_denorm_mode_16_64 3
		.amdhsa_dx10_clamp 1
		.amdhsa_ieee_mode 1
		.amdhsa_fp16_overflow 0
		.amdhsa_workgroup_processor_mode 1
		.amdhsa_memory_ordered 1
		.amdhsa_forward_progress 1
		.amdhsa_shared_vgpr_count 0
		.amdhsa_exception_fp_ieee_invalid_op 0
		.amdhsa_exception_fp_denorm_src 0
		.amdhsa_exception_fp_ieee_div_zero 0
		.amdhsa_exception_fp_ieee_overflow 0
		.amdhsa_exception_fp_ieee_underflow 0
		.amdhsa_exception_fp_ieee_inexact 0
		.amdhsa_exception_int_div_zero 0
	.end_amdhsa_kernel
	.section	.text._ZN7rocprim17ROCPRIM_400000_NS6detail17trampoline_kernelINS0_14default_configENS1_22reduce_config_selectorIN6thrust23THRUST_200600_302600_NS5tupleIblNS6_9null_typeES8_S8_S8_S8_S8_S8_S8_EEEEZNS1_11reduce_implILb1ES3_PS9_SC_S9_NS6_11hip_rocprim9__find_if7functorIS9_EEEE10hipError_tPvRmT1_T2_T3_mT4_P12ihipStream_tbEUlT_E1_NS1_11comp_targetILNS1_3genE10ELNS1_11target_archE1200ELNS1_3gpuE4ELNS1_3repE0EEENS1_30default_config_static_selectorELNS0_4arch9wavefront6targetE0EEEvSK_,"axG",@progbits,_ZN7rocprim17ROCPRIM_400000_NS6detail17trampoline_kernelINS0_14default_configENS1_22reduce_config_selectorIN6thrust23THRUST_200600_302600_NS5tupleIblNS6_9null_typeES8_S8_S8_S8_S8_S8_S8_EEEEZNS1_11reduce_implILb1ES3_PS9_SC_S9_NS6_11hip_rocprim9__find_if7functorIS9_EEEE10hipError_tPvRmT1_T2_T3_mT4_P12ihipStream_tbEUlT_E1_NS1_11comp_targetILNS1_3genE10ELNS1_11target_archE1200ELNS1_3gpuE4ELNS1_3repE0EEENS1_30default_config_static_selectorELNS0_4arch9wavefront6targetE0EEEvSK_,comdat
.Lfunc_end104:
	.size	_ZN7rocprim17ROCPRIM_400000_NS6detail17trampoline_kernelINS0_14default_configENS1_22reduce_config_selectorIN6thrust23THRUST_200600_302600_NS5tupleIblNS6_9null_typeES8_S8_S8_S8_S8_S8_S8_EEEEZNS1_11reduce_implILb1ES3_PS9_SC_S9_NS6_11hip_rocprim9__find_if7functorIS9_EEEE10hipError_tPvRmT1_T2_T3_mT4_P12ihipStream_tbEUlT_E1_NS1_11comp_targetILNS1_3genE10ELNS1_11target_archE1200ELNS1_3gpuE4ELNS1_3repE0EEENS1_30default_config_static_selectorELNS0_4arch9wavefront6targetE0EEEvSK_, .Lfunc_end104-_ZN7rocprim17ROCPRIM_400000_NS6detail17trampoline_kernelINS0_14default_configENS1_22reduce_config_selectorIN6thrust23THRUST_200600_302600_NS5tupleIblNS6_9null_typeES8_S8_S8_S8_S8_S8_S8_EEEEZNS1_11reduce_implILb1ES3_PS9_SC_S9_NS6_11hip_rocprim9__find_if7functorIS9_EEEE10hipError_tPvRmT1_T2_T3_mT4_P12ihipStream_tbEUlT_E1_NS1_11comp_targetILNS1_3genE10ELNS1_11target_archE1200ELNS1_3gpuE4ELNS1_3repE0EEENS1_30default_config_static_selectorELNS0_4arch9wavefront6targetE0EEEvSK_
                                        ; -- End function
	.set _ZN7rocprim17ROCPRIM_400000_NS6detail17trampoline_kernelINS0_14default_configENS1_22reduce_config_selectorIN6thrust23THRUST_200600_302600_NS5tupleIblNS6_9null_typeES8_S8_S8_S8_S8_S8_S8_EEEEZNS1_11reduce_implILb1ES3_PS9_SC_S9_NS6_11hip_rocprim9__find_if7functorIS9_EEEE10hipError_tPvRmT1_T2_T3_mT4_P12ihipStream_tbEUlT_E1_NS1_11comp_targetILNS1_3genE10ELNS1_11target_archE1200ELNS1_3gpuE4ELNS1_3repE0EEENS1_30default_config_static_selectorELNS0_4arch9wavefront6targetE0EEEvSK_.num_vgpr, 0
	.set _ZN7rocprim17ROCPRIM_400000_NS6detail17trampoline_kernelINS0_14default_configENS1_22reduce_config_selectorIN6thrust23THRUST_200600_302600_NS5tupleIblNS6_9null_typeES8_S8_S8_S8_S8_S8_S8_EEEEZNS1_11reduce_implILb1ES3_PS9_SC_S9_NS6_11hip_rocprim9__find_if7functorIS9_EEEE10hipError_tPvRmT1_T2_T3_mT4_P12ihipStream_tbEUlT_E1_NS1_11comp_targetILNS1_3genE10ELNS1_11target_archE1200ELNS1_3gpuE4ELNS1_3repE0EEENS1_30default_config_static_selectorELNS0_4arch9wavefront6targetE0EEEvSK_.num_agpr, 0
	.set _ZN7rocprim17ROCPRIM_400000_NS6detail17trampoline_kernelINS0_14default_configENS1_22reduce_config_selectorIN6thrust23THRUST_200600_302600_NS5tupleIblNS6_9null_typeES8_S8_S8_S8_S8_S8_S8_EEEEZNS1_11reduce_implILb1ES3_PS9_SC_S9_NS6_11hip_rocprim9__find_if7functorIS9_EEEE10hipError_tPvRmT1_T2_T3_mT4_P12ihipStream_tbEUlT_E1_NS1_11comp_targetILNS1_3genE10ELNS1_11target_archE1200ELNS1_3gpuE4ELNS1_3repE0EEENS1_30default_config_static_selectorELNS0_4arch9wavefront6targetE0EEEvSK_.numbered_sgpr, 0
	.set _ZN7rocprim17ROCPRIM_400000_NS6detail17trampoline_kernelINS0_14default_configENS1_22reduce_config_selectorIN6thrust23THRUST_200600_302600_NS5tupleIblNS6_9null_typeES8_S8_S8_S8_S8_S8_S8_EEEEZNS1_11reduce_implILb1ES3_PS9_SC_S9_NS6_11hip_rocprim9__find_if7functorIS9_EEEE10hipError_tPvRmT1_T2_T3_mT4_P12ihipStream_tbEUlT_E1_NS1_11comp_targetILNS1_3genE10ELNS1_11target_archE1200ELNS1_3gpuE4ELNS1_3repE0EEENS1_30default_config_static_selectorELNS0_4arch9wavefront6targetE0EEEvSK_.num_named_barrier, 0
	.set _ZN7rocprim17ROCPRIM_400000_NS6detail17trampoline_kernelINS0_14default_configENS1_22reduce_config_selectorIN6thrust23THRUST_200600_302600_NS5tupleIblNS6_9null_typeES8_S8_S8_S8_S8_S8_S8_EEEEZNS1_11reduce_implILb1ES3_PS9_SC_S9_NS6_11hip_rocprim9__find_if7functorIS9_EEEE10hipError_tPvRmT1_T2_T3_mT4_P12ihipStream_tbEUlT_E1_NS1_11comp_targetILNS1_3genE10ELNS1_11target_archE1200ELNS1_3gpuE4ELNS1_3repE0EEENS1_30default_config_static_selectorELNS0_4arch9wavefront6targetE0EEEvSK_.private_seg_size, 0
	.set _ZN7rocprim17ROCPRIM_400000_NS6detail17trampoline_kernelINS0_14default_configENS1_22reduce_config_selectorIN6thrust23THRUST_200600_302600_NS5tupleIblNS6_9null_typeES8_S8_S8_S8_S8_S8_S8_EEEEZNS1_11reduce_implILb1ES3_PS9_SC_S9_NS6_11hip_rocprim9__find_if7functorIS9_EEEE10hipError_tPvRmT1_T2_T3_mT4_P12ihipStream_tbEUlT_E1_NS1_11comp_targetILNS1_3genE10ELNS1_11target_archE1200ELNS1_3gpuE4ELNS1_3repE0EEENS1_30default_config_static_selectorELNS0_4arch9wavefront6targetE0EEEvSK_.uses_vcc, 0
	.set _ZN7rocprim17ROCPRIM_400000_NS6detail17trampoline_kernelINS0_14default_configENS1_22reduce_config_selectorIN6thrust23THRUST_200600_302600_NS5tupleIblNS6_9null_typeES8_S8_S8_S8_S8_S8_S8_EEEEZNS1_11reduce_implILb1ES3_PS9_SC_S9_NS6_11hip_rocprim9__find_if7functorIS9_EEEE10hipError_tPvRmT1_T2_T3_mT4_P12ihipStream_tbEUlT_E1_NS1_11comp_targetILNS1_3genE10ELNS1_11target_archE1200ELNS1_3gpuE4ELNS1_3repE0EEENS1_30default_config_static_selectorELNS0_4arch9wavefront6targetE0EEEvSK_.uses_flat_scratch, 0
	.set _ZN7rocprim17ROCPRIM_400000_NS6detail17trampoline_kernelINS0_14default_configENS1_22reduce_config_selectorIN6thrust23THRUST_200600_302600_NS5tupleIblNS6_9null_typeES8_S8_S8_S8_S8_S8_S8_EEEEZNS1_11reduce_implILb1ES3_PS9_SC_S9_NS6_11hip_rocprim9__find_if7functorIS9_EEEE10hipError_tPvRmT1_T2_T3_mT4_P12ihipStream_tbEUlT_E1_NS1_11comp_targetILNS1_3genE10ELNS1_11target_archE1200ELNS1_3gpuE4ELNS1_3repE0EEENS1_30default_config_static_selectorELNS0_4arch9wavefront6targetE0EEEvSK_.has_dyn_sized_stack, 0
	.set _ZN7rocprim17ROCPRIM_400000_NS6detail17trampoline_kernelINS0_14default_configENS1_22reduce_config_selectorIN6thrust23THRUST_200600_302600_NS5tupleIblNS6_9null_typeES8_S8_S8_S8_S8_S8_S8_EEEEZNS1_11reduce_implILb1ES3_PS9_SC_S9_NS6_11hip_rocprim9__find_if7functorIS9_EEEE10hipError_tPvRmT1_T2_T3_mT4_P12ihipStream_tbEUlT_E1_NS1_11comp_targetILNS1_3genE10ELNS1_11target_archE1200ELNS1_3gpuE4ELNS1_3repE0EEENS1_30default_config_static_selectorELNS0_4arch9wavefront6targetE0EEEvSK_.has_recursion, 0
	.set _ZN7rocprim17ROCPRIM_400000_NS6detail17trampoline_kernelINS0_14default_configENS1_22reduce_config_selectorIN6thrust23THRUST_200600_302600_NS5tupleIblNS6_9null_typeES8_S8_S8_S8_S8_S8_S8_EEEEZNS1_11reduce_implILb1ES3_PS9_SC_S9_NS6_11hip_rocprim9__find_if7functorIS9_EEEE10hipError_tPvRmT1_T2_T3_mT4_P12ihipStream_tbEUlT_E1_NS1_11comp_targetILNS1_3genE10ELNS1_11target_archE1200ELNS1_3gpuE4ELNS1_3repE0EEENS1_30default_config_static_selectorELNS0_4arch9wavefront6targetE0EEEvSK_.has_indirect_call, 0
	.section	.AMDGPU.csdata,"",@progbits
; Kernel info:
; codeLenInByte = 0
; TotalNumSgprs: 0
; NumVgprs: 0
; ScratchSize: 0
; MemoryBound: 0
; FloatMode: 240
; IeeeMode: 1
; LDSByteSize: 0 bytes/workgroup (compile time only)
; SGPRBlocks: 0
; VGPRBlocks: 0
; NumSGPRsForWavesPerEU: 1
; NumVGPRsForWavesPerEU: 1
; Occupancy: 16
; WaveLimiterHint : 0
; COMPUTE_PGM_RSRC2:SCRATCH_EN: 0
; COMPUTE_PGM_RSRC2:USER_SGPR: 6
; COMPUTE_PGM_RSRC2:TRAP_HANDLER: 0
; COMPUTE_PGM_RSRC2:TGID_X_EN: 1
; COMPUTE_PGM_RSRC2:TGID_Y_EN: 0
; COMPUTE_PGM_RSRC2:TGID_Z_EN: 0
; COMPUTE_PGM_RSRC2:TIDIG_COMP_CNT: 0
	.section	.text._ZN7rocprim17ROCPRIM_400000_NS6detail17trampoline_kernelINS0_14default_configENS1_22reduce_config_selectorIN6thrust23THRUST_200600_302600_NS5tupleIblNS6_9null_typeES8_S8_S8_S8_S8_S8_S8_EEEEZNS1_11reduce_implILb1ES3_PS9_SC_S9_NS6_11hip_rocprim9__find_if7functorIS9_EEEE10hipError_tPvRmT1_T2_T3_mT4_P12ihipStream_tbEUlT_E1_NS1_11comp_targetILNS1_3genE9ELNS1_11target_archE1100ELNS1_3gpuE3ELNS1_3repE0EEENS1_30default_config_static_selectorELNS0_4arch9wavefront6targetE0EEEvSK_,"axG",@progbits,_ZN7rocprim17ROCPRIM_400000_NS6detail17trampoline_kernelINS0_14default_configENS1_22reduce_config_selectorIN6thrust23THRUST_200600_302600_NS5tupleIblNS6_9null_typeES8_S8_S8_S8_S8_S8_S8_EEEEZNS1_11reduce_implILb1ES3_PS9_SC_S9_NS6_11hip_rocprim9__find_if7functorIS9_EEEE10hipError_tPvRmT1_T2_T3_mT4_P12ihipStream_tbEUlT_E1_NS1_11comp_targetILNS1_3genE9ELNS1_11target_archE1100ELNS1_3gpuE3ELNS1_3repE0EEENS1_30default_config_static_selectorELNS0_4arch9wavefront6targetE0EEEvSK_,comdat
	.protected	_ZN7rocprim17ROCPRIM_400000_NS6detail17trampoline_kernelINS0_14default_configENS1_22reduce_config_selectorIN6thrust23THRUST_200600_302600_NS5tupleIblNS6_9null_typeES8_S8_S8_S8_S8_S8_S8_EEEEZNS1_11reduce_implILb1ES3_PS9_SC_S9_NS6_11hip_rocprim9__find_if7functorIS9_EEEE10hipError_tPvRmT1_T2_T3_mT4_P12ihipStream_tbEUlT_E1_NS1_11comp_targetILNS1_3genE9ELNS1_11target_archE1100ELNS1_3gpuE3ELNS1_3repE0EEENS1_30default_config_static_selectorELNS0_4arch9wavefront6targetE0EEEvSK_ ; -- Begin function _ZN7rocprim17ROCPRIM_400000_NS6detail17trampoline_kernelINS0_14default_configENS1_22reduce_config_selectorIN6thrust23THRUST_200600_302600_NS5tupleIblNS6_9null_typeES8_S8_S8_S8_S8_S8_S8_EEEEZNS1_11reduce_implILb1ES3_PS9_SC_S9_NS6_11hip_rocprim9__find_if7functorIS9_EEEE10hipError_tPvRmT1_T2_T3_mT4_P12ihipStream_tbEUlT_E1_NS1_11comp_targetILNS1_3genE9ELNS1_11target_archE1100ELNS1_3gpuE3ELNS1_3repE0EEENS1_30default_config_static_selectorELNS0_4arch9wavefront6targetE0EEEvSK_
	.globl	_ZN7rocprim17ROCPRIM_400000_NS6detail17trampoline_kernelINS0_14default_configENS1_22reduce_config_selectorIN6thrust23THRUST_200600_302600_NS5tupleIblNS6_9null_typeES8_S8_S8_S8_S8_S8_S8_EEEEZNS1_11reduce_implILb1ES3_PS9_SC_S9_NS6_11hip_rocprim9__find_if7functorIS9_EEEE10hipError_tPvRmT1_T2_T3_mT4_P12ihipStream_tbEUlT_E1_NS1_11comp_targetILNS1_3genE9ELNS1_11target_archE1100ELNS1_3gpuE3ELNS1_3repE0EEENS1_30default_config_static_selectorELNS0_4arch9wavefront6targetE0EEEvSK_
	.p2align	8
	.type	_ZN7rocprim17ROCPRIM_400000_NS6detail17trampoline_kernelINS0_14default_configENS1_22reduce_config_selectorIN6thrust23THRUST_200600_302600_NS5tupleIblNS6_9null_typeES8_S8_S8_S8_S8_S8_S8_EEEEZNS1_11reduce_implILb1ES3_PS9_SC_S9_NS6_11hip_rocprim9__find_if7functorIS9_EEEE10hipError_tPvRmT1_T2_T3_mT4_P12ihipStream_tbEUlT_E1_NS1_11comp_targetILNS1_3genE9ELNS1_11target_archE1100ELNS1_3gpuE3ELNS1_3repE0EEENS1_30default_config_static_selectorELNS0_4arch9wavefront6targetE0EEEvSK_,@function
_ZN7rocprim17ROCPRIM_400000_NS6detail17trampoline_kernelINS0_14default_configENS1_22reduce_config_selectorIN6thrust23THRUST_200600_302600_NS5tupleIblNS6_9null_typeES8_S8_S8_S8_S8_S8_S8_EEEEZNS1_11reduce_implILb1ES3_PS9_SC_S9_NS6_11hip_rocprim9__find_if7functorIS9_EEEE10hipError_tPvRmT1_T2_T3_mT4_P12ihipStream_tbEUlT_E1_NS1_11comp_targetILNS1_3genE9ELNS1_11target_archE1100ELNS1_3gpuE3ELNS1_3repE0EEENS1_30default_config_static_selectorELNS0_4arch9wavefront6targetE0EEEvSK_: ; @_ZN7rocprim17ROCPRIM_400000_NS6detail17trampoline_kernelINS0_14default_configENS1_22reduce_config_selectorIN6thrust23THRUST_200600_302600_NS5tupleIblNS6_9null_typeES8_S8_S8_S8_S8_S8_S8_EEEEZNS1_11reduce_implILb1ES3_PS9_SC_S9_NS6_11hip_rocprim9__find_if7functorIS9_EEEE10hipError_tPvRmT1_T2_T3_mT4_P12ihipStream_tbEUlT_E1_NS1_11comp_targetILNS1_3genE9ELNS1_11target_archE1100ELNS1_3gpuE3ELNS1_3repE0EEENS1_30default_config_static_selectorELNS0_4arch9wavefront6targetE0EEEvSK_
; %bb.0:
	.section	.rodata,"a",@progbits
	.p2align	6, 0x0
	.amdhsa_kernel _ZN7rocprim17ROCPRIM_400000_NS6detail17trampoline_kernelINS0_14default_configENS1_22reduce_config_selectorIN6thrust23THRUST_200600_302600_NS5tupleIblNS6_9null_typeES8_S8_S8_S8_S8_S8_S8_EEEEZNS1_11reduce_implILb1ES3_PS9_SC_S9_NS6_11hip_rocprim9__find_if7functorIS9_EEEE10hipError_tPvRmT1_T2_T3_mT4_P12ihipStream_tbEUlT_E1_NS1_11comp_targetILNS1_3genE9ELNS1_11target_archE1100ELNS1_3gpuE3ELNS1_3repE0EEENS1_30default_config_static_selectorELNS0_4arch9wavefront6targetE0EEEvSK_
		.amdhsa_group_segment_fixed_size 0
		.amdhsa_private_segment_fixed_size 0
		.amdhsa_kernarg_size 56
		.amdhsa_user_sgpr_count 6
		.amdhsa_user_sgpr_private_segment_buffer 1
		.amdhsa_user_sgpr_dispatch_ptr 0
		.amdhsa_user_sgpr_queue_ptr 0
		.amdhsa_user_sgpr_kernarg_segment_ptr 1
		.amdhsa_user_sgpr_dispatch_id 0
		.amdhsa_user_sgpr_flat_scratch_init 0
		.amdhsa_user_sgpr_private_segment_size 0
		.amdhsa_wavefront_size32 1
		.amdhsa_uses_dynamic_stack 0
		.amdhsa_system_sgpr_private_segment_wavefront_offset 0
		.amdhsa_system_sgpr_workgroup_id_x 1
		.amdhsa_system_sgpr_workgroup_id_y 0
		.amdhsa_system_sgpr_workgroup_id_z 0
		.amdhsa_system_sgpr_workgroup_info 0
		.amdhsa_system_vgpr_workitem_id 0
		.amdhsa_next_free_vgpr 1
		.amdhsa_next_free_sgpr 1
		.amdhsa_reserve_vcc 0
		.amdhsa_reserve_flat_scratch 0
		.amdhsa_float_round_mode_32 0
		.amdhsa_float_round_mode_16_64 0
		.amdhsa_float_denorm_mode_32 3
		.amdhsa_float_denorm_mode_16_64 3
		.amdhsa_dx10_clamp 1
		.amdhsa_ieee_mode 1
		.amdhsa_fp16_overflow 0
		.amdhsa_workgroup_processor_mode 1
		.amdhsa_memory_ordered 1
		.amdhsa_forward_progress 1
		.amdhsa_shared_vgpr_count 0
		.amdhsa_exception_fp_ieee_invalid_op 0
		.amdhsa_exception_fp_denorm_src 0
		.amdhsa_exception_fp_ieee_div_zero 0
		.amdhsa_exception_fp_ieee_overflow 0
		.amdhsa_exception_fp_ieee_underflow 0
		.amdhsa_exception_fp_ieee_inexact 0
		.amdhsa_exception_int_div_zero 0
	.end_amdhsa_kernel
	.section	.text._ZN7rocprim17ROCPRIM_400000_NS6detail17trampoline_kernelINS0_14default_configENS1_22reduce_config_selectorIN6thrust23THRUST_200600_302600_NS5tupleIblNS6_9null_typeES8_S8_S8_S8_S8_S8_S8_EEEEZNS1_11reduce_implILb1ES3_PS9_SC_S9_NS6_11hip_rocprim9__find_if7functorIS9_EEEE10hipError_tPvRmT1_T2_T3_mT4_P12ihipStream_tbEUlT_E1_NS1_11comp_targetILNS1_3genE9ELNS1_11target_archE1100ELNS1_3gpuE3ELNS1_3repE0EEENS1_30default_config_static_selectorELNS0_4arch9wavefront6targetE0EEEvSK_,"axG",@progbits,_ZN7rocprim17ROCPRIM_400000_NS6detail17trampoline_kernelINS0_14default_configENS1_22reduce_config_selectorIN6thrust23THRUST_200600_302600_NS5tupleIblNS6_9null_typeES8_S8_S8_S8_S8_S8_S8_EEEEZNS1_11reduce_implILb1ES3_PS9_SC_S9_NS6_11hip_rocprim9__find_if7functorIS9_EEEE10hipError_tPvRmT1_T2_T3_mT4_P12ihipStream_tbEUlT_E1_NS1_11comp_targetILNS1_3genE9ELNS1_11target_archE1100ELNS1_3gpuE3ELNS1_3repE0EEENS1_30default_config_static_selectorELNS0_4arch9wavefront6targetE0EEEvSK_,comdat
.Lfunc_end105:
	.size	_ZN7rocprim17ROCPRIM_400000_NS6detail17trampoline_kernelINS0_14default_configENS1_22reduce_config_selectorIN6thrust23THRUST_200600_302600_NS5tupleIblNS6_9null_typeES8_S8_S8_S8_S8_S8_S8_EEEEZNS1_11reduce_implILb1ES3_PS9_SC_S9_NS6_11hip_rocprim9__find_if7functorIS9_EEEE10hipError_tPvRmT1_T2_T3_mT4_P12ihipStream_tbEUlT_E1_NS1_11comp_targetILNS1_3genE9ELNS1_11target_archE1100ELNS1_3gpuE3ELNS1_3repE0EEENS1_30default_config_static_selectorELNS0_4arch9wavefront6targetE0EEEvSK_, .Lfunc_end105-_ZN7rocprim17ROCPRIM_400000_NS6detail17trampoline_kernelINS0_14default_configENS1_22reduce_config_selectorIN6thrust23THRUST_200600_302600_NS5tupleIblNS6_9null_typeES8_S8_S8_S8_S8_S8_S8_EEEEZNS1_11reduce_implILb1ES3_PS9_SC_S9_NS6_11hip_rocprim9__find_if7functorIS9_EEEE10hipError_tPvRmT1_T2_T3_mT4_P12ihipStream_tbEUlT_E1_NS1_11comp_targetILNS1_3genE9ELNS1_11target_archE1100ELNS1_3gpuE3ELNS1_3repE0EEENS1_30default_config_static_selectorELNS0_4arch9wavefront6targetE0EEEvSK_
                                        ; -- End function
	.set _ZN7rocprim17ROCPRIM_400000_NS6detail17trampoline_kernelINS0_14default_configENS1_22reduce_config_selectorIN6thrust23THRUST_200600_302600_NS5tupleIblNS6_9null_typeES8_S8_S8_S8_S8_S8_S8_EEEEZNS1_11reduce_implILb1ES3_PS9_SC_S9_NS6_11hip_rocprim9__find_if7functorIS9_EEEE10hipError_tPvRmT1_T2_T3_mT4_P12ihipStream_tbEUlT_E1_NS1_11comp_targetILNS1_3genE9ELNS1_11target_archE1100ELNS1_3gpuE3ELNS1_3repE0EEENS1_30default_config_static_selectorELNS0_4arch9wavefront6targetE0EEEvSK_.num_vgpr, 0
	.set _ZN7rocprim17ROCPRIM_400000_NS6detail17trampoline_kernelINS0_14default_configENS1_22reduce_config_selectorIN6thrust23THRUST_200600_302600_NS5tupleIblNS6_9null_typeES8_S8_S8_S8_S8_S8_S8_EEEEZNS1_11reduce_implILb1ES3_PS9_SC_S9_NS6_11hip_rocprim9__find_if7functorIS9_EEEE10hipError_tPvRmT1_T2_T3_mT4_P12ihipStream_tbEUlT_E1_NS1_11comp_targetILNS1_3genE9ELNS1_11target_archE1100ELNS1_3gpuE3ELNS1_3repE0EEENS1_30default_config_static_selectorELNS0_4arch9wavefront6targetE0EEEvSK_.num_agpr, 0
	.set _ZN7rocprim17ROCPRIM_400000_NS6detail17trampoline_kernelINS0_14default_configENS1_22reduce_config_selectorIN6thrust23THRUST_200600_302600_NS5tupleIblNS6_9null_typeES8_S8_S8_S8_S8_S8_S8_EEEEZNS1_11reduce_implILb1ES3_PS9_SC_S9_NS6_11hip_rocprim9__find_if7functorIS9_EEEE10hipError_tPvRmT1_T2_T3_mT4_P12ihipStream_tbEUlT_E1_NS1_11comp_targetILNS1_3genE9ELNS1_11target_archE1100ELNS1_3gpuE3ELNS1_3repE0EEENS1_30default_config_static_selectorELNS0_4arch9wavefront6targetE0EEEvSK_.numbered_sgpr, 0
	.set _ZN7rocprim17ROCPRIM_400000_NS6detail17trampoline_kernelINS0_14default_configENS1_22reduce_config_selectorIN6thrust23THRUST_200600_302600_NS5tupleIblNS6_9null_typeES8_S8_S8_S8_S8_S8_S8_EEEEZNS1_11reduce_implILb1ES3_PS9_SC_S9_NS6_11hip_rocprim9__find_if7functorIS9_EEEE10hipError_tPvRmT1_T2_T3_mT4_P12ihipStream_tbEUlT_E1_NS1_11comp_targetILNS1_3genE9ELNS1_11target_archE1100ELNS1_3gpuE3ELNS1_3repE0EEENS1_30default_config_static_selectorELNS0_4arch9wavefront6targetE0EEEvSK_.num_named_barrier, 0
	.set _ZN7rocprim17ROCPRIM_400000_NS6detail17trampoline_kernelINS0_14default_configENS1_22reduce_config_selectorIN6thrust23THRUST_200600_302600_NS5tupleIblNS6_9null_typeES8_S8_S8_S8_S8_S8_S8_EEEEZNS1_11reduce_implILb1ES3_PS9_SC_S9_NS6_11hip_rocprim9__find_if7functorIS9_EEEE10hipError_tPvRmT1_T2_T3_mT4_P12ihipStream_tbEUlT_E1_NS1_11comp_targetILNS1_3genE9ELNS1_11target_archE1100ELNS1_3gpuE3ELNS1_3repE0EEENS1_30default_config_static_selectorELNS0_4arch9wavefront6targetE0EEEvSK_.private_seg_size, 0
	.set _ZN7rocprim17ROCPRIM_400000_NS6detail17trampoline_kernelINS0_14default_configENS1_22reduce_config_selectorIN6thrust23THRUST_200600_302600_NS5tupleIblNS6_9null_typeES8_S8_S8_S8_S8_S8_S8_EEEEZNS1_11reduce_implILb1ES3_PS9_SC_S9_NS6_11hip_rocprim9__find_if7functorIS9_EEEE10hipError_tPvRmT1_T2_T3_mT4_P12ihipStream_tbEUlT_E1_NS1_11comp_targetILNS1_3genE9ELNS1_11target_archE1100ELNS1_3gpuE3ELNS1_3repE0EEENS1_30default_config_static_selectorELNS0_4arch9wavefront6targetE0EEEvSK_.uses_vcc, 0
	.set _ZN7rocprim17ROCPRIM_400000_NS6detail17trampoline_kernelINS0_14default_configENS1_22reduce_config_selectorIN6thrust23THRUST_200600_302600_NS5tupleIblNS6_9null_typeES8_S8_S8_S8_S8_S8_S8_EEEEZNS1_11reduce_implILb1ES3_PS9_SC_S9_NS6_11hip_rocprim9__find_if7functorIS9_EEEE10hipError_tPvRmT1_T2_T3_mT4_P12ihipStream_tbEUlT_E1_NS1_11comp_targetILNS1_3genE9ELNS1_11target_archE1100ELNS1_3gpuE3ELNS1_3repE0EEENS1_30default_config_static_selectorELNS0_4arch9wavefront6targetE0EEEvSK_.uses_flat_scratch, 0
	.set _ZN7rocprim17ROCPRIM_400000_NS6detail17trampoline_kernelINS0_14default_configENS1_22reduce_config_selectorIN6thrust23THRUST_200600_302600_NS5tupleIblNS6_9null_typeES8_S8_S8_S8_S8_S8_S8_EEEEZNS1_11reduce_implILb1ES3_PS9_SC_S9_NS6_11hip_rocprim9__find_if7functorIS9_EEEE10hipError_tPvRmT1_T2_T3_mT4_P12ihipStream_tbEUlT_E1_NS1_11comp_targetILNS1_3genE9ELNS1_11target_archE1100ELNS1_3gpuE3ELNS1_3repE0EEENS1_30default_config_static_selectorELNS0_4arch9wavefront6targetE0EEEvSK_.has_dyn_sized_stack, 0
	.set _ZN7rocprim17ROCPRIM_400000_NS6detail17trampoline_kernelINS0_14default_configENS1_22reduce_config_selectorIN6thrust23THRUST_200600_302600_NS5tupleIblNS6_9null_typeES8_S8_S8_S8_S8_S8_S8_EEEEZNS1_11reduce_implILb1ES3_PS9_SC_S9_NS6_11hip_rocprim9__find_if7functorIS9_EEEE10hipError_tPvRmT1_T2_T3_mT4_P12ihipStream_tbEUlT_E1_NS1_11comp_targetILNS1_3genE9ELNS1_11target_archE1100ELNS1_3gpuE3ELNS1_3repE0EEENS1_30default_config_static_selectorELNS0_4arch9wavefront6targetE0EEEvSK_.has_recursion, 0
	.set _ZN7rocprim17ROCPRIM_400000_NS6detail17trampoline_kernelINS0_14default_configENS1_22reduce_config_selectorIN6thrust23THRUST_200600_302600_NS5tupleIblNS6_9null_typeES8_S8_S8_S8_S8_S8_S8_EEEEZNS1_11reduce_implILb1ES3_PS9_SC_S9_NS6_11hip_rocprim9__find_if7functorIS9_EEEE10hipError_tPvRmT1_T2_T3_mT4_P12ihipStream_tbEUlT_E1_NS1_11comp_targetILNS1_3genE9ELNS1_11target_archE1100ELNS1_3gpuE3ELNS1_3repE0EEENS1_30default_config_static_selectorELNS0_4arch9wavefront6targetE0EEEvSK_.has_indirect_call, 0
	.section	.AMDGPU.csdata,"",@progbits
; Kernel info:
; codeLenInByte = 0
; TotalNumSgprs: 0
; NumVgprs: 0
; ScratchSize: 0
; MemoryBound: 0
; FloatMode: 240
; IeeeMode: 1
; LDSByteSize: 0 bytes/workgroup (compile time only)
; SGPRBlocks: 0
; VGPRBlocks: 0
; NumSGPRsForWavesPerEU: 1
; NumVGPRsForWavesPerEU: 1
; Occupancy: 16
; WaveLimiterHint : 0
; COMPUTE_PGM_RSRC2:SCRATCH_EN: 0
; COMPUTE_PGM_RSRC2:USER_SGPR: 6
; COMPUTE_PGM_RSRC2:TRAP_HANDLER: 0
; COMPUTE_PGM_RSRC2:TGID_X_EN: 1
; COMPUTE_PGM_RSRC2:TGID_Y_EN: 0
; COMPUTE_PGM_RSRC2:TGID_Z_EN: 0
; COMPUTE_PGM_RSRC2:TIDIG_COMP_CNT: 0
	.section	.text._ZN7rocprim17ROCPRIM_400000_NS6detail17trampoline_kernelINS0_14default_configENS1_22reduce_config_selectorIN6thrust23THRUST_200600_302600_NS5tupleIblNS6_9null_typeES8_S8_S8_S8_S8_S8_S8_EEEEZNS1_11reduce_implILb1ES3_PS9_SC_S9_NS6_11hip_rocprim9__find_if7functorIS9_EEEE10hipError_tPvRmT1_T2_T3_mT4_P12ihipStream_tbEUlT_E1_NS1_11comp_targetILNS1_3genE8ELNS1_11target_archE1030ELNS1_3gpuE2ELNS1_3repE0EEENS1_30default_config_static_selectorELNS0_4arch9wavefront6targetE0EEEvSK_,"axG",@progbits,_ZN7rocprim17ROCPRIM_400000_NS6detail17trampoline_kernelINS0_14default_configENS1_22reduce_config_selectorIN6thrust23THRUST_200600_302600_NS5tupleIblNS6_9null_typeES8_S8_S8_S8_S8_S8_S8_EEEEZNS1_11reduce_implILb1ES3_PS9_SC_S9_NS6_11hip_rocprim9__find_if7functorIS9_EEEE10hipError_tPvRmT1_T2_T3_mT4_P12ihipStream_tbEUlT_E1_NS1_11comp_targetILNS1_3genE8ELNS1_11target_archE1030ELNS1_3gpuE2ELNS1_3repE0EEENS1_30default_config_static_selectorELNS0_4arch9wavefront6targetE0EEEvSK_,comdat
	.protected	_ZN7rocprim17ROCPRIM_400000_NS6detail17trampoline_kernelINS0_14default_configENS1_22reduce_config_selectorIN6thrust23THRUST_200600_302600_NS5tupleIblNS6_9null_typeES8_S8_S8_S8_S8_S8_S8_EEEEZNS1_11reduce_implILb1ES3_PS9_SC_S9_NS6_11hip_rocprim9__find_if7functorIS9_EEEE10hipError_tPvRmT1_T2_T3_mT4_P12ihipStream_tbEUlT_E1_NS1_11comp_targetILNS1_3genE8ELNS1_11target_archE1030ELNS1_3gpuE2ELNS1_3repE0EEENS1_30default_config_static_selectorELNS0_4arch9wavefront6targetE0EEEvSK_ ; -- Begin function _ZN7rocprim17ROCPRIM_400000_NS6detail17trampoline_kernelINS0_14default_configENS1_22reduce_config_selectorIN6thrust23THRUST_200600_302600_NS5tupleIblNS6_9null_typeES8_S8_S8_S8_S8_S8_S8_EEEEZNS1_11reduce_implILb1ES3_PS9_SC_S9_NS6_11hip_rocprim9__find_if7functorIS9_EEEE10hipError_tPvRmT1_T2_T3_mT4_P12ihipStream_tbEUlT_E1_NS1_11comp_targetILNS1_3genE8ELNS1_11target_archE1030ELNS1_3gpuE2ELNS1_3repE0EEENS1_30default_config_static_selectorELNS0_4arch9wavefront6targetE0EEEvSK_
	.globl	_ZN7rocprim17ROCPRIM_400000_NS6detail17trampoline_kernelINS0_14default_configENS1_22reduce_config_selectorIN6thrust23THRUST_200600_302600_NS5tupleIblNS6_9null_typeES8_S8_S8_S8_S8_S8_S8_EEEEZNS1_11reduce_implILb1ES3_PS9_SC_S9_NS6_11hip_rocprim9__find_if7functorIS9_EEEE10hipError_tPvRmT1_T2_T3_mT4_P12ihipStream_tbEUlT_E1_NS1_11comp_targetILNS1_3genE8ELNS1_11target_archE1030ELNS1_3gpuE2ELNS1_3repE0EEENS1_30default_config_static_selectorELNS0_4arch9wavefront6targetE0EEEvSK_
	.p2align	8
	.type	_ZN7rocprim17ROCPRIM_400000_NS6detail17trampoline_kernelINS0_14default_configENS1_22reduce_config_selectorIN6thrust23THRUST_200600_302600_NS5tupleIblNS6_9null_typeES8_S8_S8_S8_S8_S8_S8_EEEEZNS1_11reduce_implILb1ES3_PS9_SC_S9_NS6_11hip_rocprim9__find_if7functorIS9_EEEE10hipError_tPvRmT1_T2_T3_mT4_P12ihipStream_tbEUlT_E1_NS1_11comp_targetILNS1_3genE8ELNS1_11target_archE1030ELNS1_3gpuE2ELNS1_3repE0EEENS1_30default_config_static_selectorELNS0_4arch9wavefront6targetE0EEEvSK_,@function
_ZN7rocprim17ROCPRIM_400000_NS6detail17trampoline_kernelINS0_14default_configENS1_22reduce_config_selectorIN6thrust23THRUST_200600_302600_NS5tupleIblNS6_9null_typeES8_S8_S8_S8_S8_S8_S8_EEEEZNS1_11reduce_implILb1ES3_PS9_SC_S9_NS6_11hip_rocprim9__find_if7functorIS9_EEEE10hipError_tPvRmT1_T2_T3_mT4_P12ihipStream_tbEUlT_E1_NS1_11comp_targetILNS1_3genE8ELNS1_11target_archE1030ELNS1_3gpuE2ELNS1_3repE0EEENS1_30default_config_static_selectorELNS0_4arch9wavefront6targetE0EEEvSK_: ; @_ZN7rocprim17ROCPRIM_400000_NS6detail17trampoline_kernelINS0_14default_configENS1_22reduce_config_selectorIN6thrust23THRUST_200600_302600_NS5tupleIblNS6_9null_typeES8_S8_S8_S8_S8_S8_S8_EEEEZNS1_11reduce_implILb1ES3_PS9_SC_S9_NS6_11hip_rocprim9__find_if7functorIS9_EEEE10hipError_tPvRmT1_T2_T3_mT4_P12ihipStream_tbEUlT_E1_NS1_11comp_targetILNS1_3genE8ELNS1_11target_archE1030ELNS1_3gpuE2ELNS1_3repE0EEENS1_30default_config_static_selectorELNS0_4arch9wavefront6targetE0EEEvSK_
; %bb.0:
	s_clause 0x3
	s_load_dword s19, s[4:5], 0x4
	s_load_dwordx4 s[12:15], s[4:5], 0x8
	s_load_dword s18, s[4:5], 0x20
	s_load_dwordx2 s[16:17], s[4:5], 0x28
	s_waitcnt lgkmcnt(0)
	s_cmp_lt_i32 s19, 4
	s_cbranch_scc1 .LBB106_45
; %bb.1:
	s_cmp_gt_i32 s19, 7
	s_cbranch_scc0 .LBB106_46
; %bb.2:
	s_cmp_eq_u32 s19, 8
	s_mov_b32 s20, 0
	s_cbranch_scc0 .LBB106_47
; %bb.3:
	s_mov_b32 s7, 0
	s_lshl_b32 s2, s6, 11
	s_mov_b32 s3, s7
	s_lshr_b64 s[8:9], s[14:15], 11
	s_lshl_b64 s[0:1], s[2:3], 4
	s_add_u32 s10, s12, s0
	s_addc_u32 s11, s13, s1
	s_cmp_lg_u64 s[8:9], s[6:7]
	s_cbranch_scc0 .LBB106_76
; %bb.4:
	v_lshlrev_b32_e32 v7, 4, v0
	v_add_co_u32 v8, s0, s10, v7
	v_add_co_ci_u32_e64 v19, null, s11, 0, s0
	v_add_co_u32 v1, vcc_lo, 0x1000, v8
	v_add_co_ci_u32_e64 v2, null, 0, v19, vcc_lo
	v_add_co_u32 v3, vcc_lo, 0x2000, v8
	v_add_co_ci_u32_e64 v4, null, 0, v19, vcc_lo
	;; [unrolled: 2-line block ×3, first 2 shown]
	s_clause 0x7
	global_load_ubyte v25, v7, s[10:11]
	global_load_dwordx2 v[15:16], v7, s[10:11] offset:8
	global_load_ubyte v26, v[1:2], off
	global_load_dwordx2 v[17:18], v[1:2], off offset:8
	global_load_ubyte v24, v[3:4], off
	global_load_dwordx2 v[11:12], v[3:4], off offset:8
	;; [unrolled: 2-line block ×3, first 2 shown]
	v_add_co_u32 v1, vcc_lo, 0x4000, v8
	v_add_co_ci_u32_e64 v2, null, 0, v19, vcc_lo
	v_add_co_u32 v3, vcc_lo, 0x5000, v8
	v_add_co_ci_u32_e64 v4, null, 0, v19, vcc_lo
	;; [unrolled: 2-line block ×4, first 2 shown]
	s_clause 0x7
	global_load_ubyte v22, v[1:2], off
	global_load_dwordx2 v[7:8], v[1:2], off offset:8
	global_load_ubyte v21, v[3:4], off
	global_load_dwordx2 v[5:6], v[3:4], off offset:8
	;; [unrolled: 2-line block ×4, first 2 shown]
	s_waitcnt vmcnt(13)
	v_and_b32_e32 v13, v26, v25
	v_and_b32_e32 v13, 1, v13
	v_cmp_eq_u32_e32 vcc_lo, 1, v13
                                        ; implicit-def: $vgpr13_vgpr14
	s_and_saveexec_b32 s0, vcc_lo
	s_xor_b32 s0, exec_lo, s0
	s_cbranch_execz .LBB106_6
; %bb.5:
	s_waitcnt vmcnt(12)
	v_cmp_lt_i64_e32 vcc_lo, v[17:18], v[15:16]
                                        ; implicit-def: $vgpr25
                                        ; implicit-def: $vgpr26
	v_cndmask_b32_e32 v14, v16, v18, vcc_lo
	v_cndmask_b32_e32 v13, v15, v17, vcc_lo
                                        ; implicit-def: $vgpr17_vgpr18
                                        ; implicit-def: $vgpr15_vgpr16
.LBB106_6:
	s_or_saveexec_b32 s0, s0
	s_mov_b32 s1, -1
	s_xor_b32 exec_lo, exec_lo, s0
	s_cbranch_execz .LBB106_8
; %bb.7:
	v_and_b32_e32 v13, 1, v25
	v_or_b32_e32 v14, v26, v25
	v_mov_b32_e32 v25, 0
	v_cmp_eq_u32_e32 vcc_lo, 1, v13
	v_cmp_ne_u16_sdwa s1, v14, v25 src0_sel:BYTE_0 src1_sel:DWORD
	s_waitcnt vmcnt(12)
	v_cndmask_b32_e32 v14, v18, v16, vcc_lo
	v_cndmask_b32_e32 v13, v17, v15, vcc_lo
	s_orn2_b32 s1, s1, exec_lo
.LBB106_8:
	s_or_b32 exec_lo, exec_lo, s0
	s_waitcnt vmcnt(11)
	v_and_b32_e32 v15, 1, v24
	v_cmp_eq_u32_e32 vcc_lo, 1, v15
                                        ; implicit-def: $vgpr15_vgpr16
	s_and_b32 s0, s1, vcc_lo
	s_xor_b32 s3, s0, -1
                                        ; implicit-def: $sgpr0
	s_and_saveexec_b32 s8, s3
	s_xor_b32 s3, exec_lo, s8
	s_cbranch_execz .LBB106_10
; %bb.9:
	s_waitcnt vmcnt(10)
	v_cndmask_b32_e64 v16, v12, v14, s1
	v_cndmask_b32_e64 v15, v11, v13, s1
	s_or_b32 s0, s1, vcc_lo
                                        ; implicit-def: $vgpr11_vgpr12
                                        ; implicit-def: $vgpr13_vgpr14
.LBB106_10:
	s_andn2_saveexec_b32 s1, s3
	s_cbranch_execz .LBB106_12
; %bb.11:
	s_waitcnt vmcnt(10)
	v_cmp_lt_i64_e32 vcc_lo, v[11:12], v[13:14]
	s_or_b32 s0, s0, exec_lo
	v_cndmask_b32_e32 v16, v14, v12, vcc_lo
	v_cndmask_b32_e32 v15, v13, v11, vcc_lo
.LBB106_12:
	s_or_b32 exec_lo, exec_lo, s1
	s_waitcnt vmcnt(9)
	v_and_b32_e32 v11, 1, v23
	v_cmp_eq_u32_e32 vcc_lo, 1, v11
                                        ; implicit-def: $vgpr11_vgpr12
	s_and_b32 s1, s0, vcc_lo
	s_xor_b32 s3, s1, -1
                                        ; implicit-def: $sgpr1
	s_and_saveexec_b32 s8, s3
	s_xor_b32 s3, exec_lo, s8
	s_cbranch_execz .LBB106_14
; %bb.13:
	s_waitcnt vmcnt(8)
	v_cndmask_b32_e64 v12, v10, v16, s0
	v_cndmask_b32_e64 v11, v9, v15, s0
	s_or_b32 s1, s0, vcc_lo
                                        ; implicit-def: $vgpr9_vgpr10
                                        ; implicit-def: $vgpr15_vgpr16
.LBB106_14:
	s_andn2_saveexec_b32 s0, s3
	s_cbranch_execz .LBB106_16
; %bb.15:
	s_waitcnt vmcnt(8)
	v_cmp_lt_i64_e32 vcc_lo, v[9:10], v[15:16]
	s_or_b32 s1, s1, exec_lo
	v_cndmask_b32_e32 v12, v16, v10, vcc_lo
	v_cndmask_b32_e32 v11, v15, v9, vcc_lo
.LBB106_16:
	s_or_b32 exec_lo, exec_lo, s0
	s_waitcnt vmcnt(7)
	v_and_b32_e32 v9, 1, v22
	v_cmp_eq_u32_e32 vcc_lo, 1, v9
                                        ; implicit-def: $vgpr9_vgpr10
	s_and_b32 s0, s1, vcc_lo
	s_xor_b32 s3, s0, -1
                                        ; implicit-def: $sgpr0
	s_and_saveexec_b32 s8, s3
	s_xor_b32 s3, exec_lo, s8
	s_cbranch_execz .LBB106_18
; %bb.17:
	s_waitcnt vmcnt(6)
	v_cndmask_b32_e64 v10, v8, v12, s1
	v_cndmask_b32_e64 v9, v7, v11, s1
	s_or_b32 s0, s1, vcc_lo
                                        ; implicit-def: $vgpr7_vgpr8
                                        ; implicit-def: $vgpr11_vgpr12
.LBB106_18:
	s_andn2_saveexec_b32 s1, s3
	s_cbranch_execz .LBB106_20
; %bb.19:
	s_waitcnt vmcnt(6)
	v_cmp_lt_i64_e32 vcc_lo, v[7:8], v[11:12]
	s_or_b32 s0, s0, exec_lo
	v_cndmask_b32_e32 v10, v12, v8, vcc_lo
	v_cndmask_b32_e32 v9, v11, v7, vcc_lo
.LBB106_20:
	s_or_b32 exec_lo, exec_lo, s1
	s_waitcnt vmcnt(5)
	v_and_b32_e32 v7, 1, v21
	v_cmp_eq_u32_e32 vcc_lo, 1, v7
                                        ; implicit-def: $vgpr7_vgpr8
	s_and_b32 s1, s0, vcc_lo
	s_xor_b32 s3, s1, -1
                                        ; implicit-def: $sgpr1
	s_and_saveexec_b32 s8, s3
	s_xor_b32 s3, exec_lo, s8
	s_cbranch_execz .LBB106_22
; %bb.21:
	s_waitcnt vmcnt(4)
	v_cndmask_b32_e64 v8, v6, v10, s0
	v_cndmask_b32_e64 v7, v5, v9, s0
	s_or_b32 s1, s0, vcc_lo
                                        ; implicit-def: $vgpr5_vgpr6
                                        ; implicit-def: $vgpr9_vgpr10
.LBB106_22:
	s_andn2_saveexec_b32 s0, s3
	s_cbranch_execz .LBB106_24
; %bb.23:
	s_waitcnt vmcnt(4)
	v_cmp_lt_i64_e32 vcc_lo, v[5:6], v[9:10]
	s_or_b32 s1, s1, exec_lo
	v_cndmask_b32_e32 v8, v10, v6, vcc_lo
	v_cndmask_b32_e32 v7, v9, v5, vcc_lo
.LBB106_24:
	s_or_b32 exec_lo, exec_lo, s0
	s_waitcnt vmcnt(3)
	v_and_b32_e32 v5, 1, v20
                                        ; implicit-def: $sgpr3
	v_cmp_eq_u32_e32 vcc_lo, 1, v5
                                        ; implicit-def: $vgpr5_vgpr6
	s_and_b32 s0, s1, vcc_lo
	s_xor_b32 s0, s0, -1
	s_and_saveexec_b32 s8, s0
	s_xor_b32 s0, exec_lo, s8
	s_cbranch_execz .LBB106_26
; %bb.25:
	s_waitcnt vmcnt(2)
	v_cndmask_b32_e64 v6, v4, v8, s1
	v_cndmask_b32_e64 v5, v3, v7, s1
	s_or_b32 s3, s1, vcc_lo
                                        ; implicit-def: $vgpr3_vgpr4
                                        ; implicit-def: $vgpr7_vgpr8
.LBB106_26:
	s_andn2_saveexec_b32 s0, s0
	s_cbranch_execz .LBB106_28
; %bb.27:
	s_waitcnt vmcnt(2)
	v_cmp_lt_i64_e32 vcc_lo, v[3:4], v[7:8]
	s_or_b32 s3, s3, exec_lo
	v_cndmask_b32_e32 v6, v8, v4, vcc_lo
	v_cndmask_b32_e32 v5, v7, v3, vcc_lo
.LBB106_28:
	s_or_b32 exec_lo, exec_lo, s0
	s_waitcnt vmcnt(1)
	v_and_b32_e32 v3, 1, v19
	s_waitcnt vmcnt(0)
	v_cmp_lt_i64_e32 vcc_lo, v[1:2], v[5:6]
	v_cmp_eq_u32_e64 s0, 1, v3
	s_and_b32 vcc_lo, s0, vcc_lo
	v_cndmask_b32_e32 v3, v5, v1, vcc_lo
	v_cndmask_b32_e32 v4, v6, v2, vcc_lo
	v_cndmask_b32_e64 v5, v19, 1, s3
	v_cndmask_b32_e64 v1, v1, v3, s3
	;; [unrolled: 1-line block ×3, first 2 shown]
	v_and_b32_e32 v6, 0xff, v5
	v_and_b32_e32 v5, 1, v5
	v_mov_b32_dpp v3, v1 quad_perm:[1,0,3,2] row_mask:0xf bank_mask:0xf
	v_mov_b32_dpp v4, v2 quad_perm:[1,0,3,2] row_mask:0xf bank_mask:0xf
	;; [unrolled: 1-line block ×3, first 2 shown]
	v_cmp_eq_u32_e64 s0, 1, v5
	v_cmp_lt_i64_e32 vcc_lo, v[1:2], v[3:4]
	v_and_b32_e32 v5, 1, v7
	s_and_b32 vcc_lo, s0, vcc_lo
	v_cndmask_b32_e32 v3, v3, v1, vcc_lo
	v_cndmask_b32_e32 v4, v4, v2, vcc_lo
	v_cmp_eq_u32_e32 vcc_lo, 1, v5
	v_cndmask_b32_e32 v2, v2, v4, vcc_lo
	v_cndmask_b32_e32 v1, v1, v3, vcc_lo
	v_cndmask_b32_e64 v5, v6, 1, vcc_lo
	v_mov_b32_dpp v4, v2 quad_perm:[2,3,0,1] row_mask:0xf bank_mask:0xf
	v_mov_b32_dpp v3, v1 quad_perm:[2,3,0,1] row_mask:0xf bank_mask:0xf
	v_and_b32_e32 v7, 1, v5
	v_mov_b32_dpp v6, v5 quad_perm:[2,3,0,1] row_mask:0xf bank_mask:0xf
	v_cmp_lt_i64_e32 vcc_lo, v[1:2], v[3:4]
	v_cmp_eq_u32_e64 s0, 1, v7
	v_and_b32_e32 v6, 1, v6
	s_and_b32 vcc_lo, s0, vcc_lo
	v_cmp_eq_u32_e64 s1, 1, v6
	v_cndmask_b32_e32 v3, v3, v1, vcc_lo
	v_cndmask_b32_e32 v4, v4, v2, vcc_lo
	v_cndmask_b32_e64 v5, v5, 1, s1
	v_cndmask_b32_e64 v1, v1, v3, s1
	;; [unrolled: 1-line block ×3, first 2 shown]
	v_and_b32_e32 v7, 1, v5
	v_mov_b32_dpp v3, v1 row_ror:4 row_mask:0xf bank_mask:0xf
	v_mov_b32_dpp v4, v2 row_ror:4 row_mask:0xf bank_mask:0xf
	;; [unrolled: 1-line block ×3, first 2 shown]
	v_cmp_eq_u32_e64 s0, 1, v7
	v_cmp_lt_i64_e32 vcc_lo, v[1:2], v[3:4]
	v_and_b32_e32 v6, 1, v6
	s_and_b32 vcc_lo, s0, vcc_lo
	v_cmp_eq_u32_e64 s1, 1, v6
	v_cndmask_b32_e32 v3, v3, v1, vcc_lo
	v_cndmask_b32_e32 v4, v4, v2, vcc_lo
	v_cndmask_b32_e64 v5, v5, 1, s1
	v_cndmask_b32_e64 v1, v1, v3, s1
	;; [unrolled: 1-line block ×3, first 2 shown]
	v_and_b32_e32 v7, 1, v5
	v_mov_b32_dpp v3, v1 row_ror:8 row_mask:0xf bank_mask:0xf
	v_mov_b32_dpp v4, v2 row_ror:8 row_mask:0xf bank_mask:0xf
	;; [unrolled: 1-line block ×3, first 2 shown]
	v_cmp_eq_u32_e64 s0, 1, v7
	v_cmp_lt_i64_e32 vcc_lo, v[1:2], v[3:4]
	v_and_b32_e32 v6, 1, v6
	s_and_b32 vcc_lo, s0, vcc_lo
	v_cmp_eq_u32_e64 s1, 1, v6
	v_cndmask_b32_e32 v3, v3, v1, vcc_lo
	v_cndmask_b32_e32 v4, v4, v2, vcc_lo
	v_cndmask_b32_e64 v5, v5, 1, s1
	v_cndmask_b32_e64 v1, v1, v3, s1
	;; [unrolled: 1-line block ×3, first 2 shown]
	ds_swizzle_b32 v6, v5 offset:swizzle(BROADCAST,32,15)
	ds_swizzle_b32 v3, v1 offset:swizzle(BROADCAST,32,15)
	;; [unrolled: 1-line block ×3, first 2 shown]
	v_and_b32_e32 v7, 1, v5
	v_cmp_eq_u32_e64 s0, 1, v7
	v_mbcnt_lo_u32_b32 v7, -1, 0
	s_waitcnt lgkmcnt(2)
	v_and_b32_e32 v6, 1, v6
	s_waitcnt lgkmcnt(0)
	v_cmp_lt_i64_e32 vcc_lo, v[1:2], v[3:4]
	v_cmp_eq_u32_e64 s1, 1, v6
	v_mov_b32_e32 v6, 0
	s_and_b32 vcc_lo, s0, vcc_lo
	s_mov_b32 s0, exec_lo
	v_cndmask_b32_e32 v3, v3, v1, vcc_lo
	v_cndmask_b32_e32 v4, v4, v2, vcc_lo
	v_cndmask_b32_e64 v5, v5, 1, s1
	v_cndmask_b32_e64 v1, v1, v3, s1
	;; [unrolled: 1-line block ×3, first 2 shown]
	ds_bpermute_b32 v17, v6, v5 offset:124
	ds_bpermute_b32 v1, v6, v1 offset:124
	;; [unrolled: 1-line block ×3, first 2 shown]
	v_cmpx_eq_u32_e32 0, v7
	s_xor_b32 s0, exec_lo, s0
	s_cbranch_execz .LBB106_30
; %bb.29:
	v_lshrrev_b32_e32 v3, 1, v0
	v_and_b32_e32 v3, 0x70, v3
	s_waitcnt lgkmcnt(2)
	ds_write_b8 v3, v17 offset:384
	s_waitcnt lgkmcnt(1)
	ds_write_b64 v3, v[1:2] offset:392
.LBB106_30:
	s_or_b32 exec_lo, exec_lo, s0
	s_mov_b32 s0, exec_lo
	s_waitcnt lgkmcnt(0)
	s_barrier
	buffer_gl0_inv
	v_cmpx_gt_u32_e32 32, v0
	s_cbranch_execz .LBB106_44
; %bb.31:
	v_and_b32_e32 v8, 7, v7
	v_lshlrev_b32_e32 v1, 4, v8
	v_cmp_ne_u32_e32 vcc_lo, 7, v8
	ds_read_u8 v10, v1 offset:384
	ds_read_b64 v[3:4], v1 offset:392
	v_add_co_ci_u32_e64 v2, null, 0, v7, vcc_lo
	v_lshlrev_b32_e32 v2, 2, v2
	s_waitcnt lgkmcnt(1)
	v_and_b32_e32 v1, 0xff, v10
	s_waitcnt lgkmcnt(0)
	ds_bpermute_b32 v5, v2, v3
	ds_bpermute_b32 v6, v2, v4
	;; [unrolled: 1-line block ×3, first 2 shown]
	s_waitcnt lgkmcnt(0)
	v_and_b32_e32 v1, v10, v11
	v_and_b32_e32 v1, 1, v1
	v_cmp_eq_u32_e32 vcc_lo, 1, v1
                                        ; implicit-def: $vgpr1_vgpr2
	s_and_saveexec_b32 s1, vcc_lo
	s_xor_b32 s1, exec_lo, s1
; %bb.32:
	v_cmp_lt_i64_e32 vcc_lo, v[5:6], v[3:4]
                                        ; implicit-def: $vgpr10
                                        ; implicit-def: $vgpr11
	v_cndmask_b32_e32 v2, v4, v6, vcc_lo
	v_cndmask_b32_e32 v1, v3, v5, vcc_lo
                                        ; implicit-def: $vgpr5_vgpr6
                                        ; implicit-def: $vgpr3_vgpr4
; %bb.33:
	s_or_saveexec_b32 s1, s1
	v_mov_b32_e32 v9, 1
	s_xor_b32 exec_lo, exec_lo, s1
; %bb.34:
	v_and_b32_e32 v1, 1, v10
	v_and_b32_e32 v9, 0xff, v11
	v_cmp_eq_u32_e32 vcc_lo, 1, v1
	v_cndmask_b32_e32 v2, v6, v4, vcc_lo
	v_cndmask_b32_e32 v1, v5, v3, vcc_lo
	v_cndmask_b32_e64 v9, v9, 1, vcc_lo
; %bb.35:
	s_or_b32 exec_lo, exec_lo, s1
	v_cmp_gt_u32_e32 vcc_lo, 6, v8
	v_cndmask_b32_e64 v3, 0, 2, vcc_lo
	v_add_lshl_u32 v3, v3, v7, 2
	ds_bpermute_b32 v8, v3, v9
	ds_bpermute_b32 v5, v3, v1
	;; [unrolled: 1-line block ×3, first 2 shown]
	s_waitcnt lgkmcnt(2)
	v_and_b32_e32 v3, v9, v8
	v_and_b32_e32 v3, 1, v3
	v_cmp_eq_u32_e32 vcc_lo, 1, v3
                                        ; implicit-def: $vgpr3_vgpr4
	s_and_saveexec_b32 s1, vcc_lo
	s_xor_b32 s1, exec_lo, s1
	s_cbranch_execz .LBB106_37
; %bb.36:
	s_waitcnt lgkmcnt(0)
	v_cmp_lt_i64_e32 vcc_lo, v[5:6], v[1:2]
                                        ; implicit-def: $vgpr9
                                        ; implicit-def: $vgpr8
	v_cndmask_b32_e32 v4, v2, v6, vcc_lo
	v_cndmask_b32_e32 v3, v1, v5, vcc_lo
                                        ; implicit-def: $vgpr5_vgpr6
                                        ; implicit-def: $vgpr1_vgpr2
.LBB106_37:
	s_or_saveexec_b32 s1, s1
	v_lshlrev_b32_e32 v10, 2, v7
	v_mov_b32_e32 v7, 1
	s_xor_b32 exec_lo, exec_lo, s1
	s_cbranch_execz .LBB106_39
; %bb.38:
	v_and_b32_e32 v3, 1, v9
	v_and_b32_e32 v7, 0xff, v8
	v_cmp_eq_u32_e32 vcc_lo, 1, v3
	s_waitcnt lgkmcnt(0)
	v_cndmask_b32_e32 v4, v6, v2, vcc_lo
	v_cndmask_b32_e32 v3, v5, v1, vcc_lo
	v_cndmask_b32_e64 v7, v7, 1, vcc_lo
.LBB106_39:
	s_or_b32 exec_lo, exec_lo, s1
	v_or_b32_e32 v1, 16, v10
	ds_bpermute_b32 v8, v1, v7
	s_waitcnt lgkmcnt(2)
	ds_bpermute_b32 v5, v1, v3
	s_waitcnt lgkmcnt(2)
	;; [unrolled: 2-line block ×3, first 2 shown]
	v_and_b32_e32 v1, v7, v8
	v_and_b32_e32 v1, 1, v1
	v_cmp_eq_u32_e32 vcc_lo, 1, v1
                                        ; implicit-def: $vgpr1_vgpr2
	s_and_saveexec_b32 s1, vcc_lo
	s_xor_b32 s1, exec_lo, s1
	s_cbranch_execz .LBB106_41
; %bb.40:
	s_waitcnt lgkmcnt(0)
	v_cmp_lt_i64_e32 vcc_lo, v[5:6], v[3:4]
                                        ; implicit-def: $vgpr7
                                        ; implicit-def: $vgpr8
	v_cndmask_b32_e32 v2, v4, v6, vcc_lo
	v_cndmask_b32_e32 v1, v3, v5, vcc_lo
                                        ; implicit-def: $vgpr5_vgpr6
                                        ; implicit-def: $vgpr3_vgpr4
.LBB106_41:
	s_or_saveexec_b32 s1, s1
	v_mov_b32_e32 v17, 1
	s_xor_b32 exec_lo, exec_lo, s1
	s_cbranch_execz .LBB106_43
; %bb.42:
	v_and_b32_e32 v1, 1, v7
	v_cmp_eq_u32_e32 vcc_lo, 1, v1
	s_waitcnt lgkmcnt(0)
	v_cndmask_b32_e32 v2, v6, v4, vcc_lo
	v_cndmask_b32_e32 v1, v5, v3, vcc_lo
	v_cndmask_b32_e64 v17, v8, 1, vcc_lo
.LBB106_43:
	s_or_b32 exec_lo, exec_lo, s1
.LBB106_44:
	s_or_b32 exec_lo, exec_lo, s0
	s_branch .LBB106_199
.LBB106_45:
	s_mov_b32 s10, 0
                                        ; implicit-def: $vgpr3_vgpr4
                                        ; implicit-def: $vgpr5
                                        ; implicit-def: $vgpr1_vgpr2
	s_cbranch_execnz .LBB106_279
	s_branch .LBB106_384
.LBB106_46:
	s_mov_b32 s20, -1
.LBB106_47:
	s_mov_b32 s10, 0
                                        ; implicit-def: $vgpr3_vgpr4
                                        ; implicit-def: $vgpr5
                                        ; implicit-def: $vgpr1_vgpr2
	s_and_b32 vcc_lo, exec_lo, s20
	s_cbranch_vccz .LBB106_204
.LBB106_48:
	s_cmp_eq_u32 s19, 4
	s_cbranch_scc0 .LBB106_75
; %bb.49:
	s_mov_b32 s7, 0
	s_lshl_b32 s8, s6, 10
	s_mov_b32 s9, s7
	s_lshr_b64 s[20:21], s[14:15], 10
	s_lshl_b64 s[0:1], s[8:9], 4
	s_add_u32 s2, s12, s0
	s_addc_u32 s3, s13, s1
	s_cmp_lg_u64 s[20:21], s[6:7]
	s_cbranch_scc0 .LBB106_99
; %bb.50:
	v_lshlrev_b32_e32 v7, 4, v0
	s_waitcnt lgkmcnt(1)
	v_add_co_u32 v5, s0, s2, v7
	s_waitcnt lgkmcnt(0)
	v_add_co_ci_u32_e64 v6, null, s3, 0, s0
	v_add_co_u32 v1, vcc_lo, 0x1000, v5
	v_add_co_ci_u32_e64 v2, null, 0, v6, vcc_lo
	v_add_co_u32 v3, vcc_lo, 0x2000, v5
	s_clause 0x1
	global_load_ubyte v13, v7, s[2:3]
	global_load_ubyte v14, v[1:2], off
	v_add_co_ci_u32_e64 v4, null, 0, v6, vcc_lo
	v_add_co_u32 v5, vcc_lo, 0x3000, v5
	v_add_co_ci_u32_e64 v6, null, 0, v6, vcc_lo
	s_clause 0x5
	global_load_dwordx2 v[9:10], v7, s[2:3] offset:8
	global_load_dwordx2 v[7:8], v[1:2], off offset:8
	global_load_ubyte v12, v[3:4], off
	global_load_dwordx2 v[3:4], v[3:4], off offset:8
	global_load_ubyte v11, v[5:6], off
	global_load_dwordx2 v[1:2], v[5:6], off offset:8
	s_waitcnt vmcnt(6)
	v_and_b32_e32 v5, v14, v13
	v_and_b32_e32 v5, 1, v5
	v_cmp_eq_u32_e32 vcc_lo, 1, v5
                                        ; implicit-def: $vgpr5_vgpr6
	s_and_saveexec_b32 s0, vcc_lo
	s_xor_b32 s0, exec_lo, s0
	s_cbranch_execz .LBB106_52
; %bb.51:
	s_waitcnt vmcnt(4)
	v_cmp_lt_i64_e32 vcc_lo, v[7:8], v[9:10]
                                        ; implicit-def: $vgpr13
                                        ; implicit-def: $vgpr14
	v_cndmask_b32_e32 v6, v10, v8, vcc_lo
	v_cndmask_b32_e32 v5, v9, v7, vcc_lo
                                        ; implicit-def: $vgpr7_vgpr8
                                        ; implicit-def: $vgpr9_vgpr10
.LBB106_52:
	s_or_saveexec_b32 s0, s0
	s_mov_b32 s9, -1
	s_xor_b32 exec_lo, exec_lo, s0
	s_cbranch_execz .LBB106_54
; %bb.53:
	v_and_b32_e32 v5, 1, v13
	v_or_b32_e32 v6, v14, v13
	v_mov_b32_e32 v13, 0
	v_cmp_eq_u32_e32 vcc_lo, 1, v5
	v_cmp_ne_u16_sdwa s1, v6, v13 src0_sel:BYTE_0 src1_sel:DWORD
	s_waitcnt vmcnt(4)
	v_cndmask_b32_e32 v6, v8, v10, vcc_lo
	v_cndmask_b32_e32 v5, v7, v9, vcc_lo
	s_orn2_b32 s9, s1, exec_lo
.LBB106_54:
	s_or_b32 exec_lo, exec_lo, s0
	s_waitcnt vmcnt(3)
	v_and_b32_e32 v7, 1, v12
                                        ; implicit-def: $sgpr1
	v_cmp_eq_u32_e32 vcc_lo, 1, v7
                                        ; implicit-def: $vgpr7_vgpr8
	s_and_b32 s0, s9, vcc_lo
	s_xor_b32 s0, s0, -1
	s_and_saveexec_b32 s11, s0
	s_xor_b32 s0, exec_lo, s11
	s_cbranch_execz .LBB106_56
; %bb.55:
	s_waitcnt vmcnt(2)
	v_cndmask_b32_e64 v8, v4, v6, s9
	v_cndmask_b32_e64 v7, v3, v5, s9
	s_or_b32 s1, s9, vcc_lo
                                        ; implicit-def: $vgpr3_vgpr4
                                        ; implicit-def: $vgpr5_vgpr6
.LBB106_56:
	s_andn2_saveexec_b32 s0, s0
	s_cbranch_execz .LBB106_58
; %bb.57:
	s_waitcnt vmcnt(2)
	v_cmp_lt_i64_e32 vcc_lo, v[3:4], v[5:6]
	s_or_b32 s1, s1, exec_lo
	v_cndmask_b32_e32 v8, v6, v4, vcc_lo
	v_cndmask_b32_e32 v7, v5, v3, vcc_lo
.LBB106_58:
	s_or_b32 exec_lo, exec_lo, s0
	s_waitcnt vmcnt(1)
	v_and_b32_e32 v3, 1, v11
	s_waitcnt vmcnt(0)
	v_cmp_lt_i64_e32 vcc_lo, v[1:2], v[7:8]
	v_cndmask_b32_e64 v5, v11, 1, s1
	v_cmp_eq_u32_e64 s0, 1, v3
	v_and_b32_e32 v6, 0xff, v5
	v_and_b32_e32 v5, 1, v5
	s_and_b32 vcc_lo, s0, vcc_lo
	v_cndmask_b32_e32 v3, v7, v1, vcc_lo
	v_cndmask_b32_e32 v4, v8, v2, vcc_lo
	v_mov_b32_dpp v7, v6 quad_perm:[1,0,3,2] row_mask:0xf bank_mask:0xf
	v_cmp_eq_u32_e64 s0, 1, v5
	v_cndmask_b32_e64 v1, v1, v3, s1
	v_cndmask_b32_e64 v2, v2, v4, s1
	v_and_b32_e32 v5, 1, v7
	v_mov_b32_dpp v3, v1 quad_perm:[1,0,3,2] row_mask:0xf bank_mask:0xf
	v_mov_b32_dpp v4, v2 quad_perm:[1,0,3,2] row_mask:0xf bank_mask:0xf
	v_cmp_lt_i64_e32 vcc_lo, v[1:2], v[3:4]
	s_and_b32 vcc_lo, s0, vcc_lo
	v_cndmask_b32_e32 v3, v3, v1, vcc_lo
	v_cndmask_b32_e32 v4, v4, v2, vcc_lo
	v_cmp_eq_u32_e32 vcc_lo, 1, v5
	v_cndmask_b32_e32 v2, v2, v4, vcc_lo
	v_cndmask_b32_e32 v1, v1, v3, vcc_lo
	v_cndmask_b32_e64 v5, v6, 1, vcc_lo
	v_mov_b32_dpp v4, v2 quad_perm:[2,3,0,1] row_mask:0xf bank_mask:0xf
	v_mov_b32_dpp v3, v1 quad_perm:[2,3,0,1] row_mask:0xf bank_mask:0xf
	v_and_b32_e32 v7, 1, v5
	v_mov_b32_dpp v6, v5 quad_perm:[2,3,0,1] row_mask:0xf bank_mask:0xf
	v_cmp_lt_i64_e32 vcc_lo, v[1:2], v[3:4]
	v_cmp_eq_u32_e64 s0, 1, v7
	v_and_b32_e32 v6, 1, v6
	s_and_b32 vcc_lo, s0, vcc_lo
	v_cmp_eq_u32_e64 s1, 1, v6
	v_cndmask_b32_e32 v3, v3, v1, vcc_lo
	v_cndmask_b32_e32 v4, v4, v2, vcc_lo
	v_cndmask_b32_e64 v5, v5, 1, s1
	v_cndmask_b32_e64 v1, v1, v3, s1
	;; [unrolled: 1-line block ×3, first 2 shown]
	v_and_b32_e32 v7, 1, v5
	v_mov_b32_dpp v3, v1 row_ror:4 row_mask:0xf bank_mask:0xf
	v_mov_b32_dpp v4, v2 row_ror:4 row_mask:0xf bank_mask:0xf
	;; [unrolled: 1-line block ×3, first 2 shown]
	v_cmp_eq_u32_e64 s0, 1, v7
	v_cmp_lt_i64_e32 vcc_lo, v[1:2], v[3:4]
	v_and_b32_e32 v6, 1, v6
	s_and_b32 vcc_lo, s0, vcc_lo
	v_cmp_eq_u32_e64 s1, 1, v6
	v_cndmask_b32_e32 v3, v3, v1, vcc_lo
	v_cndmask_b32_e32 v4, v4, v2, vcc_lo
	v_cndmask_b32_e64 v5, v5, 1, s1
	v_cndmask_b32_e64 v1, v1, v3, s1
	;; [unrolled: 1-line block ×3, first 2 shown]
	v_and_b32_e32 v7, 1, v5
	v_mov_b32_dpp v3, v1 row_ror:8 row_mask:0xf bank_mask:0xf
	v_mov_b32_dpp v4, v2 row_ror:8 row_mask:0xf bank_mask:0xf
	;; [unrolled: 1-line block ×3, first 2 shown]
	v_cmp_eq_u32_e64 s0, 1, v7
	v_cmp_lt_i64_e32 vcc_lo, v[1:2], v[3:4]
	v_and_b32_e32 v6, 1, v6
	s_and_b32 vcc_lo, s0, vcc_lo
	v_cmp_eq_u32_e64 s1, 1, v6
	v_cndmask_b32_e32 v3, v3, v1, vcc_lo
	v_cndmask_b32_e32 v4, v4, v2, vcc_lo
	v_cndmask_b32_e64 v5, v5, 1, s1
	v_cndmask_b32_e64 v1, v1, v3, s1
	;; [unrolled: 1-line block ×3, first 2 shown]
	ds_swizzle_b32 v6, v5 offset:swizzle(BROADCAST,32,15)
	ds_swizzle_b32 v3, v1 offset:swizzle(BROADCAST,32,15)
	;; [unrolled: 1-line block ×3, first 2 shown]
	v_and_b32_e32 v7, 1, v5
	v_cmp_eq_u32_e64 s0, 1, v7
	v_mbcnt_lo_u32_b32 v7, -1, 0
	s_waitcnt lgkmcnt(2)
	v_and_b32_e32 v6, 1, v6
	s_waitcnt lgkmcnt(0)
	v_cmp_lt_i64_e32 vcc_lo, v[1:2], v[3:4]
	v_cmp_eq_u32_e64 s1, 1, v6
	v_mov_b32_e32 v6, 0
	s_and_b32 vcc_lo, s0, vcc_lo
	s_mov_b32 s0, exec_lo
	v_cndmask_b32_e32 v3, v3, v1, vcc_lo
	v_cndmask_b32_e32 v4, v4, v2, vcc_lo
	v_cndmask_b32_e64 v5, v5, 1, s1
	v_cndmask_b32_e64 v1, v1, v3, s1
	;; [unrolled: 1-line block ×3, first 2 shown]
	ds_bpermute_b32 v9, v6, v5 offset:124
	ds_bpermute_b32 v1, v6, v1 offset:124
	;; [unrolled: 1-line block ×3, first 2 shown]
	v_cmpx_eq_u32_e32 0, v7
	s_xor_b32 s0, exec_lo, s0
	s_cbranch_execz .LBB106_60
; %bb.59:
	v_lshrrev_b32_e32 v3, 1, v0
	v_and_b32_e32 v3, 0x70, v3
	s_waitcnt lgkmcnt(2)
	ds_write_b8 v3, v9 offset:256
	s_waitcnt lgkmcnt(1)
	ds_write_b64 v3, v[1:2] offset:264
.LBB106_60:
	s_or_b32 exec_lo, exec_lo, s0
	s_mov_b32 s0, exec_lo
	s_waitcnt lgkmcnt(0)
	s_barrier
	buffer_gl0_inv
	v_cmpx_gt_u32_e32 32, v0
	s_cbranch_execz .LBB106_74
; %bb.61:
	v_and_b32_e32 v8, 7, v7
	v_lshlrev_b32_e32 v1, 4, v8
	v_cmp_ne_u32_e32 vcc_lo, 7, v8
	ds_read_u8 v10, v1 offset:256
	ds_read_b64 v[3:4], v1 offset:264
	v_add_co_ci_u32_e64 v2, null, 0, v7, vcc_lo
	v_lshlrev_b32_e32 v2, 2, v2
	s_waitcnt lgkmcnt(1)
	v_and_b32_e32 v1, 0xff, v10
	s_waitcnt lgkmcnt(0)
	ds_bpermute_b32 v5, v2, v3
	ds_bpermute_b32 v6, v2, v4
	;; [unrolled: 1-line block ×3, first 2 shown]
	s_waitcnt lgkmcnt(0)
	v_and_b32_e32 v1, v10, v11
	v_and_b32_e32 v1, 1, v1
	v_cmp_eq_u32_e32 vcc_lo, 1, v1
                                        ; implicit-def: $vgpr1_vgpr2
	s_and_saveexec_b32 s1, vcc_lo
	s_xor_b32 s1, exec_lo, s1
; %bb.62:
	v_cmp_lt_i64_e32 vcc_lo, v[5:6], v[3:4]
                                        ; implicit-def: $vgpr10
                                        ; implicit-def: $vgpr11
	v_cndmask_b32_e32 v2, v4, v6, vcc_lo
	v_cndmask_b32_e32 v1, v3, v5, vcc_lo
                                        ; implicit-def: $vgpr5_vgpr6
                                        ; implicit-def: $vgpr3_vgpr4
; %bb.63:
	s_or_saveexec_b32 s1, s1
	v_mov_b32_e32 v9, 1
	s_xor_b32 exec_lo, exec_lo, s1
; %bb.64:
	v_and_b32_e32 v1, 1, v10
	v_and_b32_e32 v9, 0xff, v11
	v_cmp_eq_u32_e32 vcc_lo, 1, v1
	v_cndmask_b32_e32 v2, v6, v4, vcc_lo
	v_cndmask_b32_e32 v1, v5, v3, vcc_lo
	v_cndmask_b32_e64 v9, v9, 1, vcc_lo
; %bb.65:
	s_or_b32 exec_lo, exec_lo, s1
	v_cmp_gt_u32_e32 vcc_lo, 6, v8
	v_cndmask_b32_e64 v3, 0, 2, vcc_lo
	v_add_lshl_u32 v3, v3, v7, 2
	ds_bpermute_b32 v8, v3, v9
	ds_bpermute_b32 v5, v3, v1
	;; [unrolled: 1-line block ×3, first 2 shown]
	s_waitcnt lgkmcnt(2)
	v_and_b32_e32 v3, v9, v8
	v_and_b32_e32 v3, 1, v3
	v_cmp_eq_u32_e32 vcc_lo, 1, v3
                                        ; implicit-def: $vgpr3_vgpr4
	s_and_saveexec_b32 s1, vcc_lo
	s_xor_b32 s1, exec_lo, s1
	s_cbranch_execz .LBB106_67
; %bb.66:
	s_waitcnt lgkmcnt(0)
	v_cmp_lt_i64_e32 vcc_lo, v[5:6], v[1:2]
                                        ; implicit-def: $vgpr9
                                        ; implicit-def: $vgpr8
	v_cndmask_b32_e32 v4, v2, v6, vcc_lo
	v_cndmask_b32_e32 v3, v1, v5, vcc_lo
                                        ; implicit-def: $vgpr5_vgpr6
                                        ; implicit-def: $vgpr1_vgpr2
.LBB106_67:
	s_or_saveexec_b32 s1, s1
	v_lshlrev_b32_e32 v10, 2, v7
	v_mov_b32_e32 v7, 1
	s_xor_b32 exec_lo, exec_lo, s1
	s_cbranch_execz .LBB106_69
; %bb.68:
	v_and_b32_e32 v3, 1, v9
	v_and_b32_e32 v7, 0xff, v8
	v_cmp_eq_u32_e32 vcc_lo, 1, v3
	s_waitcnt lgkmcnt(0)
	v_cndmask_b32_e32 v4, v6, v2, vcc_lo
	v_cndmask_b32_e32 v3, v5, v1, vcc_lo
	v_cndmask_b32_e64 v7, v7, 1, vcc_lo
.LBB106_69:
	s_or_b32 exec_lo, exec_lo, s1
	v_or_b32_e32 v1, 16, v10
	ds_bpermute_b32 v8, v1, v7
	s_waitcnt lgkmcnt(2)
	ds_bpermute_b32 v5, v1, v3
	s_waitcnt lgkmcnt(2)
	;; [unrolled: 2-line block ×3, first 2 shown]
	v_and_b32_e32 v1, v7, v8
	v_and_b32_e32 v1, 1, v1
	v_cmp_eq_u32_e32 vcc_lo, 1, v1
                                        ; implicit-def: $vgpr1_vgpr2
	s_and_saveexec_b32 s1, vcc_lo
	s_xor_b32 s1, exec_lo, s1
	s_cbranch_execz .LBB106_71
; %bb.70:
	s_waitcnt lgkmcnt(0)
	v_cmp_lt_i64_e32 vcc_lo, v[5:6], v[3:4]
                                        ; implicit-def: $vgpr7
                                        ; implicit-def: $vgpr8
	v_cndmask_b32_e32 v2, v4, v6, vcc_lo
	v_cndmask_b32_e32 v1, v3, v5, vcc_lo
                                        ; implicit-def: $vgpr5_vgpr6
                                        ; implicit-def: $vgpr3_vgpr4
.LBB106_71:
	s_or_saveexec_b32 s1, s1
	v_mov_b32_e32 v9, 1
	s_xor_b32 exec_lo, exec_lo, s1
	s_cbranch_execz .LBB106_73
; %bb.72:
	v_and_b32_e32 v1, 1, v7
	v_cmp_eq_u32_e32 vcc_lo, 1, v1
	s_waitcnt lgkmcnt(0)
	v_cndmask_b32_e32 v2, v6, v4, vcc_lo
	v_cndmask_b32_e32 v1, v5, v3, vcc_lo
	v_cndmask_b32_e64 v9, v8, 1, vcc_lo
.LBB106_73:
	s_or_b32 exec_lo, exec_lo, s1
.LBB106_74:
	s_or_b32 exec_lo, exec_lo, s0
	s_branch .LBB106_274
.LBB106_75:
                                        ; implicit-def: $vgpr3_vgpr4
                                        ; implicit-def: $vgpr5
                                        ; implicit-def: $vgpr1_vgpr2
	s_branch .LBB106_384
.LBB106_76:
                                        ; implicit-def: $vgpr1_vgpr2
                                        ; implicit-def: $vgpr17
	s_cbranch_execz .LBB106_199
; %bb.77:
	v_mov_b32_e32 v15, 0
	v_mov_b32_e32 v1, 0
	;; [unrolled: 1-line block ×6, first 2 shown]
	s_sub_i32 s21, s14, s2
	s_mov_b32 s0, exec_lo
	v_cmpx_gt_u32_e64 s21, v0
	s_cbranch_execz .LBB106_79
; %bb.78:
	v_lshlrev_b32_e32 v1, 4, v0
	s_clause 0x1
	global_load_ubyte v17, v1, s[10:11]
	global_load_dwordx2 v[1:2], v1, s[10:11] offset:8
.LBB106_79:
	s_or_b32 exec_lo, exec_lo, s0
	v_or_b32_e32 v3, 0x100, v0
	v_cmp_gt_u32_e64 s9, s21, v3
	s_and_saveexec_b32 s0, s9
	s_cbranch_execz .LBB106_81
; %bb.80:
	v_lshlrev_b32_e32 v3, 4, v3
	s_clause 0x1
	global_load_ubyte v24, v3, s[10:11]
	global_load_dwordx2 v[15:16], v3, s[10:11] offset:8
.LBB106_81:
	s_or_b32 exec_lo, exec_lo, s0
	v_or_b32_e32 v3, 0x200, v0
	v_mov_b32_e32 v11, 0
	v_mov_b32_e32 v13, 0
	;; [unrolled: 1-line block ×5, first 2 shown]
	v_cmp_gt_u32_e64 s8, s21, v3
	v_mov_b32_e32 v23, 0
	s_and_saveexec_b32 s0, s8
	s_cbranch_execz .LBB106_83
; %bb.82:
	v_lshlrev_b32_e32 v3, 4, v3
	s_clause 0x1
	global_load_ubyte v23, v3, s[10:11]
	global_load_dwordx2 v[13:14], v3, s[10:11] offset:8
.LBB106_83:
	s_or_b32 exec_lo, exec_lo, s0
	v_or_b32_e32 v3, 0x300, v0
	v_cmp_gt_u32_e64 s3, s21, v3
	s_and_saveexec_b32 s0, s3
	s_cbranch_execz .LBB106_85
; %bb.84:
	v_lshlrev_b32_e32 v3, 4, v3
	s_clause 0x1
	global_load_ubyte v22, v3, s[10:11]
	global_load_dwordx2 v[11:12], v3, s[10:11] offset:8
.LBB106_85:
	s_or_b32 exec_lo, exec_lo, s0
	v_or_b32_e32 v3, 0x400, v0
	v_mov_b32_e32 v7, 0
	v_mov_b32_e32 v9, 0
	;; [unrolled: 1-line block ×5, first 2 shown]
	v_cmp_gt_u32_e64 s2, s21, v3
	v_mov_b32_e32 v21, 0
	s_and_saveexec_b32 s0, s2
	s_cbranch_execz .LBB106_87
; %bb.86:
	v_lshlrev_b32_e32 v3, 4, v3
	s_clause 0x1
	global_load_ubyte v21, v3, s[10:11]
	global_load_dwordx2 v[9:10], v3, s[10:11] offset:8
.LBB106_87:
	s_or_b32 exec_lo, exec_lo, s0
	v_or_b32_e32 v3, 0x500, v0
	v_cmp_gt_u32_e64 s1, s21, v3
	s_and_saveexec_b32 s0, s1
	s_cbranch_execz .LBB106_89
; %bb.88:
	v_lshlrev_b32_e32 v3, 4, v3
	s_clause 0x1
	global_load_ubyte v20, v3, s[10:11]
	global_load_dwordx2 v[7:8], v3, s[10:11] offset:8
.LBB106_89:
	s_or_b32 exec_lo, exec_lo, s0
	v_or_b32_e32 v25, 0x600, v0
	v_mov_b32_e32 v3, 0
	s_waitcnt lgkmcnt(0)
	v_mov_b32_e32 v5, 0
	v_mov_b32_e32 v4, 0
	v_mov_b32_e32 v18, 0
	v_mov_b32_e32 v6, 0
	v_cmp_gt_u32_e64 s0, s21, v25
	v_mov_b32_e32 v19, 0
	s_and_saveexec_b32 s22, s0
	s_cbranch_execz .LBB106_91
; %bb.90:
	v_lshlrev_b32_e32 v5, 4, v25
	s_clause 0x1
	global_load_ubyte v19, v5, s[10:11]
	global_load_dwordx2 v[5:6], v5, s[10:11] offset:8
.LBB106_91:
	s_or_b32 exec_lo, exec_lo, s22
	v_or_b32_e32 v25, 0x700, v0
	v_cmp_gt_u32_e32 vcc_lo, s21, v25
	s_and_saveexec_b32 s22, vcc_lo
	s_cbranch_execnz .LBB106_110
; %bb.92:
	s_or_b32 exec_lo, exec_lo, s22
	s_and_saveexec_b32 s11, s9
	s_cbranch_execnz .LBB106_111
.LBB106_93:
	s_or_b32 exec_lo, exec_lo, s11
	s_and_saveexec_b32 s10, s8
	s_cbranch_execnz .LBB106_116
.LBB106_94:
	s_or_b32 exec_lo, exec_lo, s10
	s_and_saveexec_b32 s9, s3
	s_cbranch_execnz .LBB106_121
.LBB106_95:
	s_or_b32 exec_lo, exec_lo, s9
	s_and_saveexec_b32 s8, s2
	s_cbranch_execnz .LBB106_126
.LBB106_96:
	s_or_b32 exec_lo, exec_lo, s8
	s_and_saveexec_b32 s3, s1
	s_cbranch_execnz .LBB106_131
.LBB106_97:
	s_or_b32 exec_lo, exec_lo, s3
	s_and_saveexec_b32 s2, s0
	s_cbranch_execnz .LBB106_136
.LBB106_98:
	s_or_b32 exec_lo, exec_lo, s2
	s_and_saveexec_b32 s1, vcc_lo
	s_cbranch_execnz .LBB106_141
	s_branch .LBB106_146
.LBB106_99:
                                        ; implicit-def: $vgpr1_vgpr2
                                        ; implicit-def: $vgpr9
	s_cbranch_execz .LBB106_274
; %bb.100:
	v_mov_b32_e32 v7, 0
	v_mov_b32_e32 v1, 0
	;; [unrolled: 1-line block ×6, first 2 shown]
	s_sub_i32 s8, s14, s8
	s_mov_b32 s0, exec_lo
	v_cmpx_gt_u32_e64 s8, v0
	s_cbranch_execz .LBB106_102
; %bb.101:
	v_lshlrev_b32_e32 v1, 4, v0
	s_clause 0x1
	global_load_ubyte v9, v1, s[2:3]
	global_load_dwordx2 v[1:2], v1, s[2:3] offset:8
.LBB106_102:
	s_or_b32 exec_lo, exec_lo, s0
	s_waitcnt lgkmcnt(1)
	v_or_b32_e32 v3, 0x100, v0
	v_cmp_gt_u32_e64 s1, s8, v3
	s_and_saveexec_b32 s0, s1
	s_cbranch_execz .LBB106_104
; %bb.103:
	v_lshlrev_b32_e32 v3, 4, v3
	s_clause 0x1
	global_load_ubyte v12, v3, s[2:3]
	global_load_dwordx2 v[7:8], v3, s[2:3] offset:8
.LBB106_104:
	s_or_b32 exec_lo, exec_lo, s0
	v_or_b32_e32 v13, 0x200, v0
	s_waitcnt lgkmcnt(0)
	v_mov_b32_e32 v3, 0
	v_mov_b32_e32 v5, 0
	;; [unrolled: 1-line block ×5, first 2 shown]
	v_cmp_gt_u32_e64 s0, s8, v13
	v_mov_b32_e32 v11, 0
	s_and_saveexec_b32 s9, s0
	s_cbranch_execz .LBB106_106
; %bb.105:
	v_lshlrev_b32_e32 v5, 4, v13
	s_clause 0x1
	global_load_ubyte v11, v5, s[2:3]
	global_load_dwordx2 v[5:6], v5, s[2:3] offset:8
.LBB106_106:
	s_or_b32 exec_lo, exec_lo, s9
	v_or_b32_e32 v13, 0x300, v0
	v_cmp_gt_u32_e32 vcc_lo, s8, v13
	s_and_saveexec_b32 s9, vcc_lo
	s_cbranch_execnz .LBB106_205
; %bb.107:
	s_or_b32 exec_lo, exec_lo, s9
	s_and_saveexec_b32 s3, s1
	s_cbranch_execnz .LBB106_206
.LBB106_108:
	s_or_b32 exec_lo, exec_lo, s3
	s_and_saveexec_b32 s2, s0
	s_cbranch_execnz .LBB106_211
.LBB106_109:
	s_or_b32 exec_lo, exec_lo, s2
	s_and_saveexec_b32 s1, vcc_lo
	s_cbranch_execnz .LBB106_216
	s_branch .LBB106_221
.LBB106_110:
	v_lshlrev_b32_e32 v3, 4, v25
	s_clause 0x1
	global_load_ubyte v18, v3, s[10:11]
	global_load_dwordx2 v[3:4], v3, s[10:11] offset:8
	s_or_b32 exec_lo, exec_lo, s22
	s_and_saveexec_b32 s11, s9
	s_cbranch_execz .LBB106_93
.LBB106_111:
	s_waitcnt vmcnt(1)
	v_and_b32_e32 v17, 1, v17
	v_and_b32_e32 v25, 1, v24
	v_cmp_eq_u32_e64 s9, 1, v17
	v_cmp_eq_u32_e64 s10, 1, v25
                                        ; implicit-def: $vgpr17
	s_and_b32 s10, s9, s10
	s_xor_b32 s10, s10, -1
	s_and_saveexec_b32 s22, s10
	s_xor_b32 s10, exec_lo, s22
	s_cbranch_execz .LBB106_113
; %bb.112:
	v_and_b32_e32 v17, 0xff, v24
	s_waitcnt vmcnt(0)
	v_cndmask_b32_e64 v2, v16, v2, s9
	v_cndmask_b32_e64 v1, v15, v1, s9
                                        ; implicit-def: $vgpr15_vgpr16
	v_cndmask_b32_e64 v17, v17, 1, s9
.LBB106_113:
	s_andn2_saveexec_b32 s10, s10
	s_cbranch_execz .LBB106_115
; %bb.114:
	s_waitcnt vmcnt(0)
	v_cmp_lt_i64_e64 s9, v[15:16], v[1:2]
	v_mov_b32_e32 v17, 1
	v_cndmask_b32_e64 v2, v2, v16, s9
	v_cndmask_b32_e64 v1, v1, v15, s9
.LBB106_115:
	s_or_b32 exec_lo, exec_lo, s10
	s_or_b32 exec_lo, exec_lo, s11
	s_and_saveexec_b32 s10, s8
	s_cbranch_execz .LBB106_94
.LBB106_116:
	s_waitcnt vmcnt(0)
	v_and_b32_e32 v15, 1, v17
	v_and_b32_e32 v16, 1, v23
                                        ; implicit-def: $vgpr17
	v_cmp_eq_u32_e64 s8, 1, v15
	v_cmp_eq_u32_e64 s9, 1, v16
	s_and_b32 s9, s8, s9
	s_xor_b32 s9, s9, -1
	s_and_saveexec_b32 s11, s9
	s_xor_b32 s9, exec_lo, s11
; %bb.117:
	v_and_b32_e32 v15, 0xff, v23
	v_cndmask_b32_e64 v2, v14, v2, s8
	v_cndmask_b32_e64 v1, v13, v1, s8
                                        ; implicit-def: $vgpr13_vgpr14
	v_cndmask_b32_e64 v17, v15, 1, s8
; %bb.118:
	s_andn2_saveexec_b32 s9, s9
; %bb.119:
	v_cmp_lt_i64_e64 s8, v[13:14], v[1:2]
	v_mov_b32_e32 v17, 1
	v_cndmask_b32_e64 v2, v2, v14, s8
	v_cndmask_b32_e64 v1, v1, v13, s8
; %bb.120:
	s_or_b32 exec_lo, exec_lo, s9
	s_or_b32 exec_lo, exec_lo, s10
	s_and_saveexec_b32 s9, s3
	s_cbranch_execz .LBB106_95
.LBB106_121:
	s_waitcnt vmcnt(0)
	v_and_b32_e32 v13, 1, v17
	v_and_b32_e32 v14, 1, v22
                                        ; implicit-def: $vgpr17
	v_cmp_eq_u32_e64 s3, 1, v13
	v_cmp_eq_u32_e64 s8, 1, v14
	s_and_b32 s8, s3, s8
	s_xor_b32 s8, s8, -1
	s_and_saveexec_b32 s10, s8
	s_xor_b32 s8, exec_lo, s10
; %bb.122:
	v_and_b32_e32 v13, 0xff, v22
	v_cndmask_b32_e64 v2, v12, v2, s3
	v_cndmask_b32_e64 v1, v11, v1, s3
                                        ; implicit-def: $vgpr11_vgpr12
	v_cndmask_b32_e64 v17, v13, 1, s3
; %bb.123:
	s_andn2_saveexec_b32 s8, s8
; %bb.124:
	v_cmp_lt_i64_e64 s3, v[11:12], v[1:2]
	v_mov_b32_e32 v17, 1
	v_cndmask_b32_e64 v2, v2, v12, s3
	v_cndmask_b32_e64 v1, v1, v11, s3
; %bb.125:
	s_or_b32 exec_lo, exec_lo, s8
	s_or_b32 exec_lo, exec_lo, s9
	s_and_saveexec_b32 s8, s2
	s_cbranch_execz .LBB106_96
.LBB106_126:
	s_waitcnt vmcnt(0)
	v_and_b32_e32 v11, 1, v17
	v_and_b32_e32 v12, 1, v21
                                        ; implicit-def: $vgpr17
	v_cmp_eq_u32_e64 s2, 1, v11
	v_cmp_eq_u32_e64 s3, 1, v12
	s_and_b32 s3, s2, s3
	s_xor_b32 s3, s3, -1
	s_and_saveexec_b32 s9, s3
	s_xor_b32 s3, exec_lo, s9
; %bb.127:
	v_and_b32_e32 v11, 0xff, v21
	v_cndmask_b32_e64 v2, v10, v2, s2
	v_cndmask_b32_e64 v1, v9, v1, s2
                                        ; implicit-def: $vgpr9_vgpr10
	v_cndmask_b32_e64 v17, v11, 1, s2
; %bb.128:
	s_andn2_saveexec_b32 s3, s3
; %bb.129:
	v_cmp_lt_i64_e64 s2, v[9:10], v[1:2]
	v_mov_b32_e32 v17, 1
	v_cndmask_b32_e64 v2, v2, v10, s2
	v_cndmask_b32_e64 v1, v1, v9, s2
; %bb.130:
	s_or_b32 exec_lo, exec_lo, s3
	s_or_b32 exec_lo, exec_lo, s8
	s_and_saveexec_b32 s3, s1
	s_cbranch_execz .LBB106_97
.LBB106_131:
	s_waitcnt vmcnt(0)
	v_and_b32_e32 v9, 1, v17
	v_and_b32_e32 v10, 1, v20
                                        ; implicit-def: $vgpr17
	v_cmp_eq_u32_e64 s1, 1, v9
	v_cmp_eq_u32_e64 s2, 1, v10
	s_and_b32 s2, s1, s2
	s_xor_b32 s2, s2, -1
	s_and_saveexec_b32 s8, s2
	s_xor_b32 s2, exec_lo, s8
; %bb.132:
	v_and_b32_e32 v9, 0xff, v20
	v_cndmask_b32_e64 v2, v8, v2, s1
	v_cndmask_b32_e64 v1, v7, v1, s1
                                        ; implicit-def: $vgpr7_vgpr8
	v_cndmask_b32_e64 v17, v9, 1, s1
; %bb.133:
	s_andn2_saveexec_b32 s2, s2
; %bb.134:
	v_cmp_lt_i64_e64 s1, v[7:8], v[1:2]
	v_mov_b32_e32 v17, 1
	v_cndmask_b32_e64 v2, v2, v8, s1
	v_cndmask_b32_e64 v1, v1, v7, s1
; %bb.135:
	s_or_b32 exec_lo, exec_lo, s2
	s_or_b32 exec_lo, exec_lo, s3
	s_and_saveexec_b32 s2, s0
	s_cbranch_execz .LBB106_98
.LBB106_136:
	s_waitcnt vmcnt(0)
	v_and_b32_e32 v7, 1, v17
	v_and_b32_e32 v8, 1, v19
                                        ; implicit-def: $vgpr17
	v_cmp_eq_u32_e64 s0, 1, v7
	v_cmp_eq_u32_e64 s1, 1, v8
	s_and_b32 s1, s0, s1
	s_xor_b32 s1, s1, -1
	s_and_saveexec_b32 s3, s1
	s_xor_b32 s1, exec_lo, s3
; %bb.137:
	v_and_b32_e32 v7, 0xff, v19
	v_cndmask_b32_e64 v2, v6, v2, s0
	v_cndmask_b32_e64 v1, v5, v1, s0
                                        ; implicit-def: $vgpr5_vgpr6
	v_cndmask_b32_e64 v17, v7, 1, s0
; %bb.138:
	s_andn2_saveexec_b32 s1, s1
; %bb.139:
	v_cmp_lt_i64_e64 s0, v[5:6], v[1:2]
	v_mov_b32_e32 v17, 1
	v_cndmask_b32_e64 v2, v2, v6, s0
	v_cndmask_b32_e64 v1, v1, v5, s0
; %bb.140:
	s_or_b32 exec_lo, exec_lo, s1
	s_or_b32 exec_lo, exec_lo, s2
	s_and_saveexec_b32 s1, vcc_lo
	s_cbranch_execz .LBB106_146
.LBB106_141:
	s_waitcnt vmcnt(0)
	v_and_b32_e32 v5, 1, v17
	v_and_b32_e32 v6, 1, v18
                                        ; implicit-def: $vgpr17
	v_cmp_eq_u32_e32 vcc_lo, 1, v5
	v_cmp_eq_u32_e64 s0, 1, v6
	s_and_b32 s0, vcc_lo, s0
	s_xor_b32 s0, s0, -1
	s_and_saveexec_b32 s2, s0
	s_xor_b32 s0, exec_lo, s2
; %bb.142:
	v_and_b32_e32 v5, 0xff, v18
	v_cndmask_b32_e32 v2, v4, v2, vcc_lo
	v_cndmask_b32_e32 v1, v3, v1, vcc_lo
                                        ; implicit-def: $vgpr3_vgpr4
	v_cndmask_b32_e64 v17, v5, 1, vcc_lo
; %bb.143:
	s_andn2_saveexec_b32 s0, s0
; %bb.144:
	v_cmp_lt_i64_e32 vcc_lo, v[3:4], v[1:2]
	v_mov_b32_e32 v17, 1
	v_cndmask_b32_e32 v2, v2, v4, vcc_lo
	v_cndmask_b32_e32 v1, v1, v3, vcc_lo
; %bb.145:
	s_or_b32 exec_lo, exec_lo, s0
.LBB106_146:
	s_or_b32 exec_lo, exec_lo, s1
	s_waitcnt vmcnt(0)
	v_mbcnt_lo_u32_b32 v5, -1, 0
	v_and_b32_e32 v6, 0xe0, v0
	s_min_u32 s0, s21, 0x100
	s_mov_b32 s1, exec_lo
	v_cmp_ne_u32_e32 vcc_lo, 31, v5
	v_sub_nc_u32_e64 v6, s0, v6 clamp
	v_add_nc_u32_e32 v8, 1, v5
	v_add_co_ci_u32_e64 v3, null, 0, v5, vcc_lo
	v_lshlrev_b32_e32 v4, 2, v3
	ds_bpermute_b32 v7, v4, v17
	ds_bpermute_b32 v3, v4, v1
	;; [unrolled: 1-line block ×3, first 2 shown]
	v_cmpx_lt_u32_e64 v8, v6
	s_xor_b32 s1, exec_lo, s1
	s_cbranch_execz .LBB106_152
; %bb.147:
	s_waitcnt lgkmcnt(2)
	v_and_b32_e32 v8, v7, v17
	s_mov_b32 s2, exec_lo
	v_cmpx_ne_u32_e32 0, v8
	s_xor_b32 s2, exec_lo, s2
	s_cbranch_execz .LBB106_149
; %bb.148:
	s_waitcnt lgkmcnt(0)
	v_cmp_lt_i64_e32 vcc_lo, v[3:4], v[1:2]
                                        ; implicit-def: $vgpr17
                                        ; implicit-def: $vgpr7
	v_cndmask_b32_e32 v2, v2, v4, vcc_lo
	v_cndmask_b32_e32 v1, v1, v3, vcc_lo
                                        ; implicit-def: $vgpr3_vgpr4
.LBB106_149:
	s_or_saveexec_b32 s2, s2
	v_mov_b32_e32 v8, 1
	s_xor_b32 exec_lo, exec_lo, s2
	s_cbranch_execz .LBB106_151
; %bb.150:
	v_and_b32_e32 v8, 1, v17
	v_and_b32_e32 v7, 0xff, v7
	v_cmp_eq_u32_e32 vcc_lo, 1, v8
	s_waitcnt lgkmcnt(0)
	v_cndmask_b32_e32 v2, v4, v2, vcc_lo
	v_cndmask_b32_e32 v1, v3, v1, vcc_lo
	v_cndmask_b32_e64 v8, v7, 1, vcc_lo
.LBB106_151:
	s_or_b32 exec_lo, exec_lo, s2
	v_mov_b32_e32 v17, v8
.LBB106_152:
	s_or_b32 exec_lo, exec_lo, s1
	v_cmp_gt_u32_e32 vcc_lo, 30, v5
	v_add_nc_u32_e32 v8, 2, v5
	s_mov_b32 s1, exec_lo
	s_waitcnt lgkmcnt(1)
	v_cndmask_b32_e64 v3, 0, 2, vcc_lo
	s_waitcnt lgkmcnt(0)
	v_add_lshl_u32 v4, v3, v5, 2
	ds_bpermute_b32 v7, v4, v17
	ds_bpermute_b32 v3, v4, v1
	ds_bpermute_b32 v4, v4, v2
	v_cmpx_lt_u32_e64 v8, v6
	s_cbranch_execz .LBB106_158
; %bb.153:
	s_waitcnt lgkmcnt(2)
	v_and_b32_e32 v8, v17, v7
	s_mov_b32 s2, exec_lo
	v_and_b32_e32 v8, 1, v8
	v_cmpx_eq_u32_e32 1, v8
	s_xor_b32 s2, exec_lo, s2
	s_cbranch_execz .LBB106_155
; %bb.154:
	s_waitcnt lgkmcnt(0)
	v_cmp_lt_i64_e32 vcc_lo, v[3:4], v[1:2]
                                        ; implicit-def: $vgpr17
                                        ; implicit-def: $vgpr7
	v_cndmask_b32_e32 v2, v2, v4, vcc_lo
	v_cndmask_b32_e32 v1, v1, v3, vcc_lo
                                        ; implicit-def: $vgpr3_vgpr4
.LBB106_155:
	s_or_saveexec_b32 s2, s2
	v_mov_b32_e32 v8, 1
	s_xor_b32 exec_lo, exec_lo, s2
	s_cbranch_execz .LBB106_157
; %bb.156:
	v_and_b32_e32 v8, 1, v17
	v_and_b32_e32 v7, 0xff, v7
	v_cmp_eq_u32_e32 vcc_lo, 1, v8
	s_waitcnt lgkmcnt(0)
	v_cndmask_b32_e32 v2, v4, v2, vcc_lo
	v_cndmask_b32_e32 v1, v3, v1, vcc_lo
	v_cndmask_b32_e64 v8, v7, 1, vcc_lo
.LBB106_157:
	s_or_b32 exec_lo, exec_lo, s2
	v_mov_b32_e32 v17, v8
.LBB106_158:
	s_or_b32 exec_lo, exec_lo, s1
	v_cmp_gt_u32_e32 vcc_lo, 28, v5
	v_add_nc_u32_e32 v8, 4, v5
	s_mov_b32 s1, exec_lo
	s_waitcnt lgkmcnt(1)
	v_cndmask_b32_e64 v3, 0, 4, vcc_lo
	s_waitcnt lgkmcnt(0)
	v_add_lshl_u32 v4, v3, v5, 2
	ds_bpermute_b32 v7, v4, v17
	ds_bpermute_b32 v3, v4, v1
	ds_bpermute_b32 v4, v4, v2
	v_cmpx_lt_u32_e64 v8, v6
	s_cbranch_execz .LBB106_164
; %bb.159:
	s_waitcnt lgkmcnt(2)
	v_and_b32_e32 v8, v17, v7
	s_mov_b32 s2, exec_lo
	v_and_b32_e32 v8, 1, v8
	v_cmpx_eq_u32_e32 1, v8
	s_xor_b32 s2, exec_lo, s2
	s_cbranch_execz .LBB106_161
; %bb.160:
	s_waitcnt lgkmcnt(0)
	v_cmp_lt_i64_e32 vcc_lo, v[3:4], v[1:2]
                                        ; implicit-def: $vgpr17
                                        ; implicit-def: $vgpr7
	v_cndmask_b32_e32 v2, v2, v4, vcc_lo
	v_cndmask_b32_e32 v1, v1, v3, vcc_lo
                                        ; implicit-def: $vgpr3_vgpr4
.LBB106_161:
	s_or_saveexec_b32 s2, s2
	v_mov_b32_e32 v8, 1
	s_xor_b32 exec_lo, exec_lo, s2
	s_cbranch_execz .LBB106_163
; %bb.162:
	v_and_b32_e32 v8, 1, v17
	v_and_b32_e32 v7, 0xff, v7
	v_cmp_eq_u32_e32 vcc_lo, 1, v8
	s_waitcnt lgkmcnt(0)
	v_cndmask_b32_e32 v2, v4, v2, vcc_lo
	v_cndmask_b32_e32 v1, v3, v1, vcc_lo
	v_cndmask_b32_e64 v8, v7, 1, vcc_lo
.LBB106_163:
	s_or_b32 exec_lo, exec_lo, s2
	v_mov_b32_e32 v17, v8
.LBB106_164:
	;; [unrolled: 46-line block ×3, first 2 shown]
	s_or_b32 exec_lo, exec_lo, s1
	s_waitcnt lgkmcnt(2)
	v_lshlrev_b32_e32 v7, 2, v5
	v_add_nc_u32_e32 v9, 16, v5
	s_waitcnt lgkmcnt(0)
	v_or_b32_e32 v4, 64, v7
	v_cmp_lt_u32_e32 vcc_lo, v9, v6
	v_mov_b32_e32 v6, v17
	ds_bpermute_b32 v8, v4, v17
	ds_bpermute_b32 v3, v4, v1
	ds_bpermute_b32 v4, v4, v2
	s_and_saveexec_b32 s1, vcc_lo
	s_cbranch_execz .LBB106_176
; %bb.171:
	s_waitcnt lgkmcnt(2)
	v_and_b32_e32 v6, v17, v8
	s_mov_b32 s2, exec_lo
	v_and_b32_e32 v6, 1, v6
	v_cmpx_eq_u32_e32 1, v6
	s_xor_b32 s2, exec_lo, s2
	s_cbranch_execz .LBB106_173
; %bb.172:
	s_waitcnt lgkmcnt(0)
	v_cmp_lt_i64_e32 vcc_lo, v[3:4], v[1:2]
                                        ; implicit-def: $vgpr17
                                        ; implicit-def: $vgpr8
	v_cndmask_b32_e32 v2, v2, v4, vcc_lo
	v_cndmask_b32_e32 v1, v1, v3, vcc_lo
                                        ; implicit-def: $vgpr3_vgpr4
.LBB106_173:
	s_or_saveexec_b32 s2, s2
	v_mov_b32_e32 v6, 1
	s_xor_b32 exec_lo, exec_lo, s2
	s_cbranch_execz .LBB106_175
; %bb.174:
	v_and_b32_e32 v6, 1, v17
	v_cmp_eq_u32_e32 vcc_lo, 1, v6
	v_cndmask_b32_e64 v6, v8, 1, vcc_lo
	s_waitcnt lgkmcnt(0)
	v_cndmask_b32_e32 v2, v4, v2, vcc_lo
	v_cndmask_b32_e32 v1, v3, v1, vcc_lo
.LBB106_175:
	s_or_b32 exec_lo, exec_lo, s2
	v_and_b32_e32 v17, 0xff, v6
.LBB106_176:
	s_or_b32 exec_lo, exec_lo, s1
	s_mov_b32 s1, exec_lo
	v_cmpx_eq_u32_e32 0, v5
	s_cbranch_execz .LBB106_178
; %bb.177:
	s_waitcnt lgkmcnt(1)
	v_lshrrev_b32_e32 v3, 1, v0
	v_and_b32_e32 v3, 0x70, v3
	ds_write_b8 v3, v6 offset:512
	ds_write_b64 v3, v[1:2] offset:520
.LBB106_178:
	s_or_b32 exec_lo, exec_lo, s1
	s_mov_b32 s1, exec_lo
	s_waitcnt lgkmcnt(0)
	s_barrier
	buffer_gl0_inv
	v_cmpx_gt_u32_e32 8, v0
	s_cbranch_execz .LBB106_198
; %bb.179:
	v_lshlrev_b32_e32 v1, 4, v5
	v_and_b32_e32 v6, 7, v5
	s_add_i32 s0, s0, 31
	s_mov_b32 s2, exec_lo
	s_lshr_b32 s0, s0, 5
	ds_read_u8 v8, v1 offset:512
	ds_read_b64 v[1:2], v1 offset:520
	v_cmp_ne_u32_e32 vcc_lo, 7, v6
	v_add_nc_u32_e32 v10, 1, v6
	v_add_co_ci_u32_e64 v3, null, 0, v5, vcc_lo
	v_lshlrev_b32_e32 v4, 2, v3
	s_waitcnt lgkmcnt(1)
	v_and_b32_e32 v17, 0xff, v8
	s_waitcnt lgkmcnt(0)
	ds_bpermute_b32 v3, v4, v1
	ds_bpermute_b32 v9, v4, v17
	;; [unrolled: 1-line block ×3, first 2 shown]
	v_cmpx_gt_u32_e64 s0, v10
	s_cbranch_execz .LBB106_185
; %bb.180:
	s_waitcnt lgkmcnt(1)
	v_and_b32_e32 v10, v17, v9
	s_mov_b32 s3, exec_lo
	v_and_b32_e32 v10, 1, v10
	v_cmpx_eq_u32_e32 1, v10
	s_xor_b32 s3, exec_lo, s3
	s_cbranch_execz .LBB106_182
; %bb.181:
	s_waitcnt lgkmcnt(0)
	v_cmp_lt_i64_e32 vcc_lo, v[3:4], v[1:2]
                                        ; implicit-def: $vgpr8
                                        ; implicit-def: $vgpr9
	v_cndmask_b32_e32 v2, v2, v4, vcc_lo
	v_cndmask_b32_e32 v1, v1, v3, vcc_lo
                                        ; implicit-def: $vgpr3_vgpr4
.LBB106_182:
	s_or_saveexec_b32 s3, s3
	v_mov_b32_e32 v17, 1
	s_xor_b32 exec_lo, exec_lo, s3
	s_cbranch_execz .LBB106_184
; %bb.183:
	v_and_b32_e32 v8, 1, v8
	v_cmp_eq_u32_e32 vcc_lo, 1, v8
	v_and_b32_e32 v8, 0xff, v9
	s_waitcnt lgkmcnt(0)
	v_cndmask_b32_e32 v2, v4, v2, vcc_lo
	v_cndmask_b32_e32 v1, v3, v1, vcc_lo
	v_cndmask_b32_e64 v17, v8, 1, vcc_lo
.LBB106_184:
	s_or_b32 exec_lo, exec_lo, s3
.LBB106_185:
	s_or_b32 exec_lo, exec_lo, s2
	v_cmp_gt_u32_e32 vcc_lo, 6, v6
	v_add_nc_u32_e32 v8, 2, v6
	s_mov_b32 s2, exec_lo
	s_waitcnt lgkmcnt(2)
	v_cndmask_b32_e64 v3, 0, 2, vcc_lo
	s_waitcnt lgkmcnt(0)
	v_add_lshl_u32 v4, v3, v5, 2
	ds_bpermute_b32 v5, v4, v17
	ds_bpermute_b32 v3, v4, v1
	;; [unrolled: 1-line block ×3, first 2 shown]
	v_cmpx_gt_u32_e64 s0, v8
	s_cbranch_execz .LBB106_191
; %bb.186:
	s_waitcnt lgkmcnt(2)
	v_and_b32_e32 v8, v17, v5
	s_mov_b32 s3, exec_lo
	v_and_b32_e32 v8, 1, v8
	v_cmpx_eq_u32_e32 1, v8
	s_xor_b32 s3, exec_lo, s3
	s_cbranch_execz .LBB106_188
; %bb.187:
	s_waitcnt lgkmcnt(0)
	v_cmp_lt_i64_e32 vcc_lo, v[3:4], v[1:2]
                                        ; implicit-def: $vgpr17
                                        ; implicit-def: $vgpr5
	v_cndmask_b32_e32 v2, v2, v4, vcc_lo
	v_cndmask_b32_e32 v1, v1, v3, vcc_lo
                                        ; implicit-def: $vgpr3_vgpr4
.LBB106_188:
	s_or_saveexec_b32 s3, s3
	v_mov_b32_e32 v8, 1
	s_xor_b32 exec_lo, exec_lo, s3
	s_cbranch_execz .LBB106_190
; %bb.189:
	v_and_b32_e32 v8, 1, v17
	v_and_b32_e32 v5, 0xff, v5
	v_cmp_eq_u32_e32 vcc_lo, 1, v8
	s_waitcnt lgkmcnt(0)
	v_cndmask_b32_e32 v2, v4, v2, vcc_lo
	v_cndmask_b32_e32 v1, v3, v1, vcc_lo
	v_cndmask_b32_e64 v8, v5, 1, vcc_lo
.LBB106_190:
	s_or_b32 exec_lo, exec_lo, s3
	v_mov_b32_e32 v17, v8
.LBB106_191:
	s_or_b32 exec_lo, exec_lo, s2
	s_waitcnt lgkmcnt(0)
	v_or_b32_e32 v4, 16, v7
	v_add_nc_u32_e32 v6, 4, v6
	ds_bpermute_b32 v5, v4, v17
	ds_bpermute_b32 v3, v4, v1
	;; [unrolled: 1-line block ×3, first 2 shown]
	v_cmp_gt_u32_e32 vcc_lo, s0, v6
	s_and_saveexec_b32 s0, vcc_lo
	s_cbranch_execz .LBB106_197
; %bb.192:
	s_waitcnt lgkmcnt(2)
	v_and_b32_e32 v6, v17, v5
	s_mov_b32 s2, exec_lo
	v_and_b32_e32 v6, 1, v6
	v_cmpx_eq_u32_e32 1, v6
	s_xor_b32 s2, exec_lo, s2
	s_cbranch_execz .LBB106_194
; %bb.193:
	s_waitcnt lgkmcnt(0)
	v_cmp_lt_i64_e32 vcc_lo, v[3:4], v[1:2]
                                        ; implicit-def: $vgpr17
                                        ; implicit-def: $vgpr5
	v_cndmask_b32_e32 v2, v2, v4, vcc_lo
	v_cndmask_b32_e32 v1, v1, v3, vcc_lo
                                        ; implicit-def: $vgpr3_vgpr4
.LBB106_194:
	s_or_saveexec_b32 s2, s2
	v_mov_b32_e32 v6, 1
	s_xor_b32 exec_lo, exec_lo, s2
	s_cbranch_execz .LBB106_196
; %bb.195:
	v_and_b32_e32 v6, 1, v17
	v_cmp_eq_u32_e32 vcc_lo, 1, v6
	s_waitcnt lgkmcnt(0)
	v_cndmask_b32_e32 v2, v4, v2, vcc_lo
	v_cndmask_b32_e32 v1, v3, v1, vcc_lo
	v_cndmask_b32_e64 v6, v5, 1, vcc_lo
.LBB106_196:
	s_or_b32 exec_lo, exec_lo, s2
	v_mov_b32_e32 v17, v6
.LBB106_197:
	s_or_b32 exec_lo, exec_lo, s0
.LBB106_198:
	s_or_b32 exec_lo, exec_lo, s1
.LBB106_199:
	s_mov_b32 s10, 0
                                        ; implicit-def: $vgpr3_vgpr4
                                        ; implicit-def: $vgpr5
	s_mov_b32 s0, exec_lo
	v_cmpx_eq_u32_e32 0, v0
	s_xor_b32 s2, exec_lo, s0
	s_cbranch_execz .LBB106_203
; %bb.200:
	s_waitcnt lgkmcnt(0)
	v_mov_b32_e32 v3, s16
	v_mov_b32_e32 v4, s17
	v_mov_b32_e32 v5, s18
	s_cmp_eq_u64 s[14:15], 0
	s_cbranch_scc1 .LBB106_202
; %bb.201:
	v_and_b32_e32 v3, 1, v17
	v_cmp_gt_i64_e32 vcc_lo, s[16:17], v[1:2]
	s_bitcmp1_b32 s18, 0
	s_cselect_b32 s1, -1, 0
	v_cmp_eq_u32_e64 s0, 1, v3
	v_cndmask_b32_e64 v5, v17, 1, s1
	s_and_b32 vcc_lo, s0, vcc_lo
	v_cndmask_b32_e32 v3, s16, v1, vcc_lo
	v_cndmask_b32_e32 v4, s17, v2, vcc_lo
	v_cndmask_b32_e64 v3, v1, v3, s1
	v_cndmask_b32_e64 v4, v2, v4, s1
.LBB106_202:
	s_mov_b32 s10, exec_lo
.LBB106_203:
	s_or_b32 exec_lo, exec_lo, s2
	v_mov_b32_e32 v1, s6
	v_mov_b32_e32 v2, s7
	s_and_b32 vcc_lo, exec_lo, s20
	s_cbranch_vccnz .LBB106_48
.LBB106_204:
	s_branch .LBB106_384
.LBB106_205:
	v_lshlrev_b32_e32 v3, 4, v13
	s_clause 0x1
	global_load_ubyte v10, v3, s[2:3]
	global_load_dwordx2 v[3:4], v3, s[2:3] offset:8
	s_or_b32 exec_lo, exec_lo, s9
	s_and_saveexec_b32 s3, s1
	s_cbranch_execz .LBB106_108
.LBB106_206:
	s_waitcnt vmcnt(1)
	v_and_b32_e32 v9, 1, v9
	v_and_b32_e32 v13, 1, v12
	v_cmp_eq_u32_e64 s1, 1, v9
	v_cmp_eq_u32_e64 s2, 1, v13
                                        ; implicit-def: $vgpr9
	s_and_b32 s2, s1, s2
	s_xor_b32 s2, s2, -1
	s_and_saveexec_b32 s9, s2
	s_xor_b32 s2, exec_lo, s9
	s_cbranch_execz .LBB106_208
; %bb.207:
	v_and_b32_e32 v9, 0xff, v12
	s_waitcnt vmcnt(0)
	v_cndmask_b32_e64 v2, v8, v2, s1
	v_cndmask_b32_e64 v1, v7, v1, s1
                                        ; implicit-def: $vgpr7_vgpr8
	v_cndmask_b32_e64 v9, v9, 1, s1
.LBB106_208:
	s_andn2_saveexec_b32 s2, s2
	s_cbranch_execz .LBB106_210
; %bb.209:
	s_waitcnt vmcnt(0)
	v_cmp_lt_i64_e64 s1, v[7:8], v[1:2]
	v_mov_b32_e32 v9, 1
	v_cndmask_b32_e64 v2, v2, v8, s1
	v_cndmask_b32_e64 v1, v1, v7, s1
.LBB106_210:
	s_or_b32 exec_lo, exec_lo, s2
	s_or_b32 exec_lo, exec_lo, s3
	s_and_saveexec_b32 s2, s0
	s_cbranch_execz .LBB106_109
.LBB106_211:
	s_waitcnt vmcnt(0)
	v_and_b32_e32 v7, 1, v9
	v_and_b32_e32 v8, 1, v11
                                        ; implicit-def: $vgpr9
	v_cmp_eq_u32_e64 s0, 1, v7
	v_cmp_eq_u32_e64 s1, 1, v8
	s_and_b32 s1, s0, s1
	s_xor_b32 s1, s1, -1
	s_and_saveexec_b32 s3, s1
	s_xor_b32 s1, exec_lo, s3
; %bb.212:
	v_and_b32_e32 v7, 0xff, v11
	v_cndmask_b32_e64 v2, v6, v2, s0
	v_cndmask_b32_e64 v1, v5, v1, s0
                                        ; implicit-def: $vgpr5_vgpr6
	v_cndmask_b32_e64 v9, v7, 1, s0
; %bb.213:
	s_andn2_saveexec_b32 s1, s1
; %bb.214:
	v_cmp_lt_i64_e64 s0, v[5:6], v[1:2]
	v_mov_b32_e32 v9, 1
	v_cndmask_b32_e64 v2, v2, v6, s0
	v_cndmask_b32_e64 v1, v1, v5, s0
; %bb.215:
	s_or_b32 exec_lo, exec_lo, s1
	s_or_b32 exec_lo, exec_lo, s2
	s_and_saveexec_b32 s1, vcc_lo
	s_cbranch_execz .LBB106_221
.LBB106_216:
	s_waitcnt vmcnt(0)
	v_and_b32_e32 v5, 1, v9
	v_and_b32_e32 v6, 1, v10
                                        ; implicit-def: $vgpr9
	v_cmp_eq_u32_e32 vcc_lo, 1, v5
	v_cmp_eq_u32_e64 s0, 1, v6
	s_and_b32 s0, vcc_lo, s0
	s_xor_b32 s0, s0, -1
	s_and_saveexec_b32 s2, s0
	s_xor_b32 s0, exec_lo, s2
; %bb.217:
	v_and_b32_e32 v5, 0xff, v10
	v_cndmask_b32_e32 v2, v4, v2, vcc_lo
	v_cndmask_b32_e32 v1, v3, v1, vcc_lo
                                        ; implicit-def: $vgpr3_vgpr4
	v_cndmask_b32_e64 v9, v5, 1, vcc_lo
; %bb.218:
	s_andn2_saveexec_b32 s0, s0
; %bb.219:
	v_cmp_lt_i64_e32 vcc_lo, v[3:4], v[1:2]
	v_mov_b32_e32 v9, 1
	v_cndmask_b32_e32 v2, v2, v4, vcc_lo
	v_cndmask_b32_e32 v1, v1, v3, vcc_lo
; %bb.220:
	s_or_b32 exec_lo, exec_lo, s0
.LBB106_221:
	s_or_b32 exec_lo, exec_lo, s1
	s_waitcnt vmcnt(0)
	v_mbcnt_lo_u32_b32 v5, -1, 0
	v_and_b32_e32 v6, 0xe0, v0
	s_min_u32 s0, s8, 0x100
	s_mov_b32 s1, exec_lo
	v_cmp_ne_u32_e32 vcc_lo, 31, v5
	v_sub_nc_u32_e64 v6, s0, v6 clamp
	v_add_nc_u32_e32 v8, 1, v5
	v_add_co_ci_u32_e64 v3, null, 0, v5, vcc_lo
	v_lshlrev_b32_e32 v4, 2, v3
	ds_bpermute_b32 v7, v4, v9
	ds_bpermute_b32 v3, v4, v1
	;; [unrolled: 1-line block ×3, first 2 shown]
	v_cmpx_lt_u32_e64 v8, v6
	s_xor_b32 s1, exec_lo, s1
	s_cbranch_execz .LBB106_227
; %bb.222:
	s_waitcnt lgkmcnt(2)
	v_and_b32_e32 v8, v7, v9
	s_mov_b32 s2, exec_lo
	v_cmpx_ne_u32_e32 0, v8
	s_xor_b32 s2, exec_lo, s2
	s_cbranch_execz .LBB106_224
; %bb.223:
	s_waitcnt lgkmcnt(0)
	v_cmp_lt_i64_e32 vcc_lo, v[3:4], v[1:2]
                                        ; implicit-def: $vgpr9
                                        ; implicit-def: $vgpr7
	v_cndmask_b32_e32 v2, v2, v4, vcc_lo
	v_cndmask_b32_e32 v1, v1, v3, vcc_lo
                                        ; implicit-def: $vgpr3_vgpr4
.LBB106_224:
	s_or_saveexec_b32 s2, s2
	v_mov_b32_e32 v8, 1
	s_xor_b32 exec_lo, exec_lo, s2
	s_cbranch_execz .LBB106_226
; %bb.225:
	v_and_b32_e32 v8, 1, v9
	v_and_b32_e32 v7, 0xff, v7
	v_cmp_eq_u32_e32 vcc_lo, 1, v8
	s_waitcnt lgkmcnt(0)
	v_cndmask_b32_e32 v2, v4, v2, vcc_lo
	v_cndmask_b32_e32 v1, v3, v1, vcc_lo
	v_cndmask_b32_e64 v8, v7, 1, vcc_lo
.LBB106_226:
	s_or_b32 exec_lo, exec_lo, s2
	v_mov_b32_e32 v9, v8
.LBB106_227:
	s_or_b32 exec_lo, exec_lo, s1
	v_cmp_gt_u32_e32 vcc_lo, 30, v5
	v_add_nc_u32_e32 v8, 2, v5
	s_mov_b32 s1, exec_lo
	s_waitcnt lgkmcnt(1)
	v_cndmask_b32_e64 v3, 0, 2, vcc_lo
	s_waitcnt lgkmcnt(0)
	v_add_lshl_u32 v4, v3, v5, 2
	ds_bpermute_b32 v7, v4, v9
	ds_bpermute_b32 v3, v4, v1
	ds_bpermute_b32 v4, v4, v2
	v_cmpx_lt_u32_e64 v8, v6
	s_cbranch_execz .LBB106_233
; %bb.228:
	s_waitcnt lgkmcnt(2)
	v_and_b32_e32 v8, v9, v7
	s_mov_b32 s2, exec_lo
	v_and_b32_e32 v8, 1, v8
	v_cmpx_eq_u32_e32 1, v8
	s_xor_b32 s2, exec_lo, s2
	s_cbranch_execz .LBB106_230
; %bb.229:
	s_waitcnt lgkmcnt(0)
	v_cmp_lt_i64_e32 vcc_lo, v[3:4], v[1:2]
                                        ; implicit-def: $vgpr9
                                        ; implicit-def: $vgpr7
	v_cndmask_b32_e32 v2, v2, v4, vcc_lo
	v_cndmask_b32_e32 v1, v1, v3, vcc_lo
                                        ; implicit-def: $vgpr3_vgpr4
.LBB106_230:
	s_or_saveexec_b32 s2, s2
	v_mov_b32_e32 v8, 1
	s_xor_b32 exec_lo, exec_lo, s2
	s_cbranch_execz .LBB106_232
; %bb.231:
	v_and_b32_e32 v8, 1, v9
	v_and_b32_e32 v7, 0xff, v7
	v_cmp_eq_u32_e32 vcc_lo, 1, v8
	s_waitcnt lgkmcnt(0)
	v_cndmask_b32_e32 v2, v4, v2, vcc_lo
	v_cndmask_b32_e32 v1, v3, v1, vcc_lo
	v_cndmask_b32_e64 v8, v7, 1, vcc_lo
.LBB106_232:
	s_or_b32 exec_lo, exec_lo, s2
	v_mov_b32_e32 v9, v8
.LBB106_233:
	s_or_b32 exec_lo, exec_lo, s1
	v_cmp_gt_u32_e32 vcc_lo, 28, v5
	v_add_nc_u32_e32 v8, 4, v5
	s_mov_b32 s1, exec_lo
	s_waitcnt lgkmcnt(1)
	v_cndmask_b32_e64 v3, 0, 4, vcc_lo
	s_waitcnt lgkmcnt(0)
	v_add_lshl_u32 v4, v3, v5, 2
	ds_bpermute_b32 v7, v4, v9
	ds_bpermute_b32 v3, v4, v1
	ds_bpermute_b32 v4, v4, v2
	v_cmpx_lt_u32_e64 v8, v6
	s_cbranch_execz .LBB106_239
; %bb.234:
	s_waitcnt lgkmcnt(2)
	v_and_b32_e32 v8, v9, v7
	s_mov_b32 s2, exec_lo
	v_and_b32_e32 v8, 1, v8
	v_cmpx_eq_u32_e32 1, v8
	s_xor_b32 s2, exec_lo, s2
	s_cbranch_execz .LBB106_236
; %bb.235:
	s_waitcnt lgkmcnt(0)
	v_cmp_lt_i64_e32 vcc_lo, v[3:4], v[1:2]
                                        ; implicit-def: $vgpr9
                                        ; implicit-def: $vgpr7
	v_cndmask_b32_e32 v2, v2, v4, vcc_lo
	v_cndmask_b32_e32 v1, v1, v3, vcc_lo
                                        ; implicit-def: $vgpr3_vgpr4
.LBB106_236:
	s_or_saveexec_b32 s2, s2
	v_mov_b32_e32 v8, 1
	s_xor_b32 exec_lo, exec_lo, s2
	s_cbranch_execz .LBB106_238
; %bb.237:
	v_and_b32_e32 v8, 1, v9
	v_and_b32_e32 v7, 0xff, v7
	v_cmp_eq_u32_e32 vcc_lo, 1, v8
	s_waitcnt lgkmcnt(0)
	v_cndmask_b32_e32 v2, v4, v2, vcc_lo
	v_cndmask_b32_e32 v1, v3, v1, vcc_lo
	v_cndmask_b32_e64 v8, v7, 1, vcc_lo
.LBB106_238:
	s_or_b32 exec_lo, exec_lo, s2
	v_mov_b32_e32 v9, v8
.LBB106_239:
	;; [unrolled: 46-line block ×3, first 2 shown]
	s_or_b32 exec_lo, exec_lo, s1
	s_waitcnt lgkmcnt(2)
	v_lshlrev_b32_e32 v7, 2, v5
	v_add_nc_u32_e32 v10, 16, v5
	s_waitcnt lgkmcnt(0)
	v_or_b32_e32 v4, 64, v7
	v_cmp_lt_u32_e32 vcc_lo, v10, v6
	v_mov_b32_e32 v6, v9
	ds_bpermute_b32 v8, v4, v9
	ds_bpermute_b32 v3, v4, v1
	;; [unrolled: 1-line block ×3, first 2 shown]
	s_and_saveexec_b32 s1, vcc_lo
	s_cbranch_execz .LBB106_251
; %bb.246:
	s_waitcnt lgkmcnt(2)
	v_and_b32_e32 v6, v9, v8
	s_mov_b32 s2, exec_lo
	v_and_b32_e32 v6, 1, v6
	v_cmpx_eq_u32_e32 1, v6
	s_xor_b32 s2, exec_lo, s2
	s_cbranch_execz .LBB106_248
; %bb.247:
	s_waitcnt lgkmcnt(0)
	v_cmp_lt_i64_e32 vcc_lo, v[3:4], v[1:2]
                                        ; implicit-def: $vgpr9
                                        ; implicit-def: $vgpr8
	v_cndmask_b32_e32 v2, v2, v4, vcc_lo
	v_cndmask_b32_e32 v1, v1, v3, vcc_lo
                                        ; implicit-def: $vgpr3_vgpr4
.LBB106_248:
	s_or_saveexec_b32 s2, s2
	v_mov_b32_e32 v6, 1
	s_xor_b32 exec_lo, exec_lo, s2
	s_cbranch_execz .LBB106_250
; %bb.249:
	v_and_b32_e32 v6, 1, v9
	v_cmp_eq_u32_e32 vcc_lo, 1, v6
	v_cndmask_b32_e64 v6, v8, 1, vcc_lo
	s_waitcnt lgkmcnt(0)
	v_cndmask_b32_e32 v2, v4, v2, vcc_lo
	v_cndmask_b32_e32 v1, v3, v1, vcc_lo
.LBB106_250:
	s_or_b32 exec_lo, exec_lo, s2
	v_and_b32_e32 v9, 0xff, v6
.LBB106_251:
	s_or_b32 exec_lo, exec_lo, s1
	s_mov_b32 s1, exec_lo
	v_cmpx_eq_u32_e32 0, v5
	s_cbranch_execz .LBB106_253
; %bb.252:
	s_waitcnt lgkmcnt(1)
	v_lshrrev_b32_e32 v3, 1, v0
	v_and_b32_e32 v3, 0x70, v3
	ds_write_b8 v3, v6 offset:512
	ds_write_b64 v3, v[1:2] offset:520
.LBB106_253:
	s_or_b32 exec_lo, exec_lo, s1
	s_mov_b32 s1, exec_lo
	s_waitcnt lgkmcnt(0)
	s_barrier
	buffer_gl0_inv
	v_cmpx_gt_u32_e32 8, v0
	s_cbranch_execz .LBB106_273
; %bb.254:
	v_lshlrev_b32_e32 v1, 4, v5
	v_and_b32_e32 v6, 7, v5
	s_add_i32 s0, s0, 31
	s_mov_b32 s2, exec_lo
	s_lshr_b32 s0, s0, 5
	ds_read_u8 v8, v1 offset:512
	ds_read_b64 v[1:2], v1 offset:520
	v_cmp_ne_u32_e32 vcc_lo, 7, v6
	v_add_nc_u32_e32 v11, 1, v6
	v_add_co_ci_u32_e64 v3, null, 0, v5, vcc_lo
	v_lshlrev_b32_e32 v4, 2, v3
	s_waitcnt lgkmcnt(1)
	v_and_b32_e32 v9, 0xff, v8
	s_waitcnt lgkmcnt(0)
	ds_bpermute_b32 v3, v4, v1
	ds_bpermute_b32 v10, v4, v9
	;; [unrolled: 1-line block ×3, first 2 shown]
	v_cmpx_gt_u32_e64 s0, v11
	s_cbranch_execz .LBB106_260
; %bb.255:
	s_waitcnt lgkmcnt(1)
	v_and_b32_e32 v9, v9, v10
	s_mov_b32 s3, exec_lo
	v_and_b32_e32 v9, 1, v9
	v_cmpx_eq_u32_e32 1, v9
	s_xor_b32 s3, exec_lo, s3
	s_cbranch_execz .LBB106_257
; %bb.256:
	s_waitcnt lgkmcnt(0)
	v_cmp_lt_i64_e32 vcc_lo, v[3:4], v[1:2]
                                        ; implicit-def: $vgpr8
                                        ; implicit-def: $vgpr10
	v_cndmask_b32_e32 v2, v2, v4, vcc_lo
	v_cndmask_b32_e32 v1, v1, v3, vcc_lo
                                        ; implicit-def: $vgpr3_vgpr4
.LBB106_257:
	s_or_saveexec_b32 s3, s3
	v_mov_b32_e32 v9, 1
	s_xor_b32 exec_lo, exec_lo, s3
	s_cbranch_execz .LBB106_259
; %bb.258:
	v_and_b32_e32 v8, 1, v8
	v_cmp_eq_u32_e32 vcc_lo, 1, v8
	v_and_b32_e32 v8, 0xff, v10
	s_waitcnt lgkmcnt(0)
	v_cndmask_b32_e32 v2, v4, v2, vcc_lo
	v_cndmask_b32_e32 v1, v3, v1, vcc_lo
	v_cndmask_b32_e64 v9, v8, 1, vcc_lo
.LBB106_259:
	s_or_b32 exec_lo, exec_lo, s3
.LBB106_260:
	s_or_b32 exec_lo, exec_lo, s2
	v_cmp_gt_u32_e32 vcc_lo, 6, v6
	v_add_nc_u32_e32 v8, 2, v6
	s_mov_b32 s2, exec_lo
	s_waitcnt lgkmcnt(2)
	v_cndmask_b32_e64 v3, 0, 2, vcc_lo
	s_waitcnt lgkmcnt(0)
	v_add_lshl_u32 v4, v3, v5, 2
	ds_bpermute_b32 v5, v4, v9
	ds_bpermute_b32 v3, v4, v1
	;; [unrolled: 1-line block ×3, first 2 shown]
	v_cmpx_gt_u32_e64 s0, v8
	s_cbranch_execz .LBB106_266
; %bb.261:
	s_waitcnt lgkmcnt(2)
	v_and_b32_e32 v8, v9, v5
	s_mov_b32 s3, exec_lo
	v_and_b32_e32 v8, 1, v8
	v_cmpx_eq_u32_e32 1, v8
	s_xor_b32 s3, exec_lo, s3
	s_cbranch_execz .LBB106_263
; %bb.262:
	s_waitcnt lgkmcnt(0)
	v_cmp_lt_i64_e32 vcc_lo, v[3:4], v[1:2]
                                        ; implicit-def: $vgpr9
                                        ; implicit-def: $vgpr5
	v_cndmask_b32_e32 v2, v2, v4, vcc_lo
	v_cndmask_b32_e32 v1, v1, v3, vcc_lo
                                        ; implicit-def: $vgpr3_vgpr4
.LBB106_263:
	s_or_saveexec_b32 s3, s3
	v_mov_b32_e32 v8, 1
	s_xor_b32 exec_lo, exec_lo, s3
	s_cbranch_execz .LBB106_265
; %bb.264:
	v_and_b32_e32 v8, 1, v9
	v_and_b32_e32 v5, 0xff, v5
	v_cmp_eq_u32_e32 vcc_lo, 1, v8
	s_waitcnt lgkmcnt(0)
	v_cndmask_b32_e32 v2, v4, v2, vcc_lo
	v_cndmask_b32_e32 v1, v3, v1, vcc_lo
	v_cndmask_b32_e64 v8, v5, 1, vcc_lo
.LBB106_265:
	s_or_b32 exec_lo, exec_lo, s3
	v_mov_b32_e32 v9, v8
.LBB106_266:
	s_or_b32 exec_lo, exec_lo, s2
	s_waitcnt lgkmcnt(0)
	v_or_b32_e32 v4, 16, v7
	v_add_nc_u32_e32 v6, 4, v6
	ds_bpermute_b32 v5, v4, v9
	ds_bpermute_b32 v3, v4, v1
	;; [unrolled: 1-line block ×3, first 2 shown]
	v_cmp_gt_u32_e32 vcc_lo, s0, v6
	s_and_saveexec_b32 s0, vcc_lo
	s_cbranch_execz .LBB106_272
; %bb.267:
	s_waitcnt lgkmcnt(2)
	v_and_b32_e32 v6, v9, v5
	s_mov_b32 s2, exec_lo
	v_and_b32_e32 v6, 1, v6
	v_cmpx_eq_u32_e32 1, v6
	s_xor_b32 s2, exec_lo, s2
	s_cbranch_execz .LBB106_269
; %bb.268:
	s_waitcnt lgkmcnt(0)
	v_cmp_lt_i64_e32 vcc_lo, v[3:4], v[1:2]
                                        ; implicit-def: $vgpr9
                                        ; implicit-def: $vgpr5
	v_cndmask_b32_e32 v2, v2, v4, vcc_lo
	v_cndmask_b32_e32 v1, v1, v3, vcc_lo
                                        ; implicit-def: $vgpr3_vgpr4
.LBB106_269:
	s_or_saveexec_b32 s2, s2
	v_mov_b32_e32 v6, 1
	s_xor_b32 exec_lo, exec_lo, s2
	s_cbranch_execz .LBB106_271
; %bb.270:
	v_and_b32_e32 v6, 1, v9
	v_cmp_eq_u32_e32 vcc_lo, 1, v6
	s_waitcnt lgkmcnt(0)
	v_cndmask_b32_e32 v2, v4, v2, vcc_lo
	v_cndmask_b32_e32 v1, v3, v1, vcc_lo
	v_cndmask_b32_e64 v6, v5, 1, vcc_lo
.LBB106_271:
	s_or_b32 exec_lo, exec_lo, s2
	v_mov_b32_e32 v9, v6
.LBB106_272:
	s_or_b32 exec_lo, exec_lo, s0
.LBB106_273:
	s_or_b32 exec_lo, exec_lo, s1
.LBB106_274:
                                        ; implicit-def: $vgpr3_vgpr4
                                        ; implicit-def: $vgpr5
	s_mov_b32 s0, exec_lo
	v_cmpx_eq_u32_e32 0, v0
	s_xor_b32 s2, exec_lo, s0
	s_cbranch_execz .LBB106_278
; %bb.275:
	s_waitcnt lgkmcnt(0)
	v_mov_b32_e32 v3, s16
	v_mov_b32_e32 v4, s17
	;; [unrolled: 1-line block ×3, first 2 shown]
	s_cmp_eq_u64 s[14:15], 0
	s_cbranch_scc1 .LBB106_277
; %bb.276:
	v_and_b32_e32 v3, 1, v9
	v_cmp_gt_i64_e32 vcc_lo, s[16:17], v[1:2]
	s_bitcmp1_b32 s18, 0
	s_cselect_b32 s1, -1, 0
	v_cmp_eq_u32_e64 s0, 1, v3
	v_cndmask_b32_e64 v5, v9, 1, s1
	s_and_b32 vcc_lo, s0, vcc_lo
	v_cndmask_b32_e32 v3, s16, v1, vcc_lo
	v_cndmask_b32_e32 v4, s17, v2, vcc_lo
	v_cndmask_b32_e64 v3, v1, v3, s1
	v_cndmask_b32_e64 v4, v2, v4, s1
.LBB106_277:
	s_or_b32 s10, s10, exec_lo
.LBB106_278:
	s_or_b32 exec_lo, exec_lo, s2
	v_mov_b32_e32 v1, s6
	v_mov_b32_e32 v2, s7
	s_branch .LBB106_384
.LBB106_279:
	s_cmp_gt_i32 s19, 1
	s_cbranch_scc0 .LBB106_299
; %bb.280:
	s_cmp_eq_u32 s19, 2
	s_cbranch_scc0 .LBB106_300
; %bb.281:
	s_mov_b32 s7, 0
	s_lshl_b32 s8, s6, 9
	s_mov_b32 s9, s7
	s_lshr_b64 s[20:21], s[14:15], 9
	s_lshl_b64 s[0:1], s[8:9], 4
	s_add_u32 s2, s12, s0
	s_addc_u32 s3, s13, s1
	s_cmp_lg_u64 s[20:21], s[6:7]
	s_cbranch_scc0 .LBB106_301
; %bb.282:
	s_waitcnt lgkmcnt(1)
	v_lshlrev_b32_e32 v3, 4, v0
	v_mbcnt_lo_u32_b32 v8, -1, 0
	v_add_co_u32 v1, s0, s2, v3
	v_add_co_ci_u32_e64 v2, null, s3, 0, s0
	v_add_co_u32 v1, vcc_lo, 0x1000, v1
	v_add_co_ci_u32_e64 v2, null, 0, v2, vcc_lo
	global_load_ubyte v5, v[1:2], off
	s_waitcnt lgkmcnt(0)
	s_clause 0x2
	global_load_ubyte v6, v3, s[2:3]
	global_load_dwordx2 v[3:4], v3, s[2:3] offset:8
	global_load_dwordx2 v[1:2], v[1:2], off offset:8
	s_waitcnt vmcnt(3)
	v_and_b32_e32 v7, 1, v5
	s_waitcnt vmcnt(2)
	v_and_b32_e32 v6, 1, v6
	s_waitcnt vmcnt(0)
	v_cmp_lt_i64_e32 vcc_lo, v[1:2], v[3:4]
	v_cmp_eq_u32_e64 s0, 1, v7
	v_cmp_eq_u32_e64 s1, 1, v6
	s_and_b32 vcc_lo, s0, vcc_lo
	v_cndmask_b32_e64 v5, v5, 1, s1
	v_cndmask_b32_e32 v3, v3, v1, vcc_lo
	v_cndmask_b32_e32 v4, v4, v2, vcc_lo
	v_and_b32_e32 v5, 1, v5
	v_cndmask_b32_e64 v1, v1, v3, s1
	v_cndmask_b32_e64 v2, v2, v4, s1
	v_mov_b32_dpp v6, v5 quad_perm:[1,0,3,2] row_mask:0xf bank_mask:0xf
	v_mov_b32_dpp v3, v1 quad_perm:[1,0,3,2] row_mask:0xf bank_mask:0xf
	;; [unrolled: 1-line block ×3, first 2 shown]
	v_cmp_eq_u32_e64 s0, 1, v5
	v_and_b32_e32 v6, 1, v6
	v_cmp_lt_i64_e32 vcc_lo, v[1:2], v[3:4]
	s_and_b32 vcc_lo, s0, vcc_lo
	v_cndmask_b32_e32 v3, v3, v1, vcc_lo
	v_cndmask_b32_e32 v4, v4, v2, vcc_lo
	v_cmp_eq_u32_e32 vcc_lo, 1, v6
	v_cndmask_b32_e32 v2, v2, v4, vcc_lo
	v_cndmask_b32_e32 v1, v1, v3, vcc_lo
	v_cndmask_b32_e64 v5, v5, 1, vcc_lo
	v_mov_b32_dpp v4, v2 quad_perm:[2,3,0,1] row_mask:0xf bank_mask:0xf
	v_mov_b32_dpp v3, v1 quad_perm:[2,3,0,1] row_mask:0xf bank_mask:0xf
	v_and_b32_e32 v7, 1, v5
	v_mov_b32_dpp v6, v5 quad_perm:[2,3,0,1] row_mask:0xf bank_mask:0xf
	v_cmp_lt_i64_e32 vcc_lo, v[1:2], v[3:4]
	v_cmp_eq_u32_e64 s0, 1, v7
	v_and_b32_e32 v6, 1, v6
	s_and_b32 vcc_lo, s0, vcc_lo
	v_cmp_eq_u32_e64 s1, 1, v6
	v_cndmask_b32_e32 v3, v3, v1, vcc_lo
	v_cndmask_b32_e32 v4, v4, v2, vcc_lo
	v_cndmask_b32_e64 v5, v5, 1, s1
	v_cndmask_b32_e64 v1, v1, v3, s1
	;; [unrolled: 1-line block ×3, first 2 shown]
	v_and_b32_e32 v7, 1, v5
	v_mov_b32_dpp v3, v1 row_ror:4 row_mask:0xf bank_mask:0xf
	v_mov_b32_dpp v4, v2 row_ror:4 row_mask:0xf bank_mask:0xf
	;; [unrolled: 1-line block ×3, first 2 shown]
	v_cmp_eq_u32_e64 s0, 1, v7
	v_cmp_lt_i64_e32 vcc_lo, v[1:2], v[3:4]
	v_and_b32_e32 v6, 1, v6
	s_and_b32 vcc_lo, s0, vcc_lo
	v_cmp_eq_u32_e64 s1, 1, v6
	v_cndmask_b32_e32 v3, v3, v1, vcc_lo
	v_cndmask_b32_e32 v4, v4, v2, vcc_lo
	v_cndmask_b32_e64 v5, v5, 1, s1
	v_cndmask_b32_e64 v1, v1, v3, s1
	;; [unrolled: 1-line block ×3, first 2 shown]
	v_and_b32_e32 v7, 1, v5
	v_mov_b32_dpp v3, v1 row_ror:8 row_mask:0xf bank_mask:0xf
	v_mov_b32_dpp v4, v2 row_ror:8 row_mask:0xf bank_mask:0xf
	v_mov_b32_dpp v6, v5 row_ror:8 row_mask:0xf bank_mask:0xf
	v_cmp_eq_u32_e64 s0, 1, v7
	v_cmp_lt_i64_e32 vcc_lo, v[1:2], v[3:4]
	v_and_b32_e32 v6, 1, v6
	s_and_b32 vcc_lo, s0, vcc_lo
	v_cmp_eq_u32_e64 s1, 1, v6
	v_cndmask_b32_e32 v3, v3, v1, vcc_lo
	v_cndmask_b32_e32 v4, v4, v2, vcc_lo
	v_cndmask_b32_e64 v5, v5, 1, s1
	v_cndmask_b32_e64 v1, v1, v3, s1
	;; [unrolled: 1-line block ×3, first 2 shown]
	ds_swizzle_b32 v6, v5 offset:swizzle(BROADCAST,32,15)
	ds_swizzle_b32 v3, v1 offset:swizzle(BROADCAST,32,15)
	;; [unrolled: 1-line block ×3, first 2 shown]
	v_and_b32_e32 v7, 1, v5
	v_cmp_eq_u32_e64 s0, 1, v7
	s_waitcnt lgkmcnt(2)
	v_and_b32_e32 v6, 1, v6
	s_waitcnt lgkmcnt(0)
	v_cmp_lt_i64_e32 vcc_lo, v[1:2], v[3:4]
	v_cmp_eq_u32_e64 s1, 1, v6
	v_mov_b32_e32 v6, 0
	s_and_b32 vcc_lo, s0, vcc_lo
	s_mov_b32 s0, exec_lo
	v_cndmask_b32_e32 v3, v3, v1, vcc_lo
	v_cndmask_b32_e32 v4, v4, v2, vcc_lo
	v_cndmask_b32_e64 v5, v5, 1, s1
	v_cndmask_b32_e64 v1, v1, v3, s1
	;; [unrolled: 1-line block ×3, first 2 shown]
	ds_bpermute_b32 v7, v6, v5 offset:124
	ds_bpermute_b32 v1, v6, v1 offset:124
	;; [unrolled: 1-line block ×3, first 2 shown]
	v_cmpx_eq_u32_e32 0, v8
	s_cbranch_execz .LBB106_284
; %bb.283:
	v_lshrrev_b32_e32 v3, 1, v0
	v_and_b32_e32 v3, 0x70, v3
	s_waitcnt lgkmcnt(2)
	ds_write_b8 v3, v7 offset:128
	s_waitcnt lgkmcnt(1)
	ds_write_b64 v3, v[1:2] offset:136
.LBB106_284:
	s_or_b32 exec_lo, exec_lo, s0
	s_mov_b32 s0, exec_lo
	s_waitcnt lgkmcnt(0)
	s_barrier
	buffer_gl0_inv
	v_cmpx_gt_u32_e32 32, v0
	s_cbranch_execz .LBB106_298
; %bb.285:
	v_and_b32_e32 v7, 7, v8
	v_lshlrev_b32_e32 v1, 4, v7
	v_cmp_ne_u32_e32 vcc_lo, 7, v7
	ds_read_u8 v10, v1 offset:128
	ds_read_b64 v[3:4], v1 offset:136
	v_add_co_ci_u32_e64 v2, null, 0, v8, vcc_lo
	v_lshlrev_b32_e32 v2, 2, v2
	s_waitcnt lgkmcnt(1)
	v_and_b32_e32 v1, 0xff, v10
	s_waitcnt lgkmcnt(0)
	ds_bpermute_b32 v5, v2, v3
	ds_bpermute_b32 v6, v2, v4
	;; [unrolled: 1-line block ×3, first 2 shown]
	s_waitcnt lgkmcnt(0)
	v_and_b32_e32 v1, v10, v11
	v_and_b32_e32 v1, 1, v1
	v_cmp_eq_u32_e32 vcc_lo, 1, v1
                                        ; implicit-def: $vgpr1_vgpr2
	s_and_saveexec_b32 s1, vcc_lo
	s_xor_b32 s1, exec_lo, s1
; %bb.286:
	v_cmp_lt_i64_e32 vcc_lo, v[5:6], v[3:4]
                                        ; implicit-def: $vgpr10
                                        ; implicit-def: $vgpr11
	v_cndmask_b32_e32 v2, v4, v6, vcc_lo
	v_cndmask_b32_e32 v1, v3, v5, vcc_lo
                                        ; implicit-def: $vgpr5_vgpr6
                                        ; implicit-def: $vgpr3_vgpr4
; %bb.287:
	s_or_saveexec_b32 s1, s1
	v_mov_b32_e32 v9, 1
	s_xor_b32 exec_lo, exec_lo, s1
; %bb.288:
	v_and_b32_e32 v1, 1, v10
	v_and_b32_e32 v9, 0xff, v11
	v_cmp_eq_u32_e32 vcc_lo, 1, v1
	v_cndmask_b32_e32 v2, v6, v4, vcc_lo
	v_cndmask_b32_e32 v1, v5, v3, vcc_lo
	v_cndmask_b32_e64 v9, v9, 1, vcc_lo
; %bb.289:
	s_or_b32 exec_lo, exec_lo, s1
	v_cmp_gt_u32_e32 vcc_lo, 6, v7
	v_cndmask_b32_e64 v3, 0, 2, vcc_lo
	v_add_lshl_u32 v3, v3, v8, 2
	ds_bpermute_b32 v7, v3, v9
	ds_bpermute_b32 v5, v3, v1
	;; [unrolled: 1-line block ×3, first 2 shown]
	s_waitcnt lgkmcnt(2)
	v_and_b32_e32 v3, v9, v7
	v_and_b32_e32 v3, 1, v3
	v_cmp_eq_u32_e32 vcc_lo, 1, v3
                                        ; implicit-def: $vgpr3_vgpr4
	s_and_saveexec_b32 s1, vcc_lo
	s_xor_b32 s1, exec_lo, s1
	s_cbranch_execz .LBB106_291
; %bb.290:
	s_waitcnt lgkmcnt(0)
	v_cmp_lt_i64_e32 vcc_lo, v[5:6], v[1:2]
                                        ; implicit-def: $vgpr9
                                        ; implicit-def: $vgpr7
	v_cndmask_b32_e32 v4, v2, v6, vcc_lo
	v_cndmask_b32_e32 v3, v1, v5, vcc_lo
                                        ; implicit-def: $vgpr5_vgpr6
                                        ; implicit-def: $vgpr1_vgpr2
.LBB106_291:
	s_or_saveexec_b32 s1, s1
	v_lshlrev_b32_e32 v10, 2, v8
	v_mov_b32_e32 v8, 1
	s_xor_b32 exec_lo, exec_lo, s1
	s_cbranch_execz .LBB106_293
; %bb.292:
	v_and_b32_e32 v3, 1, v9
	v_and_b32_e32 v7, 0xff, v7
	v_cmp_eq_u32_e32 vcc_lo, 1, v3
	s_waitcnt lgkmcnt(0)
	v_cndmask_b32_e32 v4, v6, v2, vcc_lo
	v_cndmask_b32_e32 v3, v5, v1, vcc_lo
	v_cndmask_b32_e64 v8, v7, 1, vcc_lo
.LBB106_293:
	s_or_b32 exec_lo, exec_lo, s1
	v_or_b32_e32 v1, 16, v10
	ds_bpermute_b32 v9, v1, v8
	s_waitcnt lgkmcnt(2)
	ds_bpermute_b32 v5, v1, v3
	s_waitcnt lgkmcnt(2)
	;; [unrolled: 2-line block ×3, first 2 shown]
	v_and_b32_e32 v1, v8, v9
	v_and_b32_e32 v1, 1, v1
	v_cmp_eq_u32_e32 vcc_lo, 1, v1
                                        ; implicit-def: $vgpr1_vgpr2
	s_and_saveexec_b32 s1, vcc_lo
	s_xor_b32 s1, exec_lo, s1
	s_cbranch_execz .LBB106_295
; %bb.294:
	s_waitcnt lgkmcnt(0)
	v_cmp_lt_i64_e32 vcc_lo, v[5:6], v[3:4]
                                        ; implicit-def: $vgpr8
                                        ; implicit-def: $vgpr9
	v_cndmask_b32_e32 v2, v4, v6, vcc_lo
	v_cndmask_b32_e32 v1, v3, v5, vcc_lo
                                        ; implicit-def: $vgpr5_vgpr6
                                        ; implicit-def: $vgpr3_vgpr4
.LBB106_295:
	s_or_saveexec_b32 s1, s1
	v_mov_b32_e32 v7, 1
	s_xor_b32 exec_lo, exec_lo, s1
	s_cbranch_execz .LBB106_297
; %bb.296:
	v_and_b32_e32 v1, 1, v8
	v_cmp_eq_u32_e32 vcc_lo, 1, v1
	s_waitcnt lgkmcnt(0)
	v_cndmask_b32_e32 v2, v6, v4, vcc_lo
	v_cndmask_b32_e32 v1, v5, v3, vcc_lo
	v_cndmask_b32_e64 v7, v9, 1, vcc_lo
.LBB106_297:
	s_or_b32 exec_lo, exec_lo, s1
.LBB106_298:
	s_or_b32 exec_lo, exec_lo, s0
	s_branch .LBB106_359
.LBB106_299:
                                        ; implicit-def: $vgpr3_vgpr4
                                        ; implicit-def: $vgpr5
                                        ; implicit-def: $vgpr1_vgpr2
	s_cbranch_execnz .LBB106_364
	s_branch .LBB106_384
.LBB106_300:
                                        ; implicit-def: $vgpr3_vgpr4
                                        ; implicit-def: $vgpr5
                                        ; implicit-def: $vgpr1_vgpr2
	s_branch .LBB106_384
.LBB106_301:
                                        ; implicit-def: $vgpr1_vgpr2
                                        ; implicit-def: $vgpr7
	s_cbranch_execz .LBB106_359
; %bb.302:
	s_waitcnt lgkmcnt(0)
	v_mov_b32_e32 v3, 0
	v_mov_b32_e32 v1, 0
	;; [unrolled: 1-line block ×6, first 2 shown]
	s_sub_i32 s8, s14, s8
	s_mov_b32 s0, exec_lo
	v_cmpx_gt_u32_e64 s8, v0
	s_cbranch_execz .LBB106_304
; %bb.303:
	v_lshlrev_b32_e32 v1, 4, v0
	s_clause 0x1
	global_load_ubyte v6, v1, s[2:3]
	global_load_dwordx2 v[1:2], v1, s[2:3] offset:8
.LBB106_304:
	s_or_b32 exec_lo, exec_lo, s0
	v_or_b32_e32 v7, 0x100, v0
	v_cmp_gt_u32_e32 vcc_lo, s8, v7
	s_and_saveexec_b32 s0, vcc_lo
	s_cbranch_execz .LBB106_306
; %bb.305:
	v_lshlrev_b32_e32 v3, 4, v7
	s_clause 0x1
	global_load_ubyte v5, v3, s[2:3]
	global_load_dwordx2 v[3:4], v3, s[2:3] offset:8
.LBB106_306:
	s_or_b32 exec_lo, exec_lo, s0
	s_waitcnt vmcnt(1)
	v_and_b32_e32 v7, 1, v5
	s_waitcnt vmcnt(0)
	v_cmp_lt_i64_e64 s0, v[3:4], v[1:2]
	v_and_b32_e32 v8, 0xff, v5
	v_mbcnt_lo_u32_b32 v5, -1, 0
	v_cmp_eq_u32_e64 s1, 1, v7
	v_and_b32_e32 v7, 0xff, v6
	v_and_b32_e32 v6, 1, v6
	s_and_b32 s0, s1, s0
	v_cmp_ne_u32_e64 s1, 31, v5
	v_cndmask_b32_e64 v9, v2, v4, s0
	v_cndmask_b32_e64 v10, v1, v3, s0
	v_cmp_eq_u32_e64 s0, 1, v6
	v_cndmask_b32_e64 v6, v8, 1, s0
	v_add_co_ci_u32_e64 v8, null, 0, v5, s1
	v_cndmask_b32_e64 v3, v3, v10, s0
	v_cndmask_b32_e64 v4, v4, v9, s0
	v_cndmask_b32_e32 v7, v7, v6, vcc_lo
	v_lshlrev_b32_e32 v6, 2, v8
	s_min_u32 s0, s8, 0x100
	v_cndmask_b32_e32 v1, v1, v3, vcc_lo
	v_cndmask_b32_e32 v2, v2, v4, vcc_lo
	v_add_nc_u32_e32 v9, 1, v5
	ds_bpermute_b32 v8, v6, v7
	s_mov_b32 s1, exec_lo
	ds_bpermute_b32 v3, v6, v1
	ds_bpermute_b32 v4, v6, v2
	v_and_b32_e32 v6, 0xe0, v0
	v_sub_nc_u32_e64 v6, s0, v6 clamp
	v_cmpx_lt_u32_e64 v9, v6
	s_cbranch_execz .LBB106_312
; %bb.307:
	s_waitcnt lgkmcnt(2)
	v_and_b32_e32 v9, v7, v8
	s_mov_b32 s2, exec_lo
	v_cmpx_ne_u32_e32 0, v9
	s_xor_b32 s2, exec_lo, s2
	s_cbranch_execz .LBB106_309
; %bb.308:
	s_waitcnt lgkmcnt(0)
	v_cmp_lt_i64_e32 vcc_lo, v[3:4], v[1:2]
                                        ; implicit-def: $vgpr7
                                        ; implicit-def: $vgpr8
	v_cndmask_b32_e32 v2, v2, v4, vcc_lo
	v_cndmask_b32_e32 v1, v1, v3, vcc_lo
                                        ; implicit-def: $vgpr3_vgpr4
.LBB106_309:
	s_or_saveexec_b32 s2, s2
	v_mov_b32_e32 v9, 1
	s_xor_b32 exec_lo, exec_lo, s2
	s_cbranch_execz .LBB106_311
; %bb.310:
	v_and_b32_e32 v7, 1, v7
	v_cmp_eq_u32_e32 vcc_lo, 1, v7
	v_and_b32_e32 v7, 0xff, v8
	s_waitcnt lgkmcnt(0)
	v_cndmask_b32_e32 v2, v4, v2, vcc_lo
	v_cndmask_b32_e32 v1, v3, v1, vcc_lo
	v_cndmask_b32_e64 v9, v7, 1, vcc_lo
.LBB106_311:
	s_or_b32 exec_lo, exec_lo, s2
	v_mov_b32_e32 v7, v9
.LBB106_312:
	s_or_b32 exec_lo, exec_lo, s1
	v_cmp_gt_u32_e32 vcc_lo, 30, v5
	v_add_nc_u32_e32 v9, 2, v5
	s_mov_b32 s1, exec_lo
	s_waitcnt lgkmcnt(1)
	v_cndmask_b32_e64 v3, 0, 2, vcc_lo
	s_waitcnt lgkmcnt(0)
	v_add_lshl_u32 v4, v3, v5, 2
	ds_bpermute_b32 v8, v4, v7
	ds_bpermute_b32 v3, v4, v1
	ds_bpermute_b32 v4, v4, v2
	v_cmpx_lt_u32_e64 v9, v6
	s_cbranch_execz .LBB106_318
; %bb.313:
	s_waitcnt lgkmcnt(2)
	v_and_b32_e32 v9, v7, v8
	s_mov_b32 s2, exec_lo
	v_and_b32_e32 v9, 1, v9
	v_cmpx_eq_u32_e32 1, v9
	s_xor_b32 s2, exec_lo, s2
	s_cbranch_execz .LBB106_315
; %bb.314:
	s_waitcnt lgkmcnt(0)
	v_cmp_lt_i64_e32 vcc_lo, v[3:4], v[1:2]
                                        ; implicit-def: $vgpr7
                                        ; implicit-def: $vgpr8
	v_cndmask_b32_e32 v2, v2, v4, vcc_lo
	v_cndmask_b32_e32 v1, v1, v3, vcc_lo
                                        ; implicit-def: $vgpr3_vgpr4
.LBB106_315:
	s_or_saveexec_b32 s2, s2
	v_mov_b32_e32 v9, 1
	s_xor_b32 exec_lo, exec_lo, s2
	s_cbranch_execz .LBB106_317
; %bb.316:
	v_and_b32_e32 v7, 1, v7
	v_cmp_eq_u32_e32 vcc_lo, 1, v7
	v_and_b32_e32 v7, 0xff, v8
	s_waitcnt lgkmcnt(0)
	v_cndmask_b32_e32 v2, v4, v2, vcc_lo
	v_cndmask_b32_e32 v1, v3, v1, vcc_lo
	v_cndmask_b32_e64 v9, v7, 1, vcc_lo
.LBB106_317:
	s_or_b32 exec_lo, exec_lo, s2
	v_mov_b32_e32 v7, v9
.LBB106_318:
	s_or_b32 exec_lo, exec_lo, s1
	v_cmp_gt_u32_e32 vcc_lo, 28, v5
	v_add_nc_u32_e32 v9, 4, v5
	s_mov_b32 s1, exec_lo
	s_waitcnt lgkmcnt(1)
	v_cndmask_b32_e64 v3, 0, 4, vcc_lo
	s_waitcnt lgkmcnt(0)
	v_add_lshl_u32 v4, v3, v5, 2
	ds_bpermute_b32 v8, v4, v7
	ds_bpermute_b32 v3, v4, v1
	ds_bpermute_b32 v4, v4, v2
	v_cmpx_lt_u32_e64 v9, v6
	s_cbranch_execz .LBB106_324
; %bb.319:
	s_waitcnt lgkmcnt(2)
	v_and_b32_e32 v9, v7, v8
	s_mov_b32 s2, exec_lo
	v_and_b32_e32 v9, 1, v9
	v_cmpx_eq_u32_e32 1, v9
	s_xor_b32 s2, exec_lo, s2
	s_cbranch_execz .LBB106_321
; %bb.320:
	s_waitcnt lgkmcnt(0)
	v_cmp_lt_i64_e32 vcc_lo, v[3:4], v[1:2]
                                        ; implicit-def: $vgpr7
                                        ; implicit-def: $vgpr8
	v_cndmask_b32_e32 v2, v2, v4, vcc_lo
	v_cndmask_b32_e32 v1, v1, v3, vcc_lo
                                        ; implicit-def: $vgpr3_vgpr4
.LBB106_321:
	s_or_saveexec_b32 s2, s2
	v_mov_b32_e32 v9, 1
	s_xor_b32 exec_lo, exec_lo, s2
	s_cbranch_execz .LBB106_323
; %bb.322:
	v_and_b32_e32 v7, 1, v7
	v_cmp_eq_u32_e32 vcc_lo, 1, v7
	v_and_b32_e32 v7, 0xff, v8
	s_waitcnt lgkmcnt(0)
	v_cndmask_b32_e32 v2, v4, v2, vcc_lo
	v_cndmask_b32_e32 v1, v3, v1, vcc_lo
	v_cndmask_b32_e64 v9, v7, 1, vcc_lo
.LBB106_323:
	s_or_b32 exec_lo, exec_lo, s2
	v_mov_b32_e32 v7, v9
.LBB106_324:
	;; [unrolled: 46-line block ×3, first 2 shown]
	s_or_b32 exec_lo, exec_lo, s1
	s_waitcnt lgkmcnt(2)
	v_lshlrev_b32_e32 v8, 2, v5
	v_add_nc_u32_e32 v10, 16, v5
	s_waitcnt lgkmcnt(0)
	v_or_b32_e32 v4, 64, v8
	v_cmp_lt_u32_e32 vcc_lo, v10, v6
	v_mov_b32_e32 v6, v7
	ds_bpermute_b32 v9, v4, v7
	ds_bpermute_b32 v3, v4, v1
	;; [unrolled: 1-line block ×3, first 2 shown]
	s_and_saveexec_b32 s1, vcc_lo
	s_cbranch_execz .LBB106_336
; %bb.331:
	s_waitcnt lgkmcnt(2)
	v_and_b32_e32 v6, v7, v9
	s_mov_b32 s2, exec_lo
	v_and_b32_e32 v6, 1, v6
	v_cmpx_eq_u32_e32 1, v6
	s_xor_b32 s2, exec_lo, s2
	s_cbranch_execz .LBB106_333
; %bb.332:
	s_waitcnt lgkmcnt(0)
	v_cmp_lt_i64_e32 vcc_lo, v[3:4], v[1:2]
                                        ; implicit-def: $vgpr7
                                        ; implicit-def: $vgpr9
	v_cndmask_b32_e32 v2, v2, v4, vcc_lo
	v_cndmask_b32_e32 v1, v1, v3, vcc_lo
                                        ; implicit-def: $vgpr3_vgpr4
.LBB106_333:
	s_or_saveexec_b32 s2, s2
	v_mov_b32_e32 v6, 1
	s_xor_b32 exec_lo, exec_lo, s2
	s_cbranch_execz .LBB106_335
; %bb.334:
	v_and_b32_e32 v6, 1, v7
	v_cmp_eq_u32_e32 vcc_lo, 1, v6
	v_cndmask_b32_e64 v6, v9, 1, vcc_lo
	s_waitcnt lgkmcnt(0)
	v_cndmask_b32_e32 v2, v4, v2, vcc_lo
	v_cndmask_b32_e32 v1, v3, v1, vcc_lo
.LBB106_335:
	s_or_b32 exec_lo, exec_lo, s2
	v_and_b32_e32 v7, 0xff, v6
.LBB106_336:
	s_or_b32 exec_lo, exec_lo, s1
	s_mov_b32 s1, exec_lo
	v_cmpx_eq_u32_e32 0, v5
	s_cbranch_execz .LBB106_338
; %bb.337:
	s_waitcnt lgkmcnt(1)
	v_lshrrev_b32_e32 v3, 1, v0
	v_and_b32_e32 v3, 0x70, v3
	ds_write_b8 v3, v6 offset:512
	ds_write_b64 v3, v[1:2] offset:520
.LBB106_338:
	s_or_b32 exec_lo, exec_lo, s1
	s_mov_b32 s1, exec_lo
	s_waitcnt lgkmcnt(0)
	s_barrier
	buffer_gl0_inv
	v_cmpx_gt_u32_e32 8, v0
	s_cbranch_execz .LBB106_358
; %bb.339:
	v_lshlrev_b32_e32 v1, 4, v5
	v_and_b32_e32 v6, 7, v5
	s_add_i32 s0, s0, 31
	s_mov_b32 s2, exec_lo
	s_lshr_b32 s0, s0, 5
	ds_read_u8 v9, v1 offset:512
	ds_read_b64 v[1:2], v1 offset:520
	v_cmp_ne_u32_e32 vcc_lo, 7, v6
	v_add_nc_u32_e32 v11, 1, v6
	v_add_co_ci_u32_e64 v3, null, 0, v5, vcc_lo
	v_lshlrev_b32_e32 v4, 2, v3
	s_waitcnt lgkmcnt(1)
	v_and_b32_e32 v7, 0xff, v9
	s_waitcnt lgkmcnt(0)
	ds_bpermute_b32 v3, v4, v1
	ds_bpermute_b32 v10, v4, v7
	;; [unrolled: 1-line block ×3, first 2 shown]
	v_cmpx_gt_u32_e64 s0, v11
	s_cbranch_execz .LBB106_345
; %bb.340:
	s_waitcnt lgkmcnt(1)
	v_and_b32_e32 v7, v7, v10
	s_mov_b32 s3, exec_lo
	v_and_b32_e32 v7, 1, v7
	v_cmpx_eq_u32_e32 1, v7
	s_xor_b32 s3, exec_lo, s3
	s_cbranch_execz .LBB106_342
; %bb.341:
	s_waitcnt lgkmcnt(0)
	v_cmp_lt_i64_e32 vcc_lo, v[3:4], v[1:2]
                                        ; implicit-def: $vgpr9
                                        ; implicit-def: $vgpr10
	v_cndmask_b32_e32 v2, v2, v4, vcc_lo
	v_cndmask_b32_e32 v1, v1, v3, vcc_lo
                                        ; implicit-def: $vgpr3_vgpr4
.LBB106_342:
	s_or_saveexec_b32 s3, s3
	v_mov_b32_e32 v7, 1
	s_xor_b32 exec_lo, exec_lo, s3
	s_cbranch_execz .LBB106_344
; %bb.343:
	v_and_b32_e32 v7, 1, v9
	v_cmp_eq_u32_e32 vcc_lo, 1, v7
	v_and_b32_e32 v7, 0xff, v10
	s_waitcnt lgkmcnt(0)
	v_cndmask_b32_e32 v2, v4, v2, vcc_lo
	v_cndmask_b32_e32 v1, v3, v1, vcc_lo
	v_cndmask_b32_e64 v7, v7, 1, vcc_lo
.LBB106_344:
	s_or_b32 exec_lo, exec_lo, s3
.LBB106_345:
	s_or_b32 exec_lo, exec_lo, s2
	v_cmp_gt_u32_e32 vcc_lo, 6, v6
	v_add_nc_u32_e32 v9, 2, v6
	s_mov_b32 s2, exec_lo
	s_waitcnt lgkmcnt(2)
	v_cndmask_b32_e64 v3, 0, 2, vcc_lo
	s_waitcnt lgkmcnt(0)
	v_add_lshl_u32 v4, v3, v5, 2
	ds_bpermute_b32 v5, v4, v7
	ds_bpermute_b32 v3, v4, v1
	;; [unrolled: 1-line block ×3, first 2 shown]
	v_cmpx_gt_u32_e64 s0, v9
	s_cbranch_execz .LBB106_351
; %bb.346:
	s_waitcnt lgkmcnt(2)
	v_and_b32_e32 v9, v7, v5
	s_mov_b32 s3, exec_lo
	v_and_b32_e32 v9, 1, v9
	v_cmpx_eq_u32_e32 1, v9
	s_xor_b32 s3, exec_lo, s3
	s_cbranch_execz .LBB106_348
; %bb.347:
	s_waitcnt lgkmcnt(0)
	v_cmp_lt_i64_e32 vcc_lo, v[3:4], v[1:2]
                                        ; implicit-def: $vgpr7
                                        ; implicit-def: $vgpr5
	v_cndmask_b32_e32 v2, v2, v4, vcc_lo
	v_cndmask_b32_e32 v1, v1, v3, vcc_lo
                                        ; implicit-def: $vgpr3_vgpr4
.LBB106_348:
	s_or_saveexec_b32 s3, s3
	v_mov_b32_e32 v9, 1
	s_xor_b32 exec_lo, exec_lo, s3
	s_cbranch_execz .LBB106_350
; %bb.349:
	v_and_b32_e32 v7, 1, v7
	v_and_b32_e32 v5, 0xff, v5
	v_cmp_eq_u32_e32 vcc_lo, 1, v7
	s_waitcnt lgkmcnt(0)
	v_cndmask_b32_e32 v2, v4, v2, vcc_lo
	v_cndmask_b32_e32 v1, v3, v1, vcc_lo
	v_cndmask_b32_e64 v9, v5, 1, vcc_lo
.LBB106_350:
	s_or_b32 exec_lo, exec_lo, s3
	v_mov_b32_e32 v7, v9
.LBB106_351:
	s_or_b32 exec_lo, exec_lo, s2
	s_waitcnt lgkmcnt(0)
	v_or_b32_e32 v4, 16, v8
	v_add_nc_u32_e32 v6, 4, v6
	ds_bpermute_b32 v5, v4, v7
	ds_bpermute_b32 v3, v4, v1
	;; [unrolled: 1-line block ×3, first 2 shown]
	v_cmp_gt_u32_e32 vcc_lo, s0, v6
	s_and_saveexec_b32 s0, vcc_lo
	s_cbranch_execz .LBB106_357
; %bb.352:
	s_waitcnt lgkmcnt(2)
	v_and_b32_e32 v6, v7, v5
	s_mov_b32 s2, exec_lo
	v_and_b32_e32 v6, 1, v6
	v_cmpx_eq_u32_e32 1, v6
	s_xor_b32 s2, exec_lo, s2
	s_cbranch_execz .LBB106_354
; %bb.353:
	s_waitcnt lgkmcnt(0)
	v_cmp_lt_i64_e32 vcc_lo, v[3:4], v[1:2]
                                        ; implicit-def: $vgpr7
                                        ; implicit-def: $vgpr5
	v_cndmask_b32_e32 v2, v2, v4, vcc_lo
	v_cndmask_b32_e32 v1, v1, v3, vcc_lo
                                        ; implicit-def: $vgpr3_vgpr4
.LBB106_354:
	s_or_saveexec_b32 s2, s2
	v_mov_b32_e32 v6, 1
	s_xor_b32 exec_lo, exec_lo, s2
	s_cbranch_execz .LBB106_356
; %bb.355:
	v_and_b32_e32 v6, 1, v7
	v_cmp_eq_u32_e32 vcc_lo, 1, v6
	s_waitcnt lgkmcnt(0)
	v_cndmask_b32_e32 v2, v4, v2, vcc_lo
	v_cndmask_b32_e32 v1, v3, v1, vcc_lo
	v_cndmask_b32_e64 v6, v5, 1, vcc_lo
.LBB106_356:
	s_or_b32 exec_lo, exec_lo, s2
	v_mov_b32_e32 v7, v6
.LBB106_357:
	s_or_b32 exec_lo, exec_lo, s0
.LBB106_358:
	s_or_b32 exec_lo, exec_lo, s1
.LBB106_359:
                                        ; implicit-def: $vgpr3_vgpr4
                                        ; implicit-def: $vgpr5
	s_mov_b32 s0, exec_lo
	v_cmpx_eq_u32_e32 0, v0
	s_xor_b32 s2, exec_lo, s0
	s_cbranch_execz .LBB106_363
; %bb.360:
	s_waitcnt lgkmcnt(0)
	v_mov_b32_e32 v3, s16
	v_mov_b32_e32 v4, s17
	;; [unrolled: 1-line block ×3, first 2 shown]
	s_cmp_eq_u64 s[14:15], 0
	s_cbranch_scc1 .LBB106_362
; %bb.361:
	v_and_b32_e32 v3, 1, v7
	v_cmp_gt_i64_e32 vcc_lo, s[16:17], v[1:2]
	s_bitcmp1_b32 s18, 0
	s_cselect_b32 s1, -1, 0
	v_cmp_eq_u32_e64 s0, 1, v3
	v_cndmask_b32_e64 v5, v7, 1, s1
	s_and_b32 vcc_lo, s0, vcc_lo
	v_cndmask_b32_e32 v3, s16, v1, vcc_lo
	v_cndmask_b32_e32 v4, s17, v2, vcc_lo
	v_cndmask_b32_e64 v3, v1, v3, s1
	v_cndmask_b32_e64 v4, v2, v4, s1
.LBB106_362:
	s_or_b32 s10, s10, exec_lo
.LBB106_363:
	s_or_b32 exec_lo, exec_lo, s2
	v_mov_b32_e32 v1, s6
	v_mov_b32_e32 v2, s7
	s_branch .LBB106_384
.LBB106_364:
	s_cmp_eq_u32 s19, 1
	s_cbranch_scc0 .LBB106_383
; %bb.365:
	s_mov_b32 s3, 0
	v_mbcnt_lo_u32_b32 v7, -1, 0
	s_lshr_b64 s[0:1], s[14:15], 8
	s_mov_b32 s7, s3
	s_lshl_b32 s2, s6, 8
	s_cmp_lg_u64 s[0:1], s[6:7]
	s_cbranch_scc0 .LBB106_387
; %bb.366:
	s_lshl_b64 s[0:1], s[2:3], 4
	v_lshlrev_b32_e32 v1, 4, v0
	s_add_u32 s0, s12, s0
	s_addc_u32 s1, s13, s1
	s_waitcnt lgkmcnt(1)
	s_clause 0x1
	global_load_ubyte v3, v1, s[0:1]
	global_load_dwordx2 v[1:2], v1, s[0:1] offset:8
	s_waitcnt vmcnt(1)
	v_and_b32_e32 v5, 1, v3
	s_waitcnt vmcnt(0)
	v_mov_b32_dpp v3, v1 quad_perm:[1,0,3,2] row_mask:0xf bank_mask:0xf
	s_waitcnt lgkmcnt(0)
	v_mov_b32_dpp v4, v2 quad_perm:[1,0,3,2] row_mask:0xf bank_mask:0xf
	v_mov_b32_dpp v6, v5 quad_perm:[1,0,3,2] row_mask:0xf bank_mask:0xf
	v_cmp_eq_u32_e64 s0, 1, v5
	v_cmp_lt_i64_e32 vcc_lo, v[1:2], v[3:4]
	v_and_b32_e32 v6, 1, v6
	s_and_b32 vcc_lo, s0, vcc_lo
	v_cndmask_b32_e32 v3, v3, v1, vcc_lo
	v_cndmask_b32_e32 v4, v4, v2, vcc_lo
	v_cmp_eq_u32_e32 vcc_lo, 1, v6
	v_cndmask_b32_e32 v2, v2, v4, vcc_lo
	v_cndmask_b32_e32 v1, v1, v3, vcc_lo
	v_cndmask_b32_e64 v5, v5, 1, vcc_lo
	v_mov_b32_dpp v4, v2 quad_perm:[2,3,0,1] row_mask:0xf bank_mask:0xf
	v_mov_b32_dpp v3, v1 quad_perm:[2,3,0,1] row_mask:0xf bank_mask:0xf
	v_and_b32_e32 v8, 1, v5
	v_mov_b32_dpp v6, v5 quad_perm:[2,3,0,1] row_mask:0xf bank_mask:0xf
	v_cmp_lt_i64_e32 vcc_lo, v[1:2], v[3:4]
	v_cmp_eq_u32_e64 s0, 1, v8
	v_and_b32_e32 v6, 1, v6
	s_and_b32 vcc_lo, s0, vcc_lo
	v_cmp_eq_u32_e64 s1, 1, v6
	v_cndmask_b32_e32 v3, v3, v1, vcc_lo
	v_cndmask_b32_e32 v4, v4, v2, vcc_lo
	v_cndmask_b32_e64 v5, v5, 1, s1
	v_cndmask_b32_e64 v1, v1, v3, s1
	;; [unrolled: 1-line block ×3, first 2 shown]
	v_and_b32_e32 v8, 1, v5
	v_mov_b32_dpp v3, v1 row_ror:4 row_mask:0xf bank_mask:0xf
	v_mov_b32_dpp v4, v2 row_ror:4 row_mask:0xf bank_mask:0xf
	;; [unrolled: 1-line block ×3, first 2 shown]
	v_cmp_eq_u32_e64 s0, 1, v8
	v_cmp_lt_i64_e32 vcc_lo, v[1:2], v[3:4]
	v_and_b32_e32 v6, 1, v6
	s_and_b32 vcc_lo, s0, vcc_lo
	v_cmp_eq_u32_e64 s1, 1, v6
	v_cndmask_b32_e32 v3, v3, v1, vcc_lo
	v_cndmask_b32_e32 v4, v4, v2, vcc_lo
	v_cndmask_b32_e64 v5, v5, 1, s1
	v_cndmask_b32_e64 v1, v1, v3, s1
	;; [unrolled: 1-line block ×3, first 2 shown]
	v_and_b32_e32 v8, 1, v5
	v_mov_b32_dpp v3, v1 row_ror:8 row_mask:0xf bank_mask:0xf
	v_mov_b32_dpp v4, v2 row_ror:8 row_mask:0xf bank_mask:0xf
	v_mov_b32_dpp v6, v5 row_ror:8 row_mask:0xf bank_mask:0xf
	v_cmp_eq_u32_e64 s0, 1, v8
	v_cmp_lt_i64_e32 vcc_lo, v[1:2], v[3:4]
	v_and_b32_e32 v6, 1, v6
	s_and_b32 vcc_lo, s0, vcc_lo
	v_cmp_eq_u32_e64 s1, 1, v6
	v_cndmask_b32_e32 v3, v3, v1, vcc_lo
	v_cndmask_b32_e32 v4, v4, v2, vcc_lo
	v_cndmask_b32_e64 v5, v5, 1, s1
	v_cndmask_b32_e64 v1, v1, v3, s1
	;; [unrolled: 1-line block ×3, first 2 shown]
	ds_swizzle_b32 v6, v5 offset:swizzle(BROADCAST,32,15)
	ds_swizzle_b32 v3, v1 offset:swizzle(BROADCAST,32,15)
	;; [unrolled: 1-line block ×3, first 2 shown]
	v_and_b32_e32 v8, 1, v5
	v_cmp_eq_u32_e64 s0, 1, v8
	s_waitcnt lgkmcnt(2)
	v_and_b32_e32 v6, 1, v6
	s_waitcnt lgkmcnt(0)
	v_cmp_lt_i64_e32 vcc_lo, v[1:2], v[3:4]
	v_cmp_eq_u32_e64 s1, 1, v6
	v_mov_b32_e32 v6, 0
	s_and_b32 vcc_lo, s0, vcc_lo
	s_mov_b32 s0, exec_lo
	v_cndmask_b32_e32 v3, v3, v1, vcc_lo
	v_cndmask_b32_e32 v4, v4, v2, vcc_lo
	v_cndmask_b32_e64 v5, v5, 1, s1
	v_cndmask_b32_e64 v1, v1, v3, s1
	;; [unrolled: 1-line block ×3, first 2 shown]
	ds_bpermute_b32 v8, v6, v5 offset:124
	ds_bpermute_b32 v1, v6, v1 offset:124
	;; [unrolled: 1-line block ×3, first 2 shown]
	v_cmpx_eq_u32_e32 0, v7
	s_cbranch_execz .LBB106_368
; %bb.367:
	v_lshrrev_b32_e32 v3, 1, v0
	v_and_b32_e32 v3, 0x70, v3
	s_waitcnt lgkmcnt(2)
	ds_write_b8 v3, v8
	s_waitcnt lgkmcnt(1)
	ds_write_b64 v3, v[1:2] offset:8
.LBB106_368:
	s_or_b32 exec_lo, exec_lo, s0
	s_mov_b32 s0, exec_lo
	s_waitcnt lgkmcnt(0)
	s_barrier
	buffer_gl0_inv
	v_cmpx_gt_u32_e32 32, v0
	s_cbranch_execz .LBB106_382
; %bb.369:
	v_and_b32_e32 v8, 7, v7
	v_lshlrev_b32_e32 v1, 4, v8
	v_cmp_ne_u32_e32 vcc_lo, 7, v8
	ds_read_u8 v10, v1
	ds_read_b64 v[3:4], v1 offset:8
	v_add_co_ci_u32_e64 v2, null, 0, v7, vcc_lo
	v_lshlrev_b32_e32 v2, 2, v2
	s_waitcnt lgkmcnt(1)
	v_and_b32_e32 v1, 0xff, v10
	s_waitcnt lgkmcnt(0)
	ds_bpermute_b32 v5, v2, v3
	ds_bpermute_b32 v6, v2, v4
	;; [unrolled: 1-line block ×3, first 2 shown]
	s_waitcnt lgkmcnt(0)
	v_and_b32_e32 v1, v10, v11
	v_and_b32_e32 v1, 1, v1
	v_cmp_eq_u32_e32 vcc_lo, 1, v1
                                        ; implicit-def: $vgpr1_vgpr2
	s_and_saveexec_b32 s1, vcc_lo
	s_xor_b32 s1, exec_lo, s1
; %bb.370:
	v_cmp_lt_i64_e32 vcc_lo, v[5:6], v[3:4]
                                        ; implicit-def: $vgpr10
                                        ; implicit-def: $vgpr11
	v_cndmask_b32_e32 v2, v4, v6, vcc_lo
	v_cndmask_b32_e32 v1, v3, v5, vcc_lo
                                        ; implicit-def: $vgpr5_vgpr6
                                        ; implicit-def: $vgpr3_vgpr4
; %bb.371:
	s_or_saveexec_b32 s1, s1
	v_mov_b32_e32 v9, 1
	s_xor_b32 exec_lo, exec_lo, s1
; %bb.372:
	v_and_b32_e32 v1, 1, v10
	v_and_b32_e32 v9, 0xff, v11
	v_cmp_eq_u32_e32 vcc_lo, 1, v1
	v_cndmask_b32_e32 v2, v6, v4, vcc_lo
	v_cndmask_b32_e32 v1, v5, v3, vcc_lo
	v_cndmask_b32_e64 v9, v9, 1, vcc_lo
; %bb.373:
	s_or_b32 exec_lo, exec_lo, s1
	v_cmp_gt_u32_e32 vcc_lo, 6, v8
	v_cndmask_b32_e64 v3, 0, 2, vcc_lo
	v_add_lshl_u32 v3, v3, v7, 2
	ds_bpermute_b32 v8, v3, v9
	ds_bpermute_b32 v5, v3, v1
	ds_bpermute_b32 v6, v3, v2
	s_waitcnt lgkmcnt(2)
	v_and_b32_e32 v3, v9, v8
	v_and_b32_e32 v3, 1, v3
	v_cmp_eq_u32_e32 vcc_lo, 1, v3
                                        ; implicit-def: $vgpr3_vgpr4
	s_and_saveexec_b32 s1, vcc_lo
	s_xor_b32 s1, exec_lo, s1
	s_cbranch_execz .LBB106_375
; %bb.374:
	s_waitcnt lgkmcnt(0)
	v_cmp_lt_i64_e32 vcc_lo, v[5:6], v[1:2]
                                        ; implicit-def: $vgpr9
                                        ; implicit-def: $vgpr8
	v_cndmask_b32_e32 v4, v2, v6, vcc_lo
	v_cndmask_b32_e32 v3, v1, v5, vcc_lo
                                        ; implicit-def: $vgpr5_vgpr6
                                        ; implicit-def: $vgpr1_vgpr2
.LBB106_375:
	s_or_saveexec_b32 s1, s1
	v_lshlrev_b32_e32 v11, 2, v7
	v_mov_b32_e32 v10, 1
	s_xor_b32 exec_lo, exec_lo, s1
	s_cbranch_execz .LBB106_377
; %bb.376:
	v_and_b32_e32 v3, 1, v9
	v_and_b32_e32 v8, 0xff, v8
	v_cmp_eq_u32_e32 vcc_lo, 1, v3
	s_waitcnt lgkmcnt(0)
	v_cndmask_b32_e32 v4, v6, v2, vcc_lo
	v_cndmask_b32_e32 v3, v5, v1, vcc_lo
	v_cndmask_b32_e64 v10, v8, 1, vcc_lo
.LBB106_377:
	s_or_b32 exec_lo, exec_lo, s1
	v_or_b32_e32 v1, 16, v11
	ds_bpermute_b32 v9, v1, v10
	s_waitcnt lgkmcnt(2)
	ds_bpermute_b32 v5, v1, v3
	s_waitcnt lgkmcnt(2)
	;; [unrolled: 2-line block ×3, first 2 shown]
	v_and_b32_e32 v1, v10, v9
	v_and_b32_e32 v1, 1, v1
	v_cmp_eq_u32_e32 vcc_lo, 1, v1
                                        ; implicit-def: $vgpr1_vgpr2
	s_and_saveexec_b32 s1, vcc_lo
	s_xor_b32 s1, exec_lo, s1
	s_cbranch_execz .LBB106_379
; %bb.378:
	s_waitcnt lgkmcnt(0)
	v_cmp_lt_i64_e32 vcc_lo, v[5:6], v[3:4]
                                        ; implicit-def: $vgpr10
                                        ; implicit-def: $vgpr9
	v_cndmask_b32_e32 v2, v4, v6, vcc_lo
	v_cndmask_b32_e32 v1, v3, v5, vcc_lo
                                        ; implicit-def: $vgpr5_vgpr6
                                        ; implicit-def: $vgpr3_vgpr4
.LBB106_379:
	s_or_saveexec_b32 s1, s1
	v_mov_b32_e32 v8, 1
	s_xor_b32 exec_lo, exec_lo, s1
	s_cbranch_execz .LBB106_381
; %bb.380:
	v_and_b32_e32 v1, 1, v10
	v_cmp_eq_u32_e32 vcc_lo, 1, v1
	s_waitcnt lgkmcnt(0)
	v_cndmask_b32_e32 v2, v6, v4, vcc_lo
	v_cndmask_b32_e32 v1, v5, v3, vcc_lo
	v_cndmask_b32_e64 v8, v9, 1, vcc_lo
.LBB106_381:
	s_or_b32 exec_lo, exec_lo, s1
.LBB106_382:
	s_or_b32 exec_lo, exec_lo, s0
	s_branch .LBB106_443
.LBB106_383:
                                        ; implicit-def: $vgpr3_vgpr4
                                        ; implicit-def: $vgpr5
                                        ; implicit-def: $vgpr1_vgpr2
.LBB106_384:
	s_and_saveexec_b32 s0, s10
	s_cbranch_execz .LBB106_386
.LBB106_385:
	s_load_dwordx2 s[0:1], s[4:5], 0x18
	v_lshlrev_b64 v[0:1], 4, v[1:2]
	s_waitcnt lgkmcnt(0)
	v_add_co_u32 v0, vcc_lo, s0, v0
	v_add_co_ci_u32_e64 v1, null, s1, v1, vcc_lo
	global_store_byte v[0:1], v5, off
	global_store_dwordx2 v[0:1], v[3:4], off offset:8
.LBB106_386:
	s_endpgm
.LBB106_387:
                                        ; implicit-def: $vgpr1_vgpr2
                                        ; implicit-def: $vgpr8
	s_cbranch_execz .LBB106_443
; %bb.388:
	v_mov_b32_e32 v1, 0
	v_mov_b32_e32 v2, 0
	s_waitcnt lgkmcnt(0)
	v_mov_b32_e32 v6, 0
	s_sub_i32 s0, s14, s2
	s_mov_b32 s1, exec_lo
	v_cmpx_gt_u32_e64 s0, v0
	s_cbranch_execz .LBB106_390
; %bb.389:
	s_lshl_b64 s[2:3], s[2:3], 4
	v_lshlrev_b32_e32 v1, 4, v0
	s_add_u32 s2, s12, s2
	s_addc_u32 s3, s13, s3
	s_clause 0x1
	global_load_ubyte v6, v1, s[2:3]
	global_load_dwordx2 v[1:2], v1, s[2:3] offset:8
.LBB106_390:
	s_or_b32 exec_lo, exec_lo, s1
	v_cmp_ne_u32_e32 vcc_lo, 31, v7
	s_waitcnt vmcnt(1)
	v_and_b32_e32 v8, 0xff, v6
	v_and_b32_e32 v5, 0xe0, v0
	s_min_u32 s0, s0, 0x100
	v_add_nc_u32_e32 v10, 1, v7
	v_add_co_ci_u32_e64 v3, null, 0, v7, vcc_lo
	v_sub_nc_u32_e64 v5, s0, v5 clamp
	s_mov_b32 s1, exec_lo
	v_lshlrev_b32_e32 v4, 2, v3
	ds_bpermute_b32 v9, v4, v8
	s_waitcnt vmcnt(0)
	ds_bpermute_b32 v3, v4, v1
	ds_bpermute_b32 v4, v4, v2
	v_cmpx_lt_u32_e64 v10, v5
	s_cbranch_execz .LBB106_396
; %bb.391:
	s_waitcnt lgkmcnt(2)
	v_and_b32_e32 v8, v9, v8
	s_mov_b32 s2, exec_lo
	v_cmpx_ne_u32_e32 0, v8
	s_xor_b32 s2, exec_lo, s2
	s_cbranch_execz .LBB106_393
; %bb.392:
	s_waitcnt lgkmcnt(0)
	v_cmp_lt_i64_e32 vcc_lo, v[3:4], v[1:2]
                                        ; implicit-def: $vgpr6
                                        ; implicit-def: $vgpr9
	v_cndmask_b32_e32 v2, v2, v4, vcc_lo
	v_cndmask_b32_e32 v1, v1, v3, vcc_lo
                                        ; implicit-def: $vgpr3_vgpr4
.LBB106_393:
	s_or_saveexec_b32 s2, s2
	v_mov_b32_e32 v8, 1
	s_xor_b32 exec_lo, exec_lo, s2
	s_cbranch_execz .LBB106_395
; %bb.394:
	v_and_b32_e32 v6, 1, v6
	v_cmp_eq_u32_e32 vcc_lo, 1, v6
	v_and_b32_e32 v6, 0xff, v9
	s_waitcnt lgkmcnt(0)
	v_cndmask_b32_e32 v2, v4, v2, vcc_lo
	v_cndmask_b32_e32 v1, v3, v1, vcc_lo
	v_cndmask_b32_e64 v8, v6, 1, vcc_lo
.LBB106_395:
	s_or_b32 exec_lo, exec_lo, s2
.LBB106_396:
	s_or_b32 exec_lo, exec_lo, s1
	v_cmp_gt_u32_e32 vcc_lo, 30, v7
	s_waitcnt lgkmcnt(2)
	v_add_nc_u32_e32 v9, 2, v7
	s_mov_b32 s1, exec_lo
	s_waitcnt lgkmcnt(1)
	v_cndmask_b32_e64 v3, 0, 2, vcc_lo
	s_waitcnt lgkmcnt(0)
	v_add_lshl_u32 v4, v3, v7, 2
	ds_bpermute_b32 v6, v4, v8
	ds_bpermute_b32 v3, v4, v1
	;; [unrolled: 1-line block ×3, first 2 shown]
	v_cmpx_lt_u32_e64 v9, v5
	s_cbranch_execz .LBB106_402
; %bb.397:
	s_waitcnt lgkmcnt(2)
	v_and_b32_e32 v9, v8, v6
	s_mov_b32 s2, exec_lo
	v_and_b32_e32 v9, 1, v9
	v_cmpx_eq_u32_e32 1, v9
	s_xor_b32 s2, exec_lo, s2
	s_cbranch_execz .LBB106_399
; %bb.398:
	s_waitcnt lgkmcnt(0)
	v_cmp_lt_i64_e32 vcc_lo, v[3:4], v[1:2]
                                        ; implicit-def: $vgpr8
                                        ; implicit-def: $vgpr6
	v_cndmask_b32_e32 v2, v2, v4, vcc_lo
	v_cndmask_b32_e32 v1, v1, v3, vcc_lo
                                        ; implicit-def: $vgpr3_vgpr4
.LBB106_399:
	s_or_saveexec_b32 s2, s2
	v_mov_b32_e32 v9, 1
	s_xor_b32 exec_lo, exec_lo, s2
	s_cbranch_execz .LBB106_401
; %bb.400:
	v_and_b32_e32 v8, 1, v8
	v_and_b32_e32 v6, 0xff, v6
	v_cmp_eq_u32_e32 vcc_lo, 1, v8
	s_waitcnt lgkmcnt(0)
	v_cndmask_b32_e32 v2, v4, v2, vcc_lo
	v_cndmask_b32_e32 v1, v3, v1, vcc_lo
	v_cndmask_b32_e64 v9, v6, 1, vcc_lo
.LBB106_401:
	s_or_b32 exec_lo, exec_lo, s2
	v_mov_b32_e32 v8, v9
.LBB106_402:
	s_or_b32 exec_lo, exec_lo, s1
	v_cmp_gt_u32_e32 vcc_lo, 28, v7
	v_add_nc_u32_e32 v9, 4, v7
	s_mov_b32 s1, exec_lo
	s_waitcnt lgkmcnt(1)
	v_cndmask_b32_e64 v3, 0, 4, vcc_lo
	s_waitcnt lgkmcnt(0)
	v_add_lshl_u32 v4, v3, v7, 2
	ds_bpermute_b32 v6, v4, v8
	ds_bpermute_b32 v3, v4, v1
	;; [unrolled: 1-line block ×3, first 2 shown]
	v_cmpx_lt_u32_e64 v9, v5
	s_cbranch_execz .LBB106_408
; %bb.403:
	s_waitcnt lgkmcnt(2)
	v_and_b32_e32 v9, v8, v6
	s_mov_b32 s2, exec_lo
	v_and_b32_e32 v9, 1, v9
	v_cmpx_eq_u32_e32 1, v9
	s_xor_b32 s2, exec_lo, s2
	s_cbranch_execz .LBB106_405
; %bb.404:
	s_waitcnt lgkmcnt(0)
	v_cmp_lt_i64_e32 vcc_lo, v[3:4], v[1:2]
                                        ; implicit-def: $vgpr8
                                        ; implicit-def: $vgpr6
	v_cndmask_b32_e32 v2, v2, v4, vcc_lo
	v_cndmask_b32_e32 v1, v1, v3, vcc_lo
                                        ; implicit-def: $vgpr3_vgpr4
.LBB106_405:
	s_or_saveexec_b32 s2, s2
	v_mov_b32_e32 v9, 1
	s_xor_b32 exec_lo, exec_lo, s2
	s_cbranch_execz .LBB106_407
; %bb.406:
	v_and_b32_e32 v8, 1, v8
	v_and_b32_e32 v6, 0xff, v6
	v_cmp_eq_u32_e32 vcc_lo, 1, v8
	s_waitcnt lgkmcnt(0)
	v_cndmask_b32_e32 v2, v4, v2, vcc_lo
	v_cndmask_b32_e32 v1, v3, v1, vcc_lo
	v_cndmask_b32_e64 v9, v6, 1, vcc_lo
.LBB106_407:
	s_or_b32 exec_lo, exec_lo, s2
	v_mov_b32_e32 v8, v9
.LBB106_408:
	s_or_b32 exec_lo, exec_lo, s1
	v_cmp_gt_u32_e32 vcc_lo, 24, v7
	v_add_nc_u32_e32 v9, 8, v7
	s_mov_b32 s1, exec_lo
	s_waitcnt lgkmcnt(1)
	v_cndmask_b32_e64 v3, 0, 8, vcc_lo
	s_waitcnt lgkmcnt(0)
	v_add_lshl_u32 v4, v3, v7, 2
	ds_bpermute_b32 v6, v4, v8
	ds_bpermute_b32 v3, v4, v1
	ds_bpermute_b32 v4, v4, v2
	v_cmpx_lt_u32_e64 v9, v5
	s_cbranch_execz .LBB106_414
; %bb.409:
	s_waitcnt lgkmcnt(2)
	v_and_b32_e32 v9, v8, v6
	s_mov_b32 s2, exec_lo
	v_and_b32_e32 v9, 1, v9
	v_cmpx_eq_u32_e32 1, v9
	s_xor_b32 s2, exec_lo, s2
	s_cbranch_execz .LBB106_411
; %bb.410:
	s_waitcnt lgkmcnt(0)
	v_cmp_lt_i64_e32 vcc_lo, v[3:4], v[1:2]
                                        ; implicit-def: $vgpr8
                                        ; implicit-def: $vgpr6
	v_cndmask_b32_e32 v2, v2, v4, vcc_lo
	v_cndmask_b32_e32 v1, v1, v3, vcc_lo
                                        ; implicit-def: $vgpr3_vgpr4
.LBB106_411:
	s_or_saveexec_b32 s2, s2
	v_mov_b32_e32 v9, 1
	s_xor_b32 exec_lo, exec_lo, s2
	s_cbranch_execz .LBB106_413
; %bb.412:
	v_and_b32_e32 v8, 1, v8
	v_and_b32_e32 v6, 0xff, v6
	v_cmp_eq_u32_e32 vcc_lo, 1, v8
	s_waitcnt lgkmcnt(0)
	v_cndmask_b32_e32 v2, v4, v2, vcc_lo
	v_cndmask_b32_e32 v1, v3, v1, vcc_lo
	v_cndmask_b32_e64 v9, v6, 1, vcc_lo
.LBB106_413:
	s_or_b32 exec_lo, exec_lo, s2
	v_mov_b32_e32 v8, v9
.LBB106_414:
	s_or_b32 exec_lo, exec_lo, s1
	s_waitcnt lgkmcnt(2)
	v_lshlrev_b32_e32 v6, 2, v7
	v_add_nc_u32_e32 v10, 16, v7
	s_waitcnt lgkmcnt(0)
	v_or_b32_e32 v4, 64, v6
	v_cmp_lt_u32_e32 vcc_lo, v10, v5
	v_mov_b32_e32 v5, v8
	ds_bpermute_b32 v9, v4, v8
	ds_bpermute_b32 v3, v4, v1
	;; [unrolled: 1-line block ×3, first 2 shown]
	s_and_saveexec_b32 s1, vcc_lo
	s_cbranch_execz .LBB106_420
; %bb.415:
	s_waitcnt lgkmcnt(2)
	v_and_b32_e32 v5, v8, v9
	s_mov_b32 s2, exec_lo
	v_and_b32_e32 v5, 1, v5
	v_cmpx_eq_u32_e32 1, v5
	s_xor_b32 s2, exec_lo, s2
	s_cbranch_execz .LBB106_417
; %bb.416:
	s_waitcnt lgkmcnt(0)
	v_cmp_lt_i64_e32 vcc_lo, v[3:4], v[1:2]
                                        ; implicit-def: $vgpr8
                                        ; implicit-def: $vgpr9
	v_cndmask_b32_e32 v2, v2, v4, vcc_lo
	v_cndmask_b32_e32 v1, v1, v3, vcc_lo
                                        ; implicit-def: $vgpr3_vgpr4
.LBB106_417:
	s_or_saveexec_b32 s2, s2
	v_mov_b32_e32 v5, 1
	s_xor_b32 exec_lo, exec_lo, s2
	s_cbranch_execz .LBB106_419
; %bb.418:
	v_and_b32_e32 v5, 1, v8
	v_cmp_eq_u32_e32 vcc_lo, 1, v5
	v_cndmask_b32_e64 v5, v9, 1, vcc_lo
	s_waitcnt lgkmcnt(0)
	v_cndmask_b32_e32 v2, v4, v2, vcc_lo
	v_cndmask_b32_e32 v1, v3, v1, vcc_lo
.LBB106_419:
	s_or_b32 exec_lo, exec_lo, s2
	v_and_b32_e32 v8, 0xff, v5
.LBB106_420:
	s_or_b32 exec_lo, exec_lo, s1
	s_mov_b32 s1, exec_lo
	v_cmpx_eq_u32_e32 0, v7
	s_cbranch_execz .LBB106_422
; %bb.421:
	s_waitcnt lgkmcnt(1)
	v_lshrrev_b32_e32 v3, 1, v0
	v_and_b32_e32 v3, 0x70, v3
	ds_write_b8 v3, v5 offset:512
	ds_write_b64 v3, v[1:2] offset:520
.LBB106_422:
	s_or_b32 exec_lo, exec_lo, s1
	s_mov_b32 s1, exec_lo
	s_waitcnt lgkmcnt(0)
	s_barrier
	buffer_gl0_inv
	v_cmpx_gt_u32_e32 8, v0
	s_cbranch_execz .LBB106_442
; %bb.423:
	v_lshlrev_b32_e32 v1, 4, v7
	v_and_b32_e32 v5, 7, v7
	s_add_i32 s0, s0, 31
	s_mov_b32 s2, exec_lo
	s_lshr_b32 s0, s0, 5
	ds_read_u8 v9, v1 offset:512
	ds_read_b64 v[1:2], v1 offset:520
	v_cmp_ne_u32_e32 vcc_lo, 7, v5
	v_add_nc_u32_e32 v11, 1, v5
	v_add_co_ci_u32_e64 v3, null, 0, v7, vcc_lo
	v_lshlrev_b32_e32 v4, 2, v3
	s_waitcnt lgkmcnt(1)
	v_and_b32_e32 v8, 0xff, v9
	s_waitcnt lgkmcnt(0)
	ds_bpermute_b32 v3, v4, v1
	ds_bpermute_b32 v10, v4, v8
	;; [unrolled: 1-line block ×3, first 2 shown]
	v_cmpx_gt_u32_e64 s0, v11
	s_cbranch_execz .LBB106_429
; %bb.424:
	s_waitcnt lgkmcnt(1)
	v_and_b32_e32 v8, v8, v10
	s_mov_b32 s3, exec_lo
	v_and_b32_e32 v8, 1, v8
	v_cmpx_eq_u32_e32 1, v8
	s_xor_b32 s3, exec_lo, s3
	s_cbranch_execz .LBB106_426
; %bb.425:
	s_waitcnt lgkmcnt(0)
	v_cmp_lt_i64_e32 vcc_lo, v[3:4], v[1:2]
                                        ; implicit-def: $vgpr9
                                        ; implicit-def: $vgpr10
	v_cndmask_b32_e32 v2, v2, v4, vcc_lo
	v_cndmask_b32_e32 v1, v1, v3, vcc_lo
                                        ; implicit-def: $vgpr3_vgpr4
.LBB106_426:
	s_or_saveexec_b32 s3, s3
	v_mov_b32_e32 v8, 1
	s_xor_b32 exec_lo, exec_lo, s3
	s_cbranch_execz .LBB106_428
; %bb.427:
	v_and_b32_e32 v8, 1, v9
	v_cmp_eq_u32_e32 vcc_lo, 1, v8
	v_and_b32_e32 v8, 0xff, v10
	s_waitcnt lgkmcnt(0)
	v_cndmask_b32_e32 v2, v4, v2, vcc_lo
	v_cndmask_b32_e32 v1, v3, v1, vcc_lo
	v_cndmask_b32_e64 v8, v8, 1, vcc_lo
.LBB106_428:
	s_or_b32 exec_lo, exec_lo, s3
.LBB106_429:
	s_or_b32 exec_lo, exec_lo, s2
	v_cmp_gt_u32_e32 vcc_lo, 6, v5
	v_add_nc_u32_e32 v9, 2, v5
	s_mov_b32 s2, exec_lo
	s_waitcnt lgkmcnt(2)
	v_cndmask_b32_e64 v3, 0, 2, vcc_lo
	s_waitcnt lgkmcnt(0)
	v_add_lshl_u32 v4, v3, v7, 2
	ds_bpermute_b32 v7, v4, v8
	ds_bpermute_b32 v3, v4, v1
	;; [unrolled: 1-line block ×3, first 2 shown]
	v_cmpx_gt_u32_e64 s0, v9
	s_cbranch_execz .LBB106_435
; %bb.430:
	s_waitcnt lgkmcnt(2)
	v_and_b32_e32 v9, v8, v7
	s_mov_b32 s3, exec_lo
	v_and_b32_e32 v9, 1, v9
	v_cmpx_eq_u32_e32 1, v9
	s_xor_b32 s3, exec_lo, s3
	s_cbranch_execz .LBB106_432
; %bb.431:
	s_waitcnt lgkmcnt(0)
	v_cmp_lt_i64_e32 vcc_lo, v[3:4], v[1:2]
                                        ; implicit-def: $vgpr8
                                        ; implicit-def: $vgpr7
	v_cndmask_b32_e32 v2, v2, v4, vcc_lo
	v_cndmask_b32_e32 v1, v1, v3, vcc_lo
                                        ; implicit-def: $vgpr3_vgpr4
.LBB106_432:
	s_or_saveexec_b32 s3, s3
	v_mov_b32_e32 v9, 1
	s_xor_b32 exec_lo, exec_lo, s3
	s_cbranch_execz .LBB106_434
; %bb.433:
	v_and_b32_e32 v8, 1, v8
	v_and_b32_e32 v7, 0xff, v7
	v_cmp_eq_u32_e32 vcc_lo, 1, v8
	s_waitcnt lgkmcnt(0)
	v_cndmask_b32_e32 v2, v4, v2, vcc_lo
	v_cndmask_b32_e32 v1, v3, v1, vcc_lo
	v_cndmask_b32_e64 v9, v7, 1, vcc_lo
.LBB106_434:
	s_or_b32 exec_lo, exec_lo, s3
	v_mov_b32_e32 v8, v9
.LBB106_435:
	s_or_b32 exec_lo, exec_lo, s2
	s_waitcnt lgkmcnt(0)
	v_or_b32_e32 v4, 16, v6
	v_add_nc_u32_e32 v5, 4, v5
	ds_bpermute_b32 v6, v4, v8
	ds_bpermute_b32 v3, v4, v1
	;; [unrolled: 1-line block ×3, first 2 shown]
	v_cmp_gt_u32_e32 vcc_lo, s0, v5
	s_and_saveexec_b32 s0, vcc_lo
	s_cbranch_execz .LBB106_441
; %bb.436:
	s_waitcnt lgkmcnt(2)
	v_and_b32_e32 v5, v8, v6
	s_mov_b32 s2, exec_lo
	v_and_b32_e32 v5, 1, v5
	v_cmpx_eq_u32_e32 1, v5
	s_xor_b32 s2, exec_lo, s2
	s_cbranch_execz .LBB106_438
; %bb.437:
	s_waitcnt lgkmcnt(0)
	v_cmp_lt_i64_e32 vcc_lo, v[3:4], v[1:2]
                                        ; implicit-def: $vgpr8
                                        ; implicit-def: $vgpr6
	v_cndmask_b32_e32 v2, v2, v4, vcc_lo
	v_cndmask_b32_e32 v1, v1, v3, vcc_lo
                                        ; implicit-def: $vgpr3_vgpr4
.LBB106_438:
	s_or_saveexec_b32 s2, s2
	v_mov_b32_e32 v5, 1
	s_xor_b32 exec_lo, exec_lo, s2
	s_cbranch_execz .LBB106_440
; %bb.439:
	v_and_b32_e32 v5, 1, v8
	v_cmp_eq_u32_e32 vcc_lo, 1, v5
	s_waitcnt lgkmcnt(0)
	v_cndmask_b32_e32 v2, v4, v2, vcc_lo
	v_cndmask_b32_e32 v1, v3, v1, vcc_lo
	v_cndmask_b32_e64 v5, v6, 1, vcc_lo
.LBB106_440:
	s_or_b32 exec_lo, exec_lo, s2
	v_mov_b32_e32 v8, v5
.LBB106_441:
	s_or_b32 exec_lo, exec_lo, s0
.LBB106_442:
	s_or_b32 exec_lo, exec_lo, s1
.LBB106_443:
	s_mov_b32 s2, exec_lo
                                        ; implicit-def: $vgpr3_vgpr4
                                        ; implicit-def: $vgpr5
	v_cmpx_eq_u32_e32 0, v0
	s_cbranch_execz .LBB106_447
; %bb.444:
	s_waitcnt lgkmcnt(0)
	v_mov_b32_e32 v3, s16
	v_mov_b32_e32 v4, s17
	;; [unrolled: 1-line block ×3, first 2 shown]
	s_cmp_eq_u64 s[14:15], 0
	s_cbranch_scc1 .LBB106_446
; %bb.445:
	v_and_b32_e32 v0, 1, v8
	v_cmp_gt_i64_e32 vcc_lo, s[16:17], v[1:2]
	s_bitcmp1_b32 s18, 0
	s_cselect_b32 s1, -1, 0
	v_cmp_eq_u32_e64 s0, 1, v0
	v_cndmask_b32_e64 v5, v8, 1, s1
	s_and_b32 vcc_lo, s0, vcc_lo
	v_cndmask_b32_e32 v0, s16, v1, vcc_lo
	v_cndmask_b32_e32 v3, s17, v2, vcc_lo
	v_cndmask_b32_e64 v4, v2, v3, s1
	v_cndmask_b32_e64 v3, v1, v0, s1
.LBB106_446:
	s_or_b32 s10, s10, exec_lo
.LBB106_447:
	s_or_b32 exec_lo, exec_lo, s2
	v_mov_b32_e32 v1, s6
	v_mov_b32_e32 v2, s7
	s_and_saveexec_b32 s0, s10
	s_cbranch_execnz .LBB106_385
	s_branch .LBB106_386
	.section	.rodata,"a",@progbits
	.p2align	6, 0x0
	.amdhsa_kernel _ZN7rocprim17ROCPRIM_400000_NS6detail17trampoline_kernelINS0_14default_configENS1_22reduce_config_selectorIN6thrust23THRUST_200600_302600_NS5tupleIblNS6_9null_typeES8_S8_S8_S8_S8_S8_S8_EEEEZNS1_11reduce_implILb1ES3_PS9_SC_S9_NS6_11hip_rocprim9__find_if7functorIS9_EEEE10hipError_tPvRmT1_T2_T3_mT4_P12ihipStream_tbEUlT_E1_NS1_11comp_targetILNS1_3genE8ELNS1_11target_archE1030ELNS1_3gpuE2ELNS1_3repE0EEENS1_30default_config_static_selectorELNS0_4arch9wavefront6targetE0EEEvSK_
		.amdhsa_group_segment_fixed_size 640
		.amdhsa_private_segment_fixed_size 0
		.amdhsa_kernarg_size 56
		.amdhsa_user_sgpr_count 6
		.amdhsa_user_sgpr_private_segment_buffer 1
		.amdhsa_user_sgpr_dispatch_ptr 0
		.amdhsa_user_sgpr_queue_ptr 0
		.amdhsa_user_sgpr_kernarg_segment_ptr 1
		.amdhsa_user_sgpr_dispatch_id 0
		.amdhsa_user_sgpr_flat_scratch_init 0
		.amdhsa_user_sgpr_private_segment_size 0
		.amdhsa_wavefront_size32 1
		.amdhsa_uses_dynamic_stack 0
		.amdhsa_system_sgpr_private_segment_wavefront_offset 0
		.amdhsa_system_sgpr_workgroup_id_x 1
		.amdhsa_system_sgpr_workgroup_id_y 0
		.amdhsa_system_sgpr_workgroup_id_z 0
		.amdhsa_system_sgpr_workgroup_info 0
		.amdhsa_system_vgpr_workitem_id 0
		.amdhsa_next_free_vgpr 29
		.amdhsa_next_free_sgpr 23
		.amdhsa_reserve_vcc 1
		.amdhsa_reserve_flat_scratch 0
		.amdhsa_float_round_mode_32 0
		.amdhsa_float_round_mode_16_64 0
		.amdhsa_float_denorm_mode_32 3
		.amdhsa_float_denorm_mode_16_64 3
		.amdhsa_dx10_clamp 1
		.amdhsa_ieee_mode 1
		.amdhsa_fp16_overflow 0
		.amdhsa_workgroup_processor_mode 1
		.amdhsa_memory_ordered 1
		.amdhsa_forward_progress 1
		.amdhsa_shared_vgpr_count 0
		.amdhsa_exception_fp_ieee_invalid_op 0
		.amdhsa_exception_fp_denorm_src 0
		.amdhsa_exception_fp_ieee_div_zero 0
		.amdhsa_exception_fp_ieee_overflow 0
		.amdhsa_exception_fp_ieee_underflow 0
		.amdhsa_exception_fp_ieee_inexact 0
		.amdhsa_exception_int_div_zero 0
	.end_amdhsa_kernel
	.section	.text._ZN7rocprim17ROCPRIM_400000_NS6detail17trampoline_kernelINS0_14default_configENS1_22reduce_config_selectorIN6thrust23THRUST_200600_302600_NS5tupleIblNS6_9null_typeES8_S8_S8_S8_S8_S8_S8_EEEEZNS1_11reduce_implILb1ES3_PS9_SC_S9_NS6_11hip_rocprim9__find_if7functorIS9_EEEE10hipError_tPvRmT1_T2_T3_mT4_P12ihipStream_tbEUlT_E1_NS1_11comp_targetILNS1_3genE8ELNS1_11target_archE1030ELNS1_3gpuE2ELNS1_3repE0EEENS1_30default_config_static_selectorELNS0_4arch9wavefront6targetE0EEEvSK_,"axG",@progbits,_ZN7rocprim17ROCPRIM_400000_NS6detail17trampoline_kernelINS0_14default_configENS1_22reduce_config_selectorIN6thrust23THRUST_200600_302600_NS5tupleIblNS6_9null_typeES8_S8_S8_S8_S8_S8_S8_EEEEZNS1_11reduce_implILb1ES3_PS9_SC_S9_NS6_11hip_rocprim9__find_if7functorIS9_EEEE10hipError_tPvRmT1_T2_T3_mT4_P12ihipStream_tbEUlT_E1_NS1_11comp_targetILNS1_3genE8ELNS1_11target_archE1030ELNS1_3gpuE2ELNS1_3repE0EEENS1_30default_config_static_selectorELNS0_4arch9wavefront6targetE0EEEvSK_,comdat
.Lfunc_end106:
	.size	_ZN7rocprim17ROCPRIM_400000_NS6detail17trampoline_kernelINS0_14default_configENS1_22reduce_config_selectorIN6thrust23THRUST_200600_302600_NS5tupleIblNS6_9null_typeES8_S8_S8_S8_S8_S8_S8_EEEEZNS1_11reduce_implILb1ES3_PS9_SC_S9_NS6_11hip_rocprim9__find_if7functorIS9_EEEE10hipError_tPvRmT1_T2_T3_mT4_P12ihipStream_tbEUlT_E1_NS1_11comp_targetILNS1_3genE8ELNS1_11target_archE1030ELNS1_3gpuE2ELNS1_3repE0EEENS1_30default_config_static_selectorELNS0_4arch9wavefront6targetE0EEEvSK_, .Lfunc_end106-_ZN7rocprim17ROCPRIM_400000_NS6detail17trampoline_kernelINS0_14default_configENS1_22reduce_config_selectorIN6thrust23THRUST_200600_302600_NS5tupleIblNS6_9null_typeES8_S8_S8_S8_S8_S8_S8_EEEEZNS1_11reduce_implILb1ES3_PS9_SC_S9_NS6_11hip_rocprim9__find_if7functorIS9_EEEE10hipError_tPvRmT1_T2_T3_mT4_P12ihipStream_tbEUlT_E1_NS1_11comp_targetILNS1_3genE8ELNS1_11target_archE1030ELNS1_3gpuE2ELNS1_3repE0EEENS1_30default_config_static_selectorELNS0_4arch9wavefront6targetE0EEEvSK_
                                        ; -- End function
	.set _ZN7rocprim17ROCPRIM_400000_NS6detail17trampoline_kernelINS0_14default_configENS1_22reduce_config_selectorIN6thrust23THRUST_200600_302600_NS5tupleIblNS6_9null_typeES8_S8_S8_S8_S8_S8_S8_EEEEZNS1_11reduce_implILb1ES3_PS9_SC_S9_NS6_11hip_rocprim9__find_if7functorIS9_EEEE10hipError_tPvRmT1_T2_T3_mT4_P12ihipStream_tbEUlT_E1_NS1_11comp_targetILNS1_3genE8ELNS1_11target_archE1030ELNS1_3gpuE2ELNS1_3repE0EEENS1_30default_config_static_selectorELNS0_4arch9wavefront6targetE0EEEvSK_.num_vgpr, 29
	.set _ZN7rocprim17ROCPRIM_400000_NS6detail17trampoline_kernelINS0_14default_configENS1_22reduce_config_selectorIN6thrust23THRUST_200600_302600_NS5tupleIblNS6_9null_typeES8_S8_S8_S8_S8_S8_S8_EEEEZNS1_11reduce_implILb1ES3_PS9_SC_S9_NS6_11hip_rocprim9__find_if7functorIS9_EEEE10hipError_tPvRmT1_T2_T3_mT4_P12ihipStream_tbEUlT_E1_NS1_11comp_targetILNS1_3genE8ELNS1_11target_archE1030ELNS1_3gpuE2ELNS1_3repE0EEENS1_30default_config_static_selectorELNS0_4arch9wavefront6targetE0EEEvSK_.num_agpr, 0
	.set _ZN7rocprim17ROCPRIM_400000_NS6detail17trampoline_kernelINS0_14default_configENS1_22reduce_config_selectorIN6thrust23THRUST_200600_302600_NS5tupleIblNS6_9null_typeES8_S8_S8_S8_S8_S8_S8_EEEEZNS1_11reduce_implILb1ES3_PS9_SC_S9_NS6_11hip_rocprim9__find_if7functorIS9_EEEE10hipError_tPvRmT1_T2_T3_mT4_P12ihipStream_tbEUlT_E1_NS1_11comp_targetILNS1_3genE8ELNS1_11target_archE1030ELNS1_3gpuE2ELNS1_3repE0EEENS1_30default_config_static_selectorELNS0_4arch9wavefront6targetE0EEEvSK_.numbered_sgpr, 23
	.set _ZN7rocprim17ROCPRIM_400000_NS6detail17trampoline_kernelINS0_14default_configENS1_22reduce_config_selectorIN6thrust23THRUST_200600_302600_NS5tupleIblNS6_9null_typeES8_S8_S8_S8_S8_S8_S8_EEEEZNS1_11reduce_implILb1ES3_PS9_SC_S9_NS6_11hip_rocprim9__find_if7functorIS9_EEEE10hipError_tPvRmT1_T2_T3_mT4_P12ihipStream_tbEUlT_E1_NS1_11comp_targetILNS1_3genE8ELNS1_11target_archE1030ELNS1_3gpuE2ELNS1_3repE0EEENS1_30default_config_static_selectorELNS0_4arch9wavefront6targetE0EEEvSK_.num_named_barrier, 0
	.set _ZN7rocprim17ROCPRIM_400000_NS6detail17trampoline_kernelINS0_14default_configENS1_22reduce_config_selectorIN6thrust23THRUST_200600_302600_NS5tupleIblNS6_9null_typeES8_S8_S8_S8_S8_S8_S8_EEEEZNS1_11reduce_implILb1ES3_PS9_SC_S9_NS6_11hip_rocprim9__find_if7functorIS9_EEEE10hipError_tPvRmT1_T2_T3_mT4_P12ihipStream_tbEUlT_E1_NS1_11comp_targetILNS1_3genE8ELNS1_11target_archE1030ELNS1_3gpuE2ELNS1_3repE0EEENS1_30default_config_static_selectorELNS0_4arch9wavefront6targetE0EEEvSK_.private_seg_size, 0
	.set _ZN7rocprim17ROCPRIM_400000_NS6detail17trampoline_kernelINS0_14default_configENS1_22reduce_config_selectorIN6thrust23THRUST_200600_302600_NS5tupleIblNS6_9null_typeES8_S8_S8_S8_S8_S8_S8_EEEEZNS1_11reduce_implILb1ES3_PS9_SC_S9_NS6_11hip_rocprim9__find_if7functorIS9_EEEE10hipError_tPvRmT1_T2_T3_mT4_P12ihipStream_tbEUlT_E1_NS1_11comp_targetILNS1_3genE8ELNS1_11target_archE1030ELNS1_3gpuE2ELNS1_3repE0EEENS1_30default_config_static_selectorELNS0_4arch9wavefront6targetE0EEEvSK_.uses_vcc, 1
	.set _ZN7rocprim17ROCPRIM_400000_NS6detail17trampoline_kernelINS0_14default_configENS1_22reduce_config_selectorIN6thrust23THRUST_200600_302600_NS5tupleIblNS6_9null_typeES8_S8_S8_S8_S8_S8_S8_EEEEZNS1_11reduce_implILb1ES3_PS9_SC_S9_NS6_11hip_rocprim9__find_if7functorIS9_EEEE10hipError_tPvRmT1_T2_T3_mT4_P12ihipStream_tbEUlT_E1_NS1_11comp_targetILNS1_3genE8ELNS1_11target_archE1030ELNS1_3gpuE2ELNS1_3repE0EEENS1_30default_config_static_selectorELNS0_4arch9wavefront6targetE0EEEvSK_.uses_flat_scratch, 0
	.set _ZN7rocprim17ROCPRIM_400000_NS6detail17trampoline_kernelINS0_14default_configENS1_22reduce_config_selectorIN6thrust23THRUST_200600_302600_NS5tupleIblNS6_9null_typeES8_S8_S8_S8_S8_S8_S8_EEEEZNS1_11reduce_implILb1ES3_PS9_SC_S9_NS6_11hip_rocprim9__find_if7functorIS9_EEEE10hipError_tPvRmT1_T2_T3_mT4_P12ihipStream_tbEUlT_E1_NS1_11comp_targetILNS1_3genE8ELNS1_11target_archE1030ELNS1_3gpuE2ELNS1_3repE0EEENS1_30default_config_static_selectorELNS0_4arch9wavefront6targetE0EEEvSK_.has_dyn_sized_stack, 0
	.set _ZN7rocprim17ROCPRIM_400000_NS6detail17trampoline_kernelINS0_14default_configENS1_22reduce_config_selectorIN6thrust23THRUST_200600_302600_NS5tupleIblNS6_9null_typeES8_S8_S8_S8_S8_S8_S8_EEEEZNS1_11reduce_implILb1ES3_PS9_SC_S9_NS6_11hip_rocprim9__find_if7functorIS9_EEEE10hipError_tPvRmT1_T2_T3_mT4_P12ihipStream_tbEUlT_E1_NS1_11comp_targetILNS1_3genE8ELNS1_11target_archE1030ELNS1_3gpuE2ELNS1_3repE0EEENS1_30default_config_static_selectorELNS0_4arch9wavefront6targetE0EEEvSK_.has_recursion, 0
	.set _ZN7rocprim17ROCPRIM_400000_NS6detail17trampoline_kernelINS0_14default_configENS1_22reduce_config_selectorIN6thrust23THRUST_200600_302600_NS5tupleIblNS6_9null_typeES8_S8_S8_S8_S8_S8_S8_EEEEZNS1_11reduce_implILb1ES3_PS9_SC_S9_NS6_11hip_rocprim9__find_if7functorIS9_EEEE10hipError_tPvRmT1_T2_T3_mT4_P12ihipStream_tbEUlT_E1_NS1_11comp_targetILNS1_3genE8ELNS1_11target_archE1030ELNS1_3gpuE2ELNS1_3repE0EEENS1_30default_config_static_selectorELNS0_4arch9wavefront6targetE0EEEvSK_.has_indirect_call, 0
	.section	.AMDGPU.csdata,"",@progbits
; Kernel info:
; codeLenInByte = 14936
; TotalNumSgprs: 25
; NumVgprs: 29
; ScratchSize: 0
; MemoryBound: 0
; FloatMode: 240
; IeeeMode: 1
; LDSByteSize: 640 bytes/workgroup (compile time only)
; SGPRBlocks: 0
; VGPRBlocks: 3
; NumSGPRsForWavesPerEU: 25
; NumVGPRsForWavesPerEU: 29
; Occupancy: 16
; WaveLimiterHint : 1
; COMPUTE_PGM_RSRC2:SCRATCH_EN: 0
; COMPUTE_PGM_RSRC2:USER_SGPR: 6
; COMPUTE_PGM_RSRC2:TRAP_HANDLER: 0
; COMPUTE_PGM_RSRC2:TGID_X_EN: 1
; COMPUTE_PGM_RSRC2:TGID_Y_EN: 0
; COMPUTE_PGM_RSRC2:TGID_Z_EN: 0
; COMPUTE_PGM_RSRC2:TIDIG_COMP_CNT: 0
	.section	.text._ZN7rocprim17ROCPRIM_400000_NS6detail17trampoline_kernelINS0_14default_configENS1_22reduce_config_selectorIN6thrust23THRUST_200600_302600_NS5tupleIblNS6_9null_typeES8_S8_S8_S8_S8_S8_S8_EEEEZNS1_11reduce_implILb1ES3_NS6_12zip_iteratorINS7_INS6_11hip_rocprim26transform_input_iterator_tIbNSD_35transform_pair_of_input_iterators_tIbNS6_6detail15normal_iteratorINS6_10device_ptrIKyEEEESL_NS6_8equal_toIyEEEENSG_9not_fun_tINSD_8identityEEEEENSD_19counting_iterator_tIlEES8_S8_S8_S8_S8_S8_S8_S8_EEEEPS9_S9_NSD_9__find_if7functorIS9_EEEE10hipError_tPvRmT1_T2_T3_mT4_P12ihipStream_tbEUlT_E0_NS1_11comp_targetILNS1_3genE0ELNS1_11target_archE4294967295ELNS1_3gpuE0ELNS1_3repE0EEENS1_30default_config_static_selectorELNS0_4arch9wavefront6targetE0EEEvS14_,"axG",@progbits,_ZN7rocprim17ROCPRIM_400000_NS6detail17trampoline_kernelINS0_14default_configENS1_22reduce_config_selectorIN6thrust23THRUST_200600_302600_NS5tupleIblNS6_9null_typeES8_S8_S8_S8_S8_S8_S8_EEEEZNS1_11reduce_implILb1ES3_NS6_12zip_iteratorINS7_INS6_11hip_rocprim26transform_input_iterator_tIbNSD_35transform_pair_of_input_iterators_tIbNS6_6detail15normal_iteratorINS6_10device_ptrIKyEEEESL_NS6_8equal_toIyEEEENSG_9not_fun_tINSD_8identityEEEEENSD_19counting_iterator_tIlEES8_S8_S8_S8_S8_S8_S8_S8_EEEEPS9_S9_NSD_9__find_if7functorIS9_EEEE10hipError_tPvRmT1_T2_T3_mT4_P12ihipStream_tbEUlT_E0_NS1_11comp_targetILNS1_3genE0ELNS1_11target_archE4294967295ELNS1_3gpuE0ELNS1_3repE0EEENS1_30default_config_static_selectorELNS0_4arch9wavefront6targetE0EEEvS14_,comdat
	.protected	_ZN7rocprim17ROCPRIM_400000_NS6detail17trampoline_kernelINS0_14default_configENS1_22reduce_config_selectorIN6thrust23THRUST_200600_302600_NS5tupleIblNS6_9null_typeES8_S8_S8_S8_S8_S8_S8_EEEEZNS1_11reduce_implILb1ES3_NS6_12zip_iteratorINS7_INS6_11hip_rocprim26transform_input_iterator_tIbNSD_35transform_pair_of_input_iterators_tIbNS6_6detail15normal_iteratorINS6_10device_ptrIKyEEEESL_NS6_8equal_toIyEEEENSG_9not_fun_tINSD_8identityEEEEENSD_19counting_iterator_tIlEES8_S8_S8_S8_S8_S8_S8_S8_EEEEPS9_S9_NSD_9__find_if7functorIS9_EEEE10hipError_tPvRmT1_T2_T3_mT4_P12ihipStream_tbEUlT_E0_NS1_11comp_targetILNS1_3genE0ELNS1_11target_archE4294967295ELNS1_3gpuE0ELNS1_3repE0EEENS1_30default_config_static_selectorELNS0_4arch9wavefront6targetE0EEEvS14_ ; -- Begin function _ZN7rocprim17ROCPRIM_400000_NS6detail17trampoline_kernelINS0_14default_configENS1_22reduce_config_selectorIN6thrust23THRUST_200600_302600_NS5tupleIblNS6_9null_typeES8_S8_S8_S8_S8_S8_S8_EEEEZNS1_11reduce_implILb1ES3_NS6_12zip_iteratorINS7_INS6_11hip_rocprim26transform_input_iterator_tIbNSD_35transform_pair_of_input_iterators_tIbNS6_6detail15normal_iteratorINS6_10device_ptrIKyEEEESL_NS6_8equal_toIyEEEENSG_9not_fun_tINSD_8identityEEEEENSD_19counting_iterator_tIlEES8_S8_S8_S8_S8_S8_S8_S8_EEEEPS9_S9_NSD_9__find_if7functorIS9_EEEE10hipError_tPvRmT1_T2_T3_mT4_P12ihipStream_tbEUlT_E0_NS1_11comp_targetILNS1_3genE0ELNS1_11target_archE4294967295ELNS1_3gpuE0ELNS1_3repE0EEENS1_30default_config_static_selectorELNS0_4arch9wavefront6targetE0EEEvS14_
	.globl	_ZN7rocprim17ROCPRIM_400000_NS6detail17trampoline_kernelINS0_14default_configENS1_22reduce_config_selectorIN6thrust23THRUST_200600_302600_NS5tupleIblNS6_9null_typeES8_S8_S8_S8_S8_S8_S8_EEEEZNS1_11reduce_implILb1ES3_NS6_12zip_iteratorINS7_INS6_11hip_rocprim26transform_input_iterator_tIbNSD_35transform_pair_of_input_iterators_tIbNS6_6detail15normal_iteratorINS6_10device_ptrIKyEEEESL_NS6_8equal_toIyEEEENSG_9not_fun_tINSD_8identityEEEEENSD_19counting_iterator_tIlEES8_S8_S8_S8_S8_S8_S8_S8_EEEEPS9_S9_NSD_9__find_if7functorIS9_EEEE10hipError_tPvRmT1_T2_T3_mT4_P12ihipStream_tbEUlT_E0_NS1_11comp_targetILNS1_3genE0ELNS1_11target_archE4294967295ELNS1_3gpuE0ELNS1_3repE0EEENS1_30default_config_static_selectorELNS0_4arch9wavefront6targetE0EEEvS14_
	.p2align	8
	.type	_ZN7rocprim17ROCPRIM_400000_NS6detail17trampoline_kernelINS0_14default_configENS1_22reduce_config_selectorIN6thrust23THRUST_200600_302600_NS5tupleIblNS6_9null_typeES8_S8_S8_S8_S8_S8_S8_EEEEZNS1_11reduce_implILb1ES3_NS6_12zip_iteratorINS7_INS6_11hip_rocprim26transform_input_iterator_tIbNSD_35transform_pair_of_input_iterators_tIbNS6_6detail15normal_iteratorINS6_10device_ptrIKyEEEESL_NS6_8equal_toIyEEEENSG_9not_fun_tINSD_8identityEEEEENSD_19counting_iterator_tIlEES8_S8_S8_S8_S8_S8_S8_S8_EEEEPS9_S9_NSD_9__find_if7functorIS9_EEEE10hipError_tPvRmT1_T2_T3_mT4_P12ihipStream_tbEUlT_E0_NS1_11comp_targetILNS1_3genE0ELNS1_11target_archE4294967295ELNS1_3gpuE0ELNS1_3repE0EEENS1_30default_config_static_selectorELNS0_4arch9wavefront6targetE0EEEvS14_,@function
_ZN7rocprim17ROCPRIM_400000_NS6detail17trampoline_kernelINS0_14default_configENS1_22reduce_config_selectorIN6thrust23THRUST_200600_302600_NS5tupleIblNS6_9null_typeES8_S8_S8_S8_S8_S8_S8_EEEEZNS1_11reduce_implILb1ES3_NS6_12zip_iteratorINS7_INS6_11hip_rocprim26transform_input_iterator_tIbNSD_35transform_pair_of_input_iterators_tIbNS6_6detail15normal_iteratorINS6_10device_ptrIKyEEEESL_NS6_8equal_toIyEEEENSG_9not_fun_tINSD_8identityEEEEENSD_19counting_iterator_tIlEES8_S8_S8_S8_S8_S8_S8_S8_EEEEPS9_S9_NSD_9__find_if7functorIS9_EEEE10hipError_tPvRmT1_T2_T3_mT4_P12ihipStream_tbEUlT_E0_NS1_11comp_targetILNS1_3genE0ELNS1_11target_archE4294967295ELNS1_3gpuE0ELNS1_3repE0EEENS1_30default_config_static_selectorELNS0_4arch9wavefront6targetE0EEEvS14_: ; @_ZN7rocprim17ROCPRIM_400000_NS6detail17trampoline_kernelINS0_14default_configENS1_22reduce_config_selectorIN6thrust23THRUST_200600_302600_NS5tupleIblNS6_9null_typeES8_S8_S8_S8_S8_S8_S8_EEEEZNS1_11reduce_implILb1ES3_NS6_12zip_iteratorINS7_INS6_11hip_rocprim26transform_input_iterator_tIbNSD_35transform_pair_of_input_iterators_tIbNS6_6detail15normal_iteratorINS6_10device_ptrIKyEEEESL_NS6_8equal_toIyEEEENSG_9not_fun_tINSD_8identityEEEEENSD_19counting_iterator_tIlEES8_S8_S8_S8_S8_S8_S8_S8_EEEEPS9_S9_NSD_9__find_if7functorIS9_EEEE10hipError_tPvRmT1_T2_T3_mT4_P12ihipStream_tbEUlT_E0_NS1_11comp_targetILNS1_3genE0ELNS1_11target_archE4294967295ELNS1_3gpuE0ELNS1_3repE0EEENS1_30default_config_static_selectorELNS0_4arch9wavefront6targetE0EEEvS14_
; %bb.0:
	.section	.rodata,"a",@progbits
	.p2align	6, 0x0
	.amdhsa_kernel _ZN7rocprim17ROCPRIM_400000_NS6detail17trampoline_kernelINS0_14default_configENS1_22reduce_config_selectorIN6thrust23THRUST_200600_302600_NS5tupleIblNS6_9null_typeES8_S8_S8_S8_S8_S8_S8_EEEEZNS1_11reduce_implILb1ES3_NS6_12zip_iteratorINS7_INS6_11hip_rocprim26transform_input_iterator_tIbNSD_35transform_pair_of_input_iterators_tIbNS6_6detail15normal_iteratorINS6_10device_ptrIKyEEEESL_NS6_8equal_toIyEEEENSG_9not_fun_tINSD_8identityEEEEENSD_19counting_iterator_tIlEES8_S8_S8_S8_S8_S8_S8_S8_EEEEPS9_S9_NSD_9__find_if7functorIS9_EEEE10hipError_tPvRmT1_T2_T3_mT4_P12ihipStream_tbEUlT_E0_NS1_11comp_targetILNS1_3genE0ELNS1_11target_archE4294967295ELNS1_3gpuE0ELNS1_3repE0EEENS1_30default_config_static_selectorELNS0_4arch9wavefront6targetE0EEEvS14_
		.amdhsa_group_segment_fixed_size 0
		.amdhsa_private_segment_fixed_size 0
		.amdhsa_kernarg_size 104
		.amdhsa_user_sgpr_count 6
		.amdhsa_user_sgpr_private_segment_buffer 1
		.amdhsa_user_sgpr_dispatch_ptr 0
		.amdhsa_user_sgpr_queue_ptr 0
		.amdhsa_user_sgpr_kernarg_segment_ptr 1
		.amdhsa_user_sgpr_dispatch_id 0
		.amdhsa_user_sgpr_flat_scratch_init 0
		.amdhsa_user_sgpr_private_segment_size 0
		.amdhsa_wavefront_size32 1
		.amdhsa_uses_dynamic_stack 0
		.amdhsa_system_sgpr_private_segment_wavefront_offset 0
		.amdhsa_system_sgpr_workgroup_id_x 1
		.amdhsa_system_sgpr_workgroup_id_y 0
		.amdhsa_system_sgpr_workgroup_id_z 0
		.amdhsa_system_sgpr_workgroup_info 0
		.amdhsa_system_vgpr_workitem_id 0
		.amdhsa_next_free_vgpr 1
		.amdhsa_next_free_sgpr 1
		.amdhsa_reserve_vcc 0
		.amdhsa_reserve_flat_scratch 0
		.amdhsa_float_round_mode_32 0
		.amdhsa_float_round_mode_16_64 0
		.amdhsa_float_denorm_mode_32 3
		.amdhsa_float_denorm_mode_16_64 3
		.amdhsa_dx10_clamp 1
		.amdhsa_ieee_mode 1
		.amdhsa_fp16_overflow 0
		.amdhsa_workgroup_processor_mode 1
		.amdhsa_memory_ordered 1
		.amdhsa_forward_progress 1
		.amdhsa_shared_vgpr_count 0
		.amdhsa_exception_fp_ieee_invalid_op 0
		.amdhsa_exception_fp_denorm_src 0
		.amdhsa_exception_fp_ieee_div_zero 0
		.amdhsa_exception_fp_ieee_overflow 0
		.amdhsa_exception_fp_ieee_underflow 0
		.amdhsa_exception_fp_ieee_inexact 0
		.amdhsa_exception_int_div_zero 0
	.end_amdhsa_kernel
	.section	.text._ZN7rocprim17ROCPRIM_400000_NS6detail17trampoline_kernelINS0_14default_configENS1_22reduce_config_selectorIN6thrust23THRUST_200600_302600_NS5tupleIblNS6_9null_typeES8_S8_S8_S8_S8_S8_S8_EEEEZNS1_11reduce_implILb1ES3_NS6_12zip_iteratorINS7_INS6_11hip_rocprim26transform_input_iterator_tIbNSD_35transform_pair_of_input_iterators_tIbNS6_6detail15normal_iteratorINS6_10device_ptrIKyEEEESL_NS6_8equal_toIyEEEENSG_9not_fun_tINSD_8identityEEEEENSD_19counting_iterator_tIlEES8_S8_S8_S8_S8_S8_S8_S8_EEEEPS9_S9_NSD_9__find_if7functorIS9_EEEE10hipError_tPvRmT1_T2_T3_mT4_P12ihipStream_tbEUlT_E0_NS1_11comp_targetILNS1_3genE0ELNS1_11target_archE4294967295ELNS1_3gpuE0ELNS1_3repE0EEENS1_30default_config_static_selectorELNS0_4arch9wavefront6targetE0EEEvS14_,"axG",@progbits,_ZN7rocprim17ROCPRIM_400000_NS6detail17trampoline_kernelINS0_14default_configENS1_22reduce_config_selectorIN6thrust23THRUST_200600_302600_NS5tupleIblNS6_9null_typeES8_S8_S8_S8_S8_S8_S8_EEEEZNS1_11reduce_implILb1ES3_NS6_12zip_iteratorINS7_INS6_11hip_rocprim26transform_input_iterator_tIbNSD_35transform_pair_of_input_iterators_tIbNS6_6detail15normal_iteratorINS6_10device_ptrIKyEEEESL_NS6_8equal_toIyEEEENSG_9not_fun_tINSD_8identityEEEEENSD_19counting_iterator_tIlEES8_S8_S8_S8_S8_S8_S8_S8_EEEEPS9_S9_NSD_9__find_if7functorIS9_EEEE10hipError_tPvRmT1_T2_T3_mT4_P12ihipStream_tbEUlT_E0_NS1_11comp_targetILNS1_3genE0ELNS1_11target_archE4294967295ELNS1_3gpuE0ELNS1_3repE0EEENS1_30default_config_static_selectorELNS0_4arch9wavefront6targetE0EEEvS14_,comdat
.Lfunc_end107:
	.size	_ZN7rocprim17ROCPRIM_400000_NS6detail17trampoline_kernelINS0_14default_configENS1_22reduce_config_selectorIN6thrust23THRUST_200600_302600_NS5tupleIblNS6_9null_typeES8_S8_S8_S8_S8_S8_S8_EEEEZNS1_11reduce_implILb1ES3_NS6_12zip_iteratorINS7_INS6_11hip_rocprim26transform_input_iterator_tIbNSD_35transform_pair_of_input_iterators_tIbNS6_6detail15normal_iteratorINS6_10device_ptrIKyEEEESL_NS6_8equal_toIyEEEENSG_9not_fun_tINSD_8identityEEEEENSD_19counting_iterator_tIlEES8_S8_S8_S8_S8_S8_S8_S8_EEEEPS9_S9_NSD_9__find_if7functorIS9_EEEE10hipError_tPvRmT1_T2_T3_mT4_P12ihipStream_tbEUlT_E0_NS1_11comp_targetILNS1_3genE0ELNS1_11target_archE4294967295ELNS1_3gpuE0ELNS1_3repE0EEENS1_30default_config_static_selectorELNS0_4arch9wavefront6targetE0EEEvS14_, .Lfunc_end107-_ZN7rocprim17ROCPRIM_400000_NS6detail17trampoline_kernelINS0_14default_configENS1_22reduce_config_selectorIN6thrust23THRUST_200600_302600_NS5tupleIblNS6_9null_typeES8_S8_S8_S8_S8_S8_S8_EEEEZNS1_11reduce_implILb1ES3_NS6_12zip_iteratorINS7_INS6_11hip_rocprim26transform_input_iterator_tIbNSD_35transform_pair_of_input_iterators_tIbNS6_6detail15normal_iteratorINS6_10device_ptrIKyEEEESL_NS6_8equal_toIyEEEENSG_9not_fun_tINSD_8identityEEEEENSD_19counting_iterator_tIlEES8_S8_S8_S8_S8_S8_S8_S8_EEEEPS9_S9_NSD_9__find_if7functorIS9_EEEE10hipError_tPvRmT1_T2_T3_mT4_P12ihipStream_tbEUlT_E0_NS1_11comp_targetILNS1_3genE0ELNS1_11target_archE4294967295ELNS1_3gpuE0ELNS1_3repE0EEENS1_30default_config_static_selectorELNS0_4arch9wavefront6targetE0EEEvS14_
                                        ; -- End function
	.set _ZN7rocprim17ROCPRIM_400000_NS6detail17trampoline_kernelINS0_14default_configENS1_22reduce_config_selectorIN6thrust23THRUST_200600_302600_NS5tupleIblNS6_9null_typeES8_S8_S8_S8_S8_S8_S8_EEEEZNS1_11reduce_implILb1ES3_NS6_12zip_iteratorINS7_INS6_11hip_rocprim26transform_input_iterator_tIbNSD_35transform_pair_of_input_iterators_tIbNS6_6detail15normal_iteratorINS6_10device_ptrIKyEEEESL_NS6_8equal_toIyEEEENSG_9not_fun_tINSD_8identityEEEEENSD_19counting_iterator_tIlEES8_S8_S8_S8_S8_S8_S8_S8_EEEEPS9_S9_NSD_9__find_if7functorIS9_EEEE10hipError_tPvRmT1_T2_T3_mT4_P12ihipStream_tbEUlT_E0_NS1_11comp_targetILNS1_3genE0ELNS1_11target_archE4294967295ELNS1_3gpuE0ELNS1_3repE0EEENS1_30default_config_static_selectorELNS0_4arch9wavefront6targetE0EEEvS14_.num_vgpr, 0
	.set _ZN7rocprim17ROCPRIM_400000_NS6detail17trampoline_kernelINS0_14default_configENS1_22reduce_config_selectorIN6thrust23THRUST_200600_302600_NS5tupleIblNS6_9null_typeES8_S8_S8_S8_S8_S8_S8_EEEEZNS1_11reduce_implILb1ES3_NS6_12zip_iteratorINS7_INS6_11hip_rocprim26transform_input_iterator_tIbNSD_35transform_pair_of_input_iterators_tIbNS6_6detail15normal_iteratorINS6_10device_ptrIKyEEEESL_NS6_8equal_toIyEEEENSG_9not_fun_tINSD_8identityEEEEENSD_19counting_iterator_tIlEES8_S8_S8_S8_S8_S8_S8_S8_EEEEPS9_S9_NSD_9__find_if7functorIS9_EEEE10hipError_tPvRmT1_T2_T3_mT4_P12ihipStream_tbEUlT_E0_NS1_11comp_targetILNS1_3genE0ELNS1_11target_archE4294967295ELNS1_3gpuE0ELNS1_3repE0EEENS1_30default_config_static_selectorELNS0_4arch9wavefront6targetE0EEEvS14_.num_agpr, 0
	.set _ZN7rocprim17ROCPRIM_400000_NS6detail17trampoline_kernelINS0_14default_configENS1_22reduce_config_selectorIN6thrust23THRUST_200600_302600_NS5tupleIblNS6_9null_typeES8_S8_S8_S8_S8_S8_S8_EEEEZNS1_11reduce_implILb1ES3_NS6_12zip_iteratorINS7_INS6_11hip_rocprim26transform_input_iterator_tIbNSD_35transform_pair_of_input_iterators_tIbNS6_6detail15normal_iteratorINS6_10device_ptrIKyEEEESL_NS6_8equal_toIyEEEENSG_9not_fun_tINSD_8identityEEEEENSD_19counting_iterator_tIlEES8_S8_S8_S8_S8_S8_S8_S8_EEEEPS9_S9_NSD_9__find_if7functorIS9_EEEE10hipError_tPvRmT1_T2_T3_mT4_P12ihipStream_tbEUlT_E0_NS1_11comp_targetILNS1_3genE0ELNS1_11target_archE4294967295ELNS1_3gpuE0ELNS1_3repE0EEENS1_30default_config_static_selectorELNS0_4arch9wavefront6targetE0EEEvS14_.numbered_sgpr, 0
	.set _ZN7rocprim17ROCPRIM_400000_NS6detail17trampoline_kernelINS0_14default_configENS1_22reduce_config_selectorIN6thrust23THRUST_200600_302600_NS5tupleIblNS6_9null_typeES8_S8_S8_S8_S8_S8_S8_EEEEZNS1_11reduce_implILb1ES3_NS6_12zip_iteratorINS7_INS6_11hip_rocprim26transform_input_iterator_tIbNSD_35transform_pair_of_input_iterators_tIbNS6_6detail15normal_iteratorINS6_10device_ptrIKyEEEESL_NS6_8equal_toIyEEEENSG_9not_fun_tINSD_8identityEEEEENSD_19counting_iterator_tIlEES8_S8_S8_S8_S8_S8_S8_S8_EEEEPS9_S9_NSD_9__find_if7functorIS9_EEEE10hipError_tPvRmT1_T2_T3_mT4_P12ihipStream_tbEUlT_E0_NS1_11comp_targetILNS1_3genE0ELNS1_11target_archE4294967295ELNS1_3gpuE0ELNS1_3repE0EEENS1_30default_config_static_selectorELNS0_4arch9wavefront6targetE0EEEvS14_.num_named_barrier, 0
	.set _ZN7rocprim17ROCPRIM_400000_NS6detail17trampoline_kernelINS0_14default_configENS1_22reduce_config_selectorIN6thrust23THRUST_200600_302600_NS5tupleIblNS6_9null_typeES8_S8_S8_S8_S8_S8_S8_EEEEZNS1_11reduce_implILb1ES3_NS6_12zip_iteratorINS7_INS6_11hip_rocprim26transform_input_iterator_tIbNSD_35transform_pair_of_input_iterators_tIbNS6_6detail15normal_iteratorINS6_10device_ptrIKyEEEESL_NS6_8equal_toIyEEEENSG_9not_fun_tINSD_8identityEEEEENSD_19counting_iterator_tIlEES8_S8_S8_S8_S8_S8_S8_S8_EEEEPS9_S9_NSD_9__find_if7functorIS9_EEEE10hipError_tPvRmT1_T2_T3_mT4_P12ihipStream_tbEUlT_E0_NS1_11comp_targetILNS1_3genE0ELNS1_11target_archE4294967295ELNS1_3gpuE0ELNS1_3repE0EEENS1_30default_config_static_selectorELNS0_4arch9wavefront6targetE0EEEvS14_.private_seg_size, 0
	.set _ZN7rocprim17ROCPRIM_400000_NS6detail17trampoline_kernelINS0_14default_configENS1_22reduce_config_selectorIN6thrust23THRUST_200600_302600_NS5tupleIblNS6_9null_typeES8_S8_S8_S8_S8_S8_S8_EEEEZNS1_11reduce_implILb1ES3_NS6_12zip_iteratorINS7_INS6_11hip_rocprim26transform_input_iterator_tIbNSD_35transform_pair_of_input_iterators_tIbNS6_6detail15normal_iteratorINS6_10device_ptrIKyEEEESL_NS6_8equal_toIyEEEENSG_9not_fun_tINSD_8identityEEEEENSD_19counting_iterator_tIlEES8_S8_S8_S8_S8_S8_S8_S8_EEEEPS9_S9_NSD_9__find_if7functorIS9_EEEE10hipError_tPvRmT1_T2_T3_mT4_P12ihipStream_tbEUlT_E0_NS1_11comp_targetILNS1_3genE0ELNS1_11target_archE4294967295ELNS1_3gpuE0ELNS1_3repE0EEENS1_30default_config_static_selectorELNS0_4arch9wavefront6targetE0EEEvS14_.uses_vcc, 0
	.set _ZN7rocprim17ROCPRIM_400000_NS6detail17trampoline_kernelINS0_14default_configENS1_22reduce_config_selectorIN6thrust23THRUST_200600_302600_NS5tupleIblNS6_9null_typeES8_S8_S8_S8_S8_S8_S8_EEEEZNS1_11reduce_implILb1ES3_NS6_12zip_iteratorINS7_INS6_11hip_rocprim26transform_input_iterator_tIbNSD_35transform_pair_of_input_iterators_tIbNS6_6detail15normal_iteratorINS6_10device_ptrIKyEEEESL_NS6_8equal_toIyEEEENSG_9not_fun_tINSD_8identityEEEEENSD_19counting_iterator_tIlEES8_S8_S8_S8_S8_S8_S8_S8_EEEEPS9_S9_NSD_9__find_if7functorIS9_EEEE10hipError_tPvRmT1_T2_T3_mT4_P12ihipStream_tbEUlT_E0_NS1_11comp_targetILNS1_3genE0ELNS1_11target_archE4294967295ELNS1_3gpuE0ELNS1_3repE0EEENS1_30default_config_static_selectorELNS0_4arch9wavefront6targetE0EEEvS14_.uses_flat_scratch, 0
	.set _ZN7rocprim17ROCPRIM_400000_NS6detail17trampoline_kernelINS0_14default_configENS1_22reduce_config_selectorIN6thrust23THRUST_200600_302600_NS5tupleIblNS6_9null_typeES8_S8_S8_S8_S8_S8_S8_EEEEZNS1_11reduce_implILb1ES3_NS6_12zip_iteratorINS7_INS6_11hip_rocprim26transform_input_iterator_tIbNSD_35transform_pair_of_input_iterators_tIbNS6_6detail15normal_iteratorINS6_10device_ptrIKyEEEESL_NS6_8equal_toIyEEEENSG_9not_fun_tINSD_8identityEEEEENSD_19counting_iterator_tIlEES8_S8_S8_S8_S8_S8_S8_S8_EEEEPS9_S9_NSD_9__find_if7functorIS9_EEEE10hipError_tPvRmT1_T2_T3_mT4_P12ihipStream_tbEUlT_E0_NS1_11comp_targetILNS1_3genE0ELNS1_11target_archE4294967295ELNS1_3gpuE0ELNS1_3repE0EEENS1_30default_config_static_selectorELNS0_4arch9wavefront6targetE0EEEvS14_.has_dyn_sized_stack, 0
	.set _ZN7rocprim17ROCPRIM_400000_NS6detail17trampoline_kernelINS0_14default_configENS1_22reduce_config_selectorIN6thrust23THRUST_200600_302600_NS5tupleIblNS6_9null_typeES8_S8_S8_S8_S8_S8_S8_EEEEZNS1_11reduce_implILb1ES3_NS6_12zip_iteratorINS7_INS6_11hip_rocprim26transform_input_iterator_tIbNSD_35transform_pair_of_input_iterators_tIbNS6_6detail15normal_iteratorINS6_10device_ptrIKyEEEESL_NS6_8equal_toIyEEEENSG_9not_fun_tINSD_8identityEEEEENSD_19counting_iterator_tIlEES8_S8_S8_S8_S8_S8_S8_S8_EEEEPS9_S9_NSD_9__find_if7functorIS9_EEEE10hipError_tPvRmT1_T2_T3_mT4_P12ihipStream_tbEUlT_E0_NS1_11comp_targetILNS1_3genE0ELNS1_11target_archE4294967295ELNS1_3gpuE0ELNS1_3repE0EEENS1_30default_config_static_selectorELNS0_4arch9wavefront6targetE0EEEvS14_.has_recursion, 0
	.set _ZN7rocprim17ROCPRIM_400000_NS6detail17trampoline_kernelINS0_14default_configENS1_22reduce_config_selectorIN6thrust23THRUST_200600_302600_NS5tupleIblNS6_9null_typeES8_S8_S8_S8_S8_S8_S8_EEEEZNS1_11reduce_implILb1ES3_NS6_12zip_iteratorINS7_INS6_11hip_rocprim26transform_input_iterator_tIbNSD_35transform_pair_of_input_iterators_tIbNS6_6detail15normal_iteratorINS6_10device_ptrIKyEEEESL_NS6_8equal_toIyEEEENSG_9not_fun_tINSD_8identityEEEEENSD_19counting_iterator_tIlEES8_S8_S8_S8_S8_S8_S8_S8_EEEEPS9_S9_NSD_9__find_if7functorIS9_EEEE10hipError_tPvRmT1_T2_T3_mT4_P12ihipStream_tbEUlT_E0_NS1_11comp_targetILNS1_3genE0ELNS1_11target_archE4294967295ELNS1_3gpuE0ELNS1_3repE0EEENS1_30default_config_static_selectorELNS0_4arch9wavefront6targetE0EEEvS14_.has_indirect_call, 0
	.section	.AMDGPU.csdata,"",@progbits
; Kernel info:
; codeLenInByte = 0
; TotalNumSgprs: 0
; NumVgprs: 0
; ScratchSize: 0
; MemoryBound: 0
; FloatMode: 240
; IeeeMode: 1
; LDSByteSize: 0 bytes/workgroup (compile time only)
; SGPRBlocks: 0
; VGPRBlocks: 0
; NumSGPRsForWavesPerEU: 1
; NumVGPRsForWavesPerEU: 1
; Occupancy: 16
; WaveLimiterHint : 0
; COMPUTE_PGM_RSRC2:SCRATCH_EN: 0
; COMPUTE_PGM_RSRC2:USER_SGPR: 6
; COMPUTE_PGM_RSRC2:TRAP_HANDLER: 0
; COMPUTE_PGM_RSRC2:TGID_X_EN: 1
; COMPUTE_PGM_RSRC2:TGID_Y_EN: 0
; COMPUTE_PGM_RSRC2:TGID_Z_EN: 0
; COMPUTE_PGM_RSRC2:TIDIG_COMP_CNT: 0
	.section	.text._ZN7rocprim17ROCPRIM_400000_NS6detail17trampoline_kernelINS0_14default_configENS1_22reduce_config_selectorIN6thrust23THRUST_200600_302600_NS5tupleIblNS6_9null_typeES8_S8_S8_S8_S8_S8_S8_EEEEZNS1_11reduce_implILb1ES3_NS6_12zip_iteratorINS7_INS6_11hip_rocprim26transform_input_iterator_tIbNSD_35transform_pair_of_input_iterators_tIbNS6_6detail15normal_iteratorINS6_10device_ptrIKyEEEESL_NS6_8equal_toIyEEEENSG_9not_fun_tINSD_8identityEEEEENSD_19counting_iterator_tIlEES8_S8_S8_S8_S8_S8_S8_S8_EEEEPS9_S9_NSD_9__find_if7functorIS9_EEEE10hipError_tPvRmT1_T2_T3_mT4_P12ihipStream_tbEUlT_E0_NS1_11comp_targetILNS1_3genE5ELNS1_11target_archE942ELNS1_3gpuE9ELNS1_3repE0EEENS1_30default_config_static_selectorELNS0_4arch9wavefront6targetE0EEEvS14_,"axG",@progbits,_ZN7rocprim17ROCPRIM_400000_NS6detail17trampoline_kernelINS0_14default_configENS1_22reduce_config_selectorIN6thrust23THRUST_200600_302600_NS5tupleIblNS6_9null_typeES8_S8_S8_S8_S8_S8_S8_EEEEZNS1_11reduce_implILb1ES3_NS6_12zip_iteratorINS7_INS6_11hip_rocprim26transform_input_iterator_tIbNSD_35transform_pair_of_input_iterators_tIbNS6_6detail15normal_iteratorINS6_10device_ptrIKyEEEESL_NS6_8equal_toIyEEEENSG_9not_fun_tINSD_8identityEEEEENSD_19counting_iterator_tIlEES8_S8_S8_S8_S8_S8_S8_S8_EEEEPS9_S9_NSD_9__find_if7functorIS9_EEEE10hipError_tPvRmT1_T2_T3_mT4_P12ihipStream_tbEUlT_E0_NS1_11comp_targetILNS1_3genE5ELNS1_11target_archE942ELNS1_3gpuE9ELNS1_3repE0EEENS1_30default_config_static_selectorELNS0_4arch9wavefront6targetE0EEEvS14_,comdat
	.protected	_ZN7rocprim17ROCPRIM_400000_NS6detail17trampoline_kernelINS0_14default_configENS1_22reduce_config_selectorIN6thrust23THRUST_200600_302600_NS5tupleIblNS6_9null_typeES8_S8_S8_S8_S8_S8_S8_EEEEZNS1_11reduce_implILb1ES3_NS6_12zip_iteratorINS7_INS6_11hip_rocprim26transform_input_iterator_tIbNSD_35transform_pair_of_input_iterators_tIbNS6_6detail15normal_iteratorINS6_10device_ptrIKyEEEESL_NS6_8equal_toIyEEEENSG_9not_fun_tINSD_8identityEEEEENSD_19counting_iterator_tIlEES8_S8_S8_S8_S8_S8_S8_S8_EEEEPS9_S9_NSD_9__find_if7functorIS9_EEEE10hipError_tPvRmT1_T2_T3_mT4_P12ihipStream_tbEUlT_E0_NS1_11comp_targetILNS1_3genE5ELNS1_11target_archE942ELNS1_3gpuE9ELNS1_3repE0EEENS1_30default_config_static_selectorELNS0_4arch9wavefront6targetE0EEEvS14_ ; -- Begin function _ZN7rocprim17ROCPRIM_400000_NS6detail17trampoline_kernelINS0_14default_configENS1_22reduce_config_selectorIN6thrust23THRUST_200600_302600_NS5tupleIblNS6_9null_typeES8_S8_S8_S8_S8_S8_S8_EEEEZNS1_11reduce_implILb1ES3_NS6_12zip_iteratorINS7_INS6_11hip_rocprim26transform_input_iterator_tIbNSD_35transform_pair_of_input_iterators_tIbNS6_6detail15normal_iteratorINS6_10device_ptrIKyEEEESL_NS6_8equal_toIyEEEENSG_9not_fun_tINSD_8identityEEEEENSD_19counting_iterator_tIlEES8_S8_S8_S8_S8_S8_S8_S8_EEEEPS9_S9_NSD_9__find_if7functorIS9_EEEE10hipError_tPvRmT1_T2_T3_mT4_P12ihipStream_tbEUlT_E0_NS1_11comp_targetILNS1_3genE5ELNS1_11target_archE942ELNS1_3gpuE9ELNS1_3repE0EEENS1_30default_config_static_selectorELNS0_4arch9wavefront6targetE0EEEvS14_
	.globl	_ZN7rocprim17ROCPRIM_400000_NS6detail17trampoline_kernelINS0_14default_configENS1_22reduce_config_selectorIN6thrust23THRUST_200600_302600_NS5tupleIblNS6_9null_typeES8_S8_S8_S8_S8_S8_S8_EEEEZNS1_11reduce_implILb1ES3_NS6_12zip_iteratorINS7_INS6_11hip_rocprim26transform_input_iterator_tIbNSD_35transform_pair_of_input_iterators_tIbNS6_6detail15normal_iteratorINS6_10device_ptrIKyEEEESL_NS6_8equal_toIyEEEENSG_9not_fun_tINSD_8identityEEEEENSD_19counting_iterator_tIlEES8_S8_S8_S8_S8_S8_S8_S8_EEEEPS9_S9_NSD_9__find_if7functorIS9_EEEE10hipError_tPvRmT1_T2_T3_mT4_P12ihipStream_tbEUlT_E0_NS1_11comp_targetILNS1_3genE5ELNS1_11target_archE942ELNS1_3gpuE9ELNS1_3repE0EEENS1_30default_config_static_selectorELNS0_4arch9wavefront6targetE0EEEvS14_
	.p2align	8
	.type	_ZN7rocprim17ROCPRIM_400000_NS6detail17trampoline_kernelINS0_14default_configENS1_22reduce_config_selectorIN6thrust23THRUST_200600_302600_NS5tupleIblNS6_9null_typeES8_S8_S8_S8_S8_S8_S8_EEEEZNS1_11reduce_implILb1ES3_NS6_12zip_iteratorINS7_INS6_11hip_rocprim26transform_input_iterator_tIbNSD_35transform_pair_of_input_iterators_tIbNS6_6detail15normal_iteratorINS6_10device_ptrIKyEEEESL_NS6_8equal_toIyEEEENSG_9not_fun_tINSD_8identityEEEEENSD_19counting_iterator_tIlEES8_S8_S8_S8_S8_S8_S8_S8_EEEEPS9_S9_NSD_9__find_if7functorIS9_EEEE10hipError_tPvRmT1_T2_T3_mT4_P12ihipStream_tbEUlT_E0_NS1_11comp_targetILNS1_3genE5ELNS1_11target_archE942ELNS1_3gpuE9ELNS1_3repE0EEENS1_30default_config_static_selectorELNS0_4arch9wavefront6targetE0EEEvS14_,@function
_ZN7rocprim17ROCPRIM_400000_NS6detail17trampoline_kernelINS0_14default_configENS1_22reduce_config_selectorIN6thrust23THRUST_200600_302600_NS5tupleIblNS6_9null_typeES8_S8_S8_S8_S8_S8_S8_EEEEZNS1_11reduce_implILb1ES3_NS6_12zip_iteratorINS7_INS6_11hip_rocprim26transform_input_iterator_tIbNSD_35transform_pair_of_input_iterators_tIbNS6_6detail15normal_iteratorINS6_10device_ptrIKyEEEESL_NS6_8equal_toIyEEEENSG_9not_fun_tINSD_8identityEEEEENSD_19counting_iterator_tIlEES8_S8_S8_S8_S8_S8_S8_S8_EEEEPS9_S9_NSD_9__find_if7functorIS9_EEEE10hipError_tPvRmT1_T2_T3_mT4_P12ihipStream_tbEUlT_E0_NS1_11comp_targetILNS1_3genE5ELNS1_11target_archE942ELNS1_3gpuE9ELNS1_3repE0EEENS1_30default_config_static_selectorELNS0_4arch9wavefront6targetE0EEEvS14_: ; @_ZN7rocprim17ROCPRIM_400000_NS6detail17trampoline_kernelINS0_14default_configENS1_22reduce_config_selectorIN6thrust23THRUST_200600_302600_NS5tupleIblNS6_9null_typeES8_S8_S8_S8_S8_S8_S8_EEEEZNS1_11reduce_implILb1ES3_NS6_12zip_iteratorINS7_INS6_11hip_rocprim26transform_input_iterator_tIbNSD_35transform_pair_of_input_iterators_tIbNS6_6detail15normal_iteratorINS6_10device_ptrIKyEEEESL_NS6_8equal_toIyEEEENSG_9not_fun_tINSD_8identityEEEEENSD_19counting_iterator_tIlEES8_S8_S8_S8_S8_S8_S8_S8_EEEEPS9_S9_NSD_9__find_if7functorIS9_EEEE10hipError_tPvRmT1_T2_T3_mT4_P12ihipStream_tbEUlT_E0_NS1_11comp_targetILNS1_3genE5ELNS1_11target_archE942ELNS1_3gpuE9ELNS1_3repE0EEENS1_30default_config_static_selectorELNS0_4arch9wavefront6targetE0EEEvS14_
; %bb.0:
	.section	.rodata,"a",@progbits
	.p2align	6, 0x0
	.amdhsa_kernel _ZN7rocprim17ROCPRIM_400000_NS6detail17trampoline_kernelINS0_14default_configENS1_22reduce_config_selectorIN6thrust23THRUST_200600_302600_NS5tupleIblNS6_9null_typeES8_S8_S8_S8_S8_S8_S8_EEEEZNS1_11reduce_implILb1ES3_NS6_12zip_iteratorINS7_INS6_11hip_rocprim26transform_input_iterator_tIbNSD_35transform_pair_of_input_iterators_tIbNS6_6detail15normal_iteratorINS6_10device_ptrIKyEEEESL_NS6_8equal_toIyEEEENSG_9not_fun_tINSD_8identityEEEEENSD_19counting_iterator_tIlEES8_S8_S8_S8_S8_S8_S8_S8_EEEEPS9_S9_NSD_9__find_if7functorIS9_EEEE10hipError_tPvRmT1_T2_T3_mT4_P12ihipStream_tbEUlT_E0_NS1_11comp_targetILNS1_3genE5ELNS1_11target_archE942ELNS1_3gpuE9ELNS1_3repE0EEENS1_30default_config_static_selectorELNS0_4arch9wavefront6targetE0EEEvS14_
		.amdhsa_group_segment_fixed_size 0
		.amdhsa_private_segment_fixed_size 0
		.amdhsa_kernarg_size 104
		.amdhsa_user_sgpr_count 6
		.amdhsa_user_sgpr_private_segment_buffer 1
		.amdhsa_user_sgpr_dispatch_ptr 0
		.amdhsa_user_sgpr_queue_ptr 0
		.amdhsa_user_sgpr_kernarg_segment_ptr 1
		.amdhsa_user_sgpr_dispatch_id 0
		.amdhsa_user_sgpr_flat_scratch_init 0
		.amdhsa_user_sgpr_private_segment_size 0
		.amdhsa_wavefront_size32 1
		.amdhsa_uses_dynamic_stack 0
		.amdhsa_system_sgpr_private_segment_wavefront_offset 0
		.amdhsa_system_sgpr_workgroup_id_x 1
		.amdhsa_system_sgpr_workgroup_id_y 0
		.amdhsa_system_sgpr_workgroup_id_z 0
		.amdhsa_system_sgpr_workgroup_info 0
		.amdhsa_system_vgpr_workitem_id 0
		.amdhsa_next_free_vgpr 1
		.amdhsa_next_free_sgpr 1
		.amdhsa_reserve_vcc 0
		.amdhsa_reserve_flat_scratch 0
		.amdhsa_float_round_mode_32 0
		.amdhsa_float_round_mode_16_64 0
		.amdhsa_float_denorm_mode_32 3
		.amdhsa_float_denorm_mode_16_64 3
		.amdhsa_dx10_clamp 1
		.amdhsa_ieee_mode 1
		.amdhsa_fp16_overflow 0
		.amdhsa_workgroup_processor_mode 1
		.amdhsa_memory_ordered 1
		.amdhsa_forward_progress 1
		.amdhsa_shared_vgpr_count 0
		.amdhsa_exception_fp_ieee_invalid_op 0
		.amdhsa_exception_fp_denorm_src 0
		.amdhsa_exception_fp_ieee_div_zero 0
		.amdhsa_exception_fp_ieee_overflow 0
		.amdhsa_exception_fp_ieee_underflow 0
		.amdhsa_exception_fp_ieee_inexact 0
		.amdhsa_exception_int_div_zero 0
	.end_amdhsa_kernel
	.section	.text._ZN7rocprim17ROCPRIM_400000_NS6detail17trampoline_kernelINS0_14default_configENS1_22reduce_config_selectorIN6thrust23THRUST_200600_302600_NS5tupleIblNS6_9null_typeES8_S8_S8_S8_S8_S8_S8_EEEEZNS1_11reduce_implILb1ES3_NS6_12zip_iteratorINS7_INS6_11hip_rocprim26transform_input_iterator_tIbNSD_35transform_pair_of_input_iterators_tIbNS6_6detail15normal_iteratorINS6_10device_ptrIKyEEEESL_NS6_8equal_toIyEEEENSG_9not_fun_tINSD_8identityEEEEENSD_19counting_iterator_tIlEES8_S8_S8_S8_S8_S8_S8_S8_EEEEPS9_S9_NSD_9__find_if7functorIS9_EEEE10hipError_tPvRmT1_T2_T3_mT4_P12ihipStream_tbEUlT_E0_NS1_11comp_targetILNS1_3genE5ELNS1_11target_archE942ELNS1_3gpuE9ELNS1_3repE0EEENS1_30default_config_static_selectorELNS0_4arch9wavefront6targetE0EEEvS14_,"axG",@progbits,_ZN7rocprim17ROCPRIM_400000_NS6detail17trampoline_kernelINS0_14default_configENS1_22reduce_config_selectorIN6thrust23THRUST_200600_302600_NS5tupleIblNS6_9null_typeES8_S8_S8_S8_S8_S8_S8_EEEEZNS1_11reduce_implILb1ES3_NS6_12zip_iteratorINS7_INS6_11hip_rocprim26transform_input_iterator_tIbNSD_35transform_pair_of_input_iterators_tIbNS6_6detail15normal_iteratorINS6_10device_ptrIKyEEEESL_NS6_8equal_toIyEEEENSG_9not_fun_tINSD_8identityEEEEENSD_19counting_iterator_tIlEES8_S8_S8_S8_S8_S8_S8_S8_EEEEPS9_S9_NSD_9__find_if7functorIS9_EEEE10hipError_tPvRmT1_T2_T3_mT4_P12ihipStream_tbEUlT_E0_NS1_11comp_targetILNS1_3genE5ELNS1_11target_archE942ELNS1_3gpuE9ELNS1_3repE0EEENS1_30default_config_static_selectorELNS0_4arch9wavefront6targetE0EEEvS14_,comdat
.Lfunc_end108:
	.size	_ZN7rocprim17ROCPRIM_400000_NS6detail17trampoline_kernelINS0_14default_configENS1_22reduce_config_selectorIN6thrust23THRUST_200600_302600_NS5tupleIblNS6_9null_typeES8_S8_S8_S8_S8_S8_S8_EEEEZNS1_11reduce_implILb1ES3_NS6_12zip_iteratorINS7_INS6_11hip_rocprim26transform_input_iterator_tIbNSD_35transform_pair_of_input_iterators_tIbNS6_6detail15normal_iteratorINS6_10device_ptrIKyEEEESL_NS6_8equal_toIyEEEENSG_9not_fun_tINSD_8identityEEEEENSD_19counting_iterator_tIlEES8_S8_S8_S8_S8_S8_S8_S8_EEEEPS9_S9_NSD_9__find_if7functorIS9_EEEE10hipError_tPvRmT1_T2_T3_mT4_P12ihipStream_tbEUlT_E0_NS1_11comp_targetILNS1_3genE5ELNS1_11target_archE942ELNS1_3gpuE9ELNS1_3repE0EEENS1_30default_config_static_selectorELNS0_4arch9wavefront6targetE0EEEvS14_, .Lfunc_end108-_ZN7rocprim17ROCPRIM_400000_NS6detail17trampoline_kernelINS0_14default_configENS1_22reduce_config_selectorIN6thrust23THRUST_200600_302600_NS5tupleIblNS6_9null_typeES8_S8_S8_S8_S8_S8_S8_EEEEZNS1_11reduce_implILb1ES3_NS6_12zip_iteratorINS7_INS6_11hip_rocprim26transform_input_iterator_tIbNSD_35transform_pair_of_input_iterators_tIbNS6_6detail15normal_iteratorINS6_10device_ptrIKyEEEESL_NS6_8equal_toIyEEEENSG_9not_fun_tINSD_8identityEEEEENSD_19counting_iterator_tIlEES8_S8_S8_S8_S8_S8_S8_S8_EEEEPS9_S9_NSD_9__find_if7functorIS9_EEEE10hipError_tPvRmT1_T2_T3_mT4_P12ihipStream_tbEUlT_E0_NS1_11comp_targetILNS1_3genE5ELNS1_11target_archE942ELNS1_3gpuE9ELNS1_3repE0EEENS1_30default_config_static_selectorELNS0_4arch9wavefront6targetE0EEEvS14_
                                        ; -- End function
	.set _ZN7rocprim17ROCPRIM_400000_NS6detail17trampoline_kernelINS0_14default_configENS1_22reduce_config_selectorIN6thrust23THRUST_200600_302600_NS5tupleIblNS6_9null_typeES8_S8_S8_S8_S8_S8_S8_EEEEZNS1_11reduce_implILb1ES3_NS6_12zip_iteratorINS7_INS6_11hip_rocprim26transform_input_iterator_tIbNSD_35transform_pair_of_input_iterators_tIbNS6_6detail15normal_iteratorINS6_10device_ptrIKyEEEESL_NS6_8equal_toIyEEEENSG_9not_fun_tINSD_8identityEEEEENSD_19counting_iterator_tIlEES8_S8_S8_S8_S8_S8_S8_S8_EEEEPS9_S9_NSD_9__find_if7functorIS9_EEEE10hipError_tPvRmT1_T2_T3_mT4_P12ihipStream_tbEUlT_E0_NS1_11comp_targetILNS1_3genE5ELNS1_11target_archE942ELNS1_3gpuE9ELNS1_3repE0EEENS1_30default_config_static_selectorELNS0_4arch9wavefront6targetE0EEEvS14_.num_vgpr, 0
	.set _ZN7rocprim17ROCPRIM_400000_NS6detail17trampoline_kernelINS0_14default_configENS1_22reduce_config_selectorIN6thrust23THRUST_200600_302600_NS5tupleIblNS6_9null_typeES8_S8_S8_S8_S8_S8_S8_EEEEZNS1_11reduce_implILb1ES3_NS6_12zip_iteratorINS7_INS6_11hip_rocprim26transform_input_iterator_tIbNSD_35transform_pair_of_input_iterators_tIbNS6_6detail15normal_iteratorINS6_10device_ptrIKyEEEESL_NS6_8equal_toIyEEEENSG_9not_fun_tINSD_8identityEEEEENSD_19counting_iterator_tIlEES8_S8_S8_S8_S8_S8_S8_S8_EEEEPS9_S9_NSD_9__find_if7functorIS9_EEEE10hipError_tPvRmT1_T2_T3_mT4_P12ihipStream_tbEUlT_E0_NS1_11comp_targetILNS1_3genE5ELNS1_11target_archE942ELNS1_3gpuE9ELNS1_3repE0EEENS1_30default_config_static_selectorELNS0_4arch9wavefront6targetE0EEEvS14_.num_agpr, 0
	.set _ZN7rocprim17ROCPRIM_400000_NS6detail17trampoline_kernelINS0_14default_configENS1_22reduce_config_selectorIN6thrust23THRUST_200600_302600_NS5tupleIblNS6_9null_typeES8_S8_S8_S8_S8_S8_S8_EEEEZNS1_11reduce_implILb1ES3_NS6_12zip_iteratorINS7_INS6_11hip_rocprim26transform_input_iterator_tIbNSD_35transform_pair_of_input_iterators_tIbNS6_6detail15normal_iteratorINS6_10device_ptrIKyEEEESL_NS6_8equal_toIyEEEENSG_9not_fun_tINSD_8identityEEEEENSD_19counting_iterator_tIlEES8_S8_S8_S8_S8_S8_S8_S8_EEEEPS9_S9_NSD_9__find_if7functorIS9_EEEE10hipError_tPvRmT1_T2_T3_mT4_P12ihipStream_tbEUlT_E0_NS1_11comp_targetILNS1_3genE5ELNS1_11target_archE942ELNS1_3gpuE9ELNS1_3repE0EEENS1_30default_config_static_selectorELNS0_4arch9wavefront6targetE0EEEvS14_.numbered_sgpr, 0
	.set _ZN7rocprim17ROCPRIM_400000_NS6detail17trampoline_kernelINS0_14default_configENS1_22reduce_config_selectorIN6thrust23THRUST_200600_302600_NS5tupleIblNS6_9null_typeES8_S8_S8_S8_S8_S8_S8_EEEEZNS1_11reduce_implILb1ES3_NS6_12zip_iteratorINS7_INS6_11hip_rocprim26transform_input_iterator_tIbNSD_35transform_pair_of_input_iterators_tIbNS6_6detail15normal_iteratorINS6_10device_ptrIKyEEEESL_NS6_8equal_toIyEEEENSG_9not_fun_tINSD_8identityEEEEENSD_19counting_iterator_tIlEES8_S8_S8_S8_S8_S8_S8_S8_EEEEPS9_S9_NSD_9__find_if7functorIS9_EEEE10hipError_tPvRmT1_T2_T3_mT4_P12ihipStream_tbEUlT_E0_NS1_11comp_targetILNS1_3genE5ELNS1_11target_archE942ELNS1_3gpuE9ELNS1_3repE0EEENS1_30default_config_static_selectorELNS0_4arch9wavefront6targetE0EEEvS14_.num_named_barrier, 0
	.set _ZN7rocprim17ROCPRIM_400000_NS6detail17trampoline_kernelINS0_14default_configENS1_22reduce_config_selectorIN6thrust23THRUST_200600_302600_NS5tupleIblNS6_9null_typeES8_S8_S8_S8_S8_S8_S8_EEEEZNS1_11reduce_implILb1ES3_NS6_12zip_iteratorINS7_INS6_11hip_rocprim26transform_input_iterator_tIbNSD_35transform_pair_of_input_iterators_tIbNS6_6detail15normal_iteratorINS6_10device_ptrIKyEEEESL_NS6_8equal_toIyEEEENSG_9not_fun_tINSD_8identityEEEEENSD_19counting_iterator_tIlEES8_S8_S8_S8_S8_S8_S8_S8_EEEEPS9_S9_NSD_9__find_if7functorIS9_EEEE10hipError_tPvRmT1_T2_T3_mT4_P12ihipStream_tbEUlT_E0_NS1_11comp_targetILNS1_3genE5ELNS1_11target_archE942ELNS1_3gpuE9ELNS1_3repE0EEENS1_30default_config_static_selectorELNS0_4arch9wavefront6targetE0EEEvS14_.private_seg_size, 0
	.set _ZN7rocprim17ROCPRIM_400000_NS6detail17trampoline_kernelINS0_14default_configENS1_22reduce_config_selectorIN6thrust23THRUST_200600_302600_NS5tupleIblNS6_9null_typeES8_S8_S8_S8_S8_S8_S8_EEEEZNS1_11reduce_implILb1ES3_NS6_12zip_iteratorINS7_INS6_11hip_rocprim26transform_input_iterator_tIbNSD_35transform_pair_of_input_iterators_tIbNS6_6detail15normal_iteratorINS6_10device_ptrIKyEEEESL_NS6_8equal_toIyEEEENSG_9not_fun_tINSD_8identityEEEEENSD_19counting_iterator_tIlEES8_S8_S8_S8_S8_S8_S8_S8_EEEEPS9_S9_NSD_9__find_if7functorIS9_EEEE10hipError_tPvRmT1_T2_T3_mT4_P12ihipStream_tbEUlT_E0_NS1_11comp_targetILNS1_3genE5ELNS1_11target_archE942ELNS1_3gpuE9ELNS1_3repE0EEENS1_30default_config_static_selectorELNS0_4arch9wavefront6targetE0EEEvS14_.uses_vcc, 0
	.set _ZN7rocprim17ROCPRIM_400000_NS6detail17trampoline_kernelINS0_14default_configENS1_22reduce_config_selectorIN6thrust23THRUST_200600_302600_NS5tupleIblNS6_9null_typeES8_S8_S8_S8_S8_S8_S8_EEEEZNS1_11reduce_implILb1ES3_NS6_12zip_iteratorINS7_INS6_11hip_rocprim26transform_input_iterator_tIbNSD_35transform_pair_of_input_iterators_tIbNS6_6detail15normal_iteratorINS6_10device_ptrIKyEEEESL_NS6_8equal_toIyEEEENSG_9not_fun_tINSD_8identityEEEEENSD_19counting_iterator_tIlEES8_S8_S8_S8_S8_S8_S8_S8_EEEEPS9_S9_NSD_9__find_if7functorIS9_EEEE10hipError_tPvRmT1_T2_T3_mT4_P12ihipStream_tbEUlT_E0_NS1_11comp_targetILNS1_3genE5ELNS1_11target_archE942ELNS1_3gpuE9ELNS1_3repE0EEENS1_30default_config_static_selectorELNS0_4arch9wavefront6targetE0EEEvS14_.uses_flat_scratch, 0
	.set _ZN7rocprim17ROCPRIM_400000_NS6detail17trampoline_kernelINS0_14default_configENS1_22reduce_config_selectorIN6thrust23THRUST_200600_302600_NS5tupleIblNS6_9null_typeES8_S8_S8_S8_S8_S8_S8_EEEEZNS1_11reduce_implILb1ES3_NS6_12zip_iteratorINS7_INS6_11hip_rocprim26transform_input_iterator_tIbNSD_35transform_pair_of_input_iterators_tIbNS6_6detail15normal_iteratorINS6_10device_ptrIKyEEEESL_NS6_8equal_toIyEEEENSG_9not_fun_tINSD_8identityEEEEENSD_19counting_iterator_tIlEES8_S8_S8_S8_S8_S8_S8_S8_EEEEPS9_S9_NSD_9__find_if7functorIS9_EEEE10hipError_tPvRmT1_T2_T3_mT4_P12ihipStream_tbEUlT_E0_NS1_11comp_targetILNS1_3genE5ELNS1_11target_archE942ELNS1_3gpuE9ELNS1_3repE0EEENS1_30default_config_static_selectorELNS0_4arch9wavefront6targetE0EEEvS14_.has_dyn_sized_stack, 0
	.set _ZN7rocprim17ROCPRIM_400000_NS6detail17trampoline_kernelINS0_14default_configENS1_22reduce_config_selectorIN6thrust23THRUST_200600_302600_NS5tupleIblNS6_9null_typeES8_S8_S8_S8_S8_S8_S8_EEEEZNS1_11reduce_implILb1ES3_NS6_12zip_iteratorINS7_INS6_11hip_rocprim26transform_input_iterator_tIbNSD_35transform_pair_of_input_iterators_tIbNS6_6detail15normal_iteratorINS6_10device_ptrIKyEEEESL_NS6_8equal_toIyEEEENSG_9not_fun_tINSD_8identityEEEEENSD_19counting_iterator_tIlEES8_S8_S8_S8_S8_S8_S8_S8_EEEEPS9_S9_NSD_9__find_if7functorIS9_EEEE10hipError_tPvRmT1_T2_T3_mT4_P12ihipStream_tbEUlT_E0_NS1_11comp_targetILNS1_3genE5ELNS1_11target_archE942ELNS1_3gpuE9ELNS1_3repE0EEENS1_30default_config_static_selectorELNS0_4arch9wavefront6targetE0EEEvS14_.has_recursion, 0
	.set _ZN7rocprim17ROCPRIM_400000_NS6detail17trampoline_kernelINS0_14default_configENS1_22reduce_config_selectorIN6thrust23THRUST_200600_302600_NS5tupleIblNS6_9null_typeES8_S8_S8_S8_S8_S8_S8_EEEEZNS1_11reduce_implILb1ES3_NS6_12zip_iteratorINS7_INS6_11hip_rocprim26transform_input_iterator_tIbNSD_35transform_pair_of_input_iterators_tIbNS6_6detail15normal_iteratorINS6_10device_ptrIKyEEEESL_NS6_8equal_toIyEEEENSG_9not_fun_tINSD_8identityEEEEENSD_19counting_iterator_tIlEES8_S8_S8_S8_S8_S8_S8_S8_EEEEPS9_S9_NSD_9__find_if7functorIS9_EEEE10hipError_tPvRmT1_T2_T3_mT4_P12ihipStream_tbEUlT_E0_NS1_11comp_targetILNS1_3genE5ELNS1_11target_archE942ELNS1_3gpuE9ELNS1_3repE0EEENS1_30default_config_static_selectorELNS0_4arch9wavefront6targetE0EEEvS14_.has_indirect_call, 0
	.section	.AMDGPU.csdata,"",@progbits
; Kernel info:
; codeLenInByte = 0
; TotalNumSgprs: 0
; NumVgprs: 0
; ScratchSize: 0
; MemoryBound: 0
; FloatMode: 240
; IeeeMode: 1
; LDSByteSize: 0 bytes/workgroup (compile time only)
; SGPRBlocks: 0
; VGPRBlocks: 0
; NumSGPRsForWavesPerEU: 1
; NumVGPRsForWavesPerEU: 1
; Occupancy: 16
; WaveLimiterHint : 0
; COMPUTE_PGM_RSRC2:SCRATCH_EN: 0
; COMPUTE_PGM_RSRC2:USER_SGPR: 6
; COMPUTE_PGM_RSRC2:TRAP_HANDLER: 0
; COMPUTE_PGM_RSRC2:TGID_X_EN: 1
; COMPUTE_PGM_RSRC2:TGID_Y_EN: 0
; COMPUTE_PGM_RSRC2:TGID_Z_EN: 0
; COMPUTE_PGM_RSRC2:TIDIG_COMP_CNT: 0
	.section	.text._ZN7rocprim17ROCPRIM_400000_NS6detail17trampoline_kernelINS0_14default_configENS1_22reduce_config_selectorIN6thrust23THRUST_200600_302600_NS5tupleIblNS6_9null_typeES8_S8_S8_S8_S8_S8_S8_EEEEZNS1_11reduce_implILb1ES3_NS6_12zip_iteratorINS7_INS6_11hip_rocprim26transform_input_iterator_tIbNSD_35transform_pair_of_input_iterators_tIbNS6_6detail15normal_iteratorINS6_10device_ptrIKyEEEESL_NS6_8equal_toIyEEEENSG_9not_fun_tINSD_8identityEEEEENSD_19counting_iterator_tIlEES8_S8_S8_S8_S8_S8_S8_S8_EEEEPS9_S9_NSD_9__find_if7functorIS9_EEEE10hipError_tPvRmT1_T2_T3_mT4_P12ihipStream_tbEUlT_E0_NS1_11comp_targetILNS1_3genE4ELNS1_11target_archE910ELNS1_3gpuE8ELNS1_3repE0EEENS1_30default_config_static_selectorELNS0_4arch9wavefront6targetE0EEEvS14_,"axG",@progbits,_ZN7rocprim17ROCPRIM_400000_NS6detail17trampoline_kernelINS0_14default_configENS1_22reduce_config_selectorIN6thrust23THRUST_200600_302600_NS5tupleIblNS6_9null_typeES8_S8_S8_S8_S8_S8_S8_EEEEZNS1_11reduce_implILb1ES3_NS6_12zip_iteratorINS7_INS6_11hip_rocprim26transform_input_iterator_tIbNSD_35transform_pair_of_input_iterators_tIbNS6_6detail15normal_iteratorINS6_10device_ptrIKyEEEESL_NS6_8equal_toIyEEEENSG_9not_fun_tINSD_8identityEEEEENSD_19counting_iterator_tIlEES8_S8_S8_S8_S8_S8_S8_S8_EEEEPS9_S9_NSD_9__find_if7functorIS9_EEEE10hipError_tPvRmT1_T2_T3_mT4_P12ihipStream_tbEUlT_E0_NS1_11comp_targetILNS1_3genE4ELNS1_11target_archE910ELNS1_3gpuE8ELNS1_3repE0EEENS1_30default_config_static_selectorELNS0_4arch9wavefront6targetE0EEEvS14_,comdat
	.protected	_ZN7rocprim17ROCPRIM_400000_NS6detail17trampoline_kernelINS0_14default_configENS1_22reduce_config_selectorIN6thrust23THRUST_200600_302600_NS5tupleIblNS6_9null_typeES8_S8_S8_S8_S8_S8_S8_EEEEZNS1_11reduce_implILb1ES3_NS6_12zip_iteratorINS7_INS6_11hip_rocprim26transform_input_iterator_tIbNSD_35transform_pair_of_input_iterators_tIbNS6_6detail15normal_iteratorINS6_10device_ptrIKyEEEESL_NS6_8equal_toIyEEEENSG_9not_fun_tINSD_8identityEEEEENSD_19counting_iterator_tIlEES8_S8_S8_S8_S8_S8_S8_S8_EEEEPS9_S9_NSD_9__find_if7functorIS9_EEEE10hipError_tPvRmT1_T2_T3_mT4_P12ihipStream_tbEUlT_E0_NS1_11comp_targetILNS1_3genE4ELNS1_11target_archE910ELNS1_3gpuE8ELNS1_3repE0EEENS1_30default_config_static_selectorELNS0_4arch9wavefront6targetE0EEEvS14_ ; -- Begin function _ZN7rocprim17ROCPRIM_400000_NS6detail17trampoline_kernelINS0_14default_configENS1_22reduce_config_selectorIN6thrust23THRUST_200600_302600_NS5tupleIblNS6_9null_typeES8_S8_S8_S8_S8_S8_S8_EEEEZNS1_11reduce_implILb1ES3_NS6_12zip_iteratorINS7_INS6_11hip_rocprim26transform_input_iterator_tIbNSD_35transform_pair_of_input_iterators_tIbNS6_6detail15normal_iteratorINS6_10device_ptrIKyEEEESL_NS6_8equal_toIyEEEENSG_9not_fun_tINSD_8identityEEEEENSD_19counting_iterator_tIlEES8_S8_S8_S8_S8_S8_S8_S8_EEEEPS9_S9_NSD_9__find_if7functorIS9_EEEE10hipError_tPvRmT1_T2_T3_mT4_P12ihipStream_tbEUlT_E0_NS1_11comp_targetILNS1_3genE4ELNS1_11target_archE910ELNS1_3gpuE8ELNS1_3repE0EEENS1_30default_config_static_selectorELNS0_4arch9wavefront6targetE0EEEvS14_
	.globl	_ZN7rocprim17ROCPRIM_400000_NS6detail17trampoline_kernelINS0_14default_configENS1_22reduce_config_selectorIN6thrust23THRUST_200600_302600_NS5tupleIblNS6_9null_typeES8_S8_S8_S8_S8_S8_S8_EEEEZNS1_11reduce_implILb1ES3_NS6_12zip_iteratorINS7_INS6_11hip_rocprim26transform_input_iterator_tIbNSD_35transform_pair_of_input_iterators_tIbNS6_6detail15normal_iteratorINS6_10device_ptrIKyEEEESL_NS6_8equal_toIyEEEENSG_9not_fun_tINSD_8identityEEEEENSD_19counting_iterator_tIlEES8_S8_S8_S8_S8_S8_S8_S8_EEEEPS9_S9_NSD_9__find_if7functorIS9_EEEE10hipError_tPvRmT1_T2_T3_mT4_P12ihipStream_tbEUlT_E0_NS1_11comp_targetILNS1_3genE4ELNS1_11target_archE910ELNS1_3gpuE8ELNS1_3repE0EEENS1_30default_config_static_selectorELNS0_4arch9wavefront6targetE0EEEvS14_
	.p2align	8
	.type	_ZN7rocprim17ROCPRIM_400000_NS6detail17trampoline_kernelINS0_14default_configENS1_22reduce_config_selectorIN6thrust23THRUST_200600_302600_NS5tupleIblNS6_9null_typeES8_S8_S8_S8_S8_S8_S8_EEEEZNS1_11reduce_implILb1ES3_NS6_12zip_iteratorINS7_INS6_11hip_rocprim26transform_input_iterator_tIbNSD_35transform_pair_of_input_iterators_tIbNS6_6detail15normal_iteratorINS6_10device_ptrIKyEEEESL_NS6_8equal_toIyEEEENSG_9not_fun_tINSD_8identityEEEEENSD_19counting_iterator_tIlEES8_S8_S8_S8_S8_S8_S8_S8_EEEEPS9_S9_NSD_9__find_if7functorIS9_EEEE10hipError_tPvRmT1_T2_T3_mT4_P12ihipStream_tbEUlT_E0_NS1_11comp_targetILNS1_3genE4ELNS1_11target_archE910ELNS1_3gpuE8ELNS1_3repE0EEENS1_30default_config_static_selectorELNS0_4arch9wavefront6targetE0EEEvS14_,@function
_ZN7rocprim17ROCPRIM_400000_NS6detail17trampoline_kernelINS0_14default_configENS1_22reduce_config_selectorIN6thrust23THRUST_200600_302600_NS5tupleIblNS6_9null_typeES8_S8_S8_S8_S8_S8_S8_EEEEZNS1_11reduce_implILb1ES3_NS6_12zip_iteratorINS7_INS6_11hip_rocprim26transform_input_iterator_tIbNSD_35transform_pair_of_input_iterators_tIbNS6_6detail15normal_iteratorINS6_10device_ptrIKyEEEESL_NS6_8equal_toIyEEEENSG_9not_fun_tINSD_8identityEEEEENSD_19counting_iterator_tIlEES8_S8_S8_S8_S8_S8_S8_S8_EEEEPS9_S9_NSD_9__find_if7functorIS9_EEEE10hipError_tPvRmT1_T2_T3_mT4_P12ihipStream_tbEUlT_E0_NS1_11comp_targetILNS1_3genE4ELNS1_11target_archE910ELNS1_3gpuE8ELNS1_3repE0EEENS1_30default_config_static_selectorELNS0_4arch9wavefront6targetE0EEEvS14_: ; @_ZN7rocprim17ROCPRIM_400000_NS6detail17trampoline_kernelINS0_14default_configENS1_22reduce_config_selectorIN6thrust23THRUST_200600_302600_NS5tupleIblNS6_9null_typeES8_S8_S8_S8_S8_S8_S8_EEEEZNS1_11reduce_implILb1ES3_NS6_12zip_iteratorINS7_INS6_11hip_rocprim26transform_input_iterator_tIbNSD_35transform_pair_of_input_iterators_tIbNS6_6detail15normal_iteratorINS6_10device_ptrIKyEEEESL_NS6_8equal_toIyEEEENSG_9not_fun_tINSD_8identityEEEEENSD_19counting_iterator_tIlEES8_S8_S8_S8_S8_S8_S8_S8_EEEEPS9_S9_NSD_9__find_if7functorIS9_EEEE10hipError_tPvRmT1_T2_T3_mT4_P12ihipStream_tbEUlT_E0_NS1_11comp_targetILNS1_3genE4ELNS1_11target_archE910ELNS1_3gpuE8ELNS1_3repE0EEENS1_30default_config_static_selectorELNS0_4arch9wavefront6targetE0EEEvS14_
; %bb.0:
	.section	.rodata,"a",@progbits
	.p2align	6, 0x0
	.amdhsa_kernel _ZN7rocprim17ROCPRIM_400000_NS6detail17trampoline_kernelINS0_14default_configENS1_22reduce_config_selectorIN6thrust23THRUST_200600_302600_NS5tupleIblNS6_9null_typeES8_S8_S8_S8_S8_S8_S8_EEEEZNS1_11reduce_implILb1ES3_NS6_12zip_iteratorINS7_INS6_11hip_rocprim26transform_input_iterator_tIbNSD_35transform_pair_of_input_iterators_tIbNS6_6detail15normal_iteratorINS6_10device_ptrIKyEEEESL_NS6_8equal_toIyEEEENSG_9not_fun_tINSD_8identityEEEEENSD_19counting_iterator_tIlEES8_S8_S8_S8_S8_S8_S8_S8_EEEEPS9_S9_NSD_9__find_if7functorIS9_EEEE10hipError_tPvRmT1_T2_T3_mT4_P12ihipStream_tbEUlT_E0_NS1_11comp_targetILNS1_3genE4ELNS1_11target_archE910ELNS1_3gpuE8ELNS1_3repE0EEENS1_30default_config_static_selectorELNS0_4arch9wavefront6targetE0EEEvS14_
		.amdhsa_group_segment_fixed_size 0
		.amdhsa_private_segment_fixed_size 0
		.amdhsa_kernarg_size 104
		.amdhsa_user_sgpr_count 6
		.amdhsa_user_sgpr_private_segment_buffer 1
		.amdhsa_user_sgpr_dispatch_ptr 0
		.amdhsa_user_sgpr_queue_ptr 0
		.amdhsa_user_sgpr_kernarg_segment_ptr 1
		.amdhsa_user_sgpr_dispatch_id 0
		.amdhsa_user_sgpr_flat_scratch_init 0
		.amdhsa_user_sgpr_private_segment_size 0
		.amdhsa_wavefront_size32 1
		.amdhsa_uses_dynamic_stack 0
		.amdhsa_system_sgpr_private_segment_wavefront_offset 0
		.amdhsa_system_sgpr_workgroup_id_x 1
		.amdhsa_system_sgpr_workgroup_id_y 0
		.amdhsa_system_sgpr_workgroup_id_z 0
		.amdhsa_system_sgpr_workgroup_info 0
		.amdhsa_system_vgpr_workitem_id 0
		.amdhsa_next_free_vgpr 1
		.amdhsa_next_free_sgpr 1
		.amdhsa_reserve_vcc 0
		.amdhsa_reserve_flat_scratch 0
		.amdhsa_float_round_mode_32 0
		.amdhsa_float_round_mode_16_64 0
		.amdhsa_float_denorm_mode_32 3
		.amdhsa_float_denorm_mode_16_64 3
		.amdhsa_dx10_clamp 1
		.amdhsa_ieee_mode 1
		.amdhsa_fp16_overflow 0
		.amdhsa_workgroup_processor_mode 1
		.amdhsa_memory_ordered 1
		.amdhsa_forward_progress 1
		.amdhsa_shared_vgpr_count 0
		.amdhsa_exception_fp_ieee_invalid_op 0
		.amdhsa_exception_fp_denorm_src 0
		.amdhsa_exception_fp_ieee_div_zero 0
		.amdhsa_exception_fp_ieee_overflow 0
		.amdhsa_exception_fp_ieee_underflow 0
		.amdhsa_exception_fp_ieee_inexact 0
		.amdhsa_exception_int_div_zero 0
	.end_amdhsa_kernel
	.section	.text._ZN7rocprim17ROCPRIM_400000_NS6detail17trampoline_kernelINS0_14default_configENS1_22reduce_config_selectorIN6thrust23THRUST_200600_302600_NS5tupleIblNS6_9null_typeES8_S8_S8_S8_S8_S8_S8_EEEEZNS1_11reduce_implILb1ES3_NS6_12zip_iteratorINS7_INS6_11hip_rocprim26transform_input_iterator_tIbNSD_35transform_pair_of_input_iterators_tIbNS6_6detail15normal_iteratorINS6_10device_ptrIKyEEEESL_NS6_8equal_toIyEEEENSG_9not_fun_tINSD_8identityEEEEENSD_19counting_iterator_tIlEES8_S8_S8_S8_S8_S8_S8_S8_EEEEPS9_S9_NSD_9__find_if7functorIS9_EEEE10hipError_tPvRmT1_T2_T3_mT4_P12ihipStream_tbEUlT_E0_NS1_11comp_targetILNS1_3genE4ELNS1_11target_archE910ELNS1_3gpuE8ELNS1_3repE0EEENS1_30default_config_static_selectorELNS0_4arch9wavefront6targetE0EEEvS14_,"axG",@progbits,_ZN7rocprim17ROCPRIM_400000_NS6detail17trampoline_kernelINS0_14default_configENS1_22reduce_config_selectorIN6thrust23THRUST_200600_302600_NS5tupleIblNS6_9null_typeES8_S8_S8_S8_S8_S8_S8_EEEEZNS1_11reduce_implILb1ES3_NS6_12zip_iteratorINS7_INS6_11hip_rocprim26transform_input_iterator_tIbNSD_35transform_pair_of_input_iterators_tIbNS6_6detail15normal_iteratorINS6_10device_ptrIKyEEEESL_NS6_8equal_toIyEEEENSG_9not_fun_tINSD_8identityEEEEENSD_19counting_iterator_tIlEES8_S8_S8_S8_S8_S8_S8_S8_EEEEPS9_S9_NSD_9__find_if7functorIS9_EEEE10hipError_tPvRmT1_T2_T3_mT4_P12ihipStream_tbEUlT_E0_NS1_11comp_targetILNS1_3genE4ELNS1_11target_archE910ELNS1_3gpuE8ELNS1_3repE0EEENS1_30default_config_static_selectorELNS0_4arch9wavefront6targetE0EEEvS14_,comdat
.Lfunc_end109:
	.size	_ZN7rocprim17ROCPRIM_400000_NS6detail17trampoline_kernelINS0_14default_configENS1_22reduce_config_selectorIN6thrust23THRUST_200600_302600_NS5tupleIblNS6_9null_typeES8_S8_S8_S8_S8_S8_S8_EEEEZNS1_11reduce_implILb1ES3_NS6_12zip_iteratorINS7_INS6_11hip_rocprim26transform_input_iterator_tIbNSD_35transform_pair_of_input_iterators_tIbNS6_6detail15normal_iteratorINS6_10device_ptrIKyEEEESL_NS6_8equal_toIyEEEENSG_9not_fun_tINSD_8identityEEEEENSD_19counting_iterator_tIlEES8_S8_S8_S8_S8_S8_S8_S8_EEEEPS9_S9_NSD_9__find_if7functorIS9_EEEE10hipError_tPvRmT1_T2_T3_mT4_P12ihipStream_tbEUlT_E0_NS1_11comp_targetILNS1_3genE4ELNS1_11target_archE910ELNS1_3gpuE8ELNS1_3repE0EEENS1_30default_config_static_selectorELNS0_4arch9wavefront6targetE0EEEvS14_, .Lfunc_end109-_ZN7rocprim17ROCPRIM_400000_NS6detail17trampoline_kernelINS0_14default_configENS1_22reduce_config_selectorIN6thrust23THRUST_200600_302600_NS5tupleIblNS6_9null_typeES8_S8_S8_S8_S8_S8_S8_EEEEZNS1_11reduce_implILb1ES3_NS6_12zip_iteratorINS7_INS6_11hip_rocprim26transform_input_iterator_tIbNSD_35transform_pair_of_input_iterators_tIbNS6_6detail15normal_iteratorINS6_10device_ptrIKyEEEESL_NS6_8equal_toIyEEEENSG_9not_fun_tINSD_8identityEEEEENSD_19counting_iterator_tIlEES8_S8_S8_S8_S8_S8_S8_S8_EEEEPS9_S9_NSD_9__find_if7functorIS9_EEEE10hipError_tPvRmT1_T2_T3_mT4_P12ihipStream_tbEUlT_E0_NS1_11comp_targetILNS1_3genE4ELNS1_11target_archE910ELNS1_3gpuE8ELNS1_3repE0EEENS1_30default_config_static_selectorELNS0_4arch9wavefront6targetE0EEEvS14_
                                        ; -- End function
	.set _ZN7rocprim17ROCPRIM_400000_NS6detail17trampoline_kernelINS0_14default_configENS1_22reduce_config_selectorIN6thrust23THRUST_200600_302600_NS5tupleIblNS6_9null_typeES8_S8_S8_S8_S8_S8_S8_EEEEZNS1_11reduce_implILb1ES3_NS6_12zip_iteratorINS7_INS6_11hip_rocprim26transform_input_iterator_tIbNSD_35transform_pair_of_input_iterators_tIbNS6_6detail15normal_iteratorINS6_10device_ptrIKyEEEESL_NS6_8equal_toIyEEEENSG_9not_fun_tINSD_8identityEEEEENSD_19counting_iterator_tIlEES8_S8_S8_S8_S8_S8_S8_S8_EEEEPS9_S9_NSD_9__find_if7functorIS9_EEEE10hipError_tPvRmT1_T2_T3_mT4_P12ihipStream_tbEUlT_E0_NS1_11comp_targetILNS1_3genE4ELNS1_11target_archE910ELNS1_3gpuE8ELNS1_3repE0EEENS1_30default_config_static_selectorELNS0_4arch9wavefront6targetE0EEEvS14_.num_vgpr, 0
	.set _ZN7rocprim17ROCPRIM_400000_NS6detail17trampoline_kernelINS0_14default_configENS1_22reduce_config_selectorIN6thrust23THRUST_200600_302600_NS5tupleIblNS6_9null_typeES8_S8_S8_S8_S8_S8_S8_EEEEZNS1_11reduce_implILb1ES3_NS6_12zip_iteratorINS7_INS6_11hip_rocprim26transform_input_iterator_tIbNSD_35transform_pair_of_input_iterators_tIbNS6_6detail15normal_iteratorINS6_10device_ptrIKyEEEESL_NS6_8equal_toIyEEEENSG_9not_fun_tINSD_8identityEEEEENSD_19counting_iterator_tIlEES8_S8_S8_S8_S8_S8_S8_S8_EEEEPS9_S9_NSD_9__find_if7functorIS9_EEEE10hipError_tPvRmT1_T2_T3_mT4_P12ihipStream_tbEUlT_E0_NS1_11comp_targetILNS1_3genE4ELNS1_11target_archE910ELNS1_3gpuE8ELNS1_3repE0EEENS1_30default_config_static_selectorELNS0_4arch9wavefront6targetE0EEEvS14_.num_agpr, 0
	.set _ZN7rocprim17ROCPRIM_400000_NS6detail17trampoline_kernelINS0_14default_configENS1_22reduce_config_selectorIN6thrust23THRUST_200600_302600_NS5tupleIblNS6_9null_typeES8_S8_S8_S8_S8_S8_S8_EEEEZNS1_11reduce_implILb1ES3_NS6_12zip_iteratorINS7_INS6_11hip_rocprim26transform_input_iterator_tIbNSD_35transform_pair_of_input_iterators_tIbNS6_6detail15normal_iteratorINS6_10device_ptrIKyEEEESL_NS6_8equal_toIyEEEENSG_9not_fun_tINSD_8identityEEEEENSD_19counting_iterator_tIlEES8_S8_S8_S8_S8_S8_S8_S8_EEEEPS9_S9_NSD_9__find_if7functorIS9_EEEE10hipError_tPvRmT1_T2_T3_mT4_P12ihipStream_tbEUlT_E0_NS1_11comp_targetILNS1_3genE4ELNS1_11target_archE910ELNS1_3gpuE8ELNS1_3repE0EEENS1_30default_config_static_selectorELNS0_4arch9wavefront6targetE0EEEvS14_.numbered_sgpr, 0
	.set _ZN7rocprim17ROCPRIM_400000_NS6detail17trampoline_kernelINS0_14default_configENS1_22reduce_config_selectorIN6thrust23THRUST_200600_302600_NS5tupleIblNS6_9null_typeES8_S8_S8_S8_S8_S8_S8_EEEEZNS1_11reduce_implILb1ES3_NS6_12zip_iteratorINS7_INS6_11hip_rocprim26transform_input_iterator_tIbNSD_35transform_pair_of_input_iterators_tIbNS6_6detail15normal_iteratorINS6_10device_ptrIKyEEEESL_NS6_8equal_toIyEEEENSG_9not_fun_tINSD_8identityEEEEENSD_19counting_iterator_tIlEES8_S8_S8_S8_S8_S8_S8_S8_EEEEPS9_S9_NSD_9__find_if7functorIS9_EEEE10hipError_tPvRmT1_T2_T3_mT4_P12ihipStream_tbEUlT_E0_NS1_11comp_targetILNS1_3genE4ELNS1_11target_archE910ELNS1_3gpuE8ELNS1_3repE0EEENS1_30default_config_static_selectorELNS0_4arch9wavefront6targetE0EEEvS14_.num_named_barrier, 0
	.set _ZN7rocprim17ROCPRIM_400000_NS6detail17trampoline_kernelINS0_14default_configENS1_22reduce_config_selectorIN6thrust23THRUST_200600_302600_NS5tupleIblNS6_9null_typeES8_S8_S8_S8_S8_S8_S8_EEEEZNS1_11reduce_implILb1ES3_NS6_12zip_iteratorINS7_INS6_11hip_rocprim26transform_input_iterator_tIbNSD_35transform_pair_of_input_iterators_tIbNS6_6detail15normal_iteratorINS6_10device_ptrIKyEEEESL_NS6_8equal_toIyEEEENSG_9not_fun_tINSD_8identityEEEEENSD_19counting_iterator_tIlEES8_S8_S8_S8_S8_S8_S8_S8_EEEEPS9_S9_NSD_9__find_if7functorIS9_EEEE10hipError_tPvRmT1_T2_T3_mT4_P12ihipStream_tbEUlT_E0_NS1_11comp_targetILNS1_3genE4ELNS1_11target_archE910ELNS1_3gpuE8ELNS1_3repE0EEENS1_30default_config_static_selectorELNS0_4arch9wavefront6targetE0EEEvS14_.private_seg_size, 0
	.set _ZN7rocprim17ROCPRIM_400000_NS6detail17trampoline_kernelINS0_14default_configENS1_22reduce_config_selectorIN6thrust23THRUST_200600_302600_NS5tupleIblNS6_9null_typeES8_S8_S8_S8_S8_S8_S8_EEEEZNS1_11reduce_implILb1ES3_NS6_12zip_iteratorINS7_INS6_11hip_rocprim26transform_input_iterator_tIbNSD_35transform_pair_of_input_iterators_tIbNS6_6detail15normal_iteratorINS6_10device_ptrIKyEEEESL_NS6_8equal_toIyEEEENSG_9not_fun_tINSD_8identityEEEEENSD_19counting_iterator_tIlEES8_S8_S8_S8_S8_S8_S8_S8_EEEEPS9_S9_NSD_9__find_if7functorIS9_EEEE10hipError_tPvRmT1_T2_T3_mT4_P12ihipStream_tbEUlT_E0_NS1_11comp_targetILNS1_3genE4ELNS1_11target_archE910ELNS1_3gpuE8ELNS1_3repE0EEENS1_30default_config_static_selectorELNS0_4arch9wavefront6targetE0EEEvS14_.uses_vcc, 0
	.set _ZN7rocprim17ROCPRIM_400000_NS6detail17trampoline_kernelINS0_14default_configENS1_22reduce_config_selectorIN6thrust23THRUST_200600_302600_NS5tupleIblNS6_9null_typeES8_S8_S8_S8_S8_S8_S8_EEEEZNS1_11reduce_implILb1ES3_NS6_12zip_iteratorINS7_INS6_11hip_rocprim26transform_input_iterator_tIbNSD_35transform_pair_of_input_iterators_tIbNS6_6detail15normal_iteratorINS6_10device_ptrIKyEEEESL_NS6_8equal_toIyEEEENSG_9not_fun_tINSD_8identityEEEEENSD_19counting_iterator_tIlEES8_S8_S8_S8_S8_S8_S8_S8_EEEEPS9_S9_NSD_9__find_if7functorIS9_EEEE10hipError_tPvRmT1_T2_T3_mT4_P12ihipStream_tbEUlT_E0_NS1_11comp_targetILNS1_3genE4ELNS1_11target_archE910ELNS1_3gpuE8ELNS1_3repE0EEENS1_30default_config_static_selectorELNS0_4arch9wavefront6targetE0EEEvS14_.uses_flat_scratch, 0
	.set _ZN7rocprim17ROCPRIM_400000_NS6detail17trampoline_kernelINS0_14default_configENS1_22reduce_config_selectorIN6thrust23THRUST_200600_302600_NS5tupleIblNS6_9null_typeES8_S8_S8_S8_S8_S8_S8_EEEEZNS1_11reduce_implILb1ES3_NS6_12zip_iteratorINS7_INS6_11hip_rocprim26transform_input_iterator_tIbNSD_35transform_pair_of_input_iterators_tIbNS6_6detail15normal_iteratorINS6_10device_ptrIKyEEEESL_NS6_8equal_toIyEEEENSG_9not_fun_tINSD_8identityEEEEENSD_19counting_iterator_tIlEES8_S8_S8_S8_S8_S8_S8_S8_EEEEPS9_S9_NSD_9__find_if7functorIS9_EEEE10hipError_tPvRmT1_T2_T3_mT4_P12ihipStream_tbEUlT_E0_NS1_11comp_targetILNS1_3genE4ELNS1_11target_archE910ELNS1_3gpuE8ELNS1_3repE0EEENS1_30default_config_static_selectorELNS0_4arch9wavefront6targetE0EEEvS14_.has_dyn_sized_stack, 0
	.set _ZN7rocprim17ROCPRIM_400000_NS6detail17trampoline_kernelINS0_14default_configENS1_22reduce_config_selectorIN6thrust23THRUST_200600_302600_NS5tupleIblNS6_9null_typeES8_S8_S8_S8_S8_S8_S8_EEEEZNS1_11reduce_implILb1ES3_NS6_12zip_iteratorINS7_INS6_11hip_rocprim26transform_input_iterator_tIbNSD_35transform_pair_of_input_iterators_tIbNS6_6detail15normal_iteratorINS6_10device_ptrIKyEEEESL_NS6_8equal_toIyEEEENSG_9not_fun_tINSD_8identityEEEEENSD_19counting_iterator_tIlEES8_S8_S8_S8_S8_S8_S8_S8_EEEEPS9_S9_NSD_9__find_if7functorIS9_EEEE10hipError_tPvRmT1_T2_T3_mT4_P12ihipStream_tbEUlT_E0_NS1_11comp_targetILNS1_3genE4ELNS1_11target_archE910ELNS1_3gpuE8ELNS1_3repE0EEENS1_30default_config_static_selectorELNS0_4arch9wavefront6targetE0EEEvS14_.has_recursion, 0
	.set _ZN7rocprim17ROCPRIM_400000_NS6detail17trampoline_kernelINS0_14default_configENS1_22reduce_config_selectorIN6thrust23THRUST_200600_302600_NS5tupleIblNS6_9null_typeES8_S8_S8_S8_S8_S8_S8_EEEEZNS1_11reduce_implILb1ES3_NS6_12zip_iteratorINS7_INS6_11hip_rocprim26transform_input_iterator_tIbNSD_35transform_pair_of_input_iterators_tIbNS6_6detail15normal_iteratorINS6_10device_ptrIKyEEEESL_NS6_8equal_toIyEEEENSG_9not_fun_tINSD_8identityEEEEENSD_19counting_iterator_tIlEES8_S8_S8_S8_S8_S8_S8_S8_EEEEPS9_S9_NSD_9__find_if7functorIS9_EEEE10hipError_tPvRmT1_T2_T3_mT4_P12ihipStream_tbEUlT_E0_NS1_11comp_targetILNS1_3genE4ELNS1_11target_archE910ELNS1_3gpuE8ELNS1_3repE0EEENS1_30default_config_static_selectorELNS0_4arch9wavefront6targetE0EEEvS14_.has_indirect_call, 0
	.section	.AMDGPU.csdata,"",@progbits
; Kernel info:
; codeLenInByte = 0
; TotalNumSgprs: 0
; NumVgprs: 0
; ScratchSize: 0
; MemoryBound: 0
; FloatMode: 240
; IeeeMode: 1
; LDSByteSize: 0 bytes/workgroup (compile time only)
; SGPRBlocks: 0
; VGPRBlocks: 0
; NumSGPRsForWavesPerEU: 1
; NumVGPRsForWavesPerEU: 1
; Occupancy: 16
; WaveLimiterHint : 0
; COMPUTE_PGM_RSRC2:SCRATCH_EN: 0
; COMPUTE_PGM_RSRC2:USER_SGPR: 6
; COMPUTE_PGM_RSRC2:TRAP_HANDLER: 0
; COMPUTE_PGM_RSRC2:TGID_X_EN: 1
; COMPUTE_PGM_RSRC2:TGID_Y_EN: 0
; COMPUTE_PGM_RSRC2:TGID_Z_EN: 0
; COMPUTE_PGM_RSRC2:TIDIG_COMP_CNT: 0
	.section	.text._ZN7rocprim17ROCPRIM_400000_NS6detail17trampoline_kernelINS0_14default_configENS1_22reduce_config_selectorIN6thrust23THRUST_200600_302600_NS5tupleIblNS6_9null_typeES8_S8_S8_S8_S8_S8_S8_EEEEZNS1_11reduce_implILb1ES3_NS6_12zip_iteratorINS7_INS6_11hip_rocprim26transform_input_iterator_tIbNSD_35transform_pair_of_input_iterators_tIbNS6_6detail15normal_iteratorINS6_10device_ptrIKyEEEESL_NS6_8equal_toIyEEEENSG_9not_fun_tINSD_8identityEEEEENSD_19counting_iterator_tIlEES8_S8_S8_S8_S8_S8_S8_S8_EEEEPS9_S9_NSD_9__find_if7functorIS9_EEEE10hipError_tPvRmT1_T2_T3_mT4_P12ihipStream_tbEUlT_E0_NS1_11comp_targetILNS1_3genE3ELNS1_11target_archE908ELNS1_3gpuE7ELNS1_3repE0EEENS1_30default_config_static_selectorELNS0_4arch9wavefront6targetE0EEEvS14_,"axG",@progbits,_ZN7rocprim17ROCPRIM_400000_NS6detail17trampoline_kernelINS0_14default_configENS1_22reduce_config_selectorIN6thrust23THRUST_200600_302600_NS5tupleIblNS6_9null_typeES8_S8_S8_S8_S8_S8_S8_EEEEZNS1_11reduce_implILb1ES3_NS6_12zip_iteratorINS7_INS6_11hip_rocprim26transform_input_iterator_tIbNSD_35transform_pair_of_input_iterators_tIbNS6_6detail15normal_iteratorINS6_10device_ptrIKyEEEESL_NS6_8equal_toIyEEEENSG_9not_fun_tINSD_8identityEEEEENSD_19counting_iterator_tIlEES8_S8_S8_S8_S8_S8_S8_S8_EEEEPS9_S9_NSD_9__find_if7functorIS9_EEEE10hipError_tPvRmT1_T2_T3_mT4_P12ihipStream_tbEUlT_E0_NS1_11comp_targetILNS1_3genE3ELNS1_11target_archE908ELNS1_3gpuE7ELNS1_3repE0EEENS1_30default_config_static_selectorELNS0_4arch9wavefront6targetE0EEEvS14_,comdat
	.protected	_ZN7rocprim17ROCPRIM_400000_NS6detail17trampoline_kernelINS0_14default_configENS1_22reduce_config_selectorIN6thrust23THRUST_200600_302600_NS5tupleIblNS6_9null_typeES8_S8_S8_S8_S8_S8_S8_EEEEZNS1_11reduce_implILb1ES3_NS6_12zip_iteratorINS7_INS6_11hip_rocprim26transform_input_iterator_tIbNSD_35transform_pair_of_input_iterators_tIbNS6_6detail15normal_iteratorINS6_10device_ptrIKyEEEESL_NS6_8equal_toIyEEEENSG_9not_fun_tINSD_8identityEEEEENSD_19counting_iterator_tIlEES8_S8_S8_S8_S8_S8_S8_S8_EEEEPS9_S9_NSD_9__find_if7functorIS9_EEEE10hipError_tPvRmT1_T2_T3_mT4_P12ihipStream_tbEUlT_E0_NS1_11comp_targetILNS1_3genE3ELNS1_11target_archE908ELNS1_3gpuE7ELNS1_3repE0EEENS1_30default_config_static_selectorELNS0_4arch9wavefront6targetE0EEEvS14_ ; -- Begin function _ZN7rocprim17ROCPRIM_400000_NS6detail17trampoline_kernelINS0_14default_configENS1_22reduce_config_selectorIN6thrust23THRUST_200600_302600_NS5tupleIblNS6_9null_typeES8_S8_S8_S8_S8_S8_S8_EEEEZNS1_11reduce_implILb1ES3_NS6_12zip_iteratorINS7_INS6_11hip_rocprim26transform_input_iterator_tIbNSD_35transform_pair_of_input_iterators_tIbNS6_6detail15normal_iteratorINS6_10device_ptrIKyEEEESL_NS6_8equal_toIyEEEENSG_9not_fun_tINSD_8identityEEEEENSD_19counting_iterator_tIlEES8_S8_S8_S8_S8_S8_S8_S8_EEEEPS9_S9_NSD_9__find_if7functorIS9_EEEE10hipError_tPvRmT1_T2_T3_mT4_P12ihipStream_tbEUlT_E0_NS1_11comp_targetILNS1_3genE3ELNS1_11target_archE908ELNS1_3gpuE7ELNS1_3repE0EEENS1_30default_config_static_selectorELNS0_4arch9wavefront6targetE0EEEvS14_
	.globl	_ZN7rocprim17ROCPRIM_400000_NS6detail17trampoline_kernelINS0_14default_configENS1_22reduce_config_selectorIN6thrust23THRUST_200600_302600_NS5tupleIblNS6_9null_typeES8_S8_S8_S8_S8_S8_S8_EEEEZNS1_11reduce_implILb1ES3_NS6_12zip_iteratorINS7_INS6_11hip_rocprim26transform_input_iterator_tIbNSD_35transform_pair_of_input_iterators_tIbNS6_6detail15normal_iteratorINS6_10device_ptrIKyEEEESL_NS6_8equal_toIyEEEENSG_9not_fun_tINSD_8identityEEEEENSD_19counting_iterator_tIlEES8_S8_S8_S8_S8_S8_S8_S8_EEEEPS9_S9_NSD_9__find_if7functorIS9_EEEE10hipError_tPvRmT1_T2_T3_mT4_P12ihipStream_tbEUlT_E0_NS1_11comp_targetILNS1_3genE3ELNS1_11target_archE908ELNS1_3gpuE7ELNS1_3repE0EEENS1_30default_config_static_selectorELNS0_4arch9wavefront6targetE0EEEvS14_
	.p2align	8
	.type	_ZN7rocprim17ROCPRIM_400000_NS6detail17trampoline_kernelINS0_14default_configENS1_22reduce_config_selectorIN6thrust23THRUST_200600_302600_NS5tupleIblNS6_9null_typeES8_S8_S8_S8_S8_S8_S8_EEEEZNS1_11reduce_implILb1ES3_NS6_12zip_iteratorINS7_INS6_11hip_rocprim26transform_input_iterator_tIbNSD_35transform_pair_of_input_iterators_tIbNS6_6detail15normal_iteratorINS6_10device_ptrIKyEEEESL_NS6_8equal_toIyEEEENSG_9not_fun_tINSD_8identityEEEEENSD_19counting_iterator_tIlEES8_S8_S8_S8_S8_S8_S8_S8_EEEEPS9_S9_NSD_9__find_if7functorIS9_EEEE10hipError_tPvRmT1_T2_T3_mT4_P12ihipStream_tbEUlT_E0_NS1_11comp_targetILNS1_3genE3ELNS1_11target_archE908ELNS1_3gpuE7ELNS1_3repE0EEENS1_30default_config_static_selectorELNS0_4arch9wavefront6targetE0EEEvS14_,@function
_ZN7rocprim17ROCPRIM_400000_NS6detail17trampoline_kernelINS0_14default_configENS1_22reduce_config_selectorIN6thrust23THRUST_200600_302600_NS5tupleIblNS6_9null_typeES8_S8_S8_S8_S8_S8_S8_EEEEZNS1_11reduce_implILb1ES3_NS6_12zip_iteratorINS7_INS6_11hip_rocprim26transform_input_iterator_tIbNSD_35transform_pair_of_input_iterators_tIbNS6_6detail15normal_iteratorINS6_10device_ptrIKyEEEESL_NS6_8equal_toIyEEEENSG_9not_fun_tINSD_8identityEEEEENSD_19counting_iterator_tIlEES8_S8_S8_S8_S8_S8_S8_S8_EEEEPS9_S9_NSD_9__find_if7functorIS9_EEEE10hipError_tPvRmT1_T2_T3_mT4_P12ihipStream_tbEUlT_E0_NS1_11comp_targetILNS1_3genE3ELNS1_11target_archE908ELNS1_3gpuE7ELNS1_3repE0EEENS1_30default_config_static_selectorELNS0_4arch9wavefront6targetE0EEEvS14_: ; @_ZN7rocprim17ROCPRIM_400000_NS6detail17trampoline_kernelINS0_14default_configENS1_22reduce_config_selectorIN6thrust23THRUST_200600_302600_NS5tupleIblNS6_9null_typeES8_S8_S8_S8_S8_S8_S8_EEEEZNS1_11reduce_implILb1ES3_NS6_12zip_iteratorINS7_INS6_11hip_rocprim26transform_input_iterator_tIbNSD_35transform_pair_of_input_iterators_tIbNS6_6detail15normal_iteratorINS6_10device_ptrIKyEEEESL_NS6_8equal_toIyEEEENSG_9not_fun_tINSD_8identityEEEEENSD_19counting_iterator_tIlEES8_S8_S8_S8_S8_S8_S8_S8_EEEEPS9_S9_NSD_9__find_if7functorIS9_EEEE10hipError_tPvRmT1_T2_T3_mT4_P12ihipStream_tbEUlT_E0_NS1_11comp_targetILNS1_3genE3ELNS1_11target_archE908ELNS1_3gpuE7ELNS1_3repE0EEENS1_30default_config_static_selectorELNS0_4arch9wavefront6targetE0EEEvS14_
; %bb.0:
	.section	.rodata,"a",@progbits
	.p2align	6, 0x0
	.amdhsa_kernel _ZN7rocprim17ROCPRIM_400000_NS6detail17trampoline_kernelINS0_14default_configENS1_22reduce_config_selectorIN6thrust23THRUST_200600_302600_NS5tupleIblNS6_9null_typeES8_S8_S8_S8_S8_S8_S8_EEEEZNS1_11reduce_implILb1ES3_NS6_12zip_iteratorINS7_INS6_11hip_rocprim26transform_input_iterator_tIbNSD_35transform_pair_of_input_iterators_tIbNS6_6detail15normal_iteratorINS6_10device_ptrIKyEEEESL_NS6_8equal_toIyEEEENSG_9not_fun_tINSD_8identityEEEEENSD_19counting_iterator_tIlEES8_S8_S8_S8_S8_S8_S8_S8_EEEEPS9_S9_NSD_9__find_if7functorIS9_EEEE10hipError_tPvRmT1_T2_T3_mT4_P12ihipStream_tbEUlT_E0_NS1_11comp_targetILNS1_3genE3ELNS1_11target_archE908ELNS1_3gpuE7ELNS1_3repE0EEENS1_30default_config_static_selectorELNS0_4arch9wavefront6targetE0EEEvS14_
		.amdhsa_group_segment_fixed_size 0
		.amdhsa_private_segment_fixed_size 0
		.amdhsa_kernarg_size 104
		.amdhsa_user_sgpr_count 6
		.amdhsa_user_sgpr_private_segment_buffer 1
		.amdhsa_user_sgpr_dispatch_ptr 0
		.amdhsa_user_sgpr_queue_ptr 0
		.amdhsa_user_sgpr_kernarg_segment_ptr 1
		.amdhsa_user_sgpr_dispatch_id 0
		.amdhsa_user_sgpr_flat_scratch_init 0
		.amdhsa_user_sgpr_private_segment_size 0
		.amdhsa_wavefront_size32 1
		.amdhsa_uses_dynamic_stack 0
		.amdhsa_system_sgpr_private_segment_wavefront_offset 0
		.amdhsa_system_sgpr_workgroup_id_x 1
		.amdhsa_system_sgpr_workgroup_id_y 0
		.amdhsa_system_sgpr_workgroup_id_z 0
		.amdhsa_system_sgpr_workgroup_info 0
		.amdhsa_system_vgpr_workitem_id 0
		.amdhsa_next_free_vgpr 1
		.amdhsa_next_free_sgpr 1
		.amdhsa_reserve_vcc 0
		.amdhsa_reserve_flat_scratch 0
		.amdhsa_float_round_mode_32 0
		.amdhsa_float_round_mode_16_64 0
		.amdhsa_float_denorm_mode_32 3
		.amdhsa_float_denorm_mode_16_64 3
		.amdhsa_dx10_clamp 1
		.amdhsa_ieee_mode 1
		.amdhsa_fp16_overflow 0
		.amdhsa_workgroup_processor_mode 1
		.amdhsa_memory_ordered 1
		.amdhsa_forward_progress 1
		.amdhsa_shared_vgpr_count 0
		.amdhsa_exception_fp_ieee_invalid_op 0
		.amdhsa_exception_fp_denorm_src 0
		.amdhsa_exception_fp_ieee_div_zero 0
		.amdhsa_exception_fp_ieee_overflow 0
		.amdhsa_exception_fp_ieee_underflow 0
		.amdhsa_exception_fp_ieee_inexact 0
		.amdhsa_exception_int_div_zero 0
	.end_amdhsa_kernel
	.section	.text._ZN7rocprim17ROCPRIM_400000_NS6detail17trampoline_kernelINS0_14default_configENS1_22reduce_config_selectorIN6thrust23THRUST_200600_302600_NS5tupleIblNS6_9null_typeES8_S8_S8_S8_S8_S8_S8_EEEEZNS1_11reduce_implILb1ES3_NS6_12zip_iteratorINS7_INS6_11hip_rocprim26transform_input_iterator_tIbNSD_35transform_pair_of_input_iterators_tIbNS6_6detail15normal_iteratorINS6_10device_ptrIKyEEEESL_NS6_8equal_toIyEEEENSG_9not_fun_tINSD_8identityEEEEENSD_19counting_iterator_tIlEES8_S8_S8_S8_S8_S8_S8_S8_EEEEPS9_S9_NSD_9__find_if7functorIS9_EEEE10hipError_tPvRmT1_T2_T3_mT4_P12ihipStream_tbEUlT_E0_NS1_11comp_targetILNS1_3genE3ELNS1_11target_archE908ELNS1_3gpuE7ELNS1_3repE0EEENS1_30default_config_static_selectorELNS0_4arch9wavefront6targetE0EEEvS14_,"axG",@progbits,_ZN7rocprim17ROCPRIM_400000_NS6detail17trampoline_kernelINS0_14default_configENS1_22reduce_config_selectorIN6thrust23THRUST_200600_302600_NS5tupleIblNS6_9null_typeES8_S8_S8_S8_S8_S8_S8_EEEEZNS1_11reduce_implILb1ES3_NS6_12zip_iteratorINS7_INS6_11hip_rocprim26transform_input_iterator_tIbNSD_35transform_pair_of_input_iterators_tIbNS6_6detail15normal_iteratorINS6_10device_ptrIKyEEEESL_NS6_8equal_toIyEEEENSG_9not_fun_tINSD_8identityEEEEENSD_19counting_iterator_tIlEES8_S8_S8_S8_S8_S8_S8_S8_EEEEPS9_S9_NSD_9__find_if7functorIS9_EEEE10hipError_tPvRmT1_T2_T3_mT4_P12ihipStream_tbEUlT_E0_NS1_11comp_targetILNS1_3genE3ELNS1_11target_archE908ELNS1_3gpuE7ELNS1_3repE0EEENS1_30default_config_static_selectorELNS0_4arch9wavefront6targetE0EEEvS14_,comdat
.Lfunc_end110:
	.size	_ZN7rocprim17ROCPRIM_400000_NS6detail17trampoline_kernelINS0_14default_configENS1_22reduce_config_selectorIN6thrust23THRUST_200600_302600_NS5tupleIblNS6_9null_typeES8_S8_S8_S8_S8_S8_S8_EEEEZNS1_11reduce_implILb1ES3_NS6_12zip_iteratorINS7_INS6_11hip_rocprim26transform_input_iterator_tIbNSD_35transform_pair_of_input_iterators_tIbNS6_6detail15normal_iteratorINS6_10device_ptrIKyEEEESL_NS6_8equal_toIyEEEENSG_9not_fun_tINSD_8identityEEEEENSD_19counting_iterator_tIlEES8_S8_S8_S8_S8_S8_S8_S8_EEEEPS9_S9_NSD_9__find_if7functorIS9_EEEE10hipError_tPvRmT1_T2_T3_mT4_P12ihipStream_tbEUlT_E0_NS1_11comp_targetILNS1_3genE3ELNS1_11target_archE908ELNS1_3gpuE7ELNS1_3repE0EEENS1_30default_config_static_selectorELNS0_4arch9wavefront6targetE0EEEvS14_, .Lfunc_end110-_ZN7rocprim17ROCPRIM_400000_NS6detail17trampoline_kernelINS0_14default_configENS1_22reduce_config_selectorIN6thrust23THRUST_200600_302600_NS5tupleIblNS6_9null_typeES8_S8_S8_S8_S8_S8_S8_EEEEZNS1_11reduce_implILb1ES3_NS6_12zip_iteratorINS7_INS6_11hip_rocprim26transform_input_iterator_tIbNSD_35transform_pair_of_input_iterators_tIbNS6_6detail15normal_iteratorINS6_10device_ptrIKyEEEESL_NS6_8equal_toIyEEEENSG_9not_fun_tINSD_8identityEEEEENSD_19counting_iterator_tIlEES8_S8_S8_S8_S8_S8_S8_S8_EEEEPS9_S9_NSD_9__find_if7functorIS9_EEEE10hipError_tPvRmT1_T2_T3_mT4_P12ihipStream_tbEUlT_E0_NS1_11comp_targetILNS1_3genE3ELNS1_11target_archE908ELNS1_3gpuE7ELNS1_3repE0EEENS1_30default_config_static_selectorELNS0_4arch9wavefront6targetE0EEEvS14_
                                        ; -- End function
	.set _ZN7rocprim17ROCPRIM_400000_NS6detail17trampoline_kernelINS0_14default_configENS1_22reduce_config_selectorIN6thrust23THRUST_200600_302600_NS5tupleIblNS6_9null_typeES8_S8_S8_S8_S8_S8_S8_EEEEZNS1_11reduce_implILb1ES3_NS6_12zip_iteratorINS7_INS6_11hip_rocprim26transform_input_iterator_tIbNSD_35transform_pair_of_input_iterators_tIbNS6_6detail15normal_iteratorINS6_10device_ptrIKyEEEESL_NS6_8equal_toIyEEEENSG_9not_fun_tINSD_8identityEEEEENSD_19counting_iterator_tIlEES8_S8_S8_S8_S8_S8_S8_S8_EEEEPS9_S9_NSD_9__find_if7functorIS9_EEEE10hipError_tPvRmT1_T2_T3_mT4_P12ihipStream_tbEUlT_E0_NS1_11comp_targetILNS1_3genE3ELNS1_11target_archE908ELNS1_3gpuE7ELNS1_3repE0EEENS1_30default_config_static_selectorELNS0_4arch9wavefront6targetE0EEEvS14_.num_vgpr, 0
	.set _ZN7rocprim17ROCPRIM_400000_NS6detail17trampoline_kernelINS0_14default_configENS1_22reduce_config_selectorIN6thrust23THRUST_200600_302600_NS5tupleIblNS6_9null_typeES8_S8_S8_S8_S8_S8_S8_EEEEZNS1_11reduce_implILb1ES3_NS6_12zip_iteratorINS7_INS6_11hip_rocprim26transform_input_iterator_tIbNSD_35transform_pair_of_input_iterators_tIbNS6_6detail15normal_iteratorINS6_10device_ptrIKyEEEESL_NS6_8equal_toIyEEEENSG_9not_fun_tINSD_8identityEEEEENSD_19counting_iterator_tIlEES8_S8_S8_S8_S8_S8_S8_S8_EEEEPS9_S9_NSD_9__find_if7functorIS9_EEEE10hipError_tPvRmT1_T2_T3_mT4_P12ihipStream_tbEUlT_E0_NS1_11comp_targetILNS1_3genE3ELNS1_11target_archE908ELNS1_3gpuE7ELNS1_3repE0EEENS1_30default_config_static_selectorELNS0_4arch9wavefront6targetE0EEEvS14_.num_agpr, 0
	.set _ZN7rocprim17ROCPRIM_400000_NS6detail17trampoline_kernelINS0_14default_configENS1_22reduce_config_selectorIN6thrust23THRUST_200600_302600_NS5tupleIblNS6_9null_typeES8_S8_S8_S8_S8_S8_S8_EEEEZNS1_11reduce_implILb1ES3_NS6_12zip_iteratorINS7_INS6_11hip_rocprim26transform_input_iterator_tIbNSD_35transform_pair_of_input_iterators_tIbNS6_6detail15normal_iteratorINS6_10device_ptrIKyEEEESL_NS6_8equal_toIyEEEENSG_9not_fun_tINSD_8identityEEEEENSD_19counting_iterator_tIlEES8_S8_S8_S8_S8_S8_S8_S8_EEEEPS9_S9_NSD_9__find_if7functorIS9_EEEE10hipError_tPvRmT1_T2_T3_mT4_P12ihipStream_tbEUlT_E0_NS1_11comp_targetILNS1_3genE3ELNS1_11target_archE908ELNS1_3gpuE7ELNS1_3repE0EEENS1_30default_config_static_selectorELNS0_4arch9wavefront6targetE0EEEvS14_.numbered_sgpr, 0
	.set _ZN7rocprim17ROCPRIM_400000_NS6detail17trampoline_kernelINS0_14default_configENS1_22reduce_config_selectorIN6thrust23THRUST_200600_302600_NS5tupleIblNS6_9null_typeES8_S8_S8_S8_S8_S8_S8_EEEEZNS1_11reduce_implILb1ES3_NS6_12zip_iteratorINS7_INS6_11hip_rocprim26transform_input_iterator_tIbNSD_35transform_pair_of_input_iterators_tIbNS6_6detail15normal_iteratorINS6_10device_ptrIKyEEEESL_NS6_8equal_toIyEEEENSG_9not_fun_tINSD_8identityEEEEENSD_19counting_iterator_tIlEES8_S8_S8_S8_S8_S8_S8_S8_EEEEPS9_S9_NSD_9__find_if7functorIS9_EEEE10hipError_tPvRmT1_T2_T3_mT4_P12ihipStream_tbEUlT_E0_NS1_11comp_targetILNS1_3genE3ELNS1_11target_archE908ELNS1_3gpuE7ELNS1_3repE0EEENS1_30default_config_static_selectorELNS0_4arch9wavefront6targetE0EEEvS14_.num_named_barrier, 0
	.set _ZN7rocprim17ROCPRIM_400000_NS6detail17trampoline_kernelINS0_14default_configENS1_22reduce_config_selectorIN6thrust23THRUST_200600_302600_NS5tupleIblNS6_9null_typeES8_S8_S8_S8_S8_S8_S8_EEEEZNS1_11reduce_implILb1ES3_NS6_12zip_iteratorINS7_INS6_11hip_rocprim26transform_input_iterator_tIbNSD_35transform_pair_of_input_iterators_tIbNS6_6detail15normal_iteratorINS6_10device_ptrIKyEEEESL_NS6_8equal_toIyEEEENSG_9not_fun_tINSD_8identityEEEEENSD_19counting_iterator_tIlEES8_S8_S8_S8_S8_S8_S8_S8_EEEEPS9_S9_NSD_9__find_if7functorIS9_EEEE10hipError_tPvRmT1_T2_T3_mT4_P12ihipStream_tbEUlT_E0_NS1_11comp_targetILNS1_3genE3ELNS1_11target_archE908ELNS1_3gpuE7ELNS1_3repE0EEENS1_30default_config_static_selectorELNS0_4arch9wavefront6targetE0EEEvS14_.private_seg_size, 0
	.set _ZN7rocprim17ROCPRIM_400000_NS6detail17trampoline_kernelINS0_14default_configENS1_22reduce_config_selectorIN6thrust23THRUST_200600_302600_NS5tupleIblNS6_9null_typeES8_S8_S8_S8_S8_S8_S8_EEEEZNS1_11reduce_implILb1ES3_NS6_12zip_iteratorINS7_INS6_11hip_rocprim26transform_input_iterator_tIbNSD_35transform_pair_of_input_iterators_tIbNS6_6detail15normal_iteratorINS6_10device_ptrIKyEEEESL_NS6_8equal_toIyEEEENSG_9not_fun_tINSD_8identityEEEEENSD_19counting_iterator_tIlEES8_S8_S8_S8_S8_S8_S8_S8_EEEEPS9_S9_NSD_9__find_if7functorIS9_EEEE10hipError_tPvRmT1_T2_T3_mT4_P12ihipStream_tbEUlT_E0_NS1_11comp_targetILNS1_3genE3ELNS1_11target_archE908ELNS1_3gpuE7ELNS1_3repE0EEENS1_30default_config_static_selectorELNS0_4arch9wavefront6targetE0EEEvS14_.uses_vcc, 0
	.set _ZN7rocprim17ROCPRIM_400000_NS6detail17trampoline_kernelINS0_14default_configENS1_22reduce_config_selectorIN6thrust23THRUST_200600_302600_NS5tupleIblNS6_9null_typeES8_S8_S8_S8_S8_S8_S8_EEEEZNS1_11reduce_implILb1ES3_NS6_12zip_iteratorINS7_INS6_11hip_rocprim26transform_input_iterator_tIbNSD_35transform_pair_of_input_iterators_tIbNS6_6detail15normal_iteratorINS6_10device_ptrIKyEEEESL_NS6_8equal_toIyEEEENSG_9not_fun_tINSD_8identityEEEEENSD_19counting_iterator_tIlEES8_S8_S8_S8_S8_S8_S8_S8_EEEEPS9_S9_NSD_9__find_if7functorIS9_EEEE10hipError_tPvRmT1_T2_T3_mT4_P12ihipStream_tbEUlT_E0_NS1_11comp_targetILNS1_3genE3ELNS1_11target_archE908ELNS1_3gpuE7ELNS1_3repE0EEENS1_30default_config_static_selectorELNS0_4arch9wavefront6targetE0EEEvS14_.uses_flat_scratch, 0
	.set _ZN7rocprim17ROCPRIM_400000_NS6detail17trampoline_kernelINS0_14default_configENS1_22reduce_config_selectorIN6thrust23THRUST_200600_302600_NS5tupleIblNS6_9null_typeES8_S8_S8_S8_S8_S8_S8_EEEEZNS1_11reduce_implILb1ES3_NS6_12zip_iteratorINS7_INS6_11hip_rocprim26transform_input_iterator_tIbNSD_35transform_pair_of_input_iterators_tIbNS6_6detail15normal_iteratorINS6_10device_ptrIKyEEEESL_NS6_8equal_toIyEEEENSG_9not_fun_tINSD_8identityEEEEENSD_19counting_iterator_tIlEES8_S8_S8_S8_S8_S8_S8_S8_EEEEPS9_S9_NSD_9__find_if7functorIS9_EEEE10hipError_tPvRmT1_T2_T3_mT4_P12ihipStream_tbEUlT_E0_NS1_11comp_targetILNS1_3genE3ELNS1_11target_archE908ELNS1_3gpuE7ELNS1_3repE0EEENS1_30default_config_static_selectorELNS0_4arch9wavefront6targetE0EEEvS14_.has_dyn_sized_stack, 0
	.set _ZN7rocprim17ROCPRIM_400000_NS6detail17trampoline_kernelINS0_14default_configENS1_22reduce_config_selectorIN6thrust23THRUST_200600_302600_NS5tupleIblNS6_9null_typeES8_S8_S8_S8_S8_S8_S8_EEEEZNS1_11reduce_implILb1ES3_NS6_12zip_iteratorINS7_INS6_11hip_rocprim26transform_input_iterator_tIbNSD_35transform_pair_of_input_iterators_tIbNS6_6detail15normal_iteratorINS6_10device_ptrIKyEEEESL_NS6_8equal_toIyEEEENSG_9not_fun_tINSD_8identityEEEEENSD_19counting_iterator_tIlEES8_S8_S8_S8_S8_S8_S8_S8_EEEEPS9_S9_NSD_9__find_if7functorIS9_EEEE10hipError_tPvRmT1_T2_T3_mT4_P12ihipStream_tbEUlT_E0_NS1_11comp_targetILNS1_3genE3ELNS1_11target_archE908ELNS1_3gpuE7ELNS1_3repE0EEENS1_30default_config_static_selectorELNS0_4arch9wavefront6targetE0EEEvS14_.has_recursion, 0
	.set _ZN7rocprim17ROCPRIM_400000_NS6detail17trampoline_kernelINS0_14default_configENS1_22reduce_config_selectorIN6thrust23THRUST_200600_302600_NS5tupleIblNS6_9null_typeES8_S8_S8_S8_S8_S8_S8_EEEEZNS1_11reduce_implILb1ES3_NS6_12zip_iteratorINS7_INS6_11hip_rocprim26transform_input_iterator_tIbNSD_35transform_pair_of_input_iterators_tIbNS6_6detail15normal_iteratorINS6_10device_ptrIKyEEEESL_NS6_8equal_toIyEEEENSG_9not_fun_tINSD_8identityEEEEENSD_19counting_iterator_tIlEES8_S8_S8_S8_S8_S8_S8_S8_EEEEPS9_S9_NSD_9__find_if7functorIS9_EEEE10hipError_tPvRmT1_T2_T3_mT4_P12ihipStream_tbEUlT_E0_NS1_11comp_targetILNS1_3genE3ELNS1_11target_archE908ELNS1_3gpuE7ELNS1_3repE0EEENS1_30default_config_static_selectorELNS0_4arch9wavefront6targetE0EEEvS14_.has_indirect_call, 0
	.section	.AMDGPU.csdata,"",@progbits
; Kernel info:
; codeLenInByte = 0
; TotalNumSgprs: 0
; NumVgprs: 0
; ScratchSize: 0
; MemoryBound: 0
; FloatMode: 240
; IeeeMode: 1
; LDSByteSize: 0 bytes/workgroup (compile time only)
; SGPRBlocks: 0
; VGPRBlocks: 0
; NumSGPRsForWavesPerEU: 1
; NumVGPRsForWavesPerEU: 1
; Occupancy: 16
; WaveLimiterHint : 0
; COMPUTE_PGM_RSRC2:SCRATCH_EN: 0
; COMPUTE_PGM_RSRC2:USER_SGPR: 6
; COMPUTE_PGM_RSRC2:TRAP_HANDLER: 0
; COMPUTE_PGM_RSRC2:TGID_X_EN: 1
; COMPUTE_PGM_RSRC2:TGID_Y_EN: 0
; COMPUTE_PGM_RSRC2:TGID_Z_EN: 0
; COMPUTE_PGM_RSRC2:TIDIG_COMP_CNT: 0
	.section	.text._ZN7rocprim17ROCPRIM_400000_NS6detail17trampoline_kernelINS0_14default_configENS1_22reduce_config_selectorIN6thrust23THRUST_200600_302600_NS5tupleIblNS6_9null_typeES8_S8_S8_S8_S8_S8_S8_EEEEZNS1_11reduce_implILb1ES3_NS6_12zip_iteratorINS7_INS6_11hip_rocprim26transform_input_iterator_tIbNSD_35transform_pair_of_input_iterators_tIbNS6_6detail15normal_iteratorINS6_10device_ptrIKyEEEESL_NS6_8equal_toIyEEEENSG_9not_fun_tINSD_8identityEEEEENSD_19counting_iterator_tIlEES8_S8_S8_S8_S8_S8_S8_S8_EEEEPS9_S9_NSD_9__find_if7functorIS9_EEEE10hipError_tPvRmT1_T2_T3_mT4_P12ihipStream_tbEUlT_E0_NS1_11comp_targetILNS1_3genE2ELNS1_11target_archE906ELNS1_3gpuE6ELNS1_3repE0EEENS1_30default_config_static_selectorELNS0_4arch9wavefront6targetE0EEEvS14_,"axG",@progbits,_ZN7rocprim17ROCPRIM_400000_NS6detail17trampoline_kernelINS0_14default_configENS1_22reduce_config_selectorIN6thrust23THRUST_200600_302600_NS5tupleIblNS6_9null_typeES8_S8_S8_S8_S8_S8_S8_EEEEZNS1_11reduce_implILb1ES3_NS6_12zip_iteratorINS7_INS6_11hip_rocprim26transform_input_iterator_tIbNSD_35transform_pair_of_input_iterators_tIbNS6_6detail15normal_iteratorINS6_10device_ptrIKyEEEESL_NS6_8equal_toIyEEEENSG_9not_fun_tINSD_8identityEEEEENSD_19counting_iterator_tIlEES8_S8_S8_S8_S8_S8_S8_S8_EEEEPS9_S9_NSD_9__find_if7functorIS9_EEEE10hipError_tPvRmT1_T2_T3_mT4_P12ihipStream_tbEUlT_E0_NS1_11comp_targetILNS1_3genE2ELNS1_11target_archE906ELNS1_3gpuE6ELNS1_3repE0EEENS1_30default_config_static_selectorELNS0_4arch9wavefront6targetE0EEEvS14_,comdat
	.protected	_ZN7rocprim17ROCPRIM_400000_NS6detail17trampoline_kernelINS0_14default_configENS1_22reduce_config_selectorIN6thrust23THRUST_200600_302600_NS5tupleIblNS6_9null_typeES8_S8_S8_S8_S8_S8_S8_EEEEZNS1_11reduce_implILb1ES3_NS6_12zip_iteratorINS7_INS6_11hip_rocprim26transform_input_iterator_tIbNSD_35transform_pair_of_input_iterators_tIbNS6_6detail15normal_iteratorINS6_10device_ptrIKyEEEESL_NS6_8equal_toIyEEEENSG_9not_fun_tINSD_8identityEEEEENSD_19counting_iterator_tIlEES8_S8_S8_S8_S8_S8_S8_S8_EEEEPS9_S9_NSD_9__find_if7functorIS9_EEEE10hipError_tPvRmT1_T2_T3_mT4_P12ihipStream_tbEUlT_E0_NS1_11comp_targetILNS1_3genE2ELNS1_11target_archE906ELNS1_3gpuE6ELNS1_3repE0EEENS1_30default_config_static_selectorELNS0_4arch9wavefront6targetE0EEEvS14_ ; -- Begin function _ZN7rocprim17ROCPRIM_400000_NS6detail17trampoline_kernelINS0_14default_configENS1_22reduce_config_selectorIN6thrust23THRUST_200600_302600_NS5tupleIblNS6_9null_typeES8_S8_S8_S8_S8_S8_S8_EEEEZNS1_11reduce_implILb1ES3_NS6_12zip_iteratorINS7_INS6_11hip_rocprim26transform_input_iterator_tIbNSD_35transform_pair_of_input_iterators_tIbNS6_6detail15normal_iteratorINS6_10device_ptrIKyEEEESL_NS6_8equal_toIyEEEENSG_9not_fun_tINSD_8identityEEEEENSD_19counting_iterator_tIlEES8_S8_S8_S8_S8_S8_S8_S8_EEEEPS9_S9_NSD_9__find_if7functorIS9_EEEE10hipError_tPvRmT1_T2_T3_mT4_P12ihipStream_tbEUlT_E0_NS1_11comp_targetILNS1_3genE2ELNS1_11target_archE906ELNS1_3gpuE6ELNS1_3repE0EEENS1_30default_config_static_selectorELNS0_4arch9wavefront6targetE0EEEvS14_
	.globl	_ZN7rocprim17ROCPRIM_400000_NS6detail17trampoline_kernelINS0_14default_configENS1_22reduce_config_selectorIN6thrust23THRUST_200600_302600_NS5tupleIblNS6_9null_typeES8_S8_S8_S8_S8_S8_S8_EEEEZNS1_11reduce_implILb1ES3_NS6_12zip_iteratorINS7_INS6_11hip_rocprim26transform_input_iterator_tIbNSD_35transform_pair_of_input_iterators_tIbNS6_6detail15normal_iteratorINS6_10device_ptrIKyEEEESL_NS6_8equal_toIyEEEENSG_9not_fun_tINSD_8identityEEEEENSD_19counting_iterator_tIlEES8_S8_S8_S8_S8_S8_S8_S8_EEEEPS9_S9_NSD_9__find_if7functorIS9_EEEE10hipError_tPvRmT1_T2_T3_mT4_P12ihipStream_tbEUlT_E0_NS1_11comp_targetILNS1_3genE2ELNS1_11target_archE906ELNS1_3gpuE6ELNS1_3repE0EEENS1_30default_config_static_selectorELNS0_4arch9wavefront6targetE0EEEvS14_
	.p2align	8
	.type	_ZN7rocprim17ROCPRIM_400000_NS6detail17trampoline_kernelINS0_14default_configENS1_22reduce_config_selectorIN6thrust23THRUST_200600_302600_NS5tupleIblNS6_9null_typeES8_S8_S8_S8_S8_S8_S8_EEEEZNS1_11reduce_implILb1ES3_NS6_12zip_iteratorINS7_INS6_11hip_rocprim26transform_input_iterator_tIbNSD_35transform_pair_of_input_iterators_tIbNS6_6detail15normal_iteratorINS6_10device_ptrIKyEEEESL_NS6_8equal_toIyEEEENSG_9not_fun_tINSD_8identityEEEEENSD_19counting_iterator_tIlEES8_S8_S8_S8_S8_S8_S8_S8_EEEEPS9_S9_NSD_9__find_if7functorIS9_EEEE10hipError_tPvRmT1_T2_T3_mT4_P12ihipStream_tbEUlT_E0_NS1_11comp_targetILNS1_3genE2ELNS1_11target_archE906ELNS1_3gpuE6ELNS1_3repE0EEENS1_30default_config_static_selectorELNS0_4arch9wavefront6targetE0EEEvS14_,@function
_ZN7rocprim17ROCPRIM_400000_NS6detail17trampoline_kernelINS0_14default_configENS1_22reduce_config_selectorIN6thrust23THRUST_200600_302600_NS5tupleIblNS6_9null_typeES8_S8_S8_S8_S8_S8_S8_EEEEZNS1_11reduce_implILb1ES3_NS6_12zip_iteratorINS7_INS6_11hip_rocprim26transform_input_iterator_tIbNSD_35transform_pair_of_input_iterators_tIbNS6_6detail15normal_iteratorINS6_10device_ptrIKyEEEESL_NS6_8equal_toIyEEEENSG_9not_fun_tINSD_8identityEEEEENSD_19counting_iterator_tIlEES8_S8_S8_S8_S8_S8_S8_S8_EEEEPS9_S9_NSD_9__find_if7functorIS9_EEEE10hipError_tPvRmT1_T2_T3_mT4_P12ihipStream_tbEUlT_E0_NS1_11comp_targetILNS1_3genE2ELNS1_11target_archE906ELNS1_3gpuE6ELNS1_3repE0EEENS1_30default_config_static_selectorELNS0_4arch9wavefront6targetE0EEEvS14_: ; @_ZN7rocprim17ROCPRIM_400000_NS6detail17trampoline_kernelINS0_14default_configENS1_22reduce_config_selectorIN6thrust23THRUST_200600_302600_NS5tupleIblNS6_9null_typeES8_S8_S8_S8_S8_S8_S8_EEEEZNS1_11reduce_implILb1ES3_NS6_12zip_iteratorINS7_INS6_11hip_rocprim26transform_input_iterator_tIbNSD_35transform_pair_of_input_iterators_tIbNS6_6detail15normal_iteratorINS6_10device_ptrIKyEEEESL_NS6_8equal_toIyEEEENSG_9not_fun_tINSD_8identityEEEEENSD_19counting_iterator_tIlEES8_S8_S8_S8_S8_S8_S8_S8_EEEEPS9_S9_NSD_9__find_if7functorIS9_EEEE10hipError_tPvRmT1_T2_T3_mT4_P12ihipStream_tbEUlT_E0_NS1_11comp_targetILNS1_3genE2ELNS1_11target_archE906ELNS1_3gpuE6ELNS1_3repE0EEENS1_30default_config_static_selectorELNS0_4arch9wavefront6targetE0EEEvS14_
; %bb.0:
	.section	.rodata,"a",@progbits
	.p2align	6, 0x0
	.amdhsa_kernel _ZN7rocprim17ROCPRIM_400000_NS6detail17trampoline_kernelINS0_14default_configENS1_22reduce_config_selectorIN6thrust23THRUST_200600_302600_NS5tupleIblNS6_9null_typeES8_S8_S8_S8_S8_S8_S8_EEEEZNS1_11reduce_implILb1ES3_NS6_12zip_iteratorINS7_INS6_11hip_rocprim26transform_input_iterator_tIbNSD_35transform_pair_of_input_iterators_tIbNS6_6detail15normal_iteratorINS6_10device_ptrIKyEEEESL_NS6_8equal_toIyEEEENSG_9not_fun_tINSD_8identityEEEEENSD_19counting_iterator_tIlEES8_S8_S8_S8_S8_S8_S8_S8_EEEEPS9_S9_NSD_9__find_if7functorIS9_EEEE10hipError_tPvRmT1_T2_T3_mT4_P12ihipStream_tbEUlT_E0_NS1_11comp_targetILNS1_3genE2ELNS1_11target_archE906ELNS1_3gpuE6ELNS1_3repE0EEENS1_30default_config_static_selectorELNS0_4arch9wavefront6targetE0EEEvS14_
		.amdhsa_group_segment_fixed_size 0
		.amdhsa_private_segment_fixed_size 0
		.amdhsa_kernarg_size 104
		.amdhsa_user_sgpr_count 6
		.amdhsa_user_sgpr_private_segment_buffer 1
		.amdhsa_user_sgpr_dispatch_ptr 0
		.amdhsa_user_sgpr_queue_ptr 0
		.amdhsa_user_sgpr_kernarg_segment_ptr 1
		.amdhsa_user_sgpr_dispatch_id 0
		.amdhsa_user_sgpr_flat_scratch_init 0
		.amdhsa_user_sgpr_private_segment_size 0
		.amdhsa_wavefront_size32 1
		.amdhsa_uses_dynamic_stack 0
		.amdhsa_system_sgpr_private_segment_wavefront_offset 0
		.amdhsa_system_sgpr_workgroup_id_x 1
		.amdhsa_system_sgpr_workgroup_id_y 0
		.amdhsa_system_sgpr_workgroup_id_z 0
		.amdhsa_system_sgpr_workgroup_info 0
		.amdhsa_system_vgpr_workitem_id 0
		.amdhsa_next_free_vgpr 1
		.amdhsa_next_free_sgpr 1
		.amdhsa_reserve_vcc 0
		.amdhsa_reserve_flat_scratch 0
		.amdhsa_float_round_mode_32 0
		.amdhsa_float_round_mode_16_64 0
		.amdhsa_float_denorm_mode_32 3
		.amdhsa_float_denorm_mode_16_64 3
		.amdhsa_dx10_clamp 1
		.amdhsa_ieee_mode 1
		.amdhsa_fp16_overflow 0
		.amdhsa_workgroup_processor_mode 1
		.amdhsa_memory_ordered 1
		.amdhsa_forward_progress 1
		.amdhsa_shared_vgpr_count 0
		.amdhsa_exception_fp_ieee_invalid_op 0
		.amdhsa_exception_fp_denorm_src 0
		.amdhsa_exception_fp_ieee_div_zero 0
		.amdhsa_exception_fp_ieee_overflow 0
		.amdhsa_exception_fp_ieee_underflow 0
		.amdhsa_exception_fp_ieee_inexact 0
		.amdhsa_exception_int_div_zero 0
	.end_amdhsa_kernel
	.section	.text._ZN7rocprim17ROCPRIM_400000_NS6detail17trampoline_kernelINS0_14default_configENS1_22reduce_config_selectorIN6thrust23THRUST_200600_302600_NS5tupleIblNS6_9null_typeES8_S8_S8_S8_S8_S8_S8_EEEEZNS1_11reduce_implILb1ES3_NS6_12zip_iteratorINS7_INS6_11hip_rocprim26transform_input_iterator_tIbNSD_35transform_pair_of_input_iterators_tIbNS6_6detail15normal_iteratorINS6_10device_ptrIKyEEEESL_NS6_8equal_toIyEEEENSG_9not_fun_tINSD_8identityEEEEENSD_19counting_iterator_tIlEES8_S8_S8_S8_S8_S8_S8_S8_EEEEPS9_S9_NSD_9__find_if7functorIS9_EEEE10hipError_tPvRmT1_T2_T3_mT4_P12ihipStream_tbEUlT_E0_NS1_11comp_targetILNS1_3genE2ELNS1_11target_archE906ELNS1_3gpuE6ELNS1_3repE0EEENS1_30default_config_static_selectorELNS0_4arch9wavefront6targetE0EEEvS14_,"axG",@progbits,_ZN7rocprim17ROCPRIM_400000_NS6detail17trampoline_kernelINS0_14default_configENS1_22reduce_config_selectorIN6thrust23THRUST_200600_302600_NS5tupleIblNS6_9null_typeES8_S8_S8_S8_S8_S8_S8_EEEEZNS1_11reduce_implILb1ES3_NS6_12zip_iteratorINS7_INS6_11hip_rocprim26transform_input_iterator_tIbNSD_35transform_pair_of_input_iterators_tIbNS6_6detail15normal_iteratorINS6_10device_ptrIKyEEEESL_NS6_8equal_toIyEEEENSG_9not_fun_tINSD_8identityEEEEENSD_19counting_iterator_tIlEES8_S8_S8_S8_S8_S8_S8_S8_EEEEPS9_S9_NSD_9__find_if7functorIS9_EEEE10hipError_tPvRmT1_T2_T3_mT4_P12ihipStream_tbEUlT_E0_NS1_11comp_targetILNS1_3genE2ELNS1_11target_archE906ELNS1_3gpuE6ELNS1_3repE0EEENS1_30default_config_static_selectorELNS0_4arch9wavefront6targetE0EEEvS14_,comdat
.Lfunc_end111:
	.size	_ZN7rocprim17ROCPRIM_400000_NS6detail17trampoline_kernelINS0_14default_configENS1_22reduce_config_selectorIN6thrust23THRUST_200600_302600_NS5tupleIblNS6_9null_typeES8_S8_S8_S8_S8_S8_S8_EEEEZNS1_11reduce_implILb1ES3_NS6_12zip_iteratorINS7_INS6_11hip_rocprim26transform_input_iterator_tIbNSD_35transform_pair_of_input_iterators_tIbNS6_6detail15normal_iteratorINS6_10device_ptrIKyEEEESL_NS6_8equal_toIyEEEENSG_9not_fun_tINSD_8identityEEEEENSD_19counting_iterator_tIlEES8_S8_S8_S8_S8_S8_S8_S8_EEEEPS9_S9_NSD_9__find_if7functorIS9_EEEE10hipError_tPvRmT1_T2_T3_mT4_P12ihipStream_tbEUlT_E0_NS1_11comp_targetILNS1_3genE2ELNS1_11target_archE906ELNS1_3gpuE6ELNS1_3repE0EEENS1_30default_config_static_selectorELNS0_4arch9wavefront6targetE0EEEvS14_, .Lfunc_end111-_ZN7rocprim17ROCPRIM_400000_NS6detail17trampoline_kernelINS0_14default_configENS1_22reduce_config_selectorIN6thrust23THRUST_200600_302600_NS5tupleIblNS6_9null_typeES8_S8_S8_S8_S8_S8_S8_EEEEZNS1_11reduce_implILb1ES3_NS6_12zip_iteratorINS7_INS6_11hip_rocprim26transform_input_iterator_tIbNSD_35transform_pair_of_input_iterators_tIbNS6_6detail15normal_iteratorINS6_10device_ptrIKyEEEESL_NS6_8equal_toIyEEEENSG_9not_fun_tINSD_8identityEEEEENSD_19counting_iterator_tIlEES8_S8_S8_S8_S8_S8_S8_S8_EEEEPS9_S9_NSD_9__find_if7functorIS9_EEEE10hipError_tPvRmT1_T2_T3_mT4_P12ihipStream_tbEUlT_E0_NS1_11comp_targetILNS1_3genE2ELNS1_11target_archE906ELNS1_3gpuE6ELNS1_3repE0EEENS1_30default_config_static_selectorELNS0_4arch9wavefront6targetE0EEEvS14_
                                        ; -- End function
	.set _ZN7rocprim17ROCPRIM_400000_NS6detail17trampoline_kernelINS0_14default_configENS1_22reduce_config_selectorIN6thrust23THRUST_200600_302600_NS5tupleIblNS6_9null_typeES8_S8_S8_S8_S8_S8_S8_EEEEZNS1_11reduce_implILb1ES3_NS6_12zip_iteratorINS7_INS6_11hip_rocprim26transform_input_iterator_tIbNSD_35transform_pair_of_input_iterators_tIbNS6_6detail15normal_iteratorINS6_10device_ptrIKyEEEESL_NS6_8equal_toIyEEEENSG_9not_fun_tINSD_8identityEEEEENSD_19counting_iterator_tIlEES8_S8_S8_S8_S8_S8_S8_S8_EEEEPS9_S9_NSD_9__find_if7functorIS9_EEEE10hipError_tPvRmT1_T2_T3_mT4_P12ihipStream_tbEUlT_E0_NS1_11comp_targetILNS1_3genE2ELNS1_11target_archE906ELNS1_3gpuE6ELNS1_3repE0EEENS1_30default_config_static_selectorELNS0_4arch9wavefront6targetE0EEEvS14_.num_vgpr, 0
	.set _ZN7rocprim17ROCPRIM_400000_NS6detail17trampoline_kernelINS0_14default_configENS1_22reduce_config_selectorIN6thrust23THRUST_200600_302600_NS5tupleIblNS6_9null_typeES8_S8_S8_S8_S8_S8_S8_EEEEZNS1_11reduce_implILb1ES3_NS6_12zip_iteratorINS7_INS6_11hip_rocprim26transform_input_iterator_tIbNSD_35transform_pair_of_input_iterators_tIbNS6_6detail15normal_iteratorINS6_10device_ptrIKyEEEESL_NS6_8equal_toIyEEEENSG_9not_fun_tINSD_8identityEEEEENSD_19counting_iterator_tIlEES8_S8_S8_S8_S8_S8_S8_S8_EEEEPS9_S9_NSD_9__find_if7functorIS9_EEEE10hipError_tPvRmT1_T2_T3_mT4_P12ihipStream_tbEUlT_E0_NS1_11comp_targetILNS1_3genE2ELNS1_11target_archE906ELNS1_3gpuE6ELNS1_3repE0EEENS1_30default_config_static_selectorELNS0_4arch9wavefront6targetE0EEEvS14_.num_agpr, 0
	.set _ZN7rocprim17ROCPRIM_400000_NS6detail17trampoline_kernelINS0_14default_configENS1_22reduce_config_selectorIN6thrust23THRUST_200600_302600_NS5tupleIblNS6_9null_typeES8_S8_S8_S8_S8_S8_S8_EEEEZNS1_11reduce_implILb1ES3_NS6_12zip_iteratorINS7_INS6_11hip_rocprim26transform_input_iterator_tIbNSD_35transform_pair_of_input_iterators_tIbNS6_6detail15normal_iteratorINS6_10device_ptrIKyEEEESL_NS6_8equal_toIyEEEENSG_9not_fun_tINSD_8identityEEEEENSD_19counting_iterator_tIlEES8_S8_S8_S8_S8_S8_S8_S8_EEEEPS9_S9_NSD_9__find_if7functorIS9_EEEE10hipError_tPvRmT1_T2_T3_mT4_P12ihipStream_tbEUlT_E0_NS1_11comp_targetILNS1_3genE2ELNS1_11target_archE906ELNS1_3gpuE6ELNS1_3repE0EEENS1_30default_config_static_selectorELNS0_4arch9wavefront6targetE0EEEvS14_.numbered_sgpr, 0
	.set _ZN7rocprim17ROCPRIM_400000_NS6detail17trampoline_kernelINS0_14default_configENS1_22reduce_config_selectorIN6thrust23THRUST_200600_302600_NS5tupleIblNS6_9null_typeES8_S8_S8_S8_S8_S8_S8_EEEEZNS1_11reduce_implILb1ES3_NS6_12zip_iteratorINS7_INS6_11hip_rocprim26transform_input_iterator_tIbNSD_35transform_pair_of_input_iterators_tIbNS6_6detail15normal_iteratorINS6_10device_ptrIKyEEEESL_NS6_8equal_toIyEEEENSG_9not_fun_tINSD_8identityEEEEENSD_19counting_iterator_tIlEES8_S8_S8_S8_S8_S8_S8_S8_EEEEPS9_S9_NSD_9__find_if7functorIS9_EEEE10hipError_tPvRmT1_T2_T3_mT4_P12ihipStream_tbEUlT_E0_NS1_11comp_targetILNS1_3genE2ELNS1_11target_archE906ELNS1_3gpuE6ELNS1_3repE0EEENS1_30default_config_static_selectorELNS0_4arch9wavefront6targetE0EEEvS14_.num_named_barrier, 0
	.set _ZN7rocprim17ROCPRIM_400000_NS6detail17trampoline_kernelINS0_14default_configENS1_22reduce_config_selectorIN6thrust23THRUST_200600_302600_NS5tupleIblNS6_9null_typeES8_S8_S8_S8_S8_S8_S8_EEEEZNS1_11reduce_implILb1ES3_NS6_12zip_iteratorINS7_INS6_11hip_rocprim26transform_input_iterator_tIbNSD_35transform_pair_of_input_iterators_tIbNS6_6detail15normal_iteratorINS6_10device_ptrIKyEEEESL_NS6_8equal_toIyEEEENSG_9not_fun_tINSD_8identityEEEEENSD_19counting_iterator_tIlEES8_S8_S8_S8_S8_S8_S8_S8_EEEEPS9_S9_NSD_9__find_if7functorIS9_EEEE10hipError_tPvRmT1_T2_T3_mT4_P12ihipStream_tbEUlT_E0_NS1_11comp_targetILNS1_3genE2ELNS1_11target_archE906ELNS1_3gpuE6ELNS1_3repE0EEENS1_30default_config_static_selectorELNS0_4arch9wavefront6targetE0EEEvS14_.private_seg_size, 0
	.set _ZN7rocprim17ROCPRIM_400000_NS6detail17trampoline_kernelINS0_14default_configENS1_22reduce_config_selectorIN6thrust23THRUST_200600_302600_NS5tupleIblNS6_9null_typeES8_S8_S8_S8_S8_S8_S8_EEEEZNS1_11reduce_implILb1ES3_NS6_12zip_iteratorINS7_INS6_11hip_rocprim26transform_input_iterator_tIbNSD_35transform_pair_of_input_iterators_tIbNS6_6detail15normal_iteratorINS6_10device_ptrIKyEEEESL_NS6_8equal_toIyEEEENSG_9not_fun_tINSD_8identityEEEEENSD_19counting_iterator_tIlEES8_S8_S8_S8_S8_S8_S8_S8_EEEEPS9_S9_NSD_9__find_if7functorIS9_EEEE10hipError_tPvRmT1_T2_T3_mT4_P12ihipStream_tbEUlT_E0_NS1_11comp_targetILNS1_3genE2ELNS1_11target_archE906ELNS1_3gpuE6ELNS1_3repE0EEENS1_30default_config_static_selectorELNS0_4arch9wavefront6targetE0EEEvS14_.uses_vcc, 0
	.set _ZN7rocprim17ROCPRIM_400000_NS6detail17trampoline_kernelINS0_14default_configENS1_22reduce_config_selectorIN6thrust23THRUST_200600_302600_NS5tupleIblNS6_9null_typeES8_S8_S8_S8_S8_S8_S8_EEEEZNS1_11reduce_implILb1ES3_NS6_12zip_iteratorINS7_INS6_11hip_rocprim26transform_input_iterator_tIbNSD_35transform_pair_of_input_iterators_tIbNS6_6detail15normal_iteratorINS6_10device_ptrIKyEEEESL_NS6_8equal_toIyEEEENSG_9not_fun_tINSD_8identityEEEEENSD_19counting_iterator_tIlEES8_S8_S8_S8_S8_S8_S8_S8_EEEEPS9_S9_NSD_9__find_if7functorIS9_EEEE10hipError_tPvRmT1_T2_T3_mT4_P12ihipStream_tbEUlT_E0_NS1_11comp_targetILNS1_3genE2ELNS1_11target_archE906ELNS1_3gpuE6ELNS1_3repE0EEENS1_30default_config_static_selectorELNS0_4arch9wavefront6targetE0EEEvS14_.uses_flat_scratch, 0
	.set _ZN7rocprim17ROCPRIM_400000_NS6detail17trampoline_kernelINS0_14default_configENS1_22reduce_config_selectorIN6thrust23THRUST_200600_302600_NS5tupleIblNS6_9null_typeES8_S8_S8_S8_S8_S8_S8_EEEEZNS1_11reduce_implILb1ES3_NS6_12zip_iteratorINS7_INS6_11hip_rocprim26transform_input_iterator_tIbNSD_35transform_pair_of_input_iterators_tIbNS6_6detail15normal_iteratorINS6_10device_ptrIKyEEEESL_NS6_8equal_toIyEEEENSG_9not_fun_tINSD_8identityEEEEENSD_19counting_iterator_tIlEES8_S8_S8_S8_S8_S8_S8_S8_EEEEPS9_S9_NSD_9__find_if7functorIS9_EEEE10hipError_tPvRmT1_T2_T3_mT4_P12ihipStream_tbEUlT_E0_NS1_11comp_targetILNS1_3genE2ELNS1_11target_archE906ELNS1_3gpuE6ELNS1_3repE0EEENS1_30default_config_static_selectorELNS0_4arch9wavefront6targetE0EEEvS14_.has_dyn_sized_stack, 0
	.set _ZN7rocprim17ROCPRIM_400000_NS6detail17trampoline_kernelINS0_14default_configENS1_22reduce_config_selectorIN6thrust23THRUST_200600_302600_NS5tupleIblNS6_9null_typeES8_S8_S8_S8_S8_S8_S8_EEEEZNS1_11reduce_implILb1ES3_NS6_12zip_iteratorINS7_INS6_11hip_rocprim26transform_input_iterator_tIbNSD_35transform_pair_of_input_iterators_tIbNS6_6detail15normal_iteratorINS6_10device_ptrIKyEEEESL_NS6_8equal_toIyEEEENSG_9not_fun_tINSD_8identityEEEEENSD_19counting_iterator_tIlEES8_S8_S8_S8_S8_S8_S8_S8_EEEEPS9_S9_NSD_9__find_if7functorIS9_EEEE10hipError_tPvRmT1_T2_T3_mT4_P12ihipStream_tbEUlT_E0_NS1_11comp_targetILNS1_3genE2ELNS1_11target_archE906ELNS1_3gpuE6ELNS1_3repE0EEENS1_30default_config_static_selectorELNS0_4arch9wavefront6targetE0EEEvS14_.has_recursion, 0
	.set _ZN7rocprim17ROCPRIM_400000_NS6detail17trampoline_kernelINS0_14default_configENS1_22reduce_config_selectorIN6thrust23THRUST_200600_302600_NS5tupleIblNS6_9null_typeES8_S8_S8_S8_S8_S8_S8_EEEEZNS1_11reduce_implILb1ES3_NS6_12zip_iteratorINS7_INS6_11hip_rocprim26transform_input_iterator_tIbNSD_35transform_pair_of_input_iterators_tIbNS6_6detail15normal_iteratorINS6_10device_ptrIKyEEEESL_NS6_8equal_toIyEEEENSG_9not_fun_tINSD_8identityEEEEENSD_19counting_iterator_tIlEES8_S8_S8_S8_S8_S8_S8_S8_EEEEPS9_S9_NSD_9__find_if7functorIS9_EEEE10hipError_tPvRmT1_T2_T3_mT4_P12ihipStream_tbEUlT_E0_NS1_11comp_targetILNS1_3genE2ELNS1_11target_archE906ELNS1_3gpuE6ELNS1_3repE0EEENS1_30default_config_static_selectorELNS0_4arch9wavefront6targetE0EEEvS14_.has_indirect_call, 0
	.section	.AMDGPU.csdata,"",@progbits
; Kernel info:
; codeLenInByte = 0
; TotalNumSgprs: 0
; NumVgprs: 0
; ScratchSize: 0
; MemoryBound: 0
; FloatMode: 240
; IeeeMode: 1
; LDSByteSize: 0 bytes/workgroup (compile time only)
; SGPRBlocks: 0
; VGPRBlocks: 0
; NumSGPRsForWavesPerEU: 1
; NumVGPRsForWavesPerEU: 1
; Occupancy: 16
; WaveLimiterHint : 0
; COMPUTE_PGM_RSRC2:SCRATCH_EN: 0
; COMPUTE_PGM_RSRC2:USER_SGPR: 6
; COMPUTE_PGM_RSRC2:TRAP_HANDLER: 0
; COMPUTE_PGM_RSRC2:TGID_X_EN: 1
; COMPUTE_PGM_RSRC2:TGID_Y_EN: 0
; COMPUTE_PGM_RSRC2:TGID_Z_EN: 0
; COMPUTE_PGM_RSRC2:TIDIG_COMP_CNT: 0
	.section	.text._ZN7rocprim17ROCPRIM_400000_NS6detail17trampoline_kernelINS0_14default_configENS1_22reduce_config_selectorIN6thrust23THRUST_200600_302600_NS5tupleIblNS6_9null_typeES8_S8_S8_S8_S8_S8_S8_EEEEZNS1_11reduce_implILb1ES3_NS6_12zip_iteratorINS7_INS6_11hip_rocprim26transform_input_iterator_tIbNSD_35transform_pair_of_input_iterators_tIbNS6_6detail15normal_iteratorINS6_10device_ptrIKyEEEESL_NS6_8equal_toIyEEEENSG_9not_fun_tINSD_8identityEEEEENSD_19counting_iterator_tIlEES8_S8_S8_S8_S8_S8_S8_S8_EEEEPS9_S9_NSD_9__find_if7functorIS9_EEEE10hipError_tPvRmT1_T2_T3_mT4_P12ihipStream_tbEUlT_E0_NS1_11comp_targetILNS1_3genE10ELNS1_11target_archE1201ELNS1_3gpuE5ELNS1_3repE0EEENS1_30default_config_static_selectorELNS0_4arch9wavefront6targetE0EEEvS14_,"axG",@progbits,_ZN7rocprim17ROCPRIM_400000_NS6detail17trampoline_kernelINS0_14default_configENS1_22reduce_config_selectorIN6thrust23THRUST_200600_302600_NS5tupleIblNS6_9null_typeES8_S8_S8_S8_S8_S8_S8_EEEEZNS1_11reduce_implILb1ES3_NS6_12zip_iteratorINS7_INS6_11hip_rocprim26transform_input_iterator_tIbNSD_35transform_pair_of_input_iterators_tIbNS6_6detail15normal_iteratorINS6_10device_ptrIKyEEEESL_NS6_8equal_toIyEEEENSG_9not_fun_tINSD_8identityEEEEENSD_19counting_iterator_tIlEES8_S8_S8_S8_S8_S8_S8_S8_EEEEPS9_S9_NSD_9__find_if7functorIS9_EEEE10hipError_tPvRmT1_T2_T3_mT4_P12ihipStream_tbEUlT_E0_NS1_11comp_targetILNS1_3genE10ELNS1_11target_archE1201ELNS1_3gpuE5ELNS1_3repE0EEENS1_30default_config_static_selectorELNS0_4arch9wavefront6targetE0EEEvS14_,comdat
	.protected	_ZN7rocprim17ROCPRIM_400000_NS6detail17trampoline_kernelINS0_14default_configENS1_22reduce_config_selectorIN6thrust23THRUST_200600_302600_NS5tupleIblNS6_9null_typeES8_S8_S8_S8_S8_S8_S8_EEEEZNS1_11reduce_implILb1ES3_NS6_12zip_iteratorINS7_INS6_11hip_rocprim26transform_input_iterator_tIbNSD_35transform_pair_of_input_iterators_tIbNS6_6detail15normal_iteratorINS6_10device_ptrIKyEEEESL_NS6_8equal_toIyEEEENSG_9not_fun_tINSD_8identityEEEEENSD_19counting_iterator_tIlEES8_S8_S8_S8_S8_S8_S8_S8_EEEEPS9_S9_NSD_9__find_if7functorIS9_EEEE10hipError_tPvRmT1_T2_T3_mT4_P12ihipStream_tbEUlT_E0_NS1_11comp_targetILNS1_3genE10ELNS1_11target_archE1201ELNS1_3gpuE5ELNS1_3repE0EEENS1_30default_config_static_selectorELNS0_4arch9wavefront6targetE0EEEvS14_ ; -- Begin function _ZN7rocprim17ROCPRIM_400000_NS6detail17trampoline_kernelINS0_14default_configENS1_22reduce_config_selectorIN6thrust23THRUST_200600_302600_NS5tupleIblNS6_9null_typeES8_S8_S8_S8_S8_S8_S8_EEEEZNS1_11reduce_implILb1ES3_NS6_12zip_iteratorINS7_INS6_11hip_rocprim26transform_input_iterator_tIbNSD_35transform_pair_of_input_iterators_tIbNS6_6detail15normal_iteratorINS6_10device_ptrIKyEEEESL_NS6_8equal_toIyEEEENSG_9not_fun_tINSD_8identityEEEEENSD_19counting_iterator_tIlEES8_S8_S8_S8_S8_S8_S8_S8_EEEEPS9_S9_NSD_9__find_if7functorIS9_EEEE10hipError_tPvRmT1_T2_T3_mT4_P12ihipStream_tbEUlT_E0_NS1_11comp_targetILNS1_3genE10ELNS1_11target_archE1201ELNS1_3gpuE5ELNS1_3repE0EEENS1_30default_config_static_selectorELNS0_4arch9wavefront6targetE0EEEvS14_
	.globl	_ZN7rocprim17ROCPRIM_400000_NS6detail17trampoline_kernelINS0_14default_configENS1_22reduce_config_selectorIN6thrust23THRUST_200600_302600_NS5tupleIblNS6_9null_typeES8_S8_S8_S8_S8_S8_S8_EEEEZNS1_11reduce_implILb1ES3_NS6_12zip_iteratorINS7_INS6_11hip_rocprim26transform_input_iterator_tIbNSD_35transform_pair_of_input_iterators_tIbNS6_6detail15normal_iteratorINS6_10device_ptrIKyEEEESL_NS6_8equal_toIyEEEENSG_9not_fun_tINSD_8identityEEEEENSD_19counting_iterator_tIlEES8_S8_S8_S8_S8_S8_S8_S8_EEEEPS9_S9_NSD_9__find_if7functorIS9_EEEE10hipError_tPvRmT1_T2_T3_mT4_P12ihipStream_tbEUlT_E0_NS1_11comp_targetILNS1_3genE10ELNS1_11target_archE1201ELNS1_3gpuE5ELNS1_3repE0EEENS1_30default_config_static_selectorELNS0_4arch9wavefront6targetE0EEEvS14_
	.p2align	8
	.type	_ZN7rocprim17ROCPRIM_400000_NS6detail17trampoline_kernelINS0_14default_configENS1_22reduce_config_selectorIN6thrust23THRUST_200600_302600_NS5tupleIblNS6_9null_typeES8_S8_S8_S8_S8_S8_S8_EEEEZNS1_11reduce_implILb1ES3_NS6_12zip_iteratorINS7_INS6_11hip_rocprim26transform_input_iterator_tIbNSD_35transform_pair_of_input_iterators_tIbNS6_6detail15normal_iteratorINS6_10device_ptrIKyEEEESL_NS6_8equal_toIyEEEENSG_9not_fun_tINSD_8identityEEEEENSD_19counting_iterator_tIlEES8_S8_S8_S8_S8_S8_S8_S8_EEEEPS9_S9_NSD_9__find_if7functorIS9_EEEE10hipError_tPvRmT1_T2_T3_mT4_P12ihipStream_tbEUlT_E0_NS1_11comp_targetILNS1_3genE10ELNS1_11target_archE1201ELNS1_3gpuE5ELNS1_3repE0EEENS1_30default_config_static_selectorELNS0_4arch9wavefront6targetE0EEEvS14_,@function
_ZN7rocprim17ROCPRIM_400000_NS6detail17trampoline_kernelINS0_14default_configENS1_22reduce_config_selectorIN6thrust23THRUST_200600_302600_NS5tupleIblNS6_9null_typeES8_S8_S8_S8_S8_S8_S8_EEEEZNS1_11reduce_implILb1ES3_NS6_12zip_iteratorINS7_INS6_11hip_rocprim26transform_input_iterator_tIbNSD_35transform_pair_of_input_iterators_tIbNS6_6detail15normal_iteratorINS6_10device_ptrIKyEEEESL_NS6_8equal_toIyEEEENSG_9not_fun_tINSD_8identityEEEEENSD_19counting_iterator_tIlEES8_S8_S8_S8_S8_S8_S8_S8_EEEEPS9_S9_NSD_9__find_if7functorIS9_EEEE10hipError_tPvRmT1_T2_T3_mT4_P12ihipStream_tbEUlT_E0_NS1_11comp_targetILNS1_3genE10ELNS1_11target_archE1201ELNS1_3gpuE5ELNS1_3repE0EEENS1_30default_config_static_selectorELNS0_4arch9wavefront6targetE0EEEvS14_: ; @_ZN7rocprim17ROCPRIM_400000_NS6detail17trampoline_kernelINS0_14default_configENS1_22reduce_config_selectorIN6thrust23THRUST_200600_302600_NS5tupleIblNS6_9null_typeES8_S8_S8_S8_S8_S8_S8_EEEEZNS1_11reduce_implILb1ES3_NS6_12zip_iteratorINS7_INS6_11hip_rocprim26transform_input_iterator_tIbNSD_35transform_pair_of_input_iterators_tIbNS6_6detail15normal_iteratorINS6_10device_ptrIKyEEEESL_NS6_8equal_toIyEEEENSG_9not_fun_tINSD_8identityEEEEENSD_19counting_iterator_tIlEES8_S8_S8_S8_S8_S8_S8_S8_EEEEPS9_S9_NSD_9__find_if7functorIS9_EEEE10hipError_tPvRmT1_T2_T3_mT4_P12ihipStream_tbEUlT_E0_NS1_11comp_targetILNS1_3genE10ELNS1_11target_archE1201ELNS1_3gpuE5ELNS1_3repE0EEENS1_30default_config_static_selectorELNS0_4arch9wavefront6targetE0EEEvS14_
; %bb.0:
	.section	.rodata,"a",@progbits
	.p2align	6, 0x0
	.amdhsa_kernel _ZN7rocprim17ROCPRIM_400000_NS6detail17trampoline_kernelINS0_14default_configENS1_22reduce_config_selectorIN6thrust23THRUST_200600_302600_NS5tupleIblNS6_9null_typeES8_S8_S8_S8_S8_S8_S8_EEEEZNS1_11reduce_implILb1ES3_NS6_12zip_iteratorINS7_INS6_11hip_rocprim26transform_input_iterator_tIbNSD_35transform_pair_of_input_iterators_tIbNS6_6detail15normal_iteratorINS6_10device_ptrIKyEEEESL_NS6_8equal_toIyEEEENSG_9not_fun_tINSD_8identityEEEEENSD_19counting_iterator_tIlEES8_S8_S8_S8_S8_S8_S8_S8_EEEEPS9_S9_NSD_9__find_if7functorIS9_EEEE10hipError_tPvRmT1_T2_T3_mT4_P12ihipStream_tbEUlT_E0_NS1_11comp_targetILNS1_3genE10ELNS1_11target_archE1201ELNS1_3gpuE5ELNS1_3repE0EEENS1_30default_config_static_selectorELNS0_4arch9wavefront6targetE0EEEvS14_
		.amdhsa_group_segment_fixed_size 0
		.amdhsa_private_segment_fixed_size 0
		.amdhsa_kernarg_size 104
		.amdhsa_user_sgpr_count 6
		.amdhsa_user_sgpr_private_segment_buffer 1
		.amdhsa_user_sgpr_dispatch_ptr 0
		.amdhsa_user_sgpr_queue_ptr 0
		.amdhsa_user_sgpr_kernarg_segment_ptr 1
		.amdhsa_user_sgpr_dispatch_id 0
		.amdhsa_user_sgpr_flat_scratch_init 0
		.amdhsa_user_sgpr_private_segment_size 0
		.amdhsa_wavefront_size32 1
		.amdhsa_uses_dynamic_stack 0
		.amdhsa_system_sgpr_private_segment_wavefront_offset 0
		.amdhsa_system_sgpr_workgroup_id_x 1
		.amdhsa_system_sgpr_workgroup_id_y 0
		.amdhsa_system_sgpr_workgroup_id_z 0
		.amdhsa_system_sgpr_workgroup_info 0
		.amdhsa_system_vgpr_workitem_id 0
		.amdhsa_next_free_vgpr 1
		.amdhsa_next_free_sgpr 1
		.amdhsa_reserve_vcc 0
		.amdhsa_reserve_flat_scratch 0
		.amdhsa_float_round_mode_32 0
		.amdhsa_float_round_mode_16_64 0
		.amdhsa_float_denorm_mode_32 3
		.amdhsa_float_denorm_mode_16_64 3
		.amdhsa_dx10_clamp 1
		.amdhsa_ieee_mode 1
		.amdhsa_fp16_overflow 0
		.amdhsa_workgroup_processor_mode 1
		.amdhsa_memory_ordered 1
		.amdhsa_forward_progress 1
		.amdhsa_shared_vgpr_count 0
		.amdhsa_exception_fp_ieee_invalid_op 0
		.amdhsa_exception_fp_denorm_src 0
		.amdhsa_exception_fp_ieee_div_zero 0
		.amdhsa_exception_fp_ieee_overflow 0
		.amdhsa_exception_fp_ieee_underflow 0
		.amdhsa_exception_fp_ieee_inexact 0
		.amdhsa_exception_int_div_zero 0
	.end_amdhsa_kernel
	.section	.text._ZN7rocprim17ROCPRIM_400000_NS6detail17trampoline_kernelINS0_14default_configENS1_22reduce_config_selectorIN6thrust23THRUST_200600_302600_NS5tupleIblNS6_9null_typeES8_S8_S8_S8_S8_S8_S8_EEEEZNS1_11reduce_implILb1ES3_NS6_12zip_iteratorINS7_INS6_11hip_rocprim26transform_input_iterator_tIbNSD_35transform_pair_of_input_iterators_tIbNS6_6detail15normal_iteratorINS6_10device_ptrIKyEEEESL_NS6_8equal_toIyEEEENSG_9not_fun_tINSD_8identityEEEEENSD_19counting_iterator_tIlEES8_S8_S8_S8_S8_S8_S8_S8_EEEEPS9_S9_NSD_9__find_if7functorIS9_EEEE10hipError_tPvRmT1_T2_T3_mT4_P12ihipStream_tbEUlT_E0_NS1_11comp_targetILNS1_3genE10ELNS1_11target_archE1201ELNS1_3gpuE5ELNS1_3repE0EEENS1_30default_config_static_selectorELNS0_4arch9wavefront6targetE0EEEvS14_,"axG",@progbits,_ZN7rocprim17ROCPRIM_400000_NS6detail17trampoline_kernelINS0_14default_configENS1_22reduce_config_selectorIN6thrust23THRUST_200600_302600_NS5tupleIblNS6_9null_typeES8_S8_S8_S8_S8_S8_S8_EEEEZNS1_11reduce_implILb1ES3_NS6_12zip_iteratorINS7_INS6_11hip_rocprim26transform_input_iterator_tIbNSD_35transform_pair_of_input_iterators_tIbNS6_6detail15normal_iteratorINS6_10device_ptrIKyEEEESL_NS6_8equal_toIyEEEENSG_9not_fun_tINSD_8identityEEEEENSD_19counting_iterator_tIlEES8_S8_S8_S8_S8_S8_S8_S8_EEEEPS9_S9_NSD_9__find_if7functorIS9_EEEE10hipError_tPvRmT1_T2_T3_mT4_P12ihipStream_tbEUlT_E0_NS1_11comp_targetILNS1_3genE10ELNS1_11target_archE1201ELNS1_3gpuE5ELNS1_3repE0EEENS1_30default_config_static_selectorELNS0_4arch9wavefront6targetE0EEEvS14_,comdat
.Lfunc_end112:
	.size	_ZN7rocprim17ROCPRIM_400000_NS6detail17trampoline_kernelINS0_14default_configENS1_22reduce_config_selectorIN6thrust23THRUST_200600_302600_NS5tupleIblNS6_9null_typeES8_S8_S8_S8_S8_S8_S8_EEEEZNS1_11reduce_implILb1ES3_NS6_12zip_iteratorINS7_INS6_11hip_rocprim26transform_input_iterator_tIbNSD_35transform_pair_of_input_iterators_tIbNS6_6detail15normal_iteratorINS6_10device_ptrIKyEEEESL_NS6_8equal_toIyEEEENSG_9not_fun_tINSD_8identityEEEEENSD_19counting_iterator_tIlEES8_S8_S8_S8_S8_S8_S8_S8_EEEEPS9_S9_NSD_9__find_if7functorIS9_EEEE10hipError_tPvRmT1_T2_T3_mT4_P12ihipStream_tbEUlT_E0_NS1_11comp_targetILNS1_3genE10ELNS1_11target_archE1201ELNS1_3gpuE5ELNS1_3repE0EEENS1_30default_config_static_selectorELNS0_4arch9wavefront6targetE0EEEvS14_, .Lfunc_end112-_ZN7rocprim17ROCPRIM_400000_NS6detail17trampoline_kernelINS0_14default_configENS1_22reduce_config_selectorIN6thrust23THRUST_200600_302600_NS5tupleIblNS6_9null_typeES8_S8_S8_S8_S8_S8_S8_EEEEZNS1_11reduce_implILb1ES3_NS6_12zip_iteratorINS7_INS6_11hip_rocprim26transform_input_iterator_tIbNSD_35transform_pair_of_input_iterators_tIbNS6_6detail15normal_iteratorINS6_10device_ptrIKyEEEESL_NS6_8equal_toIyEEEENSG_9not_fun_tINSD_8identityEEEEENSD_19counting_iterator_tIlEES8_S8_S8_S8_S8_S8_S8_S8_EEEEPS9_S9_NSD_9__find_if7functorIS9_EEEE10hipError_tPvRmT1_T2_T3_mT4_P12ihipStream_tbEUlT_E0_NS1_11comp_targetILNS1_3genE10ELNS1_11target_archE1201ELNS1_3gpuE5ELNS1_3repE0EEENS1_30default_config_static_selectorELNS0_4arch9wavefront6targetE0EEEvS14_
                                        ; -- End function
	.set _ZN7rocprim17ROCPRIM_400000_NS6detail17trampoline_kernelINS0_14default_configENS1_22reduce_config_selectorIN6thrust23THRUST_200600_302600_NS5tupleIblNS6_9null_typeES8_S8_S8_S8_S8_S8_S8_EEEEZNS1_11reduce_implILb1ES3_NS6_12zip_iteratorINS7_INS6_11hip_rocprim26transform_input_iterator_tIbNSD_35transform_pair_of_input_iterators_tIbNS6_6detail15normal_iteratorINS6_10device_ptrIKyEEEESL_NS6_8equal_toIyEEEENSG_9not_fun_tINSD_8identityEEEEENSD_19counting_iterator_tIlEES8_S8_S8_S8_S8_S8_S8_S8_EEEEPS9_S9_NSD_9__find_if7functorIS9_EEEE10hipError_tPvRmT1_T2_T3_mT4_P12ihipStream_tbEUlT_E0_NS1_11comp_targetILNS1_3genE10ELNS1_11target_archE1201ELNS1_3gpuE5ELNS1_3repE0EEENS1_30default_config_static_selectorELNS0_4arch9wavefront6targetE0EEEvS14_.num_vgpr, 0
	.set _ZN7rocprim17ROCPRIM_400000_NS6detail17trampoline_kernelINS0_14default_configENS1_22reduce_config_selectorIN6thrust23THRUST_200600_302600_NS5tupleIblNS6_9null_typeES8_S8_S8_S8_S8_S8_S8_EEEEZNS1_11reduce_implILb1ES3_NS6_12zip_iteratorINS7_INS6_11hip_rocprim26transform_input_iterator_tIbNSD_35transform_pair_of_input_iterators_tIbNS6_6detail15normal_iteratorINS6_10device_ptrIKyEEEESL_NS6_8equal_toIyEEEENSG_9not_fun_tINSD_8identityEEEEENSD_19counting_iterator_tIlEES8_S8_S8_S8_S8_S8_S8_S8_EEEEPS9_S9_NSD_9__find_if7functorIS9_EEEE10hipError_tPvRmT1_T2_T3_mT4_P12ihipStream_tbEUlT_E0_NS1_11comp_targetILNS1_3genE10ELNS1_11target_archE1201ELNS1_3gpuE5ELNS1_3repE0EEENS1_30default_config_static_selectorELNS0_4arch9wavefront6targetE0EEEvS14_.num_agpr, 0
	.set _ZN7rocprim17ROCPRIM_400000_NS6detail17trampoline_kernelINS0_14default_configENS1_22reduce_config_selectorIN6thrust23THRUST_200600_302600_NS5tupleIblNS6_9null_typeES8_S8_S8_S8_S8_S8_S8_EEEEZNS1_11reduce_implILb1ES3_NS6_12zip_iteratorINS7_INS6_11hip_rocprim26transform_input_iterator_tIbNSD_35transform_pair_of_input_iterators_tIbNS6_6detail15normal_iteratorINS6_10device_ptrIKyEEEESL_NS6_8equal_toIyEEEENSG_9not_fun_tINSD_8identityEEEEENSD_19counting_iterator_tIlEES8_S8_S8_S8_S8_S8_S8_S8_EEEEPS9_S9_NSD_9__find_if7functorIS9_EEEE10hipError_tPvRmT1_T2_T3_mT4_P12ihipStream_tbEUlT_E0_NS1_11comp_targetILNS1_3genE10ELNS1_11target_archE1201ELNS1_3gpuE5ELNS1_3repE0EEENS1_30default_config_static_selectorELNS0_4arch9wavefront6targetE0EEEvS14_.numbered_sgpr, 0
	.set _ZN7rocprim17ROCPRIM_400000_NS6detail17trampoline_kernelINS0_14default_configENS1_22reduce_config_selectorIN6thrust23THRUST_200600_302600_NS5tupleIblNS6_9null_typeES8_S8_S8_S8_S8_S8_S8_EEEEZNS1_11reduce_implILb1ES3_NS6_12zip_iteratorINS7_INS6_11hip_rocprim26transform_input_iterator_tIbNSD_35transform_pair_of_input_iterators_tIbNS6_6detail15normal_iteratorINS6_10device_ptrIKyEEEESL_NS6_8equal_toIyEEEENSG_9not_fun_tINSD_8identityEEEEENSD_19counting_iterator_tIlEES8_S8_S8_S8_S8_S8_S8_S8_EEEEPS9_S9_NSD_9__find_if7functorIS9_EEEE10hipError_tPvRmT1_T2_T3_mT4_P12ihipStream_tbEUlT_E0_NS1_11comp_targetILNS1_3genE10ELNS1_11target_archE1201ELNS1_3gpuE5ELNS1_3repE0EEENS1_30default_config_static_selectorELNS0_4arch9wavefront6targetE0EEEvS14_.num_named_barrier, 0
	.set _ZN7rocprim17ROCPRIM_400000_NS6detail17trampoline_kernelINS0_14default_configENS1_22reduce_config_selectorIN6thrust23THRUST_200600_302600_NS5tupleIblNS6_9null_typeES8_S8_S8_S8_S8_S8_S8_EEEEZNS1_11reduce_implILb1ES3_NS6_12zip_iteratorINS7_INS6_11hip_rocprim26transform_input_iterator_tIbNSD_35transform_pair_of_input_iterators_tIbNS6_6detail15normal_iteratorINS6_10device_ptrIKyEEEESL_NS6_8equal_toIyEEEENSG_9not_fun_tINSD_8identityEEEEENSD_19counting_iterator_tIlEES8_S8_S8_S8_S8_S8_S8_S8_EEEEPS9_S9_NSD_9__find_if7functorIS9_EEEE10hipError_tPvRmT1_T2_T3_mT4_P12ihipStream_tbEUlT_E0_NS1_11comp_targetILNS1_3genE10ELNS1_11target_archE1201ELNS1_3gpuE5ELNS1_3repE0EEENS1_30default_config_static_selectorELNS0_4arch9wavefront6targetE0EEEvS14_.private_seg_size, 0
	.set _ZN7rocprim17ROCPRIM_400000_NS6detail17trampoline_kernelINS0_14default_configENS1_22reduce_config_selectorIN6thrust23THRUST_200600_302600_NS5tupleIblNS6_9null_typeES8_S8_S8_S8_S8_S8_S8_EEEEZNS1_11reduce_implILb1ES3_NS6_12zip_iteratorINS7_INS6_11hip_rocprim26transform_input_iterator_tIbNSD_35transform_pair_of_input_iterators_tIbNS6_6detail15normal_iteratorINS6_10device_ptrIKyEEEESL_NS6_8equal_toIyEEEENSG_9not_fun_tINSD_8identityEEEEENSD_19counting_iterator_tIlEES8_S8_S8_S8_S8_S8_S8_S8_EEEEPS9_S9_NSD_9__find_if7functorIS9_EEEE10hipError_tPvRmT1_T2_T3_mT4_P12ihipStream_tbEUlT_E0_NS1_11comp_targetILNS1_3genE10ELNS1_11target_archE1201ELNS1_3gpuE5ELNS1_3repE0EEENS1_30default_config_static_selectorELNS0_4arch9wavefront6targetE0EEEvS14_.uses_vcc, 0
	.set _ZN7rocprim17ROCPRIM_400000_NS6detail17trampoline_kernelINS0_14default_configENS1_22reduce_config_selectorIN6thrust23THRUST_200600_302600_NS5tupleIblNS6_9null_typeES8_S8_S8_S8_S8_S8_S8_EEEEZNS1_11reduce_implILb1ES3_NS6_12zip_iteratorINS7_INS6_11hip_rocprim26transform_input_iterator_tIbNSD_35transform_pair_of_input_iterators_tIbNS6_6detail15normal_iteratorINS6_10device_ptrIKyEEEESL_NS6_8equal_toIyEEEENSG_9not_fun_tINSD_8identityEEEEENSD_19counting_iterator_tIlEES8_S8_S8_S8_S8_S8_S8_S8_EEEEPS9_S9_NSD_9__find_if7functorIS9_EEEE10hipError_tPvRmT1_T2_T3_mT4_P12ihipStream_tbEUlT_E0_NS1_11comp_targetILNS1_3genE10ELNS1_11target_archE1201ELNS1_3gpuE5ELNS1_3repE0EEENS1_30default_config_static_selectorELNS0_4arch9wavefront6targetE0EEEvS14_.uses_flat_scratch, 0
	.set _ZN7rocprim17ROCPRIM_400000_NS6detail17trampoline_kernelINS0_14default_configENS1_22reduce_config_selectorIN6thrust23THRUST_200600_302600_NS5tupleIblNS6_9null_typeES8_S8_S8_S8_S8_S8_S8_EEEEZNS1_11reduce_implILb1ES3_NS6_12zip_iteratorINS7_INS6_11hip_rocprim26transform_input_iterator_tIbNSD_35transform_pair_of_input_iterators_tIbNS6_6detail15normal_iteratorINS6_10device_ptrIKyEEEESL_NS6_8equal_toIyEEEENSG_9not_fun_tINSD_8identityEEEEENSD_19counting_iterator_tIlEES8_S8_S8_S8_S8_S8_S8_S8_EEEEPS9_S9_NSD_9__find_if7functorIS9_EEEE10hipError_tPvRmT1_T2_T3_mT4_P12ihipStream_tbEUlT_E0_NS1_11comp_targetILNS1_3genE10ELNS1_11target_archE1201ELNS1_3gpuE5ELNS1_3repE0EEENS1_30default_config_static_selectorELNS0_4arch9wavefront6targetE0EEEvS14_.has_dyn_sized_stack, 0
	.set _ZN7rocprim17ROCPRIM_400000_NS6detail17trampoline_kernelINS0_14default_configENS1_22reduce_config_selectorIN6thrust23THRUST_200600_302600_NS5tupleIblNS6_9null_typeES8_S8_S8_S8_S8_S8_S8_EEEEZNS1_11reduce_implILb1ES3_NS6_12zip_iteratorINS7_INS6_11hip_rocprim26transform_input_iterator_tIbNSD_35transform_pair_of_input_iterators_tIbNS6_6detail15normal_iteratorINS6_10device_ptrIKyEEEESL_NS6_8equal_toIyEEEENSG_9not_fun_tINSD_8identityEEEEENSD_19counting_iterator_tIlEES8_S8_S8_S8_S8_S8_S8_S8_EEEEPS9_S9_NSD_9__find_if7functorIS9_EEEE10hipError_tPvRmT1_T2_T3_mT4_P12ihipStream_tbEUlT_E0_NS1_11comp_targetILNS1_3genE10ELNS1_11target_archE1201ELNS1_3gpuE5ELNS1_3repE0EEENS1_30default_config_static_selectorELNS0_4arch9wavefront6targetE0EEEvS14_.has_recursion, 0
	.set _ZN7rocprim17ROCPRIM_400000_NS6detail17trampoline_kernelINS0_14default_configENS1_22reduce_config_selectorIN6thrust23THRUST_200600_302600_NS5tupleIblNS6_9null_typeES8_S8_S8_S8_S8_S8_S8_EEEEZNS1_11reduce_implILb1ES3_NS6_12zip_iteratorINS7_INS6_11hip_rocprim26transform_input_iterator_tIbNSD_35transform_pair_of_input_iterators_tIbNS6_6detail15normal_iteratorINS6_10device_ptrIKyEEEESL_NS6_8equal_toIyEEEENSG_9not_fun_tINSD_8identityEEEEENSD_19counting_iterator_tIlEES8_S8_S8_S8_S8_S8_S8_S8_EEEEPS9_S9_NSD_9__find_if7functorIS9_EEEE10hipError_tPvRmT1_T2_T3_mT4_P12ihipStream_tbEUlT_E0_NS1_11comp_targetILNS1_3genE10ELNS1_11target_archE1201ELNS1_3gpuE5ELNS1_3repE0EEENS1_30default_config_static_selectorELNS0_4arch9wavefront6targetE0EEEvS14_.has_indirect_call, 0
	.section	.AMDGPU.csdata,"",@progbits
; Kernel info:
; codeLenInByte = 0
; TotalNumSgprs: 0
; NumVgprs: 0
; ScratchSize: 0
; MemoryBound: 0
; FloatMode: 240
; IeeeMode: 1
; LDSByteSize: 0 bytes/workgroup (compile time only)
; SGPRBlocks: 0
; VGPRBlocks: 0
; NumSGPRsForWavesPerEU: 1
; NumVGPRsForWavesPerEU: 1
; Occupancy: 16
; WaveLimiterHint : 0
; COMPUTE_PGM_RSRC2:SCRATCH_EN: 0
; COMPUTE_PGM_RSRC2:USER_SGPR: 6
; COMPUTE_PGM_RSRC2:TRAP_HANDLER: 0
; COMPUTE_PGM_RSRC2:TGID_X_EN: 1
; COMPUTE_PGM_RSRC2:TGID_Y_EN: 0
; COMPUTE_PGM_RSRC2:TGID_Z_EN: 0
; COMPUTE_PGM_RSRC2:TIDIG_COMP_CNT: 0
	.section	.text._ZN7rocprim17ROCPRIM_400000_NS6detail17trampoline_kernelINS0_14default_configENS1_22reduce_config_selectorIN6thrust23THRUST_200600_302600_NS5tupleIblNS6_9null_typeES8_S8_S8_S8_S8_S8_S8_EEEEZNS1_11reduce_implILb1ES3_NS6_12zip_iteratorINS7_INS6_11hip_rocprim26transform_input_iterator_tIbNSD_35transform_pair_of_input_iterators_tIbNS6_6detail15normal_iteratorINS6_10device_ptrIKyEEEESL_NS6_8equal_toIyEEEENSG_9not_fun_tINSD_8identityEEEEENSD_19counting_iterator_tIlEES8_S8_S8_S8_S8_S8_S8_S8_EEEEPS9_S9_NSD_9__find_if7functorIS9_EEEE10hipError_tPvRmT1_T2_T3_mT4_P12ihipStream_tbEUlT_E0_NS1_11comp_targetILNS1_3genE10ELNS1_11target_archE1200ELNS1_3gpuE4ELNS1_3repE0EEENS1_30default_config_static_selectorELNS0_4arch9wavefront6targetE0EEEvS14_,"axG",@progbits,_ZN7rocprim17ROCPRIM_400000_NS6detail17trampoline_kernelINS0_14default_configENS1_22reduce_config_selectorIN6thrust23THRUST_200600_302600_NS5tupleIblNS6_9null_typeES8_S8_S8_S8_S8_S8_S8_EEEEZNS1_11reduce_implILb1ES3_NS6_12zip_iteratorINS7_INS6_11hip_rocprim26transform_input_iterator_tIbNSD_35transform_pair_of_input_iterators_tIbNS6_6detail15normal_iteratorINS6_10device_ptrIKyEEEESL_NS6_8equal_toIyEEEENSG_9not_fun_tINSD_8identityEEEEENSD_19counting_iterator_tIlEES8_S8_S8_S8_S8_S8_S8_S8_EEEEPS9_S9_NSD_9__find_if7functorIS9_EEEE10hipError_tPvRmT1_T2_T3_mT4_P12ihipStream_tbEUlT_E0_NS1_11comp_targetILNS1_3genE10ELNS1_11target_archE1200ELNS1_3gpuE4ELNS1_3repE0EEENS1_30default_config_static_selectorELNS0_4arch9wavefront6targetE0EEEvS14_,comdat
	.protected	_ZN7rocprim17ROCPRIM_400000_NS6detail17trampoline_kernelINS0_14default_configENS1_22reduce_config_selectorIN6thrust23THRUST_200600_302600_NS5tupleIblNS6_9null_typeES8_S8_S8_S8_S8_S8_S8_EEEEZNS1_11reduce_implILb1ES3_NS6_12zip_iteratorINS7_INS6_11hip_rocprim26transform_input_iterator_tIbNSD_35transform_pair_of_input_iterators_tIbNS6_6detail15normal_iteratorINS6_10device_ptrIKyEEEESL_NS6_8equal_toIyEEEENSG_9not_fun_tINSD_8identityEEEEENSD_19counting_iterator_tIlEES8_S8_S8_S8_S8_S8_S8_S8_EEEEPS9_S9_NSD_9__find_if7functorIS9_EEEE10hipError_tPvRmT1_T2_T3_mT4_P12ihipStream_tbEUlT_E0_NS1_11comp_targetILNS1_3genE10ELNS1_11target_archE1200ELNS1_3gpuE4ELNS1_3repE0EEENS1_30default_config_static_selectorELNS0_4arch9wavefront6targetE0EEEvS14_ ; -- Begin function _ZN7rocprim17ROCPRIM_400000_NS6detail17trampoline_kernelINS0_14default_configENS1_22reduce_config_selectorIN6thrust23THRUST_200600_302600_NS5tupleIblNS6_9null_typeES8_S8_S8_S8_S8_S8_S8_EEEEZNS1_11reduce_implILb1ES3_NS6_12zip_iteratorINS7_INS6_11hip_rocprim26transform_input_iterator_tIbNSD_35transform_pair_of_input_iterators_tIbNS6_6detail15normal_iteratorINS6_10device_ptrIKyEEEESL_NS6_8equal_toIyEEEENSG_9not_fun_tINSD_8identityEEEEENSD_19counting_iterator_tIlEES8_S8_S8_S8_S8_S8_S8_S8_EEEEPS9_S9_NSD_9__find_if7functorIS9_EEEE10hipError_tPvRmT1_T2_T3_mT4_P12ihipStream_tbEUlT_E0_NS1_11comp_targetILNS1_3genE10ELNS1_11target_archE1200ELNS1_3gpuE4ELNS1_3repE0EEENS1_30default_config_static_selectorELNS0_4arch9wavefront6targetE0EEEvS14_
	.globl	_ZN7rocprim17ROCPRIM_400000_NS6detail17trampoline_kernelINS0_14default_configENS1_22reduce_config_selectorIN6thrust23THRUST_200600_302600_NS5tupleIblNS6_9null_typeES8_S8_S8_S8_S8_S8_S8_EEEEZNS1_11reduce_implILb1ES3_NS6_12zip_iteratorINS7_INS6_11hip_rocprim26transform_input_iterator_tIbNSD_35transform_pair_of_input_iterators_tIbNS6_6detail15normal_iteratorINS6_10device_ptrIKyEEEESL_NS6_8equal_toIyEEEENSG_9not_fun_tINSD_8identityEEEEENSD_19counting_iterator_tIlEES8_S8_S8_S8_S8_S8_S8_S8_EEEEPS9_S9_NSD_9__find_if7functorIS9_EEEE10hipError_tPvRmT1_T2_T3_mT4_P12ihipStream_tbEUlT_E0_NS1_11comp_targetILNS1_3genE10ELNS1_11target_archE1200ELNS1_3gpuE4ELNS1_3repE0EEENS1_30default_config_static_selectorELNS0_4arch9wavefront6targetE0EEEvS14_
	.p2align	8
	.type	_ZN7rocprim17ROCPRIM_400000_NS6detail17trampoline_kernelINS0_14default_configENS1_22reduce_config_selectorIN6thrust23THRUST_200600_302600_NS5tupleIblNS6_9null_typeES8_S8_S8_S8_S8_S8_S8_EEEEZNS1_11reduce_implILb1ES3_NS6_12zip_iteratorINS7_INS6_11hip_rocprim26transform_input_iterator_tIbNSD_35transform_pair_of_input_iterators_tIbNS6_6detail15normal_iteratorINS6_10device_ptrIKyEEEESL_NS6_8equal_toIyEEEENSG_9not_fun_tINSD_8identityEEEEENSD_19counting_iterator_tIlEES8_S8_S8_S8_S8_S8_S8_S8_EEEEPS9_S9_NSD_9__find_if7functorIS9_EEEE10hipError_tPvRmT1_T2_T3_mT4_P12ihipStream_tbEUlT_E0_NS1_11comp_targetILNS1_3genE10ELNS1_11target_archE1200ELNS1_3gpuE4ELNS1_3repE0EEENS1_30default_config_static_selectorELNS0_4arch9wavefront6targetE0EEEvS14_,@function
_ZN7rocprim17ROCPRIM_400000_NS6detail17trampoline_kernelINS0_14default_configENS1_22reduce_config_selectorIN6thrust23THRUST_200600_302600_NS5tupleIblNS6_9null_typeES8_S8_S8_S8_S8_S8_S8_EEEEZNS1_11reduce_implILb1ES3_NS6_12zip_iteratorINS7_INS6_11hip_rocprim26transform_input_iterator_tIbNSD_35transform_pair_of_input_iterators_tIbNS6_6detail15normal_iteratorINS6_10device_ptrIKyEEEESL_NS6_8equal_toIyEEEENSG_9not_fun_tINSD_8identityEEEEENSD_19counting_iterator_tIlEES8_S8_S8_S8_S8_S8_S8_S8_EEEEPS9_S9_NSD_9__find_if7functorIS9_EEEE10hipError_tPvRmT1_T2_T3_mT4_P12ihipStream_tbEUlT_E0_NS1_11comp_targetILNS1_3genE10ELNS1_11target_archE1200ELNS1_3gpuE4ELNS1_3repE0EEENS1_30default_config_static_selectorELNS0_4arch9wavefront6targetE0EEEvS14_: ; @_ZN7rocprim17ROCPRIM_400000_NS6detail17trampoline_kernelINS0_14default_configENS1_22reduce_config_selectorIN6thrust23THRUST_200600_302600_NS5tupleIblNS6_9null_typeES8_S8_S8_S8_S8_S8_S8_EEEEZNS1_11reduce_implILb1ES3_NS6_12zip_iteratorINS7_INS6_11hip_rocprim26transform_input_iterator_tIbNSD_35transform_pair_of_input_iterators_tIbNS6_6detail15normal_iteratorINS6_10device_ptrIKyEEEESL_NS6_8equal_toIyEEEENSG_9not_fun_tINSD_8identityEEEEENSD_19counting_iterator_tIlEES8_S8_S8_S8_S8_S8_S8_S8_EEEEPS9_S9_NSD_9__find_if7functorIS9_EEEE10hipError_tPvRmT1_T2_T3_mT4_P12ihipStream_tbEUlT_E0_NS1_11comp_targetILNS1_3genE10ELNS1_11target_archE1200ELNS1_3gpuE4ELNS1_3repE0EEENS1_30default_config_static_selectorELNS0_4arch9wavefront6targetE0EEEvS14_
; %bb.0:
	.section	.rodata,"a",@progbits
	.p2align	6, 0x0
	.amdhsa_kernel _ZN7rocprim17ROCPRIM_400000_NS6detail17trampoline_kernelINS0_14default_configENS1_22reduce_config_selectorIN6thrust23THRUST_200600_302600_NS5tupleIblNS6_9null_typeES8_S8_S8_S8_S8_S8_S8_EEEEZNS1_11reduce_implILb1ES3_NS6_12zip_iteratorINS7_INS6_11hip_rocprim26transform_input_iterator_tIbNSD_35transform_pair_of_input_iterators_tIbNS6_6detail15normal_iteratorINS6_10device_ptrIKyEEEESL_NS6_8equal_toIyEEEENSG_9not_fun_tINSD_8identityEEEEENSD_19counting_iterator_tIlEES8_S8_S8_S8_S8_S8_S8_S8_EEEEPS9_S9_NSD_9__find_if7functorIS9_EEEE10hipError_tPvRmT1_T2_T3_mT4_P12ihipStream_tbEUlT_E0_NS1_11comp_targetILNS1_3genE10ELNS1_11target_archE1200ELNS1_3gpuE4ELNS1_3repE0EEENS1_30default_config_static_selectorELNS0_4arch9wavefront6targetE0EEEvS14_
		.amdhsa_group_segment_fixed_size 0
		.amdhsa_private_segment_fixed_size 0
		.amdhsa_kernarg_size 104
		.amdhsa_user_sgpr_count 6
		.amdhsa_user_sgpr_private_segment_buffer 1
		.amdhsa_user_sgpr_dispatch_ptr 0
		.amdhsa_user_sgpr_queue_ptr 0
		.amdhsa_user_sgpr_kernarg_segment_ptr 1
		.amdhsa_user_sgpr_dispatch_id 0
		.amdhsa_user_sgpr_flat_scratch_init 0
		.amdhsa_user_sgpr_private_segment_size 0
		.amdhsa_wavefront_size32 1
		.amdhsa_uses_dynamic_stack 0
		.amdhsa_system_sgpr_private_segment_wavefront_offset 0
		.amdhsa_system_sgpr_workgroup_id_x 1
		.amdhsa_system_sgpr_workgroup_id_y 0
		.amdhsa_system_sgpr_workgroup_id_z 0
		.amdhsa_system_sgpr_workgroup_info 0
		.amdhsa_system_vgpr_workitem_id 0
		.amdhsa_next_free_vgpr 1
		.amdhsa_next_free_sgpr 1
		.amdhsa_reserve_vcc 0
		.amdhsa_reserve_flat_scratch 0
		.amdhsa_float_round_mode_32 0
		.amdhsa_float_round_mode_16_64 0
		.amdhsa_float_denorm_mode_32 3
		.amdhsa_float_denorm_mode_16_64 3
		.amdhsa_dx10_clamp 1
		.amdhsa_ieee_mode 1
		.amdhsa_fp16_overflow 0
		.amdhsa_workgroup_processor_mode 1
		.amdhsa_memory_ordered 1
		.amdhsa_forward_progress 1
		.amdhsa_shared_vgpr_count 0
		.amdhsa_exception_fp_ieee_invalid_op 0
		.amdhsa_exception_fp_denorm_src 0
		.amdhsa_exception_fp_ieee_div_zero 0
		.amdhsa_exception_fp_ieee_overflow 0
		.amdhsa_exception_fp_ieee_underflow 0
		.amdhsa_exception_fp_ieee_inexact 0
		.amdhsa_exception_int_div_zero 0
	.end_amdhsa_kernel
	.section	.text._ZN7rocprim17ROCPRIM_400000_NS6detail17trampoline_kernelINS0_14default_configENS1_22reduce_config_selectorIN6thrust23THRUST_200600_302600_NS5tupleIblNS6_9null_typeES8_S8_S8_S8_S8_S8_S8_EEEEZNS1_11reduce_implILb1ES3_NS6_12zip_iteratorINS7_INS6_11hip_rocprim26transform_input_iterator_tIbNSD_35transform_pair_of_input_iterators_tIbNS6_6detail15normal_iteratorINS6_10device_ptrIKyEEEESL_NS6_8equal_toIyEEEENSG_9not_fun_tINSD_8identityEEEEENSD_19counting_iterator_tIlEES8_S8_S8_S8_S8_S8_S8_S8_EEEEPS9_S9_NSD_9__find_if7functorIS9_EEEE10hipError_tPvRmT1_T2_T3_mT4_P12ihipStream_tbEUlT_E0_NS1_11comp_targetILNS1_3genE10ELNS1_11target_archE1200ELNS1_3gpuE4ELNS1_3repE0EEENS1_30default_config_static_selectorELNS0_4arch9wavefront6targetE0EEEvS14_,"axG",@progbits,_ZN7rocprim17ROCPRIM_400000_NS6detail17trampoline_kernelINS0_14default_configENS1_22reduce_config_selectorIN6thrust23THRUST_200600_302600_NS5tupleIblNS6_9null_typeES8_S8_S8_S8_S8_S8_S8_EEEEZNS1_11reduce_implILb1ES3_NS6_12zip_iteratorINS7_INS6_11hip_rocprim26transform_input_iterator_tIbNSD_35transform_pair_of_input_iterators_tIbNS6_6detail15normal_iteratorINS6_10device_ptrIKyEEEESL_NS6_8equal_toIyEEEENSG_9not_fun_tINSD_8identityEEEEENSD_19counting_iterator_tIlEES8_S8_S8_S8_S8_S8_S8_S8_EEEEPS9_S9_NSD_9__find_if7functorIS9_EEEE10hipError_tPvRmT1_T2_T3_mT4_P12ihipStream_tbEUlT_E0_NS1_11comp_targetILNS1_3genE10ELNS1_11target_archE1200ELNS1_3gpuE4ELNS1_3repE0EEENS1_30default_config_static_selectorELNS0_4arch9wavefront6targetE0EEEvS14_,comdat
.Lfunc_end113:
	.size	_ZN7rocprim17ROCPRIM_400000_NS6detail17trampoline_kernelINS0_14default_configENS1_22reduce_config_selectorIN6thrust23THRUST_200600_302600_NS5tupleIblNS6_9null_typeES8_S8_S8_S8_S8_S8_S8_EEEEZNS1_11reduce_implILb1ES3_NS6_12zip_iteratorINS7_INS6_11hip_rocprim26transform_input_iterator_tIbNSD_35transform_pair_of_input_iterators_tIbNS6_6detail15normal_iteratorINS6_10device_ptrIKyEEEESL_NS6_8equal_toIyEEEENSG_9not_fun_tINSD_8identityEEEEENSD_19counting_iterator_tIlEES8_S8_S8_S8_S8_S8_S8_S8_EEEEPS9_S9_NSD_9__find_if7functorIS9_EEEE10hipError_tPvRmT1_T2_T3_mT4_P12ihipStream_tbEUlT_E0_NS1_11comp_targetILNS1_3genE10ELNS1_11target_archE1200ELNS1_3gpuE4ELNS1_3repE0EEENS1_30default_config_static_selectorELNS0_4arch9wavefront6targetE0EEEvS14_, .Lfunc_end113-_ZN7rocprim17ROCPRIM_400000_NS6detail17trampoline_kernelINS0_14default_configENS1_22reduce_config_selectorIN6thrust23THRUST_200600_302600_NS5tupleIblNS6_9null_typeES8_S8_S8_S8_S8_S8_S8_EEEEZNS1_11reduce_implILb1ES3_NS6_12zip_iteratorINS7_INS6_11hip_rocprim26transform_input_iterator_tIbNSD_35transform_pair_of_input_iterators_tIbNS6_6detail15normal_iteratorINS6_10device_ptrIKyEEEESL_NS6_8equal_toIyEEEENSG_9not_fun_tINSD_8identityEEEEENSD_19counting_iterator_tIlEES8_S8_S8_S8_S8_S8_S8_S8_EEEEPS9_S9_NSD_9__find_if7functorIS9_EEEE10hipError_tPvRmT1_T2_T3_mT4_P12ihipStream_tbEUlT_E0_NS1_11comp_targetILNS1_3genE10ELNS1_11target_archE1200ELNS1_3gpuE4ELNS1_3repE0EEENS1_30default_config_static_selectorELNS0_4arch9wavefront6targetE0EEEvS14_
                                        ; -- End function
	.set _ZN7rocprim17ROCPRIM_400000_NS6detail17trampoline_kernelINS0_14default_configENS1_22reduce_config_selectorIN6thrust23THRUST_200600_302600_NS5tupleIblNS6_9null_typeES8_S8_S8_S8_S8_S8_S8_EEEEZNS1_11reduce_implILb1ES3_NS6_12zip_iteratorINS7_INS6_11hip_rocprim26transform_input_iterator_tIbNSD_35transform_pair_of_input_iterators_tIbNS6_6detail15normal_iteratorINS6_10device_ptrIKyEEEESL_NS6_8equal_toIyEEEENSG_9not_fun_tINSD_8identityEEEEENSD_19counting_iterator_tIlEES8_S8_S8_S8_S8_S8_S8_S8_EEEEPS9_S9_NSD_9__find_if7functorIS9_EEEE10hipError_tPvRmT1_T2_T3_mT4_P12ihipStream_tbEUlT_E0_NS1_11comp_targetILNS1_3genE10ELNS1_11target_archE1200ELNS1_3gpuE4ELNS1_3repE0EEENS1_30default_config_static_selectorELNS0_4arch9wavefront6targetE0EEEvS14_.num_vgpr, 0
	.set _ZN7rocprim17ROCPRIM_400000_NS6detail17trampoline_kernelINS0_14default_configENS1_22reduce_config_selectorIN6thrust23THRUST_200600_302600_NS5tupleIblNS6_9null_typeES8_S8_S8_S8_S8_S8_S8_EEEEZNS1_11reduce_implILb1ES3_NS6_12zip_iteratorINS7_INS6_11hip_rocprim26transform_input_iterator_tIbNSD_35transform_pair_of_input_iterators_tIbNS6_6detail15normal_iteratorINS6_10device_ptrIKyEEEESL_NS6_8equal_toIyEEEENSG_9not_fun_tINSD_8identityEEEEENSD_19counting_iterator_tIlEES8_S8_S8_S8_S8_S8_S8_S8_EEEEPS9_S9_NSD_9__find_if7functorIS9_EEEE10hipError_tPvRmT1_T2_T3_mT4_P12ihipStream_tbEUlT_E0_NS1_11comp_targetILNS1_3genE10ELNS1_11target_archE1200ELNS1_3gpuE4ELNS1_3repE0EEENS1_30default_config_static_selectorELNS0_4arch9wavefront6targetE0EEEvS14_.num_agpr, 0
	.set _ZN7rocprim17ROCPRIM_400000_NS6detail17trampoline_kernelINS0_14default_configENS1_22reduce_config_selectorIN6thrust23THRUST_200600_302600_NS5tupleIblNS6_9null_typeES8_S8_S8_S8_S8_S8_S8_EEEEZNS1_11reduce_implILb1ES3_NS6_12zip_iteratorINS7_INS6_11hip_rocprim26transform_input_iterator_tIbNSD_35transform_pair_of_input_iterators_tIbNS6_6detail15normal_iteratorINS6_10device_ptrIKyEEEESL_NS6_8equal_toIyEEEENSG_9not_fun_tINSD_8identityEEEEENSD_19counting_iterator_tIlEES8_S8_S8_S8_S8_S8_S8_S8_EEEEPS9_S9_NSD_9__find_if7functorIS9_EEEE10hipError_tPvRmT1_T2_T3_mT4_P12ihipStream_tbEUlT_E0_NS1_11comp_targetILNS1_3genE10ELNS1_11target_archE1200ELNS1_3gpuE4ELNS1_3repE0EEENS1_30default_config_static_selectorELNS0_4arch9wavefront6targetE0EEEvS14_.numbered_sgpr, 0
	.set _ZN7rocprim17ROCPRIM_400000_NS6detail17trampoline_kernelINS0_14default_configENS1_22reduce_config_selectorIN6thrust23THRUST_200600_302600_NS5tupleIblNS6_9null_typeES8_S8_S8_S8_S8_S8_S8_EEEEZNS1_11reduce_implILb1ES3_NS6_12zip_iteratorINS7_INS6_11hip_rocprim26transform_input_iterator_tIbNSD_35transform_pair_of_input_iterators_tIbNS6_6detail15normal_iteratorINS6_10device_ptrIKyEEEESL_NS6_8equal_toIyEEEENSG_9not_fun_tINSD_8identityEEEEENSD_19counting_iterator_tIlEES8_S8_S8_S8_S8_S8_S8_S8_EEEEPS9_S9_NSD_9__find_if7functorIS9_EEEE10hipError_tPvRmT1_T2_T3_mT4_P12ihipStream_tbEUlT_E0_NS1_11comp_targetILNS1_3genE10ELNS1_11target_archE1200ELNS1_3gpuE4ELNS1_3repE0EEENS1_30default_config_static_selectorELNS0_4arch9wavefront6targetE0EEEvS14_.num_named_barrier, 0
	.set _ZN7rocprim17ROCPRIM_400000_NS6detail17trampoline_kernelINS0_14default_configENS1_22reduce_config_selectorIN6thrust23THRUST_200600_302600_NS5tupleIblNS6_9null_typeES8_S8_S8_S8_S8_S8_S8_EEEEZNS1_11reduce_implILb1ES3_NS6_12zip_iteratorINS7_INS6_11hip_rocprim26transform_input_iterator_tIbNSD_35transform_pair_of_input_iterators_tIbNS6_6detail15normal_iteratorINS6_10device_ptrIKyEEEESL_NS6_8equal_toIyEEEENSG_9not_fun_tINSD_8identityEEEEENSD_19counting_iterator_tIlEES8_S8_S8_S8_S8_S8_S8_S8_EEEEPS9_S9_NSD_9__find_if7functorIS9_EEEE10hipError_tPvRmT1_T2_T3_mT4_P12ihipStream_tbEUlT_E0_NS1_11comp_targetILNS1_3genE10ELNS1_11target_archE1200ELNS1_3gpuE4ELNS1_3repE0EEENS1_30default_config_static_selectorELNS0_4arch9wavefront6targetE0EEEvS14_.private_seg_size, 0
	.set _ZN7rocprim17ROCPRIM_400000_NS6detail17trampoline_kernelINS0_14default_configENS1_22reduce_config_selectorIN6thrust23THRUST_200600_302600_NS5tupleIblNS6_9null_typeES8_S8_S8_S8_S8_S8_S8_EEEEZNS1_11reduce_implILb1ES3_NS6_12zip_iteratorINS7_INS6_11hip_rocprim26transform_input_iterator_tIbNSD_35transform_pair_of_input_iterators_tIbNS6_6detail15normal_iteratorINS6_10device_ptrIKyEEEESL_NS6_8equal_toIyEEEENSG_9not_fun_tINSD_8identityEEEEENSD_19counting_iterator_tIlEES8_S8_S8_S8_S8_S8_S8_S8_EEEEPS9_S9_NSD_9__find_if7functorIS9_EEEE10hipError_tPvRmT1_T2_T3_mT4_P12ihipStream_tbEUlT_E0_NS1_11comp_targetILNS1_3genE10ELNS1_11target_archE1200ELNS1_3gpuE4ELNS1_3repE0EEENS1_30default_config_static_selectorELNS0_4arch9wavefront6targetE0EEEvS14_.uses_vcc, 0
	.set _ZN7rocprim17ROCPRIM_400000_NS6detail17trampoline_kernelINS0_14default_configENS1_22reduce_config_selectorIN6thrust23THRUST_200600_302600_NS5tupleIblNS6_9null_typeES8_S8_S8_S8_S8_S8_S8_EEEEZNS1_11reduce_implILb1ES3_NS6_12zip_iteratorINS7_INS6_11hip_rocprim26transform_input_iterator_tIbNSD_35transform_pair_of_input_iterators_tIbNS6_6detail15normal_iteratorINS6_10device_ptrIKyEEEESL_NS6_8equal_toIyEEEENSG_9not_fun_tINSD_8identityEEEEENSD_19counting_iterator_tIlEES8_S8_S8_S8_S8_S8_S8_S8_EEEEPS9_S9_NSD_9__find_if7functorIS9_EEEE10hipError_tPvRmT1_T2_T3_mT4_P12ihipStream_tbEUlT_E0_NS1_11comp_targetILNS1_3genE10ELNS1_11target_archE1200ELNS1_3gpuE4ELNS1_3repE0EEENS1_30default_config_static_selectorELNS0_4arch9wavefront6targetE0EEEvS14_.uses_flat_scratch, 0
	.set _ZN7rocprim17ROCPRIM_400000_NS6detail17trampoline_kernelINS0_14default_configENS1_22reduce_config_selectorIN6thrust23THRUST_200600_302600_NS5tupleIblNS6_9null_typeES8_S8_S8_S8_S8_S8_S8_EEEEZNS1_11reduce_implILb1ES3_NS6_12zip_iteratorINS7_INS6_11hip_rocprim26transform_input_iterator_tIbNSD_35transform_pair_of_input_iterators_tIbNS6_6detail15normal_iteratorINS6_10device_ptrIKyEEEESL_NS6_8equal_toIyEEEENSG_9not_fun_tINSD_8identityEEEEENSD_19counting_iterator_tIlEES8_S8_S8_S8_S8_S8_S8_S8_EEEEPS9_S9_NSD_9__find_if7functorIS9_EEEE10hipError_tPvRmT1_T2_T3_mT4_P12ihipStream_tbEUlT_E0_NS1_11comp_targetILNS1_3genE10ELNS1_11target_archE1200ELNS1_3gpuE4ELNS1_3repE0EEENS1_30default_config_static_selectorELNS0_4arch9wavefront6targetE0EEEvS14_.has_dyn_sized_stack, 0
	.set _ZN7rocprim17ROCPRIM_400000_NS6detail17trampoline_kernelINS0_14default_configENS1_22reduce_config_selectorIN6thrust23THRUST_200600_302600_NS5tupleIblNS6_9null_typeES8_S8_S8_S8_S8_S8_S8_EEEEZNS1_11reduce_implILb1ES3_NS6_12zip_iteratorINS7_INS6_11hip_rocprim26transform_input_iterator_tIbNSD_35transform_pair_of_input_iterators_tIbNS6_6detail15normal_iteratorINS6_10device_ptrIKyEEEESL_NS6_8equal_toIyEEEENSG_9not_fun_tINSD_8identityEEEEENSD_19counting_iterator_tIlEES8_S8_S8_S8_S8_S8_S8_S8_EEEEPS9_S9_NSD_9__find_if7functorIS9_EEEE10hipError_tPvRmT1_T2_T3_mT4_P12ihipStream_tbEUlT_E0_NS1_11comp_targetILNS1_3genE10ELNS1_11target_archE1200ELNS1_3gpuE4ELNS1_3repE0EEENS1_30default_config_static_selectorELNS0_4arch9wavefront6targetE0EEEvS14_.has_recursion, 0
	.set _ZN7rocprim17ROCPRIM_400000_NS6detail17trampoline_kernelINS0_14default_configENS1_22reduce_config_selectorIN6thrust23THRUST_200600_302600_NS5tupleIblNS6_9null_typeES8_S8_S8_S8_S8_S8_S8_EEEEZNS1_11reduce_implILb1ES3_NS6_12zip_iteratorINS7_INS6_11hip_rocprim26transform_input_iterator_tIbNSD_35transform_pair_of_input_iterators_tIbNS6_6detail15normal_iteratorINS6_10device_ptrIKyEEEESL_NS6_8equal_toIyEEEENSG_9not_fun_tINSD_8identityEEEEENSD_19counting_iterator_tIlEES8_S8_S8_S8_S8_S8_S8_S8_EEEEPS9_S9_NSD_9__find_if7functorIS9_EEEE10hipError_tPvRmT1_T2_T3_mT4_P12ihipStream_tbEUlT_E0_NS1_11comp_targetILNS1_3genE10ELNS1_11target_archE1200ELNS1_3gpuE4ELNS1_3repE0EEENS1_30default_config_static_selectorELNS0_4arch9wavefront6targetE0EEEvS14_.has_indirect_call, 0
	.section	.AMDGPU.csdata,"",@progbits
; Kernel info:
; codeLenInByte = 0
; TotalNumSgprs: 0
; NumVgprs: 0
; ScratchSize: 0
; MemoryBound: 0
; FloatMode: 240
; IeeeMode: 1
; LDSByteSize: 0 bytes/workgroup (compile time only)
; SGPRBlocks: 0
; VGPRBlocks: 0
; NumSGPRsForWavesPerEU: 1
; NumVGPRsForWavesPerEU: 1
; Occupancy: 16
; WaveLimiterHint : 0
; COMPUTE_PGM_RSRC2:SCRATCH_EN: 0
; COMPUTE_PGM_RSRC2:USER_SGPR: 6
; COMPUTE_PGM_RSRC2:TRAP_HANDLER: 0
; COMPUTE_PGM_RSRC2:TGID_X_EN: 1
; COMPUTE_PGM_RSRC2:TGID_Y_EN: 0
; COMPUTE_PGM_RSRC2:TGID_Z_EN: 0
; COMPUTE_PGM_RSRC2:TIDIG_COMP_CNT: 0
	.section	.text._ZN7rocprim17ROCPRIM_400000_NS6detail17trampoline_kernelINS0_14default_configENS1_22reduce_config_selectorIN6thrust23THRUST_200600_302600_NS5tupleIblNS6_9null_typeES8_S8_S8_S8_S8_S8_S8_EEEEZNS1_11reduce_implILb1ES3_NS6_12zip_iteratorINS7_INS6_11hip_rocprim26transform_input_iterator_tIbNSD_35transform_pair_of_input_iterators_tIbNS6_6detail15normal_iteratorINS6_10device_ptrIKyEEEESL_NS6_8equal_toIyEEEENSG_9not_fun_tINSD_8identityEEEEENSD_19counting_iterator_tIlEES8_S8_S8_S8_S8_S8_S8_S8_EEEEPS9_S9_NSD_9__find_if7functorIS9_EEEE10hipError_tPvRmT1_T2_T3_mT4_P12ihipStream_tbEUlT_E0_NS1_11comp_targetILNS1_3genE9ELNS1_11target_archE1100ELNS1_3gpuE3ELNS1_3repE0EEENS1_30default_config_static_selectorELNS0_4arch9wavefront6targetE0EEEvS14_,"axG",@progbits,_ZN7rocprim17ROCPRIM_400000_NS6detail17trampoline_kernelINS0_14default_configENS1_22reduce_config_selectorIN6thrust23THRUST_200600_302600_NS5tupleIblNS6_9null_typeES8_S8_S8_S8_S8_S8_S8_EEEEZNS1_11reduce_implILb1ES3_NS6_12zip_iteratorINS7_INS6_11hip_rocprim26transform_input_iterator_tIbNSD_35transform_pair_of_input_iterators_tIbNS6_6detail15normal_iteratorINS6_10device_ptrIKyEEEESL_NS6_8equal_toIyEEEENSG_9not_fun_tINSD_8identityEEEEENSD_19counting_iterator_tIlEES8_S8_S8_S8_S8_S8_S8_S8_EEEEPS9_S9_NSD_9__find_if7functorIS9_EEEE10hipError_tPvRmT1_T2_T3_mT4_P12ihipStream_tbEUlT_E0_NS1_11comp_targetILNS1_3genE9ELNS1_11target_archE1100ELNS1_3gpuE3ELNS1_3repE0EEENS1_30default_config_static_selectorELNS0_4arch9wavefront6targetE0EEEvS14_,comdat
	.protected	_ZN7rocprim17ROCPRIM_400000_NS6detail17trampoline_kernelINS0_14default_configENS1_22reduce_config_selectorIN6thrust23THRUST_200600_302600_NS5tupleIblNS6_9null_typeES8_S8_S8_S8_S8_S8_S8_EEEEZNS1_11reduce_implILb1ES3_NS6_12zip_iteratorINS7_INS6_11hip_rocprim26transform_input_iterator_tIbNSD_35transform_pair_of_input_iterators_tIbNS6_6detail15normal_iteratorINS6_10device_ptrIKyEEEESL_NS6_8equal_toIyEEEENSG_9not_fun_tINSD_8identityEEEEENSD_19counting_iterator_tIlEES8_S8_S8_S8_S8_S8_S8_S8_EEEEPS9_S9_NSD_9__find_if7functorIS9_EEEE10hipError_tPvRmT1_T2_T3_mT4_P12ihipStream_tbEUlT_E0_NS1_11comp_targetILNS1_3genE9ELNS1_11target_archE1100ELNS1_3gpuE3ELNS1_3repE0EEENS1_30default_config_static_selectorELNS0_4arch9wavefront6targetE0EEEvS14_ ; -- Begin function _ZN7rocprim17ROCPRIM_400000_NS6detail17trampoline_kernelINS0_14default_configENS1_22reduce_config_selectorIN6thrust23THRUST_200600_302600_NS5tupleIblNS6_9null_typeES8_S8_S8_S8_S8_S8_S8_EEEEZNS1_11reduce_implILb1ES3_NS6_12zip_iteratorINS7_INS6_11hip_rocprim26transform_input_iterator_tIbNSD_35transform_pair_of_input_iterators_tIbNS6_6detail15normal_iteratorINS6_10device_ptrIKyEEEESL_NS6_8equal_toIyEEEENSG_9not_fun_tINSD_8identityEEEEENSD_19counting_iterator_tIlEES8_S8_S8_S8_S8_S8_S8_S8_EEEEPS9_S9_NSD_9__find_if7functorIS9_EEEE10hipError_tPvRmT1_T2_T3_mT4_P12ihipStream_tbEUlT_E0_NS1_11comp_targetILNS1_3genE9ELNS1_11target_archE1100ELNS1_3gpuE3ELNS1_3repE0EEENS1_30default_config_static_selectorELNS0_4arch9wavefront6targetE0EEEvS14_
	.globl	_ZN7rocprim17ROCPRIM_400000_NS6detail17trampoline_kernelINS0_14default_configENS1_22reduce_config_selectorIN6thrust23THRUST_200600_302600_NS5tupleIblNS6_9null_typeES8_S8_S8_S8_S8_S8_S8_EEEEZNS1_11reduce_implILb1ES3_NS6_12zip_iteratorINS7_INS6_11hip_rocprim26transform_input_iterator_tIbNSD_35transform_pair_of_input_iterators_tIbNS6_6detail15normal_iteratorINS6_10device_ptrIKyEEEESL_NS6_8equal_toIyEEEENSG_9not_fun_tINSD_8identityEEEEENSD_19counting_iterator_tIlEES8_S8_S8_S8_S8_S8_S8_S8_EEEEPS9_S9_NSD_9__find_if7functorIS9_EEEE10hipError_tPvRmT1_T2_T3_mT4_P12ihipStream_tbEUlT_E0_NS1_11comp_targetILNS1_3genE9ELNS1_11target_archE1100ELNS1_3gpuE3ELNS1_3repE0EEENS1_30default_config_static_selectorELNS0_4arch9wavefront6targetE0EEEvS14_
	.p2align	8
	.type	_ZN7rocprim17ROCPRIM_400000_NS6detail17trampoline_kernelINS0_14default_configENS1_22reduce_config_selectorIN6thrust23THRUST_200600_302600_NS5tupleIblNS6_9null_typeES8_S8_S8_S8_S8_S8_S8_EEEEZNS1_11reduce_implILb1ES3_NS6_12zip_iteratorINS7_INS6_11hip_rocprim26transform_input_iterator_tIbNSD_35transform_pair_of_input_iterators_tIbNS6_6detail15normal_iteratorINS6_10device_ptrIKyEEEESL_NS6_8equal_toIyEEEENSG_9not_fun_tINSD_8identityEEEEENSD_19counting_iterator_tIlEES8_S8_S8_S8_S8_S8_S8_S8_EEEEPS9_S9_NSD_9__find_if7functorIS9_EEEE10hipError_tPvRmT1_T2_T3_mT4_P12ihipStream_tbEUlT_E0_NS1_11comp_targetILNS1_3genE9ELNS1_11target_archE1100ELNS1_3gpuE3ELNS1_3repE0EEENS1_30default_config_static_selectorELNS0_4arch9wavefront6targetE0EEEvS14_,@function
_ZN7rocprim17ROCPRIM_400000_NS6detail17trampoline_kernelINS0_14default_configENS1_22reduce_config_selectorIN6thrust23THRUST_200600_302600_NS5tupleIblNS6_9null_typeES8_S8_S8_S8_S8_S8_S8_EEEEZNS1_11reduce_implILb1ES3_NS6_12zip_iteratorINS7_INS6_11hip_rocprim26transform_input_iterator_tIbNSD_35transform_pair_of_input_iterators_tIbNS6_6detail15normal_iteratorINS6_10device_ptrIKyEEEESL_NS6_8equal_toIyEEEENSG_9not_fun_tINSD_8identityEEEEENSD_19counting_iterator_tIlEES8_S8_S8_S8_S8_S8_S8_S8_EEEEPS9_S9_NSD_9__find_if7functorIS9_EEEE10hipError_tPvRmT1_T2_T3_mT4_P12ihipStream_tbEUlT_E0_NS1_11comp_targetILNS1_3genE9ELNS1_11target_archE1100ELNS1_3gpuE3ELNS1_3repE0EEENS1_30default_config_static_selectorELNS0_4arch9wavefront6targetE0EEEvS14_: ; @_ZN7rocprim17ROCPRIM_400000_NS6detail17trampoline_kernelINS0_14default_configENS1_22reduce_config_selectorIN6thrust23THRUST_200600_302600_NS5tupleIblNS6_9null_typeES8_S8_S8_S8_S8_S8_S8_EEEEZNS1_11reduce_implILb1ES3_NS6_12zip_iteratorINS7_INS6_11hip_rocprim26transform_input_iterator_tIbNSD_35transform_pair_of_input_iterators_tIbNS6_6detail15normal_iteratorINS6_10device_ptrIKyEEEESL_NS6_8equal_toIyEEEENSG_9not_fun_tINSD_8identityEEEEENSD_19counting_iterator_tIlEES8_S8_S8_S8_S8_S8_S8_S8_EEEEPS9_S9_NSD_9__find_if7functorIS9_EEEE10hipError_tPvRmT1_T2_T3_mT4_P12ihipStream_tbEUlT_E0_NS1_11comp_targetILNS1_3genE9ELNS1_11target_archE1100ELNS1_3gpuE3ELNS1_3repE0EEENS1_30default_config_static_selectorELNS0_4arch9wavefront6targetE0EEEvS14_
; %bb.0:
	.section	.rodata,"a",@progbits
	.p2align	6, 0x0
	.amdhsa_kernel _ZN7rocprim17ROCPRIM_400000_NS6detail17trampoline_kernelINS0_14default_configENS1_22reduce_config_selectorIN6thrust23THRUST_200600_302600_NS5tupleIblNS6_9null_typeES8_S8_S8_S8_S8_S8_S8_EEEEZNS1_11reduce_implILb1ES3_NS6_12zip_iteratorINS7_INS6_11hip_rocprim26transform_input_iterator_tIbNSD_35transform_pair_of_input_iterators_tIbNS6_6detail15normal_iteratorINS6_10device_ptrIKyEEEESL_NS6_8equal_toIyEEEENSG_9not_fun_tINSD_8identityEEEEENSD_19counting_iterator_tIlEES8_S8_S8_S8_S8_S8_S8_S8_EEEEPS9_S9_NSD_9__find_if7functorIS9_EEEE10hipError_tPvRmT1_T2_T3_mT4_P12ihipStream_tbEUlT_E0_NS1_11comp_targetILNS1_3genE9ELNS1_11target_archE1100ELNS1_3gpuE3ELNS1_3repE0EEENS1_30default_config_static_selectorELNS0_4arch9wavefront6targetE0EEEvS14_
		.amdhsa_group_segment_fixed_size 0
		.amdhsa_private_segment_fixed_size 0
		.amdhsa_kernarg_size 104
		.amdhsa_user_sgpr_count 6
		.amdhsa_user_sgpr_private_segment_buffer 1
		.amdhsa_user_sgpr_dispatch_ptr 0
		.amdhsa_user_sgpr_queue_ptr 0
		.amdhsa_user_sgpr_kernarg_segment_ptr 1
		.amdhsa_user_sgpr_dispatch_id 0
		.amdhsa_user_sgpr_flat_scratch_init 0
		.amdhsa_user_sgpr_private_segment_size 0
		.amdhsa_wavefront_size32 1
		.amdhsa_uses_dynamic_stack 0
		.amdhsa_system_sgpr_private_segment_wavefront_offset 0
		.amdhsa_system_sgpr_workgroup_id_x 1
		.amdhsa_system_sgpr_workgroup_id_y 0
		.amdhsa_system_sgpr_workgroup_id_z 0
		.amdhsa_system_sgpr_workgroup_info 0
		.amdhsa_system_vgpr_workitem_id 0
		.amdhsa_next_free_vgpr 1
		.amdhsa_next_free_sgpr 1
		.amdhsa_reserve_vcc 0
		.amdhsa_reserve_flat_scratch 0
		.amdhsa_float_round_mode_32 0
		.amdhsa_float_round_mode_16_64 0
		.amdhsa_float_denorm_mode_32 3
		.amdhsa_float_denorm_mode_16_64 3
		.amdhsa_dx10_clamp 1
		.amdhsa_ieee_mode 1
		.amdhsa_fp16_overflow 0
		.amdhsa_workgroup_processor_mode 1
		.amdhsa_memory_ordered 1
		.amdhsa_forward_progress 1
		.amdhsa_shared_vgpr_count 0
		.amdhsa_exception_fp_ieee_invalid_op 0
		.amdhsa_exception_fp_denorm_src 0
		.amdhsa_exception_fp_ieee_div_zero 0
		.amdhsa_exception_fp_ieee_overflow 0
		.amdhsa_exception_fp_ieee_underflow 0
		.amdhsa_exception_fp_ieee_inexact 0
		.amdhsa_exception_int_div_zero 0
	.end_amdhsa_kernel
	.section	.text._ZN7rocprim17ROCPRIM_400000_NS6detail17trampoline_kernelINS0_14default_configENS1_22reduce_config_selectorIN6thrust23THRUST_200600_302600_NS5tupleIblNS6_9null_typeES8_S8_S8_S8_S8_S8_S8_EEEEZNS1_11reduce_implILb1ES3_NS6_12zip_iteratorINS7_INS6_11hip_rocprim26transform_input_iterator_tIbNSD_35transform_pair_of_input_iterators_tIbNS6_6detail15normal_iteratorINS6_10device_ptrIKyEEEESL_NS6_8equal_toIyEEEENSG_9not_fun_tINSD_8identityEEEEENSD_19counting_iterator_tIlEES8_S8_S8_S8_S8_S8_S8_S8_EEEEPS9_S9_NSD_9__find_if7functorIS9_EEEE10hipError_tPvRmT1_T2_T3_mT4_P12ihipStream_tbEUlT_E0_NS1_11comp_targetILNS1_3genE9ELNS1_11target_archE1100ELNS1_3gpuE3ELNS1_3repE0EEENS1_30default_config_static_selectorELNS0_4arch9wavefront6targetE0EEEvS14_,"axG",@progbits,_ZN7rocprim17ROCPRIM_400000_NS6detail17trampoline_kernelINS0_14default_configENS1_22reduce_config_selectorIN6thrust23THRUST_200600_302600_NS5tupleIblNS6_9null_typeES8_S8_S8_S8_S8_S8_S8_EEEEZNS1_11reduce_implILb1ES3_NS6_12zip_iteratorINS7_INS6_11hip_rocprim26transform_input_iterator_tIbNSD_35transform_pair_of_input_iterators_tIbNS6_6detail15normal_iteratorINS6_10device_ptrIKyEEEESL_NS6_8equal_toIyEEEENSG_9not_fun_tINSD_8identityEEEEENSD_19counting_iterator_tIlEES8_S8_S8_S8_S8_S8_S8_S8_EEEEPS9_S9_NSD_9__find_if7functorIS9_EEEE10hipError_tPvRmT1_T2_T3_mT4_P12ihipStream_tbEUlT_E0_NS1_11comp_targetILNS1_3genE9ELNS1_11target_archE1100ELNS1_3gpuE3ELNS1_3repE0EEENS1_30default_config_static_selectorELNS0_4arch9wavefront6targetE0EEEvS14_,comdat
.Lfunc_end114:
	.size	_ZN7rocprim17ROCPRIM_400000_NS6detail17trampoline_kernelINS0_14default_configENS1_22reduce_config_selectorIN6thrust23THRUST_200600_302600_NS5tupleIblNS6_9null_typeES8_S8_S8_S8_S8_S8_S8_EEEEZNS1_11reduce_implILb1ES3_NS6_12zip_iteratorINS7_INS6_11hip_rocprim26transform_input_iterator_tIbNSD_35transform_pair_of_input_iterators_tIbNS6_6detail15normal_iteratorINS6_10device_ptrIKyEEEESL_NS6_8equal_toIyEEEENSG_9not_fun_tINSD_8identityEEEEENSD_19counting_iterator_tIlEES8_S8_S8_S8_S8_S8_S8_S8_EEEEPS9_S9_NSD_9__find_if7functorIS9_EEEE10hipError_tPvRmT1_T2_T3_mT4_P12ihipStream_tbEUlT_E0_NS1_11comp_targetILNS1_3genE9ELNS1_11target_archE1100ELNS1_3gpuE3ELNS1_3repE0EEENS1_30default_config_static_selectorELNS0_4arch9wavefront6targetE0EEEvS14_, .Lfunc_end114-_ZN7rocprim17ROCPRIM_400000_NS6detail17trampoline_kernelINS0_14default_configENS1_22reduce_config_selectorIN6thrust23THRUST_200600_302600_NS5tupleIblNS6_9null_typeES8_S8_S8_S8_S8_S8_S8_EEEEZNS1_11reduce_implILb1ES3_NS6_12zip_iteratorINS7_INS6_11hip_rocprim26transform_input_iterator_tIbNSD_35transform_pair_of_input_iterators_tIbNS6_6detail15normal_iteratorINS6_10device_ptrIKyEEEESL_NS6_8equal_toIyEEEENSG_9not_fun_tINSD_8identityEEEEENSD_19counting_iterator_tIlEES8_S8_S8_S8_S8_S8_S8_S8_EEEEPS9_S9_NSD_9__find_if7functorIS9_EEEE10hipError_tPvRmT1_T2_T3_mT4_P12ihipStream_tbEUlT_E0_NS1_11comp_targetILNS1_3genE9ELNS1_11target_archE1100ELNS1_3gpuE3ELNS1_3repE0EEENS1_30default_config_static_selectorELNS0_4arch9wavefront6targetE0EEEvS14_
                                        ; -- End function
	.set _ZN7rocprim17ROCPRIM_400000_NS6detail17trampoline_kernelINS0_14default_configENS1_22reduce_config_selectorIN6thrust23THRUST_200600_302600_NS5tupleIblNS6_9null_typeES8_S8_S8_S8_S8_S8_S8_EEEEZNS1_11reduce_implILb1ES3_NS6_12zip_iteratorINS7_INS6_11hip_rocprim26transform_input_iterator_tIbNSD_35transform_pair_of_input_iterators_tIbNS6_6detail15normal_iteratorINS6_10device_ptrIKyEEEESL_NS6_8equal_toIyEEEENSG_9not_fun_tINSD_8identityEEEEENSD_19counting_iterator_tIlEES8_S8_S8_S8_S8_S8_S8_S8_EEEEPS9_S9_NSD_9__find_if7functorIS9_EEEE10hipError_tPvRmT1_T2_T3_mT4_P12ihipStream_tbEUlT_E0_NS1_11comp_targetILNS1_3genE9ELNS1_11target_archE1100ELNS1_3gpuE3ELNS1_3repE0EEENS1_30default_config_static_selectorELNS0_4arch9wavefront6targetE0EEEvS14_.num_vgpr, 0
	.set _ZN7rocprim17ROCPRIM_400000_NS6detail17trampoline_kernelINS0_14default_configENS1_22reduce_config_selectorIN6thrust23THRUST_200600_302600_NS5tupleIblNS6_9null_typeES8_S8_S8_S8_S8_S8_S8_EEEEZNS1_11reduce_implILb1ES3_NS6_12zip_iteratorINS7_INS6_11hip_rocprim26transform_input_iterator_tIbNSD_35transform_pair_of_input_iterators_tIbNS6_6detail15normal_iteratorINS6_10device_ptrIKyEEEESL_NS6_8equal_toIyEEEENSG_9not_fun_tINSD_8identityEEEEENSD_19counting_iterator_tIlEES8_S8_S8_S8_S8_S8_S8_S8_EEEEPS9_S9_NSD_9__find_if7functorIS9_EEEE10hipError_tPvRmT1_T2_T3_mT4_P12ihipStream_tbEUlT_E0_NS1_11comp_targetILNS1_3genE9ELNS1_11target_archE1100ELNS1_3gpuE3ELNS1_3repE0EEENS1_30default_config_static_selectorELNS0_4arch9wavefront6targetE0EEEvS14_.num_agpr, 0
	.set _ZN7rocprim17ROCPRIM_400000_NS6detail17trampoline_kernelINS0_14default_configENS1_22reduce_config_selectorIN6thrust23THRUST_200600_302600_NS5tupleIblNS6_9null_typeES8_S8_S8_S8_S8_S8_S8_EEEEZNS1_11reduce_implILb1ES3_NS6_12zip_iteratorINS7_INS6_11hip_rocprim26transform_input_iterator_tIbNSD_35transform_pair_of_input_iterators_tIbNS6_6detail15normal_iteratorINS6_10device_ptrIKyEEEESL_NS6_8equal_toIyEEEENSG_9not_fun_tINSD_8identityEEEEENSD_19counting_iterator_tIlEES8_S8_S8_S8_S8_S8_S8_S8_EEEEPS9_S9_NSD_9__find_if7functorIS9_EEEE10hipError_tPvRmT1_T2_T3_mT4_P12ihipStream_tbEUlT_E0_NS1_11comp_targetILNS1_3genE9ELNS1_11target_archE1100ELNS1_3gpuE3ELNS1_3repE0EEENS1_30default_config_static_selectorELNS0_4arch9wavefront6targetE0EEEvS14_.numbered_sgpr, 0
	.set _ZN7rocprim17ROCPRIM_400000_NS6detail17trampoline_kernelINS0_14default_configENS1_22reduce_config_selectorIN6thrust23THRUST_200600_302600_NS5tupleIblNS6_9null_typeES8_S8_S8_S8_S8_S8_S8_EEEEZNS1_11reduce_implILb1ES3_NS6_12zip_iteratorINS7_INS6_11hip_rocprim26transform_input_iterator_tIbNSD_35transform_pair_of_input_iterators_tIbNS6_6detail15normal_iteratorINS6_10device_ptrIKyEEEESL_NS6_8equal_toIyEEEENSG_9not_fun_tINSD_8identityEEEEENSD_19counting_iterator_tIlEES8_S8_S8_S8_S8_S8_S8_S8_EEEEPS9_S9_NSD_9__find_if7functorIS9_EEEE10hipError_tPvRmT1_T2_T3_mT4_P12ihipStream_tbEUlT_E0_NS1_11comp_targetILNS1_3genE9ELNS1_11target_archE1100ELNS1_3gpuE3ELNS1_3repE0EEENS1_30default_config_static_selectorELNS0_4arch9wavefront6targetE0EEEvS14_.num_named_barrier, 0
	.set _ZN7rocprim17ROCPRIM_400000_NS6detail17trampoline_kernelINS0_14default_configENS1_22reduce_config_selectorIN6thrust23THRUST_200600_302600_NS5tupleIblNS6_9null_typeES8_S8_S8_S8_S8_S8_S8_EEEEZNS1_11reduce_implILb1ES3_NS6_12zip_iteratorINS7_INS6_11hip_rocprim26transform_input_iterator_tIbNSD_35transform_pair_of_input_iterators_tIbNS6_6detail15normal_iteratorINS6_10device_ptrIKyEEEESL_NS6_8equal_toIyEEEENSG_9not_fun_tINSD_8identityEEEEENSD_19counting_iterator_tIlEES8_S8_S8_S8_S8_S8_S8_S8_EEEEPS9_S9_NSD_9__find_if7functorIS9_EEEE10hipError_tPvRmT1_T2_T3_mT4_P12ihipStream_tbEUlT_E0_NS1_11comp_targetILNS1_3genE9ELNS1_11target_archE1100ELNS1_3gpuE3ELNS1_3repE0EEENS1_30default_config_static_selectorELNS0_4arch9wavefront6targetE0EEEvS14_.private_seg_size, 0
	.set _ZN7rocprim17ROCPRIM_400000_NS6detail17trampoline_kernelINS0_14default_configENS1_22reduce_config_selectorIN6thrust23THRUST_200600_302600_NS5tupleIblNS6_9null_typeES8_S8_S8_S8_S8_S8_S8_EEEEZNS1_11reduce_implILb1ES3_NS6_12zip_iteratorINS7_INS6_11hip_rocprim26transform_input_iterator_tIbNSD_35transform_pair_of_input_iterators_tIbNS6_6detail15normal_iteratorINS6_10device_ptrIKyEEEESL_NS6_8equal_toIyEEEENSG_9not_fun_tINSD_8identityEEEEENSD_19counting_iterator_tIlEES8_S8_S8_S8_S8_S8_S8_S8_EEEEPS9_S9_NSD_9__find_if7functorIS9_EEEE10hipError_tPvRmT1_T2_T3_mT4_P12ihipStream_tbEUlT_E0_NS1_11comp_targetILNS1_3genE9ELNS1_11target_archE1100ELNS1_3gpuE3ELNS1_3repE0EEENS1_30default_config_static_selectorELNS0_4arch9wavefront6targetE0EEEvS14_.uses_vcc, 0
	.set _ZN7rocprim17ROCPRIM_400000_NS6detail17trampoline_kernelINS0_14default_configENS1_22reduce_config_selectorIN6thrust23THRUST_200600_302600_NS5tupleIblNS6_9null_typeES8_S8_S8_S8_S8_S8_S8_EEEEZNS1_11reduce_implILb1ES3_NS6_12zip_iteratorINS7_INS6_11hip_rocprim26transform_input_iterator_tIbNSD_35transform_pair_of_input_iterators_tIbNS6_6detail15normal_iteratorINS6_10device_ptrIKyEEEESL_NS6_8equal_toIyEEEENSG_9not_fun_tINSD_8identityEEEEENSD_19counting_iterator_tIlEES8_S8_S8_S8_S8_S8_S8_S8_EEEEPS9_S9_NSD_9__find_if7functorIS9_EEEE10hipError_tPvRmT1_T2_T3_mT4_P12ihipStream_tbEUlT_E0_NS1_11comp_targetILNS1_3genE9ELNS1_11target_archE1100ELNS1_3gpuE3ELNS1_3repE0EEENS1_30default_config_static_selectorELNS0_4arch9wavefront6targetE0EEEvS14_.uses_flat_scratch, 0
	.set _ZN7rocprim17ROCPRIM_400000_NS6detail17trampoline_kernelINS0_14default_configENS1_22reduce_config_selectorIN6thrust23THRUST_200600_302600_NS5tupleIblNS6_9null_typeES8_S8_S8_S8_S8_S8_S8_EEEEZNS1_11reduce_implILb1ES3_NS6_12zip_iteratorINS7_INS6_11hip_rocprim26transform_input_iterator_tIbNSD_35transform_pair_of_input_iterators_tIbNS6_6detail15normal_iteratorINS6_10device_ptrIKyEEEESL_NS6_8equal_toIyEEEENSG_9not_fun_tINSD_8identityEEEEENSD_19counting_iterator_tIlEES8_S8_S8_S8_S8_S8_S8_S8_EEEEPS9_S9_NSD_9__find_if7functorIS9_EEEE10hipError_tPvRmT1_T2_T3_mT4_P12ihipStream_tbEUlT_E0_NS1_11comp_targetILNS1_3genE9ELNS1_11target_archE1100ELNS1_3gpuE3ELNS1_3repE0EEENS1_30default_config_static_selectorELNS0_4arch9wavefront6targetE0EEEvS14_.has_dyn_sized_stack, 0
	.set _ZN7rocprim17ROCPRIM_400000_NS6detail17trampoline_kernelINS0_14default_configENS1_22reduce_config_selectorIN6thrust23THRUST_200600_302600_NS5tupleIblNS6_9null_typeES8_S8_S8_S8_S8_S8_S8_EEEEZNS1_11reduce_implILb1ES3_NS6_12zip_iteratorINS7_INS6_11hip_rocprim26transform_input_iterator_tIbNSD_35transform_pair_of_input_iterators_tIbNS6_6detail15normal_iteratorINS6_10device_ptrIKyEEEESL_NS6_8equal_toIyEEEENSG_9not_fun_tINSD_8identityEEEEENSD_19counting_iterator_tIlEES8_S8_S8_S8_S8_S8_S8_S8_EEEEPS9_S9_NSD_9__find_if7functorIS9_EEEE10hipError_tPvRmT1_T2_T3_mT4_P12ihipStream_tbEUlT_E0_NS1_11comp_targetILNS1_3genE9ELNS1_11target_archE1100ELNS1_3gpuE3ELNS1_3repE0EEENS1_30default_config_static_selectorELNS0_4arch9wavefront6targetE0EEEvS14_.has_recursion, 0
	.set _ZN7rocprim17ROCPRIM_400000_NS6detail17trampoline_kernelINS0_14default_configENS1_22reduce_config_selectorIN6thrust23THRUST_200600_302600_NS5tupleIblNS6_9null_typeES8_S8_S8_S8_S8_S8_S8_EEEEZNS1_11reduce_implILb1ES3_NS6_12zip_iteratorINS7_INS6_11hip_rocprim26transform_input_iterator_tIbNSD_35transform_pair_of_input_iterators_tIbNS6_6detail15normal_iteratorINS6_10device_ptrIKyEEEESL_NS6_8equal_toIyEEEENSG_9not_fun_tINSD_8identityEEEEENSD_19counting_iterator_tIlEES8_S8_S8_S8_S8_S8_S8_S8_EEEEPS9_S9_NSD_9__find_if7functorIS9_EEEE10hipError_tPvRmT1_T2_T3_mT4_P12ihipStream_tbEUlT_E0_NS1_11comp_targetILNS1_3genE9ELNS1_11target_archE1100ELNS1_3gpuE3ELNS1_3repE0EEENS1_30default_config_static_selectorELNS0_4arch9wavefront6targetE0EEEvS14_.has_indirect_call, 0
	.section	.AMDGPU.csdata,"",@progbits
; Kernel info:
; codeLenInByte = 0
; TotalNumSgprs: 0
; NumVgprs: 0
; ScratchSize: 0
; MemoryBound: 0
; FloatMode: 240
; IeeeMode: 1
; LDSByteSize: 0 bytes/workgroup (compile time only)
; SGPRBlocks: 0
; VGPRBlocks: 0
; NumSGPRsForWavesPerEU: 1
; NumVGPRsForWavesPerEU: 1
; Occupancy: 16
; WaveLimiterHint : 0
; COMPUTE_PGM_RSRC2:SCRATCH_EN: 0
; COMPUTE_PGM_RSRC2:USER_SGPR: 6
; COMPUTE_PGM_RSRC2:TRAP_HANDLER: 0
; COMPUTE_PGM_RSRC2:TGID_X_EN: 1
; COMPUTE_PGM_RSRC2:TGID_Y_EN: 0
; COMPUTE_PGM_RSRC2:TGID_Z_EN: 0
; COMPUTE_PGM_RSRC2:TIDIG_COMP_CNT: 0
	.section	.text._ZN7rocprim17ROCPRIM_400000_NS6detail17trampoline_kernelINS0_14default_configENS1_22reduce_config_selectorIN6thrust23THRUST_200600_302600_NS5tupleIblNS6_9null_typeES8_S8_S8_S8_S8_S8_S8_EEEEZNS1_11reduce_implILb1ES3_NS6_12zip_iteratorINS7_INS6_11hip_rocprim26transform_input_iterator_tIbNSD_35transform_pair_of_input_iterators_tIbNS6_6detail15normal_iteratorINS6_10device_ptrIKyEEEESL_NS6_8equal_toIyEEEENSG_9not_fun_tINSD_8identityEEEEENSD_19counting_iterator_tIlEES8_S8_S8_S8_S8_S8_S8_S8_EEEEPS9_S9_NSD_9__find_if7functorIS9_EEEE10hipError_tPvRmT1_T2_T3_mT4_P12ihipStream_tbEUlT_E0_NS1_11comp_targetILNS1_3genE8ELNS1_11target_archE1030ELNS1_3gpuE2ELNS1_3repE0EEENS1_30default_config_static_selectorELNS0_4arch9wavefront6targetE0EEEvS14_,"axG",@progbits,_ZN7rocprim17ROCPRIM_400000_NS6detail17trampoline_kernelINS0_14default_configENS1_22reduce_config_selectorIN6thrust23THRUST_200600_302600_NS5tupleIblNS6_9null_typeES8_S8_S8_S8_S8_S8_S8_EEEEZNS1_11reduce_implILb1ES3_NS6_12zip_iteratorINS7_INS6_11hip_rocprim26transform_input_iterator_tIbNSD_35transform_pair_of_input_iterators_tIbNS6_6detail15normal_iteratorINS6_10device_ptrIKyEEEESL_NS6_8equal_toIyEEEENSG_9not_fun_tINSD_8identityEEEEENSD_19counting_iterator_tIlEES8_S8_S8_S8_S8_S8_S8_S8_EEEEPS9_S9_NSD_9__find_if7functorIS9_EEEE10hipError_tPvRmT1_T2_T3_mT4_P12ihipStream_tbEUlT_E0_NS1_11comp_targetILNS1_3genE8ELNS1_11target_archE1030ELNS1_3gpuE2ELNS1_3repE0EEENS1_30default_config_static_selectorELNS0_4arch9wavefront6targetE0EEEvS14_,comdat
	.protected	_ZN7rocprim17ROCPRIM_400000_NS6detail17trampoline_kernelINS0_14default_configENS1_22reduce_config_selectorIN6thrust23THRUST_200600_302600_NS5tupleIblNS6_9null_typeES8_S8_S8_S8_S8_S8_S8_EEEEZNS1_11reduce_implILb1ES3_NS6_12zip_iteratorINS7_INS6_11hip_rocprim26transform_input_iterator_tIbNSD_35transform_pair_of_input_iterators_tIbNS6_6detail15normal_iteratorINS6_10device_ptrIKyEEEESL_NS6_8equal_toIyEEEENSG_9not_fun_tINSD_8identityEEEEENSD_19counting_iterator_tIlEES8_S8_S8_S8_S8_S8_S8_S8_EEEEPS9_S9_NSD_9__find_if7functorIS9_EEEE10hipError_tPvRmT1_T2_T3_mT4_P12ihipStream_tbEUlT_E0_NS1_11comp_targetILNS1_3genE8ELNS1_11target_archE1030ELNS1_3gpuE2ELNS1_3repE0EEENS1_30default_config_static_selectorELNS0_4arch9wavefront6targetE0EEEvS14_ ; -- Begin function _ZN7rocprim17ROCPRIM_400000_NS6detail17trampoline_kernelINS0_14default_configENS1_22reduce_config_selectorIN6thrust23THRUST_200600_302600_NS5tupleIblNS6_9null_typeES8_S8_S8_S8_S8_S8_S8_EEEEZNS1_11reduce_implILb1ES3_NS6_12zip_iteratorINS7_INS6_11hip_rocprim26transform_input_iterator_tIbNSD_35transform_pair_of_input_iterators_tIbNS6_6detail15normal_iteratorINS6_10device_ptrIKyEEEESL_NS6_8equal_toIyEEEENSG_9not_fun_tINSD_8identityEEEEENSD_19counting_iterator_tIlEES8_S8_S8_S8_S8_S8_S8_S8_EEEEPS9_S9_NSD_9__find_if7functorIS9_EEEE10hipError_tPvRmT1_T2_T3_mT4_P12ihipStream_tbEUlT_E0_NS1_11comp_targetILNS1_3genE8ELNS1_11target_archE1030ELNS1_3gpuE2ELNS1_3repE0EEENS1_30default_config_static_selectorELNS0_4arch9wavefront6targetE0EEEvS14_
	.globl	_ZN7rocprim17ROCPRIM_400000_NS6detail17trampoline_kernelINS0_14default_configENS1_22reduce_config_selectorIN6thrust23THRUST_200600_302600_NS5tupleIblNS6_9null_typeES8_S8_S8_S8_S8_S8_S8_EEEEZNS1_11reduce_implILb1ES3_NS6_12zip_iteratorINS7_INS6_11hip_rocprim26transform_input_iterator_tIbNSD_35transform_pair_of_input_iterators_tIbNS6_6detail15normal_iteratorINS6_10device_ptrIKyEEEESL_NS6_8equal_toIyEEEENSG_9not_fun_tINSD_8identityEEEEENSD_19counting_iterator_tIlEES8_S8_S8_S8_S8_S8_S8_S8_EEEEPS9_S9_NSD_9__find_if7functorIS9_EEEE10hipError_tPvRmT1_T2_T3_mT4_P12ihipStream_tbEUlT_E0_NS1_11comp_targetILNS1_3genE8ELNS1_11target_archE1030ELNS1_3gpuE2ELNS1_3repE0EEENS1_30default_config_static_selectorELNS0_4arch9wavefront6targetE0EEEvS14_
	.p2align	8
	.type	_ZN7rocprim17ROCPRIM_400000_NS6detail17trampoline_kernelINS0_14default_configENS1_22reduce_config_selectorIN6thrust23THRUST_200600_302600_NS5tupleIblNS6_9null_typeES8_S8_S8_S8_S8_S8_S8_EEEEZNS1_11reduce_implILb1ES3_NS6_12zip_iteratorINS7_INS6_11hip_rocprim26transform_input_iterator_tIbNSD_35transform_pair_of_input_iterators_tIbNS6_6detail15normal_iteratorINS6_10device_ptrIKyEEEESL_NS6_8equal_toIyEEEENSG_9not_fun_tINSD_8identityEEEEENSD_19counting_iterator_tIlEES8_S8_S8_S8_S8_S8_S8_S8_EEEEPS9_S9_NSD_9__find_if7functorIS9_EEEE10hipError_tPvRmT1_T2_T3_mT4_P12ihipStream_tbEUlT_E0_NS1_11comp_targetILNS1_3genE8ELNS1_11target_archE1030ELNS1_3gpuE2ELNS1_3repE0EEENS1_30default_config_static_selectorELNS0_4arch9wavefront6targetE0EEEvS14_,@function
_ZN7rocprim17ROCPRIM_400000_NS6detail17trampoline_kernelINS0_14default_configENS1_22reduce_config_selectorIN6thrust23THRUST_200600_302600_NS5tupleIblNS6_9null_typeES8_S8_S8_S8_S8_S8_S8_EEEEZNS1_11reduce_implILb1ES3_NS6_12zip_iteratorINS7_INS6_11hip_rocprim26transform_input_iterator_tIbNSD_35transform_pair_of_input_iterators_tIbNS6_6detail15normal_iteratorINS6_10device_ptrIKyEEEESL_NS6_8equal_toIyEEEENSG_9not_fun_tINSD_8identityEEEEENSD_19counting_iterator_tIlEES8_S8_S8_S8_S8_S8_S8_S8_EEEEPS9_S9_NSD_9__find_if7functorIS9_EEEE10hipError_tPvRmT1_T2_T3_mT4_P12ihipStream_tbEUlT_E0_NS1_11comp_targetILNS1_3genE8ELNS1_11target_archE1030ELNS1_3gpuE2ELNS1_3repE0EEENS1_30default_config_static_selectorELNS0_4arch9wavefront6targetE0EEEvS14_: ; @_ZN7rocprim17ROCPRIM_400000_NS6detail17trampoline_kernelINS0_14default_configENS1_22reduce_config_selectorIN6thrust23THRUST_200600_302600_NS5tupleIblNS6_9null_typeES8_S8_S8_S8_S8_S8_S8_EEEEZNS1_11reduce_implILb1ES3_NS6_12zip_iteratorINS7_INS6_11hip_rocprim26transform_input_iterator_tIbNSD_35transform_pair_of_input_iterators_tIbNS6_6detail15normal_iteratorINS6_10device_ptrIKyEEEESL_NS6_8equal_toIyEEEENSG_9not_fun_tINSD_8identityEEEEENSD_19counting_iterator_tIlEES8_S8_S8_S8_S8_S8_S8_S8_EEEEPS9_S9_NSD_9__find_if7functorIS9_EEEE10hipError_tPvRmT1_T2_T3_mT4_P12ihipStream_tbEUlT_E0_NS1_11comp_targetILNS1_3genE8ELNS1_11target_archE1030ELNS1_3gpuE2ELNS1_3repE0EEENS1_30default_config_static_selectorELNS0_4arch9wavefront6targetE0EEEvS14_
; %bb.0:
	s_clause 0x2
	s_load_dwordx8 s[8:15], s[4:5], 0x20
	s_load_dwordx4 s[0:3], s[4:5], 0x0
	s_load_dwordx4 s[16:19], s[4:5], 0x40
	s_mov_b32 s23, 0
	v_mbcnt_lo_u32_b32 v7, -1, 0
	s_mov_b32 s7, s23
	s_waitcnt lgkmcnt(0)
	s_lshl_b64 s[20:21], s[10:11], 3
	s_add_u32 s26, s0, s20
	s_addc_u32 s27, s1, s21
	s_add_u32 s20, s2, s20
	s_addc_u32 s21, s3, s21
	s_lshl_b32 s22, s6, 9
	s_lshr_b64 s[24:25], s[12:13], 9
	s_lshl_b64 s[0:1], s[22:23], 3
	s_add_u32 s2, s26, s0
	s_addc_u32 s3, s27, s1
	s_add_u32 s20, s20, s0
	s_addc_u32 s21, s21, s1
	;; [unrolled: 2-line block ×4, first 2 shown]
	s_cmp_lg_u64 s[24:25], s[6:7]
	s_cbranch_scc0 .LBB115_18
; %bb.1:
	v_lshlrev_b32_e32 v8, 3, v0
	v_add_co_u32 v1, s0, s2, v8
	v_add_co_ci_u32_e64 v2, null, s3, 0, s0
	v_add_co_u32 v3, s0, s20, v8
	v_add_co_ci_u32_e64 v4, null, s21, 0, s0
	v_add_co_u32 v1, vcc_lo, 0x800, v1
	v_add_co_ci_u32_e64 v2, null, 0, v2, vcc_lo
	v_add_co_u32 v3, vcc_lo, 0x800, v3
	v_add_co_ci_u32_e64 v4, null, 0, v4, vcc_lo
	s_clause 0x1
	global_load_dwordx2 v[5:6], v8, s[2:3]
	global_load_dwordx2 v[8:9], v8, s[20:21]
	global_load_dwordx2 v[1:2], v[1:2], off
	global_load_dwordx2 v[3:4], v[3:4], off
	v_add_co_u32 v10, s0, s10, v0
	v_add_co_ci_u32_e64 v11, null, s11, 0, s0
	v_add_co_u32 v12, vcc_lo, 0x100, v10
	v_add_co_ci_u32_e64 v13, null, 0, v11, vcc_lo
	s_waitcnt vmcnt(2)
	v_cmp_ne_u64_e32 vcc_lo, v[5:6], v[8:9]
	s_waitcnt vmcnt(0)
	v_cmp_ne_u64_e64 s0, v[1:2], v[3:4]
	v_cndmask_b32_e32 v5, v13, v11, vcc_lo
	v_cndmask_b32_e32 v4, v12, v10, vcc_lo
	s_or_b32 s0, vcc_lo, s0
	v_cndmask_b32_e64 v3, 0, 1, s0
	v_mov_b32_dpp v2, v5 quad_perm:[1,0,3,2] row_mask:0xf bank_mask:0xf
	v_mov_b32_dpp v1, v4 quad_perm:[1,0,3,2] row_mask:0xf bank_mask:0xf
	;; [unrolled: 1-line block ×3, first 2 shown]
	v_cmp_lt_i64_e32 vcc_lo, v[4:5], v[1:2]
	v_and_b32_e32 v6, 1, v6
	s_and_b32 vcc_lo, s0, vcc_lo
	v_cndmask_b32_e32 v1, v1, v4, vcc_lo
	v_cndmask_b32_e32 v2, v2, v5, vcc_lo
	v_cmp_eq_u32_e32 vcc_lo, 1, v6
	v_cndmask_b32_e32 v2, v5, v2, vcc_lo
	v_cndmask_b32_e32 v1, v4, v1, vcc_lo
	v_cndmask_b32_e64 v5, v3, 1, vcc_lo
	v_mov_b32_dpp v4, v2 quad_perm:[2,3,0,1] row_mask:0xf bank_mask:0xf
	v_mov_b32_dpp v3, v1 quad_perm:[2,3,0,1] row_mask:0xf bank_mask:0xf
	v_and_b32_e32 v8, 1, v5
	v_mov_b32_dpp v6, v5 quad_perm:[2,3,0,1] row_mask:0xf bank_mask:0xf
	v_cmp_lt_i64_e32 vcc_lo, v[1:2], v[3:4]
	v_cmp_eq_u32_e64 s0, 1, v8
	v_and_b32_e32 v6, 1, v6
	s_and_b32 vcc_lo, s0, vcc_lo
	v_cmp_eq_u32_e64 s1, 1, v6
	v_cndmask_b32_e32 v3, v3, v1, vcc_lo
	v_cndmask_b32_e32 v4, v4, v2, vcc_lo
	v_cndmask_b32_e64 v5, v5, 1, s1
	v_cndmask_b32_e64 v1, v1, v3, s1
	v_cndmask_b32_e64 v2, v2, v4, s1
	v_and_b32_e32 v8, 1, v5
	v_mov_b32_dpp v3, v1 row_ror:4 row_mask:0xf bank_mask:0xf
	v_mov_b32_dpp v4, v2 row_ror:4 row_mask:0xf bank_mask:0xf
	;; [unrolled: 1-line block ×3, first 2 shown]
	v_cmp_eq_u32_e64 s0, 1, v8
	v_cmp_lt_i64_e32 vcc_lo, v[1:2], v[3:4]
	v_and_b32_e32 v6, 1, v6
	s_and_b32 vcc_lo, s0, vcc_lo
	v_cmp_eq_u32_e64 s1, 1, v6
	v_cndmask_b32_e32 v3, v3, v1, vcc_lo
	v_cndmask_b32_e32 v4, v4, v2, vcc_lo
	v_cndmask_b32_e64 v5, v5, 1, s1
	v_cndmask_b32_e64 v1, v1, v3, s1
	v_cndmask_b32_e64 v2, v2, v4, s1
	v_and_b32_e32 v8, 1, v5
	v_mov_b32_dpp v3, v1 row_ror:8 row_mask:0xf bank_mask:0xf
	v_mov_b32_dpp v4, v2 row_ror:8 row_mask:0xf bank_mask:0xf
	;; [unrolled: 1-line block ×3, first 2 shown]
	v_cmp_eq_u32_e64 s0, 1, v8
	v_cmp_lt_i64_e32 vcc_lo, v[1:2], v[3:4]
	v_and_b32_e32 v6, 1, v6
	s_and_b32 vcc_lo, s0, vcc_lo
	v_cmp_eq_u32_e64 s1, 1, v6
	v_cndmask_b32_e32 v3, v3, v1, vcc_lo
	v_cndmask_b32_e32 v4, v4, v2, vcc_lo
	v_cndmask_b32_e64 v5, v5, 1, s1
	v_cndmask_b32_e64 v1, v1, v3, s1
	;; [unrolled: 1-line block ×3, first 2 shown]
	ds_swizzle_b32 v6, v5 offset:swizzle(BROADCAST,32,15)
	ds_swizzle_b32 v3, v1 offset:swizzle(BROADCAST,32,15)
	ds_swizzle_b32 v4, v2 offset:swizzle(BROADCAST,32,15)
	v_and_b32_e32 v8, 1, v5
	v_cmp_eq_u32_e64 s0, 1, v8
	s_waitcnt lgkmcnt(2)
	v_and_b32_e32 v6, 1, v6
	s_waitcnt lgkmcnt(0)
	v_cmp_lt_i64_e32 vcc_lo, v[1:2], v[3:4]
	v_cmp_eq_u32_e64 s1, 1, v6
	v_mov_b32_e32 v6, 0
	s_and_b32 vcc_lo, s0, vcc_lo
	s_mov_b32 s0, exec_lo
	v_cndmask_b32_e32 v3, v3, v1, vcc_lo
	v_cndmask_b32_e32 v4, v4, v2, vcc_lo
	v_cndmask_b32_e64 v5, v5, 1, s1
	v_cndmask_b32_e64 v1, v1, v3, s1
	;; [unrolled: 1-line block ×3, first 2 shown]
	ds_bpermute_b32 v8, v6, v5 offset:124
	ds_bpermute_b32 v1, v6, v1 offset:124
	;; [unrolled: 1-line block ×3, first 2 shown]
	v_cmpx_eq_u32_e32 0, v7
	s_cbranch_execz .LBB115_3
; %bb.2:
	v_lshrrev_b32_e32 v3, 1, v0
	v_and_b32_e32 v3, 0x70, v3
	s_waitcnt lgkmcnt(2)
	ds_write_b8 v3, v8
	s_waitcnt lgkmcnt(1)
	ds_write_b64 v3, v[1:2] offset:8
.LBB115_3:
	s_or_b32 exec_lo, exec_lo, s0
	s_mov_b32 s0, exec_lo
	s_waitcnt lgkmcnt(0)
	s_barrier
	buffer_gl0_inv
	v_cmpx_gt_u32_e32 32, v0
	s_cbranch_execz .LBB115_17
; %bb.4:
	v_and_b32_e32 v8, 7, v7
	v_lshlrev_b32_e32 v1, 4, v8
	v_cmp_ne_u32_e32 vcc_lo, 7, v8
	ds_read_u8 v10, v1
	ds_read_b64 v[3:4], v1 offset:8
	v_add_co_ci_u32_e64 v2, null, 0, v7, vcc_lo
	v_lshlrev_b32_e32 v2, 2, v2
	s_waitcnt lgkmcnt(1)
	v_and_b32_e32 v1, 0xff, v10
	s_waitcnt lgkmcnt(0)
	ds_bpermute_b32 v5, v2, v3
	ds_bpermute_b32 v6, v2, v4
	;; [unrolled: 1-line block ×3, first 2 shown]
	s_waitcnt lgkmcnt(0)
	v_and_b32_e32 v1, v10, v11
	v_and_b32_e32 v1, 1, v1
	v_cmp_eq_u32_e32 vcc_lo, 1, v1
                                        ; implicit-def: $vgpr1_vgpr2
	s_and_saveexec_b32 s1, vcc_lo
	s_xor_b32 s1, exec_lo, s1
; %bb.5:
	v_cmp_lt_i64_e32 vcc_lo, v[5:6], v[3:4]
                                        ; implicit-def: $vgpr10
                                        ; implicit-def: $vgpr11
	v_cndmask_b32_e32 v2, v4, v6, vcc_lo
	v_cndmask_b32_e32 v1, v3, v5, vcc_lo
                                        ; implicit-def: $vgpr5_vgpr6
                                        ; implicit-def: $vgpr3_vgpr4
; %bb.6:
	s_or_saveexec_b32 s1, s1
	v_mov_b32_e32 v9, 1
	s_xor_b32 exec_lo, exec_lo, s1
; %bb.7:
	v_and_b32_e32 v1, 1, v10
	v_and_b32_e32 v9, 0xff, v11
	v_cmp_eq_u32_e32 vcc_lo, 1, v1
	v_cndmask_b32_e32 v2, v6, v4, vcc_lo
	v_cndmask_b32_e32 v1, v5, v3, vcc_lo
	v_cndmask_b32_e64 v9, v9, 1, vcc_lo
; %bb.8:
	s_or_b32 exec_lo, exec_lo, s1
	v_cmp_gt_u32_e32 vcc_lo, 6, v8
	v_cndmask_b32_e64 v3, 0, 2, vcc_lo
	v_add_lshl_u32 v3, v3, v7, 2
	ds_bpermute_b32 v8, v3, v9
	ds_bpermute_b32 v5, v3, v1
	;; [unrolled: 1-line block ×3, first 2 shown]
	s_waitcnt lgkmcnt(2)
	v_and_b32_e32 v3, v9, v8
	v_and_b32_e32 v3, 1, v3
	v_cmp_eq_u32_e32 vcc_lo, 1, v3
                                        ; implicit-def: $vgpr3_vgpr4
	s_and_saveexec_b32 s1, vcc_lo
	s_xor_b32 s1, exec_lo, s1
	s_cbranch_execz .LBB115_10
; %bb.9:
	s_waitcnt lgkmcnt(0)
	v_cmp_lt_i64_e32 vcc_lo, v[5:6], v[1:2]
                                        ; implicit-def: $vgpr9
                                        ; implicit-def: $vgpr8
	v_cndmask_b32_e32 v4, v2, v6, vcc_lo
	v_cndmask_b32_e32 v3, v1, v5, vcc_lo
                                        ; implicit-def: $vgpr5_vgpr6
                                        ; implicit-def: $vgpr1_vgpr2
.LBB115_10:
	s_or_saveexec_b32 s1, s1
	v_lshlrev_b32_e32 v11, 2, v7
	v_mov_b32_e32 v10, 1
	s_xor_b32 exec_lo, exec_lo, s1
	s_cbranch_execz .LBB115_12
; %bb.11:
	v_and_b32_e32 v3, 1, v9
	v_and_b32_e32 v8, 0xff, v8
	v_cmp_eq_u32_e32 vcc_lo, 1, v3
	s_waitcnt lgkmcnt(0)
	v_cndmask_b32_e32 v4, v6, v2, vcc_lo
	v_cndmask_b32_e32 v3, v5, v1, vcc_lo
	v_cndmask_b32_e64 v10, v8, 1, vcc_lo
.LBB115_12:
	s_or_b32 exec_lo, exec_lo, s1
	v_or_b32_e32 v1, 16, v11
	ds_bpermute_b32 v9, v1, v10
	s_waitcnt lgkmcnt(2)
	ds_bpermute_b32 v5, v1, v3
	s_waitcnt lgkmcnt(2)
	ds_bpermute_b32 v6, v1, v4
	s_waitcnt lgkmcnt(2)
	v_and_b32_e32 v1, v10, v9
	v_and_b32_e32 v1, 1, v1
	v_cmp_eq_u32_e32 vcc_lo, 1, v1
                                        ; implicit-def: $vgpr1_vgpr2
	s_and_saveexec_b32 s1, vcc_lo
	s_xor_b32 s1, exec_lo, s1
	s_cbranch_execz .LBB115_14
; %bb.13:
	s_waitcnt lgkmcnt(0)
	v_cmp_lt_i64_e32 vcc_lo, v[5:6], v[3:4]
                                        ; implicit-def: $vgpr10
                                        ; implicit-def: $vgpr9
	v_cndmask_b32_e32 v2, v4, v6, vcc_lo
	v_cndmask_b32_e32 v1, v3, v5, vcc_lo
                                        ; implicit-def: $vgpr5_vgpr6
                                        ; implicit-def: $vgpr3_vgpr4
.LBB115_14:
	s_or_saveexec_b32 s1, s1
	v_mov_b32_e32 v8, 1
	s_xor_b32 exec_lo, exec_lo, s1
	s_cbranch_execz .LBB115_16
; %bb.15:
	v_and_b32_e32 v1, 1, v10
	v_cmp_eq_u32_e32 vcc_lo, 1, v1
	s_waitcnt lgkmcnt(0)
	v_cndmask_b32_e32 v2, v6, v4, vcc_lo
	v_cndmask_b32_e32 v1, v5, v3, vcc_lo
	v_cndmask_b32_e64 v8, v9, 1, vcc_lo
.LBB115_16:
	s_or_b32 exec_lo, exec_lo, s1
.LBB115_17:
	s_or_b32 exec_lo, exec_lo, s0
	s_load_dwordx2 s[8:9], s[4:5], 0x58
	s_branch .LBB115_76
.LBB115_18:
                                        ; implicit-def: $vgpr1_vgpr2
                                        ; implicit-def: $vgpr8
	s_load_dwordx2 s[8:9], s[4:5], 0x58
	s_cbranch_execz .LBB115_76
; %bb.19:
	v_mov_b32_e32 v3, 0
	v_mov_b32_e32 v1, 0
	s_waitcnt lgkmcnt(0)
	v_mov_b32_e32 v5, 0
	v_mov_b32_e32 v4, 0
	;; [unrolled: 1-line block ×4, first 2 shown]
	s_sub_i32 s22, s12, s22
	s_mov_b32 s0, exec_lo
	v_cmpx_gt_u32_e64 s22, v0
	s_cbranch_execz .LBB115_21
; %bb.20:
	v_lshlrev_b32_e32 v1, 3, v0
	s_clause 0x1
	global_load_dwordx2 v[8:9], v1, s[2:3]
	global_load_dwordx2 v[10:11], v1, s[20:21]
	v_add_co_u32 v1, s1, s10, v0
	v_add_co_ci_u32_e64 v2, null, s11, 0, s1
	s_waitcnt vmcnt(0)
	v_cmp_ne_u64_e32 vcc_lo, v[8:9], v[10:11]
	v_cndmask_b32_e64 v6, 0, 1, vcc_lo
.LBB115_21:
	s_or_b32 exec_lo, exec_lo, s0
	v_or_b32_e32 v8, 0x100, v0
	v_cmp_gt_u32_e32 vcc_lo, s22, v8
	s_and_saveexec_b32 s1, vcc_lo
	s_cbranch_execz .LBB115_23
; %bb.22:
	v_lshlrev_b32_e32 v3, 3, v8
	s_clause 0x1
	global_load_dwordx2 v[9:10], v3, s[2:3]
	global_load_dwordx2 v[11:12], v3, s[20:21]
	v_add_co_u32 v3, s0, s10, v8
	v_add_co_ci_u32_e64 v4, null, s11, 0, s0
	s_waitcnt vmcnt(0)
	v_cmp_ne_u64_e64 s0, v[9:10], v[11:12]
	v_cndmask_b32_e64 v5, 0, 1, s0
.LBB115_23:
	s_or_b32 exec_lo, exec_lo, s1
	v_and_b32_e32 v8, 1, v5
	v_cmp_lt_i64_e64 s0, v[3:4], v[1:2]
	v_and_b32_e32 v9, 1, v6
	v_and_b32_e32 v5, 0xffff, v5
	;; [unrolled: 1-line block ×3, first 2 shown]
	v_cmp_eq_u32_e64 s1, 1, v8
	v_cmp_eq_u32_e64 s2, 1, v9
	s_and_b32 s0, s1, s0
	s_mov_b32 s1, exec_lo
	v_cndmask_b32_e64 v8, v2, v4, s0
	v_cndmask_b32_e64 v9, v1, v3, s0
	v_cmp_ne_u32_e64 s0, 31, v7
	v_cndmask_b32_e64 v5, v5, 1, s2
	v_cndmask_b32_e64 v4, v4, v8, s2
	;; [unrolled: 1-line block ×3, first 2 shown]
	v_add_co_ci_u32_e64 v10, null, 0, v7, s0
	v_cndmask_b32_e32 v8, v6, v5, vcc_lo
	v_cndmask_b32_e32 v2, v2, v4, vcc_lo
	;; [unrolled: 1-line block ×3, first 2 shown]
	v_lshlrev_b32_e32 v9, 2, v10
	v_and_b32_e32 v5, 0xe0, v0
	s_min_u32 s0, s22, 0x100
	ds_bpermute_b32 v6, v9, v8
	ds_bpermute_b32 v3, v9, v1
	;; [unrolled: 1-line block ×3, first 2 shown]
	v_sub_nc_u32_e64 v5, s0, v5 clamp
	v_add_nc_u32_e32 v9, 1, v7
	v_cmpx_lt_u32_e64 v9, v5
	s_cbranch_execz .LBB115_29
; %bb.24:
	s_waitcnt lgkmcnt(2)
	v_and_b32_e32 v9, v8, v6
	s_mov_b32 s2, exec_lo
	v_cmpx_ne_u32_e32 0, v9
	s_xor_b32 s2, exec_lo, s2
	s_cbranch_execz .LBB115_26
; %bb.25:
	s_waitcnt lgkmcnt(0)
	v_cmp_lt_i64_e32 vcc_lo, v[3:4], v[1:2]
                                        ; implicit-def: $vgpr8
                                        ; implicit-def: $vgpr6
	v_cndmask_b32_e32 v2, v2, v4, vcc_lo
	v_cndmask_b32_e32 v1, v1, v3, vcc_lo
                                        ; implicit-def: $vgpr3_vgpr4
.LBB115_26:
	s_or_saveexec_b32 s2, s2
	v_mov_b32_e32 v9, 1
	s_xor_b32 exec_lo, exec_lo, s2
	s_cbranch_execz .LBB115_28
; %bb.27:
	v_and_b32_e32 v8, 1, v8
	v_and_b32_e32 v6, 0xff, v6
	v_cmp_eq_u32_e32 vcc_lo, 1, v8
	s_waitcnt lgkmcnt(0)
	v_cndmask_b32_e32 v2, v4, v2, vcc_lo
	v_cndmask_b32_e32 v1, v3, v1, vcc_lo
	v_cndmask_b32_e64 v9, v6, 1, vcc_lo
.LBB115_28:
	s_or_b32 exec_lo, exec_lo, s2
	v_mov_b32_e32 v8, v9
.LBB115_29:
	s_or_b32 exec_lo, exec_lo, s1
	v_cmp_gt_u32_e32 vcc_lo, 30, v7
	v_add_nc_u32_e32 v9, 2, v7
	s_mov_b32 s1, exec_lo
	s_waitcnt lgkmcnt(1)
	v_cndmask_b32_e64 v3, 0, 2, vcc_lo
	s_waitcnt lgkmcnt(0)
	v_add_lshl_u32 v4, v3, v7, 2
	ds_bpermute_b32 v6, v4, v8
	ds_bpermute_b32 v3, v4, v1
	ds_bpermute_b32 v4, v4, v2
	v_cmpx_lt_u32_e64 v9, v5
	s_cbranch_execz .LBB115_35
; %bb.30:
	s_waitcnt lgkmcnt(2)
	v_and_b32_e32 v9, v8, v6
	s_mov_b32 s2, exec_lo
	v_and_b32_e32 v9, 1, v9
	v_cmpx_eq_u32_e32 1, v9
	s_xor_b32 s2, exec_lo, s2
	s_cbranch_execz .LBB115_32
; %bb.31:
	s_waitcnt lgkmcnt(0)
	v_cmp_lt_i64_e32 vcc_lo, v[3:4], v[1:2]
                                        ; implicit-def: $vgpr8
                                        ; implicit-def: $vgpr6
	v_cndmask_b32_e32 v2, v2, v4, vcc_lo
	v_cndmask_b32_e32 v1, v1, v3, vcc_lo
                                        ; implicit-def: $vgpr3_vgpr4
.LBB115_32:
	s_or_saveexec_b32 s2, s2
	v_mov_b32_e32 v9, 1
	s_xor_b32 exec_lo, exec_lo, s2
	s_cbranch_execz .LBB115_34
; %bb.33:
	v_and_b32_e32 v8, 1, v8
	v_and_b32_e32 v6, 0xff, v6
	v_cmp_eq_u32_e32 vcc_lo, 1, v8
	s_waitcnt lgkmcnt(0)
	v_cndmask_b32_e32 v2, v4, v2, vcc_lo
	v_cndmask_b32_e32 v1, v3, v1, vcc_lo
	v_cndmask_b32_e64 v9, v6, 1, vcc_lo
.LBB115_34:
	s_or_b32 exec_lo, exec_lo, s2
	v_mov_b32_e32 v8, v9
.LBB115_35:
	s_or_b32 exec_lo, exec_lo, s1
	v_cmp_gt_u32_e32 vcc_lo, 28, v7
	v_add_nc_u32_e32 v9, 4, v7
	s_mov_b32 s1, exec_lo
	s_waitcnt lgkmcnt(1)
	v_cndmask_b32_e64 v3, 0, 4, vcc_lo
	s_waitcnt lgkmcnt(0)
	v_add_lshl_u32 v4, v3, v7, 2
	ds_bpermute_b32 v6, v4, v8
	ds_bpermute_b32 v3, v4, v1
	ds_bpermute_b32 v4, v4, v2
	v_cmpx_lt_u32_e64 v9, v5
	s_cbranch_execz .LBB115_41
; %bb.36:
	s_waitcnt lgkmcnt(2)
	v_and_b32_e32 v9, v8, v6
	s_mov_b32 s2, exec_lo
	v_and_b32_e32 v9, 1, v9
	v_cmpx_eq_u32_e32 1, v9
	s_xor_b32 s2, exec_lo, s2
	s_cbranch_execz .LBB115_38
; %bb.37:
	s_waitcnt lgkmcnt(0)
	v_cmp_lt_i64_e32 vcc_lo, v[3:4], v[1:2]
                                        ; implicit-def: $vgpr8
                                        ; implicit-def: $vgpr6
	v_cndmask_b32_e32 v2, v2, v4, vcc_lo
	v_cndmask_b32_e32 v1, v1, v3, vcc_lo
                                        ; implicit-def: $vgpr3_vgpr4
.LBB115_38:
	s_or_saveexec_b32 s2, s2
	v_mov_b32_e32 v9, 1
	s_xor_b32 exec_lo, exec_lo, s2
	s_cbranch_execz .LBB115_40
; %bb.39:
	v_and_b32_e32 v8, 1, v8
	v_and_b32_e32 v6, 0xff, v6
	v_cmp_eq_u32_e32 vcc_lo, 1, v8
	s_waitcnt lgkmcnt(0)
	v_cndmask_b32_e32 v2, v4, v2, vcc_lo
	v_cndmask_b32_e32 v1, v3, v1, vcc_lo
	v_cndmask_b32_e64 v9, v6, 1, vcc_lo
.LBB115_40:
	s_or_b32 exec_lo, exec_lo, s2
	v_mov_b32_e32 v8, v9
.LBB115_41:
	;; [unrolled: 46-line block ×3, first 2 shown]
	s_or_b32 exec_lo, exec_lo, s1
	s_waitcnt lgkmcnt(2)
	v_lshlrev_b32_e32 v6, 2, v7
	v_add_nc_u32_e32 v10, 16, v7
	s_waitcnt lgkmcnt(0)
	v_or_b32_e32 v4, 64, v6
	v_cmp_lt_u32_e32 vcc_lo, v10, v5
	v_mov_b32_e32 v5, v8
	ds_bpermute_b32 v9, v4, v8
	ds_bpermute_b32 v3, v4, v1
	;; [unrolled: 1-line block ×3, first 2 shown]
	s_and_saveexec_b32 s1, vcc_lo
	s_cbranch_execz .LBB115_53
; %bb.48:
	s_waitcnt lgkmcnt(2)
	v_and_b32_e32 v5, v8, v9
	s_mov_b32 s2, exec_lo
	v_and_b32_e32 v5, 1, v5
	v_cmpx_eq_u32_e32 1, v5
	s_xor_b32 s2, exec_lo, s2
	s_cbranch_execz .LBB115_50
; %bb.49:
	s_waitcnt lgkmcnt(0)
	v_cmp_lt_i64_e32 vcc_lo, v[3:4], v[1:2]
                                        ; implicit-def: $vgpr8
                                        ; implicit-def: $vgpr9
	v_cndmask_b32_e32 v2, v2, v4, vcc_lo
	v_cndmask_b32_e32 v1, v1, v3, vcc_lo
                                        ; implicit-def: $vgpr3_vgpr4
.LBB115_50:
	s_or_saveexec_b32 s2, s2
	v_mov_b32_e32 v5, 1
	s_xor_b32 exec_lo, exec_lo, s2
	s_cbranch_execz .LBB115_52
; %bb.51:
	v_and_b32_e32 v5, 1, v8
	v_cmp_eq_u32_e32 vcc_lo, 1, v5
	v_cndmask_b32_e64 v5, v9, 1, vcc_lo
	s_waitcnt lgkmcnt(0)
	v_cndmask_b32_e32 v2, v4, v2, vcc_lo
	v_cndmask_b32_e32 v1, v3, v1, vcc_lo
.LBB115_52:
	s_or_b32 exec_lo, exec_lo, s2
	v_and_b32_e32 v8, 0xff, v5
.LBB115_53:
	s_or_b32 exec_lo, exec_lo, s1
	s_mov_b32 s1, exec_lo
	v_cmpx_eq_u32_e32 0, v7
	s_cbranch_execz .LBB115_55
; %bb.54:
	s_waitcnt lgkmcnt(1)
	v_lshrrev_b32_e32 v3, 1, v0
	v_and_b32_e32 v3, 0x70, v3
	ds_write_b8 v3, v5 offset:128
	ds_write_b64 v3, v[1:2] offset:136
.LBB115_55:
	s_or_b32 exec_lo, exec_lo, s1
	s_mov_b32 s1, exec_lo
	s_waitcnt lgkmcnt(0)
	s_barrier
	buffer_gl0_inv
	v_cmpx_gt_u32_e32 8, v0
	s_cbranch_execz .LBB115_75
; %bb.56:
	v_lshlrev_b32_e32 v1, 4, v7
	v_and_b32_e32 v5, 7, v7
	s_add_i32 s0, s0, 31
	s_mov_b32 s2, exec_lo
	s_lshr_b32 s0, s0, 5
	ds_read_u8 v9, v1 offset:128
	ds_read_b64 v[1:2], v1 offset:136
	v_cmp_ne_u32_e32 vcc_lo, 7, v5
	v_add_nc_u32_e32 v11, 1, v5
	v_add_co_ci_u32_e64 v3, null, 0, v7, vcc_lo
	v_lshlrev_b32_e32 v4, 2, v3
	s_waitcnt lgkmcnt(1)
	v_and_b32_e32 v8, 0xff, v9
	s_waitcnt lgkmcnt(0)
	ds_bpermute_b32 v3, v4, v1
	ds_bpermute_b32 v10, v4, v8
	;; [unrolled: 1-line block ×3, first 2 shown]
	v_cmpx_gt_u32_e64 s0, v11
	s_cbranch_execz .LBB115_62
; %bb.57:
	s_waitcnt lgkmcnt(1)
	v_and_b32_e32 v8, v8, v10
	s_mov_b32 s3, exec_lo
	v_and_b32_e32 v8, 1, v8
	v_cmpx_eq_u32_e32 1, v8
	s_xor_b32 s3, exec_lo, s3
	s_cbranch_execz .LBB115_59
; %bb.58:
	s_waitcnt lgkmcnt(0)
	v_cmp_lt_i64_e32 vcc_lo, v[3:4], v[1:2]
                                        ; implicit-def: $vgpr9
                                        ; implicit-def: $vgpr10
	v_cndmask_b32_e32 v2, v2, v4, vcc_lo
	v_cndmask_b32_e32 v1, v1, v3, vcc_lo
                                        ; implicit-def: $vgpr3_vgpr4
.LBB115_59:
	s_or_saveexec_b32 s3, s3
	v_mov_b32_e32 v8, 1
	s_xor_b32 exec_lo, exec_lo, s3
	s_cbranch_execz .LBB115_61
; %bb.60:
	v_and_b32_e32 v8, 1, v9
	v_cmp_eq_u32_e32 vcc_lo, 1, v8
	v_and_b32_e32 v8, 0xff, v10
	s_waitcnt lgkmcnt(0)
	v_cndmask_b32_e32 v2, v4, v2, vcc_lo
	v_cndmask_b32_e32 v1, v3, v1, vcc_lo
	v_cndmask_b32_e64 v8, v8, 1, vcc_lo
.LBB115_61:
	s_or_b32 exec_lo, exec_lo, s3
.LBB115_62:
	s_or_b32 exec_lo, exec_lo, s2
	v_cmp_gt_u32_e32 vcc_lo, 6, v5
	v_add_nc_u32_e32 v9, 2, v5
	s_mov_b32 s2, exec_lo
	s_waitcnt lgkmcnt(2)
	v_cndmask_b32_e64 v3, 0, 2, vcc_lo
	s_waitcnt lgkmcnt(0)
	v_add_lshl_u32 v4, v3, v7, 2
	ds_bpermute_b32 v7, v4, v8
	ds_bpermute_b32 v3, v4, v1
	;; [unrolled: 1-line block ×3, first 2 shown]
	v_cmpx_gt_u32_e64 s0, v9
	s_cbranch_execz .LBB115_68
; %bb.63:
	s_waitcnt lgkmcnt(2)
	v_and_b32_e32 v9, v8, v7
	s_mov_b32 s3, exec_lo
	v_and_b32_e32 v9, 1, v9
	v_cmpx_eq_u32_e32 1, v9
	s_xor_b32 s3, exec_lo, s3
	s_cbranch_execz .LBB115_65
; %bb.64:
	s_waitcnt lgkmcnt(0)
	v_cmp_lt_i64_e32 vcc_lo, v[3:4], v[1:2]
                                        ; implicit-def: $vgpr8
                                        ; implicit-def: $vgpr7
	v_cndmask_b32_e32 v2, v2, v4, vcc_lo
	v_cndmask_b32_e32 v1, v1, v3, vcc_lo
                                        ; implicit-def: $vgpr3_vgpr4
.LBB115_65:
	s_or_saveexec_b32 s3, s3
	v_mov_b32_e32 v9, 1
	s_xor_b32 exec_lo, exec_lo, s3
	s_cbranch_execz .LBB115_67
; %bb.66:
	v_and_b32_e32 v8, 1, v8
	v_and_b32_e32 v7, 0xff, v7
	v_cmp_eq_u32_e32 vcc_lo, 1, v8
	s_waitcnt lgkmcnt(0)
	v_cndmask_b32_e32 v2, v4, v2, vcc_lo
	v_cndmask_b32_e32 v1, v3, v1, vcc_lo
	v_cndmask_b32_e64 v9, v7, 1, vcc_lo
.LBB115_67:
	s_or_b32 exec_lo, exec_lo, s3
	v_mov_b32_e32 v8, v9
.LBB115_68:
	s_or_b32 exec_lo, exec_lo, s2
	s_waitcnt lgkmcnt(0)
	v_or_b32_e32 v4, 16, v6
	v_add_nc_u32_e32 v5, 4, v5
	ds_bpermute_b32 v6, v4, v8
	ds_bpermute_b32 v3, v4, v1
	;; [unrolled: 1-line block ×3, first 2 shown]
	v_cmp_gt_u32_e32 vcc_lo, s0, v5
	s_and_saveexec_b32 s0, vcc_lo
	s_cbranch_execz .LBB115_74
; %bb.69:
	s_waitcnt lgkmcnt(2)
	v_and_b32_e32 v5, v8, v6
	s_mov_b32 s2, exec_lo
	v_and_b32_e32 v5, 1, v5
	v_cmpx_eq_u32_e32 1, v5
	s_xor_b32 s2, exec_lo, s2
	s_cbranch_execz .LBB115_71
; %bb.70:
	s_waitcnt lgkmcnt(0)
	v_cmp_lt_i64_e32 vcc_lo, v[3:4], v[1:2]
                                        ; implicit-def: $vgpr8
                                        ; implicit-def: $vgpr6
	v_cndmask_b32_e32 v2, v2, v4, vcc_lo
	v_cndmask_b32_e32 v1, v1, v3, vcc_lo
                                        ; implicit-def: $vgpr3_vgpr4
.LBB115_71:
	s_or_saveexec_b32 s2, s2
	v_mov_b32_e32 v5, 1
	s_xor_b32 exec_lo, exec_lo, s2
	s_cbranch_execz .LBB115_73
; %bb.72:
	v_and_b32_e32 v5, 1, v8
	v_cmp_eq_u32_e32 vcc_lo, 1, v5
	s_waitcnt lgkmcnt(0)
	v_cndmask_b32_e32 v2, v4, v2, vcc_lo
	v_cndmask_b32_e32 v1, v3, v1, vcc_lo
	v_cndmask_b32_e64 v5, v6, 1, vcc_lo
.LBB115_73:
	s_or_b32 exec_lo, exec_lo, s2
	v_mov_b32_e32 v8, v5
.LBB115_74:
	s_or_b32 exec_lo, exec_lo, s0
.LBB115_75:
	s_or_b32 exec_lo, exec_lo, s1
.LBB115_76:
	s_load_dword s0, s[4:5], 0x50
	s_mov_b32 s1, exec_lo
	v_cmpx_eq_u32_e32 0, v0
	s_cbranch_execz .LBB115_78
; %bb.77:
	s_mul_i32 s1, s18, s17
	s_mul_hi_u32 s2, s18, s16
	s_mul_i32 s3, s19, s16
	s_add_i32 s1, s2, s1
	s_mul_i32 s2, s18, s16
	s_add_i32 s3, s1, s3
	v_mov_b32_e32 v0, 0
	s_lshl_b64 s[2:3], s[2:3], 4
	s_add_u32 s1, s14, s2
	s_addc_u32 s4, s15, s3
	s_cmp_eq_u64 s[12:13], 0
	s_cselect_b32 s5, -1, 0
	s_lshl_b64 s[2:3], s[6:7], 4
	s_waitcnt lgkmcnt(0)
	v_cndmask_b32_e64 v3, v8, s0, s5
	v_cndmask_b32_e64 v2, v2, s9, s5
	;; [unrolled: 1-line block ×3, first 2 shown]
	s_add_u32 s0, s1, s2
	s_addc_u32 s1, s4, s3
	global_store_byte v0, v3, s[0:1]
	global_store_dwordx2 v0, v[1:2], s[0:1] offset:8
.LBB115_78:
	s_endpgm
	.section	.rodata,"a",@progbits
	.p2align	6, 0x0
	.amdhsa_kernel _ZN7rocprim17ROCPRIM_400000_NS6detail17trampoline_kernelINS0_14default_configENS1_22reduce_config_selectorIN6thrust23THRUST_200600_302600_NS5tupleIblNS6_9null_typeES8_S8_S8_S8_S8_S8_S8_EEEEZNS1_11reduce_implILb1ES3_NS6_12zip_iteratorINS7_INS6_11hip_rocprim26transform_input_iterator_tIbNSD_35transform_pair_of_input_iterators_tIbNS6_6detail15normal_iteratorINS6_10device_ptrIKyEEEESL_NS6_8equal_toIyEEEENSG_9not_fun_tINSD_8identityEEEEENSD_19counting_iterator_tIlEES8_S8_S8_S8_S8_S8_S8_S8_EEEEPS9_S9_NSD_9__find_if7functorIS9_EEEE10hipError_tPvRmT1_T2_T3_mT4_P12ihipStream_tbEUlT_E0_NS1_11comp_targetILNS1_3genE8ELNS1_11target_archE1030ELNS1_3gpuE2ELNS1_3repE0EEENS1_30default_config_static_selectorELNS0_4arch9wavefront6targetE0EEEvS14_
		.amdhsa_group_segment_fixed_size 256
		.amdhsa_private_segment_fixed_size 0
		.amdhsa_kernarg_size 104
		.amdhsa_user_sgpr_count 6
		.amdhsa_user_sgpr_private_segment_buffer 1
		.amdhsa_user_sgpr_dispatch_ptr 0
		.amdhsa_user_sgpr_queue_ptr 0
		.amdhsa_user_sgpr_kernarg_segment_ptr 1
		.amdhsa_user_sgpr_dispatch_id 0
		.amdhsa_user_sgpr_flat_scratch_init 0
		.amdhsa_user_sgpr_private_segment_size 0
		.amdhsa_wavefront_size32 1
		.amdhsa_uses_dynamic_stack 0
		.amdhsa_system_sgpr_private_segment_wavefront_offset 0
		.amdhsa_system_sgpr_workgroup_id_x 1
		.amdhsa_system_sgpr_workgroup_id_y 0
		.amdhsa_system_sgpr_workgroup_id_z 0
		.amdhsa_system_sgpr_workgroup_info 0
		.amdhsa_system_vgpr_workitem_id 0
		.amdhsa_next_free_vgpr 14
		.amdhsa_next_free_sgpr 28
		.amdhsa_reserve_vcc 1
		.amdhsa_reserve_flat_scratch 0
		.amdhsa_float_round_mode_32 0
		.amdhsa_float_round_mode_16_64 0
		.amdhsa_float_denorm_mode_32 3
		.amdhsa_float_denorm_mode_16_64 3
		.amdhsa_dx10_clamp 1
		.amdhsa_ieee_mode 1
		.amdhsa_fp16_overflow 0
		.amdhsa_workgroup_processor_mode 1
		.amdhsa_memory_ordered 1
		.amdhsa_forward_progress 1
		.amdhsa_shared_vgpr_count 0
		.amdhsa_exception_fp_ieee_invalid_op 0
		.amdhsa_exception_fp_denorm_src 0
		.amdhsa_exception_fp_ieee_div_zero 0
		.amdhsa_exception_fp_ieee_overflow 0
		.amdhsa_exception_fp_ieee_underflow 0
		.amdhsa_exception_fp_ieee_inexact 0
		.amdhsa_exception_int_div_zero 0
	.end_amdhsa_kernel
	.section	.text._ZN7rocprim17ROCPRIM_400000_NS6detail17trampoline_kernelINS0_14default_configENS1_22reduce_config_selectorIN6thrust23THRUST_200600_302600_NS5tupleIblNS6_9null_typeES8_S8_S8_S8_S8_S8_S8_EEEEZNS1_11reduce_implILb1ES3_NS6_12zip_iteratorINS7_INS6_11hip_rocprim26transform_input_iterator_tIbNSD_35transform_pair_of_input_iterators_tIbNS6_6detail15normal_iteratorINS6_10device_ptrIKyEEEESL_NS6_8equal_toIyEEEENSG_9not_fun_tINSD_8identityEEEEENSD_19counting_iterator_tIlEES8_S8_S8_S8_S8_S8_S8_S8_EEEEPS9_S9_NSD_9__find_if7functorIS9_EEEE10hipError_tPvRmT1_T2_T3_mT4_P12ihipStream_tbEUlT_E0_NS1_11comp_targetILNS1_3genE8ELNS1_11target_archE1030ELNS1_3gpuE2ELNS1_3repE0EEENS1_30default_config_static_selectorELNS0_4arch9wavefront6targetE0EEEvS14_,"axG",@progbits,_ZN7rocprim17ROCPRIM_400000_NS6detail17trampoline_kernelINS0_14default_configENS1_22reduce_config_selectorIN6thrust23THRUST_200600_302600_NS5tupleIblNS6_9null_typeES8_S8_S8_S8_S8_S8_S8_EEEEZNS1_11reduce_implILb1ES3_NS6_12zip_iteratorINS7_INS6_11hip_rocprim26transform_input_iterator_tIbNSD_35transform_pair_of_input_iterators_tIbNS6_6detail15normal_iteratorINS6_10device_ptrIKyEEEESL_NS6_8equal_toIyEEEENSG_9not_fun_tINSD_8identityEEEEENSD_19counting_iterator_tIlEES8_S8_S8_S8_S8_S8_S8_S8_EEEEPS9_S9_NSD_9__find_if7functorIS9_EEEE10hipError_tPvRmT1_T2_T3_mT4_P12ihipStream_tbEUlT_E0_NS1_11comp_targetILNS1_3genE8ELNS1_11target_archE1030ELNS1_3gpuE2ELNS1_3repE0EEENS1_30default_config_static_selectorELNS0_4arch9wavefront6targetE0EEEvS14_,comdat
.Lfunc_end115:
	.size	_ZN7rocprim17ROCPRIM_400000_NS6detail17trampoline_kernelINS0_14default_configENS1_22reduce_config_selectorIN6thrust23THRUST_200600_302600_NS5tupleIblNS6_9null_typeES8_S8_S8_S8_S8_S8_S8_EEEEZNS1_11reduce_implILb1ES3_NS6_12zip_iteratorINS7_INS6_11hip_rocprim26transform_input_iterator_tIbNSD_35transform_pair_of_input_iterators_tIbNS6_6detail15normal_iteratorINS6_10device_ptrIKyEEEESL_NS6_8equal_toIyEEEENSG_9not_fun_tINSD_8identityEEEEENSD_19counting_iterator_tIlEES8_S8_S8_S8_S8_S8_S8_S8_EEEEPS9_S9_NSD_9__find_if7functorIS9_EEEE10hipError_tPvRmT1_T2_T3_mT4_P12ihipStream_tbEUlT_E0_NS1_11comp_targetILNS1_3genE8ELNS1_11target_archE1030ELNS1_3gpuE2ELNS1_3repE0EEENS1_30default_config_static_selectorELNS0_4arch9wavefront6targetE0EEEvS14_, .Lfunc_end115-_ZN7rocprim17ROCPRIM_400000_NS6detail17trampoline_kernelINS0_14default_configENS1_22reduce_config_selectorIN6thrust23THRUST_200600_302600_NS5tupleIblNS6_9null_typeES8_S8_S8_S8_S8_S8_S8_EEEEZNS1_11reduce_implILb1ES3_NS6_12zip_iteratorINS7_INS6_11hip_rocprim26transform_input_iterator_tIbNSD_35transform_pair_of_input_iterators_tIbNS6_6detail15normal_iteratorINS6_10device_ptrIKyEEEESL_NS6_8equal_toIyEEEENSG_9not_fun_tINSD_8identityEEEEENSD_19counting_iterator_tIlEES8_S8_S8_S8_S8_S8_S8_S8_EEEEPS9_S9_NSD_9__find_if7functorIS9_EEEE10hipError_tPvRmT1_T2_T3_mT4_P12ihipStream_tbEUlT_E0_NS1_11comp_targetILNS1_3genE8ELNS1_11target_archE1030ELNS1_3gpuE2ELNS1_3repE0EEENS1_30default_config_static_selectorELNS0_4arch9wavefront6targetE0EEEvS14_
                                        ; -- End function
	.set _ZN7rocprim17ROCPRIM_400000_NS6detail17trampoline_kernelINS0_14default_configENS1_22reduce_config_selectorIN6thrust23THRUST_200600_302600_NS5tupleIblNS6_9null_typeES8_S8_S8_S8_S8_S8_S8_EEEEZNS1_11reduce_implILb1ES3_NS6_12zip_iteratorINS7_INS6_11hip_rocprim26transform_input_iterator_tIbNSD_35transform_pair_of_input_iterators_tIbNS6_6detail15normal_iteratorINS6_10device_ptrIKyEEEESL_NS6_8equal_toIyEEEENSG_9not_fun_tINSD_8identityEEEEENSD_19counting_iterator_tIlEES8_S8_S8_S8_S8_S8_S8_S8_EEEEPS9_S9_NSD_9__find_if7functorIS9_EEEE10hipError_tPvRmT1_T2_T3_mT4_P12ihipStream_tbEUlT_E0_NS1_11comp_targetILNS1_3genE8ELNS1_11target_archE1030ELNS1_3gpuE2ELNS1_3repE0EEENS1_30default_config_static_selectorELNS0_4arch9wavefront6targetE0EEEvS14_.num_vgpr, 14
	.set _ZN7rocprim17ROCPRIM_400000_NS6detail17trampoline_kernelINS0_14default_configENS1_22reduce_config_selectorIN6thrust23THRUST_200600_302600_NS5tupleIblNS6_9null_typeES8_S8_S8_S8_S8_S8_S8_EEEEZNS1_11reduce_implILb1ES3_NS6_12zip_iteratorINS7_INS6_11hip_rocprim26transform_input_iterator_tIbNSD_35transform_pair_of_input_iterators_tIbNS6_6detail15normal_iteratorINS6_10device_ptrIKyEEEESL_NS6_8equal_toIyEEEENSG_9not_fun_tINSD_8identityEEEEENSD_19counting_iterator_tIlEES8_S8_S8_S8_S8_S8_S8_S8_EEEEPS9_S9_NSD_9__find_if7functorIS9_EEEE10hipError_tPvRmT1_T2_T3_mT4_P12ihipStream_tbEUlT_E0_NS1_11comp_targetILNS1_3genE8ELNS1_11target_archE1030ELNS1_3gpuE2ELNS1_3repE0EEENS1_30default_config_static_selectorELNS0_4arch9wavefront6targetE0EEEvS14_.num_agpr, 0
	.set _ZN7rocprim17ROCPRIM_400000_NS6detail17trampoline_kernelINS0_14default_configENS1_22reduce_config_selectorIN6thrust23THRUST_200600_302600_NS5tupleIblNS6_9null_typeES8_S8_S8_S8_S8_S8_S8_EEEEZNS1_11reduce_implILb1ES3_NS6_12zip_iteratorINS7_INS6_11hip_rocprim26transform_input_iterator_tIbNSD_35transform_pair_of_input_iterators_tIbNS6_6detail15normal_iteratorINS6_10device_ptrIKyEEEESL_NS6_8equal_toIyEEEENSG_9not_fun_tINSD_8identityEEEEENSD_19counting_iterator_tIlEES8_S8_S8_S8_S8_S8_S8_S8_EEEEPS9_S9_NSD_9__find_if7functorIS9_EEEE10hipError_tPvRmT1_T2_T3_mT4_P12ihipStream_tbEUlT_E0_NS1_11comp_targetILNS1_3genE8ELNS1_11target_archE1030ELNS1_3gpuE2ELNS1_3repE0EEENS1_30default_config_static_selectorELNS0_4arch9wavefront6targetE0EEEvS14_.numbered_sgpr, 28
	.set _ZN7rocprim17ROCPRIM_400000_NS6detail17trampoline_kernelINS0_14default_configENS1_22reduce_config_selectorIN6thrust23THRUST_200600_302600_NS5tupleIblNS6_9null_typeES8_S8_S8_S8_S8_S8_S8_EEEEZNS1_11reduce_implILb1ES3_NS6_12zip_iteratorINS7_INS6_11hip_rocprim26transform_input_iterator_tIbNSD_35transform_pair_of_input_iterators_tIbNS6_6detail15normal_iteratorINS6_10device_ptrIKyEEEESL_NS6_8equal_toIyEEEENSG_9not_fun_tINSD_8identityEEEEENSD_19counting_iterator_tIlEES8_S8_S8_S8_S8_S8_S8_S8_EEEEPS9_S9_NSD_9__find_if7functorIS9_EEEE10hipError_tPvRmT1_T2_T3_mT4_P12ihipStream_tbEUlT_E0_NS1_11comp_targetILNS1_3genE8ELNS1_11target_archE1030ELNS1_3gpuE2ELNS1_3repE0EEENS1_30default_config_static_selectorELNS0_4arch9wavefront6targetE0EEEvS14_.num_named_barrier, 0
	.set _ZN7rocprim17ROCPRIM_400000_NS6detail17trampoline_kernelINS0_14default_configENS1_22reduce_config_selectorIN6thrust23THRUST_200600_302600_NS5tupleIblNS6_9null_typeES8_S8_S8_S8_S8_S8_S8_EEEEZNS1_11reduce_implILb1ES3_NS6_12zip_iteratorINS7_INS6_11hip_rocprim26transform_input_iterator_tIbNSD_35transform_pair_of_input_iterators_tIbNS6_6detail15normal_iteratorINS6_10device_ptrIKyEEEESL_NS6_8equal_toIyEEEENSG_9not_fun_tINSD_8identityEEEEENSD_19counting_iterator_tIlEES8_S8_S8_S8_S8_S8_S8_S8_EEEEPS9_S9_NSD_9__find_if7functorIS9_EEEE10hipError_tPvRmT1_T2_T3_mT4_P12ihipStream_tbEUlT_E0_NS1_11comp_targetILNS1_3genE8ELNS1_11target_archE1030ELNS1_3gpuE2ELNS1_3repE0EEENS1_30default_config_static_selectorELNS0_4arch9wavefront6targetE0EEEvS14_.private_seg_size, 0
	.set _ZN7rocprim17ROCPRIM_400000_NS6detail17trampoline_kernelINS0_14default_configENS1_22reduce_config_selectorIN6thrust23THRUST_200600_302600_NS5tupleIblNS6_9null_typeES8_S8_S8_S8_S8_S8_S8_EEEEZNS1_11reduce_implILb1ES3_NS6_12zip_iteratorINS7_INS6_11hip_rocprim26transform_input_iterator_tIbNSD_35transform_pair_of_input_iterators_tIbNS6_6detail15normal_iteratorINS6_10device_ptrIKyEEEESL_NS6_8equal_toIyEEEENSG_9not_fun_tINSD_8identityEEEEENSD_19counting_iterator_tIlEES8_S8_S8_S8_S8_S8_S8_S8_EEEEPS9_S9_NSD_9__find_if7functorIS9_EEEE10hipError_tPvRmT1_T2_T3_mT4_P12ihipStream_tbEUlT_E0_NS1_11comp_targetILNS1_3genE8ELNS1_11target_archE1030ELNS1_3gpuE2ELNS1_3repE0EEENS1_30default_config_static_selectorELNS0_4arch9wavefront6targetE0EEEvS14_.uses_vcc, 1
	.set _ZN7rocprim17ROCPRIM_400000_NS6detail17trampoline_kernelINS0_14default_configENS1_22reduce_config_selectorIN6thrust23THRUST_200600_302600_NS5tupleIblNS6_9null_typeES8_S8_S8_S8_S8_S8_S8_EEEEZNS1_11reduce_implILb1ES3_NS6_12zip_iteratorINS7_INS6_11hip_rocprim26transform_input_iterator_tIbNSD_35transform_pair_of_input_iterators_tIbNS6_6detail15normal_iteratorINS6_10device_ptrIKyEEEESL_NS6_8equal_toIyEEEENSG_9not_fun_tINSD_8identityEEEEENSD_19counting_iterator_tIlEES8_S8_S8_S8_S8_S8_S8_S8_EEEEPS9_S9_NSD_9__find_if7functorIS9_EEEE10hipError_tPvRmT1_T2_T3_mT4_P12ihipStream_tbEUlT_E0_NS1_11comp_targetILNS1_3genE8ELNS1_11target_archE1030ELNS1_3gpuE2ELNS1_3repE0EEENS1_30default_config_static_selectorELNS0_4arch9wavefront6targetE0EEEvS14_.uses_flat_scratch, 0
	.set _ZN7rocprim17ROCPRIM_400000_NS6detail17trampoline_kernelINS0_14default_configENS1_22reduce_config_selectorIN6thrust23THRUST_200600_302600_NS5tupleIblNS6_9null_typeES8_S8_S8_S8_S8_S8_S8_EEEEZNS1_11reduce_implILb1ES3_NS6_12zip_iteratorINS7_INS6_11hip_rocprim26transform_input_iterator_tIbNSD_35transform_pair_of_input_iterators_tIbNS6_6detail15normal_iteratorINS6_10device_ptrIKyEEEESL_NS6_8equal_toIyEEEENSG_9not_fun_tINSD_8identityEEEEENSD_19counting_iterator_tIlEES8_S8_S8_S8_S8_S8_S8_S8_EEEEPS9_S9_NSD_9__find_if7functorIS9_EEEE10hipError_tPvRmT1_T2_T3_mT4_P12ihipStream_tbEUlT_E0_NS1_11comp_targetILNS1_3genE8ELNS1_11target_archE1030ELNS1_3gpuE2ELNS1_3repE0EEENS1_30default_config_static_selectorELNS0_4arch9wavefront6targetE0EEEvS14_.has_dyn_sized_stack, 0
	.set _ZN7rocprim17ROCPRIM_400000_NS6detail17trampoline_kernelINS0_14default_configENS1_22reduce_config_selectorIN6thrust23THRUST_200600_302600_NS5tupleIblNS6_9null_typeES8_S8_S8_S8_S8_S8_S8_EEEEZNS1_11reduce_implILb1ES3_NS6_12zip_iteratorINS7_INS6_11hip_rocprim26transform_input_iterator_tIbNSD_35transform_pair_of_input_iterators_tIbNS6_6detail15normal_iteratorINS6_10device_ptrIKyEEEESL_NS6_8equal_toIyEEEENSG_9not_fun_tINSD_8identityEEEEENSD_19counting_iterator_tIlEES8_S8_S8_S8_S8_S8_S8_S8_EEEEPS9_S9_NSD_9__find_if7functorIS9_EEEE10hipError_tPvRmT1_T2_T3_mT4_P12ihipStream_tbEUlT_E0_NS1_11comp_targetILNS1_3genE8ELNS1_11target_archE1030ELNS1_3gpuE2ELNS1_3repE0EEENS1_30default_config_static_selectorELNS0_4arch9wavefront6targetE0EEEvS14_.has_recursion, 0
	.set _ZN7rocprim17ROCPRIM_400000_NS6detail17trampoline_kernelINS0_14default_configENS1_22reduce_config_selectorIN6thrust23THRUST_200600_302600_NS5tupleIblNS6_9null_typeES8_S8_S8_S8_S8_S8_S8_EEEEZNS1_11reduce_implILb1ES3_NS6_12zip_iteratorINS7_INS6_11hip_rocprim26transform_input_iterator_tIbNSD_35transform_pair_of_input_iterators_tIbNS6_6detail15normal_iteratorINS6_10device_ptrIKyEEEESL_NS6_8equal_toIyEEEENSG_9not_fun_tINSD_8identityEEEEENSD_19counting_iterator_tIlEES8_S8_S8_S8_S8_S8_S8_S8_EEEEPS9_S9_NSD_9__find_if7functorIS9_EEEE10hipError_tPvRmT1_T2_T3_mT4_P12ihipStream_tbEUlT_E0_NS1_11comp_targetILNS1_3genE8ELNS1_11target_archE1030ELNS1_3gpuE2ELNS1_3repE0EEENS1_30default_config_static_selectorELNS0_4arch9wavefront6targetE0EEEvS14_.has_indirect_call, 0
	.section	.AMDGPU.csdata,"",@progbits
; Kernel info:
; codeLenInByte = 3248
; TotalNumSgprs: 30
; NumVgprs: 14
; ScratchSize: 0
; MemoryBound: 0
; FloatMode: 240
; IeeeMode: 1
; LDSByteSize: 256 bytes/workgroup (compile time only)
; SGPRBlocks: 0
; VGPRBlocks: 1
; NumSGPRsForWavesPerEU: 30
; NumVGPRsForWavesPerEU: 14
; Occupancy: 16
; WaveLimiterHint : 0
; COMPUTE_PGM_RSRC2:SCRATCH_EN: 0
; COMPUTE_PGM_RSRC2:USER_SGPR: 6
; COMPUTE_PGM_RSRC2:TRAP_HANDLER: 0
; COMPUTE_PGM_RSRC2:TGID_X_EN: 1
; COMPUTE_PGM_RSRC2:TGID_Y_EN: 0
; COMPUTE_PGM_RSRC2:TGID_Z_EN: 0
; COMPUTE_PGM_RSRC2:TIDIG_COMP_CNT: 0
	.section	.text._ZN7rocprim17ROCPRIM_400000_NS6detail17trampoline_kernelINS0_14default_configENS1_22reduce_config_selectorIN6thrust23THRUST_200600_302600_NS5tupleIblNS6_9null_typeES8_S8_S8_S8_S8_S8_S8_EEEEZNS1_11reduce_implILb1ES3_NS6_12zip_iteratorINS7_INS6_11hip_rocprim26transform_input_iterator_tIbNSD_35transform_pair_of_input_iterators_tIbNS6_6detail15normal_iteratorINS6_10device_ptrIKyEEEESL_NS6_8equal_toIyEEEENSG_9not_fun_tINSD_8identityEEEEENSD_19counting_iterator_tIlEES8_S8_S8_S8_S8_S8_S8_S8_EEEEPS9_S9_NSD_9__find_if7functorIS9_EEEE10hipError_tPvRmT1_T2_T3_mT4_P12ihipStream_tbEUlT_E1_NS1_11comp_targetILNS1_3genE0ELNS1_11target_archE4294967295ELNS1_3gpuE0ELNS1_3repE0EEENS1_30default_config_static_selectorELNS0_4arch9wavefront6targetE0EEEvS14_,"axG",@progbits,_ZN7rocprim17ROCPRIM_400000_NS6detail17trampoline_kernelINS0_14default_configENS1_22reduce_config_selectorIN6thrust23THRUST_200600_302600_NS5tupleIblNS6_9null_typeES8_S8_S8_S8_S8_S8_S8_EEEEZNS1_11reduce_implILb1ES3_NS6_12zip_iteratorINS7_INS6_11hip_rocprim26transform_input_iterator_tIbNSD_35transform_pair_of_input_iterators_tIbNS6_6detail15normal_iteratorINS6_10device_ptrIKyEEEESL_NS6_8equal_toIyEEEENSG_9not_fun_tINSD_8identityEEEEENSD_19counting_iterator_tIlEES8_S8_S8_S8_S8_S8_S8_S8_EEEEPS9_S9_NSD_9__find_if7functorIS9_EEEE10hipError_tPvRmT1_T2_T3_mT4_P12ihipStream_tbEUlT_E1_NS1_11comp_targetILNS1_3genE0ELNS1_11target_archE4294967295ELNS1_3gpuE0ELNS1_3repE0EEENS1_30default_config_static_selectorELNS0_4arch9wavefront6targetE0EEEvS14_,comdat
	.protected	_ZN7rocprim17ROCPRIM_400000_NS6detail17trampoline_kernelINS0_14default_configENS1_22reduce_config_selectorIN6thrust23THRUST_200600_302600_NS5tupleIblNS6_9null_typeES8_S8_S8_S8_S8_S8_S8_EEEEZNS1_11reduce_implILb1ES3_NS6_12zip_iteratorINS7_INS6_11hip_rocprim26transform_input_iterator_tIbNSD_35transform_pair_of_input_iterators_tIbNS6_6detail15normal_iteratorINS6_10device_ptrIKyEEEESL_NS6_8equal_toIyEEEENSG_9not_fun_tINSD_8identityEEEEENSD_19counting_iterator_tIlEES8_S8_S8_S8_S8_S8_S8_S8_EEEEPS9_S9_NSD_9__find_if7functorIS9_EEEE10hipError_tPvRmT1_T2_T3_mT4_P12ihipStream_tbEUlT_E1_NS1_11comp_targetILNS1_3genE0ELNS1_11target_archE4294967295ELNS1_3gpuE0ELNS1_3repE0EEENS1_30default_config_static_selectorELNS0_4arch9wavefront6targetE0EEEvS14_ ; -- Begin function _ZN7rocprim17ROCPRIM_400000_NS6detail17trampoline_kernelINS0_14default_configENS1_22reduce_config_selectorIN6thrust23THRUST_200600_302600_NS5tupleIblNS6_9null_typeES8_S8_S8_S8_S8_S8_S8_EEEEZNS1_11reduce_implILb1ES3_NS6_12zip_iteratorINS7_INS6_11hip_rocprim26transform_input_iterator_tIbNSD_35transform_pair_of_input_iterators_tIbNS6_6detail15normal_iteratorINS6_10device_ptrIKyEEEESL_NS6_8equal_toIyEEEENSG_9not_fun_tINSD_8identityEEEEENSD_19counting_iterator_tIlEES8_S8_S8_S8_S8_S8_S8_S8_EEEEPS9_S9_NSD_9__find_if7functorIS9_EEEE10hipError_tPvRmT1_T2_T3_mT4_P12ihipStream_tbEUlT_E1_NS1_11comp_targetILNS1_3genE0ELNS1_11target_archE4294967295ELNS1_3gpuE0ELNS1_3repE0EEENS1_30default_config_static_selectorELNS0_4arch9wavefront6targetE0EEEvS14_
	.globl	_ZN7rocprim17ROCPRIM_400000_NS6detail17trampoline_kernelINS0_14default_configENS1_22reduce_config_selectorIN6thrust23THRUST_200600_302600_NS5tupleIblNS6_9null_typeES8_S8_S8_S8_S8_S8_S8_EEEEZNS1_11reduce_implILb1ES3_NS6_12zip_iteratorINS7_INS6_11hip_rocprim26transform_input_iterator_tIbNSD_35transform_pair_of_input_iterators_tIbNS6_6detail15normal_iteratorINS6_10device_ptrIKyEEEESL_NS6_8equal_toIyEEEENSG_9not_fun_tINSD_8identityEEEEENSD_19counting_iterator_tIlEES8_S8_S8_S8_S8_S8_S8_S8_EEEEPS9_S9_NSD_9__find_if7functorIS9_EEEE10hipError_tPvRmT1_T2_T3_mT4_P12ihipStream_tbEUlT_E1_NS1_11comp_targetILNS1_3genE0ELNS1_11target_archE4294967295ELNS1_3gpuE0ELNS1_3repE0EEENS1_30default_config_static_selectorELNS0_4arch9wavefront6targetE0EEEvS14_
	.p2align	8
	.type	_ZN7rocprim17ROCPRIM_400000_NS6detail17trampoline_kernelINS0_14default_configENS1_22reduce_config_selectorIN6thrust23THRUST_200600_302600_NS5tupleIblNS6_9null_typeES8_S8_S8_S8_S8_S8_S8_EEEEZNS1_11reduce_implILb1ES3_NS6_12zip_iteratorINS7_INS6_11hip_rocprim26transform_input_iterator_tIbNSD_35transform_pair_of_input_iterators_tIbNS6_6detail15normal_iteratorINS6_10device_ptrIKyEEEESL_NS6_8equal_toIyEEEENSG_9not_fun_tINSD_8identityEEEEENSD_19counting_iterator_tIlEES8_S8_S8_S8_S8_S8_S8_S8_EEEEPS9_S9_NSD_9__find_if7functorIS9_EEEE10hipError_tPvRmT1_T2_T3_mT4_P12ihipStream_tbEUlT_E1_NS1_11comp_targetILNS1_3genE0ELNS1_11target_archE4294967295ELNS1_3gpuE0ELNS1_3repE0EEENS1_30default_config_static_selectorELNS0_4arch9wavefront6targetE0EEEvS14_,@function
_ZN7rocprim17ROCPRIM_400000_NS6detail17trampoline_kernelINS0_14default_configENS1_22reduce_config_selectorIN6thrust23THRUST_200600_302600_NS5tupleIblNS6_9null_typeES8_S8_S8_S8_S8_S8_S8_EEEEZNS1_11reduce_implILb1ES3_NS6_12zip_iteratorINS7_INS6_11hip_rocprim26transform_input_iterator_tIbNSD_35transform_pair_of_input_iterators_tIbNS6_6detail15normal_iteratorINS6_10device_ptrIKyEEEESL_NS6_8equal_toIyEEEENSG_9not_fun_tINSD_8identityEEEEENSD_19counting_iterator_tIlEES8_S8_S8_S8_S8_S8_S8_S8_EEEEPS9_S9_NSD_9__find_if7functorIS9_EEEE10hipError_tPvRmT1_T2_T3_mT4_P12ihipStream_tbEUlT_E1_NS1_11comp_targetILNS1_3genE0ELNS1_11target_archE4294967295ELNS1_3gpuE0ELNS1_3repE0EEENS1_30default_config_static_selectorELNS0_4arch9wavefront6targetE0EEEvS14_: ; @_ZN7rocprim17ROCPRIM_400000_NS6detail17trampoline_kernelINS0_14default_configENS1_22reduce_config_selectorIN6thrust23THRUST_200600_302600_NS5tupleIblNS6_9null_typeES8_S8_S8_S8_S8_S8_S8_EEEEZNS1_11reduce_implILb1ES3_NS6_12zip_iteratorINS7_INS6_11hip_rocprim26transform_input_iterator_tIbNSD_35transform_pair_of_input_iterators_tIbNS6_6detail15normal_iteratorINS6_10device_ptrIKyEEEESL_NS6_8equal_toIyEEEENSG_9not_fun_tINSD_8identityEEEEENSD_19counting_iterator_tIlEES8_S8_S8_S8_S8_S8_S8_S8_EEEEPS9_S9_NSD_9__find_if7functorIS9_EEEE10hipError_tPvRmT1_T2_T3_mT4_P12ihipStream_tbEUlT_E1_NS1_11comp_targetILNS1_3genE0ELNS1_11target_archE4294967295ELNS1_3gpuE0ELNS1_3repE0EEENS1_30default_config_static_selectorELNS0_4arch9wavefront6targetE0EEEvS14_
; %bb.0:
	.section	.rodata,"a",@progbits
	.p2align	6, 0x0
	.amdhsa_kernel _ZN7rocprim17ROCPRIM_400000_NS6detail17trampoline_kernelINS0_14default_configENS1_22reduce_config_selectorIN6thrust23THRUST_200600_302600_NS5tupleIblNS6_9null_typeES8_S8_S8_S8_S8_S8_S8_EEEEZNS1_11reduce_implILb1ES3_NS6_12zip_iteratorINS7_INS6_11hip_rocprim26transform_input_iterator_tIbNSD_35transform_pair_of_input_iterators_tIbNS6_6detail15normal_iteratorINS6_10device_ptrIKyEEEESL_NS6_8equal_toIyEEEENSG_9not_fun_tINSD_8identityEEEEENSD_19counting_iterator_tIlEES8_S8_S8_S8_S8_S8_S8_S8_EEEEPS9_S9_NSD_9__find_if7functorIS9_EEEE10hipError_tPvRmT1_T2_T3_mT4_P12ihipStream_tbEUlT_E1_NS1_11comp_targetILNS1_3genE0ELNS1_11target_archE4294967295ELNS1_3gpuE0ELNS1_3repE0EEENS1_30default_config_static_selectorELNS0_4arch9wavefront6targetE0EEEvS14_
		.amdhsa_group_segment_fixed_size 0
		.amdhsa_private_segment_fixed_size 0
		.amdhsa_kernarg_size 88
		.amdhsa_user_sgpr_count 6
		.amdhsa_user_sgpr_private_segment_buffer 1
		.amdhsa_user_sgpr_dispatch_ptr 0
		.amdhsa_user_sgpr_queue_ptr 0
		.amdhsa_user_sgpr_kernarg_segment_ptr 1
		.amdhsa_user_sgpr_dispatch_id 0
		.amdhsa_user_sgpr_flat_scratch_init 0
		.amdhsa_user_sgpr_private_segment_size 0
		.amdhsa_wavefront_size32 1
		.amdhsa_uses_dynamic_stack 0
		.amdhsa_system_sgpr_private_segment_wavefront_offset 0
		.amdhsa_system_sgpr_workgroup_id_x 1
		.amdhsa_system_sgpr_workgroup_id_y 0
		.amdhsa_system_sgpr_workgroup_id_z 0
		.amdhsa_system_sgpr_workgroup_info 0
		.amdhsa_system_vgpr_workitem_id 0
		.amdhsa_next_free_vgpr 1
		.amdhsa_next_free_sgpr 1
		.amdhsa_reserve_vcc 0
		.amdhsa_reserve_flat_scratch 0
		.amdhsa_float_round_mode_32 0
		.amdhsa_float_round_mode_16_64 0
		.amdhsa_float_denorm_mode_32 3
		.amdhsa_float_denorm_mode_16_64 3
		.amdhsa_dx10_clamp 1
		.amdhsa_ieee_mode 1
		.amdhsa_fp16_overflow 0
		.amdhsa_workgroup_processor_mode 1
		.amdhsa_memory_ordered 1
		.amdhsa_forward_progress 1
		.amdhsa_shared_vgpr_count 0
		.amdhsa_exception_fp_ieee_invalid_op 0
		.amdhsa_exception_fp_denorm_src 0
		.amdhsa_exception_fp_ieee_div_zero 0
		.amdhsa_exception_fp_ieee_overflow 0
		.amdhsa_exception_fp_ieee_underflow 0
		.amdhsa_exception_fp_ieee_inexact 0
		.amdhsa_exception_int_div_zero 0
	.end_amdhsa_kernel
	.section	.text._ZN7rocprim17ROCPRIM_400000_NS6detail17trampoline_kernelINS0_14default_configENS1_22reduce_config_selectorIN6thrust23THRUST_200600_302600_NS5tupleIblNS6_9null_typeES8_S8_S8_S8_S8_S8_S8_EEEEZNS1_11reduce_implILb1ES3_NS6_12zip_iteratorINS7_INS6_11hip_rocprim26transform_input_iterator_tIbNSD_35transform_pair_of_input_iterators_tIbNS6_6detail15normal_iteratorINS6_10device_ptrIKyEEEESL_NS6_8equal_toIyEEEENSG_9not_fun_tINSD_8identityEEEEENSD_19counting_iterator_tIlEES8_S8_S8_S8_S8_S8_S8_S8_EEEEPS9_S9_NSD_9__find_if7functorIS9_EEEE10hipError_tPvRmT1_T2_T3_mT4_P12ihipStream_tbEUlT_E1_NS1_11comp_targetILNS1_3genE0ELNS1_11target_archE4294967295ELNS1_3gpuE0ELNS1_3repE0EEENS1_30default_config_static_selectorELNS0_4arch9wavefront6targetE0EEEvS14_,"axG",@progbits,_ZN7rocprim17ROCPRIM_400000_NS6detail17trampoline_kernelINS0_14default_configENS1_22reduce_config_selectorIN6thrust23THRUST_200600_302600_NS5tupleIblNS6_9null_typeES8_S8_S8_S8_S8_S8_S8_EEEEZNS1_11reduce_implILb1ES3_NS6_12zip_iteratorINS7_INS6_11hip_rocprim26transform_input_iterator_tIbNSD_35transform_pair_of_input_iterators_tIbNS6_6detail15normal_iteratorINS6_10device_ptrIKyEEEESL_NS6_8equal_toIyEEEENSG_9not_fun_tINSD_8identityEEEEENSD_19counting_iterator_tIlEES8_S8_S8_S8_S8_S8_S8_S8_EEEEPS9_S9_NSD_9__find_if7functorIS9_EEEE10hipError_tPvRmT1_T2_T3_mT4_P12ihipStream_tbEUlT_E1_NS1_11comp_targetILNS1_3genE0ELNS1_11target_archE4294967295ELNS1_3gpuE0ELNS1_3repE0EEENS1_30default_config_static_selectorELNS0_4arch9wavefront6targetE0EEEvS14_,comdat
.Lfunc_end116:
	.size	_ZN7rocprim17ROCPRIM_400000_NS6detail17trampoline_kernelINS0_14default_configENS1_22reduce_config_selectorIN6thrust23THRUST_200600_302600_NS5tupleIblNS6_9null_typeES8_S8_S8_S8_S8_S8_S8_EEEEZNS1_11reduce_implILb1ES3_NS6_12zip_iteratorINS7_INS6_11hip_rocprim26transform_input_iterator_tIbNSD_35transform_pair_of_input_iterators_tIbNS6_6detail15normal_iteratorINS6_10device_ptrIKyEEEESL_NS6_8equal_toIyEEEENSG_9not_fun_tINSD_8identityEEEEENSD_19counting_iterator_tIlEES8_S8_S8_S8_S8_S8_S8_S8_EEEEPS9_S9_NSD_9__find_if7functorIS9_EEEE10hipError_tPvRmT1_T2_T3_mT4_P12ihipStream_tbEUlT_E1_NS1_11comp_targetILNS1_3genE0ELNS1_11target_archE4294967295ELNS1_3gpuE0ELNS1_3repE0EEENS1_30default_config_static_selectorELNS0_4arch9wavefront6targetE0EEEvS14_, .Lfunc_end116-_ZN7rocprim17ROCPRIM_400000_NS6detail17trampoline_kernelINS0_14default_configENS1_22reduce_config_selectorIN6thrust23THRUST_200600_302600_NS5tupleIblNS6_9null_typeES8_S8_S8_S8_S8_S8_S8_EEEEZNS1_11reduce_implILb1ES3_NS6_12zip_iteratorINS7_INS6_11hip_rocprim26transform_input_iterator_tIbNSD_35transform_pair_of_input_iterators_tIbNS6_6detail15normal_iteratorINS6_10device_ptrIKyEEEESL_NS6_8equal_toIyEEEENSG_9not_fun_tINSD_8identityEEEEENSD_19counting_iterator_tIlEES8_S8_S8_S8_S8_S8_S8_S8_EEEEPS9_S9_NSD_9__find_if7functorIS9_EEEE10hipError_tPvRmT1_T2_T3_mT4_P12ihipStream_tbEUlT_E1_NS1_11comp_targetILNS1_3genE0ELNS1_11target_archE4294967295ELNS1_3gpuE0ELNS1_3repE0EEENS1_30default_config_static_selectorELNS0_4arch9wavefront6targetE0EEEvS14_
                                        ; -- End function
	.set _ZN7rocprim17ROCPRIM_400000_NS6detail17trampoline_kernelINS0_14default_configENS1_22reduce_config_selectorIN6thrust23THRUST_200600_302600_NS5tupleIblNS6_9null_typeES8_S8_S8_S8_S8_S8_S8_EEEEZNS1_11reduce_implILb1ES3_NS6_12zip_iteratorINS7_INS6_11hip_rocprim26transform_input_iterator_tIbNSD_35transform_pair_of_input_iterators_tIbNS6_6detail15normal_iteratorINS6_10device_ptrIKyEEEESL_NS6_8equal_toIyEEEENSG_9not_fun_tINSD_8identityEEEEENSD_19counting_iterator_tIlEES8_S8_S8_S8_S8_S8_S8_S8_EEEEPS9_S9_NSD_9__find_if7functorIS9_EEEE10hipError_tPvRmT1_T2_T3_mT4_P12ihipStream_tbEUlT_E1_NS1_11comp_targetILNS1_3genE0ELNS1_11target_archE4294967295ELNS1_3gpuE0ELNS1_3repE0EEENS1_30default_config_static_selectorELNS0_4arch9wavefront6targetE0EEEvS14_.num_vgpr, 0
	.set _ZN7rocprim17ROCPRIM_400000_NS6detail17trampoline_kernelINS0_14default_configENS1_22reduce_config_selectorIN6thrust23THRUST_200600_302600_NS5tupleIblNS6_9null_typeES8_S8_S8_S8_S8_S8_S8_EEEEZNS1_11reduce_implILb1ES3_NS6_12zip_iteratorINS7_INS6_11hip_rocprim26transform_input_iterator_tIbNSD_35transform_pair_of_input_iterators_tIbNS6_6detail15normal_iteratorINS6_10device_ptrIKyEEEESL_NS6_8equal_toIyEEEENSG_9not_fun_tINSD_8identityEEEEENSD_19counting_iterator_tIlEES8_S8_S8_S8_S8_S8_S8_S8_EEEEPS9_S9_NSD_9__find_if7functorIS9_EEEE10hipError_tPvRmT1_T2_T3_mT4_P12ihipStream_tbEUlT_E1_NS1_11comp_targetILNS1_3genE0ELNS1_11target_archE4294967295ELNS1_3gpuE0ELNS1_3repE0EEENS1_30default_config_static_selectorELNS0_4arch9wavefront6targetE0EEEvS14_.num_agpr, 0
	.set _ZN7rocprim17ROCPRIM_400000_NS6detail17trampoline_kernelINS0_14default_configENS1_22reduce_config_selectorIN6thrust23THRUST_200600_302600_NS5tupleIblNS6_9null_typeES8_S8_S8_S8_S8_S8_S8_EEEEZNS1_11reduce_implILb1ES3_NS6_12zip_iteratorINS7_INS6_11hip_rocprim26transform_input_iterator_tIbNSD_35transform_pair_of_input_iterators_tIbNS6_6detail15normal_iteratorINS6_10device_ptrIKyEEEESL_NS6_8equal_toIyEEEENSG_9not_fun_tINSD_8identityEEEEENSD_19counting_iterator_tIlEES8_S8_S8_S8_S8_S8_S8_S8_EEEEPS9_S9_NSD_9__find_if7functorIS9_EEEE10hipError_tPvRmT1_T2_T3_mT4_P12ihipStream_tbEUlT_E1_NS1_11comp_targetILNS1_3genE0ELNS1_11target_archE4294967295ELNS1_3gpuE0ELNS1_3repE0EEENS1_30default_config_static_selectorELNS0_4arch9wavefront6targetE0EEEvS14_.numbered_sgpr, 0
	.set _ZN7rocprim17ROCPRIM_400000_NS6detail17trampoline_kernelINS0_14default_configENS1_22reduce_config_selectorIN6thrust23THRUST_200600_302600_NS5tupleIblNS6_9null_typeES8_S8_S8_S8_S8_S8_S8_EEEEZNS1_11reduce_implILb1ES3_NS6_12zip_iteratorINS7_INS6_11hip_rocprim26transform_input_iterator_tIbNSD_35transform_pair_of_input_iterators_tIbNS6_6detail15normal_iteratorINS6_10device_ptrIKyEEEESL_NS6_8equal_toIyEEEENSG_9not_fun_tINSD_8identityEEEEENSD_19counting_iterator_tIlEES8_S8_S8_S8_S8_S8_S8_S8_EEEEPS9_S9_NSD_9__find_if7functorIS9_EEEE10hipError_tPvRmT1_T2_T3_mT4_P12ihipStream_tbEUlT_E1_NS1_11comp_targetILNS1_3genE0ELNS1_11target_archE4294967295ELNS1_3gpuE0ELNS1_3repE0EEENS1_30default_config_static_selectorELNS0_4arch9wavefront6targetE0EEEvS14_.num_named_barrier, 0
	.set _ZN7rocprim17ROCPRIM_400000_NS6detail17trampoline_kernelINS0_14default_configENS1_22reduce_config_selectorIN6thrust23THRUST_200600_302600_NS5tupleIblNS6_9null_typeES8_S8_S8_S8_S8_S8_S8_EEEEZNS1_11reduce_implILb1ES3_NS6_12zip_iteratorINS7_INS6_11hip_rocprim26transform_input_iterator_tIbNSD_35transform_pair_of_input_iterators_tIbNS6_6detail15normal_iteratorINS6_10device_ptrIKyEEEESL_NS6_8equal_toIyEEEENSG_9not_fun_tINSD_8identityEEEEENSD_19counting_iterator_tIlEES8_S8_S8_S8_S8_S8_S8_S8_EEEEPS9_S9_NSD_9__find_if7functorIS9_EEEE10hipError_tPvRmT1_T2_T3_mT4_P12ihipStream_tbEUlT_E1_NS1_11comp_targetILNS1_3genE0ELNS1_11target_archE4294967295ELNS1_3gpuE0ELNS1_3repE0EEENS1_30default_config_static_selectorELNS0_4arch9wavefront6targetE0EEEvS14_.private_seg_size, 0
	.set _ZN7rocprim17ROCPRIM_400000_NS6detail17trampoline_kernelINS0_14default_configENS1_22reduce_config_selectorIN6thrust23THRUST_200600_302600_NS5tupleIblNS6_9null_typeES8_S8_S8_S8_S8_S8_S8_EEEEZNS1_11reduce_implILb1ES3_NS6_12zip_iteratorINS7_INS6_11hip_rocprim26transform_input_iterator_tIbNSD_35transform_pair_of_input_iterators_tIbNS6_6detail15normal_iteratorINS6_10device_ptrIKyEEEESL_NS6_8equal_toIyEEEENSG_9not_fun_tINSD_8identityEEEEENSD_19counting_iterator_tIlEES8_S8_S8_S8_S8_S8_S8_S8_EEEEPS9_S9_NSD_9__find_if7functorIS9_EEEE10hipError_tPvRmT1_T2_T3_mT4_P12ihipStream_tbEUlT_E1_NS1_11comp_targetILNS1_3genE0ELNS1_11target_archE4294967295ELNS1_3gpuE0ELNS1_3repE0EEENS1_30default_config_static_selectorELNS0_4arch9wavefront6targetE0EEEvS14_.uses_vcc, 0
	.set _ZN7rocprim17ROCPRIM_400000_NS6detail17trampoline_kernelINS0_14default_configENS1_22reduce_config_selectorIN6thrust23THRUST_200600_302600_NS5tupleIblNS6_9null_typeES8_S8_S8_S8_S8_S8_S8_EEEEZNS1_11reduce_implILb1ES3_NS6_12zip_iteratorINS7_INS6_11hip_rocprim26transform_input_iterator_tIbNSD_35transform_pair_of_input_iterators_tIbNS6_6detail15normal_iteratorINS6_10device_ptrIKyEEEESL_NS6_8equal_toIyEEEENSG_9not_fun_tINSD_8identityEEEEENSD_19counting_iterator_tIlEES8_S8_S8_S8_S8_S8_S8_S8_EEEEPS9_S9_NSD_9__find_if7functorIS9_EEEE10hipError_tPvRmT1_T2_T3_mT4_P12ihipStream_tbEUlT_E1_NS1_11comp_targetILNS1_3genE0ELNS1_11target_archE4294967295ELNS1_3gpuE0ELNS1_3repE0EEENS1_30default_config_static_selectorELNS0_4arch9wavefront6targetE0EEEvS14_.uses_flat_scratch, 0
	.set _ZN7rocprim17ROCPRIM_400000_NS6detail17trampoline_kernelINS0_14default_configENS1_22reduce_config_selectorIN6thrust23THRUST_200600_302600_NS5tupleIblNS6_9null_typeES8_S8_S8_S8_S8_S8_S8_EEEEZNS1_11reduce_implILb1ES3_NS6_12zip_iteratorINS7_INS6_11hip_rocprim26transform_input_iterator_tIbNSD_35transform_pair_of_input_iterators_tIbNS6_6detail15normal_iteratorINS6_10device_ptrIKyEEEESL_NS6_8equal_toIyEEEENSG_9not_fun_tINSD_8identityEEEEENSD_19counting_iterator_tIlEES8_S8_S8_S8_S8_S8_S8_S8_EEEEPS9_S9_NSD_9__find_if7functorIS9_EEEE10hipError_tPvRmT1_T2_T3_mT4_P12ihipStream_tbEUlT_E1_NS1_11comp_targetILNS1_3genE0ELNS1_11target_archE4294967295ELNS1_3gpuE0ELNS1_3repE0EEENS1_30default_config_static_selectorELNS0_4arch9wavefront6targetE0EEEvS14_.has_dyn_sized_stack, 0
	.set _ZN7rocprim17ROCPRIM_400000_NS6detail17trampoline_kernelINS0_14default_configENS1_22reduce_config_selectorIN6thrust23THRUST_200600_302600_NS5tupleIblNS6_9null_typeES8_S8_S8_S8_S8_S8_S8_EEEEZNS1_11reduce_implILb1ES3_NS6_12zip_iteratorINS7_INS6_11hip_rocprim26transform_input_iterator_tIbNSD_35transform_pair_of_input_iterators_tIbNS6_6detail15normal_iteratorINS6_10device_ptrIKyEEEESL_NS6_8equal_toIyEEEENSG_9not_fun_tINSD_8identityEEEEENSD_19counting_iterator_tIlEES8_S8_S8_S8_S8_S8_S8_S8_EEEEPS9_S9_NSD_9__find_if7functorIS9_EEEE10hipError_tPvRmT1_T2_T3_mT4_P12ihipStream_tbEUlT_E1_NS1_11comp_targetILNS1_3genE0ELNS1_11target_archE4294967295ELNS1_3gpuE0ELNS1_3repE0EEENS1_30default_config_static_selectorELNS0_4arch9wavefront6targetE0EEEvS14_.has_recursion, 0
	.set _ZN7rocprim17ROCPRIM_400000_NS6detail17trampoline_kernelINS0_14default_configENS1_22reduce_config_selectorIN6thrust23THRUST_200600_302600_NS5tupleIblNS6_9null_typeES8_S8_S8_S8_S8_S8_S8_EEEEZNS1_11reduce_implILb1ES3_NS6_12zip_iteratorINS7_INS6_11hip_rocprim26transform_input_iterator_tIbNSD_35transform_pair_of_input_iterators_tIbNS6_6detail15normal_iteratorINS6_10device_ptrIKyEEEESL_NS6_8equal_toIyEEEENSG_9not_fun_tINSD_8identityEEEEENSD_19counting_iterator_tIlEES8_S8_S8_S8_S8_S8_S8_S8_EEEEPS9_S9_NSD_9__find_if7functorIS9_EEEE10hipError_tPvRmT1_T2_T3_mT4_P12ihipStream_tbEUlT_E1_NS1_11comp_targetILNS1_3genE0ELNS1_11target_archE4294967295ELNS1_3gpuE0ELNS1_3repE0EEENS1_30default_config_static_selectorELNS0_4arch9wavefront6targetE0EEEvS14_.has_indirect_call, 0
	.section	.AMDGPU.csdata,"",@progbits
; Kernel info:
; codeLenInByte = 0
; TotalNumSgprs: 0
; NumVgprs: 0
; ScratchSize: 0
; MemoryBound: 0
; FloatMode: 240
; IeeeMode: 1
; LDSByteSize: 0 bytes/workgroup (compile time only)
; SGPRBlocks: 0
; VGPRBlocks: 0
; NumSGPRsForWavesPerEU: 1
; NumVGPRsForWavesPerEU: 1
; Occupancy: 16
; WaveLimiterHint : 0
; COMPUTE_PGM_RSRC2:SCRATCH_EN: 0
; COMPUTE_PGM_RSRC2:USER_SGPR: 6
; COMPUTE_PGM_RSRC2:TRAP_HANDLER: 0
; COMPUTE_PGM_RSRC2:TGID_X_EN: 1
; COMPUTE_PGM_RSRC2:TGID_Y_EN: 0
; COMPUTE_PGM_RSRC2:TGID_Z_EN: 0
; COMPUTE_PGM_RSRC2:TIDIG_COMP_CNT: 0
	.section	.text._ZN7rocprim17ROCPRIM_400000_NS6detail17trampoline_kernelINS0_14default_configENS1_22reduce_config_selectorIN6thrust23THRUST_200600_302600_NS5tupleIblNS6_9null_typeES8_S8_S8_S8_S8_S8_S8_EEEEZNS1_11reduce_implILb1ES3_NS6_12zip_iteratorINS7_INS6_11hip_rocprim26transform_input_iterator_tIbNSD_35transform_pair_of_input_iterators_tIbNS6_6detail15normal_iteratorINS6_10device_ptrIKyEEEESL_NS6_8equal_toIyEEEENSG_9not_fun_tINSD_8identityEEEEENSD_19counting_iterator_tIlEES8_S8_S8_S8_S8_S8_S8_S8_EEEEPS9_S9_NSD_9__find_if7functorIS9_EEEE10hipError_tPvRmT1_T2_T3_mT4_P12ihipStream_tbEUlT_E1_NS1_11comp_targetILNS1_3genE5ELNS1_11target_archE942ELNS1_3gpuE9ELNS1_3repE0EEENS1_30default_config_static_selectorELNS0_4arch9wavefront6targetE0EEEvS14_,"axG",@progbits,_ZN7rocprim17ROCPRIM_400000_NS6detail17trampoline_kernelINS0_14default_configENS1_22reduce_config_selectorIN6thrust23THRUST_200600_302600_NS5tupleIblNS6_9null_typeES8_S8_S8_S8_S8_S8_S8_EEEEZNS1_11reduce_implILb1ES3_NS6_12zip_iteratorINS7_INS6_11hip_rocprim26transform_input_iterator_tIbNSD_35transform_pair_of_input_iterators_tIbNS6_6detail15normal_iteratorINS6_10device_ptrIKyEEEESL_NS6_8equal_toIyEEEENSG_9not_fun_tINSD_8identityEEEEENSD_19counting_iterator_tIlEES8_S8_S8_S8_S8_S8_S8_S8_EEEEPS9_S9_NSD_9__find_if7functorIS9_EEEE10hipError_tPvRmT1_T2_T3_mT4_P12ihipStream_tbEUlT_E1_NS1_11comp_targetILNS1_3genE5ELNS1_11target_archE942ELNS1_3gpuE9ELNS1_3repE0EEENS1_30default_config_static_selectorELNS0_4arch9wavefront6targetE0EEEvS14_,comdat
	.protected	_ZN7rocprim17ROCPRIM_400000_NS6detail17trampoline_kernelINS0_14default_configENS1_22reduce_config_selectorIN6thrust23THRUST_200600_302600_NS5tupleIblNS6_9null_typeES8_S8_S8_S8_S8_S8_S8_EEEEZNS1_11reduce_implILb1ES3_NS6_12zip_iteratorINS7_INS6_11hip_rocprim26transform_input_iterator_tIbNSD_35transform_pair_of_input_iterators_tIbNS6_6detail15normal_iteratorINS6_10device_ptrIKyEEEESL_NS6_8equal_toIyEEEENSG_9not_fun_tINSD_8identityEEEEENSD_19counting_iterator_tIlEES8_S8_S8_S8_S8_S8_S8_S8_EEEEPS9_S9_NSD_9__find_if7functorIS9_EEEE10hipError_tPvRmT1_T2_T3_mT4_P12ihipStream_tbEUlT_E1_NS1_11comp_targetILNS1_3genE5ELNS1_11target_archE942ELNS1_3gpuE9ELNS1_3repE0EEENS1_30default_config_static_selectorELNS0_4arch9wavefront6targetE0EEEvS14_ ; -- Begin function _ZN7rocprim17ROCPRIM_400000_NS6detail17trampoline_kernelINS0_14default_configENS1_22reduce_config_selectorIN6thrust23THRUST_200600_302600_NS5tupleIblNS6_9null_typeES8_S8_S8_S8_S8_S8_S8_EEEEZNS1_11reduce_implILb1ES3_NS6_12zip_iteratorINS7_INS6_11hip_rocprim26transform_input_iterator_tIbNSD_35transform_pair_of_input_iterators_tIbNS6_6detail15normal_iteratorINS6_10device_ptrIKyEEEESL_NS6_8equal_toIyEEEENSG_9not_fun_tINSD_8identityEEEEENSD_19counting_iterator_tIlEES8_S8_S8_S8_S8_S8_S8_S8_EEEEPS9_S9_NSD_9__find_if7functorIS9_EEEE10hipError_tPvRmT1_T2_T3_mT4_P12ihipStream_tbEUlT_E1_NS1_11comp_targetILNS1_3genE5ELNS1_11target_archE942ELNS1_3gpuE9ELNS1_3repE0EEENS1_30default_config_static_selectorELNS0_4arch9wavefront6targetE0EEEvS14_
	.globl	_ZN7rocprim17ROCPRIM_400000_NS6detail17trampoline_kernelINS0_14default_configENS1_22reduce_config_selectorIN6thrust23THRUST_200600_302600_NS5tupleIblNS6_9null_typeES8_S8_S8_S8_S8_S8_S8_EEEEZNS1_11reduce_implILb1ES3_NS6_12zip_iteratorINS7_INS6_11hip_rocprim26transform_input_iterator_tIbNSD_35transform_pair_of_input_iterators_tIbNS6_6detail15normal_iteratorINS6_10device_ptrIKyEEEESL_NS6_8equal_toIyEEEENSG_9not_fun_tINSD_8identityEEEEENSD_19counting_iterator_tIlEES8_S8_S8_S8_S8_S8_S8_S8_EEEEPS9_S9_NSD_9__find_if7functorIS9_EEEE10hipError_tPvRmT1_T2_T3_mT4_P12ihipStream_tbEUlT_E1_NS1_11comp_targetILNS1_3genE5ELNS1_11target_archE942ELNS1_3gpuE9ELNS1_3repE0EEENS1_30default_config_static_selectorELNS0_4arch9wavefront6targetE0EEEvS14_
	.p2align	8
	.type	_ZN7rocprim17ROCPRIM_400000_NS6detail17trampoline_kernelINS0_14default_configENS1_22reduce_config_selectorIN6thrust23THRUST_200600_302600_NS5tupleIblNS6_9null_typeES8_S8_S8_S8_S8_S8_S8_EEEEZNS1_11reduce_implILb1ES3_NS6_12zip_iteratorINS7_INS6_11hip_rocprim26transform_input_iterator_tIbNSD_35transform_pair_of_input_iterators_tIbNS6_6detail15normal_iteratorINS6_10device_ptrIKyEEEESL_NS6_8equal_toIyEEEENSG_9not_fun_tINSD_8identityEEEEENSD_19counting_iterator_tIlEES8_S8_S8_S8_S8_S8_S8_S8_EEEEPS9_S9_NSD_9__find_if7functorIS9_EEEE10hipError_tPvRmT1_T2_T3_mT4_P12ihipStream_tbEUlT_E1_NS1_11comp_targetILNS1_3genE5ELNS1_11target_archE942ELNS1_3gpuE9ELNS1_3repE0EEENS1_30default_config_static_selectorELNS0_4arch9wavefront6targetE0EEEvS14_,@function
_ZN7rocprim17ROCPRIM_400000_NS6detail17trampoline_kernelINS0_14default_configENS1_22reduce_config_selectorIN6thrust23THRUST_200600_302600_NS5tupleIblNS6_9null_typeES8_S8_S8_S8_S8_S8_S8_EEEEZNS1_11reduce_implILb1ES3_NS6_12zip_iteratorINS7_INS6_11hip_rocprim26transform_input_iterator_tIbNSD_35transform_pair_of_input_iterators_tIbNS6_6detail15normal_iteratorINS6_10device_ptrIKyEEEESL_NS6_8equal_toIyEEEENSG_9not_fun_tINSD_8identityEEEEENSD_19counting_iterator_tIlEES8_S8_S8_S8_S8_S8_S8_S8_EEEEPS9_S9_NSD_9__find_if7functorIS9_EEEE10hipError_tPvRmT1_T2_T3_mT4_P12ihipStream_tbEUlT_E1_NS1_11comp_targetILNS1_3genE5ELNS1_11target_archE942ELNS1_3gpuE9ELNS1_3repE0EEENS1_30default_config_static_selectorELNS0_4arch9wavefront6targetE0EEEvS14_: ; @_ZN7rocprim17ROCPRIM_400000_NS6detail17trampoline_kernelINS0_14default_configENS1_22reduce_config_selectorIN6thrust23THRUST_200600_302600_NS5tupleIblNS6_9null_typeES8_S8_S8_S8_S8_S8_S8_EEEEZNS1_11reduce_implILb1ES3_NS6_12zip_iteratorINS7_INS6_11hip_rocprim26transform_input_iterator_tIbNSD_35transform_pair_of_input_iterators_tIbNS6_6detail15normal_iteratorINS6_10device_ptrIKyEEEESL_NS6_8equal_toIyEEEENSG_9not_fun_tINSD_8identityEEEEENSD_19counting_iterator_tIlEES8_S8_S8_S8_S8_S8_S8_S8_EEEEPS9_S9_NSD_9__find_if7functorIS9_EEEE10hipError_tPvRmT1_T2_T3_mT4_P12ihipStream_tbEUlT_E1_NS1_11comp_targetILNS1_3genE5ELNS1_11target_archE942ELNS1_3gpuE9ELNS1_3repE0EEENS1_30default_config_static_selectorELNS0_4arch9wavefront6targetE0EEEvS14_
; %bb.0:
	.section	.rodata,"a",@progbits
	.p2align	6, 0x0
	.amdhsa_kernel _ZN7rocprim17ROCPRIM_400000_NS6detail17trampoline_kernelINS0_14default_configENS1_22reduce_config_selectorIN6thrust23THRUST_200600_302600_NS5tupleIblNS6_9null_typeES8_S8_S8_S8_S8_S8_S8_EEEEZNS1_11reduce_implILb1ES3_NS6_12zip_iteratorINS7_INS6_11hip_rocprim26transform_input_iterator_tIbNSD_35transform_pair_of_input_iterators_tIbNS6_6detail15normal_iteratorINS6_10device_ptrIKyEEEESL_NS6_8equal_toIyEEEENSG_9not_fun_tINSD_8identityEEEEENSD_19counting_iterator_tIlEES8_S8_S8_S8_S8_S8_S8_S8_EEEEPS9_S9_NSD_9__find_if7functorIS9_EEEE10hipError_tPvRmT1_T2_T3_mT4_P12ihipStream_tbEUlT_E1_NS1_11comp_targetILNS1_3genE5ELNS1_11target_archE942ELNS1_3gpuE9ELNS1_3repE0EEENS1_30default_config_static_selectorELNS0_4arch9wavefront6targetE0EEEvS14_
		.amdhsa_group_segment_fixed_size 0
		.amdhsa_private_segment_fixed_size 0
		.amdhsa_kernarg_size 88
		.amdhsa_user_sgpr_count 6
		.amdhsa_user_sgpr_private_segment_buffer 1
		.amdhsa_user_sgpr_dispatch_ptr 0
		.amdhsa_user_sgpr_queue_ptr 0
		.amdhsa_user_sgpr_kernarg_segment_ptr 1
		.amdhsa_user_sgpr_dispatch_id 0
		.amdhsa_user_sgpr_flat_scratch_init 0
		.amdhsa_user_sgpr_private_segment_size 0
		.amdhsa_wavefront_size32 1
		.amdhsa_uses_dynamic_stack 0
		.amdhsa_system_sgpr_private_segment_wavefront_offset 0
		.amdhsa_system_sgpr_workgroup_id_x 1
		.amdhsa_system_sgpr_workgroup_id_y 0
		.amdhsa_system_sgpr_workgroup_id_z 0
		.amdhsa_system_sgpr_workgroup_info 0
		.amdhsa_system_vgpr_workitem_id 0
		.amdhsa_next_free_vgpr 1
		.amdhsa_next_free_sgpr 1
		.amdhsa_reserve_vcc 0
		.amdhsa_reserve_flat_scratch 0
		.amdhsa_float_round_mode_32 0
		.amdhsa_float_round_mode_16_64 0
		.amdhsa_float_denorm_mode_32 3
		.amdhsa_float_denorm_mode_16_64 3
		.amdhsa_dx10_clamp 1
		.amdhsa_ieee_mode 1
		.amdhsa_fp16_overflow 0
		.amdhsa_workgroup_processor_mode 1
		.amdhsa_memory_ordered 1
		.amdhsa_forward_progress 1
		.amdhsa_shared_vgpr_count 0
		.amdhsa_exception_fp_ieee_invalid_op 0
		.amdhsa_exception_fp_denorm_src 0
		.amdhsa_exception_fp_ieee_div_zero 0
		.amdhsa_exception_fp_ieee_overflow 0
		.amdhsa_exception_fp_ieee_underflow 0
		.amdhsa_exception_fp_ieee_inexact 0
		.amdhsa_exception_int_div_zero 0
	.end_amdhsa_kernel
	.section	.text._ZN7rocprim17ROCPRIM_400000_NS6detail17trampoline_kernelINS0_14default_configENS1_22reduce_config_selectorIN6thrust23THRUST_200600_302600_NS5tupleIblNS6_9null_typeES8_S8_S8_S8_S8_S8_S8_EEEEZNS1_11reduce_implILb1ES3_NS6_12zip_iteratorINS7_INS6_11hip_rocprim26transform_input_iterator_tIbNSD_35transform_pair_of_input_iterators_tIbNS6_6detail15normal_iteratorINS6_10device_ptrIKyEEEESL_NS6_8equal_toIyEEEENSG_9not_fun_tINSD_8identityEEEEENSD_19counting_iterator_tIlEES8_S8_S8_S8_S8_S8_S8_S8_EEEEPS9_S9_NSD_9__find_if7functorIS9_EEEE10hipError_tPvRmT1_T2_T3_mT4_P12ihipStream_tbEUlT_E1_NS1_11comp_targetILNS1_3genE5ELNS1_11target_archE942ELNS1_3gpuE9ELNS1_3repE0EEENS1_30default_config_static_selectorELNS0_4arch9wavefront6targetE0EEEvS14_,"axG",@progbits,_ZN7rocprim17ROCPRIM_400000_NS6detail17trampoline_kernelINS0_14default_configENS1_22reduce_config_selectorIN6thrust23THRUST_200600_302600_NS5tupleIblNS6_9null_typeES8_S8_S8_S8_S8_S8_S8_EEEEZNS1_11reduce_implILb1ES3_NS6_12zip_iteratorINS7_INS6_11hip_rocprim26transform_input_iterator_tIbNSD_35transform_pair_of_input_iterators_tIbNS6_6detail15normal_iteratorINS6_10device_ptrIKyEEEESL_NS6_8equal_toIyEEEENSG_9not_fun_tINSD_8identityEEEEENSD_19counting_iterator_tIlEES8_S8_S8_S8_S8_S8_S8_S8_EEEEPS9_S9_NSD_9__find_if7functorIS9_EEEE10hipError_tPvRmT1_T2_T3_mT4_P12ihipStream_tbEUlT_E1_NS1_11comp_targetILNS1_3genE5ELNS1_11target_archE942ELNS1_3gpuE9ELNS1_3repE0EEENS1_30default_config_static_selectorELNS0_4arch9wavefront6targetE0EEEvS14_,comdat
.Lfunc_end117:
	.size	_ZN7rocprim17ROCPRIM_400000_NS6detail17trampoline_kernelINS0_14default_configENS1_22reduce_config_selectorIN6thrust23THRUST_200600_302600_NS5tupleIblNS6_9null_typeES8_S8_S8_S8_S8_S8_S8_EEEEZNS1_11reduce_implILb1ES3_NS6_12zip_iteratorINS7_INS6_11hip_rocprim26transform_input_iterator_tIbNSD_35transform_pair_of_input_iterators_tIbNS6_6detail15normal_iteratorINS6_10device_ptrIKyEEEESL_NS6_8equal_toIyEEEENSG_9not_fun_tINSD_8identityEEEEENSD_19counting_iterator_tIlEES8_S8_S8_S8_S8_S8_S8_S8_EEEEPS9_S9_NSD_9__find_if7functorIS9_EEEE10hipError_tPvRmT1_T2_T3_mT4_P12ihipStream_tbEUlT_E1_NS1_11comp_targetILNS1_3genE5ELNS1_11target_archE942ELNS1_3gpuE9ELNS1_3repE0EEENS1_30default_config_static_selectorELNS0_4arch9wavefront6targetE0EEEvS14_, .Lfunc_end117-_ZN7rocprim17ROCPRIM_400000_NS6detail17trampoline_kernelINS0_14default_configENS1_22reduce_config_selectorIN6thrust23THRUST_200600_302600_NS5tupleIblNS6_9null_typeES8_S8_S8_S8_S8_S8_S8_EEEEZNS1_11reduce_implILb1ES3_NS6_12zip_iteratorINS7_INS6_11hip_rocprim26transform_input_iterator_tIbNSD_35transform_pair_of_input_iterators_tIbNS6_6detail15normal_iteratorINS6_10device_ptrIKyEEEESL_NS6_8equal_toIyEEEENSG_9not_fun_tINSD_8identityEEEEENSD_19counting_iterator_tIlEES8_S8_S8_S8_S8_S8_S8_S8_EEEEPS9_S9_NSD_9__find_if7functorIS9_EEEE10hipError_tPvRmT1_T2_T3_mT4_P12ihipStream_tbEUlT_E1_NS1_11comp_targetILNS1_3genE5ELNS1_11target_archE942ELNS1_3gpuE9ELNS1_3repE0EEENS1_30default_config_static_selectorELNS0_4arch9wavefront6targetE0EEEvS14_
                                        ; -- End function
	.set _ZN7rocprim17ROCPRIM_400000_NS6detail17trampoline_kernelINS0_14default_configENS1_22reduce_config_selectorIN6thrust23THRUST_200600_302600_NS5tupleIblNS6_9null_typeES8_S8_S8_S8_S8_S8_S8_EEEEZNS1_11reduce_implILb1ES3_NS6_12zip_iteratorINS7_INS6_11hip_rocprim26transform_input_iterator_tIbNSD_35transform_pair_of_input_iterators_tIbNS6_6detail15normal_iteratorINS6_10device_ptrIKyEEEESL_NS6_8equal_toIyEEEENSG_9not_fun_tINSD_8identityEEEEENSD_19counting_iterator_tIlEES8_S8_S8_S8_S8_S8_S8_S8_EEEEPS9_S9_NSD_9__find_if7functorIS9_EEEE10hipError_tPvRmT1_T2_T3_mT4_P12ihipStream_tbEUlT_E1_NS1_11comp_targetILNS1_3genE5ELNS1_11target_archE942ELNS1_3gpuE9ELNS1_3repE0EEENS1_30default_config_static_selectorELNS0_4arch9wavefront6targetE0EEEvS14_.num_vgpr, 0
	.set _ZN7rocprim17ROCPRIM_400000_NS6detail17trampoline_kernelINS0_14default_configENS1_22reduce_config_selectorIN6thrust23THRUST_200600_302600_NS5tupleIblNS6_9null_typeES8_S8_S8_S8_S8_S8_S8_EEEEZNS1_11reduce_implILb1ES3_NS6_12zip_iteratorINS7_INS6_11hip_rocprim26transform_input_iterator_tIbNSD_35transform_pair_of_input_iterators_tIbNS6_6detail15normal_iteratorINS6_10device_ptrIKyEEEESL_NS6_8equal_toIyEEEENSG_9not_fun_tINSD_8identityEEEEENSD_19counting_iterator_tIlEES8_S8_S8_S8_S8_S8_S8_S8_EEEEPS9_S9_NSD_9__find_if7functorIS9_EEEE10hipError_tPvRmT1_T2_T3_mT4_P12ihipStream_tbEUlT_E1_NS1_11comp_targetILNS1_3genE5ELNS1_11target_archE942ELNS1_3gpuE9ELNS1_3repE0EEENS1_30default_config_static_selectorELNS0_4arch9wavefront6targetE0EEEvS14_.num_agpr, 0
	.set _ZN7rocprim17ROCPRIM_400000_NS6detail17trampoline_kernelINS0_14default_configENS1_22reduce_config_selectorIN6thrust23THRUST_200600_302600_NS5tupleIblNS6_9null_typeES8_S8_S8_S8_S8_S8_S8_EEEEZNS1_11reduce_implILb1ES3_NS6_12zip_iteratorINS7_INS6_11hip_rocprim26transform_input_iterator_tIbNSD_35transform_pair_of_input_iterators_tIbNS6_6detail15normal_iteratorINS6_10device_ptrIKyEEEESL_NS6_8equal_toIyEEEENSG_9not_fun_tINSD_8identityEEEEENSD_19counting_iterator_tIlEES8_S8_S8_S8_S8_S8_S8_S8_EEEEPS9_S9_NSD_9__find_if7functorIS9_EEEE10hipError_tPvRmT1_T2_T3_mT4_P12ihipStream_tbEUlT_E1_NS1_11comp_targetILNS1_3genE5ELNS1_11target_archE942ELNS1_3gpuE9ELNS1_3repE0EEENS1_30default_config_static_selectorELNS0_4arch9wavefront6targetE0EEEvS14_.numbered_sgpr, 0
	.set _ZN7rocprim17ROCPRIM_400000_NS6detail17trampoline_kernelINS0_14default_configENS1_22reduce_config_selectorIN6thrust23THRUST_200600_302600_NS5tupleIblNS6_9null_typeES8_S8_S8_S8_S8_S8_S8_EEEEZNS1_11reduce_implILb1ES3_NS6_12zip_iteratorINS7_INS6_11hip_rocprim26transform_input_iterator_tIbNSD_35transform_pair_of_input_iterators_tIbNS6_6detail15normal_iteratorINS6_10device_ptrIKyEEEESL_NS6_8equal_toIyEEEENSG_9not_fun_tINSD_8identityEEEEENSD_19counting_iterator_tIlEES8_S8_S8_S8_S8_S8_S8_S8_EEEEPS9_S9_NSD_9__find_if7functorIS9_EEEE10hipError_tPvRmT1_T2_T3_mT4_P12ihipStream_tbEUlT_E1_NS1_11comp_targetILNS1_3genE5ELNS1_11target_archE942ELNS1_3gpuE9ELNS1_3repE0EEENS1_30default_config_static_selectorELNS0_4arch9wavefront6targetE0EEEvS14_.num_named_barrier, 0
	.set _ZN7rocprim17ROCPRIM_400000_NS6detail17trampoline_kernelINS0_14default_configENS1_22reduce_config_selectorIN6thrust23THRUST_200600_302600_NS5tupleIblNS6_9null_typeES8_S8_S8_S8_S8_S8_S8_EEEEZNS1_11reduce_implILb1ES3_NS6_12zip_iteratorINS7_INS6_11hip_rocprim26transform_input_iterator_tIbNSD_35transform_pair_of_input_iterators_tIbNS6_6detail15normal_iteratorINS6_10device_ptrIKyEEEESL_NS6_8equal_toIyEEEENSG_9not_fun_tINSD_8identityEEEEENSD_19counting_iterator_tIlEES8_S8_S8_S8_S8_S8_S8_S8_EEEEPS9_S9_NSD_9__find_if7functorIS9_EEEE10hipError_tPvRmT1_T2_T3_mT4_P12ihipStream_tbEUlT_E1_NS1_11comp_targetILNS1_3genE5ELNS1_11target_archE942ELNS1_3gpuE9ELNS1_3repE0EEENS1_30default_config_static_selectorELNS0_4arch9wavefront6targetE0EEEvS14_.private_seg_size, 0
	.set _ZN7rocprim17ROCPRIM_400000_NS6detail17trampoline_kernelINS0_14default_configENS1_22reduce_config_selectorIN6thrust23THRUST_200600_302600_NS5tupleIblNS6_9null_typeES8_S8_S8_S8_S8_S8_S8_EEEEZNS1_11reduce_implILb1ES3_NS6_12zip_iteratorINS7_INS6_11hip_rocprim26transform_input_iterator_tIbNSD_35transform_pair_of_input_iterators_tIbNS6_6detail15normal_iteratorINS6_10device_ptrIKyEEEESL_NS6_8equal_toIyEEEENSG_9not_fun_tINSD_8identityEEEEENSD_19counting_iterator_tIlEES8_S8_S8_S8_S8_S8_S8_S8_EEEEPS9_S9_NSD_9__find_if7functorIS9_EEEE10hipError_tPvRmT1_T2_T3_mT4_P12ihipStream_tbEUlT_E1_NS1_11comp_targetILNS1_3genE5ELNS1_11target_archE942ELNS1_3gpuE9ELNS1_3repE0EEENS1_30default_config_static_selectorELNS0_4arch9wavefront6targetE0EEEvS14_.uses_vcc, 0
	.set _ZN7rocprim17ROCPRIM_400000_NS6detail17trampoline_kernelINS0_14default_configENS1_22reduce_config_selectorIN6thrust23THRUST_200600_302600_NS5tupleIblNS6_9null_typeES8_S8_S8_S8_S8_S8_S8_EEEEZNS1_11reduce_implILb1ES3_NS6_12zip_iteratorINS7_INS6_11hip_rocprim26transform_input_iterator_tIbNSD_35transform_pair_of_input_iterators_tIbNS6_6detail15normal_iteratorINS6_10device_ptrIKyEEEESL_NS6_8equal_toIyEEEENSG_9not_fun_tINSD_8identityEEEEENSD_19counting_iterator_tIlEES8_S8_S8_S8_S8_S8_S8_S8_EEEEPS9_S9_NSD_9__find_if7functorIS9_EEEE10hipError_tPvRmT1_T2_T3_mT4_P12ihipStream_tbEUlT_E1_NS1_11comp_targetILNS1_3genE5ELNS1_11target_archE942ELNS1_3gpuE9ELNS1_3repE0EEENS1_30default_config_static_selectorELNS0_4arch9wavefront6targetE0EEEvS14_.uses_flat_scratch, 0
	.set _ZN7rocprim17ROCPRIM_400000_NS6detail17trampoline_kernelINS0_14default_configENS1_22reduce_config_selectorIN6thrust23THRUST_200600_302600_NS5tupleIblNS6_9null_typeES8_S8_S8_S8_S8_S8_S8_EEEEZNS1_11reduce_implILb1ES3_NS6_12zip_iteratorINS7_INS6_11hip_rocprim26transform_input_iterator_tIbNSD_35transform_pair_of_input_iterators_tIbNS6_6detail15normal_iteratorINS6_10device_ptrIKyEEEESL_NS6_8equal_toIyEEEENSG_9not_fun_tINSD_8identityEEEEENSD_19counting_iterator_tIlEES8_S8_S8_S8_S8_S8_S8_S8_EEEEPS9_S9_NSD_9__find_if7functorIS9_EEEE10hipError_tPvRmT1_T2_T3_mT4_P12ihipStream_tbEUlT_E1_NS1_11comp_targetILNS1_3genE5ELNS1_11target_archE942ELNS1_3gpuE9ELNS1_3repE0EEENS1_30default_config_static_selectorELNS0_4arch9wavefront6targetE0EEEvS14_.has_dyn_sized_stack, 0
	.set _ZN7rocprim17ROCPRIM_400000_NS6detail17trampoline_kernelINS0_14default_configENS1_22reduce_config_selectorIN6thrust23THRUST_200600_302600_NS5tupleIblNS6_9null_typeES8_S8_S8_S8_S8_S8_S8_EEEEZNS1_11reduce_implILb1ES3_NS6_12zip_iteratorINS7_INS6_11hip_rocprim26transform_input_iterator_tIbNSD_35transform_pair_of_input_iterators_tIbNS6_6detail15normal_iteratorINS6_10device_ptrIKyEEEESL_NS6_8equal_toIyEEEENSG_9not_fun_tINSD_8identityEEEEENSD_19counting_iterator_tIlEES8_S8_S8_S8_S8_S8_S8_S8_EEEEPS9_S9_NSD_9__find_if7functorIS9_EEEE10hipError_tPvRmT1_T2_T3_mT4_P12ihipStream_tbEUlT_E1_NS1_11comp_targetILNS1_3genE5ELNS1_11target_archE942ELNS1_3gpuE9ELNS1_3repE0EEENS1_30default_config_static_selectorELNS0_4arch9wavefront6targetE0EEEvS14_.has_recursion, 0
	.set _ZN7rocprim17ROCPRIM_400000_NS6detail17trampoline_kernelINS0_14default_configENS1_22reduce_config_selectorIN6thrust23THRUST_200600_302600_NS5tupleIblNS6_9null_typeES8_S8_S8_S8_S8_S8_S8_EEEEZNS1_11reduce_implILb1ES3_NS6_12zip_iteratorINS7_INS6_11hip_rocprim26transform_input_iterator_tIbNSD_35transform_pair_of_input_iterators_tIbNS6_6detail15normal_iteratorINS6_10device_ptrIKyEEEESL_NS6_8equal_toIyEEEENSG_9not_fun_tINSD_8identityEEEEENSD_19counting_iterator_tIlEES8_S8_S8_S8_S8_S8_S8_S8_EEEEPS9_S9_NSD_9__find_if7functorIS9_EEEE10hipError_tPvRmT1_T2_T3_mT4_P12ihipStream_tbEUlT_E1_NS1_11comp_targetILNS1_3genE5ELNS1_11target_archE942ELNS1_3gpuE9ELNS1_3repE0EEENS1_30default_config_static_selectorELNS0_4arch9wavefront6targetE0EEEvS14_.has_indirect_call, 0
	.section	.AMDGPU.csdata,"",@progbits
; Kernel info:
; codeLenInByte = 0
; TotalNumSgprs: 0
; NumVgprs: 0
; ScratchSize: 0
; MemoryBound: 0
; FloatMode: 240
; IeeeMode: 1
; LDSByteSize: 0 bytes/workgroup (compile time only)
; SGPRBlocks: 0
; VGPRBlocks: 0
; NumSGPRsForWavesPerEU: 1
; NumVGPRsForWavesPerEU: 1
; Occupancy: 16
; WaveLimiterHint : 0
; COMPUTE_PGM_RSRC2:SCRATCH_EN: 0
; COMPUTE_PGM_RSRC2:USER_SGPR: 6
; COMPUTE_PGM_RSRC2:TRAP_HANDLER: 0
; COMPUTE_PGM_RSRC2:TGID_X_EN: 1
; COMPUTE_PGM_RSRC2:TGID_Y_EN: 0
; COMPUTE_PGM_RSRC2:TGID_Z_EN: 0
; COMPUTE_PGM_RSRC2:TIDIG_COMP_CNT: 0
	.section	.text._ZN7rocprim17ROCPRIM_400000_NS6detail17trampoline_kernelINS0_14default_configENS1_22reduce_config_selectorIN6thrust23THRUST_200600_302600_NS5tupleIblNS6_9null_typeES8_S8_S8_S8_S8_S8_S8_EEEEZNS1_11reduce_implILb1ES3_NS6_12zip_iteratorINS7_INS6_11hip_rocprim26transform_input_iterator_tIbNSD_35transform_pair_of_input_iterators_tIbNS6_6detail15normal_iteratorINS6_10device_ptrIKyEEEESL_NS6_8equal_toIyEEEENSG_9not_fun_tINSD_8identityEEEEENSD_19counting_iterator_tIlEES8_S8_S8_S8_S8_S8_S8_S8_EEEEPS9_S9_NSD_9__find_if7functorIS9_EEEE10hipError_tPvRmT1_T2_T3_mT4_P12ihipStream_tbEUlT_E1_NS1_11comp_targetILNS1_3genE4ELNS1_11target_archE910ELNS1_3gpuE8ELNS1_3repE0EEENS1_30default_config_static_selectorELNS0_4arch9wavefront6targetE0EEEvS14_,"axG",@progbits,_ZN7rocprim17ROCPRIM_400000_NS6detail17trampoline_kernelINS0_14default_configENS1_22reduce_config_selectorIN6thrust23THRUST_200600_302600_NS5tupleIblNS6_9null_typeES8_S8_S8_S8_S8_S8_S8_EEEEZNS1_11reduce_implILb1ES3_NS6_12zip_iteratorINS7_INS6_11hip_rocprim26transform_input_iterator_tIbNSD_35transform_pair_of_input_iterators_tIbNS6_6detail15normal_iteratorINS6_10device_ptrIKyEEEESL_NS6_8equal_toIyEEEENSG_9not_fun_tINSD_8identityEEEEENSD_19counting_iterator_tIlEES8_S8_S8_S8_S8_S8_S8_S8_EEEEPS9_S9_NSD_9__find_if7functorIS9_EEEE10hipError_tPvRmT1_T2_T3_mT4_P12ihipStream_tbEUlT_E1_NS1_11comp_targetILNS1_3genE4ELNS1_11target_archE910ELNS1_3gpuE8ELNS1_3repE0EEENS1_30default_config_static_selectorELNS0_4arch9wavefront6targetE0EEEvS14_,comdat
	.protected	_ZN7rocprim17ROCPRIM_400000_NS6detail17trampoline_kernelINS0_14default_configENS1_22reduce_config_selectorIN6thrust23THRUST_200600_302600_NS5tupleIblNS6_9null_typeES8_S8_S8_S8_S8_S8_S8_EEEEZNS1_11reduce_implILb1ES3_NS6_12zip_iteratorINS7_INS6_11hip_rocprim26transform_input_iterator_tIbNSD_35transform_pair_of_input_iterators_tIbNS6_6detail15normal_iteratorINS6_10device_ptrIKyEEEESL_NS6_8equal_toIyEEEENSG_9not_fun_tINSD_8identityEEEEENSD_19counting_iterator_tIlEES8_S8_S8_S8_S8_S8_S8_S8_EEEEPS9_S9_NSD_9__find_if7functorIS9_EEEE10hipError_tPvRmT1_T2_T3_mT4_P12ihipStream_tbEUlT_E1_NS1_11comp_targetILNS1_3genE4ELNS1_11target_archE910ELNS1_3gpuE8ELNS1_3repE0EEENS1_30default_config_static_selectorELNS0_4arch9wavefront6targetE0EEEvS14_ ; -- Begin function _ZN7rocprim17ROCPRIM_400000_NS6detail17trampoline_kernelINS0_14default_configENS1_22reduce_config_selectorIN6thrust23THRUST_200600_302600_NS5tupleIblNS6_9null_typeES8_S8_S8_S8_S8_S8_S8_EEEEZNS1_11reduce_implILb1ES3_NS6_12zip_iteratorINS7_INS6_11hip_rocprim26transform_input_iterator_tIbNSD_35transform_pair_of_input_iterators_tIbNS6_6detail15normal_iteratorINS6_10device_ptrIKyEEEESL_NS6_8equal_toIyEEEENSG_9not_fun_tINSD_8identityEEEEENSD_19counting_iterator_tIlEES8_S8_S8_S8_S8_S8_S8_S8_EEEEPS9_S9_NSD_9__find_if7functorIS9_EEEE10hipError_tPvRmT1_T2_T3_mT4_P12ihipStream_tbEUlT_E1_NS1_11comp_targetILNS1_3genE4ELNS1_11target_archE910ELNS1_3gpuE8ELNS1_3repE0EEENS1_30default_config_static_selectorELNS0_4arch9wavefront6targetE0EEEvS14_
	.globl	_ZN7rocprim17ROCPRIM_400000_NS6detail17trampoline_kernelINS0_14default_configENS1_22reduce_config_selectorIN6thrust23THRUST_200600_302600_NS5tupleIblNS6_9null_typeES8_S8_S8_S8_S8_S8_S8_EEEEZNS1_11reduce_implILb1ES3_NS6_12zip_iteratorINS7_INS6_11hip_rocprim26transform_input_iterator_tIbNSD_35transform_pair_of_input_iterators_tIbNS6_6detail15normal_iteratorINS6_10device_ptrIKyEEEESL_NS6_8equal_toIyEEEENSG_9not_fun_tINSD_8identityEEEEENSD_19counting_iterator_tIlEES8_S8_S8_S8_S8_S8_S8_S8_EEEEPS9_S9_NSD_9__find_if7functorIS9_EEEE10hipError_tPvRmT1_T2_T3_mT4_P12ihipStream_tbEUlT_E1_NS1_11comp_targetILNS1_3genE4ELNS1_11target_archE910ELNS1_3gpuE8ELNS1_3repE0EEENS1_30default_config_static_selectorELNS0_4arch9wavefront6targetE0EEEvS14_
	.p2align	8
	.type	_ZN7rocprim17ROCPRIM_400000_NS6detail17trampoline_kernelINS0_14default_configENS1_22reduce_config_selectorIN6thrust23THRUST_200600_302600_NS5tupleIblNS6_9null_typeES8_S8_S8_S8_S8_S8_S8_EEEEZNS1_11reduce_implILb1ES3_NS6_12zip_iteratorINS7_INS6_11hip_rocprim26transform_input_iterator_tIbNSD_35transform_pair_of_input_iterators_tIbNS6_6detail15normal_iteratorINS6_10device_ptrIKyEEEESL_NS6_8equal_toIyEEEENSG_9not_fun_tINSD_8identityEEEEENSD_19counting_iterator_tIlEES8_S8_S8_S8_S8_S8_S8_S8_EEEEPS9_S9_NSD_9__find_if7functorIS9_EEEE10hipError_tPvRmT1_T2_T3_mT4_P12ihipStream_tbEUlT_E1_NS1_11comp_targetILNS1_3genE4ELNS1_11target_archE910ELNS1_3gpuE8ELNS1_3repE0EEENS1_30default_config_static_selectorELNS0_4arch9wavefront6targetE0EEEvS14_,@function
_ZN7rocprim17ROCPRIM_400000_NS6detail17trampoline_kernelINS0_14default_configENS1_22reduce_config_selectorIN6thrust23THRUST_200600_302600_NS5tupleIblNS6_9null_typeES8_S8_S8_S8_S8_S8_S8_EEEEZNS1_11reduce_implILb1ES3_NS6_12zip_iteratorINS7_INS6_11hip_rocprim26transform_input_iterator_tIbNSD_35transform_pair_of_input_iterators_tIbNS6_6detail15normal_iteratorINS6_10device_ptrIKyEEEESL_NS6_8equal_toIyEEEENSG_9not_fun_tINSD_8identityEEEEENSD_19counting_iterator_tIlEES8_S8_S8_S8_S8_S8_S8_S8_EEEEPS9_S9_NSD_9__find_if7functorIS9_EEEE10hipError_tPvRmT1_T2_T3_mT4_P12ihipStream_tbEUlT_E1_NS1_11comp_targetILNS1_3genE4ELNS1_11target_archE910ELNS1_3gpuE8ELNS1_3repE0EEENS1_30default_config_static_selectorELNS0_4arch9wavefront6targetE0EEEvS14_: ; @_ZN7rocprim17ROCPRIM_400000_NS6detail17trampoline_kernelINS0_14default_configENS1_22reduce_config_selectorIN6thrust23THRUST_200600_302600_NS5tupleIblNS6_9null_typeES8_S8_S8_S8_S8_S8_S8_EEEEZNS1_11reduce_implILb1ES3_NS6_12zip_iteratorINS7_INS6_11hip_rocprim26transform_input_iterator_tIbNSD_35transform_pair_of_input_iterators_tIbNS6_6detail15normal_iteratorINS6_10device_ptrIKyEEEESL_NS6_8equal_toIyEEEENSG_9not_fun_tINSD_8identityEEEEENSD_19counting_iterator_tIlEES8_S8_S8_S8_S8_S8_S8_S8_EEEEPS9_S9_NSD_9__find_if7functorIS9_EEEE10hipError_tPvRmT1_T2_T3_mT4_P12ihipStream_tbEUlT_E1_NS1_11comp_targetILNS1_3genE4ELNS1_11target_archE910ELNS1_3gpuE8ELNS1_3repE0EEENS1_30default_config_static_selectorELNS0_4arch9wavefront6targetE0EEEvS14_
; %bb.0:
	.section	.rodata,"a",@progbits
	.p2align	6, 0x0
	.amdhsa_kernel _ZN7rocprim17ROCPRIM_400000_NS6detail17trampoline_kernelINS0_14default_configENS1_22reduce_config_selectorIN6thrust23THRUST_200600_302600_NS5tupleIblNS6_9null_typeES8_S8_S8_S8_S8_S8_S8_EEEEZNS1_11reduce_implILb1ES3_NS6_12zip_iteratorINS7_INS6_11hip_rocprim26transform_input_iterator_tIbNSD_35transform_pair_of_input_iterators_tIbNS6_6detail15normal_iteratorINS6_10device_ptrIKyEEEESL_NS6_8equal_toIyEEEENSG_9not_fun_tINSD_8identityEEEEENSD_19counting_iterator_tIlEES8_S8_S8_S8_S8_S8_S8_S8_EEEEPS9_S9_NSD_9__find_if7functorIS9_EEEE10hipError_tPvRmT1_T2_T3_mT4_P12ihipStream_tbEUlT_E1_NS1_11comp_targetILNS1_3genE4ELNS1_11target_archE910ELNS1_3gpuE8ELNS1_3repE0EEENS1_30default_config_static_selectorELNS0_4arch9wavefront6targetE0EEEvS14_
		.amdhsa_group_segment_fixed_size 0
		.amdhsa_private_segment_fixed_size 0
		.amdhsa_kernarg_size 88
		.amdhsa_user_sgpr_count 6
		.amdhsa_user_sgpr_private_segment_buffer 1
		.amdhsa_user_sgpr_dispatch_ptr 0
		.amdhsa_user_sgpr_queue_ptr 0
		.amdhsa_user_sgpr_kernarg_segment_ptr 1
		.amdhsa_user_sgpr_dispatch_id 0
		.amdhsa_user_sgpr_flat_scratch_init 0
		.amdhsa_user_sgpr_private_segment_size 0
		.amdhsa_wavefront_size32 1
		.amdhsa_uses_dynamic_stack 0
		.amdhsa_system_sgpr_private_segment_wavefront_offset 0
		.amdhsa_system_sgpr_workgroup_id_x 1
		.amdhsa_system_sgpr_workgroup_id_y 0
		.amdhsa_system_sgpr_workgroup_id_z 0
		.amdhsa_system_sgpr_workgroup_info 0
		.amdhsa_system_vgpr_workitem_id 0
		.amdhsa_next_free_vgpr 1
		.amdhsa_next_free_sgpr 1
		.amdhsa_reserve_vcc 0
		.amdhsa_reserve_flat_scratch 0
		.amdhsa_float_round_mode_32 0
		.amdhsa_float_round_mode_16_64 0
		.amdhsa_float_denorm_mode_32 3
		.amdhsa_float_denorm_mode_16_64 3
		.amdhsa_dx10_clamp 1
		.amdhsa_ieee_mode 1
		.amdhsa_fp16_overflow 0
		.amdhsa_workgroup_processor_mode 1
		.amdhsa_memory_ordered 1
		.amdhsa_forward_progress 1
		.amdhsa_shared_vgpr_count 0
		.amdhsa_exception_fp_ieee_invalid_op 0
		.amdhsa_exception_fp_denorm_src 0
		.amdhsa_exception_fp_ieee_div_zero 0
		.amdhsa_exception_fp_ieee_overflow 0
		.amdhsa_exception_fp_ieee_underflow 0
		.amdhsa_exception_fp_ieee_inexact 0
		.amdhsa_exception_int_div_zero 0
	.end_amdhsa_kernel
	.section	.text._ZN7rocprim17ROCPRIM_400000_NS6detail17trampoline_kernelINS0_14default_configENS1_22reduce_config_selectorIN6thrust23THRUST_200600_302600_NS5tupleIblNS6_9null_typeES8_S8_S8_S8_S8_S8_S8_EEEEZNS1_11reduce_implILb1ES3_NS6_12zip_iteratorINS7_INS6_11hip_rocprim26transform_input_iterator_tIbNSD_35transform_pair_of_input_iterators_tIbNS6_6detail15normal_iteratorINS6_10device_ptrIKyEEEESL_NS6_8equal_toIyEEEENSG_9not_fun_tINSD_8identityEEEEENSD_19counting_iterator_tIlEES8_S8_S8_S8_S8_S8_S8_S8_EEEEPS9_S9_NSD_9__find_if7functorIS9_EEEE10hipError_tPvRmT1_T2_T3_mT4_P12ihipStream_tbEUlT_E1_NS1_11comp_targetILNS1_3genE4ELNS1_11target_archE910ELNS1_3gpuE8ELNS1_3repE0EEENS1_30default_config_static_selectorELNS0_4arch9wavefront6targetE0EEEvS14_,"axG",@progbits,_ZN7rocprim17ROCPRIM_400000_NS6detail17trampoline_kernelINS0_14default_configENS1_22reduce_config_selectorIN6thrust23THRUST_200600_302600_NS5tupleIblNS6_9null_typeES8_S8_S8_S8_S8_S8_S8_EEEEZNS1_11reduce_implILb1ES3_NS6_12zip_iteratorINS7_INS6_11hip_rocprim26transform_input_iterator_tIbNSD_35transform_pair_of_input_iterators_tIbNS6_6detail15normal_iteratorINS6_10device_ptrIKyEEEESL_NS6_8equal_toIyEEEENSG_9not_fun_tINSD_8identityEEEEENSD_19counting_iterator_tIlEES8_S8_S8_S8_S8_S8_S8_S8_EEEEPS9_S9_NSD_9__find_if7functorIS9_EEEE10hipError_tPvRmT1_T2_T3_mT4_P12ihipStream_tbEUlT_E1_NS1_11comp_targetILNS1_3genE4ELNS1_11target_archE910ELNS1_3gpuE8ELNS1_3repE0EEENS1_30default_config_static_selectorELNS0_4arch9wavefront6targetE0EEEvS14_,comdat
.Lfunc_end118:
	.size	_ZN7rocprim17ROCPRIM_400000_NS6detail17trampoline_kernelINS0_14default_configENS1_22reduce_config_selectorIN6thrust23THRUST_200600_302600_NS5tupleIblNS6_9null_typeES8_S8_S8_S8_S8_S8_S8_EEEEZNS1_11reduce_implILb1ES3_NS6_12zip_iteratorINS7_INS6_11hip_rocprim26transform_input_iterator_tIbNSD_35transform_pair_of_input_iterators_tIbNS6_6detail15normal_iteratorINS6_10device_ptrIKyEEEESL_NS6_8equal_toIyEEEENSG_9not_fun_tINSD_8identityEEEEENSD_19counting_iterator_tIlEES8_S8_S8_S8_S8_S8_S8_S8_EEEEPS9_S9_NSD_9__find_if7functorIS9_EEEE10hipError_tPvRmT1_T2_T3_mT4_P12ihipStream_tbEUlT_E1_NS1_11comp_targetILNS1_3genE4ELNS1_11target_archE910ELNS1_3gpuE8ELNS1_3repE0EEENS1_30default_config_static_selectorELNS0_4arch9wavefront6targetE0EEEvS14_, .Lfunc_end118-_ZN7rocprim17ROCPRIM_400000_NS6detail17trampoline_kernelINS0_14default_configENS1_22reduce_config_selectorIN6thrust23THRUST_200600_302600_NS5tupleIblNS6_9null_typeES8_S8_S8_S8_S8_S8_S8_EEEEZNS1_11reduce_implILb1ES3_NS6_12zip_iteratorINS7_INS6_11hip_rocprim26transform_input_iterator_tIbNSD_35transform_pair_of_input_iterators_tIbNS6_6detail15normal_iteratorINS6_10device_ptrIKyEEEESL_NS6_8equal_toIyEEEENSG_9not_fun_tINSD_8identityEEEEENSD_19counting_iterator_tIlEES8_S8_S8_S8_S8_S8_S8_S8_EEEEPS9_S9_NSD_9__find_if7functorIS9_EEEE10hipError_tPvRmT1_T2_T3_mT4_P12ihipStream_tbEUlT_E1_NS1_11comp_targetILNS1_3genE4ELNS1_11target_archE910ELNS1_3gpuE8ELNS1_3repE0EEENS1_30default_config_static_selectorELNS0_4arch9wavefront6targetE0EEEvS14_
                                        ; -- End function
	.set _ZN7rocprim17ROCPRIM_400000_NS6detail17trampoline_kernelINS0_14default_configENS1_22reduce_config_selectorIN6thrust23THRUST_200600_302600_NS5tupleIblNS6_9null_typeES8_S8_S8_S8_S8_S8_S8_EEEEZNS1_11reduce_implILb1ES3_NS6_12zip_iteratorINS7_INS6_11hip_rocprim26transform_input_iterator_tIbNSD_35transform_pair_of_input_iterators_tIbNS6_6detail15normal_iteratorINS6_10device_ptrIKyEEEESL_NS6_8equal_toIyEEEENSG_9not_fun_tINSD_8identityEEEEENSD_19counting_iterator_tIlEES8_S8_S8_S8_S8_S8_S8_S8_EEEEPS9_S9_NSD_9__find_if7functorIS9_EEEE10hipError_tPvRmT1_T2_T3_mT4_P12ihipStream_tbEUlT_E1_NS1_11comp_targetILNS1_3genE4ELNS1_11target_archE910ELNS1_3gpuE8ELNS1_3repE0EEENS1_30default_config_static_selectorELNS0_4arch9wavefront6targetE0EEEvS14_.num_vgpr, 0
	.set _ZN7rocprim17ROCPRIM_400000_NS6detail17trampoline_kernelINS0_14default_configENS1_22reduce_config_selectorIN6thrust23THRUST_200600_302600_NS5tupleIblNS6_9null_typeES8_S8_S8_S8_S8_S8_S8_EEEEZNS1_11reduce_implILb1ES3_NS6_12zip_iteratorINS7_INS6_11hip_rocprim26transform_input_iterator_tIbNSD_35transform_pair_of_input_iterators_tIbNS6_6detail15normal_iteratorINS6_10device_ptrIKyEEEESL_NS6_8equal_toIyEEEENSG_9not_fun_tINSD_8identityEEEEENSD_19counting_iterator_tIlEES8_S8_S8_S8_S8_S8_S8_S8_EEEEPS9_S9_NSD_9__find_if7functorIS9_EEEE10hipError_tPvRmT1_T2_T3_mT4_P12ihipStream_tbEUlT_E1_NS1_11comp_targetILNS1_3genE4ELNS1_11target_archE910ELNS1_3gpuE8ELNS1_3repE0EEENS1_30default_config_static_selectorELNS0_4arch9wavefront6targetE0EEEvS14_.num_agpr, 0
	.set _ZN7rocprim17ROCPRIM_400000_NS6detail17trampoline_kernelINS0_14default_configENS1_22reduce_config_selectorIN6thrust23THRUST_200600_302600_NS5tupleIblNS6_9null_typeES8_S8_S8_S8_S8_S8_S8_EEEEZNS1_11reduce_implILb1ES3_NS6_12zip_iteratorINS7_INS6_11hip_rocprim26transform_input_iterator_tIbNSD_35transform_pair_of_input_iterators_tIbNS6_6detail15normal_iteratorINS6_10device_ptrIKyEEEESL_NS6_8equal_toIyEEEENSG_9not_fun_tINSD_8identityEEEEENSD_19counting_iterator_tIlEES8_S8_S8_S8_S8_S8_S8_S8_EEEEPS9_S9_NSD_9__find_if7functorIS9_EEEE10hipError_tPvRmT1_T2_T3_mT4_P12ihipStream_tbEUlT_E1_NS1_11comp_targetILNS1_3genE4ELNS1_11target_archE910ELNS1_3gpuE8ELNS1_3repE0EEENS1_30default_config_static_selectorELNS0_4arch9wavefront6targetE0EEEvS14_.numbered_sgpr, 0
	.set _ZN7rocprim17ROCPRIM_400000_NS6detail17trampoline_kernelINS0_14default_configENS1_22reduce_config_selectorIN6thrust23THRUST_200600_302600_NS5tupleIblNS6_9null_typeES8_S8_S8_S8_S8_S8_S8_EEEEZNS1_11reduce_implILb1ES3_NS6_12zip_iteratorINS7_INS6_11hip_rocprim26transform_input_iterator_tIbNSD_35transform_pair_of_input_iterators_tIbNS6_6detail15normal_iteratorINS6_10device_ptrIKyEEEESL_NS6_8equal_toIyEEEENSG_9not_fun_tINSD_8identityEEEEENSD_19counting_iterator_tIlEES8_S8_S8_S8_S8_S8_S8_S8_EEEEPS9_S9_NSD_9__find_if7functorIS9_EEEE10hipError_tPvRmT1_T2_T3_mT4_P12ihipStream_tbEUlT_E1_NS1_11comp_targetILNS1_3genE4ELNS1_11target_archE910ELNS1_3gpuE8ELNS1_3repE0EEENS1_30default_config_static_selectorELNS0_4arch9wavefront6targetE0EEEvS14_.num_named_barrier, 0
	.set _ZN7rocprim17ROCPRIM_400000_NS6detail17trampoline_kernelINS0_14default_configENS1_22reduce_config_selectorIN6thrust23THRUST_200600_302600_NS5tupleIblNS6_9null_typeES8_S8_S8_S8_S8_S8_S8_EEEEZNS1_11reduce_implILb1ES3_NS6_12zip_iteratorINS7_INS6_11hip_rocprim26transform_input_iterator_tIbNSD_35transform_pair_of_input_iterators_tIbNS6_6detail15normal_iteratorINS6_10device_ptrIKyEEEESL_NS6_8equal_toIyEEEENSG_9not_fun_tINSD_8identityEEEEENSD_19counting_iterator_tIlEES8_S8_S8_S8_S8_S8_S8_S8_EEEEPS9_S9_NSD_9__find_if7functorIS9_EEEE10hipError_tPvRmT1_T2_T3_mT4_P12ihipStream_tbEUlT_E1_NS1_11comp_targetILNS1_3genE4ELNS1_11target_archE910ELNS1_3gpuE8ELNS1_3repE0EEENS1_30default_config_static_selectorELNS0_4arch9wavefront6targetE0EEEvS14_.private_seg_size, 0
	.set _ZN7rocprim17ROCPRIM_400000_NS6detail17trampoline_kernelINS0_14default_configENS1_22reduce_config_selectorIN6thrust23THRUST_200600_302600_NS5tupleIblNS6_9null_typeES8_S8_S8_S8_S8_S8_S8_EEEEZNS1_11reduce_implILb1ES3_NS6_12zip_iteratorINS7_INS6_11hip_rocprim26transform_input_iterator_tIbNSD_35transform_pair_of_input_iterators_tIbNS6_6detail15normal_iteratorINS6_10device_ptrIKyEEEESL_NS6_8equal_toIyEEEENSG_9not_fun_tINSD_8identityEEEEENSD_19counting_iterator_tIlEES8_S8_S8_S8_S8_S8_S8_S8_EEEEPS9_S9_NSD_9__find_if7functorIS9_EEEE10hipError_tPvRmT1_T2_T3_mT4_P12ihipStream_tbEUlT_E1_NS1_11comp_targetILNS1_3genE4ELNS1_11target_archE910ELNS1_3gpuE8ELNS1_3repE0EEENS1_30default_config_static_selectorELNS0_4arch9wavefront6targetE0EEEvS14_.uses_vcc, 0
	.set _ZN7rocprim17ROCPRIM_400000_NS6detail17trampoline_kernelINS0_14default_configENS1_22reduce_config_selectorIN6thrust23THRUST_200600_302600_NS5tupleIblNS6_9null_typeES8_S8_S8_S8_S8_S8_S8_EEEEZNS1_11reduce_implILb1ES3_NS6_12zip_iteratorINS7_INS6_11hip_rocprim26transform_input_iterator_tIbNSD_35transform_pair_of_input_iterators_tIbNS6_6detail15normal_iteratorINS6_10device_ptrIKyEEEESL_NS6_8equal_toIyEEEENSG_9not_fun_tINSD_8identityEEEEENSD_19counting_iterator_tIlEES8_S8_S8_S8_S8_S8_S8_S8_EEEEPS9_S9_NSD_9__find_if7functorIS9_EEEE10hipError_tPvRmT1_T2_T3_mT4_P12ihipStream_tbEUlT_E1_NS1_11comp_targetILNS1_3genE4ELNS1_11target_archE910ELNS1_3gpuE8ELNS1_3repE0EEENS1_30default_config_static_selectorELNS0_4arch9wavefront6targetE0EEEvS14_.uses_flat_scratch, 0
	.set _ZN7rocprim17ROCPRIM_400000_NS6detail17trampoline_kernelINS0_14default_configENS1_22reduce_config_selectorIN6thrust23THRUST_200600_302600_NS5tupleIblNS6_9null_typeES8_S8_S8_S8_S8_S8_S8_EEEEZNS1_11reduce_implILb1ES3_NS6_12zip_iteratorINS7_INS6_11hip_rocprim26transform_input_iterator_tIbNSD_35transform_pair_of_input_iterators_tIbNS6_6detail15normal_iteratorINS6_10device_ptrIKyEEEESL_NS6_8equal_toIyEEEENSG_9not_fun_tINSD_8identityEEEEENSD_19counting_iterator_tIlEES8_S8_S8_S8_S8_S8_S8_S8_EEEEPS9_S9_NSD_9__find_if7functorIS9_EEEE10hipError_tPvRmT1_T2_T3_mT4_P12ihipStream_tbEUlT_E1_NS1_11comp_targetILNS1_3genE4ELNS1_11target_archE910ELNS1_3gpuE8ELNS1_3repE0EEENS1_30default_config_static_selectorELNS0_4arch9wavefront6targetE0EEEvS14_.has_dyn_sized_stack, 0
	.set _ZN7rocprim17ROCPRIM_400000_NS6detail17trampoline_kernelINS0_14default_configENS1_22reduce_config_selectorIN6thrust23THRUST_200600_302600_NS5tupleIblNS6_9null_typeES8_S8_S8_S8_S8_S8_S8_EEEEZNS1_11reduce_implILb1ES3_NS6_12zip_iteratorINS7_INS6_11hip_rocprim26transform_input_iterator_tIbNSD_35transform_pair_of_input_iterators_tIbNS6_6detail15normal_iteratorINS6_10device_ptrIKyEEEESL_NS6_8equal_toIyEEEENSG_9not_fun_tINSD_8identityEEEEENSD_19counting_iterator_tIlEES8_S8_S8_S8_S8_S8_S8_S8_EEEEPS9_S9_NSD_9__find_if7functorIS9_EEEE10hipError_tPvRmT1_T2_T3_mT4_P12ihipStream_tbEUlT_E1_NS1_11comp_targetILNS1_3genE4ELNS1_11target_archE910ELNS1_3gpuE8ELNS1_3repE0EEENS1_30default_config_static_selectorELNS0_4arch9wavefront6targetE0EEEvS14_.has_recursion, 0
	.set _ZN7rocprim17ROCPRIM_400000_NS6detail17trampoline_kernelINS0_14default_configENS1_22reduce_config_selectorIN6thrust23THRUST_200600_302600_NS5tupleIblNS6_9null_typeES8_S8_S8_S8_S8_S8_S8_EEEEZNS1_11reduce_implILb1ES3_NS6_12zip_iteratorINS7_INS6_11hip_rocprim26transform_input_iterator_tIbNSD_35transform_pair_of_input_iterators_tIbNS6_6detail15normal_iteratorINS6_10device_ptrIKyEEEESL_NS6_8equal_toIyEEEENSG_9not_fun_tINSD_8identityEEEEENSD_19counting_iterator_tIlEES8_S8_S8_S8_S8_S8_S8_S8_EEEEPS9_S9_NSD_9__find_if7functorIS9_EEEE10hipError_tPvRmT1_T2_T3_mT4_P12ihipStream_tbEUlT_E1_NS1_11comp_targetILNS1_3genE4ELNS1_11target_archE910ELNS1_3gpuE8ELNS1_3repE0EEENS1_30default_config_static_selectorELNS0_4arch9wavefront6targetE0EEEvS14_.has_indirect_call, 0
	.section	.AMDGPU.csdata,"",@progbits
; Kernel info:
; codeLenInByte = 0
; TotalNumSgprs: 0
; NumVgprs: 0
; ScratchSize: 0
; MemoryBound: 0
; FloatMode: 240
; IeeeMode: 1
; LDSByteSize: 0 bytes/workgroup (compile time only)
; SGPRBlocks: 0
; VGPRBlocks: 0
; NumSGPRsForWavesPerEU: 1
; NumVGPRsForWavesPerEU: 1
; Occupancy: 16
; WaveLimiterHint : 0
; COMPUTE_PGM_RSRC2:SCRATCH_EN: 0
; COMPUTE_PGM_RSRC2:USER_SGPR: 6
; COMPUTE_PGM_RSRC2:TRAP_HANDLER: 0
; COMPUTE_PGM_RSRC2:TGID_X_EN: 1
; COMPUTE_PGM_RSRC2:TGID_Y_EN: 0
; COMPUTE_PGM_RSRC2:TGID_Z_EN: 0
; COMPUTE_PGM_RSRC2:TIDIG_COMP_CNT: 0
	.section	.text._ZN7rocprim17ROCPRIM_400000_NS6detail17trampoline_kernelINS0_14default_configENS1_22reduce_config_selectorIN6thrust23THRUST_200600_302600_NS5tupleIblNS6_9null_typeES8_S8_S8_S8_S8_S8_S8_EEEEZNS1_11reduce_implILb1ES3_NS6_12zip_iteratorINS7_INS6_11hip_rocprim26transform_input_iterator_tIbNSD_35transform_pair_of_input_iterators_tIbNS6_6detail15normal_iteratorINS6_10device_ptrIKyEEEESL_NS6_8equal_toIyEEEENSG_9not_fun_tINSD_8identityEEEEENSD_19counting_iterator_tIlEES8_S8_S8_S8_S8_S8_S8_S8_EEEEPS9_S9_NSD_9__find_if7functorIS9_EEEE10hipError_tPvRmT1_T2_T3_mT4_P12ihipStream_tbEUlT_E1_NS1_11comp_targetILNS1_3genE3ELNS1_11target_archE908ELNS1_3gpuE7ELNS1_3repE0EEENS1_30default_config_static_selectorELNS0_4arch9wavefront6targetE0EEEvS14_,"axG",@progbits,_ZN7rocprim17ROCPRIM_400000_NS6detail17trampoline_kernelINS0_14default_configENS1_22reduce_config_selectorIN6thrust23THRUST_200600_302600_NS5tupleIblNS6_9null_typeES8_S8_S8_S8_S8_S8_S8_EEEEZNS1_11reduce_implILb1ES3_NS6_12zip_iteratorINS7_INS6_11hip_rocprim26transform_input_iterator_tIbNSD_35transform_pair_of_input_iterators_tIbNS6_6detail15normal_iteratorINS6_10device_ptrIKyEEEESL_NS6_8equal_toIyEEEENSG_9not_fun_tINSD_8identityEEEEENSD_19counting_iterator_tIlEES8_S8_S8_S8_S8_S8_S8_S8_EEEEPS9_S9_NSD_9__find_if7functorIS9_EEEE10hipError_tPvRmT1_T2_T3_mT4_P12ihipStream_tbEUlT_E1_NS1_11comp_targetILNS1_3genE3ELNS1_11target_archE908ELNS1_3gpuE7ELNS1_3repE0EEENS1_30default_config_static_selectorELNS0_4arch9wavefront6targetE0EEEvS14_,comdat
	.protected	_ZN7rocprim17ROCPRIM_400000_NS6detail17trampoline_kernelINS0_14default_configENS1_22reduce_config_selectorIN6thrust23THRUST_200600_302600_NS5tupleIblNS6_9null_typeES8_S8_S8_S8_S8_S8_S8_EEEEZNS1_11reduce_implILb1ES3_NS6_12zip_iteratorINS7_INS6_11hip_rocprim26transform_input_iterator_tIbNSD_35transform_pair_of_input_iterators_tIbNS6_6detail15normal_iteratorINS6_10device_ptrIKyEEEESL_NS6_8equal_toIyEEEENSG_9not_fun_tINSD_8identityEEEEENSD_19counting_iterator_tIlEES8_S8_S8_S8_S8_S8_S8_S8_EEEEPS9_S9_NSD_9__find_if7functorIS9_EEEE10hipError_tPvRmT1_T2_T3_mT4_P12ihipStream_tbEUlT_E1_NS1_11comp_targetILNS1_3genE3ELNS1_11target_archE908ELNS1_3gpuE7ELNS1_3repE0EEENS1_30default_config_static_selectorELNS0_4arch9wavefront6targetE0EEEvS14_ ; -- Begin function _ZN7rocprim17ROCPRIM_400000_NS6detail17trampoline_kernelINS0_14default_configENS1_22reduce_config_selectorIN6thrust23THRUST_200600_302600_NS5tupleIblNS6_9null_typeES8_S8_S8_S8_S8_S8_S8_EEEEZNS1_11reduce_implILb1ES3_NS6_12zip_iteratorINS7_INS6_11hip_rocprim26transform_input_iterator_tIbNSD_35transform_pair_of_input_iterators_tIbNS6_6detail15normal_iteratorINS6_10device_ptrIKyEEEESL_NS6_8equal_toIyEEEENSG_9not_fun_tINSD_8identityEEEEENSD_19counting_iterator_tIlEES8_S8_S8_S8_S8_S8_S8_S8_EEEEPS9_S9_NSD_9__find_if7functorIS9_EEEE10hipError_tPvRmT1_T2_T3_mT4_P12ihipStream_tbEUlT_E1_NS1_11comp_targetILNS1_3genE3ELNS1_11target_archE908ELNS1_3gpuE7ELNS1_3repE0EEENS1_30default_config_static_selectorELNS0_4arch9wavefront6targetE0EEEvS14_
	.globl	_ZN7rocprim17ROCPRIM_400000_NS6detail17trampoline_kernelINS0_14default_configENS1_22reduce_config_selectorIN6thrust23THRUST_200600_302600_NS5tupleIblNS6_9null_typeES8_S8_S8_S8_S8_S8_S8_EEEEZNS1_11reduce_implILb1ES3_NS6_12zip_iteratorINS7_INS6_11hip_rocprim26transform_input_iterator_tIbNSD_35transform_pair_of_input_iterators_tIbNS6_6detail15normal_iteratorINS6_10device_ptrIKyEEEESL_NS6_8equal_toIyEEEENSG_9not_fun_tINSD_8identityEEEEENSD_19counting_iterator_tIlEES8_S8_S8_S8_S8_S8_S8_S8_EEEEPS9_S9_NSD_9__find_if7functorIS9_EEEE10hipError_tPvRmT1_T2_T3_mT4_P12ihipStream_tbEUlT_E1_NS1_11comp_targetILNS1_3genE3ELNS1_11target_archE908ELNS1_3gpuE7ELNS1_3repE0EEENS1_30default_config_static_selectorELNS0_4arch9wavefront6targetE0EEEvS14_
	.p2align	8
	.type	_ZN7rocprim17ROCPRIM_400000_NS6detail17trampoline_kernelINS0_14default_configENS1_22reduce_config_selectorIN6thrust23THRUST_200600_302600_NS5tupleIblNS6_9null_typeES8_S8_S8_S8_S8_S8_S8_EEEEZNS1_11reduce_implILb1ES3_NS6_12zip_iteratorINS7_INS6_11hip_rocprim26transform_input_iterator_tIbNSD_35transform_pair_of_input_iterators_tIbNS6_6detail15normal_iteratorINS6_10device_ptrIKyEEEESL_NS6_8equal_toIyEEEENSG_9not_fun_tINSD_8identityEEEEENSD_19counting_iterator_tIlEES8_S8_S8_S8_S8_S8_S8_S8_EEEEPS9_S9_NSD_9__find_if7functorIS9_EEEE10hipError_tPvRmT1_T2_T3_mT4_P12ihipStream_tbEUlT_E1_NS1_11comp_targetILNS1_3genE3ELNS1_11target_archE908ELNS1_3gpuE7ELNS1_3repE0EEENS1_30default_config_static_selectorELNS0_4arch9wavefront6targetE0EEEvS14_,@function
_ZN7rocprim17ROCPRIM_400000_NS6detail17trampoline_kernelINS0_14default_configENS1_22reduce_config_selectorIN6thrust23THRUST_200600_302600_NS5tupleIblNS6_9null_typeES8_S8_S8_S8_S8_S8_S8_EEEEZNS1_11reduce_implILb1ES3_NS6_12zip_iteratorINS7_INS6_11hip_rocprim26transform_input_iterator_tIbNSD_35transform_pair_of_input_iterators_tIbNS6_6detail15normal_iteratorINS6_10device_ptrIKyEEEESL_NS6_8equal_toIyEEEENSG_9not_fun_tINSD_8identityEEEEENSD_19counting_iterator_tIlEES8_S8_S8_S8_S8_S8_S8_S8_EEEEPS9_S9_NSD_9__find_if7functorIS9_EEEE10hipError_tPvRmT1_T2_T3_mT4_P12ihipStream_tbEUlT_E1_NS1_11comp_targetILNS1_3genE3ELNS1_11target_archE908ELNS1_3gpuE7ELNS1_3repE0EEENS1_30default_config_static_selectorELNS0_4arch9wavefront6targetE0EEEvS14_: ; @_ZN7rocprim17ROCPRIM_400000_NS6detail17trampoline_kernelINS0_14default_configENS1_22reduce_config_selectorIN6thrust23THRUST_200600_302600_NS5tupleIblNS6_9null_typeES8_S8_S8_S8_S8_S8_S8_EEEEZNS1_11reduce_implILb1ES3_NS6_12zip_iteratorINS7_INS6_11hip_rocprim26transform_input_iterator_tIbNSD_35transform_pair_of_input_iterators_tIbNS6_6detail15normal_iteratorINS6_10device_ptrIKyEEEESL_NS6_8equal_toIyEEEENSG_9not_fun_tINSD_8identityEEEEENSD_19counting_iterator_tIlEES8_S8_S8_S8_S8_S8_S8_S8_EEEEPS9_S9_NSD_9__find_if7functorIS9_EEEE10hipError_tPvRmT1_T2_T3_mT4_P12ihipStream_tbEUlT_E1_NS1_11comp_targetILNS1_3genE3ELNS1_11target_archE908ELNS1_3gpuE7ELNS1_3repE0EEENS1_30default_config_static_selectorELNS0_4arch9wavefront6targetE0EEEvS14_
; %bb.0:
	.section	.rodata,"a",@progbits
	.p2align	6, 0x0
	.amdhsa_kernel _ZN7rocprim17ROCPRIM_400000_NS6detail17trampoline_kernelINS0_14default_configENS1_22reduce_config_selectorIN6thrust23THRUST_200600_302600_NS5tupleIblNS6_9null_typeES8_S8_S8_S8_S8_S8_S8_EEEEZNS1_11reduce_implILb1ES3_NS6_12zip_iteratorINS7_INS6_11hip_rocprim26transform_input_iterator_tIbNSD_35transform_pair_of_input_iterators_tIbNS6_6detail15normal_iteratorINS6_10device_ptrIKyEEEESL_NS6_8equal_toIyEEEENSG_9not_fun_tINSD_8identityEEEEENSD_19counting_iterator_tIlEES8_S8_S8_S8_S8_S8_S8_S8_EEEEPS9_S9_NSD_9__find_if7functorIS9_EEEE10hipError_tPvRmT1_T2_T3_mT4_P12ihipStream_tbEUlT_E1_NS1_11comp_targetILNS1_3genE3ELNS1_11target_archE908ELNS1_3gpuE7ELNS1_3repE0EEENS1_30default_config_static_selectorELNS0_4arch9wavefront6targetE0EEEvS14_
		.amdhsa_group_segment_fixed_size 0
		.amdhsa_private_segment_fixed_size 0
		.amdhsa_kernarg_size 88
		.amdhsa_user_sgpr_count 6
		.amdhsa_user_sgpr_private_segment_buffer 1
		.amdhsa_user_sgpr_dispatch_ptr 0
		.amdhsa_user_sgpr_queue_ptr 0
		.amdhsa_user_sgpr_kernarg_segment_ptr 1
		.amdhsa_user_sgpr_dispatch_id 0
		.amdhsa_user_sgpr_flat_scratch_init 0
		.amdhsa_user_sgpr_private_segment_size 0
		.amdhsa_wavefront_size32 1
		.amdhsa_uses_dynamic_stack 0
		.amdhsa_system_sgpr_private_segment_wavefront_offset 0
		.amdhsa_system_sgpr_workgroup_id_x 1
		.amdhsa_system_sgpr_workgroup_id_y 0
		.amdhsa_system_sgpr_workgroup_id_z 0
		.amdhsa_system_sgpr_workgroup_info 0
		.amdhsa_system_vgpr_workitem_id 0
		.amdhsa_next_free_vgpr 1
		.amdhsa_next_free_sgpr 1
		.amdhsa_reserve_vcc 0
		.amdhsa_reserve_flat_scratch 0
		.amdhsa_float_round_mode_32 0
		.amdhsa_float_round_mode_16_64 0
		.amdhsa_float_denorm_mode_32 3
		.amdhsa_float_denorm_mode_16_64 3
		.amdhsa_dx10_clamp 1
		.amdhsa_ieee_mode 1
		.amdhsa_fp16_overflow 0
		.amdhsa_workgroup_processor_mode 1
		.amdhsa_memory_ordered 1
		.amdhsa_forward_progress 1
		.amdhsa_shared_vgpr_count 0
		.amdhsa_exception_fp_ieee_invalid_op 0
		.amdhsa_exception_fp_denorm_src 0
		.amdhsa_exception_fp_ieee_div_zero 0
		.amdhsa_exception_fp_ieee_overflow 0
		.amdhsa_exception_fp_ieee_underflow 0
		.amdhsa_exception_fp_ieee_inexact 0
		.amdhsa_exception_int_div_zero 0
	.end_amdhsa_kernel
	.section	.text._ZN7rocprim17ROCPRIM_400000_NS6detail17trampoline_kernelINS0_14default_configENS1_22reduce_config_selectorIN6thrust23THRUST_200600_302600_NS5tupleIblNS6_9null_typeES8_S8_S8_S8_S8_S8_S8_EEEEZNS1_11reduce_implILb1ES3_NS6_12zip_iteratorINS7_INS6_11hip_rocprim26transform_input_iterator_tIbNSD_35transform_pair_of_input_iterators_tIbNS6_6detail15normal_iteratorINS6_10device_ptrIKyEEEESL_NS6_8equal_toIyEEEENSG_9not_fun_tINSD_8identityEEEEENSD_19counting_iterator_tIlEES8_S8_S8_S8_S8_S8_S8_S8_EEEEPS9_S9_NSD_9__find_if7functorIS9_EEEE10hipError_tPvRmT1_T2_T3_mT4_P12ihipStream_tbEUlT_E1_NS1_11comp_targetILNS1_3genE3ELNS1_11target_archE908ELNS1_3gpuE7ELNS1_3repE0EEENS1_30default_config_static_selectorELNS0_4arch9wavefront6targetE0EEEvS14_,"axG",@progbits,_ZN7rocprim17ROCPRIM_400000_NS6detail17trampoline_kernelINS0_14default_configENS1_22reduce_config_selectorIN6thrust23THRUST_200600_302600_NS5tupleIblNS6_9null_typeES8_S8_S8_S8_S8_S8_S8_EEEEZNS1_11reduce_implILb1ES3_NS6_12zip_iteratorINS7_INS6_11hip_rocprim26transform_input_iterator_tIbNSD_35transform_pair_of_input_iterators_tIbNS6_6detail15normal_iteratorINS6_10device_ptrIKyEEEESL_NS6_8equal_toIyEEEENSG_9not_fun_tINSD_8identityEEEEENSD_19counting_iterator_tIlEES8_S8_S8_S8_S8_S8_S8_S8_EEEEPS9_S9_NSD_9__find_if7functorIS9_EEEE10hipError_tPvRmT1_T2_T3_mT4_P12ihipStream_tbEUlT_E1_NS1_11comp_targetILNS1_3genE3ELNS1_11target_archE908ELNS1_3gpuE7ELNS1_3repE0EEENS1_30default_config_static_selectorELNS0_4arch9wavefront6targetE0EEEvS14_,comdat
.Lfunc_end119:
	.size	_ZN7rocprim17ROCPRIM_400000_NS6detail17trampoline_kernelINS0_14default_configENS1_22reduce_config_selectorIN6thrust23THRUST_200600_302600_NS5tupleIblNS6_9null_typeES8_S8_S8_S8_S8_S8_S8_EEEEZNS1_11reduce_implILb1ES3_NS6_12zip_iteratorINS7_INS6_11hip_rocprim26transform_input_iterator_tIbNSD_35transform_pair_of_input_iterators_tIbNS6_6detail15normal_iteratorINS6_10device_ptrIKyEEEESL_NS6_8equal_toIyEEEENSG_9not_fun_tINSD_8identityEEEEENSD_19counting_iterator_tIlEES8_S8_S8_S8_S8_S8_S8_S8_EEEEPS9_S9_NSD_9__find_if7functorIS9_EEEE10hipError_tPvRmT1_T2_T3_mT4_P12ihipStream_tbEUlT_E1_NS1_11comp_targetILNS1_3genE3ELNS1_11target_archE908ELNS1_3gpuE7ELNS1_3repE0EEENS1_30default_config_static_selectorELNS0_4arch9wavefront6targetE0EEEvS14_, .Lfunc_end119-_ZN7rocprim17ROCPRIM_400000_NS6detail17trampoline_kernelINS0_14default_configENS1_22reduce_config_selectorIN6thrust23THRUST_200600_302600_NS5tupleIblNS6_9null_typeES8_S8_S8_S8_S8_S8_S8_EEEEZNS1_11reduce_implILb1ES3_NS6_12zip_iteratorINS7_INS6_11hip_rocprim26transform_input_iterator_tIbNSD_35transform_pair_of_input_iterators_tIbNS6_6detail15normal_iteratorINS6_10device_ptrIKyEEEESL_NS6_8equal_toIyEEEENSG_9not_fun_tINSD_8identityEEEEENSD_19counting_iterator_tIlEES8_S8_S8_S8_S8_S8_S8_S8_EEEEPS9_S9_NSD_9__find_if7functorIS9_EEEE10hipError_tPvRmT1_T2_T3_mT4_P12ihipStream_tbEUlT_E1_NS1_11comp_targetILNS1_3genE3ELNS1_11target_archE908ELNS1_3gpuE7ELNS1_3repE0EEENS1_30default_config_static_selectorELNS0_4arch9wavefront6targetE0EEEvS14_
                                        ; -- End function
	.set _ZN7rocprim17ROCPRIM_400000_NS6detail17trampoline_kernelINS0_14default_configENS1_22reduce_config_selectorIN6thrust23THRUST_200600_302600_NS5tupleIblNS6_9null_typeES8_S8_S8_S8_S8_S8_S8_EEEEZNS1_11reduce_implILb1ES3_NS6_12zip_iteratorINS7_INS6_11hip_rocprim26transform_input_iterator_tIbNSD_35transform_pair_of_input_iterators_tIbNS6_6detail15normal_iteratorINS6_10device_ptrIKyEEEESL_NS6_8equal_toIyEEEENSG_9not_fun_tINSD_8identityEEEEENSD_19counting_iterator_tIlEES8_S8_S8_S8_S8_S8_S8_S8_EEEEPS9_S9_NSD_9__find_if7functorIS9_EEEE10hipError_tPvRmT1_T2_T3_mT4_P12ihipStream_tbEUlT_E1_NS1_11comp_targetILNS1_3genE3ELNS1_11target_archE908ELNS1_3gpuE7ELNS1_3repE0EEENS1_30default_config_static_selectorELNS0_4arch9wavefront6targetE0EEEvS14_.num_vgpr, 0
	.set _ZN7rocprim17ROCPRIM_400000_NS6detail17trampoline_kernelINS0_14default_configENS1_22reduce_config_selectorIN6thrust23THRUST_200600_302600_NS5tupleIblNS6_9null_typeES8_S8_S8_S8_S8_S8_S8_EEEEZNS1_11reduce_implILb1ES3_NS6_12zip_iteratorINS7_INS6_11hip_rocprim26transform_input_iterator_tIbNSD_35transform_pair_of_input_iterators_tIbNS6_6detail15normal_iteratorINS6_10device_ptrIKyEEEESL_NS6_8equal_toIyEEEENSG_9not_fun_tINSD_8identityEEEEENSD_19counting_iterator_tIlEES8_S8_S8_S8_S8_S8_S8_S8_EEEEPS9_S9_NSD_9__find_if7functorIS9_EEEE10hipError_tPvRmT1_T2_T3_mT4_P12ihipStream_tbEUlT_E1_NS1_11comp_targetILNS1_3genE3ELNS1_11target_archE908ELNS1_3gpuE7ELNS1_3repE0EEENS1_30default_config_static_selectorELNS0_4arch9wavefront6targetE0EEEvS14_.num_agpr, 0
	.set _ZN7rocprim17ROCPRIM_400000_NS6detail17trampoline_kernelINS0_14default_configENS1_22reduce_config_selectorIN6thrust23THRUST_200600_302600_NS5tupleIblNS6_9null_typeES8_S8_S8_S8_S8_S8_S8_EEEEZNS1_11reduce_implILb1ES3_NS6_12zip_iteratorINS7_INS6_11hip_rocprim26transform_input_iterator_tIbNSD_35transform_pair_of_input_iterators_tIbNS6_6detail15normal_iteratorINS6_10device_ptrIKyEEEESL_NS6_8equal_toIyEEEENSG_9not_fun_tINSD_8identityEEEEENSD_19counting_iterator_tIlEES8_S8_S8_S8_S8_S8_S8_S8_EEEEPS9_S9_NSD_9__find_if7functorIS9_EEEE10hipError_tPvRmT1_T2_T3_mT4_P12ihipStream_tbEUlT_E1_NS1_11comp_targetILNS1_3genE3ELNS1_11target_archE908ELNS1_3gpuE7ELNS1_3repE0EEENS1_30default_config_static_selectorELNS0_4arch9wavefront6targetE0EEEvS14_.numbered_sgpr, 0
	.set _ZN7rocprim17ROCPRIM_400000_NS6detail17trampoline_kernelINS0_14default_configENS1_22reduce_config_selectorIN6thrust23THRUST_200600_302600_NS5tupleIblNS6_9null_typeES8_S8_S8_S8_S8_S8_S8_EEEEZNS1_11reduce_implILb1ES3_NS6_12zip_iteratorINS7_INS6_11hip_rocprim26transform_input_iterator_tIbNSD_35transform_pair_of_input_iterators_tIbNS6_6detail15normal_iteratorINS6_10device_ptrIKyEEEESL_NS6_8equal_toIyEEEENSG_9not_fun_tINSD_8identityEEEEENSD_19counting_iterator_tIlEES8_S8_S8_S8_S8_S8_S8_S8_EEEEPS9_S9_NSD_9__find_if7functorIS9_EEEE10hipError_tPvRmT1_T2_T3_mT4_P12ihipStream_tbEUlT_E1_NS1_11comp_targetILNS1_3genE3ELNS1_11target_archE908ELNS1_3gpuE7ELNS1_3repE0EEENS1_30default_config_static_selectorELNS0_4arch9wavefront6targetE0EEEvS14_.num_named_barrier, 0
	.set _ZN7rocprim17ROCPRIM_400000_NS6detail17trampoline_kernelINS0_14default_configENS1_22reduce_config_selectorIN6thrust23THRUST_200600_302600_NS5tupleIblNS6_9null_typeES8_S8_S8_S8_S8_S8_S8_EEEEZNS1_11reduce_implILb1ES3_NS6_12zip_iteratorINS7_INS6_11hip_rocprim26transform_input_iterator_tIbNSD_35transform_pair_of_input_iterators_tIbNS6_6detail15normal_iteratorINS6_10device_ptrIKyEEEESL_NS6_8equal_toIyEEEENSG_9not_fun_tINSD_8identityEEEEENSD_19counting_iterator_tIlEES8_S8_S8_S8_S8_S8_S8_S8_EEEEPS9_S9_NSD_9__find_if7functorIS9_EEEE10hipError_tPvRmT1_T2_T3_mT4_P12ihipStream_tbEUlT_E1_NS1_11comp_targetILNS1_3genE3ELNS1_11target_archE908ELNS1_3gpuE7ELNS1_3repE0EEENS1_30default_config_static_selectorELNS0_4arch9wavefront6targetE0EEEvS14_.private_seg_size, 0
	.set _ZN7rocprim17ROCPRIM_400000_NS6detail17trampoline_kernelINS0_14default_configENS1_22reduce_config_selectorIN6thrust23THRUST_200600_302600_NS5tupleIblNS6_9null_typeES8_S8_S8_S8_S8_S8_S8_EEEEZNS1_11reduce_implILb1ES3_NS6_12zip_iteratorINS7_INS6_11hip_rocprim26transform_input_iterator_tIbNSD_35transform_pair_of_input_iterators_tIbNS6_6detail15normal_iteratorINS6_10device_ptrIKyEEEESL_NS6_8equal_toIyEEEENSG_9not_fun_tINSD_8identityEEEEENSD_19counting_iterator_tIlEES8_S8_S8_S8_S8_S8_S8_S8_EEEEPS9_S9_NSD_9__find_if7functorIS9_EEEE10hipError_tPvRmT1_T2_T3_mT4_P12ihipStream_tbEUlT_E1_NS1_11comp_targetILNS1_3genE3ELNS1_11target_archE908ELNS1_3gpuE7ELNS1_3repE0EEENS1_30default_config_static_selectorELNS0_4arch9wavefront6targetE0EEEvS14_.uses_vcc, 0
	.set _ZN7rocprim17ROCPRIM_400000_NS6detail17trampoline_kernelINS0_14default_configENS1_22reduce_config_selectorIN6thrust23THRUST_200600_302600_NS5tupleIblNS6_9null_typeES8_S8_S8_S8_S8_S8_S8_EEEEZNS1_11reduce_implILb1ES3_NS6_12zip_iteratorINS7_INS6_11hip_rocprim26transform_input_iterator_tIbNSD_35transform_pair_of_input_iterators_tIbNS6_6detail15normal_iteratorINS6_10device_ptrIKyEEEESL_NS6_8equal_toIyEEEENSG_9not_fun_tINSD_8identityEEEEENSD_19counting_iterator_tIlEES8_S8_S8_S8_S8_S8_S8_S8_EEEEPS9_S9_NSD_9__find_if7functorIS9_EEEE10hipError_tPvRmT1_T2_T3_mT4_P12ihipStream_tbEUlT_E1_NS1_11comp_targetILNS1_3genE3ELNS1_11target_archE908ELNS1_3gpuE7ELNS1_3repE0EEENS1_30default_config_static_selectorELNS0_4arch9wavefront6targetE0EEEvS14_.uses_flat_scratch, 0
	.set _ZN7rocprim17ROCPRIM_400000_NS6detail17trampoline_kernelINS0_14default_configENS1_22reduce_config_selectorIN6thrust23THRUST_200600_302600_NS5tupleIblNS6_9null_typeES8_S8_S8_S8_S8_S8_S8_EEEEZNS1_11reduce_implILb1ES3_NS6_12zip_iteratorINS7_INS6_11hip_rocprim26transform_input_iterator_tIbNSD_35transform_pair_of_input_iterators_tIbNS6_6detail15normal_iteratorINS6_10device_ptrIKyEEEESL_NS6_8equal_toIyEEEENSG_9not_fun_tINSD_8identityEEEEENSD_19counting_iterator_tIlEES8_S8_S8_S8_S8_S8_S8_S8_EEEEPS9_S9_NSD_9__find_if7functorIS9_EEEE10hipError_tPvRmT1_T2_T3_mT4_P12ihipStream_tbEUlT_E1_NS1_11comp_targetILNS1_3genE3ELNS1_11target_archE908ELNS1_3gpuE7ELNS1_3repE0EEENS1_30default_config_static_selectorELNS0_4arch9wavefront6targetE0EEEvS14_.has_dyn_sized_stack, 0
	.set _ZN7rocprim17ROCPRIM_400000_NS6detail17trampoline_kernelINS0_14default_configENS1_22reduce_config_selectorIN6thrust23THRUST_200600_302600_NS5tupleIblNS6_9null_typeES8_S8_S8_S8_S8_S8_S8_EEEEZNS1_11reduce_implILb1ES3_NS6_12zip_iteratorINS7_INS6_11hip_rocprim26transform_input_iterator_tIbNSD_35transform_pair_of_input_iterators_tIbNS6_6detail15normal_iteratorINS6_10device_ptrIKyEEEESL_NS6_8equal_toIyEEEENSG_9not_fun_tINSD_8identityEEEEENSD_19counting_iterator_tIlEES8_S8_S8_S8_S8_S8_S8_S8_EEEEPS9_S9_NSD_9__find_if7functorIS9_EEEE10hipError_tPvRmT1_T2_T3_mT4_P12ihipStream_tbEUlT_E1_NS1_11comp_targetILNS1_3genE3ELNS1_11target_archE908ELNS1_3gpuE7ELNS1_3repE0EEENS1_30default_config_static_selectorELNS0_4arch9wavefront6targetE0EEEvS14_.has_recursion, 0
	.set _ZN7rocprim17ROCPRIM_400000_NS6detail17trampoline_kernelINS0_14default_configENS1_22reduce_config_selectorIN6thrust23THRUST_200600_302600_NS5tupleIblNS6_9null_typeES8_S8_S8_S8_S8_S8_S8_EEEEZNS1_11reduce_implILb1ES3_NS6_12zip_iteratorINS7_INS6_11hip_rocprim26transform_input_iterator_tIbNSD_35transform_pair_of_input_iterators_tIbNS6_6detail15normal_iteratorINS6_10device_ptrIKyEEEESL_NS6_8equal_toIyEEEENSG_9not_fun_tINSD_8identityEEEEENSD_19counting_iterator_tIlEES8_S8_S8_S8_S8_S8_S8_S8_EEEEPS9_S9_NSD_9__find_if7functorIS9_EEEE10hipError_tPvRmT1_T2_T3_mT4_P12ihipStream_tbEUlT_E1_NS1_11comp_targetILNS1_3genE3ELNS1_11target_archE908ELNS1_3gpuE7ELNS1_3repE0EEENS1_30default_config_static_selectorELNS0_4arch9wavefront6targetE0EEEvS14_.has_indirect_call, 0
	.section	.AMDGPU.csdata,"",@progbits
; Kernel info:
; codeLenInByte = 0
; TotalNumSgprs: 0
; NumVgprs: 0
; ScratchSize: 0
; MemoryBound: 0
; FloatMode: 240
; IeeeMode: 1
; LDSByteSize: 0 bytes/workgroup (compile time only)
; SGPRBlocks: 0
; VGPRBlocks: 0
; NumSGPRsForWavesPerEU: 1
; NumVGPRsForWavesPerEU: 1
; Occupancy: 16
; WaveLimiterHint : 0
; COMPUTE_PGM_RSRC2:SCRATCH_EN: 0
; COMPUTE_PGM_RSRC2:USER_SGPR: 6
; COMPUTE_PGM_RSRC2:TRAP_HANDLER: 0
; COMPUTE_PGM_RSRC2:TGID_X_EN: 1
; COMPUTE_PGM_RSRC2:TGID_Y_EN: 0
; COMPUTE_PGM_RSRC2:TGID_Z_EN: 0
; COMPUTE_PGM_RSRC2:TIDIG_COMP_CNT: 0
	.section	.text._ZN7rocprim17ROCPRIM_400000_NS6detail17trampoline_kernelINS0_14default_configENS1_22reduce_config_selectorIN6thrust23THRUST_200600_302600_NS5tupleIblNS6_9null_typeES8_S8_S8_S8_S8_S8_S8_EEEEZNS1_11reduce_implILb1ES3_NS6_12zip_iteratorINS7_INS6_11hip_rocprim26transform_input_iterator_tIbNSD_35transform_pair_of_input_iterators_tIbNS6_6detail15normal_iteratorINS6_10device_ptrIKyEEEESL_NS6_8equal_toIyEEEENSG_9not_fun_tINSD_8identityEEEEENSD_19counting_iterator_tIlEES8_S8_S8_S8_S8_S8_S8_S8_EEEEPS9_S9_NSD_9__find_if7functorIS9_EEEE10hipError_tPvRmT1_T2_T3_mT4_P12ihipStream_tbEUlT_E1_NS1_11comp_targetILNS1_3genE2ELNS1_11target_archE906ELNS1_3gpuE6ELNS1_3repE0EEENS1_30default_config_static_selectorELNS0_4arch9wavefront6targetE0EEEvS14_,"axG",@progbits,_ZN7rocprim17ROCPRIM_400000_NS6detail17trampoline_kernelINS0_14default_configENS1_22reduce_config_selectorIN6thrust23THRUST_200600_302600_NS5tupleIblNS6_9null_typeES8_S8_S8_S8_S8_S8_S8_EEEEZNS1_11reduce_implILb1ES3_NS6_12zip_iteratorINS7_INS6_11hip_rocprim26transform_input_iterator_tIbNSD_35transform_pair_of_input_iterators_tIbNS6_6detail15normal_iteratorINS6_10device_ptrIKyEEEESL_NS6_8equal_toIyEEEENSG_9not_fun_tINSD_8identityEEEEENSD_19counting_iterator_tIlEES8_S8_S8_S8_S8_S8_S8_S8_EEEEPS9_S9_NSD_9__find_if7functorIS9_EEEE10hipError_tPvRmT1_T2_T3_mT4_P12ihipStream_tbEUlT_E1_NS1_11comp_targetILNS1_3genE2ELNS1_11target_archE906ELNS1_3gpuE6ELNS1_3repE0EEENS1_30default_config_static_selectorELNS0_4arch9wavefront6targetE0EEEvS14_,comdat
	.protected	_ZN7rocprim17ROCPRIM_400000_NS6detail17trampoline_kernelINS0_14default_configENS1_22reduce_config_selectorIN6thrust23THRUST_200600_302600_NS5tupleIblNS6_9null_typeES8_S8_S8_S8_S8_S8_S8_EEEEZNS1_11reduce_implILb1ES3_NS6_12zip_iteratorINS7_INS6_11hip_rocprim26transform_input_iterator_tIbNSD_35transform_pair_of_input_iterators_tIbNS6_6detail15normal_iteratorINS6_10device_ptrIKyEEEESL_NS6_8equal_toIyEEEENSG_9not_fun_tINSD_8identityEEEEENSD_19counting_iterator_tIlEES8_S8_S8_S8_S8_S8_S8_S8_EEEEPS9_S9_NSD_9__find_if7functorIS9_EEEE10hipError_tPvRmT1_T2_T3_mT4_P12ihipStream_tbEUlT_E1_NS1_11comp_targetILNS1_3genE2ELNS1_11target_archE906ELNS1_3gpuE6ELNS1_3repE0EEENS1_30default_config_static_selectorELNS0_4arch9wavefront6targetE0EEEvS14_ ; -- Begin function _ZN7rocprim17ROCPRIM_400000_NS6detail17trampoline_kernelINS0_14default_configENS1_22reduce_config_selectorIN6thrust23THRUST_200600_302600_NS5tupleIblNS6_9null_typeES8_S8_S8_S8_S8_S8_S8_EEEEZNS1_11reduce_implILb1ES3_NS6_12zip_iteratorINS7_INS6_11hip_rocprim26transform_input_iterator_tIbNSD_35transform_pair_of_input_iterators_tIbNS6_6detail15normal_iteratorINS6_10device_ptrIKyEEEESL_NS6_8equal_toIyEEEENSG_9not_fun_tINSD_8identityEEEEENSD_19counting_iterator_tIlEES8_S8_S8_S8_S8_S8_S8_S8_EEEEPS9_S9_NSD_9__find_if7functorIS9_EEEE10hipError_tPvRmT1_T2_T3_mT4_P12ihipStream_tbEUlT_E1_NS1_11comp_targetILNS1_3genE2ELNS1_11target_archE906ELNS1_3gpuE6ELNS1_3repE0EEENS1_30default_config_static_selectorELNS0_4arch9wavefront6targetE0EEEvS14_
	.globl	_ZN7rocprim17ROCPRIM_400000_NS6detail17trampoline_kernelINS0_14default_configENS1_22reduce_config_selectorIN6thrust23THRUST_200600_302600_NS5tupleIblNS6_9null_typeES8_S8_S8_S8_S8_S8_S8_EEEEZNS1_11reduce_implILb1ES3_NS6_12zip_iteratorINS7_INS6_11hip_rocprim26transform_input_iterator_tIbNSD_35transform_pair_of_input_iterators_tIbNS6_6detail15normal_iteratorINS6_10device_ptrIKyEEEESL_NS6_8equal_toIyEEEENSG_9not_fun_tINSD_8identityEEEEENSD_19counting_iterator_tIlEES8_S8_S8_S8_S8_S8_S8_S8_EEEEPS9_S9_NSD_9__find_if7functorIS9_EEEE10hipError_tPvRmT1_T2_T3_mT4_P12ihipStream_tbEUlT_E1_NS1_11comp_targetILNS1_3genE2ELNS1_11target_archE906ELNS1_3gpuE6ELNS1_3repE0EEENS1_30default_config_static_selectorELNS0_4arch9wavefront6targetE0EEEvS14_
	.p2align	8
	.type	_ZN7rocprim17ROCPRIM_400000_NS6detail17trampoline_kernelINS0_14default_configENS1_22reduce_config_selectorIN6thrust23THRUST_200600_302600_NS5tupleIblNS6_9null_typeES8_S8_S8_S8_S8_S8_S8_EEEEZNS1_11reduce_implILb1ES3_NS6_12zip_iteratorINS7_INS6_11hip_rocprim26transform_input_iterator_tIbNSD_35transform_pair_of_input_iterators_tIbNS6_6detail15normal_iteratorINS6_10device_ptrIKyEEEESL_NS6_8equal_toIyEEEENSG_9not_fun_tINSD_8identityEEEEENSD_19counting_iterator_tIlEES8_S8_S8_S8_S8_S8_S8_S8_EEEEPS9_S9_NSD_9__find_if7functorIS9_EEEE10hipError_tPvRmT1_T2_T3_mT4_P12ihipStream_tbEUlT_E1_NS1_11comp_targetILNS1_3genE2ELNS1_11target_archE906ELNS1_3gpuE6ELNS1_3repE0EEENS1_30default_config_static_selectorELNS0_4arch9wavefront6targetE0EEEvS14_,@function
_ZN7rocprim17ROCPRIM_400000_NS6detail17trampoline_kernelINS0_14default_configENS1_22reduce_config_selectorIN6thrust23THRUST_200600_302600_NS5tupleIblNS6_9null_typeES8_S8_S8_S8_S8_S8_S8_EEEEZNS1_11reduce_implILb1ES3_NS6_12zip_iteratorINS7_INS6_11hip_rocprim26transform_input_iterator_tIbNSD_35transform_pair_of_input_iterators_tIbNS6_6detail15normal_iteratorINS6_10device_ptrIKyEEEESL_NS6_8equal_toIyEEEENSG_9not_fun_tINSD_8identityEEEEENSD_19counting_iterator_tIlEES8_S8_S8_S8_S8_S8_S8_S8_EEEEPS9_S9_NSD_9__find_if7functorIS9_EEEE10hipError_tPvRmT1_T2_T3_mT4_P12ihipStream_tbEUlT_E1_NS1_11comp_targetILNS1_3genE2ELNS1_11target_archE906ELNS1_3gpuE6ELNS1_3repE0EEENS1_30default_config_static_selectorELNS0_4arch9wavefront6targetE0EEEvS14_: ; @_ZN7rocprim17ROCPRIM_400000_NS6detail17trampoline_kernelINS0_14default_configENS1_22reduce_config_selectorIN6thrust23THRUST_200600_302600_NS5tupleIblNS6_9null_typeES8_S8_S8_S8_S8_S8_S8_EEEEZNS1_11reduce_implILb1ES3_NS6_12zip_iteratorINS7_INS6_11hip_rocprim26transform_input_iterator_tIbNSD_35transform_pair_of_input_iterators_tIbNS6_6detail15normal_iteratorINS6_10device_ptrIKyEEEESL_NS6_8equal_toIyEEEENSG_9not_fun_tINSD_8identityEEEEENSD_19counting_iterator_tIlEES8_S8_S8_S8_S8_S8_S8_S8_EEEEPS9_S9_NSD_9__find_if7functorIS9_EEEE10hipError_tPvRmT1_T2_T3_mT4_P12ihipStream_tbEUlT_E1_NS1_11comp_targetILNS1_3genE2ELNS1_11target_archE906ELNS1_3gpuE6ELNS1_3repE0EEENS1_30default_config_static_selectorELNS0_4arch9wavefront6targetE0EEEvS14_
; %bb.0:
	.section	.rodata,"a",@progbits
	.p2align	6, 0x0
	.amdhsa_kernel _ZN7rocprim17ROCPRIM_400000_NS6detail17trampoline_kernelINS0_14default_configENS1_22reduce_config_selectorIN6thrust23THRUST_200600_302600_NS5tupleIblNS6_9null_typeES8_S8_S8_S8_S8_S8_S8_EEEEZNS1_11reduce_implILb1ES3_NS6_12zip_iteratorINS7_INS6_11hip_rocprim26transform_input_iterator_tIbNSD_35transform_pair_of_input_iterators_tIbNS6_6detail15normal_iteratorINS6_10device_ptrIKyEEEESL_NS6_8equal_toIyEEEENSG_9not_fun_tINSD_8identityEEEEENSD_19counting_iterator_tIlEES8_S8_S8_S8_S8_S8_S8_S8_EEEEPS9_S9_NSD_9__find_if7functorIS9_EEEE10hipError_tPvRmT1_T2_T3_mT4_P12ihipStream_tbEUlT_E1_NS1_11comp_targetILNS1_3genE2ELNS1_11target_archE906ELNS1_3gpuE6ELNS1_3repE0EEENS1_30default_config_static_selectorELNS0_4arch9wavefront6targetE0EEEvS14_
		.amdhsa_group_segment_fixed_size 0
		.amdhsa_private_segment_fixed_size 0
		.amdhsa_kernarg_size 88
		.amdhsa_user_sgpr_count 6
		.amdhsa_user_sgpr_private_segment_buffer 1
		.amdhsa_user_sgpr_dispatch_ptr 0
		.amdhsa_user_sgpr_queue_ptr 0
		.amdhsa_user_sgpr_kernarg_segment_ptr 1
		.amdhsa_user_sgpr_dispatch_id 0
		.amdhsa_user_sgpr_flat_scratch_init 0
		.amdhsa_user_sgpr_private_segment_size 0
		.amdhsa_wavefront_size32 1
		.amdhsa_uses_dynamic_stack 0
		.amdhsa_system_sgpr_private_segment_wavefront_offset 0
		.amdhsa_system_sgpr_workgroup_id_x 1
		.amdhsa_system_sgpr_workgroup_id_y 0
		.amdhsa_system_sgpr_workgroup_id_z 0
		.amdhsa_system_sgpr_workgroup_info 0
		.amdhsa_system_vgpr_workitem_id 0
		.amdhsa_next_free_vgpr 1
		.amdhsa_next_free_sgpr 1
		.amdhsa_reserve_vcc 0
		.amdhsa_reserve_flat_scratch 0
		.amdhsa_float_round_mode_32 0
		.amdhsa_float_round_mode_16_64 0
		.amdhsa_float_denorm_mode_32 3
		.amdhsa_float_denorm_mode_16_64 3
		.amdhsa_dx10_clamp 1
		.amdhsa_ieee_mode 1
		.amdhsa_fp16_overflow 0
		.amdhsa_workgroup_processor_mode 1
		.amdhsa_memory_ordered 1
		.amdhsa_forward_progress 1
		.amdhsa_shared_vgpr_count 0
		.amdhsa_exception_fp_ieee_invalid_op 0
		.amdhsa_exception_fp_denorm_src 0
		.amdhsa_exception_fp_ieee_div_zero 0
		.amdhsa_exception_fp_ieee_overflow 0
		.amdhsa_exception_fp_ieee_underflow 0
		.amdhsa_exception_fp_ieee_inexact 0
		.amdhsa_exception_int_div_zero 0
	.end_amdhsa_kernel
	.section	.text._ZN7rocprim17ROCPRIM_400000_NS6detail17trampoline_kernelINS0_14default_configENS1_22reduce_config_selectorIN6thrust23THRUST_200600_302600_NS5tupleIblNS6_9null_typeES8_S8_S8_S8_S8_S8_S8_EEEEZNS1_11reduce_implILb1ES3_NS6_12zip_iteratorINS7_INS6_11hip_rocprim26transform_input_iterator_tIbNSD_35transform_pair_of_input_iterators_tIbNS6_6detail15normal_iteratorINS6_10device_ptrIKyEEEESL_NS6_8equal_toIyEEEENSG_9not_fun_tINSD_8identityEEEEENSD_19counting_iterator_tIlEES8_S8_S8_S8_S8_S8_S8_S8_EEEEPS9_S9_NSD_9__find_if7functorIS9_EEEE10hipError_tPvRmT1_T2_T3_mT4_P12ihipStream_tbEUlT_E1_NS1_11comp_targetILNS1_3genE2ELNS1_11target_archE906ELNS1_3gpuE6ELNS1_3repE0EEENS1_30default_config_static_selectorELNS0_4arch9wavefront6targetE0EEEvS14_,"axG",@progbits,_ZN7rocprim17ROCPRIM_400000_NS6detail17trampoline_kernelINS0_14default_configENS1_22reduce_config_selectorIN6thrust23THRUST_200600_302600_NS5tupleIblNS6_9null_typeES8_S8_S8_S8_S8_S8_S8_EEEEZNS1_11reduce_implILb1ES3_NS6_12zip_iteratorINS7_INS6_11hip_rocprim26transform_input_iterator_tIbNSD_35transform_pair_of_input_iterators_tIbNS6_6detail15normal_iteratorINS6_10device_ptrIKyEEEESL_NS6_8equal_toIyEEEENSG_9not_fun_tINSD_8identityEEEEENSD_19counting_iterator_tIlEES8_S8_S8_S8_S8_S8_S8_S8_EEEEPS9_S9_NSD_9__find_if7functorIS9_EEEE10hipError_tPvRmT1_T2_T3_mT4_P12ihipStream_tbEUlT_E1_NS1_11comp_targetILNS1_3genE2ELNS1_11target_archE906ELNS1_3gpuE6ELNS1_3repE0EEENS1_30default_config_static_selectorELNS0_4arch9wavefront6targetE0EEEvS14_,comdat
.Lfunc_end120:
	.size	_ZN7rocprim17ROCPRIM_400000_NS6detail17trampoline_kernelINS0_14default_configENS1_22reduce_config_selectorIN6thrust23THRUST_200600_302600_NS5tupleIblNS6_9null_typeES8_S8_S8_S8_S8_S8_S8_EEEEZNS1_11reduce_implILb1ES3_NS6_12zip_iteratorINS7_INS6_11hip_rocprim26transform_input_iterator_tIbNSD_35transform_pair_of_input_iterators_tIbNS6_6detail15normal_iteratorINS6_10device_ptrIKyEEEESL_NS6_8equal_toIyEEEENSG_9not_fun_tINSD_8identityEEEEENSD_19counting_iterator_tIlEES8_S8_S8_S8_S8_S8_S8_S8_EEEEPS9_S9_NSD_9__find_if7functorIS9_EEEE10hipError_tPvRmT1_T2_T3_mT4_P12ihipStream_tbEUlT_E1_NS1_11comp_targetILNS1_3genE2ELNS1_11target_archE906ELNS1_3gpuE6ELNS1_3repE0EEENS1_30default_config_static_selectorELNS0_4arch9wavefront6targetE0EEEvS14_, .Lfunc_end120-_ZN7rocprim17ROCPRIM_400000_NS6detail17trampoline_kernelINS0_14default_configENS1_22reduce_config_selectorIN6thrust23THRUST_200600_302600_NS5tupleIblNS6_9null_typeES8_S8_S8_S8_S8_S8_S8_EEEEZNS1_11reduce_implILb1ES3_NS6_12zip_iteratorINS7_INS6_11hip_rocprim26transform_input_iterator_tIbNSD_35transform_pair_of_input_iterators_tIbNS6_6detail15normal_iteratorINS6_10device_ptrIKyEEEESL_NS6_8equal_toIyEEEENSG_9not_fun_tINSD_8identityEEEEENSD_19counting_iterator_tIlEES8_S8_S8_S8_S8_S8_S8_S8_EEEEPS9_S9_NSD_9__find_if7functorIS9_EEEE10hipError_tPvRmT1_T2_T3_mT4_P12ihipStream_tbEUlT_E1_NS1_11comp_targetILNS1_3genE2ELNS1_11target_archE906ELNS1_3gpuE6ELNS1_3repE0EEENS1_30default_config_static_selectorELNS0_4arch9wavefront6targetE0EEEvS14_
                                        ; -- End function
	.set _ZN7rocprim17ROCPRIM_400000_NS6detail17trampoline_kernelINS0_14default_configENS1_22reduce_config_selectorIN6thrust23THRUST_200600_302600_NS5tupleIblNS6_9null_typeES8_S8_S8_S8_S8_S8_S8_EEEEZNS1_11reduce_implILb1ES3_NS6_12zip_iteratorINS7_INS6_11hip_rocprim26transform_input_iterator_tIbNSD_35transform_pair_of_input_iterators_tIbNS6_6detail15normal_iteratorINS6_10device_ptrIKyEEEESL_NS6_8equal_toIyEEEENSG_9not_fun_tINSD_8identityEEEEENSD_19counting_iterator_tIlEES8_S8_S8_S8_S8_S8_S8_S8_EEEEPS9_S9_NSD_9__find_if7functorIS9_EEEE10hipError_tPvRmT1_T2_T3_mT4_P12ihipStream_tbEUlT_E1_NS1_11comp_targetILNS1_3genE2ELNS1_11target_archE906ELNS1_3gpuE6ELNS1_3repE0EEENS1_30default_config_static_selectorELNS0_4arch9wavefront6targetE0EEEvS14_.num_vgpr, 0
	.set _ZN7rocprim17ROCPRIM_400000_NS6detail17trampoline_kernelINS0_14default_configENS1_22reduce_config_selectorIN6thrust23THRUST_200600_302600_NS5tupleIblNS6_9null_typeES8_S8_S8_S8_S8_S8_S8_EEEEZNS1_11reduce_implILb1ES3_NS6_12zip_iteratorINS7_INS6_11hip_rocprim26transform_input_iterator_tIbNSD_35transform_pair_of_input_iterators_tIbNS6_6detail15normal_iteratorINS6_10device_ptrIKyEEEESL_NS6_8equal_toIyEEEENSG_9not_fun_tINSD_8identityEEEEENSD_19counting_iterator_tIlEES8_S8_S8_S8_S8_S8_S8_S8_EEEEPS9_S9_NSD_9__find_if7functorIS9_EEEE10hipError_tPvRmT1_T2_T3_mT4_P12ihipStream_tbEUlT_E1_NS1_11comp_targetILNS1_3genE2ELNS1_11target_archE906ELNS1_3gpuE6ELNS1_3repE0EEENS1_30default_config_static_selectorELNS0_4arch9wavefront6targetE0EEEvS14_.num_agpr, 0
	.set _ZN7rocprim17ROCPRIM_400000_NS6detail17trampoline_kernelINS0_14default_configENS1_22reduce_config_selectorIN6thrust23THRUST_200600_302600_NS5tupleIblNS6_9null_typeES8_S8_S8_S8_S8_S8_S8_EEEEZNS1_11reduce_implILb1ES3_NS6_12zip_iteratorINS7_INS6_11hip_rocprim26transform_input_iterator_tIbNSD_35transform_pair_of_input_iterators_tIbNS6_6detail15normal_iteratorINS6_10device_ptrIKyEEEESL_NS6_8equal_toIyEEEENSG_9not_fun_tINSD_8identityEEEEENSD_19counting_iterator_tIlEES8_S8_S8_S8_S8_S8_S8_S8_EEEEPS9_S9_NSD_9__find_if7functorIS9_EEEE10hipError_tPvRmT1_T2_T3_mT4_P12ihipStream_tbEUlT_E1_NS1_11comp_targetILNS1_3genE2ELNS1_11target_archE906ELNS1_3gpuE6ELNS1_3repE0EEENS1_30default_config_static_selectorELNS0_4arch9wavefront6targetE0EEEvS14_.numbered_sgpr, 0
	.set _ZN7rocprim17ROCPRIM_400000_NS6detail17trampoline_kernelINS0_14default_configENS1_22reduce_config_selectorIN6thrust23THRUST_200600_302600_NS5tupleIblNS6_9null_typeES8_S8_S8_S8_S8_S8_S8_EEEEZNS1_11reduce_implILb1ES3_NS6_12zip_iteratorINS7_INS6_11hip_rocprim26transform_input_iterator_tIbNSD_35transform_pair_of_input_iterators_tIbNS6_6detail15normal_iteratorINS6_10device_ptrIKyEEEESL_NS6_8equal_toIyEEEENSG_9not_fun_tINSD_8identityEEEEENSD_19counting_iterator_tIlEES8_S8_S8_S8_S8_S8_S8_S8_EEEEPS9_S9_NSD_9__find_if7functorIS9_EEEE10hipError_tPvRmT1_T2_T3_mT4_P12ihipStream_tbEUlT_E1_NS1_11comp_targetILNS1_3genE2ELNS1_11target_archE906ELNS1_3gpuE6ELNS1_3repE0EEENS1_30default_config_static_selectorELNS0_4arch9wavefront6targetE0EEEvS14_.num_named_barrier, 0
	.set _ZN7rocprim17ROCPRIM_400000_NS6detail17trampoline_kernelINS0_14default_configENS1_22reduce_config_selectorIN6thrust23THRUST_200600_302600_NS5tupleIblNS6_9null_typeES8_S8_S8_S8_S8_S8_S8_EEEEZNS1_11reduce_implILb1ES3_NS6_12zip_iteratorINS7_INS6_11hip_rocprim26transform_input_iterator_tIbNSD_35transform_pair_of_input_iterators_tIbNS6_6detail15normal_iteratorINS6_10device_ptrIKyEEEESL_NS6_8equal_toIyEEEENSG_9not_fun_tINSD_8identityEEEEENSD_19counting_iterator_tIlEES8_S8_S8_S8_S8_S8_S8_S8_EEEEPS9_S9_NSD_9__find_if7functorIS9_EEEE10hipError_tPvRmT1_T2_T3_mT4_P12ihipStream_tbEUlT_E1_NS1_11comp_targetILNS1_3genE2ELNS1_11target_archE906ELNS1_3gpuE6ELNS1_3repE0EEENS1_30default_config_static_selectorELNS0_4arch9wavefront6targetE0EEEvS14_.private_seg_size, 0
	.set _ZN7rocprim17ROCPRIM_400000_NS6detail17trampoline_kernelINS0_14default_configENS1_22reduce_config_selectorIN6thrust23THRUST_200600_302600_NS5tupleIblNS6_9null_typeES8_S8_S8_S8_S8_S8_S8_EEEEZNS1_11reduce_implILb1ES3_NS6_12zip_iteratorINS7_INS6_11hip_rocprim26transform_input_iterator_tIbNSD_35transform_pair_of_input_iterators_tIbNS6_6detail15normal_iteratorINS6_10device_ptrIKyEEEESL_NS6_8equal_toIyEEEENSG_9not_fun_tINSD_8identityEEEEENSD_19counting_iterator_tIlEES8_S8_S8_S8_S8_S8_S8_S8_EEEEPS9_S9_NSD_9__find_if7functorIS9_EEEE10hipError_tPvRmT1_T2_T3_mT4_P12ihipStream_tbEUlT_E1_NS1_11comp_targetILNS1_3genE2ELNS1_11target_archE906ELNS1_3gpuE6ELNS1_3repE0EEENS1_30default_config_static_selectorELNS0_4arch9wavefront6targetE0EEEvS14_.uses_vcc, 0
	.set _ZN7rocprim17ROCPRIM_400000_NS6detail17trampoline_kernelINS0_14default_configENS1_22reduce_config_selectorIN6thrust23THRUST_200600_302600_NS5tupleIblNS6_9null_typeES8_S8_S8_S8_S8_S8_S8_EEEEZNS1_11reduce_implILb1ES3_NS6_12zip_iteratorINS7_INS6_11hip_rocprim26transform_input_iterator_tIbNSD_35transform_pair_of_input_iterators_tIbNS6_6detail15normal_iteratorINS6_10device_ptrIKyEEEESL_NS6_8equal_toIyEEEENSG_9not_fun_tINSD_8identityEEEEENSD_19counting_iterator_tIlEES8_S8_S8_S8_S8_S8_S8_S8_EEEEPS9_S9_NSD_9__find_if7functorIS9_EEEE10hipError_tPvRmT1_T2_T3_mT4_P12ihipStream_tbEUlT_E1_NS1_11comp_targetILNS1_3genE2ELNS1_11target_archE906ELNS1_3gpuE6ELNS1_3repE0EEENS1_30default_config_static_selectorELNS0_4arch9wavefront6targetE0EEEvS14_.uses_flat_scratch, 0
	.set _ZN7rocprim17ROCPRIM_400000_NS6detail17trampoline_kernelINS0_14default_configENS1_22reduce_config_selectorIN6thrust23THRUST_200600_302600_NS5tupleIblNS6_9null_typeES8_S8_S8_S8_S8_S8_S8_EEEEZNS1_11reduce_implILb1ES3_NS6_12zip_iteratorINS7_INS6_11hip_rocprim26transform_input_iterator_tIbNSD_35transform_pair_of_input_iterators_tIbNS6_6detail15normal_iteratorINS6_10device_ptrIKyEEEESL_NS6_8equal_toIyEEEENSG_9not_fun_tINSD_8identityEEEEENSD_19counting_iterator_tIlEES8_S8_S8_S8_S8_S8_S8_S8_EEEEPS9_S9_NSD_9__find_if7functorIS9_EEEE10hipError_tPvRmT1_T2_T3_mT4_P12ihipStream_tbEUlT_E1_NS1_11comp_targetILNS1_3genE2ELNS1_11target_archE906ELNS1_3gpuE6ELNS1_3repE0EEENS1_30default_config_static_selectorELNS0_4arch9wavefront6targetE0EEEvS14_.has_dyn_sized_stack, 0
	.set _ZN7rocprim17ROCPRIM_400000_NS6detail17trampoline_kernelINS0_14default_configENS1_22reduce_config_selectorIN6thrust23THRUST_200600_302600_NS5tupleIblNS6_9null_typeES8_S8_S8_S8_S8_S8_S8_EEEEZNS1_11reduce_implILb1ES3_NS6_12zip_iteratorINS7_INS6_11hip_rocprim26transform_input_iterator_tIbNSD_35transform_pair_of_input_iterators_tIbNS6_6detail15normal_iteratorINS6_10device_ptrIKyEEEESL_NS6_8equal_toIyEEEENSG_9not_fun_tINSD_8identityEEEEENSD_19counting_iterator_tIlEES8_S8_S8_S8_S8_S8_S8_S8_EEEEPS9_S9_NSD_9__find_if7functorIS9_EEEE10hipError_tPvRmT1_T2_T3_mT4_P12ihipStream_tbEUlT_E1_NS1_11comp_targetILNS1_3genE2ELNS1_11target_archE906ELNS1_3gpuE6ELNS1_3repE0EEENS1_30default_config_static_selectorELNS0_4arch9wavefront6targetE0EEEvS14_.has_recursion, 0
	.set _ZN7rocprim17ROCPRIM_400000_NS6detail17trampoline_kernelINS0_14default_configENS1_22reduce_config_selectorIN6thrust23THRUST_200600_302600_NS5tupleIblNS6_9null_typeES8_S8_S8_S8_S8_S8_S8_EEEEZNS1_11reduce_implILb1ES3_NS6_12zip_iteratorINS7_INS6_11hip_rocprim26transform_input_iterator_tIbNSD_35transform_pair_of_input_iterators_tIbNS6_6detail15normal_iteratorINS6_10device_ptrIKyEEEESL_NS6_8equal_toIyEEEENSG_9not_fun_tINSD_8identityEEEEENSD_19counting_iterator_tIlEES8_S8_S8_S8_S8_S8_S8_S8_EEEEPS9_S9_NSD_9__find_if7functorIS9_EEEE10hipError_tPvRmT1_T2_T3_mT4_P12ihipStream_tbEUlT_E1_NS1_11comp_targetILNS1_3genE2ELNS1_11target_archE906ELNS1_3gpuE6ELNS1_3repE0EEENS1_30default_config_static_selectorELNS0_4arch9wavefront6targetE0EEEvS14_.has_indirect_call, 0
	.section	.AMDGPU.csdata,"",@progbits
; Kernel info:
; codeLenInByte = 0
; TotalNumSgprs: 0
; NumVgprs: 0
; ScratchSize: 0
; MemoryBound: 0
; FloatMode: 240
; IeeeMode: 1
; LDSByteSize: 0 bytes/workgroup (compile time only)
; SGPRBlocks: 0
; VGPRBlocks: 0
; NumSGPRsForWavesPerEU: 1
; NumVGPRsForWavesPerEU: 1
; Occupancy: 16
; WaveLimiterHint : 0
; COMPUTE_PGM_RSRC2:SCRATCH_EN: 0
; COMPUTE_PGM_RSRC2:USER_SGPR: 6
; COMPUTE_PGM_RSRC2:TRAP_HANDLER: 0
; COMPUTE_PGM_RSRC2:TGID_X_EN: 1
; COMPUTE_PGM_RSRC2:TGID_Y_EN: 0
; COMPUTE_PGM_RSRC2:TGID_Z_EN: 0
; COMPUTE_PGM_RSRC2:TIDIG_COMP_CNT: 0
	.section	.text._ZN7rocprim17ROCPRIM_400000_NS6detail17trampoline_kernelINS0_14default_configENS1_22reduce_config_selectorIN6thrust23THRUST_200600_302600_NS5tupleIblNS6_9null_typeES8_S8_S8_S8_S8_S8_S8_EEEEZNS1_11reduce_implILb1ES3_NS6_12zip_iteratorINS7_INS6_11hip_rocprim26transform_input_iterator_tIbNSD_35transform_pair_of_input_iterators_tIbNS6_6detail15normal_iteratorINS6_10device_ptrIKyEEEESL_NS6_8equal_toIyEEEENSG_9not_fun_tINSD_8identityEEEEENSD_19counting_iterator_tIlEES8_S8_S8_S8_S8_S8_S8_S8_EEEEPS9_S9_NSD_9__find_if7functorIS9_EEEE10hipError_tPvRmT1_T2_T3_mT4_P12ihipStream_tbEUlT_E1_NS1_11comp_targetILNS1_3genE10ELNS1_11target_archE1201ELNS1_3gpuE5ELNS1_3repE0EEENS1_30default_config_static_selectorELNS0_4arch9wavefront6targetE0EEEvS14_,"axG",@progbits,_ZN7rocprim17ROCPRIM_400000_NS6detail17trampoline_kernelINS0_14default_configENS1_22reduce_config_selectorIN6thrust23THRUST_200600_302600_NS5tupleIblNS6_9null_typeES8_S8_S8_S8_S8_S8_S8_EEEEZNS1_11reduce_implILb1ES3_NS6_12zip_iteratorINS7_INS6_11hip_rocprim26transform_input_iterator_tIbNSD_35transform_pair_of_input_iterators_tIbNS6_6detail15normal_iteratorINS6_10device_ptrIKyEEEESL_NS6_8equal_toIyEEEENSG_9not_fun_tINSD_8identityEEEEENSD_19counting_iterator_tIlEES8_S8_S8_S8_S8_S8_S8_S8_EEEEPS9_S9_NSD_9__find_if7functorIS9_EEEE10hipError_tPvRmT1_T2_T3_mT4_P12ihipStream_tbEUlT_E1_NS1_11comp_targetILNS1_3genE10ELNS1_11target_archE1201ELNS1_3gpuE5ELNS1_3repE0EEENS1_30default_config_static_selectorELNS0_4arch9wavefront6targetE0EEEvS14_,comdat
	.protected	_ZN7rocprim17ROCPRIM_400000_NS6detail17trampoline_kernelINS0_14default_configENS1_22reduce_config_selectorIN6thrust23THRUST_200600_302600_NS5tupleIblNS6_9null_typeES8_S8_S8_S8_S8_S8_S8_EEEEZNS1_11reduce_implILb1ES3_NS6_12zip_iteratorINS7_INS6_11hip_rocprim26transform_input_iterator_tIbNSD_35transform_pair_of_input_iterators_tIbNS6_6detail15normal_iteratorINS6_10device_ptrIKyEEEESL_NS6_8equal_toIyEEEENSG_9not_fun_tINSD_8identityEEEEENSD_19counting_iterator_tIlEES8_S8_S8_S8_S8_S8_S8_S8_EEEEPS9_S9_NSD_9__find_if7functorIS9_EEEE10hipError_tPvRmT1_T2_T3_mT4_P12ihipStream_tbEUlT_E1_NS1_11comp_targetILNS1_3genE10ELNS1_11target_archE1201ELNS1_3gpuE5ELNS1_3repE0EEENS1_30default_config_static_selectorELNS0_4arch9wavefront6targetE0EEEvS14_ ; -- Begin function _ZN7rocprim17ROCPRIM_400000_NS6detail17trampoline_kernelINS0_14default_configENS1_22reduce_config_selectorIN6thrust23THRUST_200600_302600_NS5tupleIblNS6_9null_typeES8_S8_S8_S8_S8_S8_S8_EEEEZNS1_11reduce_implILb1ES3_NS6_12zip_iteratorINS7_INS6_11hip_rocprim26transform_input_iterator_tIbNSD_35transform_pair_of_input_iterators_tIbNS6_6detail15normal_iteratorINS6_10device_ptrIKyEEEESL_NS6_8equal_toIyEEEENSG_9not_fun_tINSD_8identityEEEEENSD_19counting_iterator_tIlEES8_S8_S8_S8_S8_S8_S8_S8_EEEEPS9_S9_NSD_9__find_if7functorIS9_EEEE10hipError_tPvRmT1_T2_T3_mT4_P12ihipStream_tbEUlT_E1_NS1_11comp_targetILNS1_3genE10ELNS1_11target_archE1201ELNS1_3gpuE5ELNS1_3repE0EEENS1_30default_config_static_selectorELNS0_4arch9wavefront6targetE0EEEvS14_
	.globl	_ZN7rocprim17ROCPRIM_400000_NS6detail17trampoline_kernelINS0_14default_configENS1_22reduce_config_selectorIN6thrust23THRUST_200600_302600_NS5tupleIblNS6_9null_typeES8_S8_S8_S8_S8_S8_S8_EEEEZNS1_11reduce_implILb1ES3_NS6_12zip_iteratorINS7_INS6_11hip_rocprim26transform_input_iterator_tIbNSD_35transform_pair_of_input_iterators_tIbNS6_6detail15normal_iteratorINS6_10device_ptrIKyEEEESL_NS6_8equal_toIyEEEENSG_9not_fun_tINSD_8identityEEEEENSD_19counting_iterator_tIlEES8_S8_S8_S8_S8_S8_S8_S8_EEEEPS9_S9_NSD_9__find_if7functorIS9_EEEE10hipError_tPvRmT1_T2_T3_mT4_P12ihipStream_tbEUlT_E1_NS1_11comp_targetILNS1_3genE10ELNS1_11target_archE1201ELNS1_3gpuE5ELNS1_3repE0EEENS1_30default_config_static_selectorELNS0_4arch9wavefront6targetE0EEEvS14_
	.p2align	8
	.type	_ZN7rocprim17ROCPRIM_400000_NS6detail17trampoline_kernelINS0_14default_configENS1_22reduce_config_selectorIN6thrust23THRUST_200600_302600_NS5tupleIblNS6_9null_typeES8_S8_S8_S8_S8_S8_S8_EEEEZNS1_11reduce_implILb1ES3_NS6_12zip_iteratorINS7_INS6_11hip_rocprim26transform_input_iterator_tIbNSD_35transform_pair_of_input_iterators_tIbNS6_6detail15normal_iteratorINS6_10device_ptrIKyEEEESL_NS6_8equal_toIyEEEENSG_9not_fun_tINSD_8identityEEEEENSD_19counting_iterator_tIlEES8_S8_S8_S8_S8_S8_S8_S8_EEEEPS9_S9_NSD_9__find_if7functorIS9_EEEE10hipError_tPvRmT1_T2_T3_mT4_P12ihipStream_tbEUlT_E1_NS1_11comp_targetILNS1_3genE10ELNS1_11target_archE1201ELNS1_3gpuE5ELNS1_3repE0EEENS1_30default_config_static_selectorELNS0_4arch9wavefront6targetE0EEEvS14_,@function
_ZN7rocprim17ROCPRIM_400000_NS6detail17trampoline_kernelINS0_14default_configENS1_22reduce_config_selectorIN6thrust23THRUST_200600_302600_NS5tupleIblNS6_9null_typeES8_S8_S8_S8_S8_S8_S8_EEEEZNS1_11reduce_implILb1ES3_NS6_12zip_iteratorINS7_INS6_11hip_rocprim26transform_input_iterator_tIbNSD_35transform_pair_of_input_iterators_tIbNS6_6detail15normal_iteratorINS6_10device_ptrIKyEEEESL_NS6_8equal_toIyEEEENSG_9not_fun_tINSD_8identityEEEEENSD_19counting_iterator_tIlEES8_S8_S8_S8_S8_S8_S8_S8_EEEEPS9_S9_NSD_9__find_if7functorIS9_EEEE10hipError_tPvRmT1_T2_T3_mT4_P12ihipStream_tbEUlT_E1_NS1_11comp_targetILNS1_3genE10ELNS1_11target_archE1201ELNS1_3gpuE5ELNS1_3repE0EEENS1_30default_config_static_selectorELNS0_4arch9wavefront6targetE0EEEvS14_: ; @_ZN7rocprim17ROCPRIM_400000_NS6detail17trampoline_kernelINS0_14default_configENS1_22reduce_config_selectorIN6thrust23THRUST_200600_302600_NS5tupleIblNS6_9null_typeES8_S8_S8_S8_S8_S8_S8_EEEEZNS1_11reduce_implILb1ES3_NS6_12zip_iteratorINS7_INS6_11hip_rocprim26transform_input_iterator_tIbNSD_35transform_pair_of_input_iterators_tIbNS6_6detail15normal_iteratorINS6_10device_ptrIKyEEEESL_NS6_8equal_toIyEEEENSG_9not_fun_tINSD_8identityEEEEENSD_19counting_iterator_tIlEES8_S8_S8_S8_S8_S8_S8_S8_EEEEPS9_S9_NSD_9__find_if7functorIS9_EEEE10hipError_tPvRmT1_T2_T3_mT4_P12ihipStream_tbEUlT_E1_NS1_11comp_targetILNS1_3genE10ELNS1_11target_archE1201ELNS1_3gpuE5ELNS1_3repE0EEENS1_30default_config_static_selectorELNS0_4arch9wavefront6targetE0EEEvS14_
; %bb.0:
	.section	.rodata,"a",@progbits
	.p2align	6, 0x0
	.amdhsa_kernel _ZN7rocprim17ROCPRIM_400000_NS6detail17trampoline_kernelINS0_14default_configENS1_22reduce_config_selectorIN6thrust23THRUST_200600_302600_NS5tupleIblNS6_9null_typeES8_S8_S8_S8_S8_S8_S8_EEEEZNS1_11reduce_implILb1ES3_NS6_12zip_iteratorINS7_INS6_11hip_rocprim26transform_input_iterator_tIbNSD_35transform_pair_of_input_iterators_tIbNS6_6detail15normal_iteratorINS6_10device_ptrIKyEEEESL_NS6_8equal_toIyEEEENSG_9not_fun_tINSD_8identityEEEEENSD_19counting_iterator_tIlEES8_S8_S8_S8_S8_S8_S8_S8_EEEEPS9_S9_NSD_9__find_if7functorIS9_EEEE10hipError_tPvRmT1_T2_T3_mT4_P12ihipStream_tbEUlT_E1_NS1_11comp_targetILNS1_3genE10ELNS1_11target_archE1201ELNS1_3gpuE5ELNS1_3repE0EEENS1_30default_config_static_selectorELNS0_4arch9wavefront6targetE0EEEvS14_
		.amdhsa_group_segment_fixed_size 0
		.amdhsa_private_segment_fixed_size 0
		.amdhsa_kernarg_size 88
		.amdhsa_user_sgpr_count 6
		.amdhsa_user_sgpr_private_segment_buffer 1
		.amdhsa_user_sgpr_dispatch_ptr 0
		.amdhsa_user_sgpr_queue_ptr 0
		.amdhsa_user_sgpr_kernarg_segment_ptr 1
		.amdhsa_user_sgpr_dispatch_id 0
		.amdhsa_user_sgpr_flat_scratch_init 0
		.amdhsa_user_sgpr_private_segment_size 0
		.amdhsa_wavefront_size32 1
		.amdhsa_uses_dynamic_stack 0
		.amdhsa_system_sgpr_private_segment_wavefront_offset 0
		.amdhsa_system_sgpr_workgroup_id_x 1
		.amdhsa_system_sgpr_workgroup_id_y 0
		.amdhsa_system_sgpr_workgroup_id_z 0
		.amdhsa_system_sgpr_workgroup_info 0
		.amdhsa_system_vgpr_workitem_id 0
		.amdhsa_next_free_vgpr 1
		.amdhsa_next_free_sgpr 1
		.amdhsa_reserve_vcc 0
		.amdhsa_reserve_flat_scratch 0
		.amdhsa_float_round_mode_32 0
		.amdhsa_float_round_mode_16_64 0
		.amdhsa_float_denorm_mode_32 3
		.amdhsa_float_denorm_mode_16_64 3
		.amdhsa_dx10_clamp 1
		.amdhsa_ieee_mode 1
		.amdhsa_fp16_overflow 0
		.amdhsa_workgroup_processor_mode 1
		.amdhsa_memory_ordered 1
		.amdhsa_forward_progress 1
		.amdhsa_shared_vgpr_count 0
		.amdhsa_exception_fp_ieee_invalid_op 0
		.amdhsa_exception_fp_denorm_src 0
		.amdhsa_exception_fp_ieee_div_zero 0
		.amdhsa_exception_fp_ieee_overflow 0
		.amdhsa_exception_fp_ieee_underflow 0
		.amdhsa_exception_fp_ieee_inexact 0
		.amdhsa_exception_int_div_zero 0
	.end_amdhsa_kernel
	.section	.text._ZN7rocprim17ROCPRIM_400000_NS6detail17trampoline_kernelINS0_14default_configENS1_22reduce_config_selectorIN6thrust23THRUST_200600_302600_NS5tupleIblNS6_9null_typeES8_S8_S8_S8_S8_S8_S8_EEEEZNS1_11reduce_implILb1ES3_NS6_12zip_iteratorINS7_INS6_11hip_rocprim26transform_input_iterator_tIbNSD_35transform_pair_of_input_iterators_tIbNS6_6detail15normal_iteratorINS6_10device_ptrIKyEEEESL_NS6_8equal_toIyEEEENSG_9not_fun_tINSD_8identityEEEEENSD_19counting_iterator_tIlEES8_S8_S8_S8_S8_S8_S8_S8_EEEEPS9_S9_NSD_9__find_if7functorIS9_EEEE10hipError_tPvRmT1_T2_T3_mT4_P12ihipStream_tbEUlT_E1_NS1_11comp_targetILNS1_3genE10ELNS1_11target_archE1201ELNS1_3gpuE5ELNS1_3repE0EEENS1_30default_config_static_selectorELNS0_4arch9wavefront6targetE0EEEvS14_,"axG",@progbits,_ZN7rocprim17ROCPRIM_400000_NS6detail17trampoline_kernelINS0_14default_configENS1_22reduce_config_selectorIN6thrust23THRUST_200600_302600_NS5tupleIblNS6_9null_typeES8_S8_S8_S8_S8_S8_S8_EEEEZNS1_11reduce_implILb1ES3_NS6_12zip_iteratorINS7_INS6_11hip_rocprim26transform_input_iterator_tIbNSD_35transform_pair_of_input_iterators_tIbNS6_6detail15normal_iteratorINS6_10device_ptrIKyEEEESL_NS6_8equal_toIyEEEENSG_9not_fun_tINSD_8identityEEEEENSD_19counting_iterator_tIlEES8_S8_S8_S8_S8_S8_S8_S8_EEEEPS9_S9_NSD_9__find_if7functorIS9_EEEE10hipError_tPvRmT1_T2_T3_mT4_P12ihipStream_tbEUlT_E1_NS1_11comp_targetILNS1_3genE10ELNS1_11target_archE1201ELNS1_3gpuE5ELNS1_3repE0EEENS1_30default_config_static_selectorELNS0_4arch9wavefront6targetE0EEEvS14_,comdat
.Lfunc_end121:
	.size	_ZN7rocprim17ROCPRIM_400000_NS6detail17trampoline_kernelINS0_14default_configENS1_22reduce_config_selectorIN6thrust23THRUST_200600_302600_NS5tupleIblNS6_9null_typeES8_S8_S8_S8_S8_S8_S8_EEEEZNS1_11reduce_implILb1ES3_NS6_12zip_iteratorINS7_INS6_11hip_rocprim26transform_input_iterator_tIbNSD_35transform_pair_of_input_iterators_tIbNS6_6detail15normal_iteratorINS6_10device_ptrIKyEEEESL_NS6_8equal_toIyEEEENSG_9not_fun_tINSD_8identityEEEEENSD_19counting_iterator_tIlEES8_S8_S8_S8_S8_S8_S8_S8_EEEEPS9_S9_NSD_9__find_if7functorIS9_EEEE10hipError_tPvRmT1_T2_T3_mT4_P12ihipStream_tbEUlT_E1_NS1_11comp_targetILNS1_3genE10ELNS1_11target_archE1201ELNS1_3gpuE5ELNS1_3repE0EEENS1_30default_config_static_selectorELNS0_4arch9wavefront6targetE0EEEvS14_, .Lfunc_end121-_ZN7rocprim17ROCPRIM_400000_NS6detail17trampoline_kernelINS0_14default_configENS1_22reduce_config_selectorIN6thrust23THRUST_200600_302600_NS5tupleIblNS6_9null_typeES8_S8_S8_S8_S8_S8_S8_EEEEZNS1_11reduce_implILb1ES3_NS6_12zip_iteratorINS7_INS6_11hip_rocprim26transform_input_iterator_tIbNSD_35transform_pair_of_input_iterators_tIbNS6_6detail15normal_iteratorINS6_10device_ptrIKyEEEESL_NS6_8equal_toIyEEEENSG_9not_fun_tINSD_8identityEEEEENSD_19counting_iterator_tIlEES8_S8_S8_S8_S8_S8_S8_S8_EEEEPS9_S9_NSD_9__find_if7functorIS9_EEEE10hipError_tPvRmT1_T2_T3_mT4_P12ihipStream_tbEUlT_E1_NS1_11comp_targetILNS1_3genE10ELNS1_11target_archE1201ELNS1_3gpuE5ELNS1_3repE0EEENS1_30default_config_static_selectorELNS0_4arch9wavefront6targetE0EEEvS14_
                                        ; -- End function
	.set _ZN7rocprim17ROCPRIM_400000_NS6detail17trampoline_kernelINS0_14default_configENS1_22reduce_config_selectorIN6thrust23THRUST_200600_302600_NS5tupleIblNS6_9null_typeES8_S8_S8_S8_S8_S8_S8_EEEEZNS1_11reduce_implILb1ES3_NS6_12zip_iteratorINS7_INS6_11hip_rocprim26transform_input_iterator_tIbNSD_35transform_pair_of_input_iterators_tIbNS6_6detail15normal_iteratorINS6_10device_ptrIKyEEEESL_NS6_8equal_toIyEEEENSG_9not_fun_tINSD_8identityEEEEENSD_19counting_iterator_tIlEES8_S8_S8_S8_S8_S8_S8_S8_EEEEPS9_S9_NSD_9__find_if7functorIS9_EEEE10hipError_tPvRmT1_T2_T3_mT4_P12ihipStream_tbEUlT_E1_NS1_11comp_targetILNS1_3genE10ELNS1_11target_archE1201ELNS1_3gpuE5ELNS1_3repE0EEENS1_30default_config_static_selectorELNS0_4arch9wavefront6targetE0EEEvS14_.num_vgpr, 0
	.set _ZN7rocprim17ROCPRIM_400000_NS6detail17trampoline_kernelINS0_14default_configENS1_22reduce_config_selectorIN6thrust23THRUST_200600_302600_NS5tupleIblNS6_9null_typeES8_S8_S8_S8_S8_S8_S8_EEEEZNS1_11reduce_implILb1ES3_NS6_12zip_iteratorINS7_INS6_11hip_rocprim26transform_input_iterator_tIbNSD_35transform_pair_of_input_iterators_tIbNS6_6detail15normal_iteratorINS6_10device_ptrIKyEEEESL_NS6_8equal_toIyEEEENSG_9not_fun_tINSD_8identityEEEEENSD_19counting_iterator_tIlEES8_S8_S8_S8_S8_S8_S8_S8_EEEEPS9_S9_NSD_9__find_if7functorIS9_EEEE10hipError_tPvRmT1_T2_T3_mT4_P12ihipStream_tbEUlT_E1_NS1_11comp_targetILNS1_3genE10ELNS1_11target_archE1201ELNS1_3gpuE5ELNS1_3repE0EEENS1_30default_config_static_selectorELNS0_4arch9wavefront6targetE0EEEvS14_.num_agpr, 0
	.set _ZN7rocprim17ROCPRIM_400000_NS6detail17trampoline_kernelINS0_14default_configENS1_22reduce_config_selectorIN6thrust23THRUST_200600_302600_NS5tupleIblNS6_9null_typeES8_S8_S8_S8_S8_S8_S8_EEEEZNS1_11reduce_implILb1ES3_NS6_12zip_iteratorINS7_INS6_11hip_rocprim26transform_input_iterator_tIbNSD_35transform_pair_of_input_iterators_tIbNS6_6detail15normal_iteratorINS6_10device_ptrIKyEEEESL_NS6_8equal_toIyEEEENSG_9not_fun_tINSD_8identityEEEEENSD_19counting_iterator_tIlEES8_S8_S8_S8_S8_S8_S8_S8_EEEEPS9_S9_NSD_9__find_if7functorIS9_EEEE10hipError_tPvRmT1_T2_T3_mT4_P12ihipStream_tbEUlT_E1_NS1_11comp_targetILNS1_3genE10ELNS1_11target_archE1201ELNS1_3gpuE5ELNS1_3repE0EEENS1_30default_config_static_selectorELNS0_4arch9wavefront6targetE0EEEvS14_.numbered_sgpr, 0
	.set _ZN7rocprim17ROCPRIM_400000_NS6detail17trampoline_kernelINS0_14default_configENS1_22reduce_config_selectorIN6thrust23THRUST_200600_302600_NS5tupleIblNS6_9null_typeES8_S8_S8_S8_S8_S8_S8_EEEEZNS1_11reduce_implILb1ES3_NS6_12zip_iteratorINS7_INS6_11hip_rocprim26transform_input_iterator_tIbNSD_35transform_pair_of_input_iterators_tIbNS6_6detail15normal_iteratorINS6_10device_ptrIKyEEEESL_NS6_8equal_toIyEEEENSG_9not_fun_tINSD_8identityEEEEENSD_19counting_iterator_tIlEES8_S8_S8_S8_S8_S8_S8_S8_EEEEPS9_S9_NSD_9__find_if7functorIS9_EEEE10hipError_tPvRmT1_T2_T3_mT4_P12ihipStream_tbEUlT_E1_NS1_11comp_targetILNS1_3genE10ELNS1_11target_archE1201ELNS1_3gpuE5ELNS1_3repE0EEENS1_30default_config_static_selectorELNS0_4arch9wavefront6targetE0EEEvS14_.num_named_barrier, 0
	.set _ZN7rocprim17ROCPRIM_400000_NS6detail17trampoline_kernelINS0_14default_configENS1_22reduce_config_selectorIN6thrust23THRUST_200600_302600_NS5tupleIblNS6_9null_typeES8_S8_S8_S8_S8_S8_S8_EEEEZNS1_11reduce_implILb1ES3_NS6_12zip_iteratorINS7_INS6_11hip_rocprim26transform_input_iterator_tIbNSD_35transform_pair_of_input_iterators_tIbNS6_6detail15normal_iteratorINS6_10device_ptrIKyEEEESL_NS6_8equal_toIyEEEENSG_9not_fun_tINSD_8identityEEEEENSD_19counting_iterator_tIlEES8_S8_S8_S8_S8_S8_S8_S8_EEEEPS9_S9_NSD_9__find_if7functorIS9_EEEE10hipError_tPvRmT1_T2_T3_mT4_P12ihipStream_tbEUlT_E1_NS1_11comp_targetILNS1_3genE10ELNS1_11target_archE1201ELNS1_3gpuE5ELNS1_3repE0EEENS1_30default_config_static_selectorELNS0_4arch9wavefront6targetE0EEEvS14_.private_seg_size, 0
	.set _ZN7rocprim17ROCPRIM_400000_NS6detail17trampoline_kernelINS0_14default_configENS1_22reduce_config_selectorIN6thrust23THRUST_200600_302600_NS5tupleIblNS6_9null_typeES8_S8_S8_S8_S8_S8_S8_EEEEZNS1_11reduce_implILb1ES3_NS6_12zip_iteratorINS7_INS6_11hip_rocprim26transform_input_iterator_tIbNSD_35transform_pair_of_input_iterators_tIbNS6_6detail15normal_iteratorINS6_10device_ptrIKyEEEESL_NS6_8equal_toIyEEEENSG_9not_fun_tINSD_8identityEEEEENSD_19counting_iterator_tIlEES8_S8_S8_S8_S8_S8_S8_S8_EEEEPS9_S9_NSD_9__find_if7functorIS9_EEEE10hipError_tPvRmT1_T2_T3_mT4_P12ihipStream_tbEUlT_E1_NS1_11comp_targetILNS1_3genE10ELNS1_11target_archE1201ELNS1_3gpuE5ELNS1_3repE0EEENS1_30default_config_static_selectorELNS0_4arch9wavefront6targetE0EEEvS14_.uses_vcc, 0
	.set _ZN7rocprim17ROCPRIM_400000_NS6detail17trampoline_kernelINS0_14default_configENS1_22reduce_config_selectorIN6thrust23THRUST_200600_302600_NS5tupleIblNS6_9null_typeES8_S8_S8_S8_S8_S8_S8_EEEEZNS1_11reduce_implILb1ES3_NS6_12zip_iteratorINS7_INS6_11hip_rocprim26transform_input_iterator_tIbNSD_35transform_pair_of_input_iterators_tIbNS6_6detail15normal_iteratorINS6_10device_ptrIKyEEEESL_NS6_8equal_toIyEEEENSG_9not_fun_tINSD_8identityEEEEENSD_19counting_iterator_tIlEES8_S8_S8_S8_S8_S8_S8_S8_EEEEPS9_S9_NSD_9__find_if7functorIS9_EEEE10hipError_tPvRmT1_T2_T3_mT4_P12ihipStream_tbEUlT_E1_NS1_11comp_targetILNS1_3genE10ELNS1_11target_archE1201ELNS1_3gpuE5ELNS1_3repE0EEENS1_30default_config_static_selectorELNS0_4arch9wavefront6targetE0EEEvS14_.uses_flat_scratch, 0
	.set _ZN7rocprim17ROCPRIM_400000_NS6detail17trampoline_kernelINS0_14default_configENS1_22reduce_config_selectorIN6thrust23THRUST_200600_302600_NS5tupleIblNS6_9null_typeES8_S8_S8_S8_S8_S8_S8_EEEEZNS1_11reduce_implILb1ES3_NS6_12zip_iteratorINS7_INS6_11hip_rocprim26transform_input_iterator_tIbNSD_35transform_pair_of_input_iterators_tIbNS6_6detail15normal_iteratorINS6_10device_ptrIKyEEEESL_NS6_8equal_toIyEEEENSG_9not_fun_tINSD_8identityEEEEENSD_19counting_iterator_tIlEES8_S8_S8_S8_S8_S8_S8_S8_EEEEPS9_S9_NSD_9__find_if7functorIS9_EEEE10hipError_tPvRmT1_T2_T3_mT4_P12ihipStream_tbEUlT_E1_NS1_11comp_targetILNS1_3genE10ELNS1_11target_archE1201ELNS1_3gpuE5ELNS1_3repE0EEENS1_30default_config_static_selectorELNS0_4arch9wavefront6targetE0EEEvS14_.has_dyn_sized_stack, 0
	.set _ZN7rocprim17ROCPRIM_400000_NS6detail17trampoline_kernelINS0_14default_configENS1_22reduce_config_selectorIN6thrust23THRUST_200600_302600_NS5tupleIblNS6_9null_typeES8_S8_S8_S8_S8_S8_S8_EEEEZNS1_11reduce_implILb1ES3_NS6_12zip_iteratorINS7_INS6_11hip_rocprim26transform_input_iterator_tIbNSD_35transform_pair_of_input_iterators_tIbNS6_6detail15normal_iteratorINS6_10device_ptrIKyEEEESL_NS6_8equal_toIyEEEENSG_9not_fun_tINSD_8identityEEEEENSD_19counting_iterator_tIlEES8_S8_S8_S8_S8_S8_S8_S8_EEEEPS9_S9_NSD_9__find_if7functorIS9_EEEE10hipError_tPvRmT1_T2_T3_mT4_P12ihipStream_tbEUlT_E1_NS1_11comp_targetILNS1_3genE10ELNS1_11target_archE1201ELNS1_3gpuE5ELNS1_3repE0EEENS1_30default_config_static_selectorELNS0_4arch9wavefront6targetE0EEEvS14_.has_recursion, 0
	.set _ZN7rocprim17ROCPRIM_400000_NS6detail17trampoline_kernelINS0_14default_configENS1_22reduce_config_selectorIN6thrust23THRUST_200600_302600_NS5tupleIblNS6_9null_typeES8_S8_S8_S8_S8_S8_S8_EEEEZNS1_11reduce_implILb1ES3_NS6_12zip_iteratorINS7_INS6_11hip_rocprim26transform_input_iterator_tIbNSD_35transform_pair_of_input_iterators_tIbNS6_6detail15normal_iteratorINS6_10device_ptrIKyEEEESL_NS6_8equal_toIyEEEENSG_9not_fun_tINSD_8identityEEEEENSD_19counting_iterator_tIlEES8_S8_S8_S8_S8_S8_S8_S8_EEEEPS9_S9_NSD_9__find_if7functorIS9_EEEE10hipError_tPvRmT1_T2_T3_mT4_P12ihipStream_tbEUlT_E1_NS1_11comp_targetILNS1_3genE10ELNS1_11target_archE1201ELNS1_3gpuE5ELNS1_3repE0EEENS1_30default_config_static_selectorELNS0_4arch9wavefront6targetE0EEEvS14_.has_indirect_call, 0
	.section	.AMDGPU.csdata,"",@progbits
; Kernel info:
; codeLenInByte = 0
; TotalNumSgprs: 0
; NumVgprs: 0
; ScratchSize: 0
; MemoryBound: 0
; FloatMode: 240
; IeeeMode: 1
; LDSByteSize: 0 bytes/workgroup (compile time only)
; SGPRBlocks: 0
; VGPRBlocks: 0
; NumSGPRsForWavesPerEU: 1
; NumVGPRsForWavesPerEU: 1
; Occupancy: 16
; WaveLimiterHint : 0
; COMPUTE_PGM_RSRC2:SCRATCH_EN: 0
; COMPUTE_PGM_RSRC2:USER_SGPR: 6
; COMPUTE_PGM_RSRC2:TRAP_HANDLER: 0
; COMPUTE_PGM_RSRC2:TGID_X_EN: 1
; COMPUTE_PGM_RSRC2:TGID_Y_EN: 0
; COMPUTE_PGM_RSRC2:TGID_Z_EN: 0
; COMPUTE_PGM_RSRC2:TIDIG_COMP_CNT: 0
	.section	.text._ZN7rocprim17ROCPRIM_400000_NS6detail17trampoline_kernelINS0_14default_configENS1_22reduce_config_selectorIN6thrust23THRUST_200600_302600_NS5tupleIblNS6_9null_typeES8_S8_S8_S8_S8_S8_S8_EEEEZNS1_11reduce_implILb1ES3_NS6_12zip_iteratorINS7_INS6_11hip_rocprim26transform_input_iterator_tIbNSD_35transform_pair_of_input_iterators_tIbNS6_6detail15normal_iteratorINS6_10device_ptrIKyEEEESL_NS6_8equal_toIyEEEENSG_9not_fun_tINSD_8identityEEEEENSD_19counting_iterator_tIlEES8_S8_S8_S8_S8_S8_S8_S8_EEEEPS9_S9_NSD_9__find_if7functorIS9_EEEE10hipError_tPvRmT1_T2_T3_mT4_P12ihipStream_tbEUlT_E1_NS1_11comp_targetILNS1_3genE10ELNS1_11target_archE1200ELNS1_3gpuE4ELNS1_3repE0EEENS1_30default_config_static_selectorELNS0_4arch9wavefront6targetE0EEEvS14_,"axG",@progbits,_ZN7rocprim17ROCPRIM_400000_NS6detail17trampoline_kernelINS0_14default_configENS1_22reduce_config_selectorIN6thrust23THRUST_200600_302600_NS5tupleIblNS6_9null_typeES8_S8_S8_S8_S8_S8_S8_EEEEZNS1_11reduce_implILb1ES3_NS6_12zip_iteratorINS7_INS6_11hip_rocprim26transform_input_iterator_tIbNSD_35transform_pair_of_input_iterators_tIbNS6_6detail15normal_iteratorINS6_10device_ptrIKyEEEESL_NS6_8equal_toIyEEEENSG_9not_fun_tINSD_8identityEEEEENSD_19counting_iterator_tIlEES8_S8_S8_S8_S8_S8_S8_S8_EEEEPS9_S9_NSD_9__find_if7functorIS9_EEEE10hipError_tPvRmT1_T2_T3_mT4_P12ihipStream_tbEUlT_E1_NS1_11comp_targetILNS1_3genE10ELNS1_11target_archE1200ELNS1_3gpuE4ELNS1_3repE0EEENS1_30default_config_static_selectorELNS0_4arch9wavefront6targetE0EEEvS14_,comdat
	.protected	_ZN7rocprim17ROCPRIM_400000_NS6detail17trampoline_kernelINS0_14default_configENS1_22reduce_config_selectorIN6thrust23THRUST_200600_302600_NS5tupleIblNS6_9null_typeES8_S8_S8_S8_S8_S8_S8_EEEEZNS1_11reduce_implILb1ES3_NS6_12zip_iteratorINS7_INS6_11hip_rocprim26transform_input_iterator_tIbNSD_35transform_pair_of_input_iterators_tIbNS6_6detail15normal_iteratorINS6_10device_ptrIKyEEEESL_NS6_8equal_toIyEEEENSG_9not_fun_tINSD_8identityEEEEENSD_19counting_iterator_tIlEES8_S8_S8_S8_S8_S8_S8_S8_EEEEPS9_S9_NSD_9__find_if7functorIS9_EEEE10hipError_tPvRmT1_T2_T3_mT4_P12ihipStream_tbEUlT_E1_NS1_11comp_targetILNS1_3genE10ELNS1_11target_archE1200ELNS1_3gpuE4ELNS1_3repE0EEENS1_30default_config_static_selectorELNS0_4arch9wavefront6targetE0EEEvS14_ ; -- Begin function _ZN7rocprim17ROCPRIM_400000_NS6detail17trampoline_kernelINS0_14default_configENS1_22reduce_config_selectorIN6thrust23THRUST_200600_302600_NS5tupleIblNS6_9null_typeES8_S8_S8_S8_S8_S8_S8_EEEEZNS1_11reduce_implILb1ES3_NS6_12zip_iteratorINS7_INS6_11hip_rocprim26transform_input_iterator_tIbNSD_35transform_pair_of_input_iterators_tIbNS6_6detail15normal_iteratorINS6_10device_ptrIKyEEEESL_NS6_8equal_toIyEEEENSG_9not_fun_tINSD_8identityEEEEENSD_19counting_iterator_tIlEES8_S8_S8_S8_S8_S8_S8_S8_EEEEPS9_S9_NSD_9__find_if7functorIS9_EEEE10hipError_tPvRmT1_T2_T3_mT4_P12ihipStream_tbEUlT_E1_NS1_11comp_targetILNS1_3genE10ELNS1_11target_archE1200ELNS1_3gpuE4ELNS1_3repE0EEENS1_30default_config_static_selectorELNS0_4arch9wavefront6targetE0EEEvS14_
	.globl	_ZN7rocprim17ROCPRIM_400000_NS6detail17trampoline_kernelINS0_14default_configENS1_22reduce_config_selectorIN6thrust23THRUST_200600_302600_NS5tupleIblNS6_9null_typeES8_S8_S8_S8_S8_S8_S8_EEEEZNS1_11reduce_implILb1ES3_NS6_12zip_iteratorINS7_INS6_11hip_rocprim26transform_input_iterator_tIbNSD_35transform_pair_of_input_iterators_tIbNS6_6detail15normal_iteratorINS6_10device_ptrIKyEEEESL_NS6_8equal_toIyEEEENSG_9not_fun_tINSD_8identityEEEEENSD_19counting_iterator_tIlEES8_S8_S8_S8_S8_S8_S8_S8_EEEEPS9_S9_NSD_9__find_if7functorIS9_EEEE10hipError_tPvRmT1_T2_T3_mT4_P12ihipStream_tbEUlT_E1_NS1_11comp_targetILNS1_3genE10ELNS1_11target_archE1200ELNS1_3gpuE4ELNS1_3repE0EEENS1_30default_config_static_selectorELNS0_4arch9wavefront6targetE0EEEvS14_
	.p2align	8
	.type	_ZN7rocprim17ROCPRIM_400000_NS6detail17trampoline_kernelINS0_14default_configENS1_22reduce_config_selectorIN6thrust23THRUST_200600_302600_NS5tupleIblNS6_9null_typeES8_S8_S8_S8_S8_S8_S8_EEEEZNS1_11reduce_implILb1ES3_NS6_12zip_iteratorINS7_INS6_11hip_rocprim26transform_input_iterator_tIbNSD_35transform_pair_of_input_iterators_tIbNS6_6detail15normal_iteratorINS6_10device_ptrIKyEEEESL_NS6_8equal_toIyEEEENSG_9not_fun_tINSD_8identityEEEEENSD_19counting_iterator_tIlEES8_S8_S8_S8_S8_S8_S8_S8_EEEEPS9_S9_NSD_9__find_if7functorIS9_EEEE10hipError_tPvRmT1_T2_T3_mT4_P12ihipStream_tbEUlT_E1_NS1_11comp_targetILNS1_3genE10ELNS1_11target_archE1200ELNS1_3gpuE4ELNS1_3repE0EEENS1_30default_config_static_selectorELNS0_4arch9wavefront6targetE0EEEvS14_,@function
_ZN7rocprim17ROCPRIM_400000_NS6detail17trampoline_kernelINS0_14default_configENS1_22reduce_config_selectorIN6thrust23THRUST_200600_302600_NS5tupleIblNS6_9null_typeES8_S8_S8_S8_S8_S8_S8_EEEEZNS1_11reduce_implILb1ES3_NS6_12zip_iteratorINS7_INS6_11hip_rocprim26transform_input_iterator_tIbNSD_35transform_pair_of_input_iterators_tIbNS6_6detail15normal_iteratorINS6_10device_ptrIKyEEEESL_NS6_8equal_toIyEEEENSG_9not_fun_tINSD_8identityEEEEENSD_19counting_iterator_tIlEES8_S8_S8_S8_S8_S8_S8_S8_EEEEPS9_S9_NSD_9__find_if7functorIS9_EEEE10hipError_tPvRmT1_T2_T3_mT4_P12ihipStream_tbEUlT_E1_NS1_11comp_targetILNS1_3genE10ELNS1_11target_archE1200ELNS1_3gpuE4ELNS1_3repE0EEENS1_30default_config_static_selectorELNS0_4arch9wavefront6targetE0EEEvS14_: ; @_ZN7rocprim17ROCPRIM_400000_NS6detail17trampoline_kernelINS0_14default_configENS1_22reduce_config_selectorIN6thrust23THRUST_200600_302600_NS5tupleIblNS6_9null_typeES8_S8_S8_S8_S8_S8_S8_EEEEZNS1_11reduce_implILb1ES3_NS6_12zip_iteratorINS7_INS6_11hip_rocprim26transform_input_iterator_tIbNSD_35transform_pair_of_input_iterators_tIbNS6_6detail15normal_iteratorINS6_10device_ptrIKyEEEESL_NS6_8equal_toIyEEEENSG_9not_fun_tINSD_8identityEEEEENSD_19counting_iterator_tIlEES8_S8_S8_S8_S8_S8_S8_S8_EEEEPS9_S9_NSD_9__find_if7functorIS9_EEEE10hipError_tPvRmT1_T2_T3_mT4_P12ihipStream_tbEUlT_E1_NS1_11comp_targetILNS1_3genE10ELNS1_11target_archE1200ELNS1_3gpuE4ELNS1_3repE0EEENS1_30default_config_static_selectorELNS0_4arch9wavefront6targetE0EEEvS14_
; %bb.0:
	.section	.rodata,"a",@progbits
	.p2align	6, 0x0
	.amdhsa_kernel _ZN7rocprim17ROCPRIM_400000_NS6detail17trampoline_kernelINS0_14default_configENS1_22reduce_config_selectorIN6thrust23THRUST_200600_302600_NS5tupleIblNS6_9null_typeES8_S8_S8_S8_S8_S8_S8_EEEEZNS1_11reduce_implILb1ES3_NS6_12zip_iteratorINS7_INS6_11hip_rocprim26transform_input_iterator_tIbNSD_35transform_pair_of_input_iterators_tIbNS6_6detail15normal_iteratorINS6_10device_ptrIKyEEEESL_NS6_8equal_toIyEEEENSG_9not_fun_tINSD_8identityEEEEENSD_19counting_iterator_tIlEES8_S8_S8_S8_S8_S8_S8_S8_EEEEPS9_S9_NSD_9__find_if7functorIS9_EEEE10hipError_tPvRmT1_T2_T3_mT4_P12ihipStream_tbEUlT_E1_NS1_11comp_targetILNS1_3genE10ELNS1_11target_archE1200ELNS1_3gpuE4ELNS1_3repE0EEENS1_30default_config_static_selectorELNS0_4arch9wavefront6targetE0EEEvS14_
		.amdhsa_group_segment_fixed_size 0
		.amdhsa_private_segment_fixed_size 0
		.amdhsa_kernarg_size 88
		.amdhsa_user_sgpr_count 6
		.amdhsa_user_sgpr_private_segment_buffer 1
		.amdhsa_user_sgpr_dispatch_ptr 0
		.amdhsa_user_sgpr_queue_ptr 0
		.amdhsa_user_sgpr_kernarg_segment_ptr 1
		.amdhsa_user_sgpr_dispatch_id 0
		.amdhsa_user_sgpr_flat_scratch_init 0
		.amdhsa_user_sgpr_private_segment_size 0
		.amdhsa_wavefront_size32 1
		.amdhsa_uses_dynamic_stack 0
		.amdhsa_system_sgpr_private_segment_wavefront_offset 0
		.amdhsa_system_sgpr_workgroup_id_x 1
		.amdhsa_system_sgpr_workgroup_id_y 0
		.amdhsa_system_sgpr_workgroup_id_z 0
		.amdhsa_system_sgpr_workgroup_info 0
		.amdhsa_system_vgpr_workitem_id 0
		.amdhsa_next_free_vgpr 1
		.amdhsa_next_free_sgpr 1
		.amdhsa_reserve_vcc 0
		.amdhsa_reserve_flat_scratch 0
		.amdhsa_float_round_mode_32 0
		.amdhsa_float_round_mode_16_64 0
		.amdhsa_float_denorm_mode_32 3
		.amdhsa_float_denorm_mode_16_64 3
		.amdhsa_dx10_clamp 1
		.amdhsa_ieee_mode 1
		.amdhsa_fp16_overflow 0
		.amdhsa_workgroup_processor_mode 1
		.amdhsa_memory_ordered 1
		.amdhsa_forward_progress 1
		.amdhsa_shared_vgpr_count 0
		.amdhsa_exception_fp_ieee_invalid_op 0
		.amdhsa_exception_fp_denorm_src 0
		.amdhsa_exception_fp_ieee_div_zero 0
		.amdhsa_exception_fp_ieee_overflow 0
		.amdhsa_exception_fp_ieee_underflow 0
		.amdhsa_exception_fp_ieee_inexact 0
		.amdhsa_exception_int_div_zero 0
	.end_amdhsa_kernel
	.section	.text._ZN7rocprim17ROCPRIM_400000_NS6detail17trampoline_kernelINS0_14default_configENS1_22reduce_config_selectorIN6thrust23THRUST_200600_302600_NS5tupleIblNS6_9null_typeES8_S8_S8_S8_S8_S8_S8_EEEEZNS1_11reduce_implILb1ES3_NS6_12zip_iteratorINS7_INS6_11hip_rocprim26transform_input_iterator_tIbNSD_35transform_pair_of_input_iterators_tIbNS6_6detail15normal_iteratorINS6_10device_ptrIKyEEEESL_NS6_8equal_toIyEEEENSG_9not_fun_tINSD_8identityEEEEENSD_19counting_iterator_tIlEES8_S8_S8_S8_S8_S8_S8_S8_EEEEPS9_S9_NSD_9__find_if7functorIS9_EEEE10hipError_tPvRmT1_T2_T3_mT4_P12ihipStream_tbEUlT_E1_NS1_11comp_targetILNS1_3genE10ELNS1_11target_archE1200ELNS1_3gpuE4ELNS1_3repE0EEENS1_30default_config_static_selectorELNS0_4arch9wavefront6targetE0EEEvS14_,"axG",@progbits,_ZN7rocprim17ROCPRIM_400000_NS6detail17trampoline_kernelINS0_14default_configENS1_22reduce_config_selectorIN6thrust23THRUST_200600_302600_NS5tupleIblNS6_9null_typeES8_S8_S8_S8_S8_S8_S8_EEEEZNS1_11reduce_implILb1ES3_NS6_12zip_iteratorINS7_INS6_11hip_rocprim26transform_input_iterator_tIbNSD_35transform_pair_of_input_iterators_tIbNS6_6detail15normal_iteratorINS6_10device_ptrIKyEEEESL_NS6_8equal_toIyEEEENSG_9not_fun_tINSD_8identityEEEEENSD_19counting_iterator_tIlEES8_S8_S8_S8_S8_S8_S8_S8_EEEEPS9_S9_NSD_9__find_if7functorIS9_EEEE10hipError_tPvRmT1_T2_T3_mT4_P12ihipStream_tbEUlT_E1_NS1_11comp_targetILNS1_3genE10ELNS1_11target_archE1200ELNS1_3gpuE4ELNS1_3repE0EEENS1_30default_config_static_selectorELNS0_4arch9wavefront6targetE0EEEvS14_,comdat
.Lfunc_end122:
	.size	_ZN7rocprim17ROCPRIM_400000_NS6detail17trampoline_kernelINS0_14default_configENS1_22reduce_config_selectorIN6thrust23THRUST_200600_302600_NS5tupleIblNS6_9null_typeES8_S8_S8_S8_S8_S8_S8_EEEEZNS1_11reduce_implILb1ES3_NS6_12zip_iteratorINS7_INS6_11hip_rocprim26transform_input_iterator_tIbNSD_35transform_pair_of_input_iterators_tIbNS6_6detail15normal_iteratorINS6_10device_ptrIKyEEEESL_NS6_8equal_toIyEEEENSG_9not_fun_tINSD_8identityEEEEENSD_19counting_iterator_tIlEES8_S8_S8_S8_S8_S8_S8_S8_EEEEPS9_S9_NSD_9__find_if7functorIS9_EEEE10hipError_tPvRmT1_T2_T3_mT4_P12ihipStream_tbEUlT_E1_NS1_11comp_targetILNS1_3genE10ELNS1_11target_archE1200ELNS1_3gpuE4ELNS1_3repE0EEENS1_30default_config_static_selectorELNS0_4arch9wavefront6targetE0EEEvS14_, .Lfunc_end122-_ZN7rocprim17ROCPRIM_400000_NS6detail17trampoline_kernelINS0_14default_configENS1_22reduce_config_selectorIN6thrust23THRUST_200600_302600_NS5tupleIblNS6_9null_typeES8_S8_S8_S8_S8_S8_S8_EEEEZNS1_11reduce_implILb1ES3_NS6_12zip_iteratorINS7_INS6_11hip_rocprim26transform_input_iterator_tIbNSD_35transform_pair_of_input_iterators_tIbNS6_6detail15normal_iteratorINS6_10device_ptrIKyEEEESL_NS6_8equal_toIyEEEENSG_9not_fun_tINSD_8identityEEEEENSD_19counting_iterator_tIlEES8_S8_S8_S8_S8_S8_S8_S8_EEEEPS9_S9_NSD_9__find_if7functorIS9_EEEE10hipError_tPvRmT1_T2_T3_mT4_P12ihipStream_tbEUlT_E1_NS1_11comp_targetILNS1_3genE10ELNS1_11target_archE1200ELNS1_3gpuE4ELNS1_3repE0EEENS1_30default_config_static_selectorELNS0_4arch9wavefront6targetE0EEEvS14_
                                        ; -- End function
	.set _ZN7rocprim17ROCPRIM_400000_NS6detail17trampoline_kernelINS0_14default_configENS1_22reduce_config_selectorIN6thrust23THRUST_200600_302600_NS5tupleIblNS6_9null_typeES8_S8_S8_S8_S8_S8_S8_EEEEZNS1_11reduce_implILb1ES3_NS6_12zip_iteratorINS7_INS6_11hip_rocprim26transform_input_iterator_tIbNSD_35transform_pair_of_input_iterators_tIbNS6_6detail15normal_iteratorINS6_10device_ptrIKyEEEESL_NS6_8equal_toIyEEEENSG_9not_fun_tINSD_8identityEEEEENSD_19counting_iterator_tIlEES8_S8_S8_S8_S8_S8_S8_S8_EEEEPS9_S9_NSD_9__find_if7functorIS9_EEEE10hipError_tPvRmT1_T2_T3_mT4_P12ihipStream_tbEUlT_E1_NS1_11comp_targetILNS1_3genE10ELNS1_11target_archE1200ELNS1_3gpuE4ELNS1_3repE0EEENS1_30default_config_static_selectorELNS0_4arch9wavefront6targetE0EEEvS14_.num_vgpr, 0
	.set _ZN7rocprim17ROCPRIM_400000_NS6detail17trampoline_kernelINS0_14default_configENS1_22reduce_config_selectorIN6thrust23THRUST_200600_302600_NS5tupleIblNS6_9null_typeES8_S8_S8_S8_S8_S8_S8_EEEEZNS1_11reduce_implILb1ES3_NS6_12zip_iteratorINS7_INS6_11hip_rocprim26transform_input_iterator_tIbNSD_35transform_pair_of_input_iterators_tIbNS6_6detail15normal_iteratorINS6_10device_ptrIKyEEEESL_NS6_8equal_toIyEEEENSG_9not_fun_tINSD_8identityEEEEENSD_19counting_iterator_tIlEES8_S8_S8_S8_S8_S8_S8_S8_EEEEPS9_S9_NSD_9__find_if7functorIS9_EEEE10hipError_tPvRmT1_T2_T3_mT4_P12ihipStream_tbEUlT_E1_NS1_11comp_targetILNS1_3genE10ELNS1_11target_archE1200ELNS1_3gpuE4ELNS1_3repE0EEENS1_30default_config_static_selectorELNS0_4arch9wavefront6targetE0EEEvS14_.num_agpr, 0
	.set _ZN7rocprim17ROCPRIM_400000_NS6detail17trampoline_kernelINS0_14default_configENS1_22reduce_config_selectorIN6thrust23THRUST_200600_302600_NS5tupleIblNS6_9null_typeES8_S8_S8_S8_S8_S8_S8_EEEEZNS1_11reduce_implILb1ES3_NS6_12zip_iteratorINS7_INS6_11hip_rocprim26transform_input_iterator_tIbNSD_35transform_pair_of_input_iterators_tIbNS6_6detail15normal_iteratorINS6_10device_ptrIKyEEEESL_NS6_8equal_toIyEEEENSG_9not_fun_tINSD_8identityEEEEENSD_19counting_iterator_tIlEES8_S8_S8_S8_S8_S8_S8_S8_EEEEPS9_S9_NSD_9__find_if7functorIS9_EEEE10hipError_tPvRmT1_T2_T3_mT4_P12ihipStream_tbEUlT_E1_NS1_11comp_targetILNS1_3genE10ELNS1_11target_archE1200ELNS1_3gpuE4ELNS1_3repE0EEENS1_30default_config_static_selectorELNS0_4arch9wavefront6targetE0EEEvS14_.numbered_sgpr, 0
	.set _ZN7rocprim17ROCPRIM_400000_NS6detail17trampoline_kernelINS0_14default_configENS1_22reduce_config_selectorIN6thrust23THRUST_200600_302600_NS5tupleIblNS6_9null_typeES8_S8_S8_S8_S8_S8_S8_EEEEZNS1_11reduce_implILb1ES3_NS6_12zip_iteratorINS7_INS6_11hip_rocprim26transform_input_iterator_tIbNSD_35transform_pair_of_input_iterators_tIbNS6_6detail15normal_iteratorINS6_10device_ptrIKyEEEESL_NS6_8equal_toIyEEEENSG_9not_fun_tINSD_8identityEEEEENSD_19counting_iterator_tIlEES8_S8_S8_S8_S8_S8_S8_S8_EEEEPS9_S9_NSD_9__find_if7functorIS9_EEEE10hipError_tPvRmT1_T2_T3_mT4_P12ihipStream_tbEUlT_E1_NS1_11comp_targetILNS1_3genE10ELNS1_11target_archE1200ELNS1_3gpuE4ELNS1_3repE0EEENS1_30default_config_static_selectorELNS0_4arch9wavefront6targetE0EEEvS14_.num_named_barrier, 0
	.set _ZN7rocprim17ROCPRIM_400000_NS6detail17trampoline_kernelINS0_14default_configENS1_22reduce_config_selectorIN6thrust23THRUST_200600_302600_NS5tupleIblNS6_9null_typeES8_S8_S8_S8_S8_S8_S8_EEEEZNS1_11reduce_implILb1ES3_NS6_12zip_iteratorINS7_INS6_11hip_rocprim26transform_input_iterator_tIbNSD_35transform_pair_of_input_iterators_tIbNS6_6detail15normal_iteratorINS6_10device_ptrIKyEEEESL_NS6_8equal_toIyEEEENSG_9not_fun_tINSD_8identityEEEEENSD_19counting_iterator_tIlEES8_S8_S8_S8_S8_S8_S8_S8_EEEEPS9_S9_NSD_9__find_if7functorIS9_EEEE10hipError_tPvRmT1_T2_T3_mT4_P12ihipStream_tbEUlT_E1_NS1_11comp_targetILNS1_3genE10ELNS1_11target_archE1200ELNS1_3gpuE4ELNS1_3repE0EEENS1_30default_config_static_selectorELNS0_4arch9wavefront6targetE0EEEvS14_.private_seg_size, 0
	.set _ZN7rocprim17ROCPRIM_400000_NS6detail17trampoline_kernelINS0_14default_configENS1_22reduce_config_selectorIN6thrust23THRUST_200600_302600_NS5tupleIblNS6_9null_typeES8_S8_S8_S8_S8_S8_S8_EEEEZNS1_11reduce_implILb1ES3_NS6_12zip_iteratorINS7_INS6_11hip_rocprim26transform_input_iterator_tIbNSD_35transform_pair_of_input_iterators_tIbNS6_6detail15normal_iteratorINS6_10device_ptrIKyEEEESL_NS6_8equal_toIyEEEENSG_9not_fun_tINSD_8identityEEEEENSD_19counting_iterator_tIlEES8_S8_S8_S8_S8_S8_S8_S8_EEEEPS9_S9_NSD_9__find_if7functorIS9_EEEE10hipError_tPvRmT1_T2_T3_mT4_P12ihipStream_tbEUlT_E1_NS1_11comp_targetILNS1_3genE10ELNS1_11target_archE1200ELNS1_3gpuE4ELNS1_3repE0EEENS1_30default_config_static_selectorELNS0_4arch9wavefront6targetE0EEEvS14_.uses_vcc, 0
	.set _ZN7rocprim17ROCPRIM_400000_NS6detail17trampoline_kernelINS0_14default_configENS1_22reduce_config_selectorIN6thrust23THRUST_200600_302600_NS5tupleIblNS6_9null_typeES8_S8_S8_S8_S8_S8_S8_EEEEZNS1_11reduce_implILb1ES3_NS6_12zip_iteratorINS7_INS6_11hip_rocprim26transform_input_iterator_tIbNSD_35transform_pair_of_input_iterators_tIbNS6_6detail15normal_iteratorINS6_10device_ptrIKyEEEESL_NS6_8equal_toIyEEEENSG_9not_fun_tINSD_8identityEEEEENSD_19counting_iterator_tIlEES8_S8_S8_S8_S8_S8_S8_S8_EEEEPS9_S9_NSD_9__find_if7functorIS9_EEEE10hipError_tPvRmT1_T2_T3_mT4_P12ihipStream_tbEUlT_E1_NS1_11comp_targetILNS1_3genE10ELNS1_11target_archE1200ELNS1_3gpuE4ELNS1_3repE0EEENS1_30default_config_static_selectorELNS0_4arch9wavefront6targetE0EEEvS14_.uses_flat_scratch, 0
	.set _ZN7rocprim17ROCPRIM_400000_NS6detail17trampoline_kernelINS0_14default_configENS1_22reduce_config_selectorIN6thrust23THRUST_200600_302600_NS5tupleIblNS6_9null_typeES8_S8_S8_S8_S8_S8_S8_EEEEZNS1_11reduce_implILb1ES3_NS6_12zip_iteratorINS7_INS6_11hip_rocprim26transform_input_iterator_tIbNSD_35transform_pair_of_input_iterators_tIbNS6_6detail15normal_iteratorINS6_10device_ptrIKyEEEESL_NS6_8equal_toIyEEEENSG_9not_fun_tINSD_8identityEEEEENSD_19counting_iterator_tIlEES8_S8_S8_S8_S8_S8_S8_S8_EEEEPS9_S9_NSD_9__find_if7functorIS9_EEEE10hipError_tPvRmT1_T2_T3_mT4_P12ihipStream_tbEUlT_E1_NS1_11comp_targetILNS1_3genE10ELNS1_11target_archE1200ELNS1_3gpuE4ELNS1_3repE0EEENS1_30default_config_static_selectorELNS0_4arch9wavefront6targetE0EEEvS14_.has_dyn_sized_stack, 0
	.set _ZN7rocprim17ROCPRIM_400000_NS6detail17trampoline_kernelINS0_14default_configENS1_22reduce_config_selectorIN6thrust23THRUST_200600_302600_NS5tupleIblNS6_9null_typeES8_S8_S8_S8_S8_S8_S8_EEEEZNS1_11reduce_implILb1ES3_NS6_12zip_iteratorINS7_INS6_11hip_rocprim26transform_input_iterator_tIbNSD_35transform_pair_of_input_iterators_tIbNS6_6detail15normal_iteratorINS6_10device_ptrIKyEEEESL_NS6_8equal_toIyEEEENSG_9not_fun_tINSD_8identityEEEEENSD_19counting_iterator_tIlEES8_S8_S8_S8_S8_S8_S8_S8_EEEEPS9_S9_NSD_9__find_if7functorIS9_EEEE10hipError_tPvRmT1_T2_T3_mT4_P12ihipStream_tbEUlT_E1_NS1_11comp_targetILNS1_3genE10ELNS1_11target_archE1200ELNS1_3gpuE4ELNS1_3repE0EEENS1_30default_config_static_selectorELNS0_4arch9wavefront6targetE0EEEvS14_.has_recursion, 0
	.set _ZN7rocprim17ROCPRIM_400000_NS6detail17trampoline_kernelINS0_14default_configENS1_22reduce_config_selectorIN6thrust23THRUST_200600_302600_NS5tupleIblNS6_9null_typeES8_S8_S8_S8_S8_S8_S8_EEEEZNS1_11reduce_implILb1ES3_NS6_12zip_iteratorINS7_INS6_11hip_rocprim26transform_input_iterator_tIbNSD_35transform_pair_of_input_iterators_tIbNS6_6detail15normal_iteratorINS6_10device_ptrIKyEEEESL_NS6_8equal_toIyEEEENSG_9not_fun_tINSD_8identityEEEEENSD_19counting_iterator_tIlEES8_S8_S8_S8_S8_S8_S8_S8_EEEEPS9_S9_NSD_9__find_if7functorIS9_EEEE10hipError_tPvRmT1_T2_T3_mT4_P12ihipStream_tbEUlT_E1_NS1_11comp_targetILNS1_3genE10ELNS1_11target_archE1200ELNS1_3gpuE4ELNS1_3repE0EEENS1_30default_config_static_selectorELNS0_4arch9wavefront6targetE0EEEvS14_.has_indirect_call, 0
	.section	.AMDGPU.csdata,"",@progbits
; Kernel info:
; codeLenInByte = 0
; TotalNumSgprs: 0
; NumVgprs: 0
; ScratchSize: 0
; MemoryBound: 0
; FloatMode: 240
; IeeeMode: 1
; LDSByteSize: 0 bytes/workgroup (compile time only)
; SGPRBlocks: 0
; VGPRBlocks: 0
; NumSGPRsForWavesPerEU: 1
; NumVGPRsForWavesPerEU: 1
; Occupancy: 16
; WaveLimiterHint : 0
; COMPUTE_PGM_RSRC2:SCRATCH_EN: 0
; COMPUTE_PGM_RSRC2:USER_SGPR: 6
; COMPUTE_PGM_RSRC2:TRAP_HANDLER: 0
; COMPUTE_PGM_RSRC2:TGID_X_EN: 1
; COMPUTE_PGM_RSRC2:TGID_Y_EN: 0
; COMPUTE_PGM_RSRC2:TGID_Z_EN: 0
; COMPUTE_PGM_RSRC2:TIDIG_COMP_CNT: 0
	.section	.text._ZN7rocprim17ROCPRIM_400000_NS6detail17trampoline_kernelINS0_14default_configENS1_22reduce_config_selectorIN6thrust23THRUST_200600_302600_NS5tupleIblNS6_9null_typeES8_S8_S8_S8_S8_S8_S8_EEEEZNS1_11reduce_implILb1ES3_NS6_12zip_iteratorINS7_INS6_11hip_rocprim26transform_input_iterator_tIbNSD_35transform_pair_of_input_iterators_tIbNS6_6detail15normal_iteratorINS6_10device_ptrIKyEEEESL_NS6_8equal_toIyEEEENSG_9not_fun_tINSD_8identityEEEEENSD_19counting_iterator_tIlEES8_S8_S8_S8_S8_S8_S8_S8_EEEEPS9_S9_NSD_9__find_if7functorIS9_EEEE10hipError_tPvRmT1_T2_T3_mT4_P12ihipStream_tbEUlT_E1_NS1_11comp_targetILNS1_3genE9ELNS1_11target_archE1100ELNS1_3gpuE3ELNS1_3repE0EEENS1_30default_config_static_selectorELNS0_4arch9wavefront6targetE0EEEvS14_,"axG",@progbits,_ZN7rocprim17ROCPRIM_400000_NS6detail17trampoline_kernelINS0_14default_configENS1_22reduce_config_selectorIN6thrust23THRUST_200600_302600_NS5tupleIblNS6_9null_typeES8_S8_S8_S8_S8_S8_S8_EEEEZNS1_11reduce_implILb1ES3_NS6_12zip_iteratorINS7_INS6_11hip_rocprim26transform_input_iterator_tIbNSD_35transform_pair_of_input_iterators_tIbNS6_6detail15normal_iteratorINS6_10device_ptrIKyEEEESL_NS6_8equal_toIyEEEENSG_9not_fun_tINSD_8identityEEEEENSD_19counting_iterator_tIlEES8_S8_S8_S8_S8_S8_S8_S8_EEEEPS9_S9_NSD_9__find_if7functorIS9_EEEE10hipError_tPvRmT1_T2_T3_mT4_P12ihipStream_tbEUlT_E1_NS1_11comp_targetILNS1_3genE9ELNS1_11target_archE1100ELNS1_3gpuE3ELNS1_3repE0EEENS1_30default_config_static_selectorELNS0_4arch9wavefront6targetE0EEEvS14_,comdat
	.protected	_ZN7rocprim17ROCPRIM_400000_NS6detail17trampoline_kernelINS0_14default_configENS1_22reduce_config_selectorIN6thrust23THRUST_200600_302600_NS5tupleIblNS6_9null_typeES8_S8_S8_S8_S8_S8_S8_EEEEZNS1_11reduce_implILb1ES3_NS6_12zip_iteratorINS7_INS6_11hip_rocprim26transform_input_iterator_tIbNSD_35transform_pair_of_input_iterators_tIbNS6_6detail15normal_iteratorINS6_10device_ptrIKyEEEESL_NS6_8equal_toIyEEEENSG_9not_fun_tINSD_8identityEEEEENSD_19counting_iterator_tIlEES8_S8_S8_S8_S8_S8_S8_S8_EEEEPS9_S9_NSD_9__find_if7functorIS9_EEEE10hipError_tPvRmT1_T2_T3_mT4_P12ihipStream_tbEUlT_E1_NS1_11comp_targetILNS1_3genE9ELNS1_11target_archE1100ELNS1_3gpuE3ELNS1_3repE0EEENS1_30default_config_static_selectorELNS0_4arch9wavefront6targetE0EEEvS14_ ; -- Begin function _ZN7rocprim17ROCPRIM_400000_NS6detail17trampoline_kernelINS0_14default_configENS1_22reduce_config_selectorIN6thrust23THRUST_200600_302600_NS5tupleIblNS6_9null_typeES8_S8_S8_S8_S8_S8_S8_EEEEZNS1_11reduce_implILb1ES3_NS6_12zip_iteratorINS7_INS6_11hip_rocprim26transform_input_iterator_tIbNSD_35transform_pair_of_input_iterators_tIbNS6_6detail15normal_iteratorINS6_10device_ptrIKyEEEESL_NS6_8equal_toIyEEEENSG_9not_fun_tINSD_8identityEEEEENSD_19counting_iterator_tIlEES8_S8_S8_S8_S8_S8_S8_S8_EEEEPS9_S9_NSD_9__find_if7functorIS9_EEEE10hipError_tPvRmT1_T2_T3_mT4_P12ihipStream_tbEUlT_E1_NS1_11comp_targetILNS1_3genE9ELNS1_11target_archE1100ELNS1_3gpuE3ELNS1_3repE0EEENS1_30default_config_static_selectorELNS0_4arch9wavefront6targetE0EEEvS14_
	.globl	_ZN7rocprim17ROCPRIM_400000_NS6detail17trampoline_kernelINS0_14default_configENS1_22reduce_config_selectorIN6thrust23THRUST_200600_302600_NS5tupleIblNS6_9null_typeES8_S8_S8_S8_S8_S8_S8_EEEEZNS1_11reduce_implILb1ES3_NS6_12zip_iteratorINS7_INS6_11hip_rocprim26transform_input_iterator_tIbNSD_35transform_pair_of_input_iterators_tIbNS6_6detail15normal_iteratorINS6_10device_ptrIKyEEEESL_NS6_8equal_toIyEEEENSG_9not_fun_tINSD_8identityEEEEENSD_19counting_iterator_tIlEES8_S8_S8_S8_S8_S8_S8_S8_EEEEPS9_S9_NSD_9__find_if7functorIS9_EEEE10hipError_tPvRmT1_T2_T3_mT4_P12ihipStream_tbEUlT_E1_NS1_11comp_targetILNS1_3genE9ELNS1_11target_archE1100ELNS1_3gpuE3ELNS1_3repE0EEENS1_30default_config_static_selectorELNS0_4arch9wavefront6targetE0EEEvS14_
	.p2align	8
	.type	_ZN7rocprim17ROCPRIM_400000_NS6detail17trampoline_kernelINS0_14default_configENS1_22reduce_config_selectorIN6thrust23THRUST_200600_302600_NS5tupleIblNS6_9null_typeES8_S8_S8_S8_S8_S8_S8_EEEEZNS1_11reduce_implILb1ES3_NS6_12zip_iteratorINS7_INS6_11hip_rocprim26transform_input_iterator_tIbNSD_35transform_pair_of_input_iterators_tIbNS6_6detail15normal_iteratorINS6_10device_ptrIKyEEEESL_NS6_8equal_toIyEEEENSG_9not_fun_tINSD_8identityEEEEENSD_19counting_iterator_tIlEES8_S8_S8_S8_S8_S8_S8_S8_EEEEPS9_S9_NSD_9__find_if7functorIS9_EEEE10hipError_tPvRmT1_T2_T3_mT4_P12ihipStream_tbEUlT_E1_NS1_11comp_targetILNS1_3genE9ELNS1_11target_archE1100ELNS1_3gpuE3ELNS1_3repE0EEENS1_30default_config_static_selectorELNS0_4arch9wavefront6targetE0EEEvS14_,@function
_ZN7rocprim17ROCPRIM_400000_NS6detail17trampoline_kernelINS0_14default_configENS1_22reduce_config_selectorIN6thrust23THRUST_200600_302600_NS5tupleIblNS6_9null_typeES8_S8_S8_S8_S8_S8_S8_EEEEZNS1_11reduce_implILb1ES3_NS6_12zip_iteratorINS7_INS6_11hip_rocprim26transform_input_iterator_tIbNSD_35transform_pair_of_input_iterators_tIbNS6_6detail15normal_iteratorINS6_10device_ptrIKyEEEESL_NS6_8equal_toIyEEEENSG_9not_fun_tINSD_8identityEEEEENSD_19counting_iterator_tIlEES8_S8_S8_S8_S8_S8_S8_S8_EEEEPS9_S9_NSD_9__find_if7functorIS9_EEEE10hipError_tPvRmT1_T2_T3_mT4_P12ihipStream_tbEUlT_E1_NS1_11comp_targetILNS1_3genE9ELNS1_11target_archE1100ELNS1_3gpuE3ELNS1_3repE0EEENS1_30default_config_static_selectorELNS0_4arch9wavefront6targetE0EEEvS14_: ; @_ZN7rocprim17ROCPRIM_400000_NS6detail17trampoline_kernelINS0_14default_configENS1_22reduce_config_selectorIN6thrust23THRUST_200600_302600_NS5tupleIblNS6_9null_typeES8_S8_S8_S8_S8_S8_S8_EEEEZNS1_11reduce_implILb1ES3_NS6_12zip_iteratorINS7_INS6_11hip_rocprim26transform_input_iterator_tIbNSD_35transform_pair_of_input_iterators_tIbNS6_6detail15normal_iteratorINS6_10device_ptrIKyEEEESL_NS6_8equal_toIyEEEENSG_9not_fun_tINSD_8identityEEEEENSD_19counting_iterator_tIlEES8_S8_S8_S8_S8_S8_S8_S8_EEEEPS9_S9_NSD_9__find_if7functorIS9_EEEE10hipError_tPvRmT1_T2_T3_mT4_P12ihipStream_tbEUlT_E1_NS1_11comp_targetILNS1_3genE9ELNS1_11target_archE1100ELNS1_3gpuE3ELNS1_3repE0EEENS1_30default_config_static_selectorELNS0_4arch9wavefront6targetE0EEEvS14_
; %bb.0:
	.section	.rodata,"a",@progbits
	.p2align	6, 0x0
	.amdhsa_kernel _ZN7rocprim17ROCPRIM_400000_NS6detail17trampoline_kernelINS0_14default_configENS1_22reduce_config_selectorIN6thrust23THRUST_200600_302600_NS5tupleIblNS6_9null_typeES8_S8_S8_S8_S8_S8_S8_EEEEZNS1_11reduce_implILb1ES3_NS6_12zip_iteratorINS7_INS6_11hip_rocprim26transform_input_iterator_tIbNSD_35transform_pair_of_input_iterators_tIbNS6_6detail15normal_iteratorINS6_10device_ptrIKyEEEESL_NS6_8equal_toIyEEEENSG_9not_fun_tINSD_8identityEEEEENSD_19counting_iterator_tIlEES8_S8_S8_S8_S8_S8_S8_S8_EEEEPS9_S9_NSD_9__find_if7functorIS9_EEEE10hipError_tPvRmT1_T2_T3_mT4_P12ihipStream_tbEUlT_E1_NS1_11comp_targetILNS1_3genE9ELNS1_11target_archE1100ELNS1_3gpuE3ELNS1_3repE0EEENS1_30default_config_static_selectorELNS0_4arch9wavefront6targetE0EEEvS14_
		.amdhsa_group_segment_fixed_size 0
		.amdhsa_private_segment_fixed_size 0
		.amdhsa_kernarg_size 88
		.amdhsa_user_sgpr_count 6
		.amdhsa_user_sgpr_private_segment_buffer 1
		.amdhsa_user_sgpr_dispatch_ptr 0
		.amdhsa_user_sgpr_queue_ptr 0
		.amdhsa_user_sgpr_kernarg_segment_ptr 1
		.amdhsa_user_sgpr_dispatch_id 0
		.amdhsa_user_sgpr_flat_scratch_init 0
		.amdhsa_user_sgpr_private_segment_size 0
		.amdhsa_wavefront_size32 1
		.amdhsa_uses_dynamic_stack 0
		.amdhsa_system_sgpr_private_segment_wavefront_offset 0
		.amdhsa_system_sgpr_workgroup_id_x 1
		.amdhsa_system_sgpr_workgroup_id_y 0
		.amdhsa_system_sgpr_workgroup_id_z 0
		.amdhsa_system_sgpr_workgroup_info 0
		.amdhsa_system_vgpr_workitem_id 0
		.amdhsa_next_free_vgpr 1
		.amdhsa_next_free_sgpr 1
		.amdhsa_reserve_vcc 0
		.amdhsa_reserve_flat_scratch 0
		.amdhsa_float_round_mode_32 0
		.amdhsa_float_round_mode_16_64 0
		.amdhsa_float_denorm_mode_32 3
		.amdhsa_float_denorm_mode_16_64 3
		.amdhsa_dx10_clamp 1
		.amdhsa_ieee_mode 1
		.amdhsa_fp16_overflow 0
		.amdhsa_workgroup_processor_mode 1
		.amdhsa_memory_ordered 1
		.amdhsa_forward_progress 1
		.amdhsa_shared_vgpr_count 0
		.amdhsa_exception_fp_ieee_invalid_op 0
		.amdhsa_exception_fp_denorm_src 0
		.amdhsa_exception_fp_ieee_div_zero 0
		.amdhsa_exception_fp_ieee_overflow 0
		.amdhsa_exception_fp_ieee_underflow 0
		.amdhsa_exception_fp_ieee_inexact 0
		.amdhsa_exception_int_div_zero 0
	.end_amdhsa_kernel
	.section	.text._ZN7rocprim17ROCPRIM_400000_NS6detail17trampoline_kernelINS0_14default_configENS1_22reduce_config_selectorIN6thrust23THRUST_200600_302600_NS5tupleIblNS6_9null_typeES8_S8_S8_S8_S8_S8_S8_EEEEZNS1_11reduce_implILb1ES3_NS6_12zip_iteratorINS7_INS6_11hip_rocprim26transform_input_iterator_tIbNSD_35transform_pair_of_input_iterators_tIbNS6_6detail15normal_iteratorINS6_10device_ptrIKyEEEESL_NS6_8equal_toIyEEEENSG_9not_fun_tINSD_8identityEEEEENSD_19counting_iterator_tIlEES8_S8_S8_S8_S8_S8_S8_S8_EEEEPS9_S9_NSD_9__find_if7functorIS9_EEEE10hipError_tPvRmT1_T2_T3_mT4_P12ihipStream_tbEUlT_E1_NS1_11comp_targetILNS1_3genE9ELNS1_11target_archE1100ELNS1_3gpuE3ELNS1_3repE0EEENS1_30default_config_static_selectorELNS0_4arch9wavefront6targetE0EEEvS14_,"axG",@progbits,_ZN7rocprim17ROCPRIM_400000_NS6detail17trampoline_kernelINS0_14default_configENS1_22reduce_config_selectorIN6thrust23THRUST_200600_302600_NS5tupleIblNS6_9null_typeES8_S8_S8_S8_S8_S8_S8_EEEEZNS1_11reduce_implILb1ES3_NS6_12zip_iteratorINS7_INS6_11hip_rocprim26transform_input_iterator_tIbNSD_35transform_pair_of_input_iterators_tIbNS6_6detail15normal_iteratorINS6_10device_ptrIKyEEEESL_NS6_8equal_toIyEEEENSG_9not_fun_tINSD_8identityEEEEENSD_19counting_iterator_tIlEES8_S8_S8_S8_S8_S8_S8_S8_EEEEPS9_S9_NSD_9__find_if7functorIS9_EEEE10hipError_tPvRmT1_T2_T3_mT4_P12ihipStream_tbEUlT_E1_NS1_11comp_targetILNS1_3genE9ELNS1_11target_archE1100ELNS1_3gpuE3ELNS1_3repE0EEENS1_30default_config_static_selectorELNS0_4arch9wavefront6targetE0EEEvS14_,comdat
.Lfunc_end123:
	.size	_ZN7rocprim17ROCPRIM_400000_NS6detail17trampoline_kernelINS0_14default_configENS1_22reduce_config_selectorIN6thrust23THRUST_200600_302600_NS5tupleIblNS6_9null_typeES8_S8_S8_S8_S8_S8_S8_EEEEZNS1_11reduce_implILb1ES3_NS6_12zip_iteratorINS7_INS6_11hip_rocprim26transform_input_iterator_tIbNSD_35transform_pair_of_input_iterators_tIbNS6_6detail15normal_iteratorINS6_10device_ptrIKyEEEESL_NS6_8equal_toIyEEEENSG_9not_fun_tINSD_8identityEEEEENSD_19counting_iterator_tIlEES8_S8_S8_S8_S8_S8_S8_S8_EEEEPS9_S9_NSD_9__find_if7functorIS9_EEEE10hipError_tPvRmT1_T2_T3_mT4_P12ihipStream_tbEUlT_E1_NS1_11comp_targetILNS1_3genE9ELNS1_11target_archE1100ELNS1_3gpuE3ELNS1_3repE0EEENS1_30default_config_static_selectorELNS0_4arch9wavefront6targetE0EEEvS14_, .Lfunc_end123-_ZN7rocprim17ROCPRIM_400000_NS6detail17trampoline_kernelINS0_14default_configENS1_22reduce_config_selectorIN6thrust23THRUST_200600_302600_NS5tupleIblNS6_9null_typeES8_S8_S8_S8_S8_S8_S8_EEEEZNS1_11reduce_implILb1ES3_NS6_12zip_iteratorINS7_INS6_11hip_rocprim26transform_input_iterator_tIbNSD_35transform_pair_of_input_iterators_tIbNS6_6detail15normal_iteratorINS6_10device_ptrIKyEEEESL_NS6_8equal_toIyEEEENSG_9not_fun_tINSD_8identityEEEEENSD_19counting_iterator_tIlEES8_S8_S8_S8_S8_S8_S8_S8_EEEEPS9_S9_NSD_9__find_if7functorIS9_EEEE10hipError_tPvRmT1_T2_T3_mT4_P12ihipStream_tbEUlT_E1_NS1_11comp_targetILNS1_3genE9ELNS1_11target_archE1100ELNS1_3gpuE3ELNS1_3repE0EEENS1_30default_config_static_selectorELNS0_4arch9wavefront6targetE0EEEvS14_
                                        ; -- End function
	.set _ZN7rocprim17ROCPRIM_400000_NS6detail17trampoline_kernelINS0_14default_configENS1_22reduce_config_selectorIN6thrust23THRUST_200600_302600_NS5tupleIblNS6_9null_typeES8_S8_S8_S8_S8_S8_S8_EEEEZNS1_11reduce_implILb1ES3_NS6_12zip_iteratorINS7_INS6_11hip_rocprim26transform_input_iterator_tIbNSD_35transform_pair_of_input_iterators_tIbNS6_6detail15normal_iteratorINS6_10device_ptrIKyEEEESL_NS6_8equal_toIyEEEENSG_9not_fun_tINSD_8identityEEEEENSD_19counting_iterator_tIlEES8_S8_S8_S8_S8_S8_S8_S8_EEEEPS9_S9_NSD_9__find_if7functorIS9_EEEE10hipError_tPvRmT1_T2_T3_mT4_P12ihipStream_tbEUlT_E1_NS1_11comp_targetILNS1_3genE9ELNS1_11target_archE1100ELNS1_3gpuE3ELNS1_3repE0EEENS1_30default_config_static_selectorELNS0_4arch9wavefront6targetE0EEEvS14_.num_vgpr, 0
	.set _ZN7rocprim17ROCPRIM_400000_NS6detail17trampoline_kernelINS0_14default_configENS1_22reduce_config_selectorIN6thrust23THRUST_200600_302600_NS5tupleIblNS6_9null_typeES8_S8_S8_S8_S8_S8_S8_EEEEZNS1_11reduce_implILb1ES3_NS6_12zip_iteratorINS7_INS6_11hip_rocprim26transform_input_iterator_tIbNSD_35transform_pair_of_input_iterators_tIbNS6_6detail15normal_iteratorINS6_10device_ptrIKyEEEESL_NS6_8equal_toIyEEEENSG_9not_fun_tINSD_8identityEEEEENSD_19counting_iterator_tIlEES8_S8_S8_S8_S8_S8_S8_S8_EEEEPS9_S9_NSD_9__find_if7functorIS9_EEEE10hipError_tPvRmT1_T2_T3_mT4_P12ihipStream_tbEUlT_E1_NS1_11comp_targetILNS1_3genE9ELNS1_11target_archE1100ELNS1_3gpuE3ELNS1_3repE0EEENS1_30default_config_static_selectorELNS0_4arch9wavefront6targetE0EEEvS14_.num_agpr, 0
	.set _ZN7rocprim17ROCPRIM_400000_NS6detail17trampoline_kernelINS0_14default_configENS1_22reduce_config_selectorIN6thrust23THRUST_200600_302600_NS5tupleIblNS6_9null_typeES8_S8_S8_S8_S8_S8_S8_EEEEZNS1_11reduce_implILb1ES3_NS6_12zip_iteratorINS7_INS6_11hip_rocprim26transform_input_iterator_tIbNSD_35transform_pair_of_input_iterators_tIbNS6_6detail15normal_iteratorINS6_10device_ptrIKyEEEESL_NS6_8equal_toIyEEEENSG_9not_fun_tINSD_8identityEEEEENSD_19counting_iterator_tIlEES8_S8_S8_S8_S8_S8_S8_S8_EEEEPS9_S9_NSD_9__find_if7functorIS9_EEEE10hipError_tPvRmT1_T2_T3_mT4_P12ihipStream_tbEUlT_E1_NS1_11comp_targetILNS1_3genE9ELNS1_11target_archE1100ELNS1_3gpuE3ELNS1_3repE0EEENS1_30default_config_static_selectorELNS0_4arch9wavefront6targetE0EEEvS14_.numbered_sgpr, 0
	.set _ZN7rocprim17ROCPRIM_400000_NS6detail17trampoline_kernelINS0_14default_configENS1_22reduce_config_selectorIN6thrust23THRUST_200600_302600_NS5tupleIblNS6_9null_typeES8_S8_S8_S8_S8_S8_S8_EEEEZNS1_11reduce_implILb1ES3_NS6_12zip_iteratorINS7_INS6_11hip_rocprim26transform_input_iterator_tIbNSD_35transform_pair_of_input_iterators_tIbNS6_6detail15normal_iteratorINS6_10device_ptrIKyEEEESL_NS6_8equal_toIyEEEENSG_9not_fun_tINSD_8identityEEEEENSD_19counting_iterator_tIlEES8_S8_S8_S8_S8_S8_S8_S8_EEEEPS9_S9_NSD_9__find_if7functorIS9_EEEE10hipError_tPvRmT1_T2_T3_mT4_P12ihipStream_tbEUlT_E1_NS1_11comp_targetILNS1_3genE9ELNS1_11target_archE1100ELNS1_3gpuE3ELNS1_3repE0EEENS1_30default_config_static_selectorELNS0_4arch9wavefront6targetE0EEEvS14_.num_named_barrier, 0
	.set _ZN7rocprim17ROCPRIM_400000_NS6detail17trampoline_kernelINS0_14default_configENS1_22reduce_config_selectorIN6thrust23THRUST_200600_302600_NS5tupleIblNS6_9null_typeES8_S8_S8_S8_S8_S8_S8_EEEEZNS1_11reduce_implILb1ES3_NS6_12zip_iteratorINS7_INS6_11hip_rocprim26transform_input_iterator_tIbNSD_35transform_pair_of_input_iterators_tIbNS6_6detail15normal_iteratorINS6_10device_ptrIKyEEEESL_NS6_8equal_toIyEEEENSG_9not_fun_tINSD_8identityEEEEENSD_19counting_iterator_tIlEES8_S8_S8_S8_S8_S8_S8_S8_EEEEPS9_S9_NSD_9__find_if7functorIS9_EEEE10hipError_tPvRmT1_T2_T3_mT4_P12ihipStream_tbEUlT_E1_NS1_11comp_targetILNS1_3genE9ELNS1_11target_archE1100ELNS1_3gpuE3ELNS1_3repE0EEENS1_30default_config_static_selectorELNS0_4arch9wavefront6targetE0EEEvS14_.private_seg_size, 0
	.set _ZN7rocprim17ROCPRIM_400000_NS6detail17trampoline_kernelINS0_14default_configENS1_22reduce_config_selectorIN6thrust23THRUST_200600_302600_NS5tupleIblNS6_9null_typeES8_S8_S8_S8_S8_S8_S8_EEEEZNS1_11reduce_implILb1ES3_NS6_12zip_iteratorINS7_INS6_11hip_rocprim26transform_input_iterator_tIbNSD_35transform_pair_of_input_iterators_tIbNS6_6detail15normal_iteratorINS6_10device_ptrIKyEEEESL_NS6_8equal_toIyEEEENSG_9not_fun_tINSD_8identityEEEEENSD_19counting_iterator_tIlEES8_S8_S8_S8_S8_S8_S8_S8_EEEEPS9_S9_NSD_9__find_if7functorIS9_EEEE10hipError_tPvRmT1_T2_T3_mT4_P12ihipStream_tbEUlT_E1_NS1_11comp_targetILNS1_3genE9ELNS1_11target_archE1100ELNS1_3gpuE3ELNS1_3repE0EEENS1_30default_config_static_selectorELNS0_4arch9wavefront6targetE0EEEvS14_.uses_vcc, 0
	.set _ZN7rocprim17ROCPRIM_400000_NS6detail17trampoline_kernelINS0_14default_configENS1_22reduce_config_selectorIN6thrust23THRUST_200600_302600_NS5tupleIblNS6_9null_typeES8_S8_S8_S8_S8_S8_S8_EEEEZNS1_11reduce_implILb1ES3_NS6_12zip_iteratorINS7_INS6_11hip_rocprim26transform_input_iterator_tIbNSD_35transform_pair_of_input_iterators_tIbNS6_6detail15normal_iteratorINS6_10device_ptrIKyEEEESL_NS6_8equal_toIyEEEENSG_9not_fun_tINSD_8identityEEEEENSD_19counting_iterator_tIlEES8_S8_S8_S8_S8_S8_S8_S8_EEEEPS9_S9_NSD_9__find_if7functorIS9_EEEE10hipError_tPvRmT1_T2_T3_mT4_P12ihipStream_tbEUlT_E1_NS1_11comp_targetILNS1_3genE9ELNS1_11target_archE1100ELNS1_3gpuE3ELNS1_3repE0EEENS1_30default_config_static_selectorELNS0_4arch9wavefront6targetE0EEEvS14_.uses_flat_scratch, 0
	.set _ZN7rocprim17ROCPRIM_400000_NS6detail17trampoline_kernelINS0_14default_configENS1_22reduce_config_selectorIN6thrust23THRUST_200600_302600_NS5tupleIblNS6_9null_typeES8_S8_S8_S8_S8_S8_S8_EEEEZNS1_11reduce_implILb1ES3_NS6_12zip_iteratorINS7_INS6_11hip_rocprim26transform_input_iterator_tIbNSD_35transform_pair_of_input_iterators_tIbNS6_6detail15normal_iteratorINS6_10device_ptrIKyEEEESL_NS6_8equal_toIyEEEENSG_9not_fun_tINSD_8identityEEEEENSD_19counting_iterator_tIlEES8_S8_S8_S8_S8_S8_S8_S8_EEEEPS9_S9_NSD_9__find_if7functorIS9_EEEE10hipError_tPvRmT1_T2_T3_mT4_P12ihipStream_tbEUlT_E1_NS1_11comp_targetILNS1_3genE9ELNS1_11target_archE1100ELNS1_3gpuE3ELNS1_3repE0EEENS1_30default_config_static_selectorELNS0_4arch9wavefront6targetE0EEEvS14_.has_dyn_sized_stack, 0
	.set _ZN7rocprim17ROCPRIM_400000_NS6detail17trampoline_kernelINS0_14default_configENS1_22reduce_config_selectorIN6thrust23THRUST_200600_302600_NS5tupleIblNS6_9null_typeES8_S8_S8_S8_S8_S8_S8_EEEEZNS1_11reduce_implILb1ES3_NS6_12zip_iteratorINS7_INS6_11hip_rocprim26transform_input_iterator_tIbNSD_35transform_pair_of_input_iterators_tIbNS6_6detail15normal_iteratorINS6_10device_ptrIKyEEEESL_NS6_8equal_toIyEEEENSG_9not_fun_tINSD_8identityEEEEENSD_19counting_iterator_tIlEES8_S8_S8_S8_S8_S8_S8_S8_EEEEPS9_S9_NSD_9__find_if7functorIS9_EEEE10hipError_tPvRmT1_T2_T3_mT4_P12ihipStream_tbEUlT_E1_NS1_11comp_targetILNS1_3genE9ELNS1_11target_archE1100ELNS1_3gpuE3ELNS1_3repE0EEENS1_30default_config_static_selectorELNS0_4arch9wavefront6targetE0EEEvS14_.has_recursion, 0
	.set _ZN7rocprim17ROCPRIM_400000_NS6detail17trampoline_kernelINS0_14default_configENS1_22reduce_config_selectorIN6thrust23THRUST_200600_302600_NS5tupleIblNS6_9null_typeES8_S8_S8_S8_S8_S8_S8_EEEEZNS1_11reduce_implILb1ES3_NS6_12zip_iteratorINS7_INS6_11hip_rocprim26transform_input_iterator_tIbNSD_35transform_pair_of_input_iterators_tIbNS6_6detail15normal_iteratorINS6_10device_ptrIKyEEEESL_NS6_8equal_toIyEEEENSG_9not_fun_tINSD_8identityEEEEENSD_19counting_iterator_tIlEES8_S8_S8_S8_S8_S8_S8_S8_EEEEPS9_S9_NSD_9__find_if7functorIS9_EEEE10hipError_tPvRmT1_T2_T3_mT4_P12ihipStream_tbEUlT_E1_NS1_11comp_targetILNS1_3genE9ELNS1_11target_archE1100ELNS1_3gpuE3ELNS1_3repE0EEENS1_30default_config_static_selectorELNS0_4arch9wavefront6targetE0EEEvS14_.has_indirect_call, 0
	.section	.AMDGPU.csdata,"",@progbits
; Kernel info:
; codeLenInByte = 0
; TotalNumSgprs: 0
; NumVgprs: 0
; ScratchSize: 0
; MemoryBound: 0
; FloatMode: 240
; IeeeMode: 1
; LDSByteSize: 0 bytes/workgroup (compile time only)
; SGPRBlocks: 0
; VGPRBlocks: 0
; NumSGPRsForWavesPerEU: 1
; NumVGPRsForWavesPerEU: 1
; Occupancy: 16
; WaveLimiterHint : 0
; COMPUTE_PGM_RSRC2:SCRATCH_EN: 0
; COMPUTE_PGM_RSRC2:USER_SGPR: 6
; COMPUTE_PGM_RSRC2:TRAP_HANDLER: 0
; COMPUTE_PGM_RSRC2:TGID_X_EN: 1
; COMPUTE_PGM_RSRC2:TGID_Y_EN: 0
; COMPUTE_PGM_RSRC2:TGID_Z_EN: 0
; COMPUTE_PGM_RSRC2:TIDIG_COMP_CNT: 0
	.section	.text._ZN7rocprim17ROCPRIM_400000_NS6detail17trampoline_kernelINS0_14default_configENS1_22reduce_config_selectorIN6thrust23THRUST_200600_302600_NS5tupleIblNS6_9null_typeES8_S8_S8_S8_S8_S8_S8_EEEEZNS1_11reduce_implILb1ES3_NS6_12zip_iteratorINS7_INS6_11hip_rocprim26transform_input_iterator_tIbNSD_35transform_pair_of_input_iterators_tIbNS6_6detail15normal_iteratorINS6_10device_ptrIKyEEEESL_NS6_8equal_toIyEEEENSG_9not_fun_tINSD_8identityEEEEENSD_19counting_iterator_tIlEES8_S8_S8_S8_S8_S8_S8_S8_EEEEPS9_S9_NSD_9__find_if7functorIS9_EEEE10hipError_tPvRmT1_T2_T3_mT4_P12ihipStream_tbEUlT_E1_NS1_11comp_targetILNS1_3genE8ELNS1_11target_archE1030ELNS1_3gpuE2ELNS1_3repE0EEENS1_30default_config_static_selectorELNS0_4arch9wavefront6targetE0EEEvS14_,"axG",@progbits,_ZN7rocprim17ROCPRIM_400000_NS6detail17trampoline_kernelINS0_14default_configENS1_22reduce_config_selectorIN6thrust23THRUST_200600_302600_NS5tupleIblNS6_9null_typeES8_S8_S8_S8_S8_S8_S8_EEEEZNS1_11reduce_implILb1ES3_NS6_12zip_iteratorINS7_INS6_11hip_rocprim26transform_input_iterator_tIbNSD_35transform_pair_of_input_iterators_tIbNS6_6detail15normal_iteratorINS6_10device_ptrIKyEEEESL_NS6_8equal_toIyEEEENSG_9not_fun_tINSD_8identityEEEEENSD_19counting_iterator_tIlEES8_S8_S8_S8_S8_S8_S8_S8_EEEEPS9_S9_NSD_9__find_if7functorIS9_EEEE10hipError_tPvRmT1_T2_T3_mT4_P12ihipStream_tbEUlT_E1_NS1_11comp_targetILNS1_3genE8ELNS1_11target_archE1030ELNS1_3gpuE2ELNS1_3repE0EEENS1_30default_config_static_selectorELNS0_4arch9wavefront6targetE0EEEvS14_,comdat
	.protected	_ZN7rocprim17ROCPRIM_400000_NS6detail17trampoline_kernelINS0_14default_configENS1_22reduce_config_selectorIN6thrust23THRUST_200600_302600_NS5tupleIblNS6_9null_typeES8_S8_S8_S8_S8_S8_S8_EEEEZNS1_11reduce_implILb1ES3_NS6_12zip_iteratorINS7_INS6_11hip_rocprim26transform_input_iterator_tIbNSD_35transform_pair_of_input_iterators_tIbNS6_6detail15normal_iteratorINS6_10device_ptrIKyEEEESL_NS6_8equal_toIyEEEENSG_9not_fun_tINSD_8identityEEEEENSD_19counting_iterator_tIlEES8_S8_S8_S8_S8_S8_S8_S8_EEEEPS9_S9_NSD_9__find_if7functorIS9_EEEE10hipError_tPvRmT1_T2_T3_mT4_P12ihipStream_tbEUlT_E1_NS1_11comp_targetILNS1_3genE8ELNS1_11target_archE1030ELNS1_3gpuE2ELNS1_3repE0EEENS1_30default_config_static_selectorELNS0_4arch9wavefront6targetE0EEEvS14_ ; -- Begin function _ZN7rocprim17ROCPRIM_400000_NS6detail17trampoline_kernelINS0_14default_configENS1_22reduce_config_selectorIN6thrust23THRUST_200600_302600_NS5tupleIblNS6_9null_typeES8_S8_S8_S8_S8_S8_S8_EEEEZNS1_11reduce_implILb1ES3_NS6_12zip_iteratorINS7_INS6_11hip_rocprim26transform_input_iterator_tIbNSD_35transform_pair_of_input_iterators_tIbNS6_6detail15normal_iteratorINS6_10device_ptrIKyEEEESL_NS6_8equal_toIyEEEENSG_9not_fun_tINSD_8identityEEEEENSD_19counting_iterator_tIlEES8_S8_S8_S8_S8_S8_S8_S8_EEEEPS9_S9_NSD_9__find_if7functorIS9_EEEE10hipError_tPvRmT1_T2_T3_mT4_P12ihipStream_tbEUlT_E1_NS1_11comp_targetILNS1_3genE8ELNS1_11target_archE1030ELNS1_3gpuE2ELNS1_3repE0EEENS1_30default_config_static_selectorELNS0_4arch9wavefront6targetE0EEEvS14_
	.globl	_ZN7rocprim17ROCPRIM_400000_NS6detail17trampoline_kernelINS0_14default_configENS1_22reduce_config_selectorIN6thrust23THRUST_200600_302600_NS5tupleIblNS6_9null_typeES8_S8_S8_S8_S8_S8_S8_EEEEZNS1_11reduce_implILb1ES3_NS6_12zip_iteratorINS7_INS6_11hip_rocprim26transform_input_iterator_tIbNSD_35transform_pair_of_input_iterators_tIbNS6_6detail15normal_iteratorINS6_10device_ptrIKyEEEESL_NS6_8equal_toIyEEEENSG_9not_fun_tINSD_8identityEEEEENSD_19counting_iterator_tIlEES8_S8_S8_S8_S8_S8_S8_S8_EEEEPS9_S9_NSD_9__find_if7functorIS9_EEEE10hipError_tPvRmT1_T2_T3_mT4_P12ihipStream_tbEUlT_E1_NS1_11comp_targetILNS1_3genE8ELNS1_11target_archE1030ELNS1_3gpuE2ELNS1_3repE0EEENS1_30default_config_static_selectorELNS0_4arch9wavefront6targetE0EEEvS14_
	.p2align	8
	.type	_ZN7rocprim17ROCPRIM_400000_NS6detail17trampoline_kernelINS0_14default_configENS1_22reduce_config_selectorIN6thrust23THRUST_200600_302600_NS5tupleIblNS6_9null_typeES8_S8_S8_S8_S8_S8_S8_EEEEZNS1_11reduce_implILb1ES3_NS6_12zip_iteratorINS7_INS6_11hip_rocprim26transform_input_iterator_tIbNSD_35transform_pair_of_input_iterators_tIbNS6_6detail15normal_iteratorINS6_10device_ptrIKyEEEESL_NS6_8equal_toIyEEEENSG_9not_fun_tINSD_8identityEEEEENSD_19counting_iterator_tIlEES8_S8_S8_S8_S8_S8_S8_S8_EEEEPS9_S9_NSD_9__find_if7functorIS9_EEEE10hipError_tPvRmT1_T2_T3_mT4_P12ihipStream_tbEUlT_E1_NS1_11comp_targetILNS1_3genE8ELNS1_11target_archE1030ELNS1_3gpuE2ELNS1_3repE0EEENS1_30default_config_static_selectorELNS0_4arch9wavefront6targetE0EEEvS14_,@function
_ZN7rocprim17ROCPRIM_400000_NS6detail17trampoline_kernelINS0_14default_configENS1_22reduce_config_selectorIN6thrust23THRUST_200600_302600_NS5tupleIblNS6_9null_typeES8_S8_S8_S8_S8_S8_S8_EEEEZNS1_11reduce_implILb1ES3_NS6_12zip_iteratorINS7_INS6_11hip_rocprim26transform_input_iterator_tIbNSD_35transform_pair_of_input_iterators_tIbNS6_6detail15normal_iteratorINS6_10device_ptrIKyEEEESL_NS6_8equal_toIyEEEENSG_9not_fun_tINSD_8identityEEEEENSD_19counting_iterator_tIlEES8_S8_S8_S8_S8_S8_S8_S8_EEEEPS9_S9_NSD_9__find_if7functorIS9_EEEE10hipError_tPvRmT1_T2_T3_mT4_P12ihipStream_tbEUlT_E1_NS1_11comp_targetILNS1_3genE8ELNS1_11target_archE1030ELNS1_3gpuE2ELNS1_3repE0EEENS1_30default_config_static_selectorELNS0_4arch9wavefront6targetE0EEEvS14_: ; @_ZN7rocprim17ROCPRIM_400000_NS6detail17trampoline_kernelINS0_14default_configENS1_22reduce_config_selectorIN6thrust23THRUST_200600_302600_NS5tupleIblNS6_9null_typeES8_S8_S8_S8_S8_S8_S8_EEEEZNS1_11reduce_implILb1ES3_NS6_12zip_iteratorINS7_INS6_11hip_rocprim26transform_input_iterator_tIbNSD_35transform_pair_of_input_iterators_tIbNS6_6detail15normal_iteratorINS6_10device_ptrIKyEEEESL_NS6_8equal_toIyEEEENSG_9not_fun_tINSD_8identityEEEEENSD_19counting_iterator_tIlEES8_S8_S8_S8_S8_S8_S8_S8_EEEEPS9_S9_NSD_9__find_if7functorIS9_EEEE10hipError_tPvRmT1_T2_T3_mT4_P12ihipStream_tbEUlT_E1_NS1_11comp_targetILNS1_3genE8ELNS1_11target_archE1030ELNS1_3gpuE2ELNS1_3repE0EEENS1_30default_config_static_selectorELNS0_4arch9wavefront6targetE0EEEvS14_
; %bb.0:
	s_clause 0x4
	s_load_dword s25, s[4:5], 0x4
	s_load_dwordx4 s[16:19], s[4:5], 0x8
	s_load_dwordx4 s[12:15], s[4:5], 0x28
	s_load_dword s24, s[4:5], 0x40
	s_load_dwordx2 s[20:21], s[4:5], 0x48
	s_waitcnt lgkmcnt(0)
	s_cmp_lt_i32 s25, 4
	s_cbranch_scc1 .LBB124_21
; %bb.1:
	s_cmp_gt_i32 s25, 7
	s_cbranch_scc0 .LBB124_22
; %bb.2:
	s_cmp_eq_u32 s25, 8
	s_mov_b32 s26, 0
	s_cbranch_scc0 .LBB124_23
; %bb.3:
	s_mov_b32 s7, 0
	s_lshl_b32 s8, s6, 11
	s_mov_b32 s9, s7
	s_lshr_b64 s[2:3], s[14:15], 11
	s_lshl_b64 s[0:1], s[8:9], 3
	s_add_u32 s10, s16, s0
	s_addc_u32 s11, s17, s1
	s_add_u32 s22, s18, s0
	s_addc_u32 s23, s19, s1
	;; [unrolled: 2-line block ×3, first 2 shown]
	s_cmp_lg_u64 s[2:3], s[6:7]
	s_cbranch_scc0 .LBB124_44
; %bb.4:
	v_lshlrev_b32_e32 v7, 3, v0
	v_mov_b32_e32 v33, 0x100
	v_mov_b32_e32 v34, 0x300
	;; [unrolled: 1-line block ×3, first 2 shown]
	v_add_co_u32 v29, s0, s10, v7
	v_add_co_ci_u32_e64 v30, null, s11, 0, s0
	v_add_co_u32 v31, s0, s22, v7
	v_add_co_ci_u32_e64 v32, null, s23, 0, s0
	v_add_co_u32 v1, vcc_lo, v29, 0x1000
	v_add_co_ci_u32_e64 v2, null, 0, v30, vcc_lo
	v_add_co_u32 v3, vcc_lo, v31, 0x1000
	v_add_co_ci_u32_e64 v4, null, 0, v32, vcc_lo
	v_add_co_u32 v13, vcc_lo, v29, 0x2000
	s_clause 0x1
	global_load_dwordx2 v[5:6], v7, s[10:11]
	global_load_dwordx2 v[7:8], v7, s[22:23]
	s_clause 0x1
	global_load_dwordx2 v[9:10], v[1:2], off offset:-2048
	global_load_dwordx2 v[1:2], v[1:2], off
	s_clause 0x1
	global_load_dwordx2 v[11:12], v[3:4], off offset:-2048
	global_load_dwordx2 v[3:4], v[3:4], off
	v_add_co_ci_u32_e64 v14, null, 0, v30, vcc_lo
	v_add_co_u32 v15, vcc_lo, v31, 0x2000
	v_add_co_ci_u32_e64 v16, null, 0, v32, vcc_lo
	v_add_co_u32 v19, vcc_lo, v29, 0x3000
	;; [unrolled: 2-line block ×3, first 2 shown]
	s_clause 0x1
	global_load_dwordx2 v[17:18], v[13:14], off offset:-2048
	global_load_dwordx2 v[13:14], v[13:14], off
	v_add_co_ci_u32_e64 v22, null, 0, v32, vcc_lo
	s_clause 0x2
	global_load_dwordx2 v[23:24], v[15:16], off
	global_load_dwordx2 v[15:16], v[15:16], off offset:-2048
	global_load_dwordx2 v[25:26], v[21:22], off offset:-2048
	s_clause 0x1
	global_load_dwordx2 v[27:28], v[19:20], off offset:-2048
	global_load_dwordx2 v[19:20], v[19:20], off
	global_load_dwordx2 v[21:22], v[21:22], off
	v_add_co_u32 v29, vcc_lo, 0x3800, v29
	v_add_co_ci_u32_e64 v30, null, 0, v30, vcc_lo
	v_add_co_u32 v31, vcc_lo, 0x3800, v31
	v_add_co_ci_u32_e64 v32, null, 0, v32, vcc_lo
	global_load_dwordx2 v[29:30], v[29:30], off
	global_load_dwordx2 v[31:32], v[31:32], off
	s_waitcnt vmcnt(14)
	v_cmp_ne_u64_e64 s0, v[5:6], v[7:8]
	s_waitcnt vmcnt(11)
	v_cmp_ne_u64_e32 vcc_lo, v[9:10], v[11:12]
	s_waitcnt vmcnt(10)
	v_cmp_ne_u64_e64 s1, v[1:2], v[3:4]
	v_cndmask_b32_e32 v9, 0x200, v33, vcc_lo
	v_cndmask_b32_e64 v2, v9, 0, s0
	s_or_b32 s0, s0, vcc_lo
	s_waitcnt vmcnt(6)
	v_cmp_ne_u64_e64 s3, v[17:18], v[15:16]
	v_cmp_ne_u64_e64 s2, v[13:14], v[23:24]
	s_waitcnt vmcnt(4)
	v_cmp_ne_u64_e32 vcc_lo, v[27:28], v[25:26]
	s_or_b32 s0, s0, s1
	v_cndmask_b32_e64 v1, 0x400, v34, s3
	s_or_b32 s1, s0, s3
	v_cndmask_b32_e32 v3, 0x600, v35, vcc_lo
	s_or_b32 s1, s1, s2
	v_cndmask_b32_e64 v1, v1, v2, s0
	s_waitcnt vmcnt(2)
	v_cmp_ne_u64_e64 s0, v[19:20], v[21:22]
	v_cndmask_b32_e64 v1, v3, v1, s1
	s_or_b32 s1, s1, vcc_lo
	s_or_b32 vcc_lo, s1, s0
	v_add_co_u32 v2, s0, s28, v0
	v_cndmask_b32_e32 v1, 0x700, v1, vcc_lo
	v_add_co_ci_u32_e64 v3, null, s29, 0, s0
	s_waitcnt vmcnt(0)
	v_cmp_ne_u64_e64 s0, v[29:30], v[31:32]
	v_add_co_u32 v1, s1, v2, v1
	v_add_co_ci_u32_e64 v2, null, 0, v3, s1
	s_or_b32 s0, vcc_lo, s0
	v_mov_b32_dpp v3, v1 quad_perm:[1,0,3,2] row_mask:0xf bank_mask:0xf
	v_cndmask_b32_e64 v5, 0, 1, s0
	v_mov_b32_dpp v4, v2 quad_perm:[1,0,3,2] row_mask:0xf bank_mask:0xf
	v_mov_b32_dpp v6, v5 quad_perm:[1,0,3,2] row_mask:0xf bank_mask:0xf
	v_cmp_lt_i64_e32 vcc_lo, v[1:2], v[3:4]
	v_and_b32_e32 v6, 1, v6
	s_and_b32 vcc_lo, s0, vcc_lo
	v_cndmask_b32_e32 v3, v3, v1, vcc_lo
	v_cndmask_b32_e32 v4, v4, v2, vcc_lo
	v_cmp_eq_u32_e32 vcc_lo, 1, v6
	v_cndmask_b32_e32 v2, v2, v4, vcc_lo
	v_cndmask_b32_e32 v1, v1, v3, vcc_lo
	v_cndmask_b32_e64 v5, v5, 1, vcc_lo
	v_mov_b32_dpp v4, v2 quad_perm:[2,3,0,1] row_mask:0xf bank_mask:0xf
	v_mov_b32_dpp v3, v1 quad_perm:[2,3,0,1] row_mask:0xf bank_mask:0xf
	v_and_b32_e32 v7, 1, v5
	v_mov_b32_dpp v6, v5 quad_perm:[2,3,0,1] row_mask:0xf bank_mask:0xf
	v_cmp_lt_i64_e32 vcc_lo, v[1:2], v[3:4]
	v_cmp_eq_u32_e64 s0, 1, v7
	v_and_b32_e32 v6, 1, v6
	s_and_b32 vcc_lo, s0, vcc_lo
	v_cmp_eq_u32_e64 s1, 1, v6
	v_cndmask_b32_e32 v3, v3, v1, vcc_lo
	v_cndmask_b32_e32 v4, v4, v2, vcc_lo
	v_cndmask_b32_e64 v5, v5, 1, s1
	v_cndmask_b32_e64 v1, v1, v3, s1
	;; [unrolled: 1-line block ×3, first 2 shown]
	v_and_b32_e32 v7, 1, v5
	v_mov_b32_dpp v3, v1 row_ror:4 row_mask:0xf bank_mask:0xf
	v_mov_b32_dpp v4, v2 row_ror:4 row_mask:0xf bank_mask:0xf
	v_mov_b32_dpp v6, v5 row_ror:4 row_mask:0xf bank_mask:0xf
	v_cmp_eq_u32_e64 s0, 1, v7
	v_cmp_lt_i64_e32 vcc_lo, v[1:2], v[3:4]
	v_and_b32_e32 v6, 1, v6
	s_and_b32 vcc_lo, s0, vcc_lo
	v_cmp_eq_u32_e64 s1, 1, v6
	v_cndmask_b32_e32 v3, v3, v1, vcc_lo
	v_cndmask_b32_e32 v4, v4, v2, vcc_lo
	v_cndmask_b32_e64 v5, v5, 1, s1
	v_cndmask_b32_e64 v1, v1, v3, s1
	;; [unrolled: 1-line block ×3, first 2 shown]
	v_and_b32_e32 v7, 1, v5
	v_mov_b32_dpp v3, v1 row_ror:8 row_mask:0xf bank_mask:0xf
	v_mov_b32_dpp v4, v2 row_ror:8 row_mask:0xf bank_mask:0xf
	;; [unrolled: 1-line block ×3, first 2 shown]
	v_cmp_eq_u32_e64 s0, 1, v7
	v_cmp_lt_i64_e32 vcc_lo, v[1:2], v[3:4]
	v_and_b32_e32 v6, 1, v6
	s_and_b32 vcc_lo, s0, vcc_lo
	v_cmp_eq_u32_e64 s1, 1, v6
	v_cndmask_b32_e32 v3, v3, v1, vcc_lo
	v_cndmask_b32_e32 v4, v4, v2, vcc_lo
	v_cndmask_b32_e64 v5, v5, 1, s1
	v_cndmask_b32_e64 v1, v1, v3, s1
	;; [unrolled: 1-line block ×3, first 2 shown]
	ds_swizzle_b32 v6, v5 offset:swizzle(BROADCAST,32,15)
	ds_swizzle_b32 v3, v1 offset:swizzle(BROADCAST,32,15)
	;; [unrolled: 1-line block ×3, first 2 shown]
	v_and_b32_e32 v7, 1, v5
	v_cmp_eq_u32_e64 s0, 1, v7
	v_mbcnt_lo_u32_b32 v7, -1, 0
	s_waitcnt lgkmcnt(2)
	v_and_b32_e32 v6, 1, v6
	s_waitcnt lgkmcnt(0)
	v_cmp_lt_i64_e32 vcc_lo, v[1:2], v[3:4]
	v_cmp_eq_u32_e64 s1, 1, v6
	v_mov_b32_e32 v6, 0
	s_and_b32 vcc_lo, s0, vcc_lo
	s_mov_b32 s0, exec_lo
	v_cndmask_b32_e32 v3, v3, v1, vcc_lo
	v_cndmask_b32_e32 v4, v4, v2, vcc_lo
	v_cndmask_b32_e64 v5, v5, 1, s1
	v_cndmask_b32_e64 v1, v1, v3, s1
	;; [unrolled: 1-line block ×3, first 2 shown]
	ds_bpermute_b32 v17, v6, v5 offset:124
	ds_bpermute_b32 v1, v6, v1 offset:124
	;; [unrolled: 1-line block ×3, first 2 shown]
	v_cmpx_eq_u32_e32 0, v7
	s_cbranch_execz .LBB124_6
; %bb.5:
	v_lshrrev_b32_e32 v3, 1, v0
	v_and_b32_e32 v3, 0x70, v3
	s_waitcnt lgkmcnt(2)
	ds_write_b8 v3, v17 offset:384
	s_waitcnt lgkmcnt(1)
	ds_write_b64 v3, v[1:2] offset:392
.LBB124_6:
	s_or_b32 exec_lo, exec_lo, s0
	s_mov_b32 s0, exec_lo
	s_waitcnt lgkmcnt(0)
	s_barrier
	buffer_gl0_inv
	v_cmpx_gt_u32_e32 32, v0
	s_cbranch_execz .LBB124_20
; %bb.7:
	v_and_b32_e32 v8, 7, v7
	v_lshlrev_b32_e32 v1, 4, v8
	v_cmp_ne_u32_e32 vcc_lo, 7, v8
	ds_read_u8 v10, v1 offset:384
	ds_read_b64 v[3:4], v1 offset:392
	v_add_co_ci_u32_e64 v2, null, 0, v7, vcc_lo
	v_lshlrev_b32_e32 v2, 2, v2
	s_waitcnt lgkmcnt(1)
	v_and_b32_e32 v1, 0xff, v10
	s_waitcnt lgkmcnt(0)
	ds_bpermute_b32 v5, v2, v3
	ds_bpermute_b32 v6, v2, v4
	;; [unrolled: 1-line block ×3, first 2 shown]
	s_waitcnt lgkmcnt(0)
	v_and_b32_e32 v1, v10, v11
	v_and_b32_e32 v1, 1, v1
	v_cmp_eq_u32_e32 vcc_lo, 1, v1
                                        ; implicit-def: $vgpr1_vgpr2
	s_and_saveexec_b32 s1, vcc_lo
	s_xor_b32 s1, exec_lo, s1
; %bb.8:
	v_cmp_lt_i64_e32 vcc_lo, v[5:6], v[3:4]
                                        ; implicit-def: $vgpr10
                                        ; implicit-def: $vgpr11
	v_cndmask_b32_e32 v2, v4, v6, vcc_lo
	v_cndmask_b32_e32 v1, v3, v5, vcc_lo
                                        ; implicit-def: $vgpr5_vgpr6
                                        ; implicit-def: $vgpr3_vgpr4
; %bb.9:
	s_or_saveexec_b32 s1, s1
	v_mov_b32_e32 v9, 1
	s_xor_b32 exec_lo, exec_lo, s1
; %bb.10:
	v_and_b32_e32 v1, 1, v10
	v_and_b32_e32 v9, 0xff, v11
	v_cmp_eq_u32_e32 vcc_lo, 1, v1
	v_cndmask_b32_e32 v2, v6, v4, vcc_lo
	v_cndmask_b32_e32 v1, v5, v3, vcc_lo
	v_cndmask_b32_e64 v9, v9, 1, vcc_lo
; %bb.11:
	s_or_b32 exec_lo, exec_lo, s1
	v_cmp_gt_u32_e32 vcc_lo, 6, v8
	v_cndmask_b32_e64 v3, 0, 2, vcc_lo
	v_add_lshl_u32 v3, v3, v7, 2
	ds_bpermute_b32 v8, v3, v9
	ds_bpermute_b32 v5, v3, v1
	;; [unrolled: 1-line block ×3, first 2 shown]
	s_waitcnt lgkmcnt(2)
	v_and_b32_e32 v3, v9, v8
	v_and_b32_e32 v3, 1, v3
	v_cmp_eq_u32_e32 vcc_lo, 1, v3
                                        ; implicit-def: $vgpr3_vgpr4
	s_and_saveexec_b32 s1, vcc_lo
	s_xor_b32 s1, exec_lo, s1
	s_cbranch_execz .LBB124_13
; %bb.12:
	s_waitcnt lgkmcnt(0)
	v_cmp_lt_i64_e32 vcc_lo, v[5:6], v[1:2]
                                        ; implicit-def: $vgpr9
                                        ; implicit-def: $vgpr8
	v_cndmask_b32_e32 v4, v2, v6, vcc_lo
	v_cndmask_b32_e32 v3, v1, v5, vcc_lo
                                        ; implicit-def: $vgpr5_vgpr6
                                        ; implicit-def: $vgpr1_vgpr2
.LBB124_13:
	s_or_saveexec_b32 s1, s1
	v_lshlrev_b32_e32 v10, 2, v7
	v_mov_b32_e32 v7, 1
	s_xor_b32 exec_lo, exec_lo, s1
	s_cbranch_execz .LBB124_15
; %bb.14:
	v_and_b32_e32 v3, 1, v9
	v_and_b32_e32 v7, 0xff, v8
	v_cmp_eq_u32_e32 vcc_lo, 1, v3
	s_waitcnt lgkmcnt(0)
	v_cndmask_b32_e32 v4, v6, v2, vcc_lo
	v_cndmask_b32_e32 v3, v5, v1, vcc_lo
	v_cndmask_b32_e64 v7, v7, 1, vcc_lo
.LBB124_15:
	s_or_b32 exec_lo, exec_lo, s1
	v_or_b32_e32 v1, 16, v10
	ds_bpermute_b32 v8, v1, v7
	s_waitcnt lgkmcnt(2)
	ds_bpermute_b32 v5, v1, v3
	s_waitcnt lgkmcnt(2)
	;; [unrolled: 2-line block ×3, first 2 shown]
	v_and_b32_e32 v1, v7, v8
	v_and_b32_e32 v1, 1, v1
	v_cmp_eq_u32_e32 vcc_lo, 1, v1
                                        ; implicit-def: $vgpr1_vgpr2
	s_and_saveexec_b32 s1, vcc_lo
	s_xor_b32 s1, exec_lo, s1
	s_cbranch_execz .LBB124_17
; %bb.16:
	s_waitcnt lgkmcnt(0)
	v_cmp_lt_i64_e32 vcc_lo, v[5:6], v[3:4]
                                        ; implicit-def: $vgpr7
                                        ; implicit-def: $vgpr8
	v_cndmask_b32_e32 v2, v4, v6, vcc_lo
	v_cndmask_b32_e32 v1, v3, v5, vcc_lo
                                        ; implicit-def: $vgpr5_vgpr6
                                        ; implicit-def: $vgpr3_vgpr4
.LBB124_17:
	s_or_saveexec_b32 s1, s1
	v_mov_b32_e32 v17, 1
	s_xor_b32 exec_lo, exec_lo, s1
	s_cbranch_execz .LBB124_19
; %bb.18:
	v_and_b32_e32 v1, 1, v7
	v_cmp_eq_u32_e32 vcc_lo, 1, v1
	s_waitcnt lgkmcnt(0)
	v_cndmask_b32_e32 v2, v6, v4, vcc_lo
	v_cndmask_b32_e32 v1, v5, v3, vcc_lo
	v_cndmask_b32_e64 v17, v8, 1, vcc_lo
.LBB124_19:
	s_or_b32 exec_lo, exec_lo, s1
.LBB124_20:
	s_or_b32 exec_lo, exec_lo, s0
	s_branch .LBB124_167
.LBB124_21:
	s_mov_b32 s22, 0
                                        ; implicit-def: $vgpr3_vgpr4
                                        ; implicit-def: $vgpr5
                                        ; implicit-def: $vgpr1_vgpr2
	s_cbranch_execnz .LBB124_247
	s_branch .LBB124_356
.LBB124_22:
	s_mov_b32 s26, -1
.LBB124_23:
	s_mov_b32 s22, 0
                                        ; implicit-def: $vgpr3_vgpr4
                                        ; implicit-def: $vgpr5
                                        ; implicit-def: $vgpr1_vgpr2
	s_and_b32 vcc_lo, exec_lo, s26
	s_cbranch_vccz .LBB124_172
.LBB124_24:
	s_cmp_eq_u32 s25, 4
	s_cbranch_scc0 .LBB124_43
; %bb.25:
	s_mov_b32 s7, 0
	s_lshl_b32 s10, s6, 10
	s_mov_b32 s11, s7
	s_lshr_b64 s[26:27], s[14:15], 10
	s_lshl_b64 s[0:1], s[10:11], 3
	s_add_u32 s2, s16, s0
	s_addc_u32 s3, s17, s1
	s_add_u32 s8, s18, s0
	s_addc_u32 s9, s19, s1
	;; [unrolled: 2-line block ×3, first 2 shown]
	s_cmp_lg_u64 s[26:27], s[6:7]
	s_cbranch_scc0 .LBB124_67
; %bb.26:
	v_lshlrev_b32_e32 v11, 3, v0
	v_mov_b32_e32 v17, 0x100
	v_add_co_u32 v13, s0, s2, v11
	v_add_co_ci_u32_e64 v14, null, s3, 0, s0
	v_add_co_u32 v15, s0, s8, v11
	v_add_co_ci_u32_e64 v16, null, s9, 0, s0
	v_add_co_u32 v1, vcc_lo, v13, 0x1000
	v_add_co_ci_u32_e64 v2, null, 0, v14, vcc_lo
	s_waitcnt lgkmcnt(1)
	v_add_co_u32 v3, vcc_lo, v15, 0x1000
	s_waitcnt lgkmcnt(0)
	v_add_co_ci_u32_e64 v4, null, 0, v16, vcc_lo
	global_load_dwordx2 v[5:6], v[1:2], off offset:-2048
	global_load_dwordx2 v[7:8], v[3:4], off offset:-2048
	s_clause 0x1
	global_load_dwordx2 v[9:10], v11, s[2:3]
	global_load_dwordx2 v[11:12], v11, s[8:9]
	global_load_dwordx2 v[1:2], v[1:2], off
	global_load_dwordx2 v[3:4], v[3:4], off
	v_add_co_u32 v13, vcc_lo, 0x1800, v13
	v_add_co_ci_u32_e64 v14, null, 0, v14, vcc_lo
	v_add_co_u32 v15, vcc_lo, 0x1800, v15
	v_add_co_ci_u32_e64 v16, null, 0, v16, vcc_lo
	global_load_dwordx2 v[13:14], v[13:14], off
	global_load_dwordx2 v[15:16], v[15:16], off
	s_waitcnt vmcnt(6)
	v_cmp_ne_u64_e32 vcc_lo, v[5:6], v[7:8]
	s_waitcnt vmcnt(4)
	v_cmp_ne_u64_e64 s0, v[9:10], v[11:12]
	s_waitcnt vmcnt(2)
	v_cmp_ne_u64_e64 s1, v[1:2], v[3:4]
	v_cndmask_b32_e32 v5, 0x200, v17, vcc_lo
	v_cndmask_b32_e64 v1, v5, 0, s0
	s_or_b32 s0, s0, vcc_lo
	s_or_b32 vcc_lo, s0, s1
	v_add_co_u32 v2, s0, s11, v0
	v_cndmask_b32_e32 v1, 0x300, v1, vcc_lo
	v_add_co_ci_u32_e64 v3, null, s23, 0, s0
	s_waitcnt vmcnt(0)
	v_cmp_ne_u64_e64 s0, v[13:14], v[15:16]
	v_add_co_u32 v1, s1, v2, v1
	v_add_co_ci_u32_e64 v2, null, 0, v3, s1
	s_or_b32 s0, vcc_lo, s0
	v_mov_b32_dpp v3, v1 quad_perm:[1,0,3,2] row_mask:0xf bank_mask:0xf
	v_cndmask_b32_e64 v5, 0, 1, s0
	v_mov_b32_dpp v4, v2 quad_perm:[1,0,3,2] row_mask:0xf bank_mask:0xf
	v_mov_b32_dpp v6, v5 quad_perm:[1,0,3,2] row_mask:0xf bank_mask:0xf
	v_cmp_lt_i64_e32 vcc_lo, v[1:2], v[3:4]
	v_and_b32_e32 v6, 1, v6
	s_and_b32 vcc_lo, s0, vcc_lo
	v_cndmask_b32_e32 v3, v3, v1, vcc_lo
	v_cndmask_b32_e32 v4, v4, v2, vcc_lo
	v_cmp_eq_u32_e32 vcc_lo, 1, v6
	v_cndmask_b32_e32 v2, v2, v4, vcc_lo
	v_cndmask_b32_e32 v1, v1, v3, vcc_lo
	v_cndmask_b32_e64 v5, v5, 1, vcc_lo
	v_mov_b32_dpp v4, v2 quad_perm:[2,3,0,1] row_mask:0xf bank_mask:0xf
	v_mov_b32_dpp v3, v1 quad_perm:[2,3,0,1] row_mask:0xf bank_mask:0xf
	v_and_b32_e32 v7, 1, v5
	v_mov_b32_dpp v6, v5 quad_perm:[2,3,0,1] row_mask:0xf bank_mask:0xf
	v_cmp_lt_i64_e32 vcc_lo, v[1:2], v[3:4]
	v_cmp_eq_u32_e64 s0, 1, v7
	v_and_b32_e32 v6, 1, v6
	s_and_b32 vcc_lo, s0, vcc_lo
	v_cmp_eq_u32_e64 s1, 1, v6
	v_cndmask_b32_e32 v3, v3, v1, vcc_lo
	v_cndmask_b32_e32 v4, v4, v2, vcc_lo
	v_cndmask_b32_e64 v5, v5, 1, s1
	v_cndmask_b32_e64 v1, v1, v3, s1
	v_cndmask_b32_e64 v2, v2, v4, s1
	v_and_b32_e32 v7, 1, v5
	v_mov_b32_dpp v3, v1 row_ror:4 row_mask:0xf bank_mask:0xf
	v_mov_b32_dpp v4, v2 row_ror:4 row_mask:0xf bank_mask:0xf
	;; [unrolled: 1-line block ×3, first 2 shown]
	v_cmp_eq_u32_e64 s0, 1, v7
	v_cmp_lt_i64_e32 vcc_lo, v[1:2], v[3:4]
	v_and_b32_e32 v6, 1, v6
	s_and_b32 vcc_lo, s0, vcc_lo
	v_cmp_eq_u32_e64 s1, 1, v6
	v_cndmask_b32_e32 v3, v3, v1, vcc_lo
	v_cndmask_b32_e32 v4, v4, v2, vcc_lo
	v_cndmask_b32_e64 v5, v5, 1, s1
	v_cndmask_b32_e64 v1, v1, v3, s1
	;; [unrolled: 1-line block ×3, first 2 shown]
	v_and_b32_e32 v7, 1, v5
	v_mov_b32_dpp v3, v1 row_ror:8 row_mask:0xf bank_mask:0xf
	v_mov_b32_dpp v4, v2 row_ror:8 row_mask:0xf bank_mask:0xf
	;; [unrolled: 1-line block ×3, first 2 shown]
	v_cmp_eq_u32_e64 s0, 1, v7
	v_cmp_lt_i64_e32 vcc_lo, v[1:2], v[3:4]
	v_and_b32_e32 v6, 1, v6
	s_and_b32 vcc_lo, s0, vcc_lo
	v_cmp_eq_u32_e64 s1, 1, v6
	v_cndmask_b32_e32 v3, v3, v1, vcc_lo
	v_cndmask_b32_e32 v4, v4, v2, vcc_lo
	v_cndmask_b32_e64 v5, v5, 1, s1
	v_cndmask_b32_e64 v1, v1, v3, s1
	;; [unrolled: 1-line block ×3, first 2 shown]
	ds_swizzle_b32 v6, v5 offset:swizzle(BROADCAST,32,15)
	ds_swizzle_b32 v3, v1 offset:swizzle(BROADCAST,32,15)
	;; [unrolled: 1-line block ×3, first 2 shown]
	v_and_b32_e32 v7, 1, v5
	v_cmp_eq_u32_e64 s0, 1, v7
	v_mbcnt_lo_u32_b32 v7, -1, 0
	s_waitcnt lgkmcnt(2)
	v_and_b32_e32 v6, 1, v6
	s_waitcnt lgkmcnt(0)
	v_cmp_lt_i64_e32 vcc_lo, v[1:2], v[3:4]
	v_cmp_eq_u32_e64 s1, 1, v6
	v_mov_b32_e32 v6, 0
	s_and_b32 vcc_lo, s0, vcc_lo
	s_mov_b32 s0, exec_lo
	v_cndmask_b32_e32 v3, v3, v1, vcc_lo
	v_cndmask_b32_e32 v4, v4, v2, vcc_lo
	v_cndmask_b32_e64 v5, v5, 1, s1
	v_cndmask_b32_e64 v1, v1, v3, s1
	;; [unrolled: 1-line block ×3, first 2 shown]
	ds_bpermute_b32 v9, v6, v5 offset:124
	ds_bpermute_b32 v1, v6, v1 offset:124
	ds_bpermute_b32 v2, v6, v2 offset:124
	v_cmpx_eq_u32_e32 0, v7
	s_cbranch_execz .LBB124_28
; %bb.27:
	v_lshrrev_b32_e32 v3, 1, v0
	v_and_b32_e32 v3, 0x70, v3
	s_waitcnt lgkmcnt(2)
	ds_write_b8 v3, v9 offset:256
	s_waitcnt lgkmcnt(1)
	ds_write_b64 v3, v[1:2] offset:264
.LBB124_28:
	s_or_b32 exec_lo, exec_lo, s0
	s_mov_b32 s0, exec_lo
	s_waitcnt lgkmcnt(0)
	s_barrier
	buffer_gl0_inv
	v_cmpx_gt_u32_e32 32, v0
	s_cbranch_execz .LBB124_42
; %bb.29:
	v_and_b32_e32 v8, 7, v7
	v_lshlrev_b32_e32 v1, 4, v8
	v_cmp_ne_u32_e32 vcc_lo, 7, v8
	ds_read_u8 v10, v1 offset:256
	ds_read_b64 v[3:4], v1 offset:264
	v_add_co_ci_u32_e64 v2, null, 0, v7, vcc_lo
	v_lshlrev_b32_e32 v2, 2, v2
	s_waitcnt lgkmcnt(1)
	v_and_b32_e32 v1, 0xff, v10
	s_waitcnt lgkmcnt(0)
	ds_bpermute_b32 v5, v2, v3
	ds_bpermute_b32 v6, v2, v4
	;; [unrolled: 1-line block ×3, first 2 shown]
	s_waitcnt lgkmcnt(0)
	v_and_b32_e32 v1, v10, v11
	v_and_b32_e32 v1, 1, v1
	v_cmp_eq_u32_e32 vcc_lo, 1, v1
                                        ; implicit-def: $vgpr1_vgpr2
	s_and_saveexec_b32 s1, vcc_lo
	s_xor_b32 s1, exec_lo, s1
; %bb.30:
	v_cmp_lt_i64_e32 vcc_lo, v[5:6], v[3:4]
                                        ; implicit-def: $vgpr10
                                        ; implicit-def: $vgpr11
	v_cndmask_b32_e32 v2, v4, v6, vcc_lo
	v_cndmask_b32_e32 v1, v3, v5, vcc_lo
                                        ; implicit-def: $vgpr5_vgpr6
                                        ; implicit-def: $vgpr3_vgpr4
; %bb.31:
	s_or_saveexec_b32 s1, s1
	v_mov_b32_e32 v9, 1
	s_xor_b32 exec_lo, exec_lo, s1
; %bb.32:
	v_and_b32_e32 v1, 1, v10
	v_and_b32_e32 v9, 0xff, v11
	v_cmp_eq_u32_e32 vcc_lo, 1, v1
	v_cndmask_b32_e32 v2, v6, v4, vcc_lo
	v_cndmask_b32_e32 v1, v5, v3, vcc_lo
	v_cndmask_b32_e64 v9, v9, 1, vcc_lo
; %bb.33:
	s_or_b32 exec_lo, exec_lo, s1
	v_cmp_gt_u32_e32 vcc_lo, 6, v8
	v_cndmask_b32_e64 v3, 0, 2, vcc_lo
	v_add_lshl_u32 v3, v3, v7, 2
	ds_bpermute_b32 v8, v3, v9
	ds_bpermute_b32 v5, v3, v1
	;; [unrolled: 1-line block ×3, first 2 shown]
	s_waitcnt lgkmcnt(2)
	v_and_b32_e32 v3, v9, v8
	v_and_b32_e32 v3, 1, v3
	v_cmp_eq_u32_e32 vcc_lo, 1, v3
                                        ; implicit-def: $vgpr3_vgpr4
	s_and_saveexec_b32 s1, vcc_lo
	s_xor_b32 s1, exec_lo, s1
	s_cbranch_execz .LBB124_35
; %bb.34:
	s_waitcnt lgkmcnt(0)
	v_cmp_lt_i64_e32 vcc_lo, v[5:6], v[1:2]
                                        ; implicit-def: $vgpr9
                                        ; implicit-def: $vgpr8
	v_cndmask_b32_e32 v4, v2, v6, vcc_lo
	v_cndmask_b32_e32 v3, v1, v5, vcc_lo
                                        ; implicit-def: $vgpr5_vgpr6
                                        ; implicit-def: $vgpr1_vgpr2
.LBB124_35:
	s_or_saveexec_b32 s1, s1
	v_lshlrev_b32_e32 v10, 2, v7
	v_mov_b32_e32 v7, 1
	s_xor_b32 exec_lo, exec_lo, s1
	s_cbranch_execz .LBB124_37
; %bb.36:
	v_and_b32_e32 v3, 1, v9
	v_and_b32_e32 v7, 0xff, v8
	v_cmp_eq_u32_e32 vcc_lo, 1, v3
	s_waitcnt lgkmcnt(0)
	v_cndmask_b32_e32 v4, v6, v2, vcc_lo
	v_cndmask_b32_e32 v3, v5, v1, vcc_lo
	v_cndmask_b32_e64 v7, v7, 1, vcc_lo
.LBB124_37:
	s_or_b32 exec_lo, exec_lo, s1
	v_or_b32_e32 v1, 16, v10
	ds_bpermute_b32 v8, v1, v7
	s_waitcnt lgkmcnt(2)
	ds_bpermute_b32 v5, v1, v3
	s_waitcnt lgkmcnt(2)
	;; [unrolled: 2-line block ×3, first 2 shown]
	v_and_b32_e32 v1, v7, v8
	v_and_b32_e32 v1, 1, v1
	v_cmp_eq_u32_e32 vcc_lo, 1, v1
                                        ; implicit-def: $vgpr1_vgpr2
	s_and_saveexec_b32 s1, vcc_lo
	s_xor_b32 s1, exec_lo, s1
	s_cbranch_execz .LBB124_39
; %bb.38:
	s_waitcnt lgkmcnt(0)
	v_cmp_lt_i64_e32 vcc_lo, v[5:6], v[3:4]
                                        ; implicit-def: $vgpr7
                                        ; implicit-def: $vgpr8
	v_cndmask_b32_e32 v2, v4, v6, vcc_lo
	v_cndmask_b32_e32 v1, v3, v5, vcc_lo
                                        ; implicit-def: $vgpr5_vgpr6
                                        ; implicit-def: $vgpr3_vgpr4
.LBB124_39:
	s_or_saveexec_b32 s1, s1
	v_mov_b32_e32 v9, 1
	s_xor_b32 exec_lo, exec_lo, s1
	s_cbranch_execz .LBB124_41
; %bb.40:
	v_and_b32_e32 v1, 1, v7
	v_cmp_eq_u32_e32 vcc_lo, 1, v1
	s_waitcnt lgkmcnt(0)
	v_cndmask_b32_e32 v2, v6, v4, vcc_lo
	v_cndmask_b32_e32 v1, v5, v3, vcc_lo
	v_cndmask_b32_e64 v9, v8, 1, vcc_lo
.LBB124_41:
	s_or_b32 exec_lo, exec_lo, s1
.LBB124_42:
	s_or_b32 exec_lo, exec_lo, s0
	s_branch .LBB124_242
.LBB124_43:
                                        ; implicit-def: $vgpr3_vgpr4
                                        ; implicit-def: $vgpr5
                                        ; implicit-def: $vgpr1_vgpr2
	s_branch .LBB124_356
.LBB124_44:
                                        ; implicit-def: $vgpr1_vgpr2
                                        ; implicit-def: $vgpr17
	s_cbranch_execz .LBB124_167
; %bb.45:
	v_mov_b32_e32 v15, 0
	v_mov_b32_e32 v1, 0
	;; [unrolled: 1-line block ×6, first 2 shown]
	s_sub_i32 s27, s14, s8
	s_mov_b32 s0, exec_lo
	v_cmpx_gt_u32_e64 s27, v0
	s_cbranch_execz .LBB124_47
; %bb.46:
	v_lshlrev_b32_e32 v1, 3, v0
	global_load_dwordx2 v[3:4], v1, s[10:11]
	s_waitcnt lgkmcnt(0)
	global_load_dwordx2 v[5:6], v1, s[22:23]
	v_add_co_u32 v1, s1, s28, v0
	v_add_co_ci_u32_e64 v2, null, s29, 0, s1
	s_waitcnt vmcnt(0)
	v_cmp_ne_u64_e32 vcc_lo, v[3:4], v[5:6]
	v_cndmask_b32_e64 v17, 0, 1, vcc_lo
.LBB124_47:
	s_or_b32 exec_lo, exec_lo, s0
	v_or_b32_e32 v3, 0x100, v0
	v_cmp_gt_u32_e64 s9, s27, v3
	s_and_saveexec_b32 s0, s9
	s_cbranch_execz .LBB124_49
; %bb.48:
	s_waitcnt lgkmcnt(0)
	v_lshlrev_b32_e32 v6, 3, v3
	v_add_co_u32 v15, s1, s28, v3
	v_add_co_ci_u32_e64 v16, null, s29, 0, s1
	s_clause 0x1
	global_load_dwordx2 v[4:5], v6, s[10:11]
	global_load_dwordx2 v[6:7], v6, s[22:23]
	s_waitcnt vmcnt(0)
	v_cmp_ne_u64_e32 vcc_lo, v[4:5], v[6:7]
	v_cndmask_b32_e64 v24, 0, 1, vcc_lo
.LBB124_49:
	s_or_b32 exec_lo, exec_lo, s0
	v_or_b32_e32 v3, 0x200, v0
	v_mov_b32_e32 v11, 0
	v_mov_b32_e32 v13, 0
	;; [unrolled: 1-line block ×5, first 2 shown]
	v_cmp_gt_u32_e64 s8, s27, v3
	v_mov_b32_e32 v23, 0
	s_and_saveexec_b32 s0, s8
	s_cbranch_execz .LBB124_51
; %bb.50:
	s_waitcnt lgkmcnt(0)
	v_lshlrev_b32_e32 v6, 3, v3
	v_add_co_u32 v13, s1, s28, v3
	v_add_co_ci_u32_e64 v14, null, s29, 0, s1
	s_clause 0x1
	global_load_dwordx2 v[4:5], v6, s[10:11]
	global_load_dwordx2 v[6:7], v6, s[22:23]
	s_waitcnt vmcnt(0)
	v_cmp_ne_u64_e32 vcc_lo, v[4:5], v[6:7]
	v_cndmask_b32_e64 v23, 0, 1, vcc_lo
.LBB124_51:
	s_or_b32 exec_lo, exec_lo, s0
	v_or_b32_e32 v3, 0x300, v0
	v_cmp_gt_u32_e64 s3, s27, v3
	s_and_saveexec_b32 s0, s3
	s_cbranch_execz .LBB124_53
; %bb.52:
	s_waitcnt lgkmcnt(0)
	v_lshlrev_b32_e32 v6, 3, v3
	v_add_co_u32 v11, s1, s28, v3
	v_add_co_ci_u32_e64 v12, null, s29, 0, s1
	s_clause 0x1
	global_load_dwordx2 v[4:5], v6, s[10:11]
	global_load_dwordx2 v[6:7], v6, s[22:23]
	s_waitcnt vmcnt(0)
	v_cmp_ne_u64_e32 vcc_lo, v[4:5], v[6:7]
	v_cndmask_b32_e64 v22, 0, 1, vcc_lo
.LBB124_53:
	s_or_b32 exec_lo, exec_lo, s0
	v_or_b32_e32 v3, 0x400, v0
	v_mov_b32_e32 v7, 0
	v_mov_b32_e32 v9, 0
	;; [unrolled: 1-line block ×5, first 2 shown]
	v_cmp_gt_u32_e64 s2, s27, v3
	v_mov_b32_e32 v21, 0
	s_and_saveexec_b32 s0, s2
	s_cbranch_execz .LBB124_55
; %bb.54:
	s_waitcnt lgkmcnt(0)
	v_lshlrev_b32_e32 v6, 3, v3
	v_add_co_u32 v9, s1, s28, v3
	v_add_co_ci_u32_e64 v10, null, s29, 0, s1
	s_clause 0x1
	global_load_dwordx2 v[4:5], v6, s[10:11]
	global_load_dwordx2 v[18:19], v6, s[22:23]
	s_waitcnt vmcnt(0)
	v_cmp_ne_u64_e32 vcc_lo, v[4:5], v[18:19]
	v_cndmask_b32_e64 v21, 0, 1, vcc_lo
.LBB124_55:
	s_or_b32 exec_lo, exec_lo, s0
	v_or_b32_e32 v3, 0x500, v0
	v_cmp_gt_u32_e64 s1, s27, v3
	s_and_saveexec_b32 s0, s1
	s_cbranch_execz .LBB124_57
; %bb.56:
	s_waitcnt lgkmcnt(0)
	v_lshlrev_b32_e32 v6, 3, v3
	v_add_co_u32 v7, s30, s28, v3
	v_add_co_ci_u32_e64 v8, null, s29, 0, s30
	s_clause 0x1
	global_load_dwordx2 v[4:5], v6, s[10:11]
	global_load_dwordx2 v[18:19], v6, s[22:23]
	s_waitcnt vmcnt(0)
	v_cmp_ne_u64_e32 vcc_lo, v[4:5], v[18:19]
	v_cndmask_b32_e64 v20, 0, 1, vcc_lo
.LBB124_57:
	s_or_b32 exec_lo, exec_lo, s0
	v_or_b32_e32 v25, 0x600, v0
	v_mov_b32_e32 v3, 0
	s_waitcnt lgkmcnt(0)
	v_mov_b32_e32 v5, 0
	v_mov_b32_e32 v4, 0
	v_mov_b32_e32 v18, 0
	v_mov_b32_e32 v6, 0
	v_cmp_gt_u32_e64 s0, s27, v25
	v_mov_b32_e32 v19, 0
	s_and_saveexec_b32 s30, s0
	s_cbranch_execz .LBB124_59
; %bb.58:
	v_lshlrev_b32_e32 v5, 3, v25
	s_clause 0x1
	global_load_dwordx2 v[26:27], v5, s[10:11]
	global_load_dwordx2 v[28:29], v5, s[22:23]
	v_add_co_u32 v5, s31, s28, v25
	v_add_co_ci_u32_e64 v6, null, s29, 0, s31
	s_waitcnt vmcnt(0)
	v_cmp_ne_u64_e32 vcc_lo, v[26:27], v[28:29]
	v_cndmask_b32_e64 v19, 0, 1, vcc_lo
.LBB124_59:
	s_or_b32 exec_lo, exec_lo, s30
	v_or_b32_e32 v25, 0x700, v0
	v_cmp_gt_u32_e32 vcc_lo, s27, v25
	s_and_saveexec_b32 s30, vcc_lo
	s_cbranch_execnz .LBB124_78
; %bb.60:
	s_or_b32 exec_lo, exec_lo, s30
	s_and_saveexec_b32 s11, s9
	s_cbranch_execnz .LBB124_79
.LBB124_61:
	s_or_b32 exec_lo, exec_lo, s11
	s_and_saveexec_b32 s10, s8
	s_cbranch_execnz .LBB124_84
.LBB124_62:
	s_or_b32 exec_lo, exec_lo, s10
	s_and_saveexec_b32 s9, s3
	s_cbranch_execnz .LBB124_89
.LBB124_63:
	s_or_b32 exec_lo, exec_lo, s9
	s_and_saveexec_b32 s8, s2
	s_cbranch_execnz .LBB124_94
.LBB124_64:
	s_or_b32 exec_lo, exec_lo, s8
	s_and_saveexec_b32 s3, s1
	s_cbranch_execnz .LBB124_99
.LBB124_65:
	s_or_b32 exec_lo, exec_lo, s3
	s_and_saveexec_b32 s2, s0
	s_cbranch_execnz .LBB124_104
.LBB124_66:
	s_or_b32 exec_lo, exec_lo, s2
	s_and_saveexec_b32 s1, vcc_lo
	s_cbranch_execnz .LBB124_109
	s_branch .LBB124_114
.LBB124_67:
                                        ; implicit-def: $vgpr1_vgpr2
                                        ; implicit-def: $vgpr9
	s_cbranch_execz .LBB124_242
; %bb.68:
	v_mov_b32_e32 v7, 0
	v_mov_b32_e32 v1, 0
	;; [unrolled: 1-line block ×6, first 2 shown]
	s_sub_i32 s10, s14, s10
	s_mov_b32 s0, exec_lo
	v_cmpx_gt_u32_e64 s10, v0
	s_cbranch_execz .LBB124_70
; %bb.69:
	v_lshlrev_b32_e32 v1, 3, v0
	s_waitcnt lgkmcnt(0)
	s_clause 0x1
	global_load_dwordx2 v[3:4], v1, s[2:3]
	global_load_dwordx2 v[5:6], v1, s[8:9]
	v_add_co_u32 v1, s1, s11, v0
	v_add_co_ci_u32_e64 v2, null, s23, 0, s1
	s_waitcnt vmcnt(0)
	v_cmp_ne_u64_e32 vcc_lo, v[3:4], v[5:6]
	v_cndmask_b32_e64 v9, 0, 1, vcc_lo
.LBB124_70:
	s_or_b32 exec_lo, exec_lo, s0
	s_waitcnt lgkmcnt(1)
	v_or_b32_e32 v3, 0x100, v0
	v_cmp_gt_u32_e64 s1, s10, v3
	s_and_saveexec_b32 s0, s1
	s_cbranch_execz .LBB124_72
; %bb.71:
	s_waitcnt lgkmcnt(0)
	v_lshlrev_b32_e32 v6, 3, v3
	v_add_co_u32 v7, s26, s11, v3
	v_add_co_ci_u32_e64 v8, null, s23, 0, s26
	s_clause 0x1
	global_load_dwordx2 v[4:5], v6, s[2:3]
	global_load_dwordx2 v[10:11], v6, s[8:9]
	s_waitcnt vmcnt(0)
	v_cmp_ne_u64_e32 vcc_lo, v[4:5], v[10:11]
	v_cndmask_b32_e64 v12, 0, 1, vcc_lo
.LBB124_72:
	s_or_b32 exec_lo, exec_lo, s0
	v_or_b32_e32 v13, 0x200, v0
	s_waitcnt lgkmcnt(0)
	v_mov_b32_e32 v3, 0
	v_mov_b32_e32 v5, 0
	;; [unrolled: 1-line block ×5, first 2 shown]
	v_cmp_gt_u32_e64 s0, s10, v13
	v_mov_b32_e32 v11, 0
	s_and_saveexec_b32 s26, s0
	s_cbranch_execz .LBB124_74
; %bb.73:
	v_lshlrev_b32_e32 v5, 3, v13
	s_clause 0x1
	global_load_dwordx2 v[14:15], v5, s[2:3]
	global_load_dwordx2 v[16:17], v5, s[8:9]
	v_add_co_u32 v5, s27, s11, v13
	v_add_co_ci_u32_e64 v6, null, s23, 0, s27
	s_waitcnt vmcnt(0)
	v_cmp_ne_u64_e32 vcc_lo, v[14:15], v[16:17]
	v_cndmask_b32_e64 v11, 0, 1, vcc_lo
.LBB124_74:
	s_or_b32 exec_lo, exec_lo, s26
	v_or_b32_e32 v13, 0x300, v0
	v_cmp_gt_u32_e32 vcc_lo, s10, v13
	s_and_saveexec_b32 s26, vcc_lo
	s_cbranch_execnz .LBB124_173
; %bb.75:
	s_or_b32 exec_lo, exec_lo, s26
	s_and_saveexec_b32 s3, s1
	s_cbranch_execnz .LBB124_174
.LBB124_76:
	s_or_b32 exec_lo, exec_lo, s3
	s_and_saveexec_b32 s2, s0
	s_cbranch_execnz .LBB124_179
.LBB124_77:
	s_or_b32 exec_lo, exec_lo, s2
	s_and_saveexec_b32 s1, vcc_lo
	s_cbranch_execnz .LBB124_184
	s_branch .LBB124_189
.LBB124_78:
	v_lshlrev_b32_e32 v3, 3, v25
	s_clause 0x1
	global_load_dwordx2 v[26:27], v3, s[10:11]
	global_load_dwordx2 v[28:29], v3, s[22:23]
	v_add_co_u32 v3, s10, s28, v25
	v_add_co_ci_u32_e64 v4, null, s29, 0, s10
	s_waitcnt vmcnt(0)
	v_cmp_ne_u64_e64 s10, v[26:27], v[28:29]
	v_cndmask_b32_e64 v18, 0, 1, s10
	s_or_b32 exec_lo, exec_lo, s30
	s_and_saveexec_b32 s11, s9
	s_cbranch_execz .LBB124_61
.LBB124_79:
	v_and_b32_e32 v17, 1, v17
	v_and_b32_e32 v25, 1, v24
	v_cmp_eq_u32_e64 s9, 1, v17
	v_cmp_eq_u32_e64 s10, 1, v25
                                        ; implicit-def: $vgpr17
	s_and_b32 s10, s9, s10
	s_xor_b32 s10, s10, -1
	s_and_saveexec_b32 s22, s10
	s_xor_b32 s10, exec_lo, s22
; %bb.80:
	v_and_b32_e32 v17, 0xffff, v24
	v_cndmask_b32_e64 v2, v16, v2, s9
	v_cndmask_b32_e64 v1, v15, v1, s9
                                        ; implicit-def: $vgpr15_vgpr16
	v_cndmask_b32_e64 v17, v17, 1, s9
; %bb.81:
	s_andn2_saveexec_b32 s10, s10
; %bb.82:
	v_cmp_lt_i64_e64 s9, v[15:16], v[1:2]
	v_mov_b32_e32 v17, 1
	v_cndmask_b32_e64 v2, v2, v16, s9
	v_cndmask_b32_e64 v1, v1, v15, s9
; %bb.83:
	s_or_b32 exec_lo, exec_lo, s10
	s_or_b32 exec_lo, exec_lo, s11
	s_and_saveexec_b32 s10, s8
	s_cbranch_execz .LBB124_62
.LBB124_84:
	v_and_b32_e32 v15, 1, v17
	v_and_b32_e32 v16, 1, v23
                                        ; implicit-def: $vgpr17
	v_cmp_eq_u32_e64 s8, 1, v15
	v_cmp_eq_u32_e64 s9, 1, v16
	s_and_b32 s9, s8, s9
	s_xor_b32 s9, s9, -1
	s_and_saveexec_b32 s11, s9
	s_xor_b32 s9, exec_lo, s11
; %bb.85:
	v_and_b32_e32 v15, 0xffff, v23
	v_cndmask_b32_e64 v2, v14, v2, s8
	v_cndmask_b32_e64 v1, v13, v1, s8
                                        ; implicit-def: $vgpr13_vgpr14
	v_cndmask_b32_e64 v17, v15, 1, s8
; %bb.86:
	s_andn2_saveexec_b32 s9, s9
; %bb.87:
	v_cmp_lt_i64_e64 s8, v[13:14], v[1:2]
	v_mov_b32_e32 v17, 1
	v_cndmask_b32_e64 v2, v2, v14, s8
	v_cndmask_b32_e64 v1, v1, v13, s8
; %bb.88:
	s_or_b32 exec_lo, exec_lo, s9
	s_or_b32 exec_lo, exec_lo, s10
	s_and_saveexec_b32 s9, s3
	s_cbranch_execz .LBB124_63
.LBB124_89:
	v_and_b32_e32 v13, 1, v17
	v_and_b32_e32 v14, 1, v22
                                        ; implicit-def: $vgpr17
	v_cmp_eq_u32_e64 s3, 1, v13
	v_cmp_eq_u32_e64 s8, 1, v14
	s_and_b32 s8, s3, s8
	s_xor_b32 s8, s8, -1
	s_and_saveexec_b32 s10, s8
	s_xor_b32 s8, exec_lo, s10
; %bb.90:
	v_and_b32_e32 v13, 0xffff, v22
	v_cndmask_b32_e64 v2, v12, v2, s3
	v_cndmask_b32_e64 v1, v11, v1, s3
                                        ; implicit-def: $vgpr11_vgpr12
	v_cndmask_b32_e64 v17, v13, 1, s3
; %bb.91:
	s_andn2_saveexec_b32 s8, s8
; %bb.92:
	v_cmp_lt_i64_e64 s3, v[11:12], v[1:2]
	v_mov_b32_e32 v17, 1
	v_cndmask_b32_e64 v2, v2, v12, s3
	v_cndmask_b32_e64 v1, v1, v11, s3
; %bb.93:
	s_or_b32 exec_lo, exec_lo, s8
	s_or_b32 exec_lo, exec_lo, s9
	s_and_saveexec_b32 s8, s2
	s_cbranch_execz .LBB124_64
.LBB124_94:
	v_and_b32_e32 v11, 1, v17
	v_and_b32_e32 v12, 1, v21
                                        ; implicit-def: $vgpr17
	v_cmp_eq_u32_e64 s2, 1, v11
	v_cmp_eq_u32_e64 s3, 1, v12
	s_and_b32 s3, s2, s3
	s_xor_b32 s3, s3, -1
	s_and_saveexec_b32 s9, s3
	s_xor_b32 s3, exec_lo, s9
; %bb.95:
	v_and_b32_e32 v11, 0xffff, v21
	v_cndmask_b32_e64 v2, v10, v2, s2
	v_cndmask_b32_e64 v1, v9, v1, s2
                                        ; implicit-def: $vgpr9_vgpr10
	v_cndmask_b32_e64 v17, v11, 1, s2
; %bb.96:
	s_andn2_saveexec_b32 s3, s3
; %bb.97:
	v_cmp_lt_i64_e64 s2, v[9:10], v[1:2]
	v_mov_b32_e32 v17, 1
	v_cndmask_b32_e64 v2, v2, v10, s2
	v_cndmask_b32_e64 v1, v1, v9, s2
; %bb.98:
	s_or_b32 exec_lo, exec_lo, s3
	s_or_b32 exec_lo, exec_lo, s8
	s_and_saveexec_b32 s3, s1
	s_cbranch_execz .LBB124_65
.LBB124_99:
	v_and_b32_e32 v9, 1, v17
	v_and_b32_e32 v10, 1, v20
                                        ; implicit-def: $vgpr17
	v_cmp_eq_u32_e64 s1, 1, v9
	v_cmp_eq_u32_e64 s2, 1, v10
	s_and_b32 s2, s1, s2
	s_xor_b32 s2, s2, -1
	s_and_saveexec_b32 s8, s2
	s_xor_b32 s2, exec_lo, s8
; %bb.100:
	v_and_b32_e32 v9, 0xffff, v20
	v_cndmask_b32_e64 v2, v8, v2, s1
	v_cndmask_b32_e64 v1, v7, v1, s1
                                        ; implicit-def: $vgpr7_vgpr8
	v_cndmask_b32_e64 v17, v9, 1, s1
; %bb.101:
	s_andn2_saveexec_b32 s2, s2
; %bb.102:
	v_cmp_lt_i64_e64 s1, v[7:8], v[1:2]
	v_mov_b32_e32 v17, 1
	v_cndmask_b32_e64 v2, v2, v8, s1
	v_cndmask_b32_e64 v1, v1, v7, s1
; %bb.103:
	s_or_b32 exec_lo, exec_lo, s2
	s_or_b32 exec_lo, exec_lo, s3
	s_and_saveexec_b32 s2, s0
	s_cbranch_execz .LBB124_66
.LBB124_104:
	v_and_b32_e32 v7, 1, v17
	v_and_b32_e32 v8, 1, v19
                                        ; implicit-def: $vgpr17
	v_cmp_eq_u32_e64 s0, 1, v7
	v_cmp_eq_u32_e64 s1, 1, v8
	s_and_b32 s1, s0, s1
	s_xor_b32 s1, s1, -1
	s_and_saveexec_b32 s3, s1
	s_xor_b32 s1, exec_lo, s3
; %bb.105:
	v_and_b32_e32 v7, 0xffff, v19
	v_cndmask_b32_e64 v2, v6, v2, s0
	v_cndmask_b32_e64 v1, v5, v1, s0
                                        ; implicit-def: $vgpr5_vgpr6
	v_cndmask_b32_e64 v17, v7, 1, s0
; %bb.106:
	s_andn2_saveexec_b32 s1, s1
; %bb.107:
	v_cmp_lt_i64_e64 s0, v[5:6], v[1:2]
	v_mov_b32_e32 v17, 1
	v_cndmask_b32_e64 v2, v2, v6, s0
	v_cndmask_b32_e64 v1, v1, v5, s0
; %bb.108:
	s_or_b32 exec_lo, exec_lo, s1
	s_or_b32 exec_lo, exec_lo, s2
	s_and_saveexec_b32 s1, vcc_lo
	s_cbranch_execz .LBB124_114
.LBB124_109:
	v_and_b32_e32 v5, 1, v17
	v_and_b32_e32 v6, 1, v18
                                        ; implicit-def: $vgpr17
	v_cmp_eq_u32_e32 vcc_lo, 1, v5
	v_cmp_eq_u32_e64 s0, 1, v6
	s_and_b32 s0, vcc_lo, s0
	s_xor_b32 s0, s0, -1
	s_and_saveexec_b32 s2, s0
	s_xor_b32 s0, exec_lo, s2
; %bb.110:
	v_and_b32_e32 v5, 0xffff, v18
	v_cndmask_b32_e32 v2, v4, v2, vcc_lo
	v_cndmask_b32_e32 v1, v3, v1, vcc_lo
                                        ; implicit-def: $vgpr3_vgpr4
	v_cndmask_b32_e64 v17, v5, 1, vcc_lo
; %bb.111:
	s_andn2_saveexec_b32 s0, s0
; %bb.112:
	v_cmp_lt_i64_e32 vcc_lo, v[3:4], v[1:2]
	v_mov_b32_e32 v17, 1
	v_cndmask_b32_e32 v2, v2, v4, vcc_lo
	v_cndmask_b32_e32 v1, v1, v3, vcc_lo
; %bb.113:
	s_or_b32 exec_lo, exec_lo, s0
.LBB124_114:
	s_or_b32 exec_lo, exec_lo, s1
	v_mbcnt_lo_u32_b32 v5, -1, 0
	v_and_b32_e32 v6, 0xe0, v0
	s_min_u32 s0, s27, 0x100
	s_mov_b32 s1, exec_lo
	v_cmp_ne_u32_e32 vcc_lo, 31, v5
	v_sub_nc_u32_e64 v6, s0, v6 clamp
	v_add_nc_u32_e32 v8, 1, v5
	v_add_co_ci_u32_e64 v3, null, 0, v5, vcc_lo
	v_lshlrev_b32_e32 v4, 2, v3
	ds_bpermute_b32 v7, v4, v17
	ds_bpermute_b32 v3, v4, v1
	;; [unrolled: 1-line block ×3, first 2 shown]
	v_cmpx_lt_u32_e64 v8, v6
	s_xor_b32 s1, exec_lo, s1
	s_cbranch_execz .LBB124_120
; %bb.115:
	s_waitcnt lgkmcnt(2)
	v_and_b32_e32 v8, v7, v17
	s_mov_b32 s2, exec_lo
	v_cmpx_ne_u32_e32 0, v8
	s_xor_b32 s2, exec_lo, s2
	s_cbranch_execz .LBB124_117
; %bb.116:
	s_waitcnt lgkmcnt(0)
	v_cmp_lt_i64_e32 vcc_lo, v[3:4], v[1:2]
                                        ; implicit-def: $vgpr17
                                        ; implicit-def: $vgpr7
	v_cndmask_b32_e32 v2, v2, v4, vcc_lo
	v_cndmask_b32_e32 v1, v1, v3, vcc_lo
                                        ; implicit-def: $vgpr3_vgpr4
.LBB124_117:
	s_or_saveexec_b32 s2, s2
	v_mov_b32_e32 v8, 1
	s_xor_b32 exec_lo, exec_lo, s2
	s_cbranch_execz .LBB124_119
; %bb.118:
	v_and_b32_e32 v8, 1, v17
	v_and_b32_e32 v7, 0xff, v7
	v_cmp_eq_u32_e32 vcc_lo, 1, v8
	s_waitcnt lgkmcnt(0)
	v_cndmask_b32_e32 v2, v4, v2, vcc_lo
	v_cndmask_b32_e32 v1, v3, v1, vcc_lo
	v_cndmask_b32_e64 v8, v7, 1, vcc_lo
.LBB124_119:
	s_or_b32 exec_lo, exec_lo, s2
	v_mov_b32_e32 v17, v8
.LBB124_120:
	s_or_b32 exec_lo, exec_lo, s1
	v_cmp_gt_u32_e32 vcc_lo, 30, v5
	v_add_nc_u32_e32 v8, 2, v5
	s_mov_b32 s1, exec_lo
	s_waitcnt lgkmcnt(1)
	v_cndmask_b32_e64 v3, 0, 2, vcc_lo
	s_waitcnt lgkmcnt(0)
	v_add_lshl_u32 v4, v3, v5, 2
	ds_bpermute_b32 v7, v4, v17
	ds_bpermute_b32 v3, v4, v1
	ds_bpermute_b32 v4, v4, v2
	v_cmpx_lt_u32_e64 v8, v6
	s_cbranch_execz .LBB124_126
; %bb.121:
	s_waitcnt lgkmcnt(2)
	v_and_b32_e32 v8, v17, v7
	s_mov_b32 s2, exec_lo
	v_and_b32_e32 v8, 1, v8
	v_cmpx_eq_u32_e32 1, v8
	s_xor_b32 s2, exec_lo, s2
	s_cbranch_execz .LBB124_123
; %bb.122:
	s_waitcnt lgkmcnt(0)
	v_cmp_lt_i64_e32 vcc_lo, v[3:4], v[1:2]
                                        ; implicit-def: $vgpr17
                                        ; implicit-def: $vgpr7
	v_cndmask_b32_e32 v2, v2, v4, vcc_lo
	v_cndmask_b32_e32 v1, v1, v3, vcc_lo
                                        ; implicit-def: $vgpr3_vgpr4
.LBB124_123:
	s_or_saveexec_b32 s2, s2
	v_mov_b32_e32 v8, 1
	s_xor_b32 exec_lo, exec_lo, s2
	s_cbranch_execz .LBB124_125
; %bb.124:
	v_and_b32_e32 v8, 1, v17
	v_and_b32_e32 v7, 0xff, v7
	v_cmp_eq_u32_e32 vcc_lo, 1, v8
	s_waitcnt lgkmcnt(0)
	v_cndmask_b32_e32 v2, v4, v2, vcc_lo
	v_cndmask_b32_e32 v1, v3, v1, vcc_lo
	v_cndmask_b32_e64 v8, v7, 1, vcc_lo
.LBB124_125:
	s_or_b32 exec_lo, exec_lo, s2
	v_mov_b32_e32 v17, v8
.LBB124_126:
	s_or_b32 exec_lo, exec_lo, s1
	v_cmp_gt_u32_e32 vcc_lo, 28, v5
	v_add_nc_u32_e32 v8, 4, v5
	s_mov_b32 s1, exec_lo
	s_waitcnt lgkmcnt(1)
	v_cndmask_b32_e64 v3, 0, 4, vcc_lo
	s_waitcnt lgkmcnt(0)
	v_add_lshl_u32 v4, v3, v5, 2
	ds_bpermute_b32 v7, v4, v17
	ds_bpermute_b32 v3, v4, v1
	ds_bpermute_b32 v4, v4, v2
	v_cmpx_lt_u32_e64 v8, v6
	s_cbranch_execz .LBB124_132
; %bb.127:
	s_waitcnt lgkmcnt(2)
	v_and_b32_e32 v8, v17, v7
	s_mov_b32 s2, exec_lo
	v_and_b32_e32 v8, 1, v8
	v_cmpx_eq_u32_e32 1, v8
	s_xor_b32 s2, exec_lo, s2
	s_cbranch_execz .LBB124_129
; %bb.128:
	s_waitcnt lgkmcnt(0)
	v_cmp_lt_i64_e32 vcc_lo, v[3:4], v[1:2]
                                        ; implicit-def: $vgpr17
                                        ; implicit-def: $vgpr7
	v_cndmask_b32_e32 v2, v2, v4, vcc_lo
	v_cndmask_b32_e32 v1, v1, v3, vcc_lo
                                        ; implicit-def: $vgpr3_vgpr4
.LBB124_129:
	s_or_saveexec_b32 s2, s2
	v_mov_b32_e32 v8, 1
	s_xor_b32 exec_lo, exec_lo, s2
	s_cbranch_execz .LBB124_131
; %bb.130:
	v_and_b32_e32 v8, 1, v17
	v_and_b32_e32 v7, 0xff, v7
	v_cmp_eq_u32_e32 vcc_lo, 1, v8
	s_waitcnt lgkmcnt(0)
	v_cndmask_b32_e32 v2, v4, v2, vcc_lo
	v_cndmask_b32_e32 v1, v3, v1, vcc_lo
	v_cndmask_b32_e64 v8, v7, 1, vcc_lo
.LBB124_131:
	s_or_b32 exec_lo, exec_lo, s2
	v_mov_b32_e32 v17, v8
.LBB124_132:
	;; [unrolled: 46-line block ×3, first 2 shown]
	s_or_b32 exec_lo, exec_lo, s1
	s_waitcnt lgkmcnt(2)
	v_lshlrev_b32_e32 v7, 2, v5
	v_add_nc_u32_e32 v9, 16, v5
	s_waitcnt lgkmcnt(0)
	v_or_b32_e32 v4, 64, v7
	v_cmp_lt_u32_e32 vcc_lo, v9, v6
	v_mov_b32_e32 v6, v17
	ds_bpermute_b32 v8, v4, v17
	ds_bpermute_b32 v3, v4, v1
	;; [unrolled: 1-line block ×3, first 2 shown]
	s_and_saveexec_b32 s1, vcc_lo
	s_cbranch_execz .LBB124_144
; %bb.139:
	s_waitcnt lgkmcnt(2)
	v_and_b32_e32 v6, v17, v8
	s_mov_b32 s2, exec_lo
	v_and_b32_e32 v6, 1, v6
	v_cmpx_eq_u32_e32 1, v6
	s_xor_b32 s2, exec_lo, s2
	s_cbranch_execz .LBB124_141
; %bb.140:
	s_waitcnt lgkmcnt(0)
	v_cmp_lt_i64_e32 vcc_lo, v[3:4], v[1:2]
                                        ; implicit-def: $vgpr17
                                        ; implicit-def: $vgpr8
	v_cndmask_b32_e32 v2, v2, v4, vcc_lo
	v_cndmask_b32_e32 v1, v1, v3, vcc_lo
                                        ; implicit-def: $vgpr3_vgpr4
.LBB124_141:
	s_or_saveexec_b32 s2, s2
	v_mov_b32_e32 v6, 1
	s_xor_b32 exec_lo, exec_lo, s2
	s_cbranch_execz .LBB124_143
; %bb.142:
	v_and_b32_e32 v6, 1, v17
	v_cmp_eq_u32_e32 vcc_lo, 1, v6
	v_cndmask_b32_e64 v6, v8, 1, vcc_lo
	s_waitcnt lgkmcnt(0)
	v_cndmask_b32_e32 v2, v4, v2, vcc_lo
	v_cndmask_b32_e32 v1, v3, v1, vcc_lo
.LBB124_143:
	s_or_b32 exec_lo, exec_lo, s2
	v_and_b32_e32 v17, 0xff, v6
.LBB124_144:
	s_or_b32 exec_lo, exec_lo, s1
	s_mov_b32 s1, exec_lo
	v_cmpx_eq_u32_e32 0, v5
	s_cbranch_execz .LBB124_146
; %bb.145:
	s_waitcnt lgkmcnt(1)
	v_lshrrev_b32_e32 v3, 1, v0
	v_and_b32_e32 v3, 0x70, v3
	ds_write_b8 v3, v6 offset:512
	ds_write_b64 v3, v[1:2] offset:520
.LBB124_146:
	s_or_b32 exec_lo, exec_lo, s1
	s_mov_b32 s1, exec_lo
	s_waitcnt lgkmcnt(0)
	s_barrier
	buffer_gl0_inv
	v_cmpx_gt_u32_e32 8, v0
	s_cbranch_execz .LBB124_166
; %bb.147:
	v_lshlrev_b32_e32 v1, 4, v5
	v_and_b32_e32 v6, 7, v5
	s_add_i32 s0, s0, 31
	s_mov_b32 s2, exec_lo
	s_lshr_b32 s0, s0, 5
	ds_read_u8 v8, v1 offset:512
	ds_read_b64 v[1:2], v1 offset:520
	v_cmp_ne_u32_e32 vcc_lo, 7, v6
	v_add_nc_u32_e32 v10, 1, v6
	v_add_co_ci_u32_e64 v3, null, 0, v5, vcc_lo
	v_lshlrev_b32_e32 v4, 2, v3
	s_waitcnt lgkmcnt(1)
	v_and_b32_e32 v17, 0xff, v8
	s_waitcnt lgkmcnt(0)
	ds_bpermute_b32 v3, v4, v1
	ds_bpermute_b32 v9, v4, v17
	;; [unrolled: 1-line block ×3, first 2 shown]
	v_cmpx_gt_u32_e64 s0, v10
	s_cbranch_execz .LBB124_153
; %bb.148:
	s_waitcnt lgkmcnt(1)
	v_and_b32_e32 v10, v17, v9
	s_mov_b32 s3, exec_lo
	v_and_b32_e32 v10, 1, v10
	v_cmpx_eq_u32_e32 1, v10
	s_xor_b32 s3, exec_lo, s3
	s_cbranch_execz .LBB124_150
; %bb.149:
	s_waitcnt lgkmcnt(0)
	v_cmp_lt_i64_e32 vcc_lo, v[3:4], v[1:2]
                                        ; implicit-def: $vgpr8
                                        ; implicit-def: $vgpr9
	v_cndmask_b32_e32 v2, v2, v4, vcc_lo
	v_cndmask_b32_e32 v1, v1, v3, vcc_lo
                                        ; implicit-def: $vgpr3_vgpr4
.LBB124_150:
	s_or_saveexec_b32 s3, s3
	v_mov_b32_e32 v17, 1
	s_xor_b32 exec_lo, exec_lo, s3
	s_cbranch_execz .LBB124_152
; %bb.151:
	v_and_b32_e32 v8, 1, v8
	v_cmp_eq_u32_e32 vcc_lo, 1, v8
	v_and_b32_e32 v8, 0xff, v9
	s_waitcnt lgkmcnt(0)
	v_cndmask_b32_e32 v2, v4, v2, vcc_lo
	v_cndmask_b32_e32 v1, v3, v1, vcc_lo
	v_cndmask_b32_e64 v17, v8, 1, vcc_lo
.LBB124_152:
	s_or_b32 exec_lo, exec_lo, s3
.LBB124_153:
	s_or_b32 exec_lo, exec_lo, s2
	v_cmp_gt_u32_e32 vcc_lo, 6, v6
	v_add_nc_u32_e32 v8, 2, v6
	s_mov_b32 s2, exec_lo
	s_waitcnt lgkmcnt(2)
	v_cndmask_b32_e64 v3, 0, 2, vcc_lo
	s_waitcnt lgkmcnt(0)
	v_add_lshl_u32 v4, v3, v5, 2
	ds_bpermute_b32 v5, v4, v17
	ds_bpermute_b32 v3, v4, v1
	;; [unrolled: 1-line block ×3, first 2 shown]
	v_cmpx_gt_u32_e64 s0, v8
	s_cbranch_execz .LBB124_159
; %bb.154:
	s_waitcnt lgkmcnt(2)
	v_and_b32_e32 v8, v17, v5
	s_mov_b32 s3, exec_lo
	v_and_b32_e32 v8, 1, v8
	v_cmpx_eq_u32_e32 1, v8
	s_xor_b32 s3, exec_lo, s3
	s_cbranch_execz .LBB124_156
; %bb.155:
	s_waitcnt lgkmcnt(0)
	v_cmp_lt_i64_e32 vcc_lo, v[3:4], v[1:2]
                                        ; implicit-def: $vgpr17
                                        ; implicit-def: $vgpr5
	v_cndmask_b32_e32 v2, v2, v4, vcc_lo
	v_cndmask_b32_e32 v1, v1, v3, vcc_lo
                                        ; implicit-def: $vgpr3_vgpr4
.LBB124_156:
	s_or_saveexec_b32 s3, s3
	v_mov_b32_e32 v8, 1
	s_xor_b32 exec_lo, exec_lo, s3
	s_cbranch_execz .LBB124_158
; %bb.157:
	v_and_b32_e32 v8, 1, v17
	v_and_b32_e32 v5, 0xff, v5
	v_cmp_eq_u32_e32 vcc_lo, 1, v8
	s_waitcnt lgkmcnt(0)
	v_cndmask_b32_e32 v2, v4, v2, vcc_lo
	v_cndmask_b32_e32 v1, v3, v1, vcc_lo
	v_cndmask_b32_e64 v8, v5, 1, vcc_lo
.LBB124_158:
	s_or_b32 exec_lo, exec_lo, s3
	v_mov_b32_e32 v17, v8
.LBB124_159:
	s_or_b32 exec_lo, exec_lo, s2
	s_waitcnt lgkmcnt(0)
	v_or_b32_e32 v4, 16, v7
	v_add_nc_u32_e32 v6, 4, v6
	ds_bpermute_b32 v5, v4, v17
	ds_bpermute_b32 v3, v4, v1
	;; [unrolled: 1-line block ×3, first 2 shown]
	v_cmp_gt_u32_e32 vcc_lo, s0, v6
	s_and_saveexec_b32 s0, vcc_lo
	s_cbranch_execz .LBB124_165
; %bb.160:
	s_waitcnt lgkmcnt(2)
	v_and_b32_e32 v6, v17, v5
	s_mov_b32 s2, exec_lo
	v_and_b32_e32 v6, 1, v6
	v_cmpx_eq_u32_e32 1, v6
	s_xor_b32 s2, exec_lo, s2
	s_cbranch_execz .LBB124_162
; %bb.161:
	s_waitcnt lgkmcnt(0)
	v_cmp_lt_i64_e32 vcc_lo, v[3:4], v[1:2]
                                        ; implicit-def: $vgpr17
                                        ; implicit-def: $vgpr5
	v_cndmask_b32_e32 v2, v2, v4, vcc_lo
	v_cndmask_b32_e32 v1, v1, v3, vcc_lo
                                        ; implicit-def: $vgpr3_vgpr4
.LBB124_162:
	s_or_saveexec_b32 s2, s2
	v_mov_b32_e32 v6, 1
	s_xor_b32 exec_lo, exec_lo, s2
	s_cbranch_execz .LBB124_164
; %bb.163:
	v_and_b32_e32 v6, 1, v17
	v_cmp_eq_u32_e32 vcc_lo, 1, v6
	s_waitcnt lgkmcnt(0)
	v_cndmask_b32_e32 v2, v4, v2, vcc_lo
	v_cndmask_b32_e32 v1, v3, v1, vcc_lo
	v_cndmask_b32_e64 v6, v5, 1, vcc_lo
.LBB124_164:
	s_or_b32 exec_lo, exec_lo, s2
	v_mov_b32_e32 v17, v6
.LBB124_165:
	s_or_b32 exec_lo, exec_lo, s0
.LBB124_166:
	s_or_b32 exec_lo, exec_lo, s1
.LBB124_167:
	s_mov_b32 s22, 0
                                        ; implicit-def: $vgpr3_vgpr4
                                        ; implicit-def: $vgpr5
	s_mov_b32 s0, exec_lo
	v_cmpx_eq_u32_e32 0, v0
	s_xor_b32 s2, exec_lo, s0
	s_cbranch_execz .LBB124_171
; %bb.168:
	s_waitcnt lgkmcnt(0)
	v_mov_b32_e32 v3, s20
	v_mov_b32_e32 v4, s21
	;; [unrolled: 1-line block ×3, first 2 shown]
	s_cmp_eq_u64 s[14:15], 0
	s_cbranch_scc1 .LBB124_170
; %bb.169:
	v_and_b32_e32 v3, 1, v17
	v_cmp_gt_i64_e32 vcc_lo, s[20:21], v[1:2]
	s_bitcmp1_b32 s24, 0
	s_cselect_b32 s1, -1, 0
	v_cmp_eq_u32_e64 s0, 1, v3
	v_cndmask_b32_e64 v5, v17, 1, s1
	s_and_b32 vcc_lo, s0, vcc_lo
	v_cndmask_b32_e32 v3, s20, v1, vcc_lo
	v_cndmask_b32_e32 v4, s21, v2, vcc_lo
	v_cndmask_b32_e64 v3, v1, v3, s1
	v_cndmask_b32_e64 v4, v2, v4, s1
.LBB124_170:
	s_mov_b32 s22, exec_lo
.LBB124_171:
	s_or_b32 exec_lo, exec_lo, s2
	v_mov_b32_e32 v1, s6
	v_mov_b32_e32 v2, s7
	s_and_b32 vcc_lo, exec_lo, s26
	s_cbranch_vccnz .LBB124_24
.LBB124_172:
	s_branch .LBB124_356
.LBB124_173:
	v_lshlrev_b32_e32 v3, 3, v13
	s_clause 0x1
	global_load_dwordx2 v[14:15], v3, s[2:3]
	global_load_dwordx2 v[16:17], v3, s[8:9]
	v_add_co_u32 v3, s2, s11, v13
	v_add_co_ci_u32_e64 v4, null, s23, 0, s2
	s_waitcnt vmcnt(0)
	v_cmp_ne_u64_e64 s2, v[14:15], v[16:17]
	v_cndmask_b32_e64 v10, 0, 1, s2
	s_or_b32 exec_lo, exec_lo, s26
	s_and_saveexec_b32 s3, s1
	s_cbranch_execz .LBB124_76
.LBB124_174:
	v_and_b32_e32 v9, 1, v9
	v_and_b32_e32 v13, 1, v12
	v_cmp_eq_u32_e64 s1, 1, v9
	v_cmp_eq_u32_e64 s2, 1, v13
                                        ; implicit-def: $vgpr9
	s_and_b32 s2, s1, s2
	s_xor_b32 s2, s2, -1
	s_and_saveexec_b32 s8, s2
	s_xor_b32 s2, exec_lo, s8
; %bb.175:
	v_and_b32_e32 v9, 0xffff, v12
	v_cndmask_b32_e64 v2, v8, v2, s1
	v_cndmask_b32_e64 v1, v7, v1, s1
                                        ; implicit-def: $vgpr7_vgpr8
	v_cndmask_b32_e64 v9, v9, 1, s1
; %bb.176:
	s_andn2_saveexec_b32 s2, s2
; %bb.177:
	v_cmp_lt_i64_e64 s1, v[7:8], v[1:2]
	v_mov_b32_e32 v9, 1
	v_cndmask_b32_e64 v2, v2, v8, s1
	v_cndmask_b32_e64 v1, v1, v7, s1
; %bb.178:
	s_or_b32 exec_lo, exec_lo, s2
	s_or_b32 exec_lo, exec_lo, s3
	s_and_saveexec_b32 s2, s0
	s_cbranch_execz .LBB124_77
.LBB124_179:
	v_and_b32_e32 v7, 1, v9
	v_and_b32_e32 v8, 1, v11
                                        ; implicit-def: $vgpr9
	v_cmp_eq_u32_e64 s0, 1, v7
	v_cmp_eq_u32_e64 s1, 1, v8
	s_and_b32 s1, s0, s1
	s_xor_b32 s1, s1, -1
	s_and_saveexec_b32 s3, s1
	s_xor_b32 s1, exec_lo, s3
; %bb.180:
	v_and_b32_e32 v7, 0xffff, v11
	v_cndmask_b32_e64 v2, v6, v2, s0
	v_cndmask_b32_e64 v1, v5, v1, s0
                                        ; implicit-def: $vgpr5_vgpr6
	v_cndmask_b32_e64 v9, v7, 1, s0
; %bb.181:
	s_andn2_saveexec_b32 s1, s1
; %bb.182:
	v_cmp_lt_i64_e64 s0, v[5:6], v[1:2]
	v_mov_b32_e32 v9, 1
	v_cndmask_b32_e64 v2, v2, v6, s0
	v_cndmask_b32_e64 v1, v1, v5, s0
; %bb.183:
	s_or_b32 exec_lo, exec_lo, s1
	s_or_b32 exec_lo, exec_lo, s2
	s_and_saveexec_b32 s1, vcc_lo
	s_cbranch_execz .LBB124_189
.LBB124_184:
	v_and_b32_e32 v5, 1, v9
	v_and_b32_e32 v6, 1, v10
                                        ; implicit-def: $vgpr9
	v_cmp_eq_u32_e32 vcc_lo, 1, v5
	v_cmp_eq_u32_e64 s0, 1, v6
	s_and_b32 s0, vcc_lo, s0
	s_xor_b32 s0, s0, -1
	s_and_saveexec_b32 s2, s0
	s_xor_b32 s0, exec_lo, s2
; %bb.185:
	v_and_b32_e32 v5, 0xffff, v10
	v_cndmask_b32_e32 v2, v4, v2, vcc_lo
	v_cndmask_b32_e32 v1, v3, v1, vcc_lo
                                        ; implicit-def: $vgpr3_vgpr4
	v_cndmask_b32_e64 v9, v5, 1, vcc_lo
; %bb.186:
	s_andn2_saveexec_b32 s0, s0
; %bb.187:
	v_cmp_lt_i64_e32 vcc_lo, v[3:4], v[1:2]
	v_mov_b32_e32 v9, 1
	v_cndmask_b32_e32 v2, v2, v4, vcc_lo
	v_cndmask_b32_e32 v1, v1, v3, vcc_lo
; %bb.188:
	s_or_b32 exec_lo, exec_lo, s0
.LBB124_189:
	s_or_b32 exec_lo, exec_lo, s1
	v_mbcnt_lo_u32_b32 v5, -1, 0
	v_and_b32_e32 v6, 0xe0, v0
	s_min_u32 s0, s10, 0x100
	s_mov_b32 s1, exec_lo
	v_cmp_ne_u32_e32 vcc_lo, 31, v5
	v_sub_nc_u32_e64 v6, s0, v6 clamp
	v_add_nc_u32_e32 v8, 1, v5
	v_add_co_ci_u32_e64 v3, null, 0, v5, vcc_lo
	v_lshlrev_b32_e32 v4, 2, v3
	ds_bpermute_b32 v7, v4, v9
	ds_bpermute_b32 v3, v4, v1
	;; [unrolled: 1-line block ×3, first 2 shown]
	v_cmpx_lt_u32_e64 v8, v6
	s_xor_b32 s1, exec_lo, s1
	s_cbranch_execz .LBB124_195
; %bb.190:
	s_waitcnt lgkmcnt(2)
	v_and_b32_e32 v8, v7, v9
	s_mov_b32 s2, exec_lo
	v_cmpx_ne_u32_e32 0, v8
	s_xor_b32 s2, exec_lo, s2
	s_cbranch_execz .LBB124_192
; %bb.191:
	s_waitcnt lgkmcnt(0)
	v_cmp_lt_i64_e32 vcc_lo, v[3:4], v[1:2]
                                        ; implicit-def: $vgpr9
                                        ; implicit-def: $vgpr7
	v_cndmask_b32_e32 v2, v2, v4, vcc_lo
	v_cndmask_b32_e32 v1, v1, v3, vcc_lo
                                        ; implicit-def: $vgpr3_vgpr4
.LBB124_192:
	s_or_saveexec_b32 s2, s2
	v_mov_b32_e32 v8, 1
	s_xor_b32 exec_lo, exec_lo, s2
	s_cbranch_execz .LBB124_194
; %bb.193:
	v_and_b32_e32 v8, 1, v9
	v_and_b32_e32 v7, 0xff, v7
	v_cmp_eq_u32_e32 vcc_lo, 1, v8
	s_waitcnt lgkmcnt(0)
	v_cndmask_b32_e32 v2, v4, v2, vcc_lo
	v_cndmask_b32_e32 v1, v3, v1, vcc_lo
	v_cndmask_b32_e64 v8, v7, 1, vcc_lo
.LBB124_194:
	s_or_b32 exec_lo, exec_lo, s2
	v_mov_b32_e32 v9, v8
.LBB124_195:
	s_or_b32 exec_lo, exec_lo, s1
	v_cmp_gt_u32_e32 vcc_lo, 30, v5
	v_add_nc_u32_e32 v8, 2, v5
	s_mov_b32 s1, exec_lo
	s_waitcnt lgkmcnt(1)
	v_cndmask_b32_e64 v3, 0, 2, vcc_lo
	s_waitcnt lgkmcnt(0)
	v_add_lshl_u32 v4, v3, v5, 2
	ds_bpermute_b32 v7, v4, v9
	ds_bpermute_b32 v3, v4, v1
	ds_bpermute_b32 v4, v4, v2
	v_cmpx_lt_u32_e64 v8, v6
	s_cbranch_execz .LBB124_201
; %bb.196:
	s_waitcnt lgkmcnt(2)
	v_and_b32_e32 v8, v9, v7
	s_mov_b32 s2, exec_lo
	v_and_b32_e32 v8, 1, v8
	v_cmpx_eq_u32_e32 1, v8
	s_xor_b32 s2, exec_lo, s2
	s_cbranch_execz .LBB124_198
; %bb.197:
	s_waitcnt lgkmcnt(0)
	v_cmp_lt_i64_e32 vcc_lo, v[3:4], v[1:2]
                                        ; implicit-def: $vgpr9
                                        ; implicit-def: $vgpr7
	v_cndmask_b32_e32 v2, v2, v4, vcc_lo
	v_cndmask_b32_e32 v1, v1, v3, vcc_lo
                                        ; implicit-def: $vgpr3_vgpr4
.LBB124_198:
	s_or_saveexec_b32 s2, s2
	v_mov_b32_e32 v8, 1
	s_xor_b32 exec_lo, exec_lo, s2
	s_cbranch_execz .LBB124_200
; %bb.199:
	v_and_b32_e32 v8, 1, v9
	v_and_b32_e32 v7, 0xff, v7
	v_cmp_eq_u32_e32 vcc_lo, 1, v8
	s_waitcnt lgkmcnt(0)
	v_cndmask_b32_e32 v2, v4, v2, vcc_lo
	v_cndmask_b32_e32 v1, v3, v1, vcc_lo
	v_cndmask_b32_e64 v8, v7, 1, vcc_lo
.LBB124_200:
	s_or_b32 exec_lo, exec_lo, s2
	v_mov_b32_e32 v9, v8
.LBB124_201:
	s_or_b32 exec_lo, exec_lo, s1
	v_cmp_gt_u32_e32 vcc_lo, 28, v5
	v_add_nc_u32_e32 v8, 4, v5
	s_mov_b32 s1, exec_lo
	s_waitcnt lgkmcnt(1)
	v_cndmask_b32_e64 v3, 0, 4, vcc_lo
	s_waitcnt lgkmcnt(0)
	v_add_lshl_u32 v4, v3, v5, 2
	ds_bpermute_b32 v7, v4, v9
	ds_bpermute_b32 v3, v4, v1
	ds_bpermute_b32 v4, v4, v2
	v_cmpx_lt_u32_e64 v8, v6
	s_cbranch_execz .LBB124_207
; %bb.202:
	s_waitcnt lgkmcnt(2)
	v_and_b32_e32 v8, v9, v7
	s_mov_b32 s2, exec_lo
	v_and_b32_e32 v8, 1, v8
	v_cmpx_eq_u32_e32 1, v8
	s_xor_b32 s2, exec_lo, s2
	s_cbranch_execz .LBB124_204
; %bb.203:
	s_waitcnt lgkmcnt(0)
	v_cmp_lt_i64_e32 vcc_lo, v[3:4], v[1:2]
                                        ; implicit-def: $vgpr9
                                        ; implicit-def: $vgpr7
	v_cndmask_b32_e32 v2, v2, v4, vcc_lo
	v_cndmask_b32_e32 v1, v1, v3, vcc_lo
                                        ; implicit-def: $vgpr3_vgpr4
.LBB124_204:
	s_or_saveexec_b32 s2, s2
	v_mov_b32_e32 v8, 1
	s_xor_b32 exec_lo, exec_lo, s2
	s_cbranch_execz .LBB124_206
; %bb.205:
	v_and_b32_e32 v8, 1, v9
	v_and_b32_e32 v7, 0xff, v7
	v_cmp_eq_u32_e32 vcc_lo, 1, v8
	s_waitcnt lgkmcnt(0)
	v_cndmask_b32_e32 v2, v4, v2, vcc_lo
	v_cndmask_b32_e32 v1, v3, v1, vcc_lo
	v_cndmask_b32_e64 v8, v7, 1, vcc_lo
.LBB124_206:
	s_or_b32 exec_lo, exec_lo, s2
	v_mov_b32_e32 v9, v8
.LBB124_207:
	;; [unrolled: 46-line block ×3, first 2 shown]
	s_or_b32 exec_lo, exec_lo, s1
	s_waitcnt lgkmcnt(2)
	v_lshlrev_b32_e32 v7, 2, v5
	v_add_nc_u32_e32 v10, 16, v5
	s_waitcnt lgkmcnt(0)
	v_or_b32_e32 v4, 64, v7
	v_cmp_lt_u32_e32 vcc_lo, v10, v6
	v_mov_b32_e32 v6, v9
	ds_bpermute_b32 v8, v4, v9
	ds_bpermute_b32 v3, v4, v1
	;; [unrolled: 1-line block ×3, first 2 shown]
	s_and_saveexec_b32 s1, vcc_lo
	s_cbranch_execz .LBB124_219
; %bb.214:
	s_waitcnt lgkmcnt(2)
	v_and_b32_e32 v6, v9, v8
	s_mov_b32 s2, exec_lo
	v_and_b32_e32 v6, 1, v6
	v_cmpx_eq_u32_e32 1, v6
	s_xor_b32 s2, exec_lo, s2
	s_cbranch_execz .LBB124_216
; %bb.215:
	s_waitcnt lgkmcnt(0)
	v_cmp_lt_i64_e32 vcc_lo, v[3:4], v[1:2]
                                        ; implicit-def: $vgpr9
                                        ; implicit-def: $vgpr8
	v_cndmask_b32_e32 v2, v2, v4, vcc_lo
	v_cndmask_b32_e32 v1, v1, v3, vcc_lo
                                        ; implicit-def: $vgpr3_vgpr4
.LBB124_216:
	s_or_saveexec_b32 s2, s2
	v_mov_b32_e32 v6, 1
	s_xor_b32 exec_lo, exec_lo, s2
	s_cbranch_execz .LBB124_218
; %bb.217:
	v_and_b32_e32 v6, 1, v9
	v_cmp_eq_u32_e32 vcc_lo, 1, v6
	v_cndmask_b32_e64 v6, v8, 1, vcc_lo
	s_waitcnt lgkmcnt(0)
	v_cndmask_b32_e32 v2, v4, v2, vcc_lo
	v_cndmask_b32_e32 v1, v3, v1, vcc_lo
.LBB124_218:
	s_or_b32 exec_lo, exec_lo, s2
	v_and_b32_e32 v9, 0xff, v6
.LBB124_219:
	s_or_b32 exec_lo, exec_lo, s1
	s_mov_b32 s1, exec_lo
	v_cmpx_eq_u32_e32 0, v5
	s_cbranch_execz .LBB124_221
; %bb.220:
	s_waitcnt lgkmcnt(1)
	v_lshrrev_b32_e32 v3, 1, v0
	v_and_b32_e32 v3, 0x70, v3
	ds_write_b8 v3, v6 offset:512
	ds_write_b64 v3, v[1:2] offset:520
.LBB124_221:
	s_or_b32 exec_lo, exec_lo, s1
	s_mov_b32 s1, exec_lo
	s_waitcnt lgkmcnt(0)
	s_barrier
	buffer_gl0_inv
	v_cmpx_gt_u32_e32 8, v0
	s_cbranch_execz .LBB124_241
; %bb.222:
	v_lshlrev_b32_e32 v1, 4, v5
	v_and_b32_e32 v6, 7, v5
	s_add_i32 s0, s0, 31
	s_mov_b32 s2, exec_lo
	s_lshr_b32 s0, s0, 5
	ds_read_u8 v8, v1 offset:512
	ds_read_b64 v[1:2], v1 offset:520
	v_cmp_ne_u32_e32 vcc_lo, 7, v6
	v_add_nc_u32_e32 v11, 1, v6
	v_add_co_ci_u32_e64 v3, null, 0, v5, vcc_lo
	v_lshlrev_b32_e32 v4, 2, v3
	s_waitcnt lgkmcnt(1)
	v_and_b32_e32 v9, 0xff, v8
	s_waitcnt lgkmcnt(0)
	ds_bpermute_b32 v3, v4, v1
	ds_bpermute_b32 v10, v4, v9
	ds_bpermute_b32 v4, v4, v2
	v_cmpx_gt_u32_e64 s0, v11
	s_cbranch_execz .LBB124_228
; %bb.223:
	s_waitcnt lgkmcnt(1)
	v_and_b32_e32 v9, v9, v10
	s_mov_b32 s3, exec_lo
	v_and_b32_e32 v9, 1, v9
	v_cmpx_eq_u32_e32 1, v9
	s_xor_b32 s3, exec_lo, s3
	s_cbranch_execz .LBB124_225
; %bb.224:
	s_waitcnt lgkmcnt(0)
	v_cmp_lt_i64_e32 vcc_lo, v[3:4], v[1:2]
                                        ; implicit-def: $vgpr8
                                        ; implicit-def: $vgpr10
	v_cndmask_b32_e32 v2, v2, v4, vcc_lo
	v_cndmask_b32_e32 v1, v1, v3, vcc_lo
                                        ; implicit-def: $vgpr3_vgpr4
.LBB124_225:
	s_or_saveexec_b32 s3, s3
	v_mov_b32_e32 v9, 1
	s_xor_b32 exec_lo, exec_lo, s3
	s_cbranch_execz .LBB124_227
; %bb.226:
	v_and_b32_e32 v8, 1, v8
	v_cmp_eq_u32_e32 vcc_lo, 1, v8
	v_and_b32_e32 v8, 0xff, v10
	s_waitcnt lgkmcnt(0)
	v_cndmask_b32_e32 v2, v4, v2, vcc_lo
	v_cndmask_b32_e32 v1, v3, v1, vcc_lo
	v_cndmask_b32_e64 v9, v8, 1, vcc_lo
.LBB124_227:
	s_or_b32 exec_lo, exec_lo, s3
.LBB124_228:
	s_or_b32 exec_lo, exec_lo, s2
	v_cmp_gt_u32_e32 vcc_lo, 6, v6
	v_add_nc_u32_e32 v8, 2, v6
	s_mov_b32 s2, exec_lo
	s_waitcnt lgkmcnt(2)
	v_cndmask_b32_e64 v3, 0, 2, vcc_lo
	s_waitcnt lgkmcnt(0)
	v_add_lshl_u32 v4, v3, v5, 2
	ds_bpermute_b32 v5, v4, v9
	ds_bpermute_b32 v3, v4, v1
	;; [unrolled: 1-line block ×3, first 2 shown]
	v_cmpx_gt_u32_e64 s0, v8
	s_cbranch_execz .LBB124_234
; %bb.229:
	s_waitcnt lgkmcnt(2)
	v_and_b32_e32 v8, v9, v5
	s_mov_b32 s3, exec_lo
	v_and_b32_e32 v8, 1, v8
	v_cmpx_eq_u32_e32 1, v8
	s_xor_b32 s3, exec_lo, s3
	s_cbranch_execz .LBB124_231
; %bb.230:
	s_waitcnt lgkmcnt(0)
	v_cmp_lt_i64_e32 vcc_lo, v[3:4], v[1:2]
                                        ; implicit-def: $vgpr9
                                        ; implicit-def: $vgpr5
	v_cndmask_b32_e32 v2, v2, v4, vcc_lo
	v_cndmask_b32_e32 v1, v1, v3, vcc_lo
                                        ; implicit-def: $vgpr3_vgpr4
.LBB124_231:
	s_or_saveexec_b32 s3, s3
	v_mov_b32_e32 v8, 1
	s_xor_b32 exec_lo, exec_lo, s3
	s_cbranch_execz .LBB124_233
; %bb.232:
	v_and_b32_e32 v8, 1, v9
	v_and_b32_e32 v5, 0xff, v5
	v_cmp_eq_u32_e32 vcc_lo, 1, v8
	s_waitcnt lgkmcnt(0)
	v_cndmask_b32_e32 v2, v4, v2, vcc_lo
	v_cndmask_b32_e32 v1, v3, v1, vcc_lo
	v_cndmask_b32_e64 v8, v5, 1, vcc_lo
.LBB124_233:
	s_or_b32 exec_lo, exec_lo, s3
	v_mov_b32_e32 v9, v8
.LBB124_234:
	s_or_b32 exec_lo, exec_lo, s2
	s_waitcnt lgkmcnt(0)
	v_or_b32_e32 v4, 16, v7
	v_add_nc_u32_e32 v6, 4, v6
	ds_bpermute_b32 v5, v4, v9
	ds_bpermute_b32 v3, v4, v1
	;; [unrolled: 1-line block ×3, first 2 shown]
	v_cmp_gt_u32_e32 vcc_lo, s0, v6
	s_and_saveexec_b32 s0, vcc_lo
	s_cbranch_execz .LBB124_240
; %bb.235:
	s_waitcnt lgkmcnt(2)
	v_and_b32_e32 v6, v9, v5
	s_mov_b32 s2, exec_lo
	v_and_b32_e32 v6, 1, v6
	v_cmpx_eq_u32_e32 1, v6
	s_xor_b32 s2, exec_lo, s2
	s_cbranch_execz .LBB124_237
; %bb.236:
	s_waitcnt lgkmcnt(0)
	v_cmp_lt_i64_e32 vcc_lo, v[3:4], v[1:2]
                                        ; implicit-def: $vgpr9
                                        ; implicit-def: $vgpr5
	v_cndmask_b32_e32 v2, v2, v4, vcc_lo
	v_cndmask_b32_e32 v1, v1, v3, vcc_lo
                                        ; implicit-def: $vgpr3_vgpr4
.LBB124_237:
	s_or_saveexec_b32 s2, s2
	v_mov_b32_e32 v6, 1
	s_xor_b32 exec_lo, exec_lo, s2
	s_cbranch_execz .LBB124_239
; %bb.238:
	v_and_b32_e32 v6, 1, v9
	v_cmp_eq_u32_e32 vcc_lo, 1, v6
	s_waitcnt lgkmcnt(0)
	v_cndmask_b32_e32 v2, v4, v2, vcc_lo
	v_cndmask_b32_e32 v1, v3, v1, vcc_lo
	v_cndmask_b32_e64 v6, v5, 1, vcc_lo
.LBB124_239:
	s_or_b32 exec_lo, exec_lo, s2
	v_mov_b32_e32 v9, v6
.LBB124_240:
	s_or_b32 exec_lo, exec_lo, s0
.LBB124_241:
	s_or_b32 exec_lo, exec_lo, s1
.LBB124_242:
                                        ; implicit-def: $vgpr3_vgpr4
                                        ; implicit-def: $vgpr5
	s_mov_b32 s0, exec_lo
	v_cmpx_eq_u32_e32 0, v0
	s_xor_b32 s2, exec_lo, s0
	s_cbranch_execz .LBB124_246
; %bb.243:
	s_waitcnt lgkmcnt(0)
	v_mov_b32_e32 v3, s20
	v_mov_b32_e32 v4, s21
	;; [unrolled: 1-line block ×3, first 2 shown]
	s_cmp_eq_u64 s[14:15], 0
	s_cbranch_scc1 .LBB124_245
; %bb.244:
	v_and_b32_e32 v3, 1, v9
	v_cmp_gt_i64_e32 vcc_lo, s[20:21], v[1:2]
	s_bitcmp1_b32 s24, 0
	s_cselect_b32 s1, -1, 0
	v_cmp_eq_u32_e64 s0, 1, v3
	v_cndmask_b32_e64 v5, v9, 1, s1
	s_and_b32 vcc_lo, s0, vcc_lo
	v_cndmask_b32_e32 v3, s20, v1, vcc_lo
	v_cndmask_b32_e32 v4, s21, v2, vcc_lo
	v_cndmask_b32_e64 v3, v1, v3, s1
	v_cndmask_b32_e64 v4, v2, v4, s1
.LBB124_245:
	s_or_b32 s22, s22, exec_lo
.LBB124_246:
	s_or_b32 exec_lo, exec_lo, s2
	v_mov_b32_e32 v1, s6
	v_mov_b32_e32 v2, s7
	s_branch .LBB124_356
.LBB124_247:
	s_cmp_gt_i32 s25, 1
	s_cbranch_scc0 .LBB124_267
; %bb.248:
	s_cmp_eq_u32 s25, 2
	s_cbranch_scc0 .LBB124_268
; %bb.249:
	s_mov_b32 s7, 0
	s_lshl_b32 s10, s6, 9
	s_mov_b32 s11, s7
	s_lshr_b64 s[26:27], s[14:15], 9
	s_lshl_b64 s[0:1], s[10:11], 3
	s_add_u32 s2, s16, s0
	s_addc_u32 s3, s17, s1
	s_add_u32 s8, s18, s0
	s_addc_u32 s9, s19, s1
	;; [unrolled: 2-line block ×3, first 2 shown]
	s_cmp_lg_u64 s[26:27], s[6:7]
	s_cbranch_scc0 .LBB124_269
; %bb.250:
	v_lshlrev_b32_e32 v7, 3, v0
	v_add_co_u32 v1, s0, s2, v7
	v_add_co_ci_u32_e64 v2, null, s3, 0, s0
	s_waitcnt lgkmcnt(1)
	v_add_co_u32 v3, s0, s8, v7
	s_waitcnt lgkmcnt(0)
	v_add_co_ci_u32_e64 v4, null, s9, 0, s0
	v_add_co_u32 v1, vcc_lo, 0x800, v1
	v_add_co_ci_u32_e64 v2, null, 0, v2, vcc_lo
	v_add_co_u32 v3, vcc_lo, 0x800, v3
	v_add_co_ci_u32_e64 v4, null, 0, v4, vcc_lo
	s_clause 0x1
	global_load_dwordx2 v[5:6], v7, s[2:3]
	global_load_dwordx2 v[7:8], v7, s[8:9]
	global_load_dwordx2 v[1:2], v[1:2], off
	global_load_dwordx2 v[3:4], v[3:4], off
	v_add_co_u32 v9, s0, s11, v0
	v_add_co_ci_u32_e64 v10, null, s23, 0, s0
	v_add_co_u32 v11, vcc_lo, 0x100, v9
	v_add_co_ci_u32_e64 v12, null, 0, v10, vcc_lo
	s_waitcnt vmcnt(2)
	v_cmp_ne_u64_e32 vcc_lo, v[5:6], v[7:8]
	v_mbcnt_lo_u32_b32 v8, -1, 0
	s_waitcnt vmcnt(0)
	v_cmp_ne_u64_e64 s0, v[1:2], v[3:4]
	v_cndmask_b32_e32 v5, v12, v10, vcc_lo
	v_cndmask_b32_e32 v4, v11, v9, vcc_lo
	s_or_b32 s0, vcc_lo, s0
	v_cndmask_b32_e64 v3, 0, 1, s0
	v_mov_b32_dpp v2, v5 quad_perm:[1,0,3,2] row_mask:0xf bank_mask:0xf
	v_mov_b32_dpp v1, v4 quad_perm:[1,0,3,2] row_mask:0xf bank_mask:0xf
	;; [unrolled: 1-line block ×3, first 2 shown]
	v_cmp_lt_i64_e32 vcc_lo, v[4:5], v[1:2]
	v_and_b32_e32 v6, 1, v6
	s_and_b32 vcc_lo, s0, vcc_lo
	v_cndmask_b32_e32 v1, v1, v4, vcc_lo
	v_cndmask_b32_e32 v2, v2, v5, vcc_lo
	v_cmp_eq_u32_e32 vcc_lo, 1, v6
	v_cndmask_b32_e32 v2, v5, v2, vcc_lo
	v_cndmask_b32_e32 v1, v4, v1, vcc_lo
	v_cndmask_b32_e64 v5, v3, 1, vcc_lo
	v_mov_b32_dpp v4, v2 quad_perm:[2,3,0,1] row_mask:0xf bank_mask:0xf
	v_mov_b32_dpp v3, v1 quad_perm:[2,3,0,1] row_mask:0xf bank_mask:0xf
	v_and_b32_e32 v7, 1, v5
	v_mov_b32_dpp v6, v5 quad_perm:[2,3,0,1] row_mask:0xf bank_mask:0xf
	v_cmp_lt_i64_e32 vcc_lo, v[1:2], v[3:4]
	v_cmp_eq_u32_e64 s0, 1, v7
	v_and_b32_e32 v6, 1, v6
	s_and_b32 vcc_lo, s0, vcc_lo
	v_cmp_eq_u32_e64 s1, 1, v6
	v_cndmask_b32_e32 v3, v3, v1, vcc_lo
	v_cndmask_b32_e32 v4, v4, v2, vcc_lo
	v_cndmask_b32_e64 v5, v5, 1, s1
	v_cndmask_b32_e64 v1, v1, v3, s1
	;; [unrolled: 1-line block ×3, first 2 shown]
	v_and_b32_e32 v7, 1, v5
	v_mov_b32_dpp v3, v1 row_ror:4 row_mask:0xf bank_mask:0xf
	v_mov_b32_dpp v4, v2 row_ror:4 row_mask:0xf bank_mask:0xf
	;; [unrolled: 1-line block ×3, first 2 shown]
	v_cmp_eq_u32_e64 s0, 1, v7
	v_cmp_lt_i64_e32 vcc_lo, v[1:2], v[3:4]
	v_and_b32_e32 v6, 1, v6
	s_and_b32 vcc_lo, s0, vcc_lo
	v_cmp_eq_u32_e64 s1, 1, v6
	v_cndmask_b32_e32 v3, v3, v1, vcc_lo
	v_cndmask_b32_e32 v4, v4, v2, vcc_lo
	v_cndmask_b32_e64 v5, v5, 1, s1
	v_cndmask_b32_e64 v1, v1, v3, s1
	;; [unrolled: 1-line block ×3, first 2 shown]
	v_and_b32_e32 v7, 1, v5
	v_mov_b32_dpp v3, v1 row_ror:8 row_mask:0xf bank_mask:0xf
	v_mov_b32_dpp v4, v2 row_ror:8 row_mask:0xf bank_mask:0xf
	;; [unrolled: 1-line block ×3, first 2 shown]
	v_cmp_eq_u32_e64 s0, 1, v7
	v_cmp_lt_i64_e32 vcc_lo, v[1:2], v[3:4]
	v_and_b32_e32 v6, 1, v6
	s_and_b32 vcc_lo, s0, vcc_lo
	v_cmp_eq_u32_e64 s1, 1, v6
	v_cndmask_b32_e32 v3, v3, v1, vcc_lo
	v_cndmask_b32_e32 v4, v4, v2, vcc_lo
	v_cndmask_b32_e64 v5, v5, 1, s1
	v_cndmask_b32_e64 v1, v1, v3, s1
	;; [unrolled: 1-line block ×3, first 2 shown]
	ds_swizzle_b32 v6, v5 offset:swizzle(BROADCAST,32,15)
	ds_swizzle_b32 v3, v1 offset:swizzle(BROADCAST,32,15)
	ds_swizzle_b32 v4, v2 offset:swizzle(BROADCAST,32,15)
	v_and_b32_e32 v7, 1, v5
	v_cmp_eq_u32_e64 s0, 1, v7
	s_waitcnt lgkmcnt(2)
	v_and_b32_e32 v6, 1, v6
	s_waitcnt lgkmcnt(0)
	v_cmp_lt_i64_e32 vcc_lo, v[1:2], v[3:4]
	v_cmp_eq_u32_e64 s1, 1, v6
	v_mov_b32_e32 v6, 0
	s_and_b32 vcc_lo, s0, vcc_lo
	s_mov_b32 s0, exec_lo
	v_cndmask_b32_e32 v3, v3, v1, vcc_lo
	v_cndmask_b32_e32 v4, v4, v2, vcc_lo
	v_cndmask_b32_e64 v5, v5, 1, s1
	v_cndmask_b32_e64 v1, v1, v3, s1
	v_cndmask_b32_e64 v2, v2, v4, s1
	ds_bpermute_b32 v7, v6, v5 offset:124
	ds_bpermute_b32 v1, v6, v1 offset:124
	;; [unrolled: 1-line block ×3, first 2 shown]
	v_cmpx_eq_u32_e32 0, v8
	s_cbranch_execz .LBB124_252
; %bb.251:
	v_lshrrev_b32_e32 v3, 1, v0
	v_and_b32_e32 v3, 0x70, v3
	s_waitcnt lgkmcnt(2)
	ds_write_b8 v3, v7 offset:128
	s_waitcnt lgkmcnt(1)
	ds_write_b64 v3, v[1:2] offset:136
.LBB124_252:
	s_or_b32 exec_lo, exec_lo, s0
	s_mov_b32 s0, exec_lo
	s_waitcnt lgkmcnt(0)
	s_barrier
	buffer_gl0_inv
	v_cmpx_gt_u32_e32 32, v0
	s_cbranch_execz .LBB124_266
; %bb.253:
	v_and_b32_e32 v7, 7, v8
	v_lshlrev_b32_e32 v1, 4, v7
	v_cmp_ne_u32_e32 vcc_lo, 7, v7
	ds_read_u8 v10, v1 offset:128
	ds_read_b64 v[3:4], v1 offset:136
	v_add_co_ci_u32_e64 v2, null, 0, v8, vcc_lo
	v_lshlrev_b32_e32 v2, 2, v2
	s_waitcnt lgkmcnt(1)
	v_and_b32_e32 v1, 0xff, v10
	s_waitcnt lgkmcnt(0)
	ds_bpermute_b32 v5, v2, v3
	ds_bpermute_b32 v6, v2, v4
	;; [unrolled: 1-line block ×3, first 2 shown]
	s_waitcnt lgkmcnt(0)
	v_and_b32_e32 v1, v10, v11
	v_and_b32_e32 v1, 1, v1
	v_cmp_eq_u32_e32 vcc_lo, 1, v1
                                        ; implicit-def: $vgpr1_vgpr2
	s_and_saveexec_b32 s1, vcc_lo
	s_xor_b32 s1, exec_lo, s1
; %bb.254:
	v_cmp_lt_i64_e32 vcc_lo, v[5:6], v[3:4]
                                        ; implicit-def: $vgpr10
                                        ; implicit-def: $vgpr11
	v_cndmask_b32_e32 v2, v4, v6, vcc_lo
	v_cndmask_b32_e32 v1, v3, v5, vcc_lo
                                        ; implicit-def: $vgpr5_vgpr6
                                        ; implicit-def: $vgpr3_vgpr4
; %bb.255:
	s_or_saveexec_b32 s1, s1
	v_mov_b32_e32 v9, 1
	s_xor_b32 exec_lo, exec_lo, s1
; %bb.256:
	v_and_b32_e32 v1, 1, v10
	v_and_b32_e32 v9, 0xff, v11
	v_cmp_eq_u32_e32 vcc_lo, 1, v1
	v_cndmask_b32_e32 v2, v6, v4, vcc_lo
	v_cndmask_b32_e32 v1, v5, v3, vcc_lo
	v_cndmask_b32_e64 v9, v9, 1, vcc_lo
; %bb.257:
	s_or_b32 exec_lo, exec_lo, s1
	v_cmp_gt_u32_e32 vcc_lo, 6, v7
	v_cndmask_b32_e64 v3, 0, 2, vcc_lo
	v_add_lshl_u32 v3, v3, v8, 2
	ds_bpermute_b32 v7, v3, v9
	ds_bpermute_b32 v5, v3, v1
	;; [unrolled: 1-line block ×3, first 2 shown]
	s_waitcnt lgkmcnt(2)
	v_and_b32_e32 v3, v9, v7
	v_and_b32_e32 v3, 1, v3
	v_cmp_eq_u32_e32 vcc_lo, 1, v3
                                        ; implicit-def: $vgpr3_vgpr4
	s_and_saveexec_b32 s1, vcc_lo
	s_xor_b32 s1, exec_lo, s1
	s_cbranch_execz .LBB124_259
; %bb.258:
	s_waitcnt lgkmcnt(0)
	v_cmp_lt_i64_e32 vcc_lo, v[5:6], v[1:2]
                                        ; implicit-def: $vgpr9
                                        ; implicit-def: $vgpr7
	v_cndmask_b32_e32 v4, v2, v6, vcc_lo
	v_cndmask_b32_e32 v3, v1, v5, vcc_lo
                                        ; implicit-def: $vgpr5_vgpr6
                                        ; implicit-def: $vgpr1_vgpr2
.LBB124_259:
	s_or_saveexec_b32 s1, s1
	v_lshlrev_b32_e32 v10, 2, v8
	v_mov_b32_e32 v8, 1
	s_xor_b32 exec_lo, exec_lo, s1
	s_cbranch_execz .LBB124_261
; %bb.260:
	v_and_b32_e32 v3, 1, v9
	v_and_b32_e32 v7, 0xff, v7
	v_cmp_eq_u32_e32 vcc_lo, 1, v3
	s_waitcnt lgkmcnt(0)
	v_cndmask_b32_e32 v4, v6, v2, vcc_lo
	v_cndmask_b32_e32 v3, v5, v1, vcc_lo
	v_cndmask_b32_e64 v8, v7, 1, vcc_lo
.LBB124_261:
	s_or_b32 exec_lo, exec_lo, s1
	v_or_b32_e32 v1, 16, v10
	ds_bpermute_b32 v9, v1, v8
	s_waitcnt lgkmcnt(2)
	ds_bpermute_b32 v5, v1, v3
	s_waitcnt lgkmcnt(2)
	;; [unrolled: 2-line block ×3, first 2 shown]
	v_and_b32_e32 v1, v8, v9
	v_and_b32_e32 v1, 1, v1
	v_cmp_eq_u32_e32 vcc_lo, 1, v1
                                        ; implicit-def: $vgpr1_vgpr2
	s_and_saveexec_b32 s1, vcc_lo
	s_xor_b32 s1, exec_lo, s1
	s_cbranch_execz .LBB124_263
; %bb.262:
	s_waitcnt lgkmcnt(0)
	v_cmp_lt_i64_e32 vcc_lo, v[5:6], v[3:4]
                                        ; implicit-def: $vgpr8
                                        ; implicit-def: $vgpr9
	v_cndmask_b32_e32 v2, v4, v6, vcc_lo
	v_cndmask_b32_e32 v1, v3, v5, vcc_lo
                                        ; implicit-def: $vgpr5_vgpr6
                                        ; implicit-def: $vgpr3_vgpr4
.LBB124_263:
	s_or_saveexec_b32 s1, s1
	v_mov_b32_e32 v7, 1
	s_xor_b32 exec_lo, exec_lo, s1
	s_cbranch_execz .LBB124_265
; %bb.264:
	v_and_b32_e32 v1, 1, v8
	v_cmp_eq_u32_e32 vcc_lo, 1, v1
	s_waitcnt lgkmcnt(0)
	v_cndmask_b32_e32 v2, v6, v4, vcc_lo
	v_cndmask_b32_e32 v1, v5, v3, vcc_lo
	v_cndmask_b32_e64 v7, v9, 1, vcc_lo
.LBB124_265:
	s_or_b32 exec_lo, exec_lo, s1
.LBB124_266:
	s_or_b32 exec_lo, exec_lo, s0
	s_branch .LBB124_327
.LBB124_267:
                                        ; implicit-def: $vgpr3_vgpr4
                                        ; implicit-def: $vgpr5
                                        ; implicit-def: $vgpr1_vgpr2
	s_cbranch_execnz .LBB124_332
	s_branch .LBB124_356
.LBB124_268:
                                        ; implicit-def: $vgpr3_vgpr4
                                        ; implicit-def: $vgpr5
                                        ; implicit-def: $vgpr1_vgpr2
	s_branch .LBB124_356
.LBB124_269:
                                        ; implicit-def: $vgpr1_vgpr2
                                        ; implicit-def: $vgpr7
	s_cbranch_execz .LBB124_327
; %bb.270:
	s_waitcnt lgkmcnt(0)
	v_mov_b32_e32 v3, 0
	v_mov_b32_e32 v1, 0
	;; [unrolled: 1-line block ×6, first 2 shown]
	s_sub_i32 s10, s14, s10
	s_mov_b32 s0, exec_lo
	v_cmpx_gt_u32_e64 s10, v0
	s_cbranch_execz .LBB124_272
; %bb.271:
	v_lshlrev_b32_e32 v1, 3, v0
	s_clause 0x1
	global_load_dwordx2 v[6:7], v1, s[2:3]
	global_load_dwordx2 v[8:9], v1, s[8:9]
	v_add_co_u32 v1, s1, s11, v0
	v_add_co_ci_u32_e64 v2, null, s23, 0, s1
	s_waitcnt vmcnt(0)
	v_cmp_ne_u64_e32 vcc_lo, v[6:7], v[8:9]
	v_cndmask_b32_e64 v6, 0, 1, vcc_lo
.LBB124_272:
	s_or_b32 exec_lo, exec_lo, s0
	v_or_b32_e32 v7, 0x100, v0
	v_cmp_gt_u32_e32 vcc_lo, s10, v7
	s_and_saveexec_b32 s1, vcc_lo
	s_cbranch_execz .LBB124_274
; %bb.273:
	v_lshlrev_b32_e32 v3, 3, v7
	s_clause 0x1
	global_load_dwordx2 v[8:9], v3, s[2:3]
	global_load_dwordx2 v[10:11], v3, s[8:9]
	v_add_co_u32 v3, s0, s11, v7
	v_add_co_ci_u32_e64 v4, null, s23, 0, s0
	s_waitcnt vmcnt(0)
	v_cmp_ne_u64_e64 s0, v[8:9], v[10:11]
	v_cndmask_b32_e64 v5, 0, 1, s0
.LBB124_274:
	s_or_b32 exec_lo, exec_lo, s1
	v_and_b32_e32 v7, 1, v5
	v_cmp_lt_i64_e64 s0, v[3:4], v[1:2]
	v_and_b32_e32 v8, 0xffff, v5
	v_mbcnt_lo_u32_b32 v5, -1, 0
	v_cmp_eq_u32_e64 s1, 1, v7
	v_and_b32_e32 v7, 0xffff, v6
	v_and_b32_e32 v6, 1, v6
	s_and_b32 s0, s1, s0
	v_cmp_ne_u32_e64 s1, 31, v5
	v_cndmask_b32_e64 v9, v2, v4, s0
	v_cndmask_b32_e64 v10, v1, v3, s0
	v_cmp_eq_u32_e64 s0, 1, v6
	v_cndmask_b32_e64 v6, v8, 1, s0
	v_add_co_ci_u32_e64 v8, null, 0, v5, s1
	v_cndmask_b32_e64 v3, v3, v10, s0
	v_cndmask_b32_e64 v4, v4, v9, s0
	v_cndmask_b32_e32 v7, v7, v6, vcc_lo
	v_lshlrev_b32_e32 v6, 2, v8
	s_min_u32 s0, s10, 0x100
	v_cndmask_b32_e32 v1, v1, v3, vcc_lo
	v_cndmask_b32_e32 v2, v2, v4, vcc_lo
	v_add_nc_u32_e32 v9, 1, v5
	ds_bpermute_b32 v8, v6, v7
	s_mov_b32 s1, exec_lo
	ds_bpermute_b32 v3, v6, v1
	ds_bpermute_b32 v4, v6, v2
	v_and_b32_e32 v6, 0xe0, v0
	v_sub_nc_u32_e64 v6, s0, v6 clamp
	v_cmpx_lt_u32_e64 v9, v6
	s_cbranch_execz .LBB124_280
; %bb.275:
	s_waitcnt lgkmcnt(2)
	v_and_b32_e32 v9, v7, v8
	s_mov_b32 s2, exec_lo
	v_cmpx_ne_u32_e32 0, v9
	s_xor_b32 s2, exec_lo, s2
	s_cbranch_execz .LBB124_277
; %bb.276:
	s_waitcnt lgkmcnt(0)
	v_cmp_lt_i64_e32 vcc_lo, v[3:4], v[1:2]
                                        ; implicit-def: $vgpr7
                                        ; implicit-def: $vgpr8
	v_cndmask_b32_e32 v2, v2, v4, vcc_lo
	v_cndmask_b32_e32 v1, v1, v3, vcc_lo
                                        ; implicit-def: $vgpr3_vgpr4
.LBB124_277:
	s_or_saveexec_b32 s2, s2
	v_mov_b32_e32 v9, 1
	s_xor_b32 exec_lo, exec_lo, s2
	s_cbranch_execz .LBB124_279
; %bb.278:
	v_and_b32_e32 v7, 1, v7
	v_cmp_eq_u32_e32 vcc_lo, 1, v7
	v_and_b32_e32 v7, 0xff, v8
	s_waitcnt lgkmcnt(0)
	v_cndmask_b32_e32 v2, v4, v2, vcc_lo
	v_cndmask_b32_e32 v1, v3, v1, vcc_lo
	v_cndmask_b32_e64 v9, v7, 1, vcc_lo
.LBB124_279:
	s_or_b32 exec_lo, exec_lo, s2
	v_mov_b32_e32 v7, v9
.LBB124_280:
	s_or_b32 exec_lo, exec_lo, s1
	v_cmp_gt_u32_e32 vcc_lo, 30, v5
	v_add_nc_u32_e32 v9, 2, v5
	s_mov_b32 s1, exec_lo
	s_waitcnt lgkmcnt(1)
	v_cndmask_b32_e64 v3, 0, 2, vcc_lo
	s_waitcnt lgkmcnt(0)
	v_add_lshl_u32 v4, v3, v5, 2
	ds_bpermute_b32 v8, v4, v7
	ds_bpermute_b32 v3, v4, v1
	ds_bpermute_b32 v4, v4, v2
	v_cmpx_lt_u32_e64 v9, v6
	s_cbranch_execz .LBB124_286
; %bb.281:
	s_waitcnt lgkmcnt(2)
	v_and_b32_e32 v9, v7, v8
	s_mov_b32 s2, exec_lo
	v_and_b32_e32 v9, 1, v9
	v_cmpx_eq_u32_e32 1, v9
	s_xor_b32 s2, exec_lo, s2
	s_cbranch_execz .LBB124_283
; %bb.282:
	s_waitcnt lgkmcnt(0)
	v_cmp_lt_i64_e32 vcc_lo, v[3:4], v[1:2]
                                        ; implicit-def: $vgpr7
                                        ; implicit-def: $vgpr8
	v_cndmask_b32_e32 v2, v2, v4, vcc_lo
	v_cndmask_b32_e32 v1, v1, v3, vcc_lo
                                        ; implicit-def: $vgpr3_vgpr4
.LBB124_283:
	s_or_saveexec_b32 s2, s2
	v_mov_b32_e32 v9, 1
	s_xor_b32 exec_lo, exec_lo, s2
	s_cbranch_execz .LBB124_285
; %bb.284:
	v_and_b32_e32 v7, 1, v7
	v_cmp_eq_u32_e32 vcc_lo, 1, v7
	v_and_b32_e32 v7, 0xff, v8
	s_waitcnt lgkmcnt(0)
	v_cndmask_b32_e32 v2, v4, v2, vcc_lo
	v_cndmask_b32_e32 v1, v3, v1, vcc_lo
	v_cndmask_b32_e64 v9, v7, 1, vcc_lo
.LBB124_285:
	s_or_b32 exec_lo, exec_lo, s2
	v_mov_b32_e32 v7, v9
.LBB124_286:
	s_or_b32 exec_lo, exec_lo, s1
	v_cmp_gt_u32_e32 vcc_lo, 28, v5
	v_add_nc_u32_e32 v9, 4, v5
	s_mov_b32 s1, exec_lo
	s_waitcnt lgkmcnt(1)
	v_cndmask_b32_e64 v3, 0, 4, vcc_lo
	s_waitcnt lgkmcnt(0)
	v_add_lshl_u32 v4, v3, v5, 2
	ds_bpermute_b32 v8, v4, v7
	ds_bpermute_b32 v3, v4, v1
	ds_bpermute_b32 v4, v4, v2
	v_cmpx_lt_u32_e64 v9, v6
	s_cbranch_execz .LBB124_292
; %bb.287:
	s_waitcnt lgkmcnt(2)
	v_and_b32_e32 v9, v7, v8
	s_mov_b32 s2, exec_lo
	v_and_b32_e32 v9, 1, v9
	v_cmpx_eq_u32_e32 1, v9
	s_xor_b32 s2, exec_lo, s2
	s_cbranch_execz .LBB124_289
; %bb.288:
	s_waitcnt lgkmcnt(0)
	v_cmp_lt_i64_e32 vcc_lo, v[3:4], v[1:2]
                                        ; implicit-def: $vgpr7
                                        ; implicit-def: $vgpr8
	v_cndmask_b32_e32 v2, v2, v4, vcc_lo
	v_cndmask_b32_e32 v1, v1, v3, vcc_lo
                                        ; implicit-def: $vgpr3_vgpr4
.LBB124_289:
	s_or_saveexec_b32 s2, s2
	v_mov_b32_e32 v9, 1
	s_xor_b32 exec_lo, exec_lo, s2
	s_cbranch_execz .LBB124_291
; %bb.290:
	v_and_b32_e32 v7, 1, v7
	v_cmp_eq_u32_e32 vcc_lo, 1, v7
	v_and_b32_e32 v7, 0xff, v8
	s_waitcnt lgkmcnt(0)
	v_cndmask_b32_e32 v2, v4, v2, vcc_lo
	v_cndmask_b32_e32 v1, v3, v1, vcc_lo
	v_cndmask_b32_e64 v9, v7, 1, vcc_lo
.LBB124_291:
	s_or_b32 exec_lo, exec_lo, s2
	v_mov_b32_e32 v7, v9
.LBB124_292:
	;; [unrolled: 46-line block ×3, first 2 shown]
	s_or_b32 exec_lo, exec_lo, s1
	s_waitcnt lgkmcnt(2)
	v_lshlrev_b32_e32 v8, 2, v5
	v_add_nc_u32_e32 v10, 16, v5
	s_waitcnt lgkmcnt(0)
	v_or_b32_e32 v4, 64, v8
	v_cmp_lt_u32_e32 vcc_lo, v10, v6
	v_mov_b32_e32 v6, v7
	ds_bpermute_b32 v9, v4, v7
	ds_bpermute_b32 v3, v4, v1
	ds_bpermute_b32 v4, v4, v2
	s_and_saveexec_b32 s1, vcc_lo
	s_cbranch_execz .LBB124_304
; %bb.299:
	s_waitcnt lgkmcnt(2)
	v_and_b32_e32 v6, v7, v9
	s_mov_b32 s2, exec_lo
	v_and_b32_e32 v6, 1, v6
	v_cmpx_eq_u32_e32 1, v6
	s_xor_b32 s2, exec_lo, s2
	s_cbranch_execz .LBB124_301
; %bb.300:
	s_waitcnt lgkmcnt(0)
	v_cmp_lt_i64_e32 vcc_lo, v[3:4], v[1:2]
                                        ; implicit-def: $vgpr7
                                        ; implicit-def: $vgpr9
	v_cndmask_b32_e32 v2, v2, v4, vcc_lo
	v_cndmask_b32_e32 v1, v1, v3, vcc_lo
                                        ; implicit-def: $vgpr3_vgpr4
.LBB124_301:
	s_or_saveexec_b32 s2, s2
	v_mov_b32_e32 v6, 1
	s_xor_b32 exec_lo, exec_lo, s2
	s_cbranch_execz .LBB124_303
; %bb.302:
	v_and_b32_e32 v6, 1, v7
	v_cmp_eq_u32_e32 vcc_lo, 1, v6
	v_cndmask_b32_e64 v6, v9, 1, vcc_lo
	s_waitcnt lgkmcnt(0)
	v_cndmask_b32_e32 v2, v4, v2, vcc_lo
	v_cndmask_b32_e32 v1, v3, v1, vcc_lo
.LBB124_303:
	s_or_b32 exec_lo, exec_lo, s2
	v_and_b32_e32 v7, 0xff, v6
.LBB124_304:
	s_or_b32 exec_lo, exec_lo, s1
	s_mov_b32 s1, exec_lo
	v_cmpx_eq_u32_e32 0, v5
	s_cbranch_execz .LBB124_306
; %bb.305:
	s_waitcnt lgkmcnt(1)
	v_lshrrev_b32_e32 v3, 1, v0
	v_and_b32_e32 v3, 0x70, v3
	ds_write_b8 v3, v6 offset:512
	ds_write_b64 v3, v[1:2] offset:520
.LBB124_306:
	s_or_b32 exec_lo, exec_lo, s1
	s_mov_b32 s1, exec_lo
	s_waitcnt lgkmcnt(0)
	s_barrier
	buffer_gl0_inv
	v_cmpx_gt_u32_e32 8, v0
	s_cbranch_execz .LBB124_326
; %bb.307:
	v_lshlrev_b32_e32 v1, 4, v5
	v_and_b32_e32 v6, 7, v5
	s_add_i32 s0, s0, 31
	s_mov_b32 s2, exec_lo
	s_lshr_b32 s0, s0, 5
	ds_read_u8 v9, v1 offset:512
	ds_read_b64 v[1:2], v1 offset:520
	v_cmp_ne_u32_e32 vcc_lo, 7, v6
	v_add_nc_u32_e32 v11, 1, v6
	v_add_co_ci_u32_e64 v3, null, 0, v5, vcc_lo
	v_lshlrev_b32_e32 v4, 2, v3
	s_waitcnt lgkmcnt(1)
	v_and_b32_e32 v7, 0xff, v9
	s_waitcnt lgkmcnt(0)
	ds_bpermute_b32 v3, v4, v1
	ds_bpermute_b32 v10, v4, v7
	;; [unrolled: 1-line block ×3, first 2 shown]
	v_cmpx_gt_u32_e64 s0, v11
	s_cbranch_execz .LBB124_313
; %bb.308:
	s_waitcnt lgkmcnt(1)
	v_and_b32_e32 v7, v7, v10
	s_mov_b32 s3, exec_lo
	v_and_b32_e32 v7, 1, v7
	v_cmpx_eq_u32_e32 1, v7
	s_xor_b32 s3, exec_lo, s3
	s_cbranch_execz .LBB124_310
; %bb.309:
	s_waitcnt lgkmcnt(0)
	v_cmp_lt_i64_e32 vcc_lo, v[3:4], v[1:2]
                                        ; implicit-def: $vgpr9
                                        ; implicit-def: $vgpr10
	v_cndmask_b32_e32 v2, v2, v4, vcc_lo
	v_cndmask_b32_e32 v1, v1, v3, vcc_lo
                                        ; implicit-def: $vgpr3_vgpr4
.LBB124_310:
	s_or_saveexec_b32 s3, s3
	v_mov_b32_e32 v7, 1
	s_xor_b32 exec_lo, exec_lo, s3
	s_cbranch_execz .LBB124_312
; %bb.311:
	v_and_b32_e32 v7, 1, v9
	v_cmp_eq_u32_e32 vcc_lo, 1, v7
	v_and_b32_e32 v7, 0xff, v10
	s_waitcnt lgkmcnt(0)
	v_cndmask_b32_e32 v2, v4, v2, vcc_lo
	v_cndmask_b32_e32 v1, v3, v1, vcc_lo
	v_cndmask_b32_e64 v7, v7, 1, vcc_lo
.LBB124_312:
	s_or_b32 exec_lo, exec_lo, s3
.LBB124_313:
	s_or_b32 exec_lo, exec_lo, s2
	v_cmp_gt_u32_e32 vcc_lo, 6, v6
	v_add_nc_u32_e32 v9, 2, v6
	s_mov_b32 s2, exec_lo
	s_waitcnt lgkmcnt(2)
	v_cndmask_b32_e64 v3, 0, 2, vcc_lo
	s_waitcnt lgkmcnt(0)
	v_add_lshl_u32 v4, v3, v5, 2
	ds_bpermute_b32 v5, v4, v7
	ds_bpermute_b32 v3, v4, v1
	;; [unrolled: 1-line block ×3, first 2 shown]
	v_cmpx_gt_u32_e64 s0, v9
	s_cbranch_execz .LBB124_319
; %bb.314:
	s_waitcnt lgkmcnt(2)
	v_and_b32_e32 v9, v7, v5
	s_mov_b32 s3, exec_lo
	v_and_b32_e32 v9, 1, v9
	v_cmpx_eq_u32_e32 1, v9
	s_xor_b32 s3, exec_lo, s3
	s_cbranch_execz .LBB124_316
; %bb.315:
	s_waitcnt lgkmcnt(0)
	v_cmp_lt_i64_e32 vcc_lo, v[3:4], v[1:2]
                                        ; implicit-def: $vgpr7
                                        ; implicit-def: $vgpr5
	v_cndmask_b32_e32 v2, v2, v4, vcc_lo
	v_cndmask_b32_e32 v1, v1, v3, vcc_lo
                                        ; implicit-def: $vgpr3_vgpr4
.LBB124_316:
	s_or_saveexec_b32 s3, s3
	v_mov_b32_e32 v9, 1
	s_xor_b32 exec_lo, exec_lo, s3
	s_cbranch_execz .LBB124_318
; %bb.317:
	v_and_b32_e32 v7, 1, v7
	v_and_b32_e32 v5, 0xff, v5
	v_cmp_eq_u32_e32 vcc_lo, 1, v7
	s_waitcnt lgkmcnt(0)
	v_cndmask_b32_e32 v2, v4, v2, vcc_lo
	v_cndmask_b32_e32 v1, v3, v1, vcc_lo
	v_cndmask_b32_e64 v9, v5, 1, vcc_lo
.LBB124_318:
	s_or_b32 exec_lo, exec_lo, s3
	v_mov_b32_e32 v7, v9
.LBB124_319:
	s_or_b32 exec_lo, exec_lo, s2
	s_waitcnt lgkmcnt(0)
	v_or_b32_e32 v4, 16, v8
	v_add_nc_u32_e32 v6, 4, v6
	ds_bpermute_b32 v5, v4, v7
	ds_bpermute_b32 v3, v4, v1
	;; [unrolled: 1-line block ×3, first 2 shown]
	v_cmp_gt_u32_e32 vcc_lo, s0, v6
	s_and_saveexec_b32 s0, vcc_lo
	s_cbranch_execz .LBB124_325
; %bb.320:
	s_waitcnt lgkmcnt(2)
	v_and_b32_e32 v6, v7, v5
	s_mov_b32 s2, exec_lo
	v_and_b32_e32 v6, 1, v6
	v_cmpx_eq_u32_e32 1, v6
	s_xor_b32 s2, exec_lo, s2
	s_cbranch_execz .LBB124_322
; %bb.321:
	s_waitcnt lgkmcnt(0)
	v_cmp_lt_i64_e32 vcc_lo, v[3:4], v[1:2]
                                        ; implicit-def: $vgpr7
                                        ; implicit-def: $vgpr5
	v_cndmask_b32_e32 v2, v2, v4, vcc_lo
	v_cndmask_b32_e32 v1, v1, v3, vcc_lo
                                        ; implicit-def: $vgpr3_vgpr4
.LBB124_322:
	s_or_saveexec_b32 s2, s2
	v_mov_b32_e32 v6, 1
	s_xor_b32 exec_lo, exec_lo, s2
	s_cbranch_execz .LBB124_324
; %bb.323:
	v_and_b32_e32 v6, 1, v7
	v_cmp_eq_u32_e32 vcc_lo, 1, v6
	s_waitcnt lgkmcnt(0)
	v_cndmask_b32_e32 v2, v4, v2, vcc_lo
	v_cndmask_b32_e32 v1, v3, v1, vcc_lo
	v_cndmask_b32_e64 v6, v5, 1, vcc_lo
.LBB124_324:
	s_or_b32 exec_lo, exec_lo, s2
	v_mov_b32_e32 v7, v6
.LBB124_325:
	s_or_b32 exec_lo, exec_lo, s0
.LBB124_326:
	s_or_b32 exec_lo, exec_lo, s1
.LBB124_327:
                                        ; implicit-def: $vgpr3_vgpr4
                                        ; implicit-def: $vgpr5
	s_mov_b32 s0, exec_lo
	v_cmpx_eq_u32_e32 0, v0
	s_xor_b32 s2, exec_lo, s0
	s_cbranch_execz .LBB124_331
; %bb.328:
	s_waitcnt lgkmcnt(0)
	v_mov_b32_e32 v3, s20
	v_mov_b32_e32 v4, s21
	;; [unrolled: 1-line block ×3, first 2 shown]
	s_cmp_eq_u64 s[14:15], 0
	s_cbranch_scc1 .LBB124_330
; %bb.329:
	v_and_b32_e32 v3, 1, v7
	v_cmp_gt_i64_e32 vcc_lo, s[20:21], v[1:2]
	s_bitcmp1_b32 s24, 0
	s_cselect_b32 s1, -1, 0
	v_cmp_eq_u32_e64 s0, 1, v3
	v_cndmask_b32_e64 v5, v7, 1, s1
	s_and_b32 vcc_lo, s0, vcc_lo
	v_cndmask_b32_e32 v3, s20, v1, vcc_lo
	v_cndmask_b32_e32 v4, s21, v2, vcc_lo
	v_cndmask_b32_e64 v3, v1, v3, s1
	v_cndmask_b32_e64 v4, v2, v4, s1
.LBB124_330:
	s_or_b32 s22, s22, exec_lo
.LBB124_331:
	s_or_b32 exec_lo, exec_lo, s2
	v_mov_b32_e32 v1, s6
	v_mov_b32_e32 v2, s7
	s_branch .LBB124_356
.LBB124_332:
	s_cmp_eq_u32 s25, 1
	s_cbranch_scc0 .LBB124_355
; %bb.333:
	s_mov_b32 s3, 0
	s_lshr_b64 s[0:1], s[14:15], 8
	s_mov_b32 s7, s3
	s_lshl_b32 s2, s6, 8
	s_cmp_lg_u64 s[0:1], s[6:7]
	s_cbranch_scc0 .LBB124_359
; %bb.334:
	s_lshl_b64 s[0:1], s[2:3], 3
	s_waitcnt lgkmcnt(1)
	v_lshlrev_b32_e32 v3, 3, v0
	s_add_u32 s8, s16, s0
	s_addc_u32 s9, s17, s1
	s_add_u32 s0, s18, s0
	s_addc_u32 s1, s19, s1
	global_load_dwordx2 v[1:2], v3, s[8:9]
	s_waitcnt lgkmcnt(0)
	global_load_dwordx2 v[3:4], v3, s[0:1]
	s_add_u32 s0, s12, s2
	s_addc_u32 s1, s13, 0
	v_add_co_u32 v5, s0, s0, v0
	v_add_co_ci_u32_e64 v6, null, s1, 0, s0
	v_mov_b32_dpp v7, v5 quad_perm:[1,0,3,2] row_mask:0xf bank_mask:0xf
	v_mov_b32_dpp v8, v6 quad_perm:[1,0,3,2] row_mask:0xf bank_mask:0xf
	v_cmp_lt_i64_e64 s0, v[5:6], v[7:8]
	s_waitcnt vmcnt(0)
	v_cmp_ne_u64_e32 vcc_lo, v[1:2], v[3:4]
	v_cndmask_b32_e64 v1, 0, 1, vcc_lo
	s_and_b32 s0, vcc_lo, s0
	v_cndmask_b32_e64 v2, v7, v5, s0
	v_cndmask_b32_e64 v3, v8, v6, s0
	v_mov_b32_dpp v1, v1 quad_perm:[1,0,3,2] row_mask:0xf bank_mask:0xf
                                        ; implicit-def: $vgpr7
	v_and_b32_e32 v1, 1, v1
	v_cmp_eq_u32_e64 s0, 1, v1
	s_or_b32 s1, s0, vcc_lo
	v_cndmask_b32_e64 v4, v6, v3, s0
	v_cndmask_b32_e64 v1, 0, 1, s1
	;; [unrolled: 1-line block ×3, first 2 shown]
	v_mov_b32_dpp v6, v4 quad_perm:[2,3,0,1] row_mask:0xf bank_mask:0xf
	v_mov_b32_dpp v1, v1 quad_perm:[2,3,0,1] row_mask:0xf bank_mask:0xf
	;; [unrolled: 1-line block ×3, first 2 shown]
	v_and_b32_e32 v1, 1, v1
	v_cmp_eq_u32_e32 vcc_lo, 1, v1
                                        ; implicit-def: $vgpr1_vgpr2
	s_and_b32 s0, vcc_lo, s1
	s_xor_b32 s0, s0, -1
	s_and_saveexec_b32 s8, s0
	s_xor_b32 s0, exec_lo, s8
; %bb.335:
	s_or_b32 s1, vcc_lo, s1
	v_cndmask_b32_e32 v2, v4, v6, vcc_lo
	v_cndmask_b32_e32 v1, v3, v5, vcc_lo
	v_cndmask_b32_e64 v7, 0, 1, s1
                                        ; implicit-def: $vgpr3_vgpr4
                                        ; implicit-def: $vgpr5_vgpr6
; %bb.336:
	s_andn2_saveexec_b32 s0, s0
; %bb.337:
	v_cmp_lt_i64_e32 vcc_lo, v[3:4], v[5:6]
	v_mov_b32_e32 v7, 1
	v_cndmask_b32_e32 v2, v6, v4, vcc_lo
	v_cndmask_b32_e32 v1, v5, v3, vcc_lo
; %bb.338:
	s_or_b32 exec_lo, exec_lo, s0
	v_mov_b32_dpp v3, v1 row_ror:4 row_mask:0xf bank_mask:0xf
	v_mov_b32_dpp v4, v2 row_ror:4 row_mask:0xf bank_mask:0xf
	v_and_b32_e32 v6, 1, v7
	v_mov_b32_dpp v5, v7 row_ror:4 row_mask:0xf bank_mask:0xf
	v_mbcnt_lo_u32_b32 v8, -1, 0
	v_cmp_lt_i64_e32 vcc_lo, v[1:2], v[3:4]
	v_cmp_eq_u32_e64 s0, 1, v6
	v_and_b32_e32 v5, 1, v5
	s_and_b32 vcc_lo, s0, vcc_lo
	v_cmp_eq_u32_e64 s1, 1, v5
	v_cndmask_b32_e32 v3, v3, v1, vcc_lo
	v_cndmask_b32_e32 v4, v4, v2, vcc_lo
	v_cndmask_b32_e64 v5, v7, 1, s1
	v_cndmask_b32_e64 v1, v1, v3, s1
	;; [unrolled: 1-line block ×3, first 2 shown]
	v_and_b32_e32 v7, 1, v5
	v_mov_b32_dpp v3, v1 row_ror:8 row_mask:0xf bank_mask:0xf
	v_mov_b32_dpp v4, v2 row_ror:8 row_mask:0xf bank_mask:0xf
	;; [unrolled: 1-line block ×3, first 2 shown]
	v_cmp_eq_u32_e64 s0, 1, v7
	v_cmp_lt_i64_e32 vcc_lo, v[1:2], v[3:4]
	v_and_b32_e32 v6, 1, v6
	v_cmp_eq_u32_e64 s1, 1, v6
	s_and_b32 vcc_lo, s0, vcc_lo
	v_cndmask_b32_e32 v3, v3, v1, vcc_lo
	v_cndmask_b32_e32 v4, v4, v2, vcc_lo
	v_cndmask_b32_e64 v5, v5, 1, s1
	v_cndmask_b32_e64 v1, v1, v3, s1
	;; [unrolled: 1-line block ×3, first 2 shown]
	ds_swizzle_b32 v6, v5 offset:swizzle(BROADCAST,32,15)
	v_and_b32_e32 v7, 1, v5
	ds_swizzle_b32 v3, v1 offset:swizzle(BROADCAST,32,15)
	ds_swizzle_b32 v4, v2 offset:swizzle(BROADCAST,32,15)
	v_cmp_eq_u32_e64 s0, 1, v7
	s_waitcnt lgkmcnt(2)
	v_and_b32_e32 v6, 1, v6
	s_waitcnt lgkmcnt(0)
	v_cmp_lt_i64_e32 vcc_lo, v[1:2], v[3:4]
	v_cmp_eq_u32_e64 s1, 1, v6
	v_mov_b32_e32 v6, 0
	s_and_b32 vcc_lo, s0, vcc_lo
	v_cndmask_b32_e64 v5, v5, 1, s1
	v_cndmask_b32_e32 v3, v3, v1, vcc_lo
	v_cndmask_b32_e32 v4, v4, v2, vcc_lo
	s_mov_b32 s0, exec_lo
	ds_bpermute_b32 v7, v6, v5 offset:124
	v_cndmask_b32_e64 v1, v1, v3, s1
	v_cndmask_b32_e64 v2, v2, v4, s1
	ds_bpermute_b32 v1, v6, v1 offset:124
	ds_bpermute_b32 v2, v6, v2 offset:124
	v_cmpx_eq_u32_e32 0, v8
	s_cbranch_execz .LBB124_340
; %bb.339:
	v_lshrrev_b32_e32 v3, 1, v0
	v_and_b32_e32 v3, 0x70, v3
	s_waitcnt lgkmcnt(2)
	ds_write_b8 v3, v7
	s_waitcnt lgkmcnt(1)
	ds_write_b64 v3, v[1:2] offset:8
.LBB124_340:
	s_or_b32 exec_lo, exec_lo, s0
	s_mov_b32 s0, exec_lo
	s_waitcnt lgkmcnt(0)
	s_barrier
	buffer_gl0_inv
	v_cmpx_gt_u32_e32 32, v0
	s_cbranch_execz .LBB124_354
; %bb.341:
	v_and_b32_e32 v7, 7, v8
	v_lshlrev_b32_e32 v1, 4, v7
	v_cmp_ne_u32_e32 vcc_lo, 7, v7
	ds_read_u8 v10, v1
	ds_read_b64 v[3:4], v1 offset:8
	v_add_co_ci_u32_e64 v2, null, 0, v8, vcc_lo
	v_lshlrev_b32_e32 v2, 2, v2
	s_waitcnt lgkmcnt(1)
	v_and_b32_e32 v1, 0xff, v10
	s_waitcnt lgkmcnt(0)
	ds_bpermute_b32 v5, v2, v3
	ds_bpermute_b32 v6, v2, v4
	;; [unrolled: 1-line block ×3, first 2 shown]
	s_waitcnt lgkmcnt(0)
	v_and_b32_e32 v1, v10, v11
	v_and_b32_e32 v1, 1, v1
	v_cmp_eq_u32_e32 vcc_lo, 1, v1
                                        ; implicit-def: $vgpr1_vgpr2
	s_and_saveexec_b32 s1, vcc_lo
	s_xor_b32 s1, exec_lo, s1
; %bb.342:
	v_cmp_lt_i64_e32 vcc_lo, v[5:6], v[3:4]
                                        ; implicit-def: $vgpr10
                                        ; implicit-def: $vgpr11
	v_cndmask_b32_e32 v2, v4, v6, vcc_lo
	v_cndmask_b32_e32 v1, v3, v5, vcc_lo
                                        ; implicit-def: $vgpr5_vgpr6
                                        ; implicit-def: $vgpr3_vgpr4
; %bb.343:
	s_or_saveexec_b32 s1, s1
	v_mov_b32_e32 v9, 1
	s_xor_b32 exec_lo, exec_lo, s1
; %bb.344:
	v_and_b32_e32 v1, 1, v10
	v_and_b32_e32 v9, 0xff, v11
	v_cmp_eq_u32_e32 vcc_lo, 1, v1
	v_cndmask_b32_e32 v2, v6, v4, vcc_lo
	v_cndmask_b32_e32 v1, v5, v3, vcc_lo
	v_cndmask_b32_e64 v9, v9, 1, vcc_lo
; %bb.345:
	s_or_b32 exec_lo, exec_lo, s1
	v_cmp_gt_u32_e32 vcc_lo, 6, v7
	v_cndmask_b32_e64 v3, 0, 2, vcc_lo
	v_add_lshl_u32 v3, v3, v8, 2
	ds_bpermute_b32 v7, v3, v9
	ds_bpermute_b32 v5, v3, v1
	;; [unrolled: 1-line block ×3, first 2 shown]
	s_waitcnt lgkmcnt(2)
	v_and_b32_e32 v3, v9, v7
	v_and_b32_e32 v3, 1, v3
	v_cmp_eq_u32_e32 vcc_lo, 1, v3
                                        ; implicit-def: $vgpr3_vgpr4
	s_and_saveexec_b32 s1, vcc_lo
	s_xor_b32 s1, exec_lo, s1
	s_cbranch_execz .LBB124_347
; %bb.346:
	s_waitcnt lgkmcnt(0)
	v_cmp_lt_i64_e32 vcc_lo, v[5:6], v[1:2]
                                        ; implicit-def: $vgpr9
                                        ; implicit-def: $vgpr7
	v_cndmask_b32_e32 v4, v2, v6, vcc_lo
	v_cndmask_b32_e32 v3, v1, v5, vcc_lo
                                        ; implicit-def: $vgpr5_vgpr6
                                        ; implicit-def: $vgpr1_vgpr2
.LBB124_347:
	s_or_saveexec_b32 s1, s1
	v_lshlrev_b32_e32 v10, 2, v8
	v_mov_b32_e32 v8, 1
	s_xor_b32 exec_lo, exec_lo, s1
	s_cbranch_execz .LBB124_349
; %bb.348:
	v_and_b32_e32 v3, 1, v9
	v_and_b32_e32 v7, 0xff, v7
	v_cmp_eq_u32_e32 vcc_lo, 1, v3
	s_waitcnt lgkmcnt(0)
	v_cndmask_b32_e32 v4, v6, v2, vcc_lo
	v_cndmask_b32_e32 v3, v5, v1, vcc_lo
	v_cndmask_b32_e64 v8, v7, 1, vcc_lo
.LBB124_349:
	s_or_b32 exec_lo, exec_lo, s1
	v_or_b32_e32 v1, 16, v10
	ds_bpermute_b32 v9, v1, v8
	s_waitcnt lgkmcnt(2)
	ds_bpermute_b32 v5, v1, v3
	s_waitcnt lgkmcnt(2)
	;; [unrolled: 2-line block ×3, first 2 shown]
	v_and_b32_e32 v1, v8, v9
	v_and_b32_e32 v1, 1, v1
	v_cmp_eq_u32_e32 vcc_lo, 1, v1
                                        ; implicit-def: $vgpr1_vgpr2
	s_and_saveexec_b32 s1, vcc_lo
	s_xor_b32 s1, exec_lo, s1
	s_cbranch_execz .LBB124_351
; %bb.350:
	s_waitcnt lgkmcnt(0)
	v_cmp_lt_i64_e32 vcc_lo, v[5:6], v[3:4]
                                        ; implicit-def: $vgpr8
                                        ; implicit-def: $vgpr9
	v_cndmask_b32_e32 v2, v4, v6, vcc_lo
	v_cndmask_b32_e32 v1, v3, v5, vcc_lo
                                        ; implicit-def: $vgpr5_vgpr6
                                        ; implicit-def: $vgpr3_vgpr4
.LBB124_351:
	s_or_saveexec_b32 s1, s1
	v_mov_b32_e32 v7, 1
	s_xor_b32 exec_lo, exec_lo, s1
	s_cbranch_execz .LBB124_353
; %bb.352:
	v_and_b32_e32 v1, 1, v8
	v_cmp_eq_u32_e32 vcc_lo, 1, v1
	s_waitcnt lgkmcnt(0)
	v_cndmask_b32_e32 v2, v6, v4, vcc_lo
	v_cndmask_b32_e32 v1, v5, v3, vcc_lo
	v_cndmask_b32_e64 v7, v9, 1, vcc_lo
.LBB124_353:
	s_or_b32 exec_lo, exec_lo, s1
.LBB124_354:
	s_or_b32 exec_lo, exec_lo, s0
	s_branch .LBB124_415
.LBB124_355:
                                        ; implicit-def: $vgpr3_vgpr4
                                        ; implicit-def: $vgpr5
                                        ; implicit-def: $vgpr1_vgpr2
.LBB124_356:
	s_and_saveexec_b32 s0, s22
	s_cbranch_execz .LBB124_358
.LBB124_357:
	s_load_dwordx2 s[0:1], s[4:5], 0x38
	v_lshlrev_b64 v[0:1], 4, v[1:2]
	s_waitcnt lgkmcnt(0)
	v_add_co_u32 v0, vcc_lo, s0, v0
	v_add_co_ci_u32_e64 v1, null, s1, v1, vcc_lo
	global_store_byte v[0:1], v5, off
	global_store_dwordx2 v[0:1], v[3:4], off offset:8
.LBB124_358:
	s_endpgm
.LBB124_359:
                                        ; implicit-def: $vgpr1_vgpr2
                                        ; implicit-def: $vgpr7
	s_cbranch_execz .LBB124_415
; %bb.360:
	v_mov_b32_e32 v1, 0
	v_mov_b32_e32 v2, 0
	;; [unrolled: 1-line block ×3, first 2 shown]
	s_sub_i32 s0, s14, s2
	s_mov_b32 s1, exec_lo
	v_cmpx_gt_u32_e64 s0, v0
	s_cbranch_execz .LBB124_362
; %bb.361:
	s_lshl_b64 s[8:9], s[2:3], 3
	v_lshlrev_b32_e32 v1, 3, v0
	s_add_u32 s10, s18, s8
	s_addc_u32 s11, s19, s9
	s_add_u32 s8, s16, s8
	s_addc_u32 s9, s17, s9
	s_add_u32 s2, s12, s2
	s_waitcnt lgkmcnt(0)
	s_clause 0x1
	global_load_dwordx2 v[3:4], v1, s[8:9]
	global_load_dwordx2 v[5:6], v1, s[10:11]
	s_addc_u32 s3, s13, 0
	v_add_co_u32 v1, s2, s2, v0
	v_add_co_ci_u32_e64 v2, null, s3, 0, s2
	s_waitcnt vmcnt(0)
	v_cmp_ne_u64_e32 vcc_lo, v[3:4], v[5:6]
	v_cndmask_b32_e64 v8, 0, 1, vcc_lo
.LBB124_362:
	s_or_b32 exec_lo, exec_lo, s1
	s_waitcnt lgkmcnt(1)
	v_mbcnt_lo_u32_b32 v5, -1, 0
	v_and_b32_e32 v7, 0xffff, v8
	s_waitcnt lgkmcnt(0)
	v_and_b32_e32 v6, 0xe0, v0
	s_min_u32 s0, s0, 0x100
	s_mov_b32 s1, exec_lo
	v_cmp_ne_u32_e32 vcc_lo, 31, v5
	v_add_nc_u32_e32 v10, 1, v5
	v_sub_nc_u32_e64 v6, s0, v6 clamp
	v_add_co_ci_u32_e64 v3, null, 0, v5, vcc_lo
	v_lshlrev_b32_e32 v4, 2, v3
	ds_bpermute_b32 v9, v4, v7
	ds_bpermute_b32 v3, v4, v1
	;; [unrolled: 1-line block ×3, first 2 shown]
	v_cmpx_lt_u32_e64 v10, v6
	s_cbranch_execz .LBB124_368
; %bb.363:
	s_waitcnt lgkmcnt(2)
	v_and_b32_e32 v7, v9, v7
	s_mov_b32 s2, exec_lo
	v_and_b32_e32 v7, 1, v7
	v_cmpx_eq_u32_e32 1, v7
	s_xor_b32 s2, exec_lo, s2
	s_cbranch_execz .LBB124_365
; %bb.364:
	s_waitcnt lgkmcnt(0)
	v_cmp_lt_i64_e32 vcc_lo, v[3:4], v[1:2]
                                        ; implicit-def: $vgpr8
                                        ; implicit-def: $vgpr9
	v_cndmask_b32_e32 v2, v2, v4, vcc_lo
	v_cndmask_b32_e32 v1, v1, v3, vcc_lo
                                        ; implicit-def: $vgpr3_vgpr4
.LBB124_365:
	s_or_saveexec_b32 s2, s2
	v_mov_b32_e32 v7, 1
	s_xor_b32 exec_lo, exec_lo, s2
	s_cbranch_execz .LBB124_367
; %bb.366:
	v_and_b32_e32 v7, 1, v8
	v_cmp_eq_u32_e32 vcc_lo, 1, v7
	v_and_b32_e32 v7, 0xff, v9
	s_waitcnt lgkmcnt(0)
	v_cndmask_b32_e32 v2, v4, v2, vcc_lo
	v_cndmask_b32_e32 v1, v3, v1, vcc_lo
	v_cndmask_b32_e64 v7, v7, 1, vcc_lo
.LBB124_367:
	s_or_b32 exec_lo, exec_lo, s2
.LBB124_368:
	s_or_b32 exec_lo, exec_lo, s1
	v_cmp_gt_u32_e32 vcc_lo, 30, v5
	s_waitcnt lgkmcnt(2)
	v_add_nc_u32_e32 v9, 2, v5
	s_mov_b32 s1, exec_lo
	s_waitcnt lgkmcnt(1)
	v_cndmask_b32_e64 v3, 0, 2, vcc_lo
	s_waitcnt lgkmcnt(0)
	v_add_lshl_u32 v4, v3, v5, 2
	ds_bpermute_b32 v8, v4, v7
	ds_bpermute_b32 v3, v4, v1
	;; [unrolled: 1-line block ×3, first 2 shown]
	v_cmpx_lt_u32_e64 v9, v6
	s_cbranch_execz .LBB124_374
; %bb.369:
	s_waitcnt lgkmcnt(2)
	v_and_b32_e32 v9, v7, v8
	s_mov_b32 s2, exec_lo
	v_and_b32_e32 v9, 1, v9
	v_cmpx_eq_u32_e32 1, v9
	s_xor_b32 s2, exec_lo, s2
	s_cbranch_execz .LBB124_371
; %bb.370:
	s_waitcnt lgkmcnt(0)
	v_cmp_lt_i64_e32 vcc_lo, v[3:4], v[1:2]
                                        ; implicit-def: $vgpr7
                                        ; implicit-def: $vgpr8
	v_cndmask_b32_e32 v2, v2, v4, vcc_lo
	v_cndmask_b32_e32 v1, v1, v3, vcc_lo
                                        ; implicit-def: $vgpr3_vgpr4
.LBB124_371:
	s_or_saveexec_b32 s2, s2
	v_mov_b32_e32 v9, 1
	s_xor_b32 exec_lo, exec_lo, s2
	s_cbranch_execz .LBB124_373
; %bb.372:
	v_and_b32_e32 v7, 1, v7
	v_cmp_eq_u32_e32 vcc_lo, 1, v7
	v_and_b32_e32 v7, 0xff, v8
	s_waitcnt lgkmcnt(0)
	v_cndmask_b32_e32 v2, v4, v2, vcc_lo
	v_cndmask_b32_e32 v1, v3, v1, vcc_lo
	v_cndmask_b32_e64 v9, v7, 1, vcc_lo
.LBB124_373:
	s_or_b32 exec_lo, exec_lo, s2
	v_mov_b32_e32 v7, v9
.LBB124_374:
	s_or_b32 exec_lo, exec_lo, s1
	v_cmp_gt_u32_e32 vcc_lo, 28, v5
	v_add_nc_u32_e32 v9, 4, v5
	s_mov_b32 s1, exec_lo
	s_waitcnt lgkmcnt(1)
	v_cndmask_b32_e64 v3, 0, 4, vcc_lo
	s_waitcnt lgkmcnt(0)
	v_add_lshl_u32 v4, v3, v5, 2
	ds_bpermute_b32 v8, v4, v7
	ds_bpermute_b32 v3, v4, v1
	;; [unrolled: 1-line block ×3, first 2 shown]
	v_cmpx_lt_u32_e64 v9, v6
	s_cbranch_execz .LBB124_380
; %bb.375:
	s_waitcnt lgkmcnt(2)
	v_and_b32_e32 v9, v7, v8
	s_mov_b32 s2, exec_lo
	v_and_b32_e32 v9, 1, v9
	v_cmpx_eq_u32_e32 1, v9
	s_xor_b32 s2, exec_lo, s2
	s_cbranch_execz .LBB124_377
; %bb.376:
	s_waitcnt lgkmcnt(0)
	v_cmp_lt_i64_e32 vcc_lo, v[3:4], v[1:2]
                                        ; implicit-def: $vgpr7
                                        ; implicit-def: $vgpr8
	v_cndmask_b32_e32 v2, v2, v4, vcc_lo
	v_cndmask_b32_e32 v1, v1, v3, vcc_lo
                                        ; implicit-def: $vgpr3_vgpr4
.LBB124_377:
	s_or_saveexec_b32 s2, s2
	v_mov_b32_e32 v9, 1
	s_xor_b32 exec_lo, exec_lo, s2
	s_cbranch_execz .LBB124_379
; %bb.378:
	v_and_b32_e32 v7, 1, v7
	v_cmp_eq_u32_e32 vcc_lo, 1, v7
	v_and_b32_e32 v7, 0xff, v8
	s_waitcnt lgkmcnt(0)
	v_cndmask_b32_e32 v2, v4, v2, vcc_lo
	v_cndmask_b32_e32 v1, v3, v1, vcc_lo
	v_cndmask_b32_e64 v9, v7, 1, vcc_lo
.LBB124_379:
	s_or_b32 exec_lo, exec_lo, s2
	v_mov_b32_e32 v7, v9
.LBB124_380:
	s_or_b32 exec_lo, exec_lo, s1
	v_cmp_gt_u32_e32 vcc_lo, 24, v5
	v_add_nc_u32_e32 v9, 8, v5
	s_mov_b32 s1, exec_lo
	s_waitcnt lgkmcnt(1)
	v_cndmask_b32_e64 v3, 0, 8, vcc_lo
	s_waitcnt lgkmcnt(0)
	v_add_lshl_u32 v4, v3, v5, 2
	ds_bpermute_b32 v8, v4, v7
	ds_bpermute_b32 v3, v4, v1
	;; [unrolled: 1-line block ×3, first 2 shown]
	v_cmpx_lt_u32_e64 v9, v6
	s_cbranch_execz .LBB124_386
; %bb.381:
	s_waitcnt lgkmcnt(2)
	v_and_b32_e32 v9, v7, v8
	s_mov_b32 s2, exec_lo
	v_and_b32_e32 v9, 1, v9
	v_cmpx_eq_u32_e32 1, v9
	s_xor_b32 s2, exec_lo, s2
	s_cbranch_execz .LBB124_383
; %bb.382:
	s_waitcnt lgkmcnt(0)
	v_cmp_lt_i64_e32 vcc_lo, v[3:4], v[1:2]
                                        ; implicit-def: $vgpr7
                                        ; implicit-def: $vgpr8
	v_cndmask_b32_e32 v2, v2, v4, vcc_lo
	v_cndmask_b32_e32 v1, v1, v3, vcc_lo
                                        ; implicit-def: $vgpr3_vgpr4
.LBB124_383:
	s_or_saveexec_b32 s2, s2
	v_mov_b32_e32 v9, 1
	s_xor_b32 exec_lo, exec_lo, s2
	s_cbranch_execz .LBB124_385
; %bb.384:
	v_and_b32_e32 v7, 1, v7
	v_cmp_eq_u32_e32 vcc_lo, 1, v7
	v_and_b32_e32 v7, 0xff, v8
	s_waitcnt lgkmcnt(0)
	v_cndmask_b32_e32 v2, v4, v2, vcc_lo
	v_cndmask_b32_e32 v1, v3, v1, vcc_lo
	v_cndmask_b32_e64 v9, v7, 1, vcc_lo
.LBB124_385:
	s_or_b32 exec_lo, exec_lo, s2
	v_mov_b32_e32 v7, v9
.LBB124_386:
	s_or_b32 exec_lo, exec_lo, s1
	s_waitcnt lgkmcnt(2)
	v_lshlrev_b32_e32 v8, 2, v5
	v_add_nc_u32_e32 v10, 16, v5
	s_waitcnt lgkmcnt(0)
	v_or_b32_e32 v4, 64, v8
	v_cmp_lt_u32_e32 vcc_lo, v10, v6
	v_mov_b32_e32 v6, v7
	ds_bpermute_b32 v9, v4, v7
	ds_bpermute_b32 v3, v4, v1
	;; [unrolled: 1-line block ×3, first 2 shown]
	s_and_saveexec_b32 s1, vcc_lo
	s_cbranch_execz .LBB124_392
; %bb.387:
	s_waitcnt lgkmcnt(2)
	v_and_b32_e32 v6, v7, v9
	s_mov_b32 s2, exec_lo
	v_and_b32_e32 v6, 1, v6
	v_cmpx_eq_u32_e32 1, v6
	s_xor_b32 s2, exec_lo, s2
	s_cbranch_execz .LBB124_389
; %bb.388:
	s_waitcnt lgkmcnt(0)
	v_cmp_lt_i64_e32 vcc_lo, v[3:4], v[1:2]
                                        ; implicit-def: $vgpr7
                                        ; implicit-def: $vgpr9
	v_cndmask_b32_e32 v2, v2, v4, vcc_lo
	v_cndmask_b32_e32 v1, v1, v3, vcc_lo
                                        ; implicit-def: $vgpr3_vgpr4
.LBB124_389:
	s_or_saveexec_b32 s2, s2
	v_mov_b32_e32 v6, 1
	s_xor_b32 exec_lo, exec_lo, s2
	s_cbranch_execz .LBB124_391
; %bb.390:
	v_and_b32_e32 v6, 1, v7
	v_cmp_eq_u32_e32 vcc_lo, 1, v6
	v_cndmask_b32_e64 v6, v9, 1, vcc_lo
	s_waitcnt lgkmcnt(0)
	v_cndmask_b32_e32 v2, v4, v2, vcc_lo
	v_cndmask_b32_e32 v1, v3, v1, vcc_lo
.LBB124_391:
	s_or_b32 exec_lo, exec_lo, s2
	v_and_b32_e32 v7, 0xff, v6
.LBB124_392:
	s_or_b32 exec_lo, exec_lo, s1
	s_mov_b32 s1, exec_lo
	v_cmpx_eq_u32_e32 0, v5
	s_cbranch_execz .LBB124_394
; %bb.393:
	s_waitcnt lgkmcnt(1)
	v_lshrrev_b32_e32 v3, 1, v0
	v_and_b32_e32 v3, 0x70, v3
	ds_write_b8 v3, v6 offset:512
	ds_write_b64 v3, v[1:2] offset:520
.LBB124_394:
	s_or_b32 exec_lo, exec_lo, s1
	s_mov_b32 s1, exec_lo
	s_waitcnt lgkmcnt(0)
	s_barrier
	buffer_gl0_inv
	v_cmpx_gt_u32_e32 8, v0
	s_cbranch_execz .LBB124_414
; %bb.395:
	v_lshlrev_b32_e32 v1, 4, v5
	v_and_b32_e32 v6, 7, v5
	s_add_i32 s0, s0, 31
	s_mov_b32 s2, exec_lo
	s_lshr_b32 s0, s0, 5
	ds_read_u8 v9, v1 offset:512
	ds_read_b64 v[1:2], v1 offset:520
	v_cmp_ne_u32_e32 vcc_lo, 7, v6
	v_add_nc_u32_e32 v11, 1, v6
	v_add_co_ci_u32_e64 v3, null, 0, v5, vcc_lo
	v_lshlrev_b32_e32 v4, 2, v3
	s_waitcnt lgkmcnt(1)
	v_and_b32_e32 v7, 0xff, v9
	s_waitcnt lgkmcnt(0)
	ds_bpermute_b32 v3, v4, v1
	ds_bpermute_b32 v10, v4, v7
	;; [unrolled: 1-line block ×3, first 2 shown]
	v_cmpx_gt_u32_e64 s0, v11
	s_cbranch_execz .LBB124_401
; %bb.396:
	s_waitcnt lgkmcnt(1)
	v_and_b32_e32 v7, v7, v10
	s_mov_b32 s3, exec_lo
	v_and_b32_e32 v7, 1, v7
	v_cmpx_eq_u32_e32 1, v7
	s_xor_b32 s3, exec_lo, s3
	s_cbranch_execz .LBB124_398
; %bb.397:
	s_waitcnt lgkmcnt(0)
	v_cmp_lt_i64_e32 vcc_lo, v[3:4], v[1:2]
                                        ; implicit-def: $vgpr9
                                        ; implicit-def: $vgpr10
	v_cndmask_b32_e32 v2, v2, v4, vcc_lo
	v_cndmask_b32_e32 v1, v1, v3, vcc_lo
                                        ; implicit-def: $vgpr3_vgpr4
.LBB124_398:
	s_or_saveexec_b32 s3, s3
	v_mov_b32_e32 v7, 1
	s_xor_b32 exec_lo, exec_lo, s3
	s_cbranch_execz .LBB124_400
; %bb.399:
	v_and_b32_e32 v7, 1, v9
	v_cmp_eq_u32_e32 vcc_lo, 1, v7
	v_and_b32_e32 v7, 0xff, v10
	s_waitcnt lgkmcnt(0)
	v_cndmask_b32_e32 v2, v4, v2, vcc_lo
	v_cndmask_b32_e32 v1, v3, v1, vcc_lo
	v_cndmask_b32_e64 v7, v7, 1, vcc_lo
.LBB124_400:
	s_or_b32 exec_lo, exec_lo, s3
.LBB124_401:
	s_or_b32 exec_lo, exec_lo, s2
	v_cmp_gt_u32_e32 vcc_lo, 6, v6
	v_add_nc_u32_e32 v9, 2, v6
	s_mov_b32 s2, exec_lo
	s_waitcnt lgkmcnt(2)
	v_cndmask_b32_e64 v3, 0, 2, vcc_lo
	s_waitcnt lgkmcnt(0)
	v_add_lshl_u32 v4, v3, v5, 2
	ds_bpermute_b32 v5, v4, v7
	ds_bpermute_b32 v3, v4, v1
	;; [unrolled: 1-line block ×3, first 2 shown]
	v_cmpx_gt_u32_e64 s0, v9
	s_cbranch_execz .LBB124_407
; %bb.402:
	s_waitcnt lgkmcnt(2)
	v_and_b32_e32 v9, v7, v5
	s_mov_b32 s3, exec_lo
	v_and_b32_e32 v9, 1, v9
	v_cmpx_eq_u32_e32 1, v9
	s_xor_b32 s3, exec_lo, s3
	s_cbranch_execz .LBB124_404
; %bb.403:
	s_waitcnt lgkmcnt(0)
	v_cmp_lt_i64_e32 vcc_lo, v[3:4], v[1:2]
                                        ; implicit-def: $vgpr7
                                        ; implicit-def: $vgpr5
	v_cndmask_b32_e32 v2, v2, v4, vcc_lo
	v_cndmask_b32_e32 v1, v1, v3, vcc_lo
                                        ; implicit-def: $vgpr3_vgpr4
.LBB124_404:
	s_or_saveexec_b32 s3, s3
	v_mov_b32_e32 v9, 1
	s_xor_b32 exec_lo, exec_lo, s3
	s_cbranch_execz .LBB124_406
; %bb.405:
	v_and_b32_e32 v7, 1, v7
	v_and_b32_e32 v5, 0xff, v5
	v_cmp_eq_u32_e32 vcc_lo, 1, v7
	s_waitcnt lgkmcnt(0)
	v_cndmask_b32_e32 v2, v4, v2, vcc_lo
	v_cndmask_b32_e32 v1, v3, v1, vcc_lo
	v_cndmask_b32_e64 v9, v5, 1, vcc_lo
.LBB124_406:
	s_or_b32 exec_lo, exec_lo, s3
	v_mov_b32_e32 v7, v9
.LBB124_407:
	s_or_b32 exec_lo, exec_lo, s2
	s_waitcnt lgkmcnt(0)
	v_or_b32_e32 v4, 16, v8
	v_add_nc_u32_e32 v6, 4, v6
	ds_bpermute_b32 v5, v4, v7
	ds_bpermute_b32 v3, v4, v1
	;; [unrolled: 1-line block ×3, first 2 shown]
	v_cmp_gt_u32_e32 vcc_lo, s0, v6
	s_and_saveexec_b32 s0, vcc_lo
	s_cbranch_execz .LBB124_413
; %bb.408:
	s_waitcnt lgkmcnt(2)
	v_and_b32_e32 v6, v7, v5
	s_mov_b32 s2, exec_lo
	v_and_b32_e32 v6, 1, v6
	v_cmpx_eq_u32_e32 1, v6
	s_xor_b32 s2, exec_lo, s2
	s_cbranch_execz .LBB124_410
; %bb.409:
	s_waitcnt lgkmcnt(0)
	v_cmp_lt_i64_e32 vcc_lo, v[3:4], v[1:2]
                                        ; implicit-def: $vgpr7
                                        ; implicit-def: $vgpr5
	v_cndmask_b32_e32 v2, v2, v4, vcc_lo
	v_cndmask_b32_e32 v1, v1, v3, vcc_lo
                                        ; implicit-def: $vgpr3_vgpr4
.LBB124_410:
	s_or_saveexec_b32 s2, s2
	v_mov_b32_e32 v6, 1
	s_xor_b32 exec_lo, exec_lo, s2
	s_cbranch_execz .LBB124_412
; %bb.411:
	v_and_b32_e32 v6, 1, v7
	v_cmp_eq_u32_e32 vcc_lo, 1, v6
	s_waitcnt lgkmcnt(0)
	v_cndmask_b32_e32 v2, v4, v2, vcc_lo
	v_cndmask_b32_e32 v1, v3, v1, vcc_lo
	v_cndmask_b32_e64 v6, v5, 1, vcc_lo
.LBB124_412:
	s_or_b32 exec_lo, exec_lo, s2
	v_mov_b32_e32 v7, v6
.LBB124_413:
	s_or_b32 exec_lo, exec_lo, s0
.LBB124_414:
	s_or_b32 exec_lo, exec_lo, s1
.LBB124_415:
	s_mov_b32 s2, exec_lo
                                        ; implicit-def: $vgpr3_vgpr4
                                        ; implicit-def: $vgpr5
	v_cmpx_eq_u32_e32 0, v0
	s_cbranch_execz .LBB124_419
; %bb.416:
	s_waitcnt lgkmcnt(0)
	v_mov_b32_e32 v3, s20
	v_mov_b32_e32 v4, s21
	;; [unrolled: 1-line block ×3, first 2 shown]
	s_cmp_eq_u64 s[14:15], 0
	s_cbranch_scc1 .LBB124_418
; %bb.417:
	v_and_b32_e32 v0, 1, v7
	v_cmp_gt_i64_e32 vcc_lo, s[20:21], v[1:2]
	s_bitcmp1_b32 s24, 0
	s_cselect_b32 s1, -1, 0
	v_cmp_eq_u32_e64 s0, 1, v0
	v_cndmask_b32_e64 v5, v7, 1, s1
	s_and_b32 vcc_lo, s0, vcc_lo
	v_cndmask_b32_e32 v0, s20, v1, vcc_lo
	v_cndmask_b32_e32 v3, s21, v2, vcc_lo
	v_cndmask_b32_e64 v4, v2, v3, s1
	v_cndmask_b32_e64 v3, v1, v0, s1
.LBB124_418:
	s_or_b32 s22, s22, exec_lo
.LBB124_419:
	s_or_b32 exec_lo, exec_lo, s2
	v_mov_b32_e32 v1, s6
	v_mov_b32_e32 v2, s7
	s_and_saveexec_b32 s0, s22
	s_cbranch_execnz .LBB124_357
	s_branch .LBB124_358
	.section	.rodata,"a",@progbits
	.p2align	6, 0x0
	.amdhsa_kernel _ZN7rocprim17ROCPRIM_400000_NS6detail17trampoline_kernelINS0_14default_configENS1_22reduce_config_selectorIN6thrust23THRUST_200600_302600_NS5tupleIblNS6_9null_typeES8_S8_S8_S8_S8_S8_S8_EEEEZNS1_11reduce_implILb1ES3_NS6_12zip_iteratorINS7_INS6_11hip_rocprim26transform_input_iterator_tIbNSD_35transform_pair_of_input_iterators_tIbNS6_6detail15normal_iteratorINS6_10device_ptrIKyEEEESL_NS6_8equal_toIyEEEENSG_9not_fun_tINSD_8identityEEEEENSD_19counting_iterator_tIlEES8_S8_S8_S8_S8_S8_S8_S8_EEEEPS9_S9_NSD_9__find_if7functorIS9_EEEE10hipError_tPvRmT1_T2_T3_mT4_P12ihipStream_tbEUlT_E1_NS1_11comp_targetILNS1_3genE8ELNS1_11target_archE1030ELNS1_3gpuE2ELNS1_3repE0EEENS1_30default_config_static_selectorELNS0_4arch9wavefront6targetE0EEEvS14_
		.amdhsa_group_segment_fixed_size 640
		.amdhsa_private_segment_fixed_size 0
		.amdhsa_kernarg_size 88
		.amdhsa_user_sgpr_count 6
		.amdhsa_user_sgpr_private_segment_buffer 1
		.amdhsa_user_sgpr_dispatch_ptr 0
		.amdhsa_user_sgpr_queue_ptr 0
		.amdhsa_user_sgpr_kernarg_segment_ptr 1
		.amdhsa_user_sgpr_dispatch_id 0
		.amdhsa_user_sgpr_flat_scratch_init 0
		.amdhsa_user_sgpr_private_segment_size 0
		.amdhsa_wavefront_size32 1
		.amdhsa_uses_dynamic_stack 0
		.amdhsa_system_sgpr_private_segment_wavefront_offset 0
		.amdhsa_system_sgpr_workgroup_id_x 1
		.amdhsa_system_sgpr_workgroup_id_y 0
		.amdhsa_system_sgpr_workgroup_id_z 0
		.amdhsa_system_sgpr_workgroup_info 0
		.amdhsa_system_vgpr_workitem_id 0
		.amdhsa_next_free_vgpr 36
		.amdhsa_next_free_sgpr 32
		.amdhsa_reserve_vcc 1
		.amdhsa_reserve_flat_scratch 0
		.amdhsa_float_round_mode_32 0
		.amdhsa_float_round_mode_16_64 0
		.amdhsa_float_denorm_mode_32 3
		.amdhsa_float_denorm_mode_16_64 3
		.amdhsa_dx10_clamp 1
		.amdhsa_ieee_mode 1
		.amdhsa_fp16_overflow 0
		.amdhsa_workgroup_processor_mode 1
		.amdhsa_memory_ordered 1
		.amdhsa_forward_progress 1
		.amdhsa_shared_vgpr_count 0
		.amdhsa_exception_fp_ieee_invalid_op 0
		.amdhsa_exception_fp_denorm_src 0
		.amdhsa_exception_fp_ieee_div_zero 0
		.amdhsa_exception_fp_ieee_overflow 0
		.amdhsa_exception_fp_ieee_underflow 0
		.amdhsa_exception_fp_ieee_inexact 0
		.amdhsa_exception_int_div_zero 0
	.end_amdhsa_kernel
	.section	.text._ZN7rocprim17ROCPRIM_400000_NS6detail17trampoline_kernelINS0_14default_configENS1_22reduce_config_selectorIN6thrust23THRUST_200600_302600_NS5tupleIblNS6_9null_typeES8_S8_S8_S8_S8_S8_S8_EEEEZNS1_11reduce_implILb1ES3_NS6_12zip_iteratorINS7_INS6_11hip_rocprim26transform_input_iterator_tIbNSD_35transform_pair_of_input_iterators_tIbNS6_6detail15normal_iteratorINS6_10device_ptrIKyEEEESL_NS6_8equal_toIyEEEENSG_9not_fun_tINSD_8identityEEEEENSD_19counting_iterator_tIlEES8_S8_S8_S8_S8_S8_S8_S8_EEEEPS9_S9_NSD_9__find_if7functorIS9_EEEE10hipError_tPvRmT1_T2_T3_mT4_P12ihipStream_tbEUlT_E1_NS1_11comp_targetILNS1_3genE8ELNS1_11target_archE1030ELNS1_3gpuE2ELNS1_3repE0EEENS1_30default_config_static_selectorELNS0_4arch9wavefront6targetE0EEEvS14_,"axG",@progbits,_ZN7rocprim17ROCPRIM_400000_NS6detail17trampoline_kernelINS0_14default_configENS1_22reduce_config_selectorIN6thrust23THRUST_200600_302600_NS5tupleIblNS6_9null_typeES8_S8_S8_S8_S8_S8_S8_EEEEZNS1_11reduce_implILb1ES3_NS6_12zip_iteratorINS7_INS6_11hip_rocprim26transform_input_iterator_tIbNSD_35transform_pair_of_input_iterators_tIbNS6_6detail15normal_iteratorINS6_10device_ptrIKyEEEESL_NS6_8equal_toIyEEEENSG_9not_fun_tINSD_8identityEEEEENSD_19counting_iterator_tIlEES8_S8_S8_S8_S8_S8_S8_S8_EEEEPS9_S9_NSD_9__find_if7functorIS9_EEEE10hipError_tPvRmT1_T2_T3_mT4_P12ihipStream_tbEUlT_E1_NS1_11comp_targetILNS1_3genE8ELNS1_11target_archE1030ELNS1_3gpuE2ELNS1_3repE0EEENS1_30default_config_static_selectorELNS0_4arch9wavefront6targetE0EEEvS14_,comdat
.Lfunc_end124:
	.size	_ZN7rocprim17ROCPRIM_400000_NS6detail17trampoline_kernelINS0_14default_configENS1_22reduce_config_selectorIN6thrust23THRUST_200600_302600_NS5tupleIblNS6_9null_typeES8_S8_S8_S8_S8_S8_S8_EEEEZNS1_11reduce_implILb1ES3_NS6_12zip_iteratorINS7_INS6_11hip_rocprim26transform_input_iterator_tIbNSD_35transform_pair_of_input_iterators_tIbNS6_6detail15normal_iteratorINS6_10device_ptrIKyEEEESL_NS6_8equal_toIyEEEENSG_9not_fun_tINSD_8identityEEEEENSD_19counting_iterator_tIlEES8_S8_S8_S8_S8_S8_S8_S8_EEEEPS9_S9_NSD_9__find_if7functorIS9_EEEE10hipError_tPvRmT1_T2_T3_mT4_P12ihipStream_tbEUlT_E1_NS1_11comp_targetILNS1_3genE8ELNS1_11target_archE1030ELNS1_3gpuE2ELNS1_3repE0EEENS1_30default_config_static_selectorELNS0_4arch9wavefront6targetE0EEEvS14_, .Lfunc_end124-_ZN7rocprim17ROCPRIM_400000_NS6detail17trampoline_kernelINS0_14default_configENS1_22reduce_config_selectorIN6thrust23THRUST_200600_302600_NS5tupleIblNS6_9null_typeES8_S8_S8_S8_S8_S8_S8_EEEEZNS1_11reduce_implILb1ES3_NS6_12zip_iteratorINS7_INS6_11hip_rocprim26transform_input_iterator_tIbNSD_35transform_pair_of_input_iterators_tIbNS6_6detail15normal_iteratorINS6_10device_ptrIKyEEEESL_NS6_8equal_toIyEEEENSG_9not_fun_tINSD_8identityEEEEENSD_19counting_iterator_tIlEES8_S8_S8_S8_S8_S8_S8_S8_EEEEPS9_S9_NSD_9__find_if7functorIS9_EEEE10hipError_tPvRmT1_T2_T3_mT4_P12ihipStream_tbEUlT_E1_NS1_11comp_targetILNS1_3genE8ELNS1_11target_archE1030ELNS1_3gpuE2ELNS1_3repE0EEENS1_30default_config_static_selectorELNS0_4arch9wavefront6targetE0EEEvS14_
                                        ; -- End function
	.set _ZN7rocprim17ROCPRIM_400000_NS6detail17trampoline_kernelINS0_14default_configENS1_22reduce_config_selectorIN6thrust23THRUST_200600_302600_NS5tupleIblNS6_9null_typeES8_S8_S8_S8_S8_S8_S8_EEEEZNS1_11reduce_implILb1ES3_NS6_12zip_iteratorINS7_INS6_11hip_rocprim26transform_input_iterator_tIbNSD_35transform_pair_of_input_iterators_tIbNS6_6detail15normal_iteratorINS6_10device_ptrIKyEEEESL_NS6_8equal_toIyEEEENSG_9not_fun_tINSD_8identityEEEEENSD_19counting_iterator_tIlEES8_S8_S8_S8_S8_S8_S8_S8_EEEEPS9_S9_NSD_9__find_if7functorIS9_EEEE10hipError_tPvRmT1_T2_T3_mT4_P12ihipStream_tbEUlT_E1_NS1_11comp_targetILNS1_3genE8ELNS1_11target_archE1030ELNS1_3gpuE2ELNS1_3repE0EEENS1_30default_config_static_selectorELNS0_4arch9wavefront6targetE0EEEvS14_.num_vgpr, 36
	.set _ZN7rocprim17ROCPRIM_400000_NS6detail17trampoline_kernelINS0_14default_configENS1_22reduce_config_selectorIN6thrust23THRUST_200600_302600_NS5tupleIblNS6_9null_typeES8_S8_S8_S8_S8_S8_S8_EEEEZNS1_11reduce_implILb1ES3_NS6_12zip_iteratorINS7_INS6_11hip_rocprim26transform_input_iterator_tIbNSD_35transform_pair_of_input_iterators_tIbNS6_6detail15normal_iteratorINS6_10device_ptrIKyEEEESL_NS6_8equal_toIyEEEENSG_9not_fun_tINSD_8identityEEEEENSD_19counting_iterator_tIlEES8_S8_S8_S8_S8_S8_S8_S8_EEEEPS9_S9_NSD_9__find_if7functorIS9_EEEE10hipError_tPvRmT1_T2_T3_mT4_P12ihipStream_tbEUlT_E1_NS1_11comp_targetILNS1_3genE8ELNS1_11target_archE1030ELNS1_3gpuE2ELNS1_3repE0EEENS1_30default_config_static_selectorELNS0_4arch9wavefront6targetE0EEEvS14_.num_agpr, 0
	.set _ZN7rocprim17ROCPRIM_400000_NS6detail17trampoline_kernelINS0_14default_configENS1_22reduce_config_selectorIN6thrust23THRUST_200600_302600_NS5tupleIblNS6_9null_typeES8_S8_S8_S8_S8_S8_S8_EEEEZNS1_11reduce_implILb1ES3_NS6_12zip_iteratorINS7_INS6_11hip_rocprim26transform_input_iterator_tIbNSD_35transform_pair_of_input_iterators_tIbNS6_6detail15normal_iteratorINS6_10device_ptrIKyEEEESL_NS6_8equal_toIyEEEENSG_9not_fun_tINSD_8identityEEEEENSD_19counting_iterator_tIlEES8_S8_S8_S8_S8_S8_S8_S8_EEEEPS9_S9_NSD_9__find_if7functorIS9_EEEE10hipError_tPvRmT1_T2_T3_mT4_P12ihipStream_tbEUlT_E1_NS1_11comp_targetILNS1_3genE8ELNS1_11target_archE1030ELNS1_3gpuE2ELNS1_3repE0EEENS1_30default_config_static_selectorELNS0_4arch9wavefront6targetE0EEEvS14_.numbered_sgpr, 32
	.set _ZN7rocprim17ROCPRIM_400000_NS6detail17trampoline_kernelINS0_14default_configENS1_22reduce_config_selectorIN6thrust23THRUST_200600_302600_NS5tupleIblNS6_9null_typeES8_S8_S8_S8_S8_S8_S8_EEEEZNS1_11reduce_implILb1ES3_NS6_12zip_iteratorINS7_INS6_11hip_rocprim26transform_input_iterator_tIbNSD_35transform_pair_of_input_iterators_tIbNS6_6detail15normal_iteratorINS6_10device_ptrIKyEEEESL_NS6_8equal_toIyEEEENSG_9not_fun_tINSD_8identityEEEEENSD_19counting_iterator_tIlEES8_S8_S8_S8_S8_S8_S8_S8_EEEEPS9_S9_NSD_9__find_if7functorIS9_EEEE10hipError_tPvRmT1_T2_T3_mT4_P12ihipStream_tbEUlT_E1_NS1_11comp_targetILNS1_3genE8ELNS1_11target_archE1030ELNS1_3gpuE2ELNS1_3repE0EEENS1_30default_config_static_selectorELNS0_4arch9wavefront6targetE0EEEvS14_.num_named_barrier, 0
	.set _ZN7rocprim17ROCPRIM_400000_NS6detail17trampoline_kernelINS0_14default_configENS1_22reduce_config_selectorIN6thrust23THRUST_200600_302600_NS5tupleIblNS6_9null_typeES8_S8_S8_S8_S8_S8_S8_EEEEZNS1_11reduce_implILb1ES3_NS6_12zip_iteratorINS7_INS6_11hip_rocprim26transform_input_iterator_tIbNSD_35transform_pair_of_input_iterators_tIbNS6_6detail15normal_iteratorINS6_10device_ptrIKyEEEESL_NS6_8equal_toIyEEEENSG_9not_fun_tINSD_8identityEEEEENSD_19counting_iterator_tIlEES8_S8_S8_S8_S8_S8_S8_S8_EEEEPS9_S9_NSD_9__find_if7functorIS9_EEEE10hipError_tPvRmT1_T2_T3_mT4_P12ihipStream_tbEUlT_E1_NS1_11comp_targetILNS1_3genE8ELNS1_11target_archE1030ELNS1_3gpuE2ELNS1_3repE0EEENS1_30default_config_static_selectorELNS0_4arch9wavefront6targetE0EEEvS14_.private_seg_size, 0
	.set _ZN7rocprim17ROCPRIM_400000_NS6detail17trampoline_kernelINS0_14default_configENS1_22reduce_config_selectorIN6thrust23THRUST_200600_302600_NS5tupleIblNS6_9null_typeES8_S8_S8_S8_S8_S8_S8_EEEEZNS1_11reduce_implILb1ES3_NS6_12zip_iteratorINS7_INS6_11hip_rocprim26transform_input_iterator_tIbNSD_35transform_pair_of_input_iterators_tIbNS6_6detail15normal_iteratorINS6_10device_ptrIKyEEEESL_NS6_8equal_toIyEEEENSG_9not_fun_tINSD_8identityEEEEENSD_19counting_iterator_tIlEES8_S8_S8_S8_S8_S8_S8_S8_EEEEPS9_S9_NSD_9__find_if7functorIS9_EEEE10hipError_tPvRmT1_T2_T3_mT4_P12ihipStream_tbEUlT_E1_NS1_11comp_targetILNS1_3genE8ELNS1_11target_archE1030ELNS1_3gpuE2ELNS1_3repE0EEENS1_30default_config_static_selectorELNS0_4arch9wavefront6targetE0EEEvS14_.uses_vcc, 1
	.set _ZN7rocprim17ROCPRIM_400000_NS6detail17trampoline_kernelINS0_14default_configENS1_22reduce_config_selectorIN6thrust23THRUST_200600_302600_NS5tupleIblNS6_9null_typeES8_S8_S8_S8_S8_S8_S8_EEEEZNS1_11reduce_implILb1ES3_NS6_12zip_iteratorINS7_INS6_11hip_rocprim26transform_input_iterator_tIbNSD_35transform_pair_of_input_iterators_tIbNS6_6detail15normal_iteratorINS6_10device_ptrIKyEEEESL_NS6_8equal_toIyEEEENSG_9not_fun_tINSD_8identityEEEEENSD_19counting_iterator_tIlEES8_S8_S8_S8_S8_S8_S8_S8_EEEEPS9_S9_NSD_9__find_if7functorIS9_EEEE10hipError_tPvRmT1_T2_T3_mT4_P12ihipStream_tbEUlT_E1_NS1_11comp_targetILNS1_3genE8ELNS1_11target_archE1030ELNS1_3gpuE2ELNS1_3repE0EEENS1_30default_config_static_selectorELNS0_4arch9wavefront6targetE0EEEvS14_.uses_flat_scratch, 0
	.set _ZN7rocprim17ROCPRIM_400000_NS6detail17trampoline_kernelINS0_14default_configENS1_22reduce_config_selectorIN6thrust23THRUST_200600_302600_NS5tupleIblNS6_9null_typeES8_S8_S8_S8_S8_S8_S8_EEEEZNS1_11reduce_implILb1ES3_NS6_12zip_iteratorINS7_INS6_11hip_rocprim26transform_input_iterator_tIbNSD_35transform_pair_of_input_iterators_tIbNS6_6detail15normal_iteratorINS6_10device_ptrIKyEEEESL_NS6_8equal_toIyEEEENSG_9not_fun_tINSD_8identityEEEEENSD_19counting_iterator_tIlEES8_S8_S8_S8_S8_S8_S8_S8_EEEEPS9_S9_NSD_9__find_if7functorIS9_EEEE10hipError_tPvRmT1_T2_T3_mT4_P12ihipStream_tbEUlT_E1_NS1_11comp_targetILNS1_3genE8ELNS1_11target_archE1030ELNS1_3gpuE2ELNS1_3repE0EEENS1_30default_config_static_selectorELNS0_4arch9wavefront6targetE0EEEvS14_.has_dyn_sized_stack, 0
	.set _ZN7rocprim17ROCPRIM_400000_NS6detail17trampoline_kernelINS0_14default_configENS1_22reduce_config_selectorIN6thrust23THRUST_200600_302600_NS5tupleIblNS6_9null_typeES8_S8_S8_S8_S8_S8_S8_EEEEZNS1_11reduce_implILb1ES3_NS6_12zip_iteratorINS7_INS6_11hip_rocprim26transform_input_iterator_tIbNSD_35transform_pair_of_input_iterators_tIbNS6_6detail15normal_iteratorINS6_10device_ptrIKyEEEESL_NS6_8equal_toIyEEEENSG_9not_fun_tINSD_8identityEEEEENSD_19counting_iterator_tIlEES8_S8_S8_S8_S8_S8_S8_S8_EEEEPS9_S9_NSD_9__find_if7functorIS9_EEEE10hipError_tPvRmT1_T2_T3_mT4_P12ihipStream_tbEUlT_E1_NS1_11comp_targetILNS1_3genE8ELNS1_11target_archE1030ELNS1_3gpuE2ELNS1_3repE0EEENS1_30default_config_static_selectorELNS0_4arch9wavefront6targetE0EEEvS14_.has_recursion, 0
	.set _ZN7rocprim17ROCPRIM_400000_NS6detail17trampoline_kernelINS0_14default_configENS1_22reduce_config_selectorIN6thrust23THRUST_200600_302600_NS5tupleIblNS6_9null_typeES8_S8_S8_S8_S8_S8_S8_EEEEZNS1_11reduce_implILb1ES3_NS6_12zip_iteratorINS7_INS6_11hip_rocprim26transform_input_iterator_tIbNSD_35transform_pair_of_input_iterators_tIbNS6_6detail15normal_iteratorINS6_10device_ptrIKyEEEESL_NS6_8equal_toIyEEEENSG_9not_fun_tINSD_8identityEEEEENSD_19counting_iterator_tIlEES8_S8_S8_S8_S8_S8_S8_S8_EEEEPS9_S9_NSD_9__find_if7functorIS9_EEEE10hipError_tPvRmT1_T2_T3_mT4_P12ihipStream_tbEUlT_E1_NS1_11comp_targetILNS1_3genE8ELNS1_11target_archE1030ELNS1_3gpuE2ELNS1_3repE0EEENS1_30default_config_static_selectorELNS0_4arch9wavefront6targetE0EEEvS14_.has_indirect_call, 0
	.section	.AMDGPU.csdata,"",@progbits
; Kernel info:
; codeLenInByte = 15076
; TotalNumSgprs: 34
; NumVgprs: 36
; ScratchSize: 0
; MemoryBound: 0
; FloatMode: 240
; IeeeMode: 1
; LDSByteSize: 640 bytes/workgroup (compile time only)
; SGPRBlocks: 0
; VGPRBlocks: 4
; NumSGPRsForWavesPerEU: 34
; NumVGPRsForWavesPerEU: 36
; Occupancy: 16
; WaveLimiterHint : 0
; COMPUTE_PGM_RSRC2:SCRATCH_EN: 0
; COMPUTE_PGM_RSRC2:USER_SGPR: 6
; COMPUTE_PGM_RSRC2:TRAP_HANDLER: 0
; COMPUTE_PGM_RSRC2:TGID_X_EN: 1
; COMPUTE_PGM_RSRC2:TGID_Y_EN: 0
; COMPUTE_PGM_RSRC2:TGID_Z_EN: 0
; COMPUTE_PGM_RSRC2:TIDIG_COMP_CNT: 0
	.section	.text._ZN6thrust23THRUST_200600_302600_NS11hip_rocprim14__parallel_for6kernelILj256ENS1_10for_each_fINS0_7pointerINS0_5tupleIblNS0_9null_typeES7_S7_S7_S7_S7_S7_S7_EENS1_3tagENS0_11use_defaultESA_EENS0_6detail16wrapped_functionINSC_23allocator_traits_detail24construct1_via_allocatorINSC_18no_throw_allocatorINSC_19temporary_allocatorIS8_S9_EEEEEEvEEEEmLj1EEEvT0_T1_SO_,"axG",@progbits,_ZN6thrust23THRUST_200600_302600_NS11hip_rocprim14__parallel_for6kernelILj256ENS1_10for_each_fINS0_7pointerINS0_5tupleIblNS0_9null_typeES7_S7_S7_S7_S7_S7_S7_EENS1_3tagENS0_11use_defaultESA_EENS0_6detail16wrapped_functionINSC_23allocator_traits_detail24construct1_via_allocatorINSC_18no_throw_allocatorINSC_19temporary_allocatorIS8_S9_EEEEEEvEEEEmLj1EEEvT0_T1_SO_,comdat
	.protected	_ZN6thrust23THRUST_200600_302600_NS11hip_rocprim14__parallel_for6kernelILj256ENS1_10for_each_fINS0_7pointerINS0_5tupleIblNS0_9null_typeES7_S7_S7_S7_S7_S7_S7_EENS1_3tagENS0_11use_defaultESA_EENS0_6detail16wrapped_functionINSC_23allocator_traits_detail24construct1_via_allocatorINSC_18no_throw_allocatorINSC_19temporary_allocatorIS8_S9_EEEEEEvEEEEmLj1EEEvT0_T1_SO_ ; -- Begin function _ZN6thrust23THRUST_200600_302600_NS11hip_rocprim14__parallel_for6kernelILj256ENS1_10for_each_fINS0_7pointerINS0_5tupleIblNS0_9null_typeES7_S7_S7_S7_S7_S7_S7_EENS1_3tagENS0_11use_defaultESA_EENS0_6detail16wrapped_functionINSC_23allocator_traits_detail24construct1_via_allocatorINSC_18no_throw_allocatorINSC_19temporary_allocatorIS8_S9_EEEEEEvEEEEmLj1EEEvT0_T1_SO_
	.globl	_ZN6thrust23THRUST_200600_302600_NS11hip_rocprim14__parallel_for6kernelILj256ENS1_10for_each_fINS0_7pointerINS0_5tupleIblNS0_9null_typeES7_S7_S7_S7_S7_S7_S7_EENS1_3tagENS0_11use_defaultESA_EENS0_6detail16wrapped_functionINSC_23allocator_traits_detail24construct1_via_allocatorINSC_18no_throw_allocatorINSC_19temporary_allocatorIS8_S9_EEEEEEvEEEEmLj1EEEvT0_T1_SO_
	.p2align	8
	.type	_ZN6thrust23THRUST_200600_302600_NS11hip_rocprim14__parallel_for6kernelILj256ENS1_10for_each_fINS0_7pointerINS0_5tupleIblNS0_9null_typeES7_S7_S7_S7_S7_S7_S7_EENS1_3tagENS0_11use_defaultESA_EENS0_6detail16wrapped_functionINSC_23allocator_traits_detail24construct1_via_allocatorINSC_18no_throw_allocatorINSC_19temporary_allocatorIS8_S9_EEEEEEvEEEEmLj1EEEvT0_T1_SO_,@function
_ZN6thrust23THRUST_200600_302600_NS11hip_rocprim14__parallel_for6kernelILj256ENS1_10for_each_fINS0_7pointerINS0_5tupleIblNS0_9null_typeES7_S7_S7_S7_S7_S7_S7_EENS1_3tagENS0_11use_defaultESA_EENS0_6detail16wrapped_functionINSC_23allocator_traits_detail24construct1_via_allocatorINSC_18no_throw_allocatorINSC_19temporary_allocatorIS8_S9_EEEEEEvEEEEmLj1EEEvT0_T1_SO_: ; @_ZN6thrust23THRUST_200600_302600_NS11hip_rocprim14__parallel_for6kernelILj256ENS1_10for_each_fINS0_7pointerINS0_5tupleIblNS0_9null_typeES7_S7_S7_S7_S7_S7_S7_EENS1_3tagENS0_11use_defaultESA_EENS0_6detail16wrapped_functionINSC_23allocator_traits_detail24construct1_via_allocatorINSC_18no_throw_allocatorINSC_19temporary_allocatorIS8_S9_EEEEEEvEEEEmLj1EEEvT0_T1_SO_
; %bb.0:
	s_clause 0x1
	s_load_dwordx4 s[8:11], s[4:5], 0x10
	s_load_dwordx2 s[0:1], s[4:5], 0x0
	s_lshl_b32 s2, s6, 8
	s_waitcnt lgkmcnt(0)
	s_add_u32 s2, s10, s2
	s_addc_u32 s3, s11, 0
	s_sub_u32 s4, s8, s2
	s_subb_u32 s5, s9, s3
	v_cmp_lt_u64_e64 s5, 0xff, s[4:5]
	s_and_b32 vcc_lo, exec_lo, s5
	s_mov_b32 s5, -1
	s_cbranch_vccz .LBB125_3
; %bb.1:
	s_andn2_b32 vcc_lo, exec_lo, s5
	s_cbranch_vccz .LBB125_6
.LBB125_2:
	s_endpgm
.LBB125_3:
	v_cmp_gt_u32_e32 vcc_lo, s4, v0
	s_and_saveexec_b32 s4, vcc_lo
	s_cbranch_execz .LBB125_5
; %bb.4:
	v_lshlrev_b32_e32 v2, 4, v0
	s_lshl_b64 s[6:7], s[2:3], 4
	v_mov_b32_e32 v1, 0
	s_add_u32 s5, s0, s6
	s_addc_u32 s6, s1, s7
	v_add_co_u32 v3, s5, s5, v2
	v_add_co_ci_u32_e64 v4, null, s6, 0, s5
	v_mov_b32_e32 v2, v1
	flat_store_byte v[3:4], v1
	flat_store_dwordx2 v[3:4], v[1:2] offset:8
.LBB125_5:
	s_or_b32 exec_lo, exec_lo, s4
	s_cbranch_execnz .LBB125_2
.LBB125_6:
	v_lshlrev_b32_e32 v1, 4, v0
	s_lshl_b64 s[2:3], s[2:3], 4
	v_mov_b32_e32 v0, 0
	s_add_u32 s0, s0, s2
	s_addc_u32 s1, s1, s3
	v_add_co_u32 v2, s0, s0, v1
	v_add_co_ci_u32_e64 v3, null, s1, 0, s0
	v_mov_b32_e32 v1, v0
	flat_store_byte v[2:3], v0
	flat_store_dwordx2 v[2:3], v[0:1] offset:8
	s_endpgm
	.section	.rodata,"a",@progbits
	.p2align	6, 0x0
	.amdhsa_kernel _ZN6thrust23THRUST_200600_302600_NS11hip_rocprim14__parallel_for6kernelILj256ENS1_10for_each_fINS0_7pointerINS0_5tupleIblNS0_9null_typeES7_S7_S7_S7_S7_S7_S7_EENS1_3tagENS0_11use_defaultESA_EENS0_6detail16wrapped_functionINSC_23allocator_traits_detail24construct1_via_allocatorINSC_18no_throw_allocatorINSC_19temporary_allocatorIS8_S9_EEEEEEvEEEEmLj1EEEvT0_T1_SO_
		.amdhsa_group_segment_fixed_size 0
		.amdhsa_private_segment_fixed_size 0
		.amdhsa_kernarg_size 32
		.amdhsa_user_sgpr_count 6
		.amdhsa_user_sgpr_private_segment_buffer 1
		.amdhsa_user_sgpr_dispatch_ptr 0
		.amdhsa_user_sgpr_queue_ptr 0
		.amdhsa_user_sgpr_kernarg_segment_ptr 1
		.amdhsa_user_sgpr_dispatch_id 0
		.amdhsa_user_sgpr_flat_scratch_init 0
		.amdhsa_user_sgpr_private_segment_size 0
		.amdhsa_wavefront_size32 1
		.amdhsa_uses_dynamic_stack 0
		.amdhsa_system_sgpr_private_segment_wavefront_offset 0
		.amdhsa_system_sgpr_workgroup_id_x 1
		.amdhsa_system_sgpr_workgroup_id_y 0
		.amdhsa_system_sgpr_workgroup_id_z 0
		.amdhsa_system_sgpr_workgroup_info 0
		.amdhsa_system_vgpr_workitem_id 0
		.amdhsa_next_free_vgpr 5
		.amdhsa_next_free_sgpr 12
		.amdhsa_reserve_vcc 1
		.amdhsa_reserve_flat_scratch 0
		.amdhsa_float_round_mode_32 0
		.amdhsa_float_round_mode_16_64 0
		.amdhsa_float_denorm_mode_32 3
		.amdhsa_float_denorm_mode_16_64 3
		.amdhsa_dx10_clamp 1
		.amdhsa_ieee_mode 1
		.amdhsa_fp16_overflow 0
		.amdhsa_workgroup_processor_mode 1
		.amdhsa_memory_ordered 1
		.amdhsa_forward_progress 1
		.amdhsa_shared_vgpr_count 0
		.amdhsa_exception_fp_ieee_invalid_op 0
		.amdhsa_exception_fp_denorm_src 0
		.amdhsa_exception_fp_ieee_div_zero 0
		.amdhsa_exception_fp_ieee_overflow 0
		.amdhsa_exception_fp_ieee_underflow 0
		.amdhsa_exception_fp_ieee_inexact 0
		.amdhsa_exception_int_div_zero 0
	.end_amdhsa_kernel
	.section	.text._ZN6thrust23THRUST_200600_302600_NS11hip_rocprim14__parallel_for6kernelILj256ENS1_10for_each_fINS0_7pointerINS0_5tupleIblNS0_9null_typeES7_S7_S7_S7_S7_S7_S7_EENS1_3tagENS0_11use_defaultESA_EENS0_6detail16wrapped_functionINSC_23allocator_traits_detail24construct1_via_allocatorINSC_18no_throw_allocatorINSC_19temporary_allocatorIS8_S9_EEEEEEvEEEEmLj1EEEvT0_T1_SO_,"axG",@progbits,_ZN6thrust23THRUST_200600_302600_NS11hip_rocprim14__parallel_for6kernelILj256ENS1_10for_each_fINS0_7pointerINS0_5tupleIblNS0_9null_typeES7_S7_S7_S7_S7_S7_S7_EENS1_3tagENS0_11use_defaultESA_EENS0_6detail16wrapped_functionINSC_23allocator_traits_detail24construct1_via_allocatorINSC_18no_throw_allocatorINSC_19temporary_allocatorIS8_S9_EEEEEEvEEEEmLj1EEEvT0_T1_SO_,comdat
.Lfunc_end125:
	.size	_ZN6thrust23THRUST_200600_302600_NS11hip_rocprim14__parallel_for6kernelILj256ENS1_10for_each_fINS0_7pointerINS0_5tupleIblNS0_9null_typeES7_S7_S7_S7_S7_S7_S7_EENS1_3tagENS0_11use_defaultESA_EENS0_6detail16wrapped_functionINSC_23allocator_traits_detail24construct1_via_allocatorINSC_18no_throw_allocatorINSC_19temporary_allocatorIS8_S9_EEEEEEvEEEEmLj1EEEvT0_T1_SO_, .Lfunc_end125-_ZN6thrust23THRUST_200600_302600_NS11hip_rocprim14__parallel_for6kernelILj256ENS1_10for_each_fINS0_7pointerINS0_5tupleIblNS0_9null_typeES7_S7_S7_S7_S7_S7_S7_EENS1_3tagENS0_11use_defaultESA_EENS0_6detail16wrapped_functionINSC_23allocator_traits_detail24construct1_via_allocatorINSC_18no_throw_allocatorINSC_19temporary_allocatorIS8_S9_EEEEEEvEEEEmLj1EEEvT0_T1_SO_
                                        ; -- End function
	.set _ZN6thrust23THRUST_200600_302600_NS11hip_rocprim14__parallel_for6kernelILj256ENS1_10for_each_fINS0_7pointerINS0_5tupleIblNS0_9null_typeES7_S7_S7_S7_S7_S7_S7_EENS1_3tagENS0_11use_defaultESA_EENS0_6detail16wrapped_functionINSC_23allocator_traits_detail24construct1_via_allocatorINSC_18no_throw_allocatorINSC_19temporary_allocatorIS8_S9_EEEEEEvEEEEmLj1EEEvT0_T1_SO_.num_vgpr, 5
	.set _ZN6thrust23THRUST_200600_302600_NS11hip_rocprim14__parallel_for6kernelILj256ENS1_10for_each_fINS0_7pointerINS0_5tupleIblNS0_9null_typeES7_S7_S7_S7_S7_S7_S7_EENS1_3tagENS0_11use_defaultESA_EENS0_6detail16wrapped_functionINSC_23allocator_traits_detail24construct1_via_allocatorINSC_18no_throw_allocatorINSC_19temporary_allocatorIS8_S9_EEEEEEvEEEEmLj1EEEvT0_T1_SO_.num_agpr, 0
	.set _ZN6thrust23THRUST_200600_302600_NS11hip_rocprim14__parallel_for6kernelILj256ENS1_10for_each_fINS0_7pointerINS0_5tupleIblNS0_9null_typeES7_S7_S7_S7_S7_S7_S7_EENS1_3tagENS0_11use_defaultESA_EENS0_6detail16wrapped_functionINSC_23allocator_traits_detail24construct1_via_allocatorINSC_18no_throw_allocatorINSC_19temporary_allocatorIS8_S9_EEEEEEvEEEEmLj1EEEvT0_T1_SO_.numbered_sgpr, 12
	.set _ZN6thrust23THRUST_200600_302600_NS11hip_rocprim14__parallel_for6kernelILj256ENS1_10for_each_fINS0_7pointerINS0_5tupleIblNS0_9null_typeES7_S7_S7_S7_S7_S7_S7_EENS1_3tagENS0_11use_defaultESA_EENS0_6detail16wrapped_functionINSC_23allocator_traits_detail24construct1_via_allocatorINSC_18no_throw_allocatorINSC_19temporary_allocatorIS8_S9_EEEEEEvEEEEmLj1EEEvT0_T1_SO_.num_named_barrier, 0
	.set _ZN6thrust23THRUST_200600_302600_NS11hip_rocprim14__parallel_for6kernelILj256ENS1_10for_each_fINS0_7pointerINS0_5tupleIblNS0_9null_typeES7_S7_S7_S7_S7_S7_S7_EENS1_3tagENS0_11use_defaultESA_EENS0_6detail16wrapped_functionINSC_23allocator_traits_detail24construct1_via_allocatorINSC_18no_throw_allocatorINSC_19temporary_allocatorIS8_S9_EEEEEEvEEEEmLj1EEEvT0_T1_SO_.private_seg_size, 0
	.set _ZN6thrust23THRUST_200600_302600_NS11hip_rocprim14__parallel_for6kernelILj256ENS1_10for_each_fINS0_7pointerINS0_5tupleIblNS0_9null_typeES7_S7_S7_S7_S7_S7_S7_EENS1_3tagENS0_11use_defaultESA_EENS0_6detail16wrapped_functionINSC_23allocator_traits_detail24construct1_via_allocatorINSC_18no_throw_allocatorINSC_19temporary_allocatorIS8_S9_EEEEEEvEEEEmLj1EEEvT0_T1_SO_.uses_vcc, 1
	.set _ZN6thrust23THRUST_200600_302600_NS11hip_rocprim14__parallel_for6kernelILj256ENS1_10for_each_fINS0_7pointerINS0_5tupleIblNS0_9null_typeES7_S7_S7_S7_S7_S7_S7_EENS1_3tagENS0_11use_defaultESA_EENS0_6detail16wrapped_functionINSC_23allocator_traits_detail24construct1_via_allocatorINSC_18no_throw_allocatorINSC_19temporary_allocatorIS8_S9_EEEEEEvEEEEmLj1EEEvT0_T1_SO_.uses_flat_scratch, 0
	.set _ZN6thrust23THRUST_200600_302600_NS11hip_rocprim14__parallel_for6kernelILj256ENS1_10for_each_fINS0_7pointerINS0_5tupleIblNS0_9null_typeES7_S7_S7_S7_S7_S7_S7_EENS1_3tagENS0_11use_defaultESA_EENS0_6detail16wrapped_functionINSC_23allocator_traits_detail24construct1_via_allocatorINSC_18no_throw_allocatorINSC_19temporary_allocatorIS8_S9_EEEEEEvEEEEmLj1EEEvT0_T1_SO_.has_dyn_sized_stack, 0
	.set _ZN6thrust23THRUST_200600_302600_NS11hip_rocprim14__parallel_for6kernelILj256ENS1_10for_each_fINS0_7pointerINS0_5tupleIblNS0_9null_typeES7_S7_S7_S7_S7_S7_S7_EENS1_3tagENS0_11use_defaultESA_EENS0_6detail16wrapped_functionINSC_23allocator_traits_detail24construct1_via_allocatorINSC_18no_throw_allocatorINSC_19temporary_allocatorIS8_S9_EEEEEEvEEEEmLj1EEEvT0_T1_SO_.has_recursion, 0
	.set _ZN6thrust23THRUST_200600_302600_NS11hip_rocprim14__parallel_for6kernelILj256ENS1_10for_each_fINS0_7pointerINS0_5tupleIblNS0_9null_typeES7_S7_S7_S7_S7_S7_S7_EENS1_3tagENS0_11use_defaultESA_EENS0_6detail16wrapped_functionINSC_23allocator_traits_detail24construct1_via_allocatorINSC_18no_throw_allocatorINSC_19temporary_allocatorIS8_S9_EEEEEEvEEEEmLj1EEEvT0_T1_SO_.has_indirect_call, 0
	.section	.AMDGPU.csdata,"",@progbits
; Kernel info:
; codeLenInByte = 216
; TotalNumSgprs: 14
; NumVgprs: 5
; ScratchSize: 0
; MemoryBound: 0
; FloatMode: 240
; IeeeMode: 1
; LDSByteSize: 0 bytes/workgroup (compile time only)
; SGPRBlocks: 0
; VGPRBlocks: 0
; NumSGPRsForWavesPerEU: 14
; NumVGPRsForWavesPerEU: 5
; Occupancy: 16
; WaveLimiterHint : 0
; COMPUTE_PGM_RSRC2:SCRATCH_EN: 0
; COMPUTE_PGM_RSRC2:USER_SGPR: 6
; COMPUTE_PGM_RSRC2:TRAP_HANDLER: 0
; COMPUTE_PGM_RSRC2:TGID_X_EN: 1
; COMPUTE_PGM_RSRC2:TGID_Y_EN: 0
; COMPUTE_PGM_RSRC2:TGID_Z_EN: 0
; COMPUTE_PGM_RSRC2:TIDIG_COMP_CNT: 0
	.section	.text._ZN6thrust23THRUST_200600_302600_NS11hip_rocprim14__parallel_for6kernelILj256ENS1_10for_each_fINS0_7pointerINS0_5tupleIblNS0_9null_typeES7_S7_S7_S7_S7_S7_S7_EENS1_3tagENS0_11use_defaultESA_EENS0_6detail16wrapped_functionINSC_23allocator_traits_detail5gozerEvEEEElLj1EEEvT0_T1_SJ_,"axG",@progbits,_ZN6thrust23THRUST_200600_302600_NS11hip_rocprim14__parallel_for6kernelILj256ENS1_10for_each_fINS0_7pointerINS0_5tupleIblNS0_9null_typeES7_S7_S7_S7_S7_S7_S7_EENS1_3tagENS0_11use_defaultESA_EENS0_6detail16wrapped_functionINSC_23allocator_traits_detail5gozerEvEEEElLj1EEEvT0_T1_SJ_,comdat
	.protected	_ZN6thrust23THRUST_200600_302600_NS11hip_rocprim14__parallel_for6kernelILj256ENS1_10for_each_fINS0_7pointerINS0_5tupleIblNS0_9null_typeES7_S7_S7_S7_S7_S7_S7_EENS1_3tagENS0_11use_defaultESA_EENS0_6detail16wrapped_functionINSC_23allocator_traits_detail5gozerEvEEEElLj1EEEvT0_T1_SJ_ ; -- Begin function _ZN6thrust23THRUST_200600_302600_NS11hip_rocprim14__parallel_for6kernelILj256ENS1_10for_each_fINS0_7pointerINS0_5tupleIblNS0_9null_typeES7_S7_S7_S7_S7_S7_S7_EENS1_3tagENS0_11use_defaultESA_EENS0_6detail16wrapped_functionINSC_23allocator_traits_detail5gozerEvEEEElLj1EEEvT0_T1_SJ_
	.globl	_ZN6thrust23THRUST_200600_302600_NS11hip_rocprim14__parallel_for6kernelILj256ENS1_10for_each_fINS0_7pointerINS0_5tupleIblNS0_9null_typeES7_S7_S7_S7_S7_S7_S7_EENS1_3tagENS0_11use_defaultESA_EENS0_6detail16wrapped_functionINSC_23allocator_traits_detail5gozerEvEEEElLj1EEEvT0_T1_SJ_
	.p2align	8
	.type	_ZN6thrust23THRUST_200600_302600_NS11hip_rocprim14__parallel_for6kernelILj256ENS1_10for_each_fINS0_7pointerINS0_5tupleIblNS0_9null_typeES7_S7_S7_S7_S7_S7_S7_EENS1_3tagENS0_11use_defaultESA_EENS0_6detail16wrapped_functionINSC_23allocator_traits_detail5gozerEvEEEElLj1EEEvT0_T1_SJ_,@function
_ZN6thrust23THRUST_200600_302600_NS11hip_rocprim14__parallel_for6kernelILj256ENS1_10for_each_fINS0_7pointerINS0_5tupleIblNS0_9null_typeES7_S7_S7_S7_S7_S7_S7_EENS1_3tagENS0_11use_defaultESA_EENS0_6detail16wrapped_functionINSC_23allocator_traits_detail5gozerEvEEEElLj1EEEvT0_T1_SJ_: ; @_ZN6thrust23THRUST_200600_302600_NS11hip_rocprim14__parallel_for6kernelILj256ENS1_10for_each_fINS0_7pointerINS0_5tupleIblNS0_9null_typeES7_S7_S7_S7_S7_S7_S7_EENS1_3tagENS0_11use_defaultESA_EENS0_6detail16wrapped_functionINSC_23allocator_traits_detail5gozerEvEEEElLj1EEEvT0_T1_SJ_
; %bb.0:
	s_endpgm
	.section	.rodata,"a",@progbits
	.p2align	6, 0x0
	.amdhsa_kernel _ZN6thrust23THRUST_200600_302600_NS11hip_rocprim14__parallel_for6kernelILj256ENS1_10for_each_fINS0_7pointerINS0_5tupleIblNS0_9null_typeES7_S7_S7_S7_S7_S7_S7_EENS1_3tagENS0_11use_defaultESA_EENS0_6detail16wrapped_functionINSC_23allocator_traits_detail5gozerEvEEEElLj1EEEvT0_T1_SJ_
		.amdhsa_group_segment_fixed_size 0
		.amdhsa_private_segment_fixed_size 0
		.amdhsa_kernarg_size 32
		.amdhsa_user_sgpr_count 6
		.amdhsa_user_sgpr_private_segment_buffer 1
		.amdhsa_user_sgpr_dispatch_ptr 0
		.amdhsa_user_sgpr_queue_ptr 0
		.amdhsa_user_sgpr_kernarg_segment_ptr 1
		.amdhsa_user_sgpr_dispatch_id 0
		.amdhsa_user_sgpr_flat_scratch_init 0
		.amdhsa_user_sgpr_private_segment_size 0
		.amdhsa_wavefront_size32 1
		.amdhsa_uses_dynamic_stack 0
		.amdhsa_system_sgpr_private_segment_wavefront_offset 0
		.amdhsa_system_sgpr_workgroup_id_x 1
		.amdhsa_system_sgpr_workgroup_id_y 0
		.amdhsa_system_sgpr_workgroup_id_z 0
		.amdhsa_system_sgpr_workgroup_info 0
		.amdhsa_system_vgpr_workitem_id 0
		.amdhsa_next_free_vgpr 1
		.amdhsa_next_free_sgpr 1
		.amdhsa_reserve_vcc 0
		.amdhsa_reserve_flat_scratch 0
		.amdhsa_float_round_mode_32 0
		.amdhsa_float_round_mode_16_64 0
		.amdhsa_float_denorm_mode_32 3
		.amdhsa_float_denorm_mode_16_64 3
		.amdhsa_dx10_clamp 1
		.amdhsa_ieee_mode 1
		.amdhsa_fp16_overflow 0
		.amdhsa_workgroup_processor_mode 1
		.amdhsa_memory_ordered 1
		.amdhsa_forward_progress 1
		.amdhsa_shared_vgpr_count 0
		.amdhsa_exception_fp_ieee_invalid_op 0
		.amdhsa_exception_fp_denorm_src 0
		.amdhsa_exception_fp_ieee_div_zero 0
		.amdhsa_exception_fp_ieee_overflow 0
		.amdhsa_exception_fp_ieee_underflow 0
		.amdhsa_exception_fp_ieee_inexact 0
		.amdhsa_exception_int_div_zero 0
	.end_amdhsa_kernel
	.section	.text._ZN6thrust23THRUST_200600_302600_NS11hip_rocprim14__parallel_for6kernelILj256ENS1_10for_each_fINS0_7pointerINS0_5tupleIblNS0_9null_typeES7_S7_S7_S7_S7_S7_S7_EENS1_3tagENS0_11use_defaultESA_EENS0_6detail16wrapped_functionINSC_23allocator_traits_detail5gozerEvEEEElLj1EEEvT0_T1_SJ_,"axG",@progbits,_ZN6thrust23THRUST_200600_302600_NS11hip_rocprim14__parallel_for6kernelILj256ENS1_10for_each_fINS0_7pointerINS0_5tupleIblNS0_9null_typeES7_S7_S7_S7_S7_S7_S7_EENS1_3tagENS0_11use_defaultESA_EENS0_6detail16wrapped_functionINSC_23allocator_traits_detail5gozerEvEEEElLj1EEEvT0_T1_SJ_,comdat
.Lfunc_end126:
	.size	_ZN6thrust23THRUST_200600_302600_NS11hip_rocprim14__parallel_for6kernelILj256ENS1_10for_each_fINS0_7pointerINS0_5tupleIblNS0_9null_typeES7_S7_S7_S7_S7_S7_S7_EENS1_3tagENS0_11use_defaultESA_EENS0_6detail16wrapped_functionINSC_23allocator_traits_detail5gozerEvEEEElLj1EEEvT0_T1_SJ_, .Lfunc_end126-_ZN6thrust23THRUST_200600_302600_NS11hip_rocprim14__parallel_for6kernelILj256ENS1_10for_each_fINS0_7pointerINS0_5tupleIblNS0_9null_typeES7_S7_S7_S7_S7_S7_S7_EENS1_3tagENS0_11use_defaultESA_EENS0_6detail16wrapped_functionINSC_23allocator_traits_detail5gozerEvEEEElLj1EEEvT0_T1_SJ_
                                        ; -- End function
	.set _ZN6thrust23THRUST_200600_302600_NS11hip_rocprim14__parallel_for6kernelILj256ENS1_10for_each_fINS0_7pointerINS0_5tupleIblNS0_9null_typeES7_S7_S7_S7_S7_S7_S7_EENS1_3tagENS0_11use_defaultESA_EENS0_6detail16wrapped_functionINSC_23allocator_traits_detail5gozerEvEEEElLj1EEEvT0_T1_SJ_.num_vgpr, 0
	.set _ZN6thrust23THRUST_200600_302600_NS11hip_rocprim14__parallel_for6kernelILj256ENS1_10for_each_fINS0_7pointerINS0_5tupleIblNS0_9null_typeES7_S7_S7_S7_S7_S7_S7_EENS1_3tagENS0_11use_defaultESA_EENS0_6detail16wrapped_functionINSC_23allocator_traits_detail5gozerEvEEEElLj1EEEvT0_T1_SJ_.num_agpr, 0
	.set _ZN6thrust23THRUST_200600_302600_NS11hip_rocprim14__parallel_for6kernelILj256ENS1_10for_each_fINS0_7pointerINS0_5tupleIblNS0_9null_typeES7_S7_S7_S7_S7_S7_S7_EENS1_3tagENS0_11use_defaultESA_EENS0_6detail16wrapped_functionINSC_23allocator_traits_detail5gozerEvEEEElLj1EEEvT0_T1_SJ_.numbered_sgpr, 0
	.set _ZN6thrust23THRUST_200600_302600_NS11hip_rocprim14__parallel_for6kernelILj256ENS1_10for_each_fINS0_7pointerINS0_5tupleIblNS0_9null_typeES7_S7_S7_S7_S7_S7_S7_EENS1_3tagENS0_11use_defaultESA_EENS0_6detail16wrapped_functionINSC_23allocator_traits_detail5gozerEvEEEElLj1EEEvT0_T1_SJ_.num_named_barrier, 0
	.set _ZN6thrust23THRUST_200600_302600_NS11hip_rocprim14__parallel_for6kernelILj256ENS1_10for_each_fINS0_7pointerINS0_5tupleIblNS0_9null_typeES7_S7_S7_S7_S7_S7_S7_EENS1_3tagENS0_11use_defaultESA_EENS0_6detail16wrapped_functionINSC_23allocator_traits_detail5gozerEvEEEElLj1EEEvT0_T1_SJ_.private_seg_size, 0
	.set _ZN6thrust23THRUST_200600_302600_NS11hip_rocprim14__parallel_for6kernelILj256ENS1_10for_each_fINS0_7pointerINS0_5tupleIblNS0_9null_typeES7_S7_S7_S7_S7_S7_S7_EENS1_3tagENS0_11use_defaultESA_EENS0_6detail16wrapped_functionINSC_23allocator_traits_detail5gozerEvEEEElLj1EEEvT0_T1_SJ_.uses_vcc, 0
	.set _ZN6thrust23THRUST_200600_302600_NS11hip_rocprim14__parallel_for6kernelILj256ENS1_10for_each_fINS0_7pointerINS0_5tupleIblNS0_9null_typeES7_S7_S7_S7_S7_S7_S7_EENS1_3tagENS0_11use_defaultESA_EENS0_6detail16wrapped_functionINSC_23allocator_traits_detail5gozerEvEEEElLj1EEEvT0_T1_SJ_.uses_flat_scratch, 0
	.set _ZN6thrust23THRUST_200600_302600_NS11hip_rocprim14__parallel_for6kernelILj256ENS1_10for_each_fINS0_7pointerINS0_5tupleIblNS0_9null_typeES7_S7_S7_S7_S7_S7_S7_EENS1_3tagENS0_11use_defaultESA_EENS0_6detail16wrapped_functionINSC_23allocator_traits_detail5gozerEvEEEElLj1EEEvT0_T1_SJ_.has_dyn_sized_stack, 0
	.set _ZN6thrust23THRUST_200600_302600_NS11hip_rocprim14__parallel_for6kernelILj256ENS1_10for_each_fINS0_7pointerINS0_5tupleIblNS0_9null_typeES7_S7_S7_S7_S7_S7_S7_EENS1_3tagENS0_11use_defaultESA_EENS0_6detail16wrapped_functionINSC_23allocator_traits_detail5gozerEvEEEElLj1EEEvT0_T1_SJ_.has_recursion, 0
	.set _ZN6thrust23THRUST_200600_302600_NS11hip_rocprim14__parallel_for6kernelILj256ENS1_10for_each_fINS0_7pointerINS0_5tupleIblNS0_9null_typeES7_S7_S7_S7_S7_S7_S7_EENS1_3tagENS0_11use_defaultESA_EENS0_6detail16wrapped_functionINSC_23allocator_traits_detail5gozerEvEEEElLj1EEEvT0_T1_SJ_.has_indirect_call, 0
	.section	.AMDGPU.csdata,"",@progbits
; Kernel info:
; codeLenInByte = 4
; TotalNumSgprs: 0
; NumVgprs: 0
; ScratchSize: 0
; MemoryBound: 0
; FloatMode: 240
; IeeeMode: 1
; LDSByteSize: 0 bytes/workgroup (compile time only)
; SGPRBlocks: 0
; VGPRBlocks: 0
; NumSGPRsForWavesPerEU: 1
; NumVGPRsForWavesPerEU: 1
; Occupancy: 16
; WaveLimiterHint : 0
; COMPUTE_PGM_RSRC2:SCRATCH_EN: 0
; COMPUTE_PGM_RSRC2:USER_SGPR: 6
; COMPUTE_PGM_RSRC2:TRAP_HANDLER: 0
; COMPUTE_PGM_RSRC2:TGID_X_EN: 1
; COMPUTE_PGM_RSRC2:TGID_Y_EN: 0
; COMPUTE_PGM_RSRC2:TGID_Z_EN: 0
; COMPUTE_PGM_RSRC2:TIDIG_COMP_CNT: 0
	.section	.text._ZN6thrust23THRUST_200600_302600_NS11hip_rocprim14__parallel_for6kernelILj256ENS1_20__uninitialized_copy7functorIPNS0_5tupleIblNS0_9null_typeES7_S7_S7_S7_S7_S7_S7_EENS0_7pointerIS8_NS1_3tagENS0_11use_defaultESC_EEEEmLj1EEEvT0_T1_SG_,"axG",@progbits,_ZN6thrust23THRUST_200600_302600_NS11hip_rocprim14__parallel_for6kernelILj256ENS1_20__uninitialized_copy7functorIPNS0_5tupleIblNS0_9null_typeES7_S7_S7_S7_S7_S7_S7_EENS0_7pointerIS8_NS1_3tagENS0_11use_defaultESC_EEEEmLj1EEEvT0_T1_SG_,comdat
	.protected	_ZN6thrust23THRUST_200600_302600_NS11hip_rocprim14__parallel_for6kernelILj256ENS1_20__uninitialized_copy7functorIPNS0_5tupleIblNS0_9null_typeES7_S7_S7_S7_S7_S7_S7_EENS0_7pointerIS8_NS1_3tagENS0_11use_defaultESC_EEEEmLj1EEEvT0_T1_SG_ ; -- Begin function _ZN6thrust23THRUST_200600_302600_NS11hip_rocprim14__parallel_for6kernelILj256ENS1_20__uninitialized_copy7functorIPNS0_5tupleIblNS0_9null_typeES7_S7_S7_S7_S7_S7_S7_EENS0_7pointerIS8_NS1_3tagENS0_11use_defaultESC_EEEEmLj1EEEvT0_T1_SG_
	.globl	_ZN6thrust23THRUST_200600_302600_NS11hip_rocprim14__parallel_for6kernelILj256ENS1_20__uninitialized_copy7functorIPNS0_5tupleIblNS0_9null_typeES7_S7_S7_S7_S7_S7_S7_EENS0_7pointerIS8_NS1_3tagENS0_11use_defaultESC_EEEEmLj1EEEvT0_T1_SG_
	.p2align	8
	.type	_ZN6thrust23THRUST_200600_302600_NS11hip_rocprim14__parallel_for6kernelILj256ENS1_20__uninitialized_copy7functorIPNS0_5tupleIblNS0_9null_typeES7_S7_S7_S7_S7_S7_S7_EENS0_7pointerIS8_NS1_3tagENS0_11use_defaultESC_EEEEmLj1EEEvT0_T1_SG_,@function
_ZN6thrust23THRUST_200600_302600_NS11hip_rocprim14__parallel_for6kernelILj256ENS1_20__uninitialized_copy7functorIPNS0_5tupleIblNS0_9null_typeES7_S7_S7_S7_S7_S7_S7_EENS0_7pointerIS8_NS1_3tagENS0_11use_defaultESC_EEEEmLj1EEEvT0_T1_SG_: ; @_ZN6thrust23THRUST_200600_302600_NS11hip_rocprim14__parallel_for6kernelILj256ENS1_20__uninitialized_copy7functorIPNS0_5tupleIblNS0_9null_typeES7_S7_S7_S7_S7_S7_S7_EENS0_7pointerIS8_NS1_3tagENS0_11use_defaultESC_EEEEmLj1EEEvT0_T1_SG_
; %bb.0:
	s_load_dwordx8 s[8:15], s[4:5], 0x0
	s_lshl_b32 s0, s6, 8
	s_waitcnt lgkmcnt(0)
	s_add_u32 s2, s14, s0
	s_addc_u32 s3, s15, 0
	s_sub_u32 s0, s12, s2
	s_subb_u32 s1, s13, s3
	v_cmp_lt_u64_e64 s4, 0xff, s[0:1]
	s_mov_b32 s1, 0
	s_and_b32 vcc_lo, exec_lo, s4
	s_mov_b32 s4, -1
	s_cbranch_vccz .LBB127_4
; %bb.1:
	s_andn2_b32 vcc_lo, exec_lo, s4
	s_cbranch_vccz .LBB127_5
.LBB127_2:
	s_and_saveexec_b32 s0, s1
	s_cbranch_execnz .LBB127_6
.LBB127_3:
	s_endpgm
.LBB127_4:
	v_cmp_gt_u32_e32 vcc_lo, s0, v0
	s_and_b32 s1, vcc_lo, exec_lo
	s_cbranch_execnz .LBB127_2
.LBB127_5:
	s_or_b32 s1, s1, exec_lo
	s_and_saveexec_b32 s0, s1
	s_cbranch_execz .LBB127_3
.LBB127_6:
	v_add_co_u32 v0, s0, s2, v0
	v_add_co_ci_u32_e64 v1, null, s3, 0, s0
	v_lshlrev_b64 v[4:5], 4, v[0:1]
	v_add_co_u32 v0, vcc_lo, s8, v4
	v_add_co_ci_u32_e64 v1, null, s9, v5, vcc_lo
	v_add_co_u32 v4, vcc_lo, s10, v4
	v_add_co_ci_u32_e64 v5, null, s11, v5, vcc_lo
	global_load_dwordx4 v[0:3], v[0:1], off
	s_waitcnt vmcnt(0)
	flat_store_dwordx4 v[4:5], v[0:3]
	s_endpgm
	.section	.rodata,"a",@progbits
	.p2align	6, 0x0
	.amdhsa_kernel _ZN6thrust23THRUST_200600_302600_NS11hip_rocprim14__parallel_for6kernelILj256ENS1_20__uninitialized_copy7functorIPNS0_5tupleIblNS0_9null_typeES7_S7_S7_S7_S7_S7_S7_EENS0_7pointerIS8_NS1_3tagENS0_11use_defaultESC_EEEEmLj1EEEvT0_T1_SG_
		.amdhsa_group_segment_fixed_size 0
		.amdhsa_private_segment_fixed_size 0
		.amdhsa_kernarg_size 32
		.amdhsa_user_sgpr_count 6
		.amdhsa_user_sgpr_private_segment_buffer 1
		.amdhsa_user_sgpr_dispatch_ptr 0
		.amdhsa_user_sgpr_queue_ptr 0
		.amdhsa_user_sgpr_kernarg_segment_ptr 1
		.amdhsa_user_sgpr_dispatch_id 0
		.amdhsa_user_sgpr_flat_scratch_init 0
		.amdhsa_user_sgpr_private_segment_size 0
		.amdhsa_wavefront_size32 1
		.amdhsa_uses_dynamic_stack 0
		.amdhsa_system_sgpr_private_segment_wavefront_offset 0
		.amdhsa_system_sgpr_workgroup_id_x 1
		.amdhsa_system_sgpr_workgroup_id_y 0
		.amdhsa_system_sgpr_workgroup_id_z 0
		.amdhsa_system_sgpr_workgroup_info 0
		.amdhsa_system_vgpr_workitem_id 0
		.amdhsa_next_free_vgpr 6
		.amdhsa_next_free_sgpr 16
		.amdhsa_reserve_vcc 1
		.amdhsa_reserve_flat_scratch 0
		.amdhsa_float_round_mode_32 0
		.amdhsa_float_round_mode_16_64 0
		.amdhsa_float_denorm_mode_32 3
		.amdhsa_float_denorm_mode_16_64 3
		.amdhsa_dx10_clamp 1
		.amdhsa_ieee_mode 1
		.amdhsa_fp16_overflow 0
		.amdhsa_workgroup_processor_mode 1
		.amdhsa_memory_ordered 1
		.amdhsa_forward_progress 1
		.amdhsa_shared_vgpr_count 0
		.amdhsa_exception_fp_ieee_invalid_op 0
		.amdhsa_exception_fp_denorm_src 0
		.amdhsa_exception_fp_ieee_div_zero 0
		.amdhsa_exception_fp_ieee_overflow 0
		.amdhsa_exception_fp_ieee_underflow 0
		.amdhsa_exception_fp_ieee_inexact 0
		.amdhsa_exception_int_div_zero 0
	.end_amdhsa_kernel
	.section	.text._ZN6thrust23THRUST_200600_302600_NS11hip_rocprim14__parallel_for6kernelILj256ENS1_20__uninitialized_copy7functorIPNS0_5tupleIblNS0_9null_typeES7_S7_S7_S7_S7_S7_S7_EENS0_7pointerIS8_NS1_3tagENS0_11use_defaultESC_EEEEmLj1EEEvT0_T1_SG_,"axG",@progbits,_ZN6thrust23THRUST_200600_302600_NS11hip_rocprim14__parallel_for6kernelILj256ENS1_20__uninitialized_copy7functorIPNS0_5tupleIblNS0_9null_typeES7_S7_S7_S7_S7_S7_S7_EENS0_7pointerIS8_NS1_3tagENS0_11use_defaultESC_EEEEmLj1EEEvT0_T1_SG_,comdat
.Lfunc_end127:
	.size	_ZN6thrust23THRUST_200600_302600_NS11hip_rocprim14__parallel_for6kernelILj256ENS1_20__uninitialized_copy7functorIPNS0_5tupleIblNS0_9null_typeES7_S7_S7_S7_S7_S7_S7_EENS0_7pointerIS8_NS1_3tagENS0_11use_defaultESC_EEEEmLj1EEEvT0_T1_SG_, .Lfunc_end127-_ZN6thrust23THRUST_200600_302600_NS11hip_rocprim14__parallel_for6kernelILj256ENS1_20__uninitialized_copy7functorIPNS0_5tupleIblNS0_9null_typeES7_S7_S7_S7_S7_S7_S7_EENS0_7pointerIS8_NS1_3tagENS0_11use_defaultESC_EEEEmLj1EEEvT0_T1_SG_
                                        ; -- End function
	.set _ZN6thrust23THRUST_200600_302600_NS11hip_rocprim14__parallel_for6kernelILj256ENS1_20__uninitialized_copy7functorIPNS0_5tupleIblNS0_9null_typeES7_S7_S7_S7_S7_S7_S7_EENS0_7pointerIS8_NS1_3tagENS0_11use_defaultESC_EEEEmLj1EEEvT0_T1_SG_.num_vgpr, 6
	.set _ZN6thrust23THRUST_200600_302600_NS11hip_rocprim14__parallel_for6kernelILj256ENS1_20__uninitialized_copy7functorIPNS0_5tupleIblNS0_9null_typeES7_S7_S7_S7_S7_S7_S7_EENS0_7pointerIS8_NS1_3tagENS0_11use_defaultESC_EEEEmLj1EEEvT0_T1_SG_.num_agpr, 0
	.set _ZN6thrust23THRUST_200600_302600_NS11hip_rocprim14__parallel_for6kernelILj256ENS1_20__uninitialized_copy7functorIPNS0_5tupleIblNS0_9null_typeES7_S7_S7_S7_S7_S7_S7_EENS0_7pointerIS8_NS1_3tagENS0_11use_defaultESC_EEEEmLj1EEEvT0_T1_SG_.numbered_sgpr, 16
	.set _ZN6thrust23THRUST_200600_302600_NS11hip_rocprim14__parallel_for6kernelILj256ENS1_20__uninitialized_copy7functorIPNS0_5tupleIblNS0_9null_typeES7_S7_S7_S7_S7_S7_S7_EENS0_7pointerIS8_NS1_3tagENS0_11use_defaultESC_EEEEmLj1EEEvT0_T1_SG_.num_named_barrier, 0
	.set _ZN6thrust23THRUST_200600_302600_NS11hip_rocprim14__parallel_for6kernelILj256ENS1_20__uninitialized_copy7functorIPNS0_5tupleIblNS0_9null_typeES7_S7_S7_S7_S7_S7_S7_EENS0_7pointerIS8_NS1_3tagENS0_11use_defaultESC_EEEEmLj1EEEvT0_T1_SG_.private_seg_size, 0
	.set _ZN6thrust23THRUST_200600_302600_NS11hip_rocprim14__parallel_for6kernelILj256ENS1_20__uninitialized_copy7functorIPNS0_5tupleIblNS0_9null_typeES7_S7_S7_S7_S7_S7_S7_EENS0_7pointerIS8_NS1_3tagENS0_11use_defaultESC_EEEEmLj1EEEvT0_T1_SG_.uses_vcc, 1
	.set _ZN6thrust23THRUST_200600_302600_NS11hip_rocprim14__parallel_for6kernelILj256ENS1_20__uninitialized_copy7functorIPNS0_5tupleIblNS0_9null_typeES7_S7_S7_S7_S7_S7_S7_EENS0_7pointerIS8_NS1_3tagENS0_11use_defaultESC_EEEEmLj1EEEvT0_T1_SG_.uses_flat_scratch, 0
	.set _ZN6thrust23THRUST_200600_302600_NS11hip_rocprim14__parallel_for6kernelILj256ENS1_20__uninitialized_copy7functorIPNS0_5tupleIblNS0_9null_typeES7_S7_S7_S7_S7_S7_S7_EENS0_7pointerIS8_NS1_3tagENS0_11use_defaultESC_EEEEmLj1EEEvT0_T1_SG_.has_dyn_sized_stack, 0
	.set _ZN6thrust23THRUST_200600_302600_NS11hip_rocprim14__parallel_for6kernelILj256ENS1_20__uninitialized_copy7functorIPNS0_5tupleIblNS0_9null_typeES7_S7_S7_S7_S7_S7_S7_EENS0_7pointerIS8_NS1_3tagENS0_11use_defaultESC_EEEEmLj1EEEvT0_T1_SG_.has_recursion, 0
	.set _ZN6thrust23THRUST_200600_302600_NS11hip_rocprim14__parallel_for6kernelILj256ENS1_20__uninitialized_copy7functorIPNS0_5tupleIblNS0_9null_typeES7_S7_S7_S7_S7_S7_S7_EENS0_7pointerIS8_NS1_3tagENS0_11use_defaultESC_EEEEmLj1EEEvT0_T1_SG_.has_indirect_call, 0
	.section	.AMDGPU.csdata,"",@progbits
; Kernel info:
; codeLenInByte = 184
; TotalNumSgprs: 18
; NumVgprs: 6
; ScratchSize: 0
; MemoryBound: 0
; FloatMode: 240
; IeeeMode: 1
; LDSByteSize: 0 bytes/workgroup (compile time only)
; SGPRBlocks: 0
; VGPRBlocks: 0
; NumSGPRsForWavesPerEU: 18
; NumVGPRsForWavesPerEU: 6
; Occupancy: 16
; WaveLimiterHint : 0
; COMPUTE_PGM_RSRC2:SCRATCH_EN: 0
; COMPUTE_PGM_RSRC2:USER_SGPR: 6
; COMPUTE_PGM_RSRC2:TRAP_HANDLER: 0
; COMPUTE_PGM_RSRC2:TGID_X_EN: 1
; COMPUTE_PGM_RSRC2:TGID_Y_EN: 0
; COMPUTE_PGM_RSRC2:TGID_Z_EN: 0
; COMPUTE_PGM_RSRC2:TIDIG_COMP_CNT: 0
	.section	.text._ZN6thrust23THRUST_200600_302600_NS11hip_rocprim14__parallel_for6kernelILj256ENS1_20__uninitialized_fill7functorINS0_10device_ptrIjEEjEEmLj1EEEvT0_T1_SA_,"axG",@progbits,_ZN6thrust23THRUST_200600_302600_NS11hip_rocprim14__parallel_for6kernelILj256ENS1_20__uninitialized_fill7functorINS0_10device_ptrIjEEjEEmLj1EEEvT0_T1_SA_,comdat
	.protected	_ZN6thrust23THRUST_200600_302600_NS11hip_rocprim14__parallel_for6kernelILj256ENS1_20__uninitialized_fill7functorINS0_10device_ptrIjEEjEEmLj1EEEvT0_T1_SA_ ; -- Begin function _ZN6thrust23THRUST_200600_302600_NS11hip_rocprim14__parallel_for6kernelILj256ENS1_20__uninitialized_fill7functorINS0_10device_ptrIjEEjEEmLj1EEEvT0_T1_SA_
	.globl	_ZN6thrust23THRUST_200600_302600_NS11hip_rocprim14__parallel_for6kernelILj256ENS1_20__uninitialized_fill7functorINS0_10device_ptrIjEEjEEmLj1EEEvT0_T1_SA_
	.p2align	8
	.type	_ZN6thrust23THRUST_200600_302600_NS11hip_rocprim14__parallel_for6kernelILj256ENS1_20__uninitialized_fill7functorINS0_10device_ptrIjEEjEEmLj1EEEvT0_T1_SA_,@function
_ZN6thrust23THRUST_200600_302600_NS11hip_rocprim14__parallel_for6kernelILj256ENS1_20__uninitialized_fill7functorINS0_10device_ptrIjEEjEEmLj1EEEvT0_T1_SA_: ; @_ZN6thrust23THRUST_200600_302600_NS11hip_rocprim14__parallel_for6kernelILj256ENS1_20__uninitialized_fill7functorINS0_10device_ptrIjEEjEEmLj1EEEvT0_T1_SA_
; %bb.0:
	s_clause 0x2
	s_load_dwordx4 s[8:11], s[4:5], 0x10
	s_load_dwordx2 s[0:1], s[4:5], 0x0
	s_load_dword s7, s[4:5], 0x8
	s_lshl_b32 s2, s6, 8
	s_waitcnt lgkmcnt(0)
	s_add_u32 s2, s10, s2
	s_addc_u32 s3, s11, 0
	s_sub_u32 s4, s8, s2
	s_subb_u32 s5, s9, s3
	v_cmp_lt_u64_e64 s5, 0xff, s[4:5]
	s_and_b32 vcc_lo, exec_lo, s5
	s_mov_b32 s5, -1
	s_cbranch_vccz .LBB128_3
; %bb.1:
	s_andn2_b32 vcc_lo, exec_lo, s5
	s_cbranch_vccz .LBB128_6
.LBB128_2:
	s_endpgm
.LBB128_3:
	v_cmp_gt_u32_e32 vcc_lo, s4, v0
	s_and_saveexec_b32 s4, vcc_lo
	s_cbranch_execz .LBB128_5
; %bb.4:
	v_lshlrev_b32_e32 v1, 2, v0
	s_lshl_b64 s[8:9], s[2:3], 2
	v_mov_b32_e32 v3, s7
	s_add_u32 s5, s0, s8
	s_addc_u32 s6, s1, s9
	v_add_co_u32 v1, s5, s5, v1
	v_add_co_ci_u32_e64 v2, null, s6, 0, s5
	flat_store_dword v[1:2], v3
.LBB128_5:
	s_or_b32 exec_lo, exec_lo, s4
	s_cbranch_execnz .LBB128_2
.LBB128_6:
	v_lshlrev_b32_e32 v0, 2, v0
	s_lshl_b64 s[2:3], s[2:3], 2
	v_mov_b32_e32 v2, s7
	s_add_u32 s0, s0, s2
	s_addc_u32 s1, s1, s3
	v_add_co_u32 v0, s0, s0, v0
	v_add_co_ci_u32_e64 v1, null, s1, 0, s0
	flat_store_dword v[0:1], v2
	s_endpgm
	.section	.rodata,"a",@progbits
	.p2align	6, 0x0
	.amdhsa_kernel _ZN6thrust23THRUST_200600_302600_NS11hip_rocprim14__parallel_for6kernelILj256ENS1_20__uninitialized_fill7functorINS0_10device_ptrIjEEjEEmLj1EEEvT0_T1_SA_
		.amdhsa_group_segment_fixed_size 0
		.amdhsa_private_segment_fixed_size 0
		.amdhsa_kernarg_size 32
		.amdhsa_user_sgpr_count 6
		.amdhsa_user_sgpr_private_segment_buffer 1
		.amdhsa_user_sgpr_dispatch_ptr 0
		.amdhsa_user_sgpr_queue_ptr 0
		.amdhsa_user_sgpr_kernarg_segment_ptr 1
		.amdhsa_user_sgpr_dispatch_id 0
		.amdhsa_user_sgpr_flat_scratch_init 0
		.amdhsa_user_sgpr_private_segment_size 0
		.amdhsa_wavefront_size32 1
		.amdhsa_uses_dynamic_stack 0
		.amdhsa_system_sgpr_private_segment_wavefront_offset 0
		.amdhsa_system_sgpr_workgroup_id_x 1
		.amdhsa_system_sgpr_workgroup_id_y 0
		.amdhsa_system_sgpr_workgroup_id_z 0
		.amdhsa_system_sgpr_workgroup_info 0
		.amdhsa_system_vgpr_workitem_id 0
		.amdhsa_next_free_vgpr 4
		.amdhsa_next_free_sgpr 12
		.amdhsa_reserve_vcc 1
		.amdhsa_reserve_flat_scratch 0
		.amdhsa_float_round_mode_32 0
		.amdhsa_float_round_mode_16_64 0
		.amdhsa_float_denorm_mode_32 3
		.amdhsa_float_denorm_mode_16_64 3
		.amdhsa_dx10_clamp 1
		.amdhsa_ieee_mode 1
		.amdhsa_fp16_overflow 0
		.amdhsa_workgroup_processor_mode 1
		.amdhsa_memory_ordered 1
		.amdhsa_forward_progress 1
		.amdhsa_shared_vgpr_count 0
		.amdhsa_exception_fp_ieee_invalid_op 0
		.amdhsa_exception_fp_denorm_src 0
		.amdhsa_exception_fp_ieee_div_zero 0
		.amdhsa_exception_fp_ieee_overflow 0
		.amdhsa_exception_fp_ieee_underflow 0
		.amdhsa_exception_fp_ieee_inexact 0
		.amdhsa_exception_int_div_zero 0
	.end_amdhsa_kernel
	.section	.text._ZN6thrust23THRUST_200600_302600_NS11hip_rocprim14__parallel_for6kernelILj256ENS1_20__uninitialized_fill7functorINS0_10device_ptrIjEEjEEmLj1EEEvT0_T1_SA_,"axG",@progbits,_ZN6thrust23THRUST_200600_302600_NS11hip_rocprim14__parallel_for6kernelILj256ENS1_20__uninitialized_fill7functorINS0_10device_ptrIjEEjEEmLj1EEEvT0_T1_SA_,comdat
.Lfunc_end128:
	.size	_ZN6thrust23THRUST_200600_302600_NS11hip_rocprim14__parallel_for6kernelILj256ENS1_20__uninitialized_fill7functorINS0_10device_ptrIjEEjEEmLj1EEEvT0_T1_SA_, .Lfunc_end128-_ZN6thrust23THRUST_200600_302600_NS11hip_rocprim14__parallel_for6kernelILj256ENS1_20__uninitialized_fill7functorINS0_10device_ptrIjEEjEEmLj1EEEvT0_T1_SA_
                                        ; -- End function
	.set _ZN6thrust23THRUST_200600_302600_NS11hip_rocprim14__parallel_for6kernelILj256ENS1_20__uninitialized_fill7functorINS0_10device_ptrIjEEjEEmLj1EEEvT0_T1_SA_.num_vgpr, 4
	.set _ZN6thrust23THRUST_200600_302600_NS11hip_rocprim14__parallel_for6kernelILj256ENS1_20__uninitialized_fill7functorINS0_10device_ptrIjEEjEEmLj1EEEvT0_T1_SA_.num_agpr, 0
	.set _ZN6thrust23THRUST_200600_302600_NS11hip_rocprim14__parallel_for6kernelILj256ENS1_20__uninitialized_fill7functorINS0_10device_ptrIjEEjEEmLj1EEEvT0_T1_SA_.numbered_sgpr, 12
	.set _ZN6thrust23THRUST_200600_302600_NS11hip_rocprim14__parallel_for6kernelILj256ENS1_20__uninitialized_fill7functorINS0_10device_ptrIjEEjEEmLj1EEEvT0_T1_SA_.num_named_barrier, 0
	.set _ZN6thrust23THRUST_200600_302600_NS11hip_rocprim14__parallel_for6kernelILj256ENS1_20__uninitialized_fill7functorINS0_10device_ptrIjEEjEEmLj1EEEvT0_T1_SA_.private_seg_size, 0
	.set _ZN6thrust23THRUST_200600_302600_NS11hip_rocprim14__parallel_for6kernelILj256ENS1_20__uninitialized_fill7functorINS0_10device_ptrIjEEjEEmLj1EEEvT0_T1_SA_.uses_vcc, 1
	.set _ZN6thrust23THRUST_200600_302600_NS11hip_rocprim14__parallel_for6kernelILj256ENS1_20__uninitialized_fill7functorINS0_10device_ptrIjEEjEEmLj1EEEvT0_T1_SA_.uses_flat_scratch, 0
	.set _ZN6thrust23THRUST_200600_302600_NS11hip_rocprim14__parallel_for6kernelILj256ENS1_20__uninitialized_fill7functorINS0_10device_ptrIjEEjEEmLj1EEEvT0_T1_SA_.has_dyn_sized_stack, 0
	.set _ZN6thrust23THRUST_200600_302600_NS11hip_rocprim14__parallel_for6kernelILj256ENS1_20__uninitialized_fill7functorINS0_10device_ptrIjEEjEEmLj1EEEvT0_T1_SA_.has_recursion, 0
	.set _ZN6thrust23THRUST_200600_302600_NS11hip_rocprim14__parallel_for6kernelILj256ENS1_20__uninitialized_fill7functorINS0_10device_ptrIjEEjEEmLj1EEEvT0_T1_SA_.has_indirect_call, 0
	.section	.AMDGPU.csdata,"",@progbits
; Kernel info:
; codeLenInByte = 200
; TotalNumSgprs: 14
; NumVgprs: 4
; ScratchSize: 0
; MemoryBound: 0
; FloatMode: 240
; IeeeMode: 1
; LDSByteSize: 0 bytes/workgroup (compile time only)
; SGPRBlocks: 0
; VGPRBlocks: 0
; NumSGPRsForWavesPerEU: 14
; NumVGPRsForWavesPerEU: 4
; Occupancy: 16
; WaveLimiterHint : 0
; COMPUTE_PGM_RSRC2:SCRATCH_EN: 0
; COMPUTE_PGM_RSRC2:USER_SGPR: 6
; COMPUTE_PGM_RSRC2:TRAP_HANDLER: 0
; COMPUTE_PGM_RSRC2:TGID_X_EN: 1
; COMPUTE_PGM_RSRC2:TGID_Y_EN: 0
; COMPUTE_PGM_RSRC2:TGID_Z_EN: 0
; COMPUTE_PGM_RSRC2:TIDIG_COMP_CNT: 0
	.section	.text._ZN7rocprim17ROCPRIM_400000_NS6detail44device_merge_sort_compile_time_verifier_archINS1_11comp_targetILNS1_3genE0ELNS1_11target_archE4294967295ELNS1_3gpuE0ELNS1_3repE0EEES8_NS0_14default_configES9_NS1_37merge_sort_block_sort_config_selectorIjNS0_10empty_typeEEENS1_38merge_sort_block_merge_config_selectorIjSB_EEEEvv,"axG",@progbits,_ZN7rocprim17ROCPRIM_400000_NS6detail44device_merge_sort_compile_time_verifier_archINS1_11comp_targetILNS1_3genE0ELNS1_11target_archE4294967295ELNS1_3gpuE0ELNS1_3repE0EEES8_NS0_14default_configES9_NS1_37merge_sort_block_sort_config_selectorIjNS0_10empty_typeEEENS1_38merge_sort_block_merge_config_selectorIjSB_EEEEvv,comdat
	.protected	_ZN7rocprim17ROCPRIM_400000_NS6detail44device_merge_sort_compile_time_verifier_archINS1_11comp_targetILNS1_3genE0ELNS1_11target_archE4294967295ELNS1_3gpuE0ELNS1_3repE0EEES8_NS0_14default_configES9_NS1_37merge_sort_block_sort_config_selectorIjNS0_10empty_typeEEENS1_38merge_sort_block_merge_config_selectorIjSB_EEEEvv ; -- Begin function _ZN7rocprim17ROCPRIM_400000_NS6detail44device_merge_sort_compile_time_verifier_archINS1_11comp_targetILNS1_3genE0ELNS1_11target_archE4294967295ELNS1_3gpuE0ELNS1_3repE0EEES8_NS0_14default_configES9_NS1_37merge_sort_block_sort_config_selectorIjNS0_10empty_typeEEENS1_38merge_sort_block_merge_config_selectorIjSB_EEEEvv
	.globl	_ZN7rocprim17ROCPRIM_400000_NS6detail44device_merge_sort_compile_time_verifier_archINS1_11comp_targetILNS1_3genE0ELNS1_11target_archE4294967295ELNS1_3gpuE0ELNS1_3repE0EEES8_NS0_14default_configES9_NS1_37merge_sort_block_sort_config_selectorIjNS0_10empty_typeEEENS1_38merge_sort_block_merge_config_selectorIjSB_EEEEvv
	.p2align	8
	.type	_ZN7rocprim17ROCPRIM_400000_NS6detail44device_merge_sort_compile_time_verifier_archINS1_11comp_targetILNS1_3genE0ELNS1_11target_archE4294967295ELNS1_3gpuE0ELNS1_3repE0EEES8_NS0_14default_configES9_NS1_37merge_sort_block_sort_config_selectorIjNS0_10empty_typeEEENS1_38merge_sort_block_merge_config_selectorIjSB_EEEEvv,@function
_ZN7rocprim17ROCPRIM_400000_NS6detail44device_merge_sort_compile_time_verifier_archINS1_11comp_targetILNS1_3genE0ELNS1_11target_archE4294967295ELNS1_3gpuE0ELNS1_3repE0EEES8_NS0_14default_configES9_NS1_37merge_sort_block_sort_config_selectorIjNS0_10empty_typeEEENS1_38merge_sort_block_merge_config_selectorIjSB_EEEEvv: ; @_ZN7rocprim17ROCPRIM_400000_NS6detail44device_merge_sort_compile_time_verifier_archINS1_11comp_targetILNS1_3genE0ELNS1_11target_archE4294967295ELNS1_3gpuE0ELNS1_3repE0EEES8_NS0_14default_configES9_NS1_37merge_sort_block_sort_config_selectorIjNS0_10empty_typeEEENS1_38merge_sort_block_merge_config_selectorIjSB_EEEEvv
; %bb.0:
	s_endpgm
	.section	.rodata,"a",@progbits
	.p2align	6, 0x0
	.amdhsa_kernel _ZN7rocprim17ROCPRIM_400000_NS6detail44device_merge_sort_compile_time_verifier_archINS1_11comp_targetILNS1_3genE0ELNS1_11target_archE4294967295ELNS1_3gpuE0ELNS1_3repE0EEES8_NS0_14default_configES9_NS1_37merge_sort_block_sort_config_selectorIjNS0_10empty_typeEEENS1_38merge_sort_block_merge_config_selectorIjSB_EEEEvv
		.amdhsa_group_segment_fixed_size 0
		.amdhsa_private_segment_fixed_size 0
		.amdhsa_kernarg_size 0
		.amdhsa_user_sgpr_count 4
		.amdhsa_user_sgpr_private_segment_buffer 1
		.amdhsa_user_sgpr_dispatch_ptr 0
		.amdhsa_user_sgpr_queue_ptr 0
		.amdhsa_user_sgpr_kernarg_segment_ptr 0
		.amdhsa_user_sgpr_dispatch_id 0
		.amdhsa_user_sgpr_flat_scratch_init 0
		.amdhsa_user_sgpr_private_segment_size 0
		.amdhsa_wavefront_size32 1
		.amdhsa_uses_dynamic_stack 0
		.amdhsa_system_sgpr_private_segment_wavefront_offset 0
		.amdhsa_system_sgpr_workgroup_id_x 1
		.amdhsa_system_sgpr_workgroup_id_y 0
		.amdhsa_system_sgpr_workgroup_id_z 0
		.amdhsa_system_sgpr_workgroup_info 0
		.amdhsa_system_vgpr_workitem_id 0
		.amdhsa_next_free_vgpr 1
		.amdhsa_next_free_sgpr 1
		.amdhsa_reserve_vcc 0
		.amdhsa_reserve_flat_scratch 0
		.amdhsa_float_round_mode_32 0
		.amdhsa_float_round_mode_16_64 0
		.amdhsa_float_denorm_mode_32 3
		.amdhsa_float_denorm_mode_16_64 3
		.amdhsa_dx10_clamp 1
		.amdhsa_ieee_mode 1
		.amdhsa_fp16_overflow 0
		.amdhsa_workgroup_processor_mode 1
		.amdhsa_memory_ordered 1
		.amdhsa_forward_progress 1
		.amdhsa_shared_vgpr_count 0
		.amdhsa_exception_fp_ieee_invalid_op 0
		.amdhsa_exception_fp_denorm_src 0
		.amdhsa_exception_fp_ieee_div_zero 0
		.amdhsa_exception_fp_ieee_overflow 0
		.amdhsa_exception_fp_ieee_underflow 0
		.amdhsa_exception_fp_ieee_inexact 0
		.amdhsa_exception_int_div_zero 0
	.end_amdhsa_kernel
	.section	.text._ZN7rocprim17ROCPRIM_400000_NS6detail44device_merge_sort_compile_time_verifier_archINS1_11comp_targetILNS1_3genE0ELNS1_11target_archE4294967295ELNS1_3gpuE0ELNS1_3repE0EEES8_NS0_14default_configES9_NS1_37merge_sort_block_sort_config_selectorIjNS0_10empty_typeEEENS1_38merge_sort_block_merge_config_selectorIjSB_EEEEvv,"axG",@progbits,_ZN7rocprim17ROCPRIM_400000_NS6detail44device_merge_sort_compile_time_verifier_archINS1_11comp_targetILNS1_3genE0ELNS1_11target_archE4294967295ELNS1_3gpuE0ELNS1_3repE0EEES8_NS0_14default_configES9_NS1_37merge_sort_block_sort_config_selectorIjNS0_10empty_typeEEENS1_38merge_sort_block_merge_config_selectorIjSB_EEEEvv,comdat
.Lfunc_end129:
	.size	_ZN7rocprim17ROCPRIM_400000_NS6detail44device_merge_sort_compile_time_verifier_archINS1_11comp_targetILNS1_3genE0ELNS1_11target_archE4294967295ELNS1_3gpuE0ELNS1_3repE0EEES8_NS0_14default_configES9_NS1_37merge_sort_block_sort_config_selectorIjNS0_10empty_typeEEENS1_38merge_sort_block_merge_config_selectorIjSB_EEEEvv, .Lfunc_end129-_ZN7rocprim17ROCPRIM_400000_NS6detail44device_merge_sort_compile_time_verifier_archINS1_11comp_targetILNS1_3genE0ELNS1_11target_archE4294967295ELNS1_3gpuE0ELNS1_3repE0EEES8_NS0_14default_configES9_NS1_37merge_sort_block_sort_config_selectorIjNS0_10empty_typeEEENS1_38merge_sort_block_merge_config_selectorIjSB_EEEEvv
                                        ; -- End function
	.set _ZN7rocprim17ROCPRIM_400000_NS6detail44device_merge_sort_compile_time_verifier_archINS1_11comp_targetILNS1_3genE0ELNS1_11target_archE4294967295ELNS1_3gpuE0ELNS1_3repE0EEES8_NS0_14default_configES9_NS1_37merge_sort_block_sort_config_selectorIjNS0_10empty_typeEEENS1_38merge_sort_block_merge_config_selectorIjSB_EEEEvv.num_vgpr, 0
	.set _ZN7rocprim17ROCPRIM_400000_NS6detail44device_merge_sort_compile_time_verifier_archINS1_11comp_targetILNS1_3genE0ELNS1_11target_archE4294967295ELNS1_3gpuE0ELNS1_3repE0EEES8_NS0_14default_configES9_NS1_37merge_sort_block_sort_config_selectorIjNS0_10empty_typeEEENS1_38merge_sort_block_merge_config_selectorIjSB_EEEEvv.num_agpr, 0
	.set _ZN7rocprim17ROCPRIM_400000_NS6detail44device_merge_sort_compile_time_verifier_archINS1_11comp_targetILNS1_3genE0ELNS1_11target_archE4294967295ELNS1_3gpuE0ELNS1_3repE0EEES8_NS0_14default_configES9_NS1_37merge_sort_block_sort_config_selectorIjNS0_10empty_typeEEENS1_38merge_sort_block_merge_config_selectorIjSB_EEEEvv.numbered_sgpr, 0
	.set _ZN7rocprim17ROCPRIM_400000_NS6detail44device_merge_sort_compile_time_verifier_archINS1_11comp_targetILNS1_3genE0ELNS1_11target_archE4294967295ELNS1_3gpuE0ELNS1_3repE0EEES8_NS0_14default_configES9_NS1_37merge_sort_block_sort_config_selectorIjNS0_10empty_typeEEENS1_38merge_sort_block_merge_config_selectorIjSB_EEEEvv.num_named_barrier, 0
	.set _ZN7rocprim17ROCPRIM_400000_NS6detail44device_merge_sort_compile_time_verifier_archINS1_11comp_targetILNS1_3genE0ELNS1_11target_archE4294967295ELNS1_3gpuE0ELNS1_3repE0EEES8_NS0_14default_configES9_NS1_37merge_sort_block_sort_config_selectorIjNS0_10empty_typeEEENS1_38merge_sort_block_merge_config_selectorIjSB_EEEEvv.private_seg_size, 0
	.set _ZN7rocprim17ROCPRIM_400000_NS6detail44device_merge_sort_compile_time_verifier_archINS1_11comp_targetILNS1_3genE0ELNS1_11target_archE4294967295ELNS1_3gpuE0ELNS1_3repE0EEES8_NS0_14default_configES9_NS1_37merge_sort_block_sort_config_selectorIjNS0_10empty_typeEEENS1_38merge_sort_block_merge_config_selectorIjSB_EEEEvv.uses_vcc, 0
	.set _ZN7rocprim17ROCPRIM_400000_NS6detail44device_merge_sort_compile_time_verifier_archINS1_11comp_targetILNS1_3genE0ELNS1_11target_archE4294967295ELNS1_3gpuE0ELNS1_3repE0EEES8_NS0_14default_configES9_NS1_37merge_sort_block_sort_config_selectorIjNS0_10empty_typeEEENS1_38merge_sort_block_merge_config_selectorIjSB_EEEEvv.uses_flat_scratch, 0
	.set _ZN7rocprim17ROCPRIM_400000_NS6detail44device_merge_sort_compile_time_verifier_archINS1_11comp_targetILNS1_3genE0ELNS1_11target_archE4294967295ELNS1_3gpuE0ELNS1_3repE0EEES8_NS0_14default_configES9_NS1_37merge_sort_block_sort_config_selectorIjNS0_10empty_typeEEENS1_38merge_sort_block_merge_config_selectorIjSB_EEEEvv.has_dyn_sized_stack, 0
	.set _ZN7rocprim17ROCPRIM_400000_NS6detail44device_merge_sort_compile_time_verifier_archINS1_11comp_targetILNS1_3genE0ELNS1_11target_archE4294967295ELNS1_3gpuE0ELNS1_3repE0EEES8_NS0_14default_configES9_NS1_37merge_sort_block_sort_config_selectorIjNS0_10empty_typeEEENS1_38merge_sort_block_merge_config_selectorIjSB_EEEEvv.has_recursion, 0
	.set _ZN7rocprim17ROCPRIM_400000_NS6detail44device_merge_sort_compile_time_verifier_archINS1_11comp_targetILNS1_3genE0ELNS1_11target_archE4294967295ELNS1_3gpuE0ELNS1_3repE0EEES8_NS0_14default_configES9_NS1_37merge_sort_block_sort_config_selectorIjNS0_10empty_typeEEENS1_38merge_sort_block_merge_config_selectorIjSB_EEEEvv.has_indirect_call, 0
	.section	.AMDGPU.csdata,"",@progbits
; Kernel info:
; codeLenInByte = 4
; TotalNumSgprs: 0
; NumVgprs: 0
; ScratchSize: 0
; MemoryBound: 0
; FloatMode: 240
; IeeeMode: 1
; LDSByteSize: 0 bytes/workgroup (compile time only)
; SGPRBlocks: 0
; VGPRBlocks: 0
; NumSGPRsForWavesPerEU: 1
; NumVGPRsForWavesPerEU: 1
; Occupancy: 16
; WaveLimiterHint : 0
; COMPUTE_PGM_RSRC2:SCRATCH_EN: 0
; COMPUTE_PGM_RSRC2:USER_SGPR: 4
; COMPUTE_PGM_RSRC2:TRAP_HANDLER: 0
; COMPUTE_PGM_RSRC2:TGID_X_EN: 1
; COMPUTE_PGM_RSRC2:TGID_Y_EN: 0
; COMPUTE_PGM_RSRC2:TGID_Z_EN: 0
; COMPUTE_PGM_RSRC2:TIDIG_COMP_CNT: 0
	.section	.text._ZN7rocprim17ROCPRIM_400000_NS6detail44device_merge_sort_compile_time_verifier_archINS1_11comp_targetILNS1_3genE5ELNS1_11target_archE942ELNS1_3gpuE9ELNS1_3repE0EEES8_NS0_14default_configES9_NS1_37merge_sort_block_sort_config_selectorIjNS0_10empty_typeEEENS1_38merge_sort_block_merge_config_selectorIjSB_EEEEvv,"axG",@progbits,_ZN7rocprim17ROCPRIM_400000_NS6detail44device_merge_sort_compile_time_verifier_archINS1_11comp_targetILNS1_3genE5ELNS1_11target_archE942ELNS1_3gpuE9ELNS1_3repE0EEES8_NS0_14default_configES9_NS1_37merge_sort_block_sort_config_selectorIjNS0_10empty_typeEEENS1_38merge_sort_block_merge_config_selectorIjSB_EEEEvv,comdat
	.protected	_ZN7rocprim17ROCPRIM_400000_NS6detail44device_merge_sort_compile_time_verifier_archINS1_11comp_targetILNS1_3genE5ELNS1_11target_archE942ELNS1_3gpuE9ELNS1_3repE0EEES8_NS0_14default_configES9_NS1_37merge_sort_block_sort_config_selectorIjNS0_10empty_typeEEENS1_38merge_sort_block_merge_config_selectorIjSB_EEEEvv ; -- Begin function _ZN7rocprim17ROCPRIM_400000_NS6detail44device_merge_sort_compile_time_verifier_archINS1_11comp_targetILNS1_3genE5ELNS1_11target_archE942ELNS1_3gpuE9ELNS1_3repE0EEES8_NS0_14default_configES9_NS1_37merge_sort_block_sort_config_selectorIjNS0_10empty_typeEEENS1_38merge_sort_block_merge_config_selectorIjSB_EEEEvv
	.globl	_ZN7rocprim17ROCPRIM_400000_NS6detail44device_merge_sort_compile_time_verifier_archINS1_11comp_targetILNS1_3genE5ELNS1_11target_archE942ELNS1_3gpuE9ELNS1_3repE0EEES8_NS0_14default_configES9_NS1_37merge_sort_block_sort_config_selectorIjNS0_10empty_typeEEENS1_38merge_sort_block_merge_config_selectorIjSB_EEEEvv
	.p2align	8
	.type	_ZN7rocprim17ROCPRIM_400000_NS6detail44device_merge_sort_compile_time_verifier_archINS1_11comp_targetILNS1_3genE5ELNS1_11target_archE942ELNS1_3gpuE9ELNS1_3repE0EEES8_NS0_14default_configES9_NS1_37merge_sort_block_sort_config_selectorIjNS0_10empty_typeEEENS1_38merge_sort_block_merge_config_selectorIjSB_EEEEvv,@function
_ZN7rocprim17ROCPRIM_400000_NS6detail44device_merge_sort_compile_time_verifier_archINS1_11comp_targetILNS1_3genE5ELNS1_11target_archE942ELNS1_3gpuE9ELNS1_3repE0EEES8_NS0_14default_configES9_NS1_37merge_sort_block_sort_config_selectorIjNS0_10empty_typeEEENS1_38merge_sort_block_merge_config_selectorIjSB_EEEEvv: ; @_ZN7rocprim17ROCPRIM_400000_NS6detail44device_merge_sort_compile_time_verifier_archINS1_11comp_targetILNS1_3genE5ELNS1_11target_archE942ELNS1_3gpuE9ELNS1_3repE0EEES8_NS0_14default_configES9_NS1_37merge_sort_block_sort_config_selectorIjNS0_10empty_typeEEENS1_38merge_sort_block_merge_config_selectorIjSB_EEEEvv
; %bb.0:
	s_endpgm
	.section	.rodata,"a",@progbits
	.p2align	6, 0x0
	.amdhsa_kernel _ZN7rocprim17ROCPRIM_400000_NS6detail44device_merge_sort_compile_time_verifier_archINS1_11comp_targetILNS1_3genE5ELNS1_11target_archE942ELNS1_3gpuE9ELNS1_3repE0EEES8_NS0_14default_configES9_NS1_37merge_sort_block_sort_config_selectorIjNS0_10empty_typeEEENS1_38merge_sort_block_merge_config_selectorIjSB_EEEEvv
		.amdhsa_group_segment_fixed_size 0
		.amdhsa_private_segment_fixed_size 0
		.amdhsa_kernarg_size 0
		.amdhsa_user_sgpr_count 4
		.amdhsa_user_sgpr_private_segment_buffer 1
		.amdhsa_user_sgpr_dispatch_ptr 0
		.amdhsa_user_sgpr_queue_ptr 0
		.amdhsa_user_sgpr_kernarg_segment_ptr 0
		.amdhsa_user_sgpr_dispatch_id 0
		.amdhsa_user_sgpr_flat_scratch_init 0
		.amdhsa_user_sgpr_private_segment_size 0
		.amdhsa_wavefront_size32 1
		.amdhsa_uses_dynamic_stack 0
		.amdhsa_system_sgpr_private_segment_wavefront_offset 0
		.amdhsa_system_sgpr_workgroup_id_x 1
		.amdhsa_system_sgpr_workgroup_id_y 0
		.amdhsa_system_sgpr_workgroup_id_z 0
		.amdhsa_system_sgpr_workgroup_info 0
		.amdhsa_system_vgpr_workitem_id 0
		.amdhsa_next_free_vgpr 1
		.amdhsa_next_free_sgpr 1
		.amdhsa_reserve_vcc 0
		.amdhsa_reserve_flat_scratch 0
		.amdhsa_float_round_mode_32 0
		.amdhsa_float_round_mode_16_64 0
		.amdhsa_float_denorm_mode_32 3
		.amdhsa_float_denorm_mode_16_64 3
		.amdhsa_dx10_clamp 1
		.amdhsa_ieee_mode 1
		.amdhsa_fp16_overflow 0
		.amdhsa_workgroup_processor_mode 1
		.amdhsa_memory_ordered 1
		.amdhsa_forward_progress 1
		.amdhsa_shared_vgpr_count 0
		.amdhsa_exception_fp_ieee_invalid_op 0
		.amdhsa_exception_fp_denorm_src 0
		.amdhsa_exception_fp_ieee_div_zero 0
		.amdhsa_exception_fp_ieee_overflow 0
		.amdhsa_exception_fp_ieee_underflow 0
		.amdhsa_exception_fp_ieee_inexact 0
		.amdhsa_exception_int_div_zero 0
	.end_amdhsa_kernel
	.section	.text._ZN7rocprim17ROCPRIM_400000_NS6detail44device_merge_sort_compile_time_verifier_archINS1_11comp_targetILNS1_3genE5ELNS1_11target_archE942ELNS1_3gpuE9ELNS1_3repE0EEES8_NS0_14default_configES9_NS1_37merge_sort_block_sort_config_selectorIjNS0_10empty_typeEEENS1_38merge_sort_block_merge_config_selectorIjSB_EEEEvv,"axG",@progbits,_ZN7rocprim17ROCPRIM_400000_NS6detail44device_merge_sort_compile_time_verifier_archINS1_11comp_targetILNS1_3genE5ELNS1_11target_archE942ELNS1_3gpuE9ELNS1_3repE0EEES8_NS0_14default_configES9_NS1_37merge_sort_block_sort_config_selectorIjNS0_10empty_typeEEENS1_38merge_sort_block_merge_config_selectorIjSB_EEEEvv,comdat
.Lfunc_end130:
	.size	_ZN7rocprim17ROCPRIM_400000_NS6detail44device_merge_sort_compile_time_verifier_archINS1_11comp_targetILNS1_3genE5ELNS1_11target_archE942ELNS1_3gpuE9ELNS1_3repE0EEES8_NS0_14default_configES9_NS1_37merge_sort_block_sort_config_selectorIjNS0_10empty_typeEEENS1_38merge_sort_block_merge_config_selectorIjSB_EEEEvv, .Lfunc_end130-_ZN7rocprim17ROCPRIM_400000_NS6detail44device_merge_sort_compile_time_verifier_archINS1_11comp_targetILNS1_3genE5ELNS1_11target_archE942ELNS1_3gpuE9ELNS1_3repE0EEES8_NS0_14default_configES9_NS1_37merge_sort_block_sort_config_selectorIjNS0_10empty_typeEEENS1_38merge_sort_block_merge_config_selectorIjSB_EEEEvv
                                        ; -- End function
	.set _ZN7rocprim17ROCPRIM_400000_NS6detail44device_merge_sort_compile_time_verifier_archINS1_11comp_targetILNS1_3genE5ELNS1_11target_archE942ELNS1_3gpuE9ELNS1_3repE0EEES8_NS0_14default_configES9_NS1_37merge_sort_block_sort_config_selectorIjNS0_10empty_typeEEENS1_38merge_sort_block_merge_config_selectorIjSB_EEEEvv.num_vgpr, 0
	.set _ZN7rocprim17ROCPRIM_400000_NS6detail44device_merge_sort_compile_time_verifier_archINS1_11comp_targetILNS1_3genE5ELNS1_11target_archE942ELNS1_3gpuE9ELNS1_3repE0EEES8_NS0_14default_configES9_NS1_37merge_sort_block_sort_config_selectorIjNS0_10empty_typeEEENS1_38merge_sort_block_merge_config_selectorIjSB_EEEEvv.num_agpr, 0
	.set _ZN7rocprim17ROCPRIM_400000_NS6detail44device_merge_sort_compile_time_verifier_archINS1_11comp_targetILNS1_3genE5ELNS1_11target_archE942ELNS1_3gpuE9ELNS1_3repE0EEES8_NS0_14default_configES9_NS1_37merge_sort_block_sort_config_selectorIjNS0_10empty_typeEEENS1_38merge_sort_block_merge_config_selectorIjSB_EEEEvv.numbered_sgpr, 0
	.set _ZN7rocprim17ROCPRIM_400000_NS6detail44device_merge_sort_compile_time_verifier_archINS1_11comp_targetILNS1_3genE5ELNS1_11target_archE942ELNS1_3gpuE9ELNS1_3repE0EEES8_NS0_14default_configES9_NS1_37merge_sort_block_sort_config_selectorIjNS0_10empty_typeEEENS1_38merge_sort_block_merge_config_selectorIjSB_EEEEvv.num_named_barrier, 0
	.set _ZN7rocprim17ROCPRIM_400000_NS6detail44device_merge_sort_compile_time_verifier_archINS1_11comp_targetILNS1_3genE5ELNS1_11target_archE942ELNS1_3gpuE9ELNS1_3repE0EEES8_NS0_14default_configES9_NS1_37merge_sort_block_sort_config_selectorIjNS0_10empty_typeEEENS1_38merge_sort_block_merge_config_selectorIjSB_EEEEvv.private_seg_size, 0
	.set _ZN7rocprim17ROCPRIM_400000_NS6detail44device_merge_sort_compile_time_verifier_archINS1_11comp_targetILNS1_3genE5ELNS1_11target_archE942ELNS1_3gpuE9ELNS1_3repE0EEES8_NS0_14default_configES9_NS1_37merge_sort_block_sort_config_selectorIjNS0_10empty_typeEEENS1_38merge_sort_block_merge_config_selectorIjSB_EEEEvv.uses_vcc, 0
	.set _ZN7rocprim17ROCPRIM_400000_NS6detail44device_merge_sort_compile_time_verifier_archINS1_11comp_targetILNS1_3genE5ELNS1_11target_archE942ELNS1_3gpuE9ELNS1_3repE0EEES8_NS0_14default_configES9_NS1_37merge_sort_block_sort_config_selectorIjNS0_10empty_typeEEENS1_38merge_sort_block_merge_config_selectorIjSB_EEEEvv.uses_flat_scratch, 0
	.set _ZN7rocprim17ROCPRIM_400000_NS6detail44device_merge_sort_compile_time_verifier_archINS1_11comp_targetILNS1_3genE5ELNS1_11target_archE942ELNS1_3gpuE9ELNS1_3repE0EEES8_NS0_14default_configES9_NS1_37merge_sort_block_sort_config_selectorIjNS0_10empty_typeEEENS1_38merge_sort_block_merge_config_selectorIjSB_EEEEvv.has_dyn_sized_stack, 0
	.set _ZN7rocprim17ROCPRIM_400000_NS6detail44device_merge_sort_compile_time_verifier_archINS1_11comp_targetILNS1_3genE5ELNS1_11target_archE942ELNS1_3gpuE9ELNS1_3repE0EEES8_NS0_14default_configES9_NS1_37merge_sort_block_sort_config_selectorIjNS0_10empty_typeEEENS1_38merge_sort_block_merge_config_selectorIjSB_EEEEvv.has_recursion, 0
	.set _ZN7rocprim17ROCPRIM_400000_NS6detail44device_merge_sort_compile_time_verifier_archINS1_11comp_targetILNS1_3genE5ELNS1_11target_archE942ELNS1_3gpuE9ELNS1_3repE0EEES8_NS0_14default_configES9_NS1_37merge_sort_block_sort_config_selectorIjNS0_10empty_typeEEENS1_38merge_sort_block_merge_config_selectorIjSB_EEEEvv.has_indirect_call, 0
	.section	.AMDGPU.csdata,"",@progbits
; Kernel info:
; codeLenInByte = 4
; TotalNumSgprs: 0
; NumVgprs: 0
; ScratchSize: 0
; MemoryBound: 0
; FloatMode: 240
; IeeeMode: 1
; LDSByteSize: 0 bytes/workgroup (compile time only)
; SGPRBlocks: 0
; VGPRBlocks: 0
; NumSGPRsForWavesPerEU: 1
; NumVGPRsForWavesPerEU: 1
; Occupancy: 16
; WaveLimiterHint : 0
; COMPUTE_PGM_RSRC2:SCRATCH_EN: 0
; COMPUTE_PGM_RSRC2:USER_SGPR: 4
; COMPUTE_PGM_RSRC2:TRAP_HANDLER: 0
; COMPUTE_PGM_RSRC2:TGID_X_EN: 1
; COMPUTE_PGM_RSRC2:TGID_Y_EN: 0
; COMPUTE_PGM_RSRC2:TGID_Z_EN: 0
; COMPUTE_PGM_RSRC2:TIDIG_COMP_CNT: 0
	.section	.text._ZN7rocprim17ROCPRIM_400000_NS6detail44device_merge_sort_compile_time_verifier_archINS1_11comp_targetILNS1_3genE4ELNS1_11target_archE910ELNS1_3gpuE8ELNS1_3repE0EEES8_NS0_14default_configES9_NS1_37merge_sort_block_sort_config_selectorIjNS0_10empty_typeEEENS1_38merge_sort_block_merge_config_selectorIjSB_EEEEvv,"axG",@progbits,_ZN7rocprim17ROCPRIM_400000_NS6detail44device_merge_sort_compile_time_verifier_archINS1_11comp_targetILNS1_3genE4ELNS1_11target_archE910ELNS1_3gpuE8ELNS1_3repE0EEES8_NS0_14default_configES9_NS1_37merge_sort_block_sort_config_selectorIjNS0_10empty_typeEEENS1_38merge_sort_block_merge_config_selectorIjSB_EEEEvv,comdat
	.protected	_ZN7rocprim17ROCPRIM_400000_NS6detail44device_merge_sort_compile_time_verifier_archINS1_11comp_targetILNS1_3genE4ELNS1_11target_archE910ELNS1_3gpuE8ELNS1_3repE0EEES8_NS0_14default_configES9_NS1_37merge_sort_block_sort_config_selectorIjNS0_10empty_typeEEENS1_38merge_sort_block_merge_config_selectorIjSB_EEEEvv ; -- Begin function _ZN7rocprim17ROCPRIM_400000_NS6detail44device_merge_sort_compile_time_verifier_archINS1_11comp_targetILNS1_3genE4ELNS1_11target_archE910ELNS1_3gpuE8ELNS1_3repE0EEES8_NS0_14default_configES9_NS1_37merge_sort_block_sort_config_selectorIjNS0_10empty_typeEEENS1_38merge_sort_block_merge_config_selectorIjSB_EEEEvv
	.globl	_ZN7rocprim17ROCPRIM_400000_NS6detail44device_merge_sort_compile_time_verifier_archINS1_11comp_targetILNS1_3genE4ELNS1_11target_archE910ELNS1_3gpuE8ELNS1_3repE0EEES8_NS0_14default_configES9_NS1_37merge_sort_block_sort_config_selectorIjNS0_10empty_typeEEENS1_38merge_sort_block_merge_config_selectorIjSB_EEEEvv
	.p2align	8
	.type	_ZN7rocprim17ROCPRIM_400000_NS6detail44device_merge_sort_compile_time_verifier_archINS1_11comp_targetILNS1_3genE4ELNS1_11target_archE910ELNS1_3gpuE8ELNS1_3repE0EEES8_NS0_14default_configES9_NS1_37merge_sort_block_sort_config_selectorIjNS0_10empty_typeEEENS1_38merge_sort_block_merge_config_selectorIjSB_EEEEvv,@function
_ZN7rocprim17ROCPRIM_400000_NS6detail44device_merge_sort_compile_time_verifier_archINS1_11comp_targetILNS1_3genE4ELNS1_11target_archE910ELNS1_3gpuE8ELNS1_3repE0EEES8_NS0_14default_configES9_NS1_37merge_sort_block_sort_config_selectorIjNS0_10empty_typeEEENS1_38merge_sort_block_merge_config_selectorIjSB_EEEEvv: ; @_ZN7rocprim17ROCPRIM_400000_NS6detail44device_merge_sort_compile_time_verifier_archINS1_11comp_targetILNS1_3genE4ELNS1_11target_archE910ELNS1_3gpuE8ELNS1_3repE0EEES8_NS0_14default_configES9_NS1_37merge_sort_block_sort_config_selectorIjNS0_10empty_typeEEENS1_38merge_sort_block_merge_config_selectorIjSB_EEEEvv
; %bb.0:
	s_endpgm
	.section	.rodata,"a",@progbits
	.p2align	6, 0x0
	.amdhsa_kernel _ZN7rocprim17ROCPRIM_400000_NS6detail44device_merge_sort_compile_time_verifier_archINS1_11comp_targetILNS1_3genE4ELNS1_11target_archE910ELNS1_3gpuE8ELNS1_3repE0EEES8_NS0_14default_configES9_NS1_37merge_sort_block_sort_config_selectorIjNS0_10empty_typeEEENS1_38merge_sort_block_merge_config_selectorIjSB_EEEEvv
		.amdhsa_group_segment_fixed_size 0
		.amdhsa_private_segment_fixed_size 0
		.amdhsa_kernarg_size 0
		.amdhsa_user_sgpr_count 4
		.amdhsa_user_sgpr_private_segment_buffer 1
		.amdhsa_user_sgpr_dispatch_ptr 0
		.amdhsa_user_sgpr_queue_ptr 0
		.amdhsa_user_sgpr_kernarg_segment_ptr 0
		.amdhsa_user_sgpr_dispatch_id 0
		.amdhsa_user_sgpr_flat_scratch_init 0
		.amdhsa_user_sgpr_private_segment_size 0
		.amdhsa_wavefront_size32 1
		.amdhsa_uses_dynamic_stack 0
		.amdhsa_system_sgpr_private_segment_wavefront_offset 0
		.amdhsa_system_sgpr_workgroup_id_x 1
		.amdhsa_system_sgpr_workgroup_id_y 0
		.amdhsa_system_sgpr_workgroup_id_z 0
		.amdhsa_system_sgpr_workgroup_info 0
		.amdhsa_system_vgpr_workitem_id 0
		.amdhsa_next_free_vgpr 1
		.amdhsa_next_free_sgpr 1
		.amdhsa_reserve_vcc 0
		.amdhsa_reserve_flat_scratch 0
		.amdhsa_float_round_mode_32 0
		.amdhsa_float_round_mode_16_64 0
		.amdhsa_float_denorm_mode_32 3
		.amdhsa_float_denorm_mode_16_64 3
		.amdhsa_dx10_clamp 1
		.amdhsa_ieee_mode 1
		.amdhsa_fp16_overflow 0
		.amdhsa_workgroup_processor_mode 1
		.amdhsa_memory_ordered 1
		.amdhsa_forward_progress 1
		.amdhsa_shared_vgpr_count 0
		.amdhsa_exception_fp_ieee_invalid_op 0
		.amdhsa_exception_fp_denorm_src 0
		.amdhsa_exception_fp_ieee_div_zero 0
		.amdhsa_exception_fp_ieee_overflow 0
		.amdhsa_exception_fp_ieee_underflow 0
		.amdhsa_exception_fp_ieee_inexact 0
		.amdhsa_exception_int_div_zero 0
	.end_amdhsa_kernel
	.section	.text._ZN7rocprim17ROCPRIM_400000_NS6detail44device_merge_sort_compile_time_verifier_archINS1_11comp_targetILNS1_3genE4ELNS1_11target_archE910ELNS1_3gpuE8ELNS1_3repE0EEES8_NS0_14default_configES9_NS1_37merge_sort_block_sort_config_selectorIjNS0_10empty_typeEEENS1_38merge_sort_block_merge_config_selectorIjSB_EEEEvv,"axG",@progbits,_ZN7rocprim17ROCPRIM_400000_NS6detail44device_merge_sort_compile_time_verifier_archINS1_11comp_targetILNS1_3genE4ELNS1_11target_archE910ELNS1_3gpuE8ELNS1_3repE0EEES8_NS0_14default_configES9_NS1_37merge_sort_block_sort_config_selectorIjNS0_10empty_typeEEENS1_38merge_sort_block_merge_config_selectorIjSB_EEEEvv,comdat
.Lfunc_end131:
	.size	_ZN7rocprim17ROCPRIM_400000_NS6detail44device_merge_sort_compile_time_verifier_archINS1_11comp_targetILNS1_3genE4ELNS1_11target_archE910ELNS1_3gpuE8ELNS1_3repE0EEES8_NS0_14default_configES9_NS1_37merge_sort_block_sort_config_selectorIjNS0_10empty_typeEEENS1_38merge_sort_block_merge_config_selectorIjSB_EEEEvv, .Lfunc_end131-_ZN7rocprim17ROCPRIM_400000_NS6detail44device_merge_sort_compile_time_verifier_archINS1_11comp_targetILNS1_3genE4ELNS1_11target_archE910ELNS1_3gpuE8ELNS1_3repE0EEES8_NS0_14default_configES9_NS1_37merge_sort_block_sort_config_selectorIjNS0_10empty_typeEEENS1_38merge_sort_block_merge_config_selectorIjSB_EEEEvv
                                        ; -- End function
	.set _ZN7rocprim17ROCPRIM_400000_NS6detail44device_merge_sort_compile_time_verifier_archINS1_11comp_targetILNS1_3genE4ELNS1_11target_archE910ELNS1_3gpuE8ELNS1_3repE0EEES8_NS0_14default_configES9_NS1_37merge_sort_block_sort_config_selectorIjNS0_10empty_typeEEENS1_38merge_sort_block_merge_config_selectorIjSB_EEEEvv.num_vgpr, 0
	.set _ZN7rocprim17ROCPRIM_400000_NS6detail44device_merge_sort_compile_time_verifier_archINS1_11comp_targetILNS1_3genE4ELNS1_11target_archE910ELNS1_3gpuE8ELNS1_3repE0EEES8_NS0_14default_configES9_NS1_37merge_sort_block_sort_config_selectorIjNS0_10empty_typeEEENS1_38merge_sort_block_merge_config_selectorIjSB_EEEEvv.num_agpr, 0
	.set _ZN7rocprim17ROCPRIM_400000_NS6detail44device_merge_sort_compile_time_verifier_archINS1_11comp_targetILNS1_3genE4ELNS1_11target_archE910ELNS1_3gpuE8ELNS1_3repE0EEES8_NS0_14default_configES9_NS1_37merge_sort_block_sort_config_selectorIjNS0_10empty_typeEEENS1_38merge_sort_block_merge_config_selectorIjSB_EEEEvv.numbered_sgpr, 0
	.set _ZN7rocprim17ROCPRIM_400000_NS6detail44device_merge_sort_compile_time_verifier_archINS1_11comp_targetILNS1_3genE4ELNS1_11target_archE910ELNS1_3gpuE8ELNS1_3repE0EEES8_NS0_14default_configES9_NS1_37merge_sort_block_sort_config_selectorIjNS0_10empty_typeEEENS1_38merge_sort_block_merge_config_selectorIjSB_EEEEvv.num_named_barrier, 0
	.set _ZN7rocprim17ROCPRIM_400000_NS6detail44device_merge_sort_compile_time_verifier_archINS1_11comp_targetILNS1_3genE4ELNS1_11target_archE910ELNS1_3gpuE8ELNS1_3repE0EEES8_NS0_14default_configES9_NS1_37merge_sort_block_sort_config_selectorIjNS0_10empty_typeEEENS1_38merge_sort_block_merge_config_selectorIjSB_EEEEvv.private_seg_size, 0
	.set _ZN7rocprim17ROCPRIM_400000_NS6detail44device_merge_sort_compile_time_verifier_archINS1_11comp_targetILNS1_3genE4ELNS1_11target_archE910ELNS1_3gpuE8ELNS1_3repE0EEES8_NS0_14default_configES9_NS1_37merge_sort_block_sort_config_selectorIjNS0_10empty_typeEEENS1_38merge_sort_block_merge_config_selectorIjSB_EEEEvv.uses_vcc, 0
	.set _ZN7rocprim17ROCPRIM_400000_NS6detail44device_merge_sort_compile_time_verifier_archINS1_11comp_targetILNS1_3genE4ELNS1_11target_archE910ELNS1_3gpuE8ELNS1_3repE0EEES8_NS0_14default_configES9_NS1_37merge_sort_block_sort_config_selectorIjNS0_10empty_typeEEENS1_38merge_sort_block_merge_config_selectorIjSB_EEEEvv.uses_flat_scratch, 0
	.set _ZN7rocprim17ROCPRIM_400000_NS6detail44device_merge_sort_compile_time_verifier_archINS1_11comp_targetILNS1_3genE4ELNS1_11target_archE910ELNS1_3gpuE8ELNS1_3repE0EEES8_NS0_14default_configES9_NS1_37merge_sort_block_sort_config_selectorIjNS0_10empty_typeEEENS1_38merge_sort_block_merge_config_selectorIjSB_EEEEvv.has_dyn_sized_stack, 0
	.set _ZN7rocprim17ROCPRIM_400000_NS6detail44device_merge_sort_compile_time_verifier_archINS1_11comp_targetILNS1_3genE4ELNS1_11target_archE910ELNS1_3gpuE8ELNS1_3repE0EEES8_NS0_14default_configES9_NS1_37merge_sort_block_sort_config_selectorIjNS0_10empty_typeEEENS1_38merge_sort_block_merge_config_selectorIjSB_EEEEvv.has_recursion, 0
	.set _ZN7rocprim17ROCPRIM_400000_NS6detail44device_merge_sort_compile_time_verifier_archINS1_11comp_targetILNS1_3genE4ELNS1_11target_archE910ELNS1_3gpuE8ELNS1_3repE0EEES8_NS0_14default_configES9_NS1_37merge_sort_block_sort_config_selectorIjNS0_10empty_typeEEENS1_38merge_sort_block_merge_config_selectorIjSB_EEEEvv.has_indirect_call, 0
	.section	.AMDGPU.csdata,"",@progbits
; Kernel info:
; codeLenInByte = 4
; TotalNumSgprs: 0
; NumVgprs: 0
; ScratchSize: 0
; MemoryBound: 0
; FloatMode: 240
; IeeeMode: 1
; LDSByteSize: 0 bytes/workgroup (compile time only)
; SGPRBlocks: 0
; VGPRBlocks: 0
; NumSGPRsForWavesPerEU: 1
; NumVGPRsForWavesPerEU: 1
; Occupancy: 16
; WaveLimiterHint : 0
; COMPUTE_PGM_RSRC2:SCRATCH_EN: 0
; COMPUTE_PGM_RSRC2:USER_SGPR: 4
; COMPUTE_PGM_RSRC2:TRAP_HANDLER: 0
; COMPUTE_PGM_RSRC2:TGID_X_EN: 1
; COMPUTE_PGM_RSRC2:TGID_Y_EN: 0
; COMPUTE_PGM_RSRC2:TGID_Z_EN: 0
; COMPUTE_PGM_RSRC2:TIDIG_COMP_CNT: 0
	.section	.text._ZN7rocprim17ROCPRIM_400000_NS6detail44device_merge_sort_compile_time_verifier_archINS1_11comp_targetILNS1_3genE3ELNS1_11target_archE908ELNS1_3gpuE7ELNS1_3repE0EEES8_NS0_14default_configES9_NS1_37merge_sort_block_sort_config_selectorIjNS0_10empty_typeEEENS1_38merge_sort_block_merge_config_selectorIjSB_EEEEvv,"axG",@progbits,_ZN7rocprim17ROCPRIM_400000_NS6detail44device_merge_sort_compile_time_verifier_archINS1_11comp_targetILNS1_3genE3ELNS1_11target_archE908ELNS1_3gpuE7ELNS1_3repE0EEES8_NS0_14default_configES9_NS1_37merge_sort_block_sort_config_selectorIjNS0_10empty_typeEEENS1_38merge_sort_block_merge_config_selectorIjSB_EEEEvv,comdat
	.protected	_ZN7rocprim17ROCPRIM_400000_NS6detail44device_merge_sort_compile_time_verifier_archINS1_11comp_targetILNS1_3genE3ELNS1_11target_archE908ELNS1_3gpuE7ELNS1_3repE0EEES8_NS0_14default_configES9_NS1_37merge_sort_block_sort_config_selectorIjNS0_10empty_typeEEENS1_38merge_sort_block_merge_config_selectorIjSB_EEEEvv ; -- Begin function _ZN7rocprim17ROCPRIM_400000_NS6detail44device_merge_sort_compile_time_verifier_archINS1_11comp_targetILNS1_3genE3ELNS1_11target_archE908ELNS1_3gpuE7ELNS1_3repE0EEES8_NS0_14default_configES9_NS1_37merge_sort_block_sort_config_selectorIjNS0_10empty_typeEEENS1_38merge_sort_block_merge_config_selectorIjSB_EEEEvv
	.globl	_ZN7rocprim17ROCPRIM_400000_NS6detail44device_merge_sort_compile_time_verifier_archINS1_11comp_targetILNS1_3genE3ELNS1_11target_archE908ELNS1_3gpuE7ELNS1_3repE0EEES8_NS0_14default_configES9_NS1_37merge_sort_block_sort_config_selectorIjNS0_10empty_typeEEENS1_38merge_sort_block_merge_config_selectorIjSB_EEEEvv
	.p2align	8
	.type	_ZN7rocprim17ROCPRIM_400000_NS6detail44device_merge_sort_compile_time_verifier_archINS1_11comp_targetILNS1_3genE3ELNS1_11target_archE908ELNS1_3gpuE7ELNS1_3repE0EEES8_NS0_14default_configES9_NS1_37merge_sort_block_sort_config_selectorIjNS0_10empty_typeEEENS1_38merge_sort_block_merge_config_selectorIjSB_EEEEvv,@function
_ZN7rocprim17ROCPRIM_400000_NS6detail44device_merge_sort_compile_time_verifier_archINS1_11comp_targetILNS1_3genE3ELNS1_11target_archE908ELNS1_3gpuE7ELNS1_3repE0EEES8_NS0_14default_configES9_NS1_37merge_sort_block_sort_config_selectorIjNS0_10empty_typeEEENS1_38merge_sort_block_merge_config_selectorIjSB_EEEEvv: ; @_ZN7rocprim17ROCPRIM_400000_NS6detail44device_merge_sort_compile_time_verifier_archINS1_11comp_targetILNS1_3genE3ELNS1_11target_archE908ELNS1_3gpuE7ELNS1_3repE0EEES8_NS0_14default_configES9_NS1_37merge_sort_block_sort_config_selectorIjNS0_10empty_typeEEENS1_38merge_sort_block_merge_config_selectorIjSB_EEEEvv
; %bb.0:
	s_endpgm
	.section	.rodata,"a",@progbits
	.p2align	6, 0x0
	.amdhsa_kernel _ZN7rocprim17ROCPRIM_400000_NS6detail44device_merge_sort_compile_time_verifier_archINS1_11comp_targetILNS1_3genE3ELNS1_11target_archE908ELNS1_3gpuE7ELNS1_3repE0EEES8_NS0_14default_configES9_NS1_37merge_sort_block_sort_config_selectorIjNS0_10empty_typeEEENS1_38merge_sort_block_merge_config_selectorIjSB_EEEEvv
		.amdhsa_group_segment_fixed_size 0
		.amdhsa_private_segment_fixed_size 0
		.amdhsa_kernarg_size 0
		.amdhsa_user_sgpr_count 4
		.amdhsa_user_sgpr_private_segment_buffer 1
		.amdhsa_user_sgpr_dispatch_ptr 0
		.amdhsa_user_sgpr_queue_ptr 0
		.amdhsa_user_sgpr_kernarg_segment_ptr 0
		.amdhsa_user_sgpr_dispatch_id 0
		.amdhsa_user_sgpr_flat_scratch_init 0
		.amdhsa_user_sgpr_private_segment_size 0
		.amdhsa_wavefront_size32 1
		.amdhsa_uses_dynamic_stack 0
		.amdhsa_system_sgpr_private_segment_wavefront_offset 0
		.amdhsa_system_sgpr_workgroup_id_x 1
		.amdhsa_system_sgpr_workgroup_id_y 0
		.amdhsa_system_sgpr_workgroup_id_z 0
		.amdhsa_system_sgpr_workgroup_info 0
		.amdhsa_system_vgpr_workitem_id 0
		.amdhsa_next_free_vgpr 1
		.amdhsa_next_free_sgpr 1
		.amdhsa_reserve_vcc 0
		.amdhsa_reserve_flat_scratch 0
		.amdhsa_float_round_mode_32 0
		.amdhsa_float_round_mode_16_64 0
		.amdhsa_float_denorm_mode_32 3
		.amdhsa_float_denorm_mode_16_64 3
		.amdhsa_dx10_clamp 1
		.amdhsa_ieee_mode 1
		.amdhsa_fp16_overflow 0
		.amdhsa_workgroup_processor_mode 1
		.amdhsa_memory_ordered 1
		.amdhsa_forward_progress 1
		.amdhsa_shared_vgpr_count 0
		.amdhsa_exception_fp_ieee_invalid_op 0
		.amdhsa_exception_fp_denorm_src 0
		.amdhsa_exception_fp_ieee_div_zero 0
		.amdhsa_exception_fp_ieee_overflow 0
		.amdhsa_exception_fp_ieee_underflow 0
		.amdhsa_exception_fp_ieee_inexact 0
		.amdhsa_exception_int_div_zero 0
	.end_amdhsa_kernel
	.section	.text._ZN7rocprim17ROCPRIM_400000_NS6detail44device_merge_sort_compile_time_verifier_archINS1_11comp_targetILNS1_3genE3ELNS1_11target_archE908ELNS1_3gpuE7ELNS1_3repE0EEES8_NS0_14default_configES9_NS1_37merge_sort_block_sort_config_selectorIjNS0_10empty_typeEEENS1_38merge_sort_block_merge_config_selectorIjSB_EEEEvv,"axG",@progbits,_ZN7rocprim17ROCPRIM_400000_NS6detail44device_merge_sort_compile_time_verifier_archINS1_11comp_targetILNS1_3genE3ELNS1_11target_archE908ELNS1_3gpuE7ELNS1_3repE0EEES8_NS0_14default_configES9_NS1_37merge_sort_block_sort_config_selectorIjNS0_10empty_typeEEENS1_38merge_sort_block_merge_config_selectorIjSB_EEEEvv,comdat
.Lfunc_end132:
	.size	_ZN7rocprim17ROCPRIM_400000_NS6detail44device_merge_sort_compile_time_verifier_archINS1_11comp_targetILNS1_3genE3ELNS1_11target_archE908ELNS1_3gpuE7ELNS1_3repE0EEES8_NS0_14default_configES9_NS1_37merge_sort_block_sort_config_selectorIjNS0_10empty_typeEEENS1_38merge_sort_block_merge_config_selectorIjSB_EEEEvv, .Lfunc_end132-_ZN7rocprim17ROCPRIM_400000_NS6detail44device_merge_sort_compile_time_verifier_archINS1_11comp_targetILNS1_3genE3ELNS1_11target_archE908ELNS1_3gpuE7ELNS1_3repE0EEES8_NS0_14default_configES9_NS1_37merge_sort_block_sort_config_selectorIjNS0_10empty_typeEEENS1_38merge_sort_block_merge_config_selectorIjSB_EEEEvv
                                        ; -- End function
	.set _ZN7rocprim17ROCPRIM_400000_NS6detail44device_merge_sort_compile_time_verifier_archINS1_11comp_targetILNS1_3genE3ELNS1_11target_archE908ELNS1_3gpuE7ELNS1_3repE0EEES8_NS0_14default_configES9_NS1_37merge_sort_block_sort_config_selectorIjNS0_10empty_typeEEENS1_38merge_sort_block_merge_config_selectorIjSB_EEEEvv.num_vgpr, 0
	.set _ZN7rocprim17ROCPRIM_400000_NS6detail44device_merge_sort_compile_time_verifier_archINS1_11comp_targetILNS1_3genE3ELNS1_11target_archE908ELNS1_3gpuE7ELNS1_3repE0EEES8_NS0_14default_configES9_NS1_37merge_sort_block_sort_config_selectorIjNS0_10empty_typeEEENS1_38merge_sort_block_merge_config_selectorIjSB_EEEEvv.num_agpr, 0
	.set _ZN7rocprim17ROCPRIM_400000_NS6detail44device_merge_sort_compile_time_verifier_archINS1_11comp_targetILNS1_3genE3ELNS1_11target_archE908ELNS1_3gpuE7ELNS1_3repE0EEES8_NS0_14default_configES9_NS1_37merge_sort_block_sort_config_selectorIjNS0_10empty_typeEEENS1_38merge_sort_block_merge_config_selectorIjSB_EEEEvv.numbered_sgpr, 0
	.set _ZN7rocprim17ROCPRIM_400000_NS6detail44device_merge_sort_compile_time_verifier_archINS1_11comp_targetILNS1_3genE3ELNS1_11target_archE908ELNS1_3gpuE7ELNS1_3repE0EEES8_NS0_14default_configES9_NS1_37merge_sort_block_sort_config_selectorIjNS0_10empty_typeEEENS1_38merge_sort_block_merge_config_selectorIjSB_EEEEvv.num_named_barrier, 0
	.set _ZN7rocprim17ROCPRIM_400000_NS6detail44device_merge_sort_compile_time_verifier_archINS1_11comp_targetILNS1_3genE3ELNS1_11target_archE908ELNS1_3gpuE7ELNS1_3repE0EEES8_NS0_14default_configES9_NS1_37merge_sort_block_sort_config_selectorIjNS0_10empty_typeEEENS1_38merge_sort_block_merge_config_selectorIjSB_EEEEvv.private_seg_size, 0
	.set _ZN7rocprim17ROCPRIM_400000_NS6detail44device_merge_sort_compile_time_verifier_archINS1_11comp_targetILNS1_3genE3ELNS1_11target_archE908ELNS1_3gpuE7ELNS1_3repE0EEES8_NS0_14default_configES9_NS1_37merge_sort_block_sort_config_selectorIjNS0_10empty_typeEEENS1_38merge_sort_block_merge_config_selectorIjSB_EEEEvv.uses_vcc, 0
	.set _ZN7rocprim17ROCPRIM_400000_NS6detail44device_merge_sort_compile_time_verifier_archINS1_11comp_targetILNS1_3genE3ELNS1_11target_archE908ELNS1_3gpuE7ELNS1_3repE0EEES8_NS0_14default_configES9_NS1_37merge_sort_block_sort_config_selectorIjNS0_10empty_typeEEENS1_38merge_sort_block_merge_config_selectorIjSB_EEEEvv.uses_flat_scratch, 0
	.set _ZN7rocprim17ROCPRIM_400000_NS6detail44device_merge_sort_compile_time_verifier_archINS1_11comp_targetILNS1_3genE3ELNS1_11target_archE908ELNS1_3gpuE7ELNS1_3repE0EEES8_NS0_14default_configES9_NS1_37merge_sort_block_sort_config_selectorIjNS0_10empty_typeEEENS1_38merge_sort_block_merge_config_selectorIjSB_EEEEvv.has_dyn_sized_stack, 0
	.set _ZN7rocprim17ROCPRIM_400000_NS6detail44device_merge_sort_compile_time_verifier_archINS1_11comp_targetILNS1_3genE3ELNS1_11target_archE908ELNS1_3gpuE7ELNS1_3repE0EEES8_NS0_14default_configES9_NS1_37merge_sort_block_sort_config_selectorIjNS0_10empty_typeEEENS1_38merge_sort_block_merge_config_selectorIjSB_EEEEvv.has_recursion, 0
	.set _ZN7rocprim17ROCPRIM_400000_NS6detail44device_merge_sort_compile_time_verifier_archINS1_11comp_targetILNS1_3genE3ELNS1_11target_archE908ELNS1_3gpuE7ELNS1_3repE0EEES8_NS0_14default_configES9_NS1_37merge_sort_block_sort_config_selectorIjNS0_10empty_typeEEENS1_38merge_sort_block_merge_config_selectorIjSB_EEEEvv.has_indirect_call, 0
	.section	.AMDGPU.csdata,"",@progbits
; Kernel info:
; codeLenInByte = 4
; TotalNumSgprs: 0
; NumVgprs: 0
; ScratchSize: 0
; MemoryBound: 0
; FloatMode: 240
; IeeeMode: 1
; LDSByteSize: 0 bytes/workgroup (compile time only)
; SGPRBlocks: 0
; VGPRBlocks: 0
; NumSGPRsForWavesPerEU: 1
; NumVGPRsForWavesPerEU: 1
; Occupancy: 16
; WaveLimiterHint : 0
; COMPUTE_PGM_RSRC2:SCRATCH_EN: 0
; COMPUTE_PGM_RSRC2:USER_SGPR: 4
; COMPUTE_PGM_RSRC2:TRAP_HANDLER: 0
; COMPUTE_PGM_RSRC2:TGID_X_EN: 1
; COMPUTE_PGM_RSRC2:TGID_Y_EN: 0
; COMPUTE_PGM_RSRC2:TGID_Z_EN: 0
; COMPUTE_PGM_RSRC2:TIDIG_COMP_CNT: 0
	.section	.text._ZN7rocprim17ROCPRIM_400000_NS6detail44device_merge_sort_compile_time_verifier_archINS1_11comp_targetILNS1_3genE2ELNS1_11target_archE906ELNS1_3gpuE6ELNS1_3repE0EEES8_NS0_14default_configES9_NS1_37merge_sort_block_sort_config_selectorIjNS0_10empty_typeEEENS1_38merge_sort_block_merge_config_selectorIjSB_EEEEvv,"axG",@progbits,_ZN7rocprim17ROCPRIM_400000_NS6detail44device_merge_sort_compile_time_verifier_archINS1_11comp_targetILNS1_3genE2ELNS1_11target_archE906ELNS1_3gpuE6ELNS1_3repE0EEES8_NS0_14default_configES9_NS1_37merge_sort_block_sort_config_selectorIjNS0_10empty_typeEEENS1_38merge_sort_block_merge_config_selectorIjSB_EEEEvv,comdat
	.protected	_ZN7rocprim17ROCPRIM_400000_NS6detail44device_merge_sort_compile_time_verifier_archINS1_11comp_targetILNS1_3genE2ELNS1_11target_archE906ELNS1_3gpuE6ELNS1_3repE0EEES8_NS0_14default_configES9_NS1_37merge_sort_block_sort_config_selectorIjNS0_10empty_typeEEENS1_38merge_sort_block_merge_config_selectorIjSB_EEEEvv ; -- Begin function _ZN7rocprim17ROCPRIM_400000_NS6detail44device_merge_sort_compile_time_verifier_archINS1_11comp_targetILNS1_3genE2ELNS1_11target_archE906ELNS1_3gpuE6ELNS1_3repE0EEES8_NS0_14default_configES9_NS1_37merge_sort_block_sort_config_selectorIjNS0_10empty_typeEEENS1_38merge_sort_block_merge_config_selectorIjSB_EEEEvv
	.globl	_ZN7rocprim17ROCPRIM_400000_NS6detail44device_merge_sort_compile_time_verifier_archINS1_11comp_targetILNS1_3genE2ELNS1_11target_archE906ELNS1_3gpuE6ELNS1_3repE0EEES8_NS0_14default_configES9_NS1_37merge_sort_block_sort_config_selectorIjNS0_10empty_typeEEENS1_38merge_sort_block_merge_config_selectorIjSB_EEEEvv
	.p2align	8
	.type	_ZN7rocprim17ROCPRIM_400000_NS6detail44device_merge_sort_compile_time_verifier_archINS1_11comp_targetILNS1_3genE2ELNS1_11target_archE906ELNS1_3gpuE6ELNS1_3repE0EEES8_NS0_14default_configES9_NS1_37merge_sort_block_sort_config_selectorIjNS0_10empty_typeEEENS1_38merge_sort_block_merge_config_selectorIjSB_EEEEvv,@function
_ZN7rocprim17ROCPRIM_400000_NS6detail44device_merge_sort_compile_time_verifier_archINS1_11comp_targetILNS1_3genE2ELNS1_11target_archE906ELNS1_3gpuE6ELNS1_3repE0EEES8_NS0_14default_configES9_NS1_37merge_sort_block_sort_config_selectorIjNS0_10empty_typeEEENS1_38merge_sort_block_merge_config_selectorIjSB_EEEEvv: ; @_ZN7rocprim17ROCPRIM_400000_NS6detail44device_merge_sort_compile_time_verifier_archINS1_11comp_targetILNS1_3genE2ELNS1_11target_archE906ELNS1_3gpuE6ELNS1_3repE0EEES8_NS0_14default_configES9_NS1_37merge_sort_block_sort_config_selectorIjNS0_10empty_typeEEENS1_38merge_sort_block_merge_config_selectorIjSB_EEEEvv
; %bb.0:
	s_endpgm
	.section	.rodata,"a",@progbits
	.p2align	6, 0x0
	.amdhsa_kernel _ZN7rocprim17ROCPRIM_400000_NS6detail44device_merge_sort_compile_time_verifier_archINS1_11comp_targetILNS1_3genE2ELNS1_11target_archE906ELNS1_3gpuE6ELNS1_3repE0EEES8_NS0_14default_configES9_NS1_37merge_sort_block_sort_config_selectorIjNS0_10empty_typeEEENS1_38merge_sort_block_merge_config_selectorIjSB_EEEEvv
		.amdhsa_group_segment_fixed_size 0
		.amdhsa_private_segment_fixed_size 0
		.amdhsa_kernarg_size 0
		.amdhsa_user_sgpr_count 4
		.amdhsa_user_sgpr_private_segment_buffer 1
		.amdhsa_user_sgpr_dispatch_ptr 0
		.amdhsa_user_sgpr_queue_ptr 0
		.amdhsa_user_sgpr_kernarg_segment_ptr 0
		.amdhsa_user_sgpr_dispatch_id 0
		.amdhsa_user_sgpr_flat_scratch_init 0
		.amdhsa_user_sgpr_private_segment_size 0
		.amdhsa_wavefront_size32 1
		.amdhsa_uses_dynamic_stack 0
		.amdhsa_system_sgpr_private_segment_wavefront_offset 0
		.amdhsa_system_sgpr_workgroup_id_x 1
		.amdhsa_system_sgpr_workgroup_id_y 0
		.amdhsa_system_sgpr_workgroup_id_z 0
		.amdhsa_system_sgpr_workgroup_info 0
		.amdhsa_system_vgpr_workitem_id 0
		.amdhsa_next_free_vgpr 1
		.amdhsa_next_free_sgpr 1
		.amdhsa_reserve_vcc 0
		.amdhsa_reserve_flat_scratch 0
		.amdhsa_float_round_mode_32 0
		.amdhsa_float_round_mode_16_64 0
		.amdhsa_float_denorm_mode_32 3
		.amdhsa_float_denorm_mode_16_64 3
		.amdhsa_dx10_clamp 1
		.amdhsa_ieee_mode 1
		.amdhsa_fp16_overflow 0
		.amdhsa_workgroup_processor_mode 1
		.amdhsa_memory_ordered 1
		.amdhsa_forward_progress 1
		.amdhsa_shared_vgpr_count 0
		.amdhsa_exception_fp_ieee_invalid_op 0
		.amdhsa_exception_fp_denorm_src 0
		.amdhsa_exception_fp_ieee_div_zero 0
		.amdhsa_exception_fp_ieee_overflow 0
		.amdhsa_exception_fp_ieee_underflow 0
		.amdhsa_exception_fp_ieee_inexact 0
		.amdhsa_exception_int_div_zero 0
	.end_amdhsa_kernel
	.section	.text._ZN7rocprim17ROCPRIM_400000_NS6detail44device_merge_sort_compile_time_verifier_archINS1_11comp_targetILNS1_3genE2ELNS1_11target_archE906ELNS1_3gpuE6ELNS1_3repE0EEES8_NS0_14default_configES9_NS1_37merge_sort_block_sort_config_selectorIjNS0_10empty_typeEEENS1_38merge_sort_block_merge_config_selectorIjSB_EEEEvv,"axG",@progbits,_ZN7rocprim17ROCPRIM_400000_NS6detail44device_merge_sort_compile_time_verifier_archINS1_11comp_targetILNS1_3genE2ELNS1_11target_archE906ELNS1_3gpuE6ELNS1_3repE0EEES8_NS0_14default_configES9_NS1_37merge_sort_block_sort_config_selectorIjNS0_10empty_typeEEENS1_38merge_sort_block_merge_config_selectorIjSB_EEEEvv,comdat
.Lfunc_end133:
	.size	_ZN7rocprim17ROCPRIM_400000_NS6detail44device_merge_sort_compile_time_verifier_archINS1_11comp_targetILNS1_3genE2ELNS1_11target_archE906ELNS1_3gpuE6ELNS1_3repE0EEES8_NS0_14default_configES9_NS1_37merge_sort_block_sort_config_selectorIjNS0_10empty_typeEEENS1_38merge_sort_block_merge_config_selectorIjSB_EEEEvv, .Lfunc_end133-_ZN7rocprim17ROCPRIM_400000_NS6detail44device_merge_sort_compile_time_verifier_archINS1_11comp_targetILNS1_3genE2ELNS1_11target_archE906ELNS1_3gpuE6ELNS1_3repE0EEES8_NS0_14default_configES9_NS1_37merge_sort_block_sort_config_selectorIjNS0_10empty_typeEEENS1_38merge_sort_block_merge_config_selectorIjSB_EEEEvv
                                        ; -- End function
	.set _ZN7rocprim17ROCPRIM_400000_NS6detail44device_merge_sort_compile_time_verifier_archINS1_11comp_targetILNS1_3genE2ELNS1_11target_archE906ELNS1_3gpuE6ELNS1_3repE0EEES8_NS0_14default_configES9_NS1_37merge_sort_block_sort_config_selectorIjNS0_10empty_typeEEENS1_38merge_sort_block_merge_config_selectorIjSB_EEEEvv.num_vgpr, 0
	.set _ZN7rocprim17ROCPRIM_400000_NS6detail44device_merge_sort_compile_time_verifier_archINS1_11comp_targetILNS1_3genE2ELNS1_11target_archE906ELNS1_3gpuE6ELNS1_3repE0EEES8_NS0_14default_configES9_NS1_37merge_sort_block_sort_config_selectorIjNS0_10empty_typeEEENS1_38merge_sort_block_merge_config_selectorIjSB_EEEEvv.num_agpr, 0
	.set _ZN7rocprim17ROCPRIM_400000_NS6detail44device_merge_sort_compile_time_verifier_archINS1_11comp_targetILNS1_3genE2ELNS1_11target_archE906ELNS1_3gpuE6ELNS1_3repE0EEES8_NS0_14default_configES9_NS1_37merge_sort_block_sort_config_selectorIjNS0_10empty_typeEEENS1_38merge_sort_block_merge_config_selectorIjSB_EEEEvv.numbered_sgpr, 0
	.set _ZN7rocprim17ROCPRIM_400000_NS6detail44device_merge_sort_compile_time_verifier_archINS1_11comp_targetILNS1_3genE2ELNS1_11target_archE906ELNS1_3gpuE6ELNS1_3repE0EEES8_NS0_14default_configES9_NS1_37merge_sort_block_sort_config_selectorIjNS0_10empty_typeEEENS1_38merge_sort_block_merge_config_selectorIjSB_EEEEvv.num_named_barrier, 0
	.set _ZN7rocprim17ROCPRIM_400000_NS6detail44device_merge_sort_compile_time_verifier_archINS1_11comp_targetILNS1_3genE2ELNS1_11target_archE906ELNS1_3gpuE6ELNS1_3repE0EEES8_NS0_14default_configES9_NS1_37merge_sort_block_sort_config_selectorIjNS0_10empty_typeEEENS1_38merge_sort_block_merge_config_selectorIjSB_EEEEvv.private_seg_size, 0
	.set _ZN7rocprim17ROCPRIM_400000_NS6detail44device_merge_sort_compile_time_verifier_archINS1_11comp_targetILNS1_3genE2ELNS1_11target_archE906ELNS1_3gpuE6ELNS1_3repE0EEES8_NS0_14default_configES9_NS1_37merge_sort_block_sort_config_selectorIjNS0_10empty_typeEEENS1_38merge_sort_block_merge_config_selectorIjSB_EEEEvv.uses_vcc, 0
	.set _ZN7rocprim17ROCPRIM_400000_NS6detail44device_merge_sort_compile_time_verifier_archINS1_11comp_targetILNS1_3genE2ELNS1_11target_archE906ELNS1_3gpuE6ELNS1_3repE0EEES8_NS0_14default_configES9_NS1_37merge_sort_block_sort_config_selectorIjNS0_10empty_typeEEENS1_38merge_sort_block_merge_config_selectorIjSB_EEEEvv.uses_flat_scratch, 0
	.set _ZN7rocprim17ROCPRIM_400000_NS6detail44device_merge_sort_compile_time_verifier_archINS1_11comp_targetILNS1_3genE2ELNS1_11target_archE906ELNS1_3gpuE6ELNS1_3repE0EEES8_NS0_14default_configES9_NS1_37merge_sort_block_sort_config_selectorIjNS0_10empty_typeEEENS1_38merge_sort_block_merge_config_selectorIjSB_EEEEvv.has_dyn_sized_stack, 0
	.set _ZN7rocprim17ROCPRIM_400000_NS6detail44device_merge_sort_compile_time_verifier_archINS1_11comp_targetILNS1_3genE2ELNS1_11target_archE906ELNS1_3gpuE6ELNS1_3repE0EEES8_NS0_14default_configES9_NS1_37merge_sort_block_sort_config_selectorIjNS0_10empty_typeEEENS1_38merge_sort_block_merge_config_selectorIjSB_EEEEvv.has_recursion, 0
	.set _ZN7rocprim17ROCPRIM_400000_NS6detail44device_merge_sort_compile_time_verifier_archINS1_11comp_targetILNS1_3genE2ELNS1_11target_archE906ELNS1_3gpuE6ELNS1_3repE0EEES8_NS0_14default_configES9_NS1_37merge_sort_block_sort_config_selectorIjNS0_10empty_typeEEENS1_38merge_sort_block_merge_config_selectorIjSB_EEEEvv.has_indirect_call, 0
	.section	.AMDGPU.csdata,"",@progbits
; Kernel info:
; codeLenInByte = 4
; TotalNumSgprs: 0
; NumVgprs: 0
; ScratchSize: 0
; MemoryBound: 0
; FloatMode: 240
; IeeeMode: 1
; LDSByteSize: 0 bytes/workgroup (compile time only)
; SGPRBlocks: 0
; VGPRBlocks: 0
; NumSGPRsForWavesPerEU: 1
; NumVGPRsForWavesPerEU: 1
; Occupancy: 16
; WaveLimiterHint : 0
; COMPUTE_PGM_RSRC2:SCRATCH_EN: 0
; COMPUTE_PGM_RSRC2:USER_SGPR: 4
; COMPUTE_PGM_RSRC2:TRAP_HANDLER: 0
; COMPUTE_PGM_RSRC2:TGID_X_EN: 1
; COMPUTE_PGM_RSRC2:TGID_Y_EN: 0
; COMPUTE_PGM_RSRC2:TGID_Z_EN: 0
; COMPUTE_PGM_RSRC2:TIDIG_COMP_CNT: 0
	.section	.text._ZN7rocprim17ROCPRIM_400000_NS6detail44device_merge_sort_compile_time_verifier_archINS1_11comp_targetILNS1_3genE10ELNS1_11target_archE1201ELNS1_3gpuE5ELNS1_3repE0EEES8_NS0_14default_configES9_NS1_37merge_sort_block_sort_config_selectorIjNS0_10empty_typeEEENS1_38merge_sort_block_merge_config_selectorIjSB_EEEEvv,"axG",@progbits,_ZN7rocprim17ROCPRIM_400000_NS6detail44device_merge_sort_compile_time_verifier_archINS1_11comp_targetILNS1_3genE10ELNS1_11target_archE1201ELNS1_3gpuE5ELNS1_3repE0EEES8_NS0_14default_configES9_NS1_37merge_sort_block_sort_config_selectorIjNS0_10empty_typeEEENS1_38merge_sort_block_merge_config_selectorIjSB_EEEEvv,comdat
	.protected	_ZN7rocprim17ROCPRIM_400000_NS6detail44device_merge_sort_compile_time_verifier_archINS1_11comp_targetILNS1_3genE10ELNS1_11target_archE1201ELNS1_3gpuE5ELNS1_3repE0EEES8_NS0_14default_configES9_NS1_37merge_sort_block_sort_config_selectorIjNS0_10empty_typeEEENS1_38merge_sort_block_merge_config_selectorIjSB_EEEEvv ; -- Begin function _ZN7rocprim17ROCPRIM_400000_NS6detail44device_merge_sort_compile_time_verifier_archINS1_11comp_targetILNS1_3genE10ELNS1_11target_archE1201ELNS1_3gpuE5ELNS1_3repE0EEES8_NS0_14default_configES9_NS1_37merge_sort_block_sort_config_selectorIjNS0_10empty_typeEEENS1_38merge_sort_block_merge_config_selectorIjSB_EEEEvv
	.globl	_ZN7rocprim17ROCPRIM_400000_NS6detail44device_merge_sort_compile_time_verifier_archINS1_11comp_targetILNS1_3genE10ELNS1_11target_archE1201ELNS1_3gpuE5ELNS1_3repE0EEES8_NS0_14default_configES9_NS1_37merge_sort_block_sort_config_selectorIjNS0_10empty_typeEEENS1_38merge_sort_block_merge_config_selectorIjSB_EEEEvv
	.p2align	8
	.type	_ZN7rocprim17ROCPRIM_400000_NS6detail44device_merge_sort_compile_time_verifier_archINS1_11comp_targetILNS1_3genE10ELNS1_11target_archE1201ELNS1_3gpuE5ELNS1_3repE0EEES8_NS0_14default_configES9_NS1_37merge_sort_block_sort_config_selectorIjNS0_10empty_typeEEENS1_38merge_sort_block_merge_config_selectorIjSB_EEEEvv,@function
_ZN7rocprim17ROCPRIM_400000_NS6detail44device_merge_sort_compile_time_verifier_archINS1_11comp_targetILNS1_3genE10ELNS1_11target_archE1201ELNS1_3gpuE5ELNS1_3repE0EEES8_NS0_14default_configES9_NS1_37merge_sort_block_sort_config_selectorIjNS0_10empty_typeEEENS1_38merge_sort_block_merge_config_selectorIjSB_EEEEvv: ; @_ZN7rocprim17ROCPRIM_400000_NS6detail44device_merge_sort_compile_time_verifier_archINS1_11comp_targetILNS1_3genE10ELNS1_11target_archE1201ELNS1_3gpuE5ELNS1_3repE0EEES8_NS0_14default_configES9_NS1_37merge_sort_block_sort_config_selectorIjNS0_10empty_typeEEENS1_38merge_sort_block_merge_config_selectorIjSB_EEEEvv
; %bb.0:
	s_endpgm
	.section	.rodata,"a",@progbits
	.p2align	6, 0x0
	.amdhsa_kernel _ZN7rocprim17ROCPRIM_400000_NS6detail44device_merge_sort_compile_time_verifier_archINS1_11comp_targetILNS1_3genE10ELNS1_11target_archE1201ELNS1_3gpuE5ELNS1_3repE0EEES8_NS0_14default_configES9_NS1_37merge_sort_block_sort_config_selectorIjNS0_10empty_typeEEENS1_38merge_sort_block_merge_config_selectorIjSB_EEEEvv
		.amdhsa_group_segment_fixed_size 0
		.amdhsa_private_segment_fixed_size 0
		.amdhsa_kernarg_size 0
		.amdhsa_user_sgpr_count 4
		.amdhsa_user_sgpr_private_segment_buffer 1
		.amdhsa_user_sgpr_dispatch_ptr 0
		.amdhsa_user_sgpr_queue_ptr 0
		.amdhsa_user_sgpr_kernarg_segment_ptr 0
		.amdhsa_user_sgpr_dispatch_id 0
		.amdhsa_user_sgpr_flat_scratch_init 0
		.amdhsa_user_sgpr_private_segment_size 0
		.amdhsa_wavefront_size32 1
		.amdhsa_uses_dynamic_stack 0
		.amdhsa_system_sgpr_private_segment_wavefront_offset 0
		.amdhsa_system_sgpr_workgroup_id_x 1
		.amdhsa_system_sgpr_workgroup_id_y 0
		.amdhsa_system_sgpr_workgroup_id_z 0
		.amdhsa_system_sgpr_workgroup_info 0
		.amdhsa_system_vgpr_workitem_id 0
		.amdhsa_next_free_vgpr 1
		.amdhsa_next_free_sgpr 1
		.amdhsa_reserve_vcc 0
		.amdhsa_reserve_flat_scratch 0
		.amdhsa_float_round_mode_32 0
		.amdhsa_float_round_mode_16_64 0
		.amdhsa_float_denorm_mode_32 3
		.amdhsa_float_denorm_mode_16_64 3
		.amdhsa_dx10_clamp 1
		.amdhsa_ieee_mode 1
		.amdhsa_fp16_overflow 0
		.amdhsa_workgroup_processor_mode 1
		.amdhsa_memory_ordered 1
		.amdhsa_forward_progress 1
		.amdhsa_shared_vgpr_count 0
		.amdhsa_exception_fp_ieee_invalid_op 0
		.amdhsa_exception_fp_denorm_src 0
		.amdhsa_exception_fp_ieee_div_zero 0
		.amdhsa_exception_fp_ieee_overflow 0
		.amdhsa_exception_fp_ieee_underflow 0
		.amdhsa_exception_fp_ieee_inexact 0
		.amdhsa_exception_int_div_zero 0
	.end_amdhsa_kernel
	.section	.text._ZN7rocprim17ROCPRIM_400000_NS6detail44device_merge_sort_compile_time_verifier_archINS1_11comp_targetILNS1_3genE10ELNS1_11target_archE1201ELNS1_3gpuE5ELNS1_3repE0EEES8_NS0_14default_configES9_NS1_37merge_sort_block_sort_config_selectorIjNS0_10empty_typeEEENS1_38merge_sort_block_merge_config_selectorIjSB_EEEEvv,"axG",@progbits,_ZN7rocprim17ROCPRIM_400000_NS6detail44device_merge_sort_compile_time_verifier_archINS1_11comp_targetILNS1_3genE10ELNS1_11target_archE1201ELNS1_3gpuE5ELNS1_3repE0EEES8_NS0_14default_configES9_NS1_37merge_sort_block_sort_config_selectorIjNS0_10empty_typeEEENS1_38merge_sort_block_merge_config_selectorIjSB_EEEEvv,comdat
.Lfunc_end134:
	.size	_ZN7rocprim17ROCPRIM_400000_NS6detail44device_merge_sort_compile_time_verifier_archINS1_11comp_targetILNS1_3genE10ELNS1_11target_archE1201ELNS1_3gpuE5ELNS1_3repE0EEES8_NS0_14default_configES9_NS1_37merge_sort_block_sort_config_selectorIjNS0_10empty_typeEEENS1_38merge_sort_block_merge_config_selectorIjSB_EEEEvv, .Lfunc_end134-_ZN7rocprim17ROCPRIM_400000_NS6detail44device_merge_sort_compile_time_verifier_archINS1_11comp_targetILNS1_3genE10ELNS1_11target_archE1201ELNS1_3gpuE5ELNS1_3repE0EEES8_NS0_14default_configES9_NS1_37merge_sort_block_sort_config_selectorIjNS0_10empty_typeEEENS1_38merge_sort_block_merge_config_selectorIjSB_EEEEvv
                                        ; -- End function
	.set _ZN7rocprim17ROCPRIM_400000_NS6detail44device_merge_sort_compile_time_verifier_archINS1_11comp_targetILNS1_3genE10ELNS1_11target_archE1201ELNS1_3gpuE5ELNS1_3repE0EEES8_NS0_14default_configES9_NS1_37merge_sort_block_sort_config_selectorIjNS0_10empty_typeEEENS1_38merge_sort_block_merge_config_selectorIjSB_EEEEvv.num_vgpr, 0
	.set _ZN7rocprim17ROCPRIM_400000_NS6detail44device_merge_sort_compile_time_verifier_archINS1_11comp_targetILNS1_3genE10ELNS1_11target_archE1201ELNS1_3gpuE5ELNS1_3repE0EEES8_NS0_14default_configES9_NS1_37merge_sort_block_sort_config_selectorIjNS0_10empty_typeEEENS1_38merge_sort_block_merge_config_selectorIjSB_EEEEvv.num_agpr, 0
	.set _ZN7rocprim17ROCPRIM_400000_NS6detail44device_merge_sort_compile_time_verifier_archINS1_11comp_targetILNS1_3genE10ELNS1_11target_archE1201ELNS1_3gpuE5ELNS1_3repE0EEES8_NS0_14default_configES9_NS1_37merge_sort_block_sort_config_selectorIjNS0_10empty_typeEEENS1_38merge_sort_block_merge_config_selectorIjSB_EEEEvv.numbered_sgpr, 0
	.set _ZN7rocprim17ROCPRIM_400000_NS6detail44device_merge_sort_compile_time_verifier_archINS1_11comp_targetILNS1_3genE10ELNS1_11target_archE1201ELNS1_3gpuE5ELNS1_3repE0EEES8_NS0_14default_configES9_NS1_37merge_sort_block_sort_config_selectorIjNS0_10empty_typeEEENS1_38merge_sort_block_merge_config_selectorIjSB_EEEEvv.num_named_barrier, 0
	.set _ZN7rocprim17ROCPRIM_400000_NS6detail44device_merge_sort_compile_time_verifier_archINS1_11comp_targetILNS1_3genE10ELNS1_11target_archE1201ELNS1_3gpuE5ELNS1_3repE0EEES8_NS0_14default_configES9_NS1_37merge_sort_block_sort_config_selectorIjNS0_10empty_typeEEENS1_38merge_sort_block_merge_config_selectorIjSB_EEEEvv.private_seg_size, 0
	.set _ZN7rocprim17ROCPRIM_400000_NS6detail44device_merge_sort_compile_time_verifier_archINS1_11comp_targetILNS1_3genE10ELNS1_11target_archE1201ELNS1_3gpuE5ELNS1_3repE0EEES8_NS0_14default_configES9_NS1_37merge_sort_block_sort_config_selectorIjNS0_10empty_typeEEENS1_38merge_sort_block_merge_config_selectorIjSB_EEEEvv.uses_vcc, 0
	.set _ZN7rocprim17ROCPRIM_400000_NS6detail44device_merge_sort_compile_time_verifier_archINS1_11comp_targetILNS1_3genE10ELNS1_11target_archE1201ELNS1_3gpuE5ELNS1_3repE0EEES8_NS0_14default_configES9_NS1_37merge_sort_block_sort_config_selectorIjNS0_10empty_typeEEENS1_38merge_sort_block_merge_config_selectorIjSB_EEEEvv.uses_flat_scratch, 0
	.set _ZN7rocprim17ROCPRIM_400000_NS6detail44device_merge_sort_compile_time_verifier_archINS1_11comp_targetILNS1_3genE10ELNS1_11target_archE1201ELNS1_3gpuE5ELNS1_3repE0EEES8_NS0_14default_configES9_NS1_37merge_sort_block_sort_config_selectorIjNS0_10empty_typeEEENS1_38merge_sort_block_merge_config_selectorIjSB_EEEEvv.has_dyn_sized_stack, 0
	.set _ZN7rocprim17ROCPRIM_400000_NS6detail44device_merge_sort_compile_time_verifier_archINS1_11comp_targetILNS1_3genE10ELNS1_11target_archE1201ELNS1_3gpuE5ELNS1_3repE0EEES8_NS0_14default_configES9_NS1_37merge_sort_block_sort_config_selectorIjNS0_10empty_typeEEENS1_38merge_sort_block_merge_config_selectorIjSB_EEEEvv.has_recursion, 0
	.set _ZN7rocprim17ROCPRIM_400000_NS6detail44device_merge_sort_compile_time_verifier_archINS1_11comp_targetILNS1_3genE10ELNS1_11target_archE1201ELNS1_3gpuE5ELNS1_3repE0EEES8_NS0_14default_configES9_NS1_37merge_sort_block_sort_config_selectorIjNS0_10empty_typeEEENS1_38merge_sort_block_merge_config_selectorIjSB_EEEEvv.has_indirect_call, 0
	.section	.AMDGPU.csdata,"",@progbits
; Kernel info:
; codeLenInByte = 4
; TotalNumSgprs: 0
; NumVgprs: 0
; ScratchSize: 0
; MemoryBound: 0
; FloatMode: 240
; IeeeMode: 1
; LDSByteSize: 0 bytes/workgroup (compile time only)
; SGPRBlocks: 0
; VGPRBlocks: 0
; NumSGPRsForWavesPerEU: 1
; NumVGPRsForWavesPerEU: 1
; Occupancy: 16
; WaveLimiterHint : 0
; COMPUTE_PGM_RSRC2:SCRATCH_EN: 0
; COMPUTE_PGM_RSRC2:USER_SGPR: 4
; COMPUTE_PGM_RSRC2:TRAP_HANDLER: 0
; COMPUTE_PGM_RSRC2:TGID_X_EN: 1
; COMPUTE_PGM_RSRC2:TGID_Y_EN: 0
; COMPUTE_PGM_RSRC2:TGID_Z_EN: 0
; COMPUTE_PGM_RSRC2:TIDIG_COMP_CNT: 0
	.section	.text._ZN7rocprim17ROCPRIM_400000_NS6detail44device_merge_sort_compile_time_verifier_archINS1_11comp_targetILNS1_3genE10ELNS1_11target_archE1200ELNS1_3gpuE4ELNS1_3repE0EEENS3_ILS4_10ELS5_1201ELS6_5ELS7_0EEENS0_14default_configESA_NS1_37merge_sort_block_sort_config_selectorIjNS0_10empty_typeEEENS1_38merge_sort_block_merge_config_selectorIjSC_EEEEvv,"axG",@progbits,_ZN7rocprim17ROCPRIM_400000_NS6detail44device_merge_sort_compile_time_verifier_archINS1_11comp_targetILNS1_3genE10ELNS1_11target_archE1200ELNS1_3gpuE4ELNS1_3repE0EEENS3_ILS4_10ELS5_1201ELS6_5ELS7_0EEENS0_14default_configESA_NS1_37merge_sort_block_sort_config_selectorIjNS0_10empty_typeEEENS1_38merge_sort_block_merge_config_selectorIjSC_EEEEvv,comdat
	.protected	_ZN7rocprim17ROCPRIM_400000_NS6detail44device_merge_sort_compile_time_verifier_archINS1_11comp_targetILNS1_3genE10ELNS1_11target_archE1200ELNS1_3gpuE4ELNS1_3repE0EEENS3_ILS4_10ELS5_1201ELS6_5ELS7_0EEENS0_14default_configESA_NS1_37merge_sort_block_sort_config_selectorIjNS0_10empty_typeEEENS1_38merge_sort_block_merge_config_selectorIjSC_EEEEvv ; -- Begin function _ZN7rocprim17ROCPRIM_400000_NS6detail44device_merge_sort_compile_time_verifier_archINS1_11comp_targetILNS1_3genE10ELNS1_11target_archE1200ELNS1_3gpuE4ELNS1_3repE0EEENS3_ILS4_10ELS5_1201ELS6_5ELS7_0EEENS0_14default_configESA_NS1_37merge_sort_block_sort_config_selectorIjNS0_10empty_typeEEENS1_38merge_sort_block_merge_config_selectorIjSC_EEEEvv
	.globl	_ZN7rocprim17ROCPRIM_400000_NS6detail44device_merge_sort_compile_time_verifier_archINS1_11comp_targetILNS1_3genE10ELNS1_11target_archE1200ELNS1_3gpuE4ELNS1_3repE0EEENS3_ILS4_10ELS5_1201ELS6_5ELS7_0EEENS0_14default_configESA_NS1_37merge_sort_block_sort_config_selectorIjNS0_10empty_typeEEENS1_38merge_sort_block_merge_config_selectorIjSC_EEEEvv
	.p2align	8
	.type	_ZN7rocprim17ROCPRIM_400000_NS6detail44device_merge_sort_compile_time_verifier_archINS1_11comp_targetILNS1_3genE10ELNS1_11target_archE1200ELNS1_3gpuE4ELNS1_3repE0EEENS3_ILS4_10ELS5_1201ELS6_5ELS7_0EEENS0_14default_configESA_NS1_37merge_sort_block_sort_config_selectorIjNS0_10empty_typeEEENS1_38merge_sort_block_merge_config_selectorIjSC_EEEEvv,@function
_ZN7rocprim17ROCPRIM_400000_NS6detail44device_merge_sort_compile_time_verifier_archINS1_11comp_targetILNS1_3genE10ELNS1_11target_archE1200ELNS1_3gpuE4ELNS1_3repE0EEENS3_ILS4_10ELS5_1201ELS6_5ELS7_0EEENS0_14default_configESA_NS1_37merge_sort_block_sort_config_selectorIjNS0_10empty_typeEEENS1_38merge_sort_block_merge_config_selectorIjSC_EEEEvv: ; @_ZN7rocprim17ROCPRIM_400000_NS6detail44device_merge_sort_compile_time_verifier_archINS1_11comp_targetILNS1_3genE10ELNS1_11target_archE1200ELNS1_3gpuE4ELNS1_3repE0EEENS3_ILS4_10ELS5_1201ELS6_5ELS7_0EEENS0_14default_configESA_NS1_37merge_sort_block_sort_config_selectorIjNS0_10empty_typeEEENS1_38merge_sort_block_merge_config_selectorIjSC_EEEEvv
; %bb.0:
	s_endpgm
	.section	.rodata,"a",@progbits
	.p2align	6, 0x0
	.amdhsa_kernel _ZN7rocprim17ROCPRIM_400000_NS6detail44device_merge_sort_compile_time_verifier_archINS1_11comp_targetILNS1_3genE10ELNS1_11target_archE1200ELNS1_3gpuE4ELNS1_3repE0EEENS3_ILS4_10ELS5_1201ELS6_5ELS7_0EEENS0_14default_configESA_NS1_37merge_sort_block_sort_config_selectorIjNS0_10empty_typeEEENS1_38merge_sort_block_merge_config_selectorIjSC_EEEEvv
		.amdhsa_group_segment_fixed_size 0
		.amdhsa_private_segment_fixed_size 0
		.amdhsa_kernarg_size 0
		.amdhsa_user_sgpr_count 4
		.amdhsa_user_sgpr_private_segment_buffer 1
		.amdhsa_user_sgpr_dispatch_ptr 0
		.amdhsa_user_sgpr_queue_ptr 0
		.amdhsa_user_sgpr_kernarg_segment_ptr 0
		.amdhsa_user_sgpr_dispatch_id 0
		.amdhsa_user_sgpr_flat_scratch_init 0
		.amdhsa_user_sgpr_private_segment_size 0
		.amdhsa_wavefront_size32 1
		.amdhsa_uses_dynamic_stack 0
		.amdhsa_system_sgpr_private_segment_wavefront_offset 0
		.amdhsa_system_sgpr_workgroup_id_x 1
		.amdhsa_system_sgpr_workgroup_id_y 0
		.amdhsa_system_sgpr_workgroup_id_z 0
		.amdhsa_system_sgpr_workgroup_info 0
		.amdhsa_system_vgpr_workitem_id 0
		.amdhsa_next_free_vgpr 1
		.amdhsa_next_free_sgpr 1
		.amdhsa_reserve_vcc 0
		.amdhsa_reserve_flat_scratch 0
		.amdhsa_float_round_mode_32 0
		.amdhsa_float_round_mode_16_64 0
		.amdhsa_float_denorm_mode_32 3
		.amdhsa_float_denorm_mode_16_64 3
		.amdhsa_dx10_clamp 1
		.amdhsa_ieee_mode 1
		.amdhsa_fp16_overflow 0
		.amdhsa_workgroup_processor_mode 1
		.amdhsa_memory_ordered 1
		.amdhsa_forward_progress 1
		.amdhsa_shared_vgpr_count 0
		.amdhsa_exception_fp_ieee_invalid_op 0
		.amdhsa_exception_fp_denorm_src 0
		.amdhsa_exception_fp_ieee_div_zero 0
		.amdhsa_exception_fp_ieee_overflow 0
		.amdhsa_exception_fp_ieee_underflow 0
		.amdhsa_exception_fp_ieee_inexact 0
		.amdhsa_exception_int_div_zero 0
	.end_amdhsa_kernel
	.section	.text._ZN7rocprim17ROCPRIM_400000_NS6detail44device_merge_sort_compile_time_verifier_archINS1_11comp_targetILNS1_3genE10ELNS1_11target_archE1200ELNS1_3gpuE4ELNS1_3repE0EEENS3_ILS4_10ELS5_1201ELS6_5ELS7_0EEENS0_14default_configESA_NS1_37merge_sort_block_sort_config_selectorIjNS0_10empty_typeEEENS1_38merge_sort_block_merge_config_selectorIjSC_EEEEvv,"axG",@progbits,_ZN7rocprim17ROCPRIM_400000_NS6detail44device_merge_sort_compile_time_verifier_archINS1_11comp_targetILNS1_3genE10ELNS1_11target_archE1200ELNS1_3gpuE4ELNS1_3repE0EEENS3_ILS4_10ELS5_1201ELS6_5ELS7_0EEENS0_14default_configESA_NS1_37merge_sort_block_sort_config_selectorIjNS0_10empty_typeEEENS1_38merge_sort_block_merge_config_selectorIjSC_EEEEvv,comdat
.Lfunc_end135:
	.size	_ZN7rocprim17ROCPRIM_400000_NS6detail44device_merge_sort_compile_time_verifier_archINS1_11comp_targetILNS1_3genE10ELNS1_11target_archE1200ELNS1_3gpuE4ELNS1_3repE0EEENS3_ILS4_10ELS5_1201ELS6_5ELS7_0EEENS0_14default_configESA_NS1_37merge_sort_block_sort_config_selectorIjNS0_10empty_typeEEENS1_38merge_sort_block_merge_config_selectorIjSC_EEEEvv, .Lfunc_end135-_ZN7rocprim17ROCPRIM_400000_NS6detail44device_merge_sort_compile_time_verifier_archINS1_11comp_targetILNS1_3genE10ELNS1_11target_archE1200ELNS1_3gpuE4ELNS1_3repE0EEENS3_ILS4_10ELS5_1201ELS6_5ELS7_0EEENS0_14default_configESA_NS1_37merge_sort_block_sort_config_selectorIjNS0_10empty_typeEEENS1_38merge_sort_block_merge_config_selectorIjSC_EEEEvv
                                        ; -- End function
	.set _ZN7rocprim17ROCPRIM_400000_NS6detail44device_merge_sort_compile_time_verifier_archINS1_11comp_targetILNS1_3genE10ELNS1_11target_archE1200ELNS1_3gpuE4ELNS1_3repE0EEENS3_ILS4_10ELS5_1201ELS6_5ELS7_0EEENS0_14default_configESA_NS1_37merge_sort_block_sort_config_selectorIjNS0_10empty_typeEEENS1_38merge_sort_block_merge_config_selectorIjSC_EEEEvv.num_vgpr, 0
	.set _ZN7rocprim17ROCPRIM_400000_NS6detail44device_merge_sort_compile_time_verifier_archINS1_11comp_targetILNS1_3genE10ELNS1_11target_archE1200ELNS1_3gpuE4ELNS1_3repE0EEENS3_ILS4_10ELS5_1201ELS6_5ELS7_0EEENS0_14default_configESA_NS1_37merge_sort_block_sort_config_selectorIjNS0_10empty_typeEEENS1_38merge_sort_block_merge_config_selectorIjSC_EEEEvv.num_agpr, 0
	.set _ZN7rocprim17ROCPRIM_400000_NS6detail44device_merge_sort_compile_time_verifier_archINS1_11comp_targetILNS1_3genE10ELNS1_11target_archE1200ELNS1_3gpuE4ELNS1_3repE0EEENS3_ILS4_10ELS5_1201ELS6_5ELS7_0EEENS0_14default_configESA_NS1_37merge_sort_block_sort_config_selectorIjNS0_10empty_typeEEENS1_38merge_sort_block_merge_config_selectorIjSC_EEEEvv.numbered_sgpr, 0
	.set _ZN7rocprim17ROCPRIM_400000_NS6detail44device_merge_sort_compile_time_verifier_archINS1_11comp_targetILNS1_3genE10ELNS1_11target_archE1200ELNS1_3gpuE4ELNS1_3repE0EEENS3_ILS4_10ELS5_1201ELS6_5ELS7_0EEENS0_14default_configESA_NS1_37merge_sort_block_sort_config_selectorIjNS0_10empty_typeEEENS1_38merge_sort_block_merge_config_selectorIjSC_EEEEvv.num_named_barrier, 0
	.set _ZN7rocprim17ROCPRIM_400000_NS6detail44device_merge_sort_compile_time_verifier_archINS1_11comp_targetILNS1_3genE10ELNS1_11target_archE1200ELNS1_3gpuE4ELNS1_3repE0EEENS3_ILS4_10ELS5_1201ELS6_5ELS7_0EEENS0_14default_configESA_NS1_37merge_sort_block_sort_config_selectorIjNS0_10empty_typeEEENS1_38merge_sort_block_merge_config_selectorIjSC_EEEEvv.private_seg_size, 0
	.set _ZN7rocprim17ROCPRIM_400000_NS6detail44device_merge_sort_compile_time_verifier_archINS1_11comp_targetILNS1_3genE10ELNS1_11target_archE1200ELNS1_3gpuE4ELNS1_3repE0EEENS3_ILS4_10ELS5_1201ELS6_5ELS7_0EEENS0_14default_configESA_NS1_37merge_sort_block_sort_config_selectorIjNS0_10empty_typeEEENS1_38merge_sort_block_merge_config_selectorIjSC_EEEEvv.uses_vcc, 0
	.set _ZN7rocprim17ROCPRIM_400000_NS6detail44device_merge_sort_compile_time_verifier_archINS1_11comp_targetILNS1_3genE10ELNS1_11target_archE1200ELNS1_3gpuE4ELNS1_3repE0EEENS3_ILS4_10ELS5_1201ELS6_5ELS7_0EEENS0_14default_configESA_NS1_37merge_sort_block_sort_config_selectorIjNS0_10empty_typeEEENS1_38merge_sort_block_merge_config_selectorIjSC_EEEEvv.uses_flat_scratch, 0
	.set _ZN7rocprim17ROCPRIM_400000_NS6detail44device_merge_sort_compile_time_verifier_archINS1_11comp_targetILNS1_3genE10ELNS1_11target_archE1200ELNS1_3gpuE4ELNS1_3repE0EEENS3_ILS4_10ELS5_1201ELS6_5ELS7_0EEENS0_14default_configESA_NS1_37merge_sort_block_sort_config_selectorIjNS0_10empty_typeEEENS1_38merge_sort_block_merge_config_selectorIjSC_EEEEvv.has_dyn_sized_stack, 0
	.set _ZN7rocprim17ROCPRIM_400000_NS6detail44device_merge_sort_compile_time_verifier_archINS1_11comp_targetILNS1_3genE10ELNS1_11target_archE1200ELNS1_3gpuE4ELNS1_3repE0EEENS3_ILS4_10ELS5_1201ELS6_5ELS7_0EEENS0_14default_configESA_NS1_37merge_sort_block_sort_config_selectorIjNS0_10empty_typeEEENS1_38merge_sort_block_merge_config_selectorIjSC_EEEEvv.has_recursion, 0
	.set _ZN7rocprim17ROCPRIM_400000_NS6detail44device_merge_sort_compile_time_verifier_archINS1_11comp_targetILNS1_3genE10ELNS1_11target_archE1200ELNS1_3gpuE4ELNS1_3repE0EEENS3_ILS4_10ELS5_1201ELS6_5ELS7_0EEENS0_14default_configESA_NS1_37merge_sort_block_sort_config_selectorIjNS0_10empty_typeEEENS1_38merge_sort_block_merge_config_selectorIjSC_EEEEvv.has_indirect_call, 0
	.section	.AMDGPU.csdata,"",@progbits
; Kernel info:
; codeLenInByte = 4
; TotalNumSgprs: 0
; NumVgprs: 0
; ScratchSize: 0
; MemoryBound: 0
; FloatMode: 240
; IeeeMode: 1
; LDSByteSize: 0 bytes/workgroup (compile time only)
; SGPRBlocks: 0
; VGPRBlocks: 0
; NumSGPRsForWavesPerEU: 1
; NumVGPRsForWavesPerEU: 1
; Occupancy: 16
; WaveLimiterHint : 0
; COMPUTE_PGM_RSRC2:SCRATCH_EN: 0
; COMPUTE_PGM_RSRC2:USER_SGPR: 4
; COMPUTE_PGM_RSRC2:TRAP_HANDLER: 0
; COMPUTE_PGM_RSRC2:TGID_X_EN: 1
; COMPUTE_PGM_RSRC2:TGID_Y_EN: 0
; COMPUTE_PGM_RSRC2:TGID_Z_EN: 0
; COMPUTE_PGM_RSRC2:TIDIG_COMP_CNT: 0
	.section	.text._ZN7rocprim17ROCPRIM_400000_NS6detail44device_merge_sort_compile_time_verifier_archINS1_11comp_targetILNS1_3genE9ELNS1_11target_archE1100ELNS1_3gpuE3ELNS1_3repE0EEES8_NS0_14default_configES9_NS1_37merge_sort_block_sort_config_selectorIjNS0_10empty_typeEEENS1_38merge_sort_block_merge_config_selectorIjSB_EEEEvv,"axG",@progbits,_ZN7rocprim17ROCPRIM_400000_NS6detail44device_merge_sort_compile_time_verifier_archINS1_11comp_targetILNS1_3genE9ELNS1_11target_archE1100ELNS1_3gpuE3ELNS1_3repE0EEES8_NS0_14default_configES9_NS1_37merge_sort_block_sort_config_selectorIjNS0_10empty_typeEEENS1_38merge_sort_block_merge_config_selectorIjSB_EEEEvv,comdat
	.protected	_ZN7rocprim17ROCPRIM_400000_NS6detail44device_merge_sort_compile_time_verifier_archINS1_11comp_targetILNS1_3genE9ELNS1_11target_archE1100ELNS1_3gpuE3ELNS1_3repE0EEES8_NS0_14default_configES9_NS1_37merge_sort_block_sort_config_selectorIjNS0_10empty_typeEEENS1_38merge_sort_block_merge_config_selectorIjSB_EEEEvv ; -- Begin function _ZN7rocprim17ROCPRIM_400000_NS6detail44device_merge_sort_compile_time_verifier_archINS1_11comp_targetILNS1_3genE9ELNS1_11target_archE1100ELNS1_3gpuE3ELNS1_3repE0EEES8_NS0_14default_configES9_NS1_37merge_sort_block_sort_config_selectorIjNS0_10empty_typeEEENS1_38merge_sort_block_merge_config_selectorIjSB_EEEEvv
	.globl	_ZN7rocprim17ROCPRIM_400000_NS6detail44device_merge_sort_compile_time_verifier_archINS1_11comp_targetILNS1_3genE9ELNS1_11target_archE1100ELNS1_3gpuE3ELNS1_3repE0EEES8_NS0_14default_configES9_NS1_37merge_sort_block_sort_config_selectorIjNS0_10empty_typeEEENS1_38merge_sort_block_merge_config_selectorIjSB_EEEEvv
	.p2align	8
	.type	_ZN7rocprim17ROCPRIM_400000_NS6detail44device_merge_sort_compile_time_verifier_archINS1_11comp_targetILNS1_3genE9ELNS1_11target_archE1100ELNS1_3gpuE3ELNS1_3repE0EEES8_NS0_14default_configES9_NS1_37merge_sort_block_sort_config_selectorIjNS0_10empty_typeEEENS1_38merge_sort_block_merge_config_selectorIjSB_EEEEvv,@function
_ZN7rocprim17ROCPRIM_400000_NS6detail44device_merge_sort_compile_time_verifier_archINS1_11comp_targetILNS1_3genE9ELNS1_11target_archE1100ELNS1_3gpuE3ELNS1_3repE0EEES8_NS0_14default_configES9_NS1_37merge_sort_block_sort_config_selectorIjNS0_10empty_typeEEENS1_38merge_sort_block_merge_config_selectorIjSB_EEEEvv: ; @_ZN7rocprim17ROCPRIM_400000_NS6detail44device_merge_sort_compile_time_verifier_archINS1_11comp_targetILNS1_3genE9ELNS1_11target_archE1100ELNS1_3gpuE3ELNS1_3repE0EEES8_NS0_14default_configES9_NS1_37merge_sort_block_sort_config_selectorIjNS0_10empty_typeEEENS1_38merge_sort_block_merge_config_selectorIjSB_EEEEvv
; %bb.0:
	s_endpgm
	.section	.rodata,"a",@progbits
	.p2align	6, 0x0
	.amdhsa_kernel _ZN7rocprim17ROCPRIM_400000_NS6detail44device_merge_sort_compile_time_verifier_archINS1_11comp_targetILNS1_3genE9ELNS1_11target_archE1100ELNS1_3gpuE3ELNS1_3repE0EEES8_NS0_14default_configES9_NS1_37merge_sort_block_sort_config_selectorIjNS0_10empty_typeEEENS1_38merge_sort_block_merge_config_selectorIjSB_EEEEvv
		.amdhsa_group_segment_fixed_size 0
		.amdhsa_private_segment_fixed_size 0
		.amdhsa_kernarg_size 0
		.amdhsa_user_sgpr_count 4
		.amdhsa_user_sgpr_private_segment_buffer 1
		.amdhsa_user_sgpr_dispatch_ptr 0
		.amdhsa_user_sgpr_queue_ptr 0
		.amdhsa_user_sgpr_kernarg_segment_ptr 0
		.amdhsa_user_sgpr_dispatch_id 0
		.amdhsa_user_sgpr_flat_scratch_init 0
		.amdhsa_user_sgpr_private_segment_size 0
		.amdhsa_wavefront_size32 1
		.amdhsa_uses_dynamic_stack 0
		.amdhsa_system_sgpr_private_segment_wavefront_offset 0
		.amdhsa_system_sgpr_workgroup_id_x 1
		.amdhsa_system_sgpr_workgroup_id_y 0
		.amdhsa_system_sgpr_workgroup_id_z 0
		.amdhsa_system_sgpr_workgroup_info 0
		.amdhsa_system_vgpr_workitem_id 0
		.amdhsa_next_free_vgpr 1
		.amdhsa_next_free_sgpr 1
		.amdhsa_reserve_vcc 0
		.amdhsa_reserve_flat_scratch 0
		.amdhsa_float_round_mode_32 0
		.amdhsa_float_round_mode_16_64 0
		.amdhsa_float_denorm_mode_32 3
		.amdhsa_float_denorm_mode_16_64 3
		.amdhsa_dx10_clamp 1
		.amdhsa_ieee_mode 1
		.amdhsa_fp16_overflow 0
		.amdhsa_workgroup_processor_mode 1
		.amdhsa_memory_ordered 1
		.amdhsa_forward_progress 1
		.amdhsa_shared_vgpr_count 0
		.amdhsa_exception_fp_ieee_invalid_op 0
		.amdhsa_exception_fp_denorm_src 0
		.amdhsa_exception_fp_ieee_div_zero 0
		.amdhsa_exception_fp_ieee_overflow 0
		.amdhsa_exception_fp_ieee_underflow 0
		.amdhsa_exception_fp_ieee_inexact 0
		.amdhsa_exception_int_div_zero 0
	.end_amdhsa_kernel
	.section	.text._ZN7rocprim17ROCPRIM_400000_NS6detail44device_merge_sort_compile_time_verifier_archINS1_11comp_targetILNS1_3genE9ELNS1_11target_archE1100ELNS1_3gpuE3ELNS1_3repE0EEES8_NS0_14default_configES9_NS1_37merge_sort_block_sort_config_selectorIjNS0_10empty_typeEEENS1_38merge_sort_block_merge_config_selectorIjSB_EEEEvv,"axG",@progbits,_ZN7rocprim17ROCPRIM_400000_NS6detail44device_merge_sort_compile_time_verifier_archINS1_11comp_targetILNS1_3genE9ELNS1_11target_archE1100ELNS1_3gpuE3ELNS1_3repE0EEES8_NS0_14default_configES9_NS1_37merge_sort_block_sort_config_selectorIjNS0_10empty_typeEEENS1_38merge_sort_block_merge_config_selectorIjSB_EEEEvv,comdat
.Lfunc_end136:
	.size	_ZN7rocprim17ROCPRIM_400000_NS6detail44device_merge_sort_compile_time_verifier_archINS1_11comp_targetILNS1_3genE9ELNS1_11target_archE1100ELNS1_3gpuE3ELNS1_3repE0EEES8_NS0_14default_configES9_NS1_37merge_sort_block_sort_config_selectorIjNS0_10empty_typeEEENS1_38merge_sort_block_merge_config_selectorIjSB_EEEEvv, .Lfunc_end136-_ZN7rocprim17ROCPRIM_400000_NS6detail44device_merge_sort_compile_time_verifier_archINS1_11comp_targetILNS1_3genE9ELNS1_11target_archE1100ELNS1_3gpuE3ELNS1_3repE0EEES8_NS0_14default_configES9_NS1_37merge_sort_block_sort_config_selectorIjNS0_10empty_typeEEENS1_38merge_sort_block_merge_config_selectorIjSB_EEEEvv
                                        ; -- End function
	.set _ZN7rocprim17ROCPRIM_400000_NS6detail44device_merge_sort_compile_time_verifier_archINS1_11comp_targetILNS1_3genE9ELNS1_11target_archE1100ELNS1_3gpuE3ELNS1_3repE0EEES8_NS0_14default_configES9_NS1_37merge_sort_block_sort_config_selectorIjNS0_10empty_typeEEENS1_38merge_sort_block_merge_config_selectorIjSB_EEEEvv.num_vgpr, 0
	.set _ZN7rocprim17ROCPRIM_400000_NS6detail44device_merge_sort_compile_time_verifier_archINS1_11comp_targetILNS1_3genE9ELNS1_11target_archE1100ELNS1_3gpuE3ELNS1_3repE0EEES8_NS0_14default_configES9_NS1_37merge_sort_block_sort_config_selectorIjNS0_10empty_typeEEENS1_38merge_sort_block_merge_config_selectorIjSB_EEEEvv.num_agpr, 0
	.set _ZN7rocprim17ROCPRIM_400000_NS6detail44device_merge_sort_compile_time_verifier_archINS1_11comp_targetILNS1_3genE9ELNS1_11target_archE1100ELNS1_3gpuE3ELNS1_3repE0EEES8_NS0_14default_configES9_NS1_37merge_sort_block_sort_config_selectorIjNS0_10empty_typeEEENS1_38merge_sort_block_merge_config_selectorIjSB_EEEEvv.numbered_sgpr, 0
	.set _ZN7rocprim17ROCPRIM_400000_NS6detail44device_merge_sort_compile_time_verifier_archINS1_11comp_targetILNS1_3genE9ELNS1_11target_archE1100ELNS1_3gpuE3ELNS1_3repE0EEES8_NS0_14default_configES9_NS1_37merge_sort_block_sort_config_selectorIjNS0_10empty_typeEEENS1_38merge_sort_block_merge_config_selectorIjSB_EEEEvv.num_named_barrier, 0
	.set _ZN7rocprim17ROCPRIM_400000_NS6detail44device_merge_sort_compile_time_verifier_archINS1_11comp_targetILNS1_3genE9ELNS1_11target_archE1100ELNS1_3gpuE3ELNS1_3repE0EEES8_NS0_14default_configES9_NS1_37merge_sort_block_sort_config_selectorIjNS0_10empty_typeEEENS1_38merge_sort_block_merge_config_selectorIjSB_EEEEvv.private_seg_size, 0
	.set _ZN7rocprim17ROCPRIM_400000_NS6detail44device_merge_sort_compile_time_verifier_archINS1_11comp_targetILNS1_3genE9ELNS1_11target_archE1100ELNS1_3gpuE3ELNS1_3repE0EEES8_NS0_14default_configES9_NS1_37merge_sort_block_sort_config_selectorIjNS0_10empty_typeEEENS1_38merge_sort_block_merge_config_selectorIjSB_EEEEvv.uses_vcc, 0
	.set _ZN7rocprim17ROCPRIM_400000_NS6detail44device_merge_sort_compile_time_verifier_archINS1_11comp_targetILNS1_3genE9ELNS1_11target_archE1100ELNS1_3gpuE3ELNS1_3repE0EEES8_NS0_14default_configES9_NS1_37merge_sort_block_sort_config_selectorIjNS0_10empty_typeEEENS1_38merge_sort_block_merge_config_selectorIjSB_EEEEvv.uses_flat_scratch, 0
	.set _ZN7rocprim17ROCPRIM_400000_NS6detail44device_merge_sort_compile_time_verifier_archINS1_11comp_targetILNS1_3genE9ELNS1_11target_archE1100ELNS1_3gpuE3ELNS1_3repE0EEES8_NS0_14default_configES9_NS1_37merge_sort_block_sort_config_selectorIjNS0_10empty_typeEEENS1_38merge_sort_block_merge_config_selectorIjSB_EEEEvv.has_dyn_sized_stack, 0
	.set _ZN7rocprim17ROCPRIM_400000_NS6detail44device_merge_sort_compile_time_verifier_archINS1_11comp_targetILNS1_3genE9ELNS1_11target_archE1100ELNS1_3gpuE3ELNS1_3repE0EEES8_NS0_14default_configES9_NS1_37merge_sort_block_sort_config_selectorIjNS0_10empty_typeEEENS1_38merge_sort_block_merge_config_selectorIjSB_EEEEvv.has_recursion, 0
	.set _ZN7rocprim17ROCPRIM_400000_NS6detail44device_merge_sort_compile_time_verifier_archINS1_11comp_targetILNS1_3genE9ELNS1_11target_archE1100ELNS1_3gpuE3ELNS1_3repE0EEES8_NS0_14default_configES9_NS1_37merge_sort_block_sort_config_selectorIjNS0_10empty_typeEEENS1_38merge_sort_block_merge_config_selectorIjSB_EEEEvv.has_indirect_call, 0
	.section	.AMDGPU.csdata,"",@progbits
; Kernel info:
; codeLenInByte = 4
; TotalNumSgprs: 0
; NumVgprs: 0
; ScratchSize: 0
; MemoryBound: 0
; FloatMode: 240
; IeeeMode: 1
; LDSByteSize: 0 bytes/workgroup (compile time only)
; SGPRBlocks: 0
; VGPRBlocks: 0
; NumSGPRsForWavesPerEU: 1
; NumVGPRsForWavesPerEU: 1
; Occupancy: 16
; WaveLimiterHint : 0
; COMPUTE_PGM_RSRC2:SCRATCH_EN: 0
; COMPUTE_PGM_RSRC2:USER_SGPR: 4
; COMPUTE_PGM_RSRC2:TRAP_HANDLER: 0
; COMPUTE_PGM_RSRC2:TGID_X_EN: 1
; COMPUTE_PGM_RSRC2:TGID_Y_EN: 0
; COMPUTE_PGM_RSRC2:TGID_Z_EN: 0
; COMPUTE_PGM_RSRC2:TIDIG_COMP_CNT: 0
	.section	.text._ZN7rocprim17ROCPRIM_400000_NS6detail44device_merge_sort_compile_time_verifier_archINS1_11comp_targetILNS1_3genE8ELNS1_11target_archE1030ELNS1_3gpuE2ELNS1_3repE0EEES8_NS0_14default_configES9_NS1_37merge_sort_block_sort_config_selectorIjNS0_10empty_typeEEENS1_38merge_sort_block_merge_config_selectorIjSB_EEEEvv,"axG",@progbits,_ZN7rocprim17ROCPRIM_400000_NS6detail44device_merge_sort_compile_time_verifier_archINS1_11comp_targetILNS1_3genE8ELNS1_11target_archE1030ELNS1_3gpuE2ELNS1_3repE0EEES8_NS0_14default_configES9_NS1_37merge_sort_block_sort_config_selectorIjNS0_10empty_typeEEENS1_38merge_sort_block_merge_config_selectorIjSB_EEEEvv,comdat
	.protected	_ZN7rocprim17ROCPRIM_400000_NS6detail44device_merge_sort_compile_time_verifier_archINS1_11comp_targetILNS1_3genE8ELNS1_11target_archE1030ELNS1_3gpuE2ELNS1_3repE0EEES8_NS0_14default_configES9_NS1_37merge_sort_block_sort_config_selectorIjNS0_10empty_typeEEENS1_38merge_sort_block_merge_config_selectorIjSB_EEEEvv ; -- Begin function _ZN7rocprim17ROCPRIM_400000_NS6detail44device_merge_sort_compile_time_verifier_archINS1_11comp_targetILNS1_3genE8ELNS1_11target_archE1030ELNS1_3gpuE2ELNS1_3repE0EEES8_NS0_14default_configES9_NS1_37merge_sort_block_sort_config_selectorIjNS0_10empty_typeEEENS1_38merge_sort_block_merge_config_selectorIjSB_EEEEvv
	.globl	_ZN7rocprim17ROCPRIM_400000_NS6detail44device_merge_sort_compile_time_verifier_archINS1_11comp_targetILNS1_3genE8ELNS1_11target_archE1030ELNS1_3gpuE2ELNS1_3repE0EEES8_NS0_14default_configES9_NS1_37merge_sort_block_sort_config_selectorIjNS0_10empty_typeEEENS1_38merge_sort_block_merge_config_selectorIjSB_EEEEvv
	.p2align	8
	.type	_ZN7rocprim17ROCPRIM_400000_NS6detail44device_merge_sort_compile_time_verifier_archINS1_11comp_targetILNS1_3genE8ELNS1_11target_archE1030ELNS1_3gpuE2ELNS1_3repE0EEES8_NS0_14default_configES9_NS1_37merge_sort_block_sort_config_selectorIjNS0_10empty_typeEEENS1_38merge_sort_block_merge_config_selectorIjSB_EEEEvv,@function
_ZN7rocprim17ROCPRIM_400000_NS6detail44device_merge_sort_compile_time_verifier_archINS1_11comp_targetILNS1_3genE8ELNS1_11target_archE1030ELNS1_3gpuE2ELNS1_3repE0EEES8_NS0_14default_configES9_NS1_37merge_sort_block_sort_config_selectorIjNS0_10empty_typeEEENS1_38merge_sort_block_merge_config_selectorIjSB_EEEEvv: ; @_ZN7rocprim17ROCPRIM_400000_NS6detail44device_merge_sort_compile_time_verifier_archINS1_11comp_targetILNS1_3genE8ELNS1_11target_archE1030ELNS1_3gpuE2ELNS1_3repE0EEES8_NS0_14default_configES9_NS1_37merge_sort_block_sort_config_selectorIjNS0_10empty_typeEEENS1_38merge_sort_block_merge_config_selectorIjSB_EEEEvv
; %bb.0:
	s_endpgm
	.section	.rodata,"a",@progbits
	.p2align	6, 0x0
	.amdhsa_kernel _ZN7rocprim17ROCPRIM_400000_NS6detail44device_merge_sort_compile_time_verifier_archINS1_11comp_targetILNS1_3genE8ELNS1_11target_archE1030ELNS1_3gpuE2ELNS1_3repE0EEES8_NS0_14default_configES9_NS1_37merge_sort_block_sort_config_selectorIjNS0_10empty_typeEEENS1_38merge_sort_block_merge_config_selectorIjSB_EEEEvv
		.amdhsa_group_segment_fixed_size 0
		.amdhsa_private_segment_fixed_size 0
		.amdhsa_kernarg_size 0
		.amdhsa_user_sgpr_count 4
		.amdhsa_user_sgpr_private_segment_buffer 1
		.amdhsa_user_sgpr_dispatch_ptr 0
		.amdhsa_user_sgpr_queue_ptr 0
		.amdhsa_user_sgpr_kernarg_segment_ptr 0
		.amdhsa_user_sgpr_dispatch_id 0
		.amdhsa_user_sgpr_flat_scratch_init 0
		.amdhsa_user_sgpr_private_segment_size 0
		.amdhsa_wavefront_size32 1
		.amdhsa_uses_dynamic_stack 0
		.amdhsa_system_sgpr_private_segment_wavefront_offset 0
		.amdhsa_system_sgpr_workgroup_id_x 1
		.amdhsa_system_sgpr_workgroup_id_y 0
		.amdhsa_system_sgpr_workgroup_id_z 0
		.amdhsa_system_sgpr_workgroup_info 0
		.amdhsa_system_vgpr_workitem_id 0
		.amdhsa_next_free_vgpr 1
		.amdhsa_next_free_sgpr 1
		.amdhsa_reserve_vcc 0
		.amdhsa_reserve_flat_scratch 0
		.amdhsa_float_round_mode_32 0
		.amdhsa_float_round_mode_16_64 0
		.amdhsa_float_denorm_mode_32 3
		.amdhsa_float_denorm_mode_16_64 3
		.amdhsa_dx10_clamp 1
		.amdhsa_ieee_mode 1
		.amdhsa_fp16_overflow 0
		.amdhsa_workgroup_processor_mode 1
		.amdhsa_memory_ordered 1
		.amdhsa_forward_progress 1
		.amdhsa_shared_vgpr_count 0
		.amdhsa_exception_fp_ieee_invalid_op 0
		.amdhsa_exception_fp_denorm_src 0
		.amdhsa_exception_fp_ieee_div_zero 0
		.amdhsa_exception_fp_ieee_overflow 0
		.amdhsa_exception_fp_ieee_underflow 0
		.amdhsa_exception_fp_ieee_inexact 0
		.amdhsa_exception_int_div_zero 0
	.end_amdhsa_kernel
	.section	.text._ZN7rocprim17ROCPRIM_400000_NS6detail44device_merge_sort_compile_time_verifier_archINS1_11comp_targetILNS1_3genE8ELNS1_11target_archE1030ELNS1_3gpuE2ELNS1_3repE0EEES8_NS0_14default_configES9_NS1_37merge_sort_block_sort_config_selectorIjNS0_10empty_typeEEENS1_38merge_sort_block_merge_config_selectorIjSB_EEEEvv,"axG",@progbits,_ZN7rocprim17ROCPRIM_400000_NS6detail44device_merge_sort_compile_time_verifier_archINS1_11comp_targetILNS1_3genE8ELNS1_11target_archE1030ELNS1_3gpuE2ELNS1_3repE0EEES8_NS0_14default_configES9_NS1_37merge_sort_block_sort_config_selectorIjNS0_10empty_typeEEENS1_38merge_sort_block_merge_config_selectorIjSB_EEEEvv,comdat
.Lfunc_end137:
	.size	_ZN7rocprim17ROCPRIM_400000_NS6detail44device_merge_sort_compile_time_verifier_archINS1_11comp_targetILNS1_3genE8ELNS1_11target_archE1030ELNS1_3gpuE2ELNS1_3repE0EEES8_NS0_14default_configES9_NS1_37merge_sort_block_sort_config_selectorIjNS0_10empty_typeEEENS1_38merge_sort_block_merge_config_selectorIjSB_EEEEvv, .Lfunc_end137-_ZN7rocprim17ROCPRIM_400000_NS6detail44device_merge_sort_compile_time_verifier_archINS1_11comp_targetILNS1_3genE8ELNS1_11target_archE1030ELNS1_3gpuE2ELNS1_3repE0EEES8_NS0_14default_configES9_NS1_37merge_sort_block_sort_config_selectorIjNS0_10empty_typeEEENS1_38merge_sort_block_merge_config_selectorIjSB_EEEEvv
                                        ; -- End function
	.set _ZN7rocprim17ROCPRIM_400000_NS6detail44device_merge_sort_compile_time_verifier_archINS1_11comp_targetILNS1_3genE8ELNS1_11target_archE1030ELNS1_3gpuE2ELNS1_3repE0EEES8_NS0_14default_configES9_NS1_37merge_sort_block_sort_config_selectorIjNS0_10empty_typeEEENS1_38merge_sort_block_merge_config_selectorIjSB_EEEEvv.num_vgpr, 0
	.set _ZN7rocprim17ROCPRIM_400000_NS6detail44device_merge_sort_compile_time_verifier_archINS1_11comp_targetILNS1_3genE8ELNS1_11target_archE1030ELNS1_3gpuE2ELNS1_3repE0EEES8_NS0_14default_configES9_NS1_37merge_sort_block_sort_config_selectorIjNS0_10empty_typeEEENS1_38merge_sort_block_merge_config_selectorIjSB_EEEEvv.num_agpr, 0
	.set _ZN7rocprim17ROCPRIM_400000_NS6detail44device_merge_sort_compile_time_verifier_archINS1_11comp_targetILNS1_3genE8ELNS1_11target_archE1030ELNS1_3gpuE2ELNS1_3repE0EEES8_NS0_14default_configES9_NS1_37merge_sort_block_sort_config_selectorIjNS0_10empty_typeEEENS1_38merge_sort_block_merge_config_selectorIjSB_EEEEvv.numbered_sgpr, 0
	.set _ZN7rocprim17ROCPRIM_400000_NS6detail44device_merge_sort_compile_time_verifier_archINS1_11comp_targetILNS1_3genE8ELNS1_11target_archE1030ELNS1_3gpuE2ELNS1_3repE0EEES8_NS0_14default_configES9_NS1_37merge_sort_block_sort_config_selectorIjNS0_10empty_typeEEENS1_38merge_sort_block_merge_config_selectorIjSB_EEEEvv.num_named_barrier, 0
	.set _ZN7rocprim17ROCPRIM_400000_NS6detail44device_merge_sort_compile_time_verifier_archINS1_11comp_targetILNS1_3genE8ELNS1_11target_archE1030ELNS1_3gpuE2ELNS1_3repE0EEES8_NS0_14default_configES9_NS1_37merge_sort_block_sort_config_selectorIjNS0_10empty_typeEEENS1_38merge_sort_block_merge_config_selectorIjSB_EEEEvv.private_seg_size, 0
	.set _ZN7rocprim17ROCPRIM_400000_NS6detail44device_merge_sort_compile_time_verifier_archINS1_11comp_targetILNS1_3genE8ELNS1_11target_archE1030ELNS1_3gpuE2ELNS1_3repE0EEES8_NS0_14default_configES9_NS1_37merge_sort_block_sort_config_selectorIjNS0_10empty_typeEEENS1_38merge_sort_block_merge_config_selectorIjSB_EEEEvv.uses_vcc, 0
	.set _ZN7rocprim17ROCPRIM_400000_NS6detail44device_merge_sort_compile_time_verifier_archINS1_11comp_targetILNS1_3genE8ELNS1_11target_archE1030ELNS1_3gpuE2ELNS1_3repE0EEES8_NS0_14default_configES9_NS1_37merge_sort_block_sort_config_selectorIjNS0_10empty_typeEEENS1_38merge_sort_block_merge_config_selectorIjSB_EEEEvv.uses_flat_scratch, 0
	.set _ZN7rocprim17ROCPRIM_400000_NS6detail44device_merge_sort_compile_time_verifier_archINS1_11comp_targetILNS1_3genE8ELNS1_11target_archE1030ELNS1_3gpuE2ELNS1_3repE0EEES8_NS0_14default_configES9_NS1_37merge_sort_block_sort_config_selectorIjNS0_10empty_typeEEENS1_38merge_sort_block_merge_config_selectorIjSB_EEEEvv.has_dyn_sized_stack, 0
	.set _ZN7rocprim17ROCPRIM_400000_NS6detail44device_merge_sort_compile_time_verifier_archINS1_11comp_targetILNS1_3genE8ELNS1_11target_archE1030ELNS1_3gpuE2ELNS1_3repE0EEES8_NS0_14default_configES9_NS1_37merge_sort_block_sort_config_selectorIjNS0_10empty_typeEEENS1_38merge_sort_block_merge_config_selectorIjSB_EEEEvv.has_recursion, 0
	.set _ZN7rocprim17ROCPRIM_400000_NS6detail44device_merge_sort_compile_time_verifier_archINS1_11comp_targetILNS1_3genE8ELNS1_11target_archE1030ELNS1_3gpuE2ELNS1_3repE0EEES8_NS0_14default_configES9_NS1_37merge_sort_block_sort_config_selectorIjNS0_10empty_typeEEENS1_38merge_sort_block_merge_config_selectorIjSB_EEEEvv.has_indirect_call, 0
	.section	.AMDGPU.csdata,"",@progbits
; Kernel info:
; codeLenInByte = 4
; TotalNumSgprs: 0
; NumVgprs: 0
; ScratchSize: 0
; MemoryBound: 0
; FloatMode: 240
; IeeeMode: 1
; LDSByteSize: 0 bytes/workgroup (compile time only)
; SGPRBlocks: 0
; VGPRBlocks: 0
; NumSGPRsForWavesPerEU: 1
; NumVGPRsForWavesPerEU: 1
; Occupancy: 16
; WaveLimiterHint : 0
; COMPUTE_PGM_RSRC2:SCRATCH_EN: 0
; COMPUTE_PGM_RSRC2:USER_SGPR: 4
; COMPUTE_PGM_RSRC2:TRAP_HANDLER: 0
; COMPUTE_PGM_RSRC2:TGID_X_EN: 1
; COMPUTE_PGM_RSRC2:TGID_Y_EN: 0
; COMPUTE_PGM_RSRC2:TGID_Z_EN: 0
; COMPUTE_PGM_RSRC2:TIDIG_COMP_CNT: 0
	.section	.text._ZN7rocprim17ROCPRIM_400000_NS6detail17trampoline_kernelINS0_14default_configENS1_37merge_sort_block_sort_config_selectorIjNS0_10empty_typeEEEZNS1_21merge_sort_block_sortIS3_N6thrust23THRUST_200600_302600_NS6detail15normal_iteratorINS9_10device_ptrIjEEEESE_PS5_SF_11less_div_10IjEEE10hipError_tT0_T1_T2_T3_mRjT4_P12ihipStream_tbNS1_7vsmem_tEEUlT_E_NS1_11comp_targetILNS1_3genE0ELNS1_11target_archE4294967295ELNS1_3gpuE0ELNS1_3repE0EEENS1_30default_config_static_selectorELNS0_4arch9wavefront6targetE0EEEvSK_,"axG",@progbits,_ZN7rocprim17ROCPRIM_400000_NS6detail17trampoline_kernelINS0_14default_configENS1_37merge_sort_block_sort_config_selectorIjNS0_10empty_typeEEEZNS1_21merge_sort_block_sortIS3_N6thrust23THRUST_200600_302600_NS6detail15normal_iteratorINS9_10device_ptrIjEEEESE_PS5_SF_11less_div_10IjEEE10hipError_tT0_T1_T2_T3_mRjT4_P12ihipStream_tbNS1_7vsmem_tEEUlT_E_NS1_11comp_targetILNS1_3genE0ELNS1_11target_archE4294967295ELNS1_3gpuE0ELNS1_3repE0EEENS1_30default_config_static_selectorELNS0_4arch9wavefront6targetE0EEEvSK_,comdat
	.protected	_ZN7rocprim17ROCPRIM_400000_NS6detail17trampoline_kernelINS0_14default_configENS1_37merge_sort_block_sort_config_selectorIjNS0_10empty_typeEEEZNS1_21merge_sort_block_sortIS3_N6thrust23THRUST_200600_302600_NS6detail15normal_iteratorINS9_10device_ptrIjEEEESE_PS5_SF_11less_div_10IjEEE10hipError_tT0_T1_T2_T3_mRjT4_P12ihipStream_tbNS1_7vsmem_tEEUlT_E_NS1_11comp_targetILNS1_3genE0ELNS1_11target_archE4294967295ELNS1_3gpuE0ELNS1_3repE0EEENS1_30default_config_static_selectorELNS0_4arch9wavefront6targetE0EEEvSK_ ; -- Begin function _ZN7rocprim17ROCPRIM_400000_NS6detail17trampoline_kernelINS0_14default_configENS1_37merge_sort_block_sort_config_selectorIjNS0_10empty_typeEEEZNS1_21merge_sort_block_sortIS3_N6thrust23THRUST_200600_302600_NS6detail15normal_iteratorINS9_10device_ptrIjEEEESE_PS5_SF_11less_div_10IjEEE10hipError_tT0_T1_T2_T3_mRjT4_P12ihipStream_tbNS1_7vsmem_tEEUlT_E_NS1_11comp_targetILNS1_3genE0ELNS1_11target_archE4294967295ELNS1_3gpuE0ELNS1_3repE0EEENS1_30default_config_static_selectorELNS0_4arch9wavefront6targetE0EEEvSK_
	.globl	_ZN7rocprim17ROCPRIM_400000_NS6detail17trampoline_kernelINS0_14default_configENS1_37merge_sort_block_sort_config_selectorIjNS0_10empty_typeEEEZNS1_21merge_sort_block_sortIS3_N6thrust23THRUST_200600_302600_NS6detail15normal_iteratorINS9_10device_ptrIjEEEESE_PS5_SF_11less_div_10IjEEE10hipError_tT0_T1_T2_T3_mRjT4_P12ihipStream_tbNS1_7vsmem_tEEUlT_E_NS1_11comp_targetILNS1_3genE0ELNS1_11target_archE4294967295ELNS1_3gpuE0ELNS1_3repE0EEENS1_30default_config_static_selectorELNS0_4arch9wavefront6targetE0EEEvSK_
	.p2align	8
	.type	_ZN7rocprim17ROCPRIM_400000_NS6detail17trampoline_kernelINS0_14default_configENS1_37merge_sort_block_sort_config_selectorIjNS0_10empty_typeEEEZNS1_21merge_sort_block_sortIS3_N6thrust23THRUST_200600_302600_NS6detail15normal_iteratorINS9_10device_ptrIjEEEESE_PS5_SF_11less_div_10IjEEE10hipError_tT0_T1_T2_T3_mRjT4_P12ihipStream_tbNS1_7vsmem_tEEUlT_E_NS1_11comp_targetILNS1_3genE0ELNS1_11target_archE4294967295ELNS1_3gpuE0ELNS1_3repE0EEENS1_30default_config_static_selectorELNS0_4arch9wavefront6targetE0EEEvSK_,@function
_ZN7rocprim17ROCPRIM_400000_NS6detail17trampoline_kernelINS0_14default_configENS1_37merge_sort_block_sort_config_selectorIjNS0_10empty_typeEEEZNS1_21merge_sort_block_sortIS3_N6thrust23THRUST_200600_302600_NS6detail15normal_iteratorINS9_10device_ptrIjEEEESE_PS5_SF_11less_div_10IjEEE10hipError_tT0_T1_T2_T3_mRjT4_P12ihipStream_tbNS1_7vsmem_tEEUlT_E_NS1_11comp_targetILNS1_3genE0ELNS1_11target_archE4294967295ELNS1_3gpuE0ELNS1_3repE0EEENS1_30default_config_static_selectorELNS0_4arch9wavefront6targetE0EEEvSK_: ; @_ZN7rocprim17ROCPRIM_400000_NS6detail17trampoline_kernelINS0_14default_configENS1_37merge_sort_block_sort_config_selectorIjNS0_10empty_typeEEEZNS1_21merge_sort_block_sortIS3_N6thrust23THRUST_200600_302600_NS6detail15normal_iteratorINS9_10device_ptrIjEEEESE_PS5_SF_11less_div_10IjEEE10hipError_tT0_T1_T2_T3_mRjT4_P12ihipStream_tbNS1_7vsmem_tEEUlT_E_NS1_11comp_targetILNS1_3genE0ELNS1_11target_archE4294967295ELNS1_3gpuE0ELNS1_3repE0EEENS1_30default_config_static_selectorELNS0_4arch9wavefront6targetE0EEEvSK_
; %bb.0:
	.section	.rodata,"a",@progbits
	.p2align	6, 0x0
	.amdhsa_kernel _ZN7rocprim17ROCPRIM_400000_NS6detail17trampoline_kernelINS0_14default_configENS1_37merge_sort_block_sort_config_selectorIjNS0_10empty_typeEEEZNS1_21merge_sort_block_sortIS3_N6thrust23THRUST_200600_302600_NS6detail15normal_iteratorINS9_10device_ptrIjEEEESE_PS5_SF_11less_div_10IjEEE10hipError_tT0_T1_T2_T3_mRjT4_P12ihipStream_tbNS1_7vsmem_tEEUlT_E_NS1_11comp_targetILNS1_3genE0ELNS1_11target_archE4294967295ELNS1_3gpuE0ELNS1_3repE0EEENS1_30default_config_static_selectorELNS0_4arch9wavefront6targetE0EEEvSK_
		.amdhsa_group_segment_fixed_size 0
		.amdhsa_private_segment_fixed_size 0
		.amdhsa_kernarg_size 64
		.amdhsa_user_sgpr_count 6
		.amdhsa_user_sgpr_private_segment_buffer 1
		.amdhsa_user_sgpr_dispatch_ptr 0
		.amdhsa_user_sgpr_queue_ptr 0
		.amdhsa_user_sgpr_kernarg_segment_ptr 1
		.amdhsa_user_sgpr_dispatch_id 0
		.amdhsa_user_sgpr_flat_scratch_init 0
		.amdhsa_user_sgpr_private_segment_size 0
		.amdhsa_wavefront_size32 1
		.amdhsa_uses_dynamic_stack 0
		.amdhsa_system_sgpr_private_segment_wavefront_offset 0
		.amdhsa_system_sgpr_workgroup_id_x 1
		.amdhsa_system_sgpr_workgroup_id_y 0
		.amdhsa_system_sgpr_workgroup_id_z 0
		.amdhsa_system_sgpr_workgroup_info 0
		.amdhsa_system_vgpr_workitem_id 0
		.amdhsa_next_free_vgpr 1
		.amdhsa_next_free_sgpr 1
		.amdhsa_reserve_vcc 0
		.amdhsa_reserve_flat_scratch 0
		.amdhsa_float_round_mode_32 0
		.amdhsa_float_round_mode_16_64 0
		.amdhsa_float_denorm_mode_32 3
		.amdhsa_float_denorm_mode_16_64 3
		.amdhsa_dx10_clamp 1
		.amdhsa_ieee_mode 1
		.amdhsa_fp16_overflow 0
		.amdhsa_workgroup_processor_mode 1
		.amdhsa_memory_ordered 1
		.amdhsa_forward_progress 1
		.amdhsa_shared_vgpr_count 0
		.amdhsa_exception_fp_ieee_invalid_op 0
		.amdhsa_exception_fp_denorm_src 0
		.amdhsa_exception_fp_ieee_div_zero 0
		.amdhsa_exception_fp_ieee_overflow 0
		.amdhsa_exception_fp_ieee_underflow 0
		.amdhsa_exception_fp_ieee_inexact 0
		.amdhsa_exception_int_div_zero 0
	.end_amdhsa_kernel
	.section	.text._ZN7rocprim17ROCPRIM_400000_NS6detail17trampoline_kernelINS0_14default_configENS1_37merge_sort_block_sort_config_selectorIjNS0_10empty_typeEEEZNS1_21merge_sort_block_sortIS3_N6thrust23THRUST_200600_302600_NS6detail15normal_iteratorINS9_10device_ptrIjEEEESE_PS5_SF_11less_div_10IjEEE10hipError_tT0_T1_T2_T3_mRjT4_P12ihipStream_tbNS1_7vsmem_tEEUlT_E_NS1_11comp_targetILNS1_3genE0ELNS1_11target_archE4294967295ELNS1_3gpuE0ELNS1_3repE0EEENS1_30default_config_static_selectorELNS0_4arch9wavefront6targetE0EEEvSK_,"axG",@progbits,_ZN7rocprim17ROCPRIM_400000_NS6detail17trampoline_kernelINS0_14default_configENS1_37merge_sort_block_sort_config_selectorIjNS0_10empty_typeEEEZNS1_21merge_sort_block_sortIS3_N6thrust23THRUST_200600_302600_NS6detail15normal_iteratorINS9_10device_ptrIjEEEESE_PS5_SF_11less_div_10IjEEE10hipError_tT0_T1_T2_T3_mRjT4_P12ihipStream_tbNS1_7vsmem_tEEUlT_E_NS1_11comp_targetILNS1_3genE0ELNS1_11target_archE4294967295ELNS1_3gpuE0ELNS1_3repE0EEENS1_30default_config_static_selectorELNS0_4arch9wavefront6targetE0EEEvSK_,comdat
.Lfunc_end138:
	.size	_ZN7rocprim17ROCPRIM_400000_NS6detail17trampoline_kernelINS0_14default_configENS1_37merge_sort_block_sort_config_selectorIjNS0_10empty_typeEEEZNS1_21merge_sort_block_sortIS3_N6thrust23THRUST_200600_302600_NS6detail15normal_iteratorINS9_10device_ptrIjEEEESE_PS5_SF_11less_div_10IjEEE10hipError_tT0_T1_T2_T3_mRjT4_P12ihipStream_tbNS1_7vsmem_tEEUlT_E_NS1_11comp_targetILNS1_3genE0ELNS1_11target_archE4294967295ELNS1_3gpuE0ELNS1_3repE0EEENS1_30default_config_static_selectorELNS0_4arch9wavefront6targetE0EEEvSK_, .Lfunc_end138-_ZN7rocprim17ROCPRIM_400000_NS6detail17trampoline_kernelINS0_14default_configENS1_37merge_sort_block_sort_config_selectorIjNS0_10empty_typeEEEZNS1_21merge_sort_block_sortIS3_N6thrust23THRUST_200600_302600_NS6detail15normal_iteratorINS9_10device_ptrIjEEEESE_PS5_SF_11less_div_10IjEEE10hipError_tT0_T1_T2_T3_mRjT4_P12ihipStream_tbNS1_7vsmem_tEEUlT_E_NS1_11comp_targetILNS1_3genE0ELNS1_11target_archE4294967295ELNS1_3gpuE0ELNS1_3repE0EEENS1_30default_config_static_selectorELNS0_4arch9wavefront6targetE0EEEvSK_
                                        ; -- End function
	.set _ZN7rocprim17ROCPRIM_400000_NS6detail17trampoline_kernelINS0_14default_configENS1_37merge_sort_block_sort_config_selectorIjNS0_10empty_typeEEEZNS1_21merge_sort_block_sortIS3_N6thrust23THRUST_200600_302600_NS6detail15normal_iteratorINS9_10device_ptrIjEEEESE_PS5_SF_11less_div_10IjEEE10hipError_tT0_T1_T2_T3_mRjT4_P12ihipStream_tbNS1_7vsmem_tEEUlT_E_NS1_11comp_targetILNS1_3genE0ELNS1_11target_archE4294967295ELNS1_3gpuE0ELNS1_3repE0EEENS1_30default_config_static_selectorELNS0_4arch9wavefront6targetE0EEEvSK_.num_vgpr, 0
	.set _ZN7rocprim17ROCPRIM_400000_NS6detail17trampoline_kernelINS0_14default_configENS1_37merge_sort_block_sort_config_selectorIjNS0_10empty_typeEEEZNS1_21merge_sort_block_sortIS3_N6thrust23THRUST_200600_302600_NS6detail15normal_iteratorINS9_10device_ptrIjEEEESE_PS5_SF_11less_div_10IjEEE10hipError_tT0_T1_T2_T3_mRjT4_P12ihipStream_tbNS1_7vsmem_tEEUlT_E_NS1_11comp_targetILNS1_3genE0ELNS1_11target_archE4294967295ELNS1_3gpuE0ELNS1_3repE0EEENS1_30default_config_static_selectorELNS0_4arch9wavefront6targetE0EEEvSK_.num_agpr, 0
	.set _ZN7rocprim17ROCPRIM_400000_NS6detail17trampoline_kernelINS0_14default_configENS1_37merge_sort_block_sort_config_selectorIjNS0_10empty_typeEEEZNS1_21merge_sort_block_sortIS3_N6thrust23THRUST_200600_302600_NS6detail15normal_iteratorINS9_10device_ptrIjEEEESE_PS5_SF_11less_div_10IjEEE10hipError_tT0_T1_T2_T3_mRjT4_P12ihipStream_tbNS1_7vsmem_tEEUlT_E_NS1_11comp_targetILNS1_3genE0ELNS1_11target_archE4294967295ELNS1_3gpuE0ELNS1_3repE0EEENS1_30default_config_static_selectorELNS0_4arch9wavefront6targetE0EEEvSK_.numbered_sgpr, 0
	.set _ZN7rocprim17ROCPRIM_400000_NS6detail17trampoline_kernelINS0_14default_configENS1_37merge_sort_block_sort_config_selectorIjNS0_10empty_typeEEEZNS1_21merge_sort_block_sortIS3_N6thrust23THRUST_200600_302600_NS6detail15normal_iteratorINS9_10device_ptrIjEEEESE_PS5_SF_11less_div_10IjEEE10hipError_tT0_T1_T2_T3_mRjT4_P12ihipStream_tbNS1_7vsmem_tEEUlT_E_NS1_11comp_targetILNS1_3genE0ELNS1_11target_archE4294967295ELNS1_3gpuE0ELNS1_3repE0EEENS1_30default_config_static_selectorELNS0_4arch9wavefront6targetE0EEEvSK_.num_named_barrier, 0
	.set _ZN7rocprim17ROCPRIM_400000_NS6detail17trampoline_kernelINS0_14default_configENS1_37merge_sort_block_sort_config_selectorIjNS0_10empty_typeEEEZNS1_21merge_sort_block_sortIS3_N6thrust23THRUST_200600_302600_NS6detail15normal_iteratorINS9_10device_ptrIjEEEESE_PS5_SF_11less_div_10IjEEE10hipError_tT0_T1_T2_T3_mRjT4_P12ihipStream_tbNS1_7vsmem_tEEUlT_E_NS1_11comp_targetILNS1_3genE0ELNS1_11target_archE4294967295ELNS1_3gpuE0ELNS1_3repE0EEENS1_30default_config_static_selectorELNS0_4arch9wavefront6targetE0EEEvSK_.private_seg_size, 0
	.set _ZN7rocprim17ROCPRIM_400000_NS6detail17trampoline_kernelINS0_14default_configENS1_37merge_sort_block_sort_config_selectorIjNS0_10empty_typeEEEZNS1_21merge_sort_block_sortIS3_N6thrust23THRUST_200600_302600_NS6detail15normal_iteratorINS9_10device_ptrIjEEEESE_PS5_SF_11less_div_10IjEEE10hipError_tT0_T1_T2_T3_mRjT4_P12ihipStream_tbNS1_7vsmem_tEEUlT_E_NS1_11comp_targetILNS1_3genE0ELNS1_11target_archE4294967295ELNS1_3gpuE0ELNS1_3repE0EEENS1_30default_config_static_selectorELNS0_4arch9wavefront6targetE0EEEvSK_.uses_vcc, 0
	.set _ZN7rocprim17ROCPRIM_400000_NS6detail17trampoline_kernelINS0_14default_configENS1_37merge_sort_block_sort_config_selectorIjNS0_10empty_typeEEEZNS1_21merge_sort_block_sortIS3_N6thrust23THRUST_200600_302600_NS6detail15normal_iteratorINS9_10device_ptrIjEEEESE_PS5_SF_11less_div_10IjEEE10hipError_tT0_T1_T2_T3_mRjT4_P12ihipStream_tbNS1_7vsmem_tEEUlT_E_NS1_11comp_targetILNS1_3genE0ELNS1_11target_archE4294967295ELNS1_3gpuE0ELNS1_3repE0EEENS1_30default_config_static_selectorELNS0_4arch9wavefront6targetE0EEEvSK_.uses_flat_scratch, 0
	.set _ZN7rocprim17ROCPRIM_400000_NS6detail17trampoline_kernelINS0_14default_configENS1_37merge_sort_block_sort_config_selectorIjNS0_10empty_typeEEEZNS1_21merge_sort_block_sortIS3_N6thrust23THRUST_200600_302600_NS6detail15normal_iteratorINS9_10device_ptrIjEEEESE_PS5_SF_11less_div_10IjEEE10hipError_tT0_T1_T2_T3_mRjT4_P12ihipStream_tbNS1_7vsmem_tEEUlT_E_NS1_11comp_targetILNS1_3genE0ELNS1_11target_archE4294967295ELNS1_3gpuE0ELNS1_3repE0EEENS1_30default_config_static_selectorELNS0_4arch9wavefront6targetE0EEEvSK_.has_dyn_sized_stack, 0
	.set _ZN7rocprim17ROCPRIM_400000_NS6detail17trampoline_kernelINS0_14default_configENS1_37merge_sort_block_sort_config_selectorIjNS0_10empty_typeEEEZNS1_21merge_sort_block_sortIS3_N6thrust23THRUST_200600_302600_NS6detail15normal_iteratorINS9_10device_ptrIjEEEESE_PS5_SF_11less_div_10IjEEE10hipError_tT0_T1_T2_T3_mRjT4_P12ihipStream_tbNS1_7vsmem_tEEUlT_E_NS1_11comp_targetILNS1_3genE0ELNS1_11target_archE4294967295ELNS1_3gpuE0ELNS1_3repE0EEENS1_30default_config_static_selectorELNS0_4arch9wavefront6targetE0EEEvSK_.has_recursion, 0
	.set _ZN7rocprim17ROCPRIM_400000_NS6detail17trampoline_kernelINS0_14default_configENS1_37merge_sort_block_sort_config_selectorIjNS0_10empty_typeEEEZNS1_21merge_sort_block_sortIS3_N6thrust23THRUST_200600_302600_NS6detail15normal_iteratorINS9_10device_ptrIjEEEESE_PS5_SF_11less_div_10IjEEE10hipError_tT0_T1_T2_T3_mRjT4_P12ihipStream_tbNS1_7vsmem_tEEUlT_E_NS1_11comp_targetILNS1_3genE0ELNS1_11target_archE4294967295ELNS1_3gpuE0ELNS1_3repE0EEENS1_30default_config_static_selectorELNS0_4arch9wavefront6targetE0EEEvSK_.has_indirect_call, 0
	.section	.AMDGPU.csdata,"",@progbits
; Kernel info:
; codeLenInByte = 0
; TotalNumSgprs: 0
; NumVgprs: 0
; ScratchSize: 0
; MemoryBound: 0
; FloatMode: 240
; IeeeMode: 1
; LDSByteSize: 0 bytes/workgroup (compile time only)
; SGPRBlocks: 0
; VGPRBlocks: 0
; NumSGPRsForWavesPerEU: 1
; NumVGPRsForWavesPerEU: 1
; Occupancy: 16
; WaveLimiterHint : 0
; COMPUTE_PGM_RSRC2:SCRATCH_EN: 0
; COMPUTE_PGM_RSRC2:USER_SGPR: 6
; COMPUTE_PGM_RSRC2:TRAP_HANDLER: 0
; COMPUTE_PGM_RSRC2:TGID_X_EN: 1
; COMPUTE_PGM_RSRC2:TGID_Y_EN: 0
; COMPUTE_PGM_RSRC2:TGID_Z_EN: 0
; COMPUTE_PGM_RSRC2:TIDIG_COMP_CNT: 0
	.section	.text._ZN7rocprim17ROCPRIM_400000_NS6detail17trampoline_kernelINS0_14default_configENS1_37merge_sort_block_sort_config_selectorIjNS0_10empty_typeEEEZNS1_21merge_sort_block_sortIS3_N6thrust23THRUST_200600_302600_NS6detail15normal_iteratorINS9_10device_ptrIjEEEESE_PS5_SF_11less_div_10IjEEE10hipError_tT0_T1_T2_T3_mRjT4_P12ihipStream_tbNS1_7vsmem_tEEUlT_E_NS1_11comp_targetILNS1_3genE5ELNS1_11target_archE942ELNS1_3gpuE9ELNS1_3repE0EEENS1_30default_config_static_selectorELNS0_4arch9wavefront6targetE0EEEvSK_,"axG",@progbits,_ZN7rocprim17ROCPRIM_400000_NS6detail17trampoline_kernelINS0_14default_configENS1_37merge_sort_block_sort_config_selectorIjNS0_10empty_typeEEEZNS1_21merge_sort_block_sortIS3_N6thrust23THRUST_200600_302600_NS6detail15normal_iteratorINS9_10device_ptrIjEEEESE_PS5_SF_11less_div_10IjEEE10hipError_tT0_T1_T2_T3_mRjT4_P12ihipStream_tbNS1_7vsmem_tEEUlT_E_NS1_11comp_targetILNS1_3genE5ELNS1_11target_archE942ELNS1_3gpuE9ELNS1_3repE0EEENS1_30default_config_static_selectorELNS0_4arch9wavefront6targetE0EEEvSK_,comdat
	.protected	_ZN7rocprim17ROCPRIM_400000_NS6detail17trampoline_kernelINS0_14default_configENS1_37merge_sort_block_sort_config_selectorIjNS0_10empty_typeEEEZNS1_21merge_sort_block_sortIS3_N6thrust23THRUST_200600_302600_NS6detail15normal_iteratorINS9_10device_ptrIjEEEESE_PS5_SF_11less_div_10IjEEE10hipError_tT0_T1_T2_T3_mRjT4_P12ihipStream_tbNS1_7vsmem_tEEUlT_E_NS1_11comp_targetILNS1_3genE5ELNS1_11target_archE942ELNS1_3gpuE9ELNS1_3repE0EEENS1_30default_config_static_selectorELNS0_4arch9wavefront6targetE0EEEvSK_ ; -- Begin function _ZN7rocprim17ROCPRIM_400000_NS6detail17trampoline_kernelINS0_14default_configENS1_37merge_sort_block_sort_config_selectorIjNS0_10empty_typeEEEZNS1_21merge_sort_block_sortIS3_N6thrust23THRUST_200600_302600_NS6detail15normal_iteratorINS9_10device_ptrIjEEEESE_PS5_SF_11less_div_10IjEEE10hipError_tT0_T1_T2_T3_mRjT4_P12ihipStream_tbNS1_7vsmem_tEEUlT_E_NS1_11comp_targetILNS1_3genE5ELNS1_11target_archE942ELNS1_3gpuE9ELNS1_3repE0EEENS1_30default_config_static_selectorELNS0_4arch9wavefront6targetE0EEEvSK_
	.globl	_ZN7rocprim17ROCPRIM_400000_NS6detail17trampoline_kernelINS0_14default_configENS1_37merge_sort_block_sort_config_selectorIjNS0_10empty_typeEEEZNS1_21merge_sort_block_sortIS3_N6thrust23THRUST_200600_302600_NS6detail15normal_iteratorINS9_10device_ptrIjEEEESE_PS5_SF_11less_div_10IjEEE10hipError_tT0_T1_T2_T3_mRjT4_P12ihipStream_tbNS1_7vsmem_tEEUlT_E_NS1_11comp_targetILNS1_3genE5ELNS1_11target_archE942ELNS1_3gpuE9ELNS1_3repE0EEENS1_30default_config_static_selectorELNS0_4arch9wavefront6targetE0EEEvSK_
	.p2align	8
	.type	_ZN7rocprim17ROCPRIM_400000_NS6detail17trampoline_kernelINS0_14default_configENS1_37merge_sort_block_sort_config_selectorIjNS0_10empty_typeEEEZNS1_21merge_sort_block_sortIS3_N6thrust23THRUST_200600_302600_NS6detail15normal_iteratorINS9_10device_ptrIjEEEESE_PS5_SF_11less_div_10IjEEE10hipError_tT0_T1_T2_T3_mRjT4_P12ihipStream_tbNS1_7vsmem_tEEUlT_E_NS1_11comp_targetILNS1_3genE5ELNS1_11target_archE942ELNS1_3gpuE9ELNS1_3repE0EEENS1_30default_config_static_selectorELNS0_4arch9wavefront6targetE0EEEvSK_,@function
_ZN7rocprim17ROCPRIM_400000_NS6detail17trampoline_kernelINS0_14default_configENS1_37merge_sort_block_sort_config_selectorIjNS0_10empty_typeEEEZNS1_21merge_sort_block_sortIS3_N6thrust23THRUST_200600_302600_NS6detail15normal_iteratorINS9_10device_ptrIjEEEESE_PS5_SF_11less_div_10IjEEE10hipError_tT0_T1_T2_T3_mRjT4_P12ihipStream_tbNS1_7vsmem_tEEUlT_E_NS1_11comp_targetILNS1_3genE5ELNS1_11target_archE942ELNS1_3gpuE9ELNS1_3repE0EEENS1_30default_config_static_selectorELNS0_4arch9wavefront6targetE0EEEvSK_: ; @_ZN7rocprim17ROCPRIM_400000_NS6detail17trampoline_kernelINS0_14default_configENS1_37merge_sort_block_sort_config_selectorIjNS0_10empty_typeEEEZNS1_21merge_sort_block_sortIS3_N6thrust23THRUST_200600_302600_NS6detail15normal_iteratorINS9_10device_ptrIjEEEESE_PS5_SF_11less_div_10IjEEE10hipError_tT0_T1_T2_T3_mRjT4_P12ihipStream_tbNS1_7vsmem_tEEUlT_E_NS1_11comp_targetILNS1_3genE5ELNS1_11target_archE942ELNS1_3gpuE9ELNS1_3repE0EEENS1_30default_config_static_selectorELNS0_4arch9wavefront6targetE0EEEvSK_
; %bb.0:
	.section	.rodata,"a",@progbits
	.p2align	6, 0x0
	.amdhsa_kernel _ZN7rocprim17ROCPRIM_400000_NS6detail17trampoline_kernelINS0_14default_configENS1_37merge_sort_block_sort_config_selectorIjNS0_10empty_typeEEEZNS1_21merge_sort_block_sortIS3_N6thrust23THRUST_200600_302600_NS6detail15normal_iteratorINS9_10device_ptrIjEEEESE_PS5_SF_11less_div_10IjEEE10hipError_tT0_T1_T2_T3_mRjT4_P12ihipStream_tbNS1_7vsmem_tEEUlT_E_NS1_11comp_targetILNS1_3genE5ELNS1_11target_archE942ELNS1_3gpuE9ELNS1_3repE0EEENS1_30default_config_static_selectorELNS0_4arch9wavefront6targetE0EEEvSK_
		.amdhsa_group_segment_fixed_size 0
		.amdhsa_private_segment_fixed_size 0
		.amdhsa_kernarg_size 64
		.amdhsa_user_sgpr_count 6
		.amdhsa_user_sgpr_private_segment_buffer 1
		.amdhsa_user_sgpr_dispatch_ptr 0
		.amdhsa_user_sgpr_queue_ptr 0
		.amdhsa_user_sgpr_kernarg_segment_ptr 1
		.amdhsa_user_sgpr_dispatch_id 0
		.amdhsa_user_sgpr_flat_scratch_init 0
		.amdhsa_user_sgpr_private_segment_size 0
		.amdhsa_wavefront_size32 1
		.amdhsa_uses_dynamic_stack 0
		.amdhsa_system_sgpr_private_segment_wavefront_offset 0
		.amdhsa_system_sgpr_workgroup_id_x 1
		.amdhsa_system_sgpr_workgroup_id_y 0
		.amdhsa_system_sgpr_workgroup_id_z 0
		.amdhsa_system_sgpr_workgroup_info 0
		.amdhsa_system_vgpr_workitem_id 0
		.amdhsa_next_free_vgpr 1
		.amdhsa_next_free_sgpr 1
		.amdhsa_reserve_vcc 0
		.amdhsa_reserve_flat_scratch 0
		.amdhsa_float_round_mode_32 0
		.amdhsa_float_round_mode_16_64 0
		.amdhsa_float_denorm_mode_32 3
		.amdhsa_float_denorm_mode_16_64 3
		.amdhsa_dx10_clamp 1
		.amdhsa_ieee_mode 1
		.amdhsa_fp16_overflow 0
		.amdhsa_workgroup_processor_mode 1
		.amdhsa_memory_ordered 1
		.amdhsa_forward_progress 1
		.amdhsa_shared_vgpr_count 0
		.amdhsa_exception_fp_ieee_invalid_op 0
		.amdhsa_exception_fp_denorm_src 0
		.amdhsa_exception_fp_ieee_div_zero 0
		.amdhsa_exception_fp_ieee_overflow 0
		.amdhsa_exception_fp_ieee_underflow 0
		.amdhsa_exception_fp_ieee_inexact 0
		.amdhsa_exception_int_div_zero 0
	.end_amdhsa_kernel
	.section	.text._ZN7rocprim17ROCPRIM_400000_NS6detail17trampoline_kernelINS0_14default_configENS1_37merge_sort_block_sort_config_selectorIjNS0_10empty_typeEEEZNS1_21merge_sort_block_sortIS3_N6thrust23THRUST_200600_302600_NS6detail15normal_iteratorINS9_10device_ptrIjEEEESE_PS5_SF_11less_div_10IjEEE10hipError_tT0_T1_T2_T3_mRjT4_P12ihipStream_tbNS1_7vsmem_tEEUlT_E_NS1_11comp_targetILNS1_3genE5ELNS1_11target_archE942ELNS1_3gpuE9ELNS1_3repE0EEENS1_30default_config_static_selectorELNS0_4arch9wavefront6targetE0EEEvSK_,"axG",@progbits,_ZN7rocprim17ROCPRIM_400000_NS6detail17trampoline_kernelINS0_14default_configENS1_37merge_sort_block_sort_config_selectorIjNS0_10empty_typeEEEZNS1_21merge_sort_block_sortIS3_N6thrust23THRUST_200600_302600_NS6detail15normal_iteratorINS9_10device_ptrIjEEEESE_PS5_SF_11less_div_10IjEEE10hipError_tT0_T1_T2_T3_mRjT4_P12ihipStream_tbNS1_7vsmem_tEEUlT_E_NS1_11comp_targetILNS1_3genE5ELNS1_11target_archE942ELNS1_3gpuE9ELNS1_3repE0EEENS1_30default_config_static_selectorELNS0_4arch9wavefront6targetE0EEEvSK_,comdat
.Lfunc_end139:
	.size	_ZN7rocprim17ROCPRIM_400000_NS6detail17trampoline_kernelINS0_14default_configENS1_37merge_sort_block_sort_config_selectorIjNS0_10empty_typeEEEZNS1_21merge_sort_block_sortIS3_N6thrust23THRUST_200600_302600_NS6detail15normal_iteratorINS9_10device_ptrIjEEEESE_PS5_SF_11less_div_10IjEEE10hipError_tT0_T1_T2_T3_mRjT4_P12ihipStream_tbNS1_7vsmem_tEEUlT_E_NS1_11comp_targetILNS1_3genE5ELNS1_11target_archE942ELNS1_3gpuE9ELNS1_3repE0EEENS1_30default_config_static_selectorELNS0_4arch9wavefront6targetE0EEEvSK_, .Lfunc_end139-_ZN7rocprim17ROCPRIM_400000_NS6detail17trampoline_kernelINS0_14default_configENS1_37merge_sort_block_sort_config_selectorIjNS0_10empty_typeEEEZNS1_21merge_sort_block_sortIS3_N6thrust23THRUST_200600_302600_NS6detail15normal_iteratorINS9_10device_ptrIjEEEESE_PS5_SF_11less_div_10IjEEE10hipError_tT0_T1_T2_T3_mRjT4_P12ihipStream_tbNS1_7vsmem_tEEUlT_E_NS1_11comp_targetILNS1_3genE5ELNS1_11target_archE942ELNS1_3gpuE9ELNS1_3repE0EEENS1_30default_config_static_selectorELNS0_4arch9wavefront6targetE0EEEvSK_
                                        ; -- End function
	.set _ZN7rocprim17ROCPRIM_400000_NS6detail17trampoline_kernelINS0_14default_configENS1_37merge_sort_block_sort_config_selectorIjNS0_10empty_typeEEEZNS1_21merge_sort_block_sortIS3_N6thrust23THRUST_200600_302600_NS6detail15normal_iteratorINS9_10device_ptrIjEEEESE_PS5_SF_11less_div_10IjEEE10hipError_tT0_T1_T2_T3_mRjT4_P12ihipStream_tbNS1_7vsmem_tEEUlT_E_NS1_11comp_targetILNS1_3genE5ELNS1_11target_archE942ELNS1_3gpuE9ELNS1_3repE0EEENS1_30default_config_static_selectorELNS0_4arch9wavefront6targetE0EEEvSK_.num_vgpr, 0
	.set _ZN7rocprim17ROCPRIM_400000_NS6detail17trampoline_kernelINS0_14default_configENS1_37merge_sort_block_sort_config_selectorIjNS0_10empty_typeEEEZNS1_21merge_sort_block_sortIS3_N6thrust23THRUST_200600_302600_NS6detail15normal_iteratorINS9_10device_ptrIjEEEESE_PS5_SF_11less_div_10IjEEE10hipError_tT0_T1_T2_T3_mRjT4_P12ihipStream_tbNS1_7vsmem_tEEUlT_E_NS1_11comp_targetILNS1_3genE5ELNS1_11target_archE942ELNS1_3gpuE9ELNS1_3repE0EEENS1_30default_config_static_selectorELNS0_4arch9wavefront6targetE0EEEvSK_.num_agpr, 0
	.set _ZN7rocprim17ROCPRIM_400000_NS6detail17trampoline_kernelINS0_14default_configENS1_37merge_sort_block_sort_config_selectorIjNS0_10empty_typeEEEZNS1_21merge_sort_block_sortIS3_N6thrust23THRUST_200600_302600_NS6detail15normal_iteratorINS9_10device_ptrIjEEEESE_PS5_SF_11less_div_10IjEEE10hipError_tT0_T1_T2_T3_mRjT4_P12ihipStream_tbNS1_7vsmem_tEEUlT_E_NS1_11comp_targetILNS1_3genE5ELNS1_11target_archE942ELNS1_3gpuE9ELNS1_3repE0EEENS1_30default_config_static_selectorELNS0_4arch9wavefront6targetE0EEEvSK_.numbered_sgpr, 0
	.set _ZN7rocprim17ROCPRIM_400000_NS6detail17trampoline_kernelINS0_14default_configENS1_37merge_sort_block_sort_config_selectorIjNS0_10empty_typeEEEZNS1_21merge_sort_block_sortIS3_N6thrust23THRUST_200600_302600_NS6detail15normal_iteratorINS9_10device_ptrIjEEEESE_PS5_SF_11less_div_10IjEEE10hipError_tT0_T1_T2_T3_mRjT4_P12ihipStream_tbNS1_7vsmem_tEEUlT_E_NS1_11comp_targetILNS1_3genE5ELNS1_11target_archE942ELNS1_3gpuE9ELNS1_3repE0EEENS1_30default_config_static_selectorELNS0_4arch9wavefront6targetE0EEEvSK_.num_named_barrier, 0
	.set _ZN7rocprim17ROCPRIM_400000_NS6detail17trampoline_kernelINS0_14default_configENS1_37merge_sort_block_sort_config_selectorIjNS0_10empty_typeEEEZNS1_21merge_sort_block_sortIS3_N6thrust23THRUST_200600_302600_NS6detail15normal_iteratorINS9_10device_ptrIjEEEESE_PS5_SF_11less_div_10IjEEE10hipError_tT0_T1_T2_T3_mRjT4_P12ihipStream_tbNS1_7vsmem_tEEUlT_E_NS1_11comp_targetILNS1_3genE5ELNS1_11target_archE942ELNS1_3gpuE9ELNS1_3repE0EEENS1_30default_config_static_selectorELNS0_4arch9wavefront6targetE0EEEvSK_.private_seg_size, 0
	.set _ZN7rocprim17ROCPRIM_400000_NS6detail17trampoline_kernelINS0_14default_configENS1_37merge_sort_block_sort_config_selectorIjNS0_10empty_typeEEEZNS1_21merge_sort_block_sortIS3_N6thrust23THRUST_200600_302600_NS6detail15normal_iteratorINS9_10device_ptrIjEEEESE_PS5_SF_11less_div_10IjEEE10hipError_tT0_T1_T2_T3_mRjT4_P12ihipStream_tbNS1_7vsmem_tEEUlT_E_NS1_11comp_targetILNS1_3genE5ELNS1_11target_archE942ELNS1_3gpuE9ELNS1_3repE0EEENS1_30default_config_static_selectorELNS0_4arch9wavefront6targetE0EEEvSK_.uses_vcc, 0
	.set _ZN7rocprim17ROCPRIM_400000_NS6detail17trampoline_kernelINS0_14default_configENS1_37merge_sort_block_sort_config_selectorIjNS0_10empty_typeEEEZNS1_21merge_sort_block_sortIS3_N6thrust23THRUST_200600_302600_NS6detail15normal_iteratorINS9_10device_ptrIjEEEESE_PS5_SF_11less_div_10IjEEE10hipError_tT0_T1_T2_T3_mRjT4_P12ihipStream_tbNS1_7vsmem_tEEUlT_E_NS1_11comp_targetILNS1_3genE5ELNS1_11target_archE942ELNS1_3gpuE9ELNS1_3repE0EEENS1_30default_config_static_selectorELNS0_4arch9wavefront6targetE0EEEvSK_.uses_flat_scratch, 0
	.set _ZN7rocprim17ROCPRIM_400000_NS6detail17trampoline_kernelINS0_14default_configENS1_37merge_sort_block_sort_config_selectorIjNS0_10empty_typeEEEZNS1_21merge_sort_block_sortIS3_N6thrust23THRUST_200600_302600_NS6detail15normal_iteratorINS9_10device_ptrIjEEEESE_PS5_SF_11less_div_10IjEEE10hipError_tT0_T1_T2_T3_mRjT4_P12ihipStream_tbNS1_7vsmem_tEEUlT_E_NS1_11comp_targetILNS1_3genE5ELNS1_11target_archE942ELNS1_3gpuE9ELNS1_3repE0EEENS1_30default_config_static_selectorELNS0_4arch9wavefront6targetE0EEEvSK_.has_dyn_sized_stack, 0
	.set _ZN7rocprim17ROCPRIM_400000_NS6detail17trampoline_kernelINS0_14default_configENS1_37merge_sort_block_sort_config_selectorIjNS0_10empty_typeEEEZNS1_21merge_sort_block_sortIS3_N6thrust23THRUST_200600_302600_NS6detail15normal_iteratorINS9_10device_ptrIjEEEESE_PS5_SF_11less_div_10IjEEE10hipError_tT0_T1_T2_T3_mRjT4_P12ihipStream_tbNS1_7vsmem_tEEUlT_E_NS1_11comp_targetILNS1_3genE5ELNS1_11target_archE942ELNS1_3gpuE9ELNS1_3repE0EEENS1_30default_config_static_selectorELNS0_4arch9wavefront6targetE0EEEvSK_.has_recursion, 0
	.set _ZN7rocprim17ROCPRIM_400000_NS6detail17trampoline_kernelINS0_14default_configENS1_37merge_sort_block_sort_config_selectorIjNS0_10empty_typeEEEZNS1_21merge_sort_block_sortIS3_N6thrust23THRUST_200600_302600_NS6detail15normal_iteratorINS9_10device_ptrIjEEEESE_PS5_SF_11less_div_10IjEEE10hipError_tT0_T1_T2_T3_mRjT4_P12ihipStream_tbNS1_7vsmem_tEEUlT_E_NS1_11comp_targetILNS1_3genE5ELNS1_11target_archE942ELNS1_3gpuE9ELNS1_3repE0EEENS1_30default_config_static_selectorELNS0_4arch9wavefront6targetE0EEEvSK_.has_indirect_call, 0
	.section	.AMDGPU.csdata,"",@progbits
; Kernel info:
; codeLenInByte = 0
; TotalNumSgprs: 0
; NumVgprs: 0
; ScratchSize: 0
; MemoryBound: 0
; FloatMode: 240
; IeeeMode: 1
; LDSByteSize: 0 bytes/workgroup (compile time only)
; SGPRBlocks: 0
; VGPRBlocks: 0
; NumSGPRsForWavesPerEU: 1
; NumVGPRsForWavesPerEU: 1
; Occupancy: 16
; WaveLimiterHint : 0
; COMPUTE_PGM_RSRC2:SCRATCH_EN: 0
; COMPUTE_PGM_RSRC2:USER_SGPR: 6
; COMPUTE_PGM_RSRC2:TRAP_HANDLER: 0
; COMPUTE_PGM_RSRC2:TGID_X_EN: 1
; COMPUTE_PGM_RSRC2:TGID_Y_EN: 0
; COMPUTE_PGM_RSRC2:TGID_Z_EN: 0
; COMPUTE_PGM_RSRC2:TIDIG_COMP_CNT: 0
	.section	.text._ZN7rocprim17ROCPRIM_400000_NS6detail17trampoline_kernelINS0_14default_configENS1_37merge_sort_block_sort_config_selectorIjNS0_10empty_typeEEEZNS1_21merge_sort_block_sortIS3_N6thrust23THRUST_200600_302600_NS6detail15normal_iteratorINS9_10device_ptrIjEEEESE_PS5_SF_11less_div_10IjEEE10hipError_tT0_T1_T2_T3_mRjT4_P12ihipStream_tbNS1_7vsmem_tEEUlT_E_NS1_11comp_targetILNS1_3genE4ELNS1_11target_archE910ELNS1_3gpuE8ELNS1_3repE0EEENS1_30default_config_static_selectorELNS0_4arch9wavefront6targetE0EEEvSK_,"axG",@progbits,_ZN7rocprim17ROCPRIM_400000_NS6detail17trampoline_kernelINS0_14default_configENS1_37merge_sort_block_sort_config_selectorIjNS0_10empty_typeEEEZNS1_21merge_sort_block_sortIS3_N6thrust23THRUST_200600_302600_NS6detail15normal_iteratorINS9_10device_ptrIjEEEESE_PS5_SF_11less_div_10IjEEE10hipError_tT0_T1_T2_T3_mRjT4_P12ihipStream_tbNS1_7vsmem_tEEUlT_E_NS1_11comp_targetILNS1_3genE4ELNS1_11target_archE910ELNS1_3gpuE8ELNS1_3repE0EEENS1_30default_config_static_selectorELNS0_4arch9wavefront6targetE0EEEvSK_,comdat
	.protected	_ZN7rocprim17ROCPRIM_400000_NS6detail17trampoline_kernelINS0_14default_configENS1_37merge_sort_block_sort_config_selectorIjNS0_10empty_typeEEEZNS1_21merge_sort_block_sortIS3_N6thrust23THRUST_200600_302600_NS6detail15normal_iteratorINS9_10device_ptrIjEEEESE_PS5_SF_11less_div_10IjEEE10hipError_tT0_T1_T2_T3_mRjT4_P12ihipStream_tbNS1_7vsmem_tEEUlT_E_NS1_11comp_targetILNS1_3genE4ELNS1_11target_archE910ELNS1_3gpuE8ELNS1_3repE0EEENS1_30default_config_static_selectorELNS0_4arch9wavefront6targetE0EEEvSK_ ; -- Begin function _ZN7rocprim17ROCPRIM_400000_NS6detail17trampoline_kernelINS0_14default_configENS1_37merge_sort_block_sort_config_selectorIjNS0_10empty_typeEEEZNS1_21merge_sort_block_sortIS3_N6thrust23THRUST_200600_302600_NS6detail15normal_iteratorINS9_10device_ptrIjEEEESE_PS5_SF_11less_div_10IjEEE10hipError_tT0_T1_T2_T3_mRjT4_P12ihipStream_tbNS1_7vsmem_tEEUlT_E_NS1_11comp_targetILNS1_3genE4ELNS1_11target_archE910ELNS1_3gpuE8ELNS1_3repE0EEENS1_30default_config_static_selectorELNS0_4arch9wavefront6targetE0EEEvSK_
	.globl	_ZN7rocprim17ROCPRIM_400000_NS6detail17trampoline_kernelINS0_14default_configENS1_37merge_sort_block_sort_config_selectorIjNS0_10empty_typeEEEZNS1_21merge_sort_block_sortIS3_N6thrust23THRUST_200600_302600_NS6detail15normal_iteratorINS9_10device_ptrIjEEEESE_PS5_SF_11less_div_10IjEEE10hipError_tT0_T1_T2_T3_mRjT4_P12ihipStream_tbNS1_7vsmem_tEEUlT_E_NS1_11comp_targetILNS1_3genE4ELNS1_11target_archE910ELNS1_3gpuE8ELNS1_3repE0EEENS1_30default_config_static_selectorELNS0_4arch9wavefront6targetE0EEEvSK_
	.p2align	8
	.type	_ZN7rocprim17ROCPRIM_400000_NS6detail17trampoline_kernelINS0_14default_configENS1_37merge_sort_block_sort_config_selectorIjNS0_10empty_typeEEEZNS1_21merge_sort_block_sortIS3_N6thrust23THRUST_200600_302600_NS6detail15normal_iteratorINS9_10device_ptrIjEEEESE_PS5_SF_11less_div_10IjEEE10hipError_tT0_T1_T2_T3_mRjT4_P12ihipStream_tbNS1_7vsmem_tEEUlT_E_NS1_11comp_targetILNS1_3genE4ELNS1_11target_archE910ELNS1_3gpuE8ELNS1_3repE0EEENS1_30default_config_static_selectorELNS0_4arch9wavefront6targetE0EEEvSK_,@function
_ZN7rocprim17ROCPRIM_400000_NS6detail17trampoline_kernelINS0_14default_configENS1_37merge_sort_block_sort_config_selectorIjNS0_10empty_typeEEEZNS1_21merge_sort_block_sortIS3_N6thrust23THRUST_200600_302600_NS6detail15normal_iteratorINS9_10device_ptrIjEEEESE_PS5_SF_11less_div_10IjEEE10hipError_tT0_T1_T2_T3_mRjT4_P12ihipStream_tbNS1_7vsmem_tEEUlT_E_NS1_11comp_targetILNS1_3genE4ELNS1_11target_archE910ELNS1_3gpuE8ELNS1_3repE0EEENS1_30default_config_static_selectorELNS0_4arch9wavefront6targetE0EEEvSK_: ; @_ZN7rocprim17ROCPRIM_400000_NS6detail17trampoline_kernelINS0_14default_configENS1_37merge_sort_block_sort_config_selectorIjNS0_10empty_typeEEEZNS1_21merge_sort_block_sortIS3_N6thrust23THRUST_200600_302600_NS6detail15normal_iteratorINS9_10device_ptrIjEEEESE_PS5_SF_11less_div_10IjEEE10hipError_tT0_T1_T2_T3_mRjT4_P12ihipStream_tbNS1_7vsmem_tEEUlT_E_NS1_11comp_targetILNS1_3genE4ELNS1_11target_archE910ELNS1_3gpuE8ELNS1_3repE0EEENS1_30default_config_static_selectorELNS0_4arch9wavefront6targetE0EEEvSK_
; %bb.0:
	.section	.rodata,"a",@progbits
	.p2align	6, 0x0
	.amdhsa_kernel _ZN7rocprim17ROCPRIM_400000_NS6detail17trampoline_kernelINS0_14default_configENS1_37merge_sort_block_sort_config_selectorIjNS0_10empty_typeEEEZNS1_21merge_sort_block_sortIS3_N6thrust23THRUST_200600_302600_NS6detail15normal_iteratorINS9_10device_ptrIjEEEESE_PS5_SF_11less_div_10IjEEE10hipError_tT0_T1_T2_T3_mRjT4_P12ihipStream_tbNS1_7vsmem_tEEUlT_E_NS1_11comp_targetILNS1_3genE4ELNS1_11target_archE910ELNS1_3gpuE8ELNS1_3repE0EEENS1_30default_config_static_selectorELNS0_4arch9wavefront6targetE0EEEvSK_
		.amdhsa_group_segment_fixed_size 0
		.amdhsa_private_segment_fixed_size 0
		.amdhsa_kernarg_size 64
		.amdhsa_user_sgpr_count 6
		.amdhsa_user_sgpr_private_segment_buffer 1
		.amdhsa_user_sgpr_dispatch_ptr 0
		.amdhsa_user_sgpr_queue_ptr 0
		.amdhsa_user_sgpr_kernarg_segment_ptr 1
		.amdhsa_user_sgpr_dispatch_id 0
		.amdhsa_user_sgpr_flat_scratch_init 0
		.amdhsa_user_sgpr_private_segment_size 0
		.amdhsa_wavefront_size32 1
		.amdhsa_uses_dynamic_stack 0
		.amdhsa_system_sgpr_private_segment_wavefront_offset 0
		.amdhsa_system_sgpr_workgroup_id_x 1
		.amdhsa_system_sgpr_workgroup_id_y 0
		.amdhsa_system_sgpr_workgroup_id_z 0
		.amdhsa_system_sgpr_workgroup_info 0
		.amdhsa_system_vgpr_workitem_id 0
		.amdhsa_next_free_vgpr 1
		.amdhsa_next_free_sgpr 1
		.amdhsa_reserve_vcc 0
		.amdhsa_reserve_flat_scratch 0
		.amdhsa_float_round_mode_32 0
		.amdhsa_float_round_mode_16_64 0
		.amdhsa_float_denorm_mode_32 3
		.amdhsa_float_denorm_mode_16_64 3
		.amdhsa_dx10_clamp 1
		.amdhsa_ieee_mode 1
		.amdhsa_fp16_overflow 0
		.amdhsa_workgroup_processor_mode 1
		.amdhsa_memory_ordered 1
		.amdhsa_forward_progress 1
		.amdhsa_shared_vgpr_count 0
		.amdhsa_exception_fp_ieee_invalid_op 0
		.amdhsa_exception_fp_denorm_src 0
		.amdhsa_exception_fp_ieee_div_zero 0
		.amdhsa_exception_fp_ieee_overflow 0
		.amdhsa_exception_fp_ieee_underflow 0
		.amdhsa_exception_fp_ieee_inexact 0
		.amdhsa_exception_int_div_zero 0
	.end_amdhsa_kernel
	.section	.text._ZN7rocprim17ROCPRIM_400000_NS6detail17trampoline_kernelINS0_14default_configENS1_37merge_sort_block_sort_config_selectorIjNS0_10empty_typeEEEZNS1_21merge_sort_block_sortIS3_N6thrust23THRUST_200600_302600_NS6detail15normal_iteratorINS9_10device_ptrIjEEEESE_PS5_SF_11less_div_10IjEEE10hipError_tT0_T1_T2_T3_mRjT4_P12ihipStream_tbNS1_7vsmem_tEEUlT_E_NS1_11comp_targetILNS1_3genE4ELNS1_11target_archE910ELNS1_3gpuE8ELNS1_3repE0EEENS1_30default_config_static_selectorELNS0_4arch9wavefront6targetE0EEEvSK_,"axG",@progbits,_ZN7rocprim17ROCPRIM_400000_NS6detail17trampoline_kernelINS0_14default_configENS1_37merge_sort_block_sort_config_selectorIjNS0_10empty_typeEEEZNS1_21merge_sort_block_sortIS3_N6thrust23THRUST_200600_302600_NS6detail15normal_iteratorINS9_10device_ptrIjEEEESE_PS5_SF_11less_div_10IjEEE10hipError_tT0_T1_T2_T3_mRjT4_P12ihipStream_tbNS1_7vsmem_tEEUlT_E_NS1_11comp_targetILNS1_3genE4ELNS1_11target_archE910ELNS1_3gpuE8ELNS1_3repE0EEENS1_30default_config_static_selectorELNS0_4arch9wavefront6targetE0EEEvSK_,comdat
.Lfunc_end140:
	.size	_ZN7rocprim17ROCPRIM_400000_NS6detail17trampoline_kernelINS0_14default_configENS1_37merge_sort_block_sort_config_selectorIjNS0_10empty_typeEEEZNS1_21merge_sort_block_sortIS3_N6thrust23THRUST_200600_302600_NS6detail15normal_iteratorINS9_10device_ptrIjEEEESE_PS5_SF_11less_div_10IjEEE10hipError_tT0_T1_T2_T3_mRjT4_P12ihipStream_tbNS1_7vsmem_tEEUlT_E_NS1_11comp_targetILNS1_3genE4ELNS1_11target_archE910ELNS1_3gpuE8ELNS1_3repE0EEENS1_30default_config_static_selectorELNS0_4arch9wavefront6targetE0EEEvSK_, .Lfunc_end140-_ZN7rocprim17ROCPRIM_400000_NS6detail17trampoline_kernelINS0_14default_configENS1_37merge_sort_block_sort_config_selectorIjNS0_10empty_typeEEEZNS1_21merge_sort_block_sortIS3_N6thrust23THRUST_200600_302600_NS6detail15normal_iteratorINS9_10device_ptrIjEEEESE_PS5_SF_11less_div_10IjEEE10hipError_tT0_T1_T2_T3_mRjT4_P12ihipStream_tbNS1_7vsmem_tEEUlT_E_NS1_11comp_targetILNS1_3genE4ELNS1_11target_archE910ELNS1_3gpuE8ELNS1_3repE0EEENS1_30default_config_static_selectorELNS0_4arch9wavefront6targetE0EEEvSK_
                                        ; -- End function
	.set _ZN7rocprim17ROCPRIM_400000_NS6detail17trampoline_kernelINS0_14default_configENS1_37merge_sort_block_sort_config_selectorIjNS0_10empty_typeEEEZNS1_21merge_sort_block_sortIS3_N6thrust23THRUST_200600_302600_NS6detail15normal_iteratorINS9_10device_ptrIjEEEESE_PS5_SF_11less_div_10IjEEE10hipError_tT0_T1_T2_T3_mRjT4_P12ihipStream_tbNS1_7vsmem_tEEUlT_E_NS1_11comp_targetILNS1_3genE4ELNS1_11target_archE910ELNS1_3gpuE8ELNS1_3repE0EEENS1_30default_config_static_selectorELNS0_4arch9wavefront6targetE0EEEvSK_.num_vgpr, 0
	.set _ZN7rocprim17ROCPRIM_400000_NS6detail17trampoline_kernelINS0_14default_configENS1_37merge_sort_block_sort_config_selectorIjNS0_10empty_typeEEEZNS1_21merge_sort_block_sortIS3_N6thrust23THRUST_200600_302600_NS6detail15normal_iteratorINS9_10device_ptrIjEEEESE_PS5_SF_11less_div_10IjEEE10hipError_tT0_T1_T2_T3_mRjT4_P12ihipStream_tbNS1_7vsmem_tEEUlT_E_NS1_11comp_targetILNS1_3genE4ELNS1_11target_archE910ELNS1_3gpuE8ELNS1_3repE0EEENS1_30default_config_static_selectorELNS0_4arch9wavefront6targetE0EEEvSK_.num_agpr, 0
	.set _ZN7rocprim17ROCPRIM_400000_NS6detail17trampoline_kernelINS0_14default_configENS1_37merge_sort_block_sort_config_selectorIjNS0_10empty_typeEEEZNS1_21merge_sort_block_sortIS3_N6thrust23THRUST_200600_302600_NS6detail15normal_iteratorINS9_10device_ptrIjEEEESE_PS5_SF_11less_div_10IjEEE10hipError_tT0_T1_T2_T3_mRjT4_P12ihipStream_tbNS1_7vsmem_tEEUlT_E_NS1_11comp_targetILNS1_3genE4ELNS1_11target_archE910ELNS1_3gpuE8ELNS1_3repE0EEENS1_30default_config_static_selectorELNS0_4arch9wavefront6targetE0EEEvSK_.numbered_sgpr, 0
	.set _ZN7rocprim17ROCPRIM_400000_NS6detail17trampoline_kernelINS0_14default_configENS1_37merge_sort_block_sort_config_selectorIjNS0_10empty_typeEEEZNS1_21merge_sort_block_sortIS3_N6thrust23THRUST_200600_302600_NS6detail15normal_iteratorINS9_10device_ptrIjEEEESE_PS5_SF_11less_div_10IjEEE10hipError_tT0_T1_T2_T3_mRjT4_P12ihipStream_tbNS1_7vsmem_tEEUlT_E_NS1_11comp_targetILNS1_3genE4ELNS1_11target_archE910ELNS1_3gpuE8ELNS1_3repE0EEENS1_30default_config_static_selectorELNS0_4arch9wavefront6targetE0EEEvSK_.num_named_barrier, 0
	.set _ZN7rocprim17ROCPRIM_400000_NS6detail17trampoline_kernelINS0_14default_configENS1_37merge_sort_block_sort_config_selectorIjNS0_10empty_typeEEEZNS1_21merge_sort_block_sortIS3_N6thrust23THRUST_200600_302600_NS6detail15normal_iteratorINS9_10device_ptrIjEEEESE_PS5_SF_11less_div_10IjEEE10hipError_tT0_T1_T2_T3_mRjT4_P12ihipStream_tbNS1_7vsmem_tEEUlT_E_NS1_11comp_targetILNS1_3genE4ELNS1_11target_archE910ELNS1_3gpuE8ELNS1_3repE0EEENS1_30default_config_static_selectorELNS0_4arch9wavefront6targetE0EEEvSK_.private_seg_size, 0
	.set _ZN7rocprim17ROCPRIM_400000_NS6detail17trampoline_kernelINS0_14default_configENS1_37merge_sort_block_sort_config_selectorIjNS0_10empty_typeEEEZNS1_21merge_sort_block_sortIS3_N6thrust23THRUST_200600_302600_NS6detail15normal_iteratorINS9_10device_ptrIjEEEESE_PS5_SF_11less_div_10IjEEE10hipError_tT0_T1_T2_T3_mRjT4_P12ihipStream_tbNS1_7vsmem_tEEUlT_E_NS1_11comp_targetILNS1_3genE4ELNS1_11target_archE910ELNS1_3gpuE8ELNS1_3repE0EEENS1_30default_config_static_selectorELNS0_4arch9wavefront6targetE0EEEvSK_.uses_vcc, 0
	.set _ZN7rocprim17ROCPRIM_400000_NS6detail17trampoline_kernelINS0_14default_configENS1_37merge_sort_block_sort_config_selectorIjNS0_10empty_typeEEEZNS1_21merge_sort_block_sortIS3_N6thrust23THRUST_200600_302600_NS6detail15normal_iteratorINS9_10device_ptrIjEEEESE_PS5_SF_11less_div_10IjEEE10hipError_tT0_T1_T2_T3_mRjT4_P12ihipStream_tbNS1_7vsmem_tEEUlT_E_NS1_11comp_targetILNS1_3genE4ELNS1_11target_archE910ELNS1_3gpuE8ELNS1_3repE0EEENS1_30default_config_static_selectorELNS0_4arch9wavefront6targetE0EEEvSK_.uses_flat_scratch, 0
	.set _ZN7rocprim17ROCPRIM_400000_NS6detail17trampoline_kernelINS0_14default_configENS1_37merge_sort_block_sort_config_selectorIjNS0_10empty_typeEEEZNS1_21merge_sort_block_sortIS3_N6thrust23THRUST_200600_302600_NS6detail15normal_iteratorINS9_10device_ptrIjEEEESE_PS5_SF_11less_div_10IjEEE10hipError_tT0_T1_T2_T3_mRjT4_P12ihipStream_tbNS1_7vsmem_tEEUlT_E_NS1_11comp_targetILNS1_3genE4ELNS1_11target_archE910ELNS1_3gpuE8ELNS1_3repE0EEENS1_30default_config_static_selectorELNS0_4arch9wavefront6targetE0EEEvSK_.has_dyn_sized_stack, 0
	.set _ZN7rocprim17ROCPRIM_400000_NS6detail17trampoline_kernelINS0_14default_configENS1_37merge_sort_block_sort_config_selectorIjNS0_10empty_typeEEEZNS1_21merge_sort_block_sortIS3_N6thrust23THRUST_200600_302600_NS6detail15normal_iteratorINS9_10device_ptrIjEEEESE_PS5_SF_11less_div_10IjEEE10hipError_tT0_T1_T2_T3_mRjT4_P12ihipStream_tbNS1_7vsmem_tEEUlT_E_NS1_11comp_targetILNS1_3genE4ELNS1_11target_archE910ELNS1_3gpuE8ELNS1_3repE0EEENS1_30default_config_static_selectorELNS0_4arch9wavefront6targetE0EEEvSK_.has_recursion, 0
	.set _ZN7rocprim17ROCPRIM_400000_NS6detail17trampoline_kernelINS0_14default_configENS1_37merge_sort_block_sort_config_selectorIjNS0_10empty_typeEEEZNS1_21merge_sort_block_sortIS3_N6thrust23THRUST_200600_302600_NS6detail15normal_iteratorINS9_10device_ptrIjEEEESE_PS5_SF_11less_div_10IjEEE10hipError_tT0_T1_T2_T3_mRjT4_P12ihipStream_tbNS1_7vsmem_tEEUlT_E_NS1_11comp_targetILNS1_3genE4ELNS1_11target_archE910ELNS1_3gpuE8ELNS1_3repE0EEENS1_30default_config_static_selectorELNS0_4arch9wavefront6targetE0EEEvSK_.has_indirect_call, 0
	.section	.AMDGPU.csdata,"",@progbits
; Kernel info:
; codeLenInByte = 0
; TotalNumSgprs: 0
; NumVgprs: 0
; ScratchSize: 0
; MemoryBound: 0
; FloatMode: 240
; IeeeMode: 1
; LDSByteSize: 0 bytes/workgroup (compile time only)
; SGPRBlocks: 0
; VGPRBlocks: 0
; NumSGPRsForWavesPerEU: 1
; NumVGPRsForWavesPerEU: 1
; Occupancy: 16
; WaveLimiterHint : 0
; COMPUTE_PGM_RSRC2:SCRATCH_EN: 0
; COMPUTE_PGM_RSRC2:USER_SGPR: 6
; COMPUTE_PGM_RSRC2:TRAP_HANDLER: 0
; COMPUTE_PGM_RSRC2:TGID_X_EN: 1
; COMPUTE_PGM_RSRC2:TGID_Y_EN: 0
; COMPUTE_PGM_RSRC2:TGID_Z_EN: 0
; COMPUTE_PGM_RSRC2:TIDIG_COMP_CNT: 0
	.section	.text._ZN7rocprim17ROCPRIM_400000_NS6detail17trampoline_kernelINS0_14default_configENS1_37merge_sort_block_sort_config_selectorIjNS0_10empty_typeEEEZNS1_21merge_sort_block_sortIS3_N6thrust23THRUST_200600_302600_NS6detail15normal_iteratorINS9_10device_ptrIjEEEESE_PS5_SF_11less_div_10IjEEE10hipError_tT0_T1_T2_T3_mRjT4_P12ihipStream_tbNS1_7vsmem_tEEUlT_E_NS1_11comp_targetILNS1_3genE3ELNS1_11target_archE908ELNS1_3gpuE7ELNS1_3repE0EEENS1_30default_config_static_selectorELNS0_4arch9wavefront6targetE0EEEvSK_,"axG",@progbits,_ZN7rocprim17ROCPRIM_400000_NS6detail17trampoline_kernelINS0_14default_configENS1_37merge_sort_block_sort_config_selectorIjNS0_10empty_typeEEEZNS1_21merge_sort_block_sortIS3_N6thrust23THRUST_200600_302600_NS6detail15normal_iteratorINS9_10device_ptrIjEEEESE_PS5_SF_11less_div_10IjEEE10hipError_tT0_T1_T2_T3_mRjT4_P12ihipStream_tbNS1_7vsmem_tEEUlT_E_NS1_11comp_targetILNS1_3genE3ELNS1_11target_archE908ELNS1_3gpuE7ELNS1_3repE0EEENS1_30default_config_static_selectorELNS0_4arch9wavefront6targetE0EEEvSK_,comdat
	.protected	_ZN7rocprim17ROCPRIM_400000_NS6detail17trampoline_kernelINS0_14default_configENS1_37merge_sort_block_sort_config_selectorIjNS0_10empty_typeEEEZNS1_21merge_sort_block_sortIS3_N6thrust23THRUST_200600_302600_NS6detail15normal_iteratorINS9_10device_ptrIjEEEESE_PS5_SF_11less_div_10IjEEE10hipError_tT0_T1_T2_T3_mRjT4_P12ihipStream_tbNS1_7vsmem_tEEUlT_E_NS1_11comp_targetILNS1_3genE3ELNS1_11target_archE908ELNS1_3gpuE7ELNS1_3repE0EEENS1_30default_config_static_selectorELNS0_4arch9wavefront6targetE0EEEvSK_ ; -- Begin function _ZN7rocprim17ROCPRIM_400000_NS6detail17trampoline_kernelINS0_14default_configENS1_37merge_sort_block_sort_config_selectorIjNS0_10empty_typeEEEZNS1_21merge_sort_block_sortIS3_N6thrust23THRUST_200600_302600_NS6detail15normal_iteratorINS9_10device_ptrIjEEEESE_PS5_SF_11less_div_10IjEEE10hipError_tT0_T1_T2_T3_mRjT4_P12ihipStream_tbNS1_7vsmem_tEEUlT_E_NS1_11comp_targetILNS1_3genE3ELNS1_11target_archE908ELNS1_3gpuE7ELNS1_3repE0EEENS1_30default_config_static_selectorELNS0_4arch9wavefront6targetE0EEEvSK_
	.globl	_ZN7rocprim17ROCPRIM_400000_NS6detail17trampoline_kernelINS0_14default_configENS1_37merge_sort_block_sort_config_selectorIjNS0_10empty_typeEEEZNS1_21merge_sort_block_sortIS3_N6thrust23THRUST_200600_302600_NS6detail15normal_iteratorINS9_10device_ptrIjEEEESE_PS5_SF_11less_div_10IjEEE10hipError_tT0_T1_T2_T3_mRjT4_P12ihipStream_tbNS1_7vsmem_tEEUlT_E_NS1_11comp_targetILNS1_3genE3ELNS1_11target_archE908ELNS1_3gpuE7ELNS1_3repE0EEENS1_30default_config_static_selectorELNS0_4arch9wavefront6targetE0EEEvSK_
	.p2align	8
	.type	_ZN7rocprim17ROCPRIM_400000_NS6detail17trampoline_kernelINS0_14default_configENS1_37merge_sort_block_sort_config_selectorIjNS0_10empty_typeEEEZNS1_21merge_sort_block_sortIS3_N6thrust23THRUST_200600_302600_NS6detail15normal_iteratorINS9_10device_ptrIjEEEESE_PS5_SF_11less_div_10IjEEE10hipError_tT0_T1_T2_T3_mRjT4_P12ihipStream_tbNS1_7vsmem_tEEUlT_E_NS1_11comp_targetILNS1_3genE3ELNS1_11target_archE908ELNS1_3gpuE7ELNS1_3repE0EEENS1_30default_config_static_selectorELNS0_4arch9wavefront6targetE0EEEvSK_,@function
_ZN7rocprim17ROCPRIM_400000_NS6detail17trampoline_kernelINS0_14default_configENS1_37merge_sort_block_sort_config_selectorIjNS0_10empty_typeEEEZNS1_21merge_sort_block_sortIS3_N6thrust23THRUST_200600_302600_NS6detail15normal_iteratorINS9_10device_ptrIjEEEESE_PS5_SF_11less_div_10IjEEE10hipError_tT0_T1_T2_T3_mRjT4_P12ihipStream_tbNS1_7vsmem_tEEUlT_E_NS1_11comp_targetILNS1_3genE3ELNS1_11target_archE908ELNS1_3gpuE7ELNS1_3repE0EEENS1_30default_config_static_selectorELNS0_4arch9wavefront6targetE0EEEvSK_: ; @_ZN7rocprim17ROCPRIM_400000_NS6detail17trampoline_kernelINS0_14default_configENS1_37merge_sort_block_sort_config_selectorIjNS0_10empty_typeEEEZNS1_21merge_sort_block_sortIS3_N6thrust23THRUST_200600_302600_NS6detail15normal_iteratorINS9_10device_ptrIjEEEESE_PS5_SF_11less_div_10IjEEE10hipError_tT0_T1_T2_T3_mRjT4_P12ihipStream_tbNS1_7vsmem_tEEUlT_E_NS1_11comp_targetILNS1_3genE3ELNS1_11target_archE908ELNS1_3gpuE7ELNS1_3repE0EEENS1_30default_config_static_selectorELNS0_4arch9wavefront6targetE0EEEvSK_
; %bb.0:
	.section	.rodata,"a",@progbits
	.p2align	6, 0x0
	.amdhsa_kernel _ZN7rocprim17ROCPRIM_400000_NS6detail17trampoline_kernelINS0_14default_configENS1_37merge_sort_block_sort_config_selectorIjNS0_10empty_typeEEEZNS1_21merge_sort_block_sortIS3_N6thrust23THRUST_200600_302600_NS6detail15normal_iteratorINS9_10device_ptrIjEEEESE_PS5_SF_11less_div_10IjEEE10hipError_tT0_T1_T2_T3_mRjT4_P12ihipStream_tbNS1_7vsmem_tEEUlT_E_NS1_11comp_targetILNS1_3genE3ELNS1_11target_archE908ELNS1_3gpuE7ELNS1_3repE0EEENS1_30default_config_static_selectorELNS0_4arch9wavefront6targetE0EEEvSK_
		.amdhsa_group_segment_fixed_size 0
		.amdhsa_private_segment_fixed_size 0
		.amdhsa_kernarg_size 64
		.amdhsa_user_sgpr_count 6
		.amdhsa_user_sgpr_private_segment_buffer 1
		.amdhsa_user_sgpr_dispatch_ptr 0
		.amdhsa_user_sgpr_queue_ptr 0
		.amdhsa_user_sgpr_kernarg_segment_ptr 1
		.amdhsa_user_sgpr_dispatch_id 0
		.amdhsa_user_sgpr_flat_scratch_init 0
		.amdhsa_user_sgpr_private_segment_size 0
		.amdhsa_wavefront_size32 1
		.amdhsa_uses_dynamic_stack 0
		.amdhsa_system_sgpr_private_segment_wavefront_offset 0
		.amdhsa_system_sgpr_workgroup_id_x 1
		.amdhsa_system_sgpr_workgroup_id_y 0
		.amdhsa_system_sgpr_workgroup_id_z 0
		.amdhsa_system_sgpr_workgroup_info 0
		.amdhsa_system_vgpr_workitem_id 0
		.amdhsa_next_free_vgpr 1
		.amdhsa_next_free_sgpr 1
		.amdhsa_reserve_vcc 0
		.amdhsa_reserve_flat_scratch 0
		.amdhsa_float_round_mode_32 0
		.amdhsa_float_round_mode_16_64 0
		.amdhsa_float_denorm_mode_32 3
		.amdhsa_float_denorm_mode_16_64 3
		.amdhsa_dx10_clamp 1
		.amdhsa_ieee_mode 1
		.amdhsa_fp16_overflow 0
		.amdhsa_workgroup_processor_mode 1
		.amdhsa_memory_ordered 1
		.amdhsa_forward_progress 1
		.amdhsa_shared_vgpr_count 0
		.amdhsa_exception_fp_ieee_invalid_op 0
		.amdhsa_exception_fp_denorm_src 0
		.amdhsa_exception_fp_ieee_div_zero 0
		.amdhsa_exception_fp_ieee_overflow 0
		.amdhsa_exception_fp_ieee_underflow 0
		.amdhsa_exception_fp_ieee_inexact 0
		.amdhsa_exception_int_div_zero 0
	.end_amdhsa_kernel
	.section	.text._ZN7rocprim17ROCPRIM_400000_NS6detail17trampoline_kernelINS0_14default_configENS1_37merge_sort_block_sort_config_selectorIjNS0_10empty_typeEEEZNS1_21merge_sort_block_sortIS3_N6thrust23THRUST_200600_302600_NS6detail15normal_iteratorINS9_10device_ptrIjEEEESE_PS5_SF_11less_div_10IjEEE10hipError_tT0_T1_T2_T3_mRjT4_P12ihipStream_tbNS1_7vsmem_tEEUlT_E_NS1_11comp_targetILNS1_3genE3ELNS1_11target_archE908ELNS1_3gpuE7ELNS1_3repE0EEENS1_30default_config_static_selectorELNS0_4arch9wavefront6targetE0EEEvSK_,"axG",@progbits,_ZN7rocprim17ROCPRIM_400000_NS6detail17trampoline_kernelINS0_14default_configENS1_37merge_sort_block_sort_config_selectorIjNS0_10empty_typeEEEZNS1_21merge_sort_block_sortIS3_N6thrust23THRUST_200600_302600_NS6detail15normal_iteratorINS9_10device_ptrIjEEEESE_PS5_SF_11less_div_10IjEEE10hipError_tT0_T1_T2_T3_mRjT4_P12ihipStream_tbNS1_7vsmem_tEEUlT_E_NS1_11comp_targetILNS1_3genE3ELNS1_11target_archE908ELNS1_3gpuE7ELNS1_3repE0EEENS1_30default_config_static_selectorELNS0_4arch9wavefront6targetE0EEEvSK_,comdat
.Lfunc_end141:
	.size	_ZN7rocprim17ROCPRIM_400000_NS6detail17trampoline_kernelINS0_14default_configENS1_37merge_sort_block_sort_config_selectorIjNS0_10empty_typeEEEZNS1_21merge_sort_block_sortIS3_N6thrust23THRUST_200600_302600_NS6detail15normal_iteratorINS9_10device_ptrIjEEEESE_PS5_SF_11less_div_10IjEEE10hipError_tT0_T1_T2_T3_mRjT4_P12ihipStream_tbNS1_7vsmem_tEEUlT_E_NS1_11comp_targetILNS1_3genE3ELNS1_11target_archE908ELNS1_3gpuE7ELNS1_3repE0EEENS1_30default_config_static_selectorELNS0_4arch9wavefront6targetE0EEEvSK_, .Lfunc_end141-_ZN7rocprim17ROCPRIM_400000_NS6detail17trampoline_kernelINS0_14default_configENS1_37merge_sort_block_sort_config_selectorIjNS0_10empty_typeEEEZNS1_21merge_sort_block_sortIS3_N6thrust23THRUST_200600_302600_NS6detail15normal_iteratorINS9_10device_ptrIjEEEESE_PS5_SF_11less_div_10IjEEE10hipError_tT0_T1_T2_T3_mRjT4_P12ihipStream_tbNS1_7vsmem_tEEUlT_E_NS1_11comp_targetILNS1_3genE3ELNS1_11target_archE908ELNS1_3gpuE7ELNS1_3repE0EEENS1_30default_config_static_selectorELNS0_4arch9wavefront6targetE0EEEvSK_
                                        ; -- End function
	.set _ZN7rocprim17ROCPRIM_400000_NS6detail17trampoline_kernelINS0_14default_configENS1_37merge_sort_block_sort_config_selectorIjNS0_10empty_typeEEEZNS1_21merge_sort_block_sortIS3_N6thrust23THRUST_200600_302600_NS6detail15normal_iteratorINS9_10device_ptrIjEEEESE_PS5_SF_11less_div_10IjEEE10hipError_tT0_T1_T2_T3_mRjT4_P12ihipStream_tbNS1_7vsmem_tEEUlT_E_NS1_11comp_targetILNS1_3genE3ELNS1_11target_archE908ELNS1_3gpuE7ELNS1_3repE0EEENS1_30default_config_static_selectorELNS0_4arch9wavefront6targetE0EEEvSK_.num_vgpr, 0
	.set _ZN7rocprim17ROCPRIM_400000_NS6detail17trampoline_kernelINS0_14default_configENS1_37merge_sort_block_sort_config_selectorIjNS0_10empty_typeEEEZNS1_21merge_sort_block_sortIS3_N6thrust23THRUST_200600_302600_NS6detail15normal_iteratorINS9_10device_ptrIjEEEESE_PS5_SF_11less_div_10IjEEE10hipError_tT0_T1_T2_T3_mRjT4_P12ihipStream_tbNS1_7vsmem_tEEUlT_E_NS1_11comp_targetILNS1_3genE3ELNS1_11target_archE908ELNS1_3gpuE7ELNS1_3repE0EEENS1_30default_config_static_selectorELNS0_4arch9wavefront6targetE0EEEvSK_.num_agpr, 0
	.set _ZN7rocprim17ROCPRIM_400000_NS6detail17trampoline_kernelINS0_14default_configENS1_37merge_sort_block_sort_config_selectorIjNS0_10empty_typeEEEZNS1_21merge_sort_block_sortIS3_N6thrust23THRUST_200600_302600_NS6detail15normal_iteratorINS9_10device_ptrIjEEEESE_PS5_SF_11less_div_10IjEEE10hipError_tT0_T1_T2_T3_mRjT4_P12ihipStream_tbNS1_7vsmem_tEEUlT_E_NS1_11comp_targetILNS1_3genE3ELNS1_11target_archE908ELNS1_3gpuE7ELNS1_3repE0EEENS1_30default_config_static_selectorELNS0_4arch9wavefront6targetE0EEEvSK_.numbered_sgpr, 0
	.set _ZN7rocprim17ROCPRIM_400000_NS6detail17trampoline_kernelINS0_14default_configENS1_37merge_sort_block_sort_config_selectorIjNS0_10empty_typeEEEZNS1_21merge_sort_block_sortIS3_N6thrust23THRUST_200600_302600_NS6detail15normal_iteratorINS9_10device_ptrIjEEEESE_PS5_SF_11less_div_10IjEEE10hipError_tT0_T1_T2_T3_mRjT4_P12ihipStream_tbNS1_7vsmem_tEEUlT_E_NS1_11comp_targetILNS1_3genE3ELNS1_11target_archE908ELNS1_3gpuE7ELNS1_3repE0EEENS1_30default_config_static_selectorELNS0_4arch9wavefront6targetE0EEEvSK_.num_named_barrier, 0
	.set _ZN7rocprim17ROCPRIM_400000_NS6detail17trampoline_kernelINS0_14default_configENS1_37merge_sort_block_sort_config_selectorIjNS0_10empty_typeEEEZNS1_21merge_sort_block_sortIS3_N6thrust23THRUST_200600_302600_NS6detail15normal_iteratorINS9_10device_ptrIjEEEESE_PS5_SF_11less_div_10IjEEE10hipError_tT0_T1_T2_T3_mRjT4_P12ihipStream_tbNS1_7vsmem_tEEUlT_E_NS1_11comp_targetILNS1_3genE3ELNS1_11target_archE908ELNS1_3gpuE7ELNS1_3repE0EEENS1_30default_config_static_selectorELNS0_4arch9wavefront6targetE0EEEvSK_.private_seg_size, 0
	.set _ZN7rocprim17ROCPRIM_400000_NS6detail17trampoline_kernelINS0_14default_configENS1_37merge_sort_block_sort_config_selectorIjNS0_10empty_typeEEEZNS1_21merge_sort_block_sortIS3_N6thrust23THRUST_200600_302600_NS6detail15normal_iteratorINS9_10device_ptrIjEEEESE_PS5_SF_11less_div_10IjEEE10hipError_tT0_T1_T2_T3_mRjT4_P12ihipStream_tbNS1_7vsmem_tEEUlT_E_NS1_11comp_targetILNS1_3genE3ELNS1_11target_archE908ELNS1_3gpuE7ELNS1_3repE0EEENS1_30default_config_static_selectorELNS0_4arch9wavefront6targetE0EEEvSK_.uses_vcc, 0
	.set _ZN7rocprim17ROCPRIM_400000_NS6detail17trampoline_kernelINS0_14default_configENS1_37merge_sort_block_sort_config_selectorIjNS0_10empty_typeEEEZNS1_21merge_sort_block_sortIS3_N6thrust23THRUST_200600_302600_NS6detail15normal_iteratorINS9_10device_ptrIjEEEESE_PS5_SF_11less_div_10IjEEE10hipError_tT0_T1_T2_T3_mRjT4_P12ihipStream_tbNS1_7vsmem_tEEUlT_E_NS1_11comp_targetILNS1_3genE3ELNS1_11target_archE908ELNS1_3gpuE7ELNS1_3repE0EEENS1_30default_config_static_selectorELNS0_4arch9wavefront6targetE0EEEvSK_.uses_flat_scratch, 0
	.set _ZN7rocprim17ROCPRIM_400000_NS6detail17trampoline_kernelINS0_14default_configENS1_37merge_sort_block_sort_config_selectorIjNS0_10empty_typeEEEZNS1_21merge_sort_block_sortIS3_N6thrust23THRUST_200600_302600_NS6detail15normal_iteratorINS9_10device_ptrIjEEEESE_PS5_SF_11less_div_10IjEEE10hipError_tT0_T1_T2_T3_mRjT4_P12ihipStream_tbNS1_7vsmem_tEEUlT_E_NS1_11comp_targetILNS1_3genE3ELNS1_11target_archE908ELNS1_3gpuE7ELNS1_3repE0EEENS1_30default_config_static_selectorELNS0_4arch9wavefront6targetE0EEEvSK_.has_dyn_sized_stack, 0
	.set _ZN7rocprim17ROCPRIM_400000_NS6detail17trampoline_kernelINS0_14default_configENS1_37merge_sort_block_sort_config_selectorIjNS0_10empty_typeEEEZNS1_21merge_sort_block_sortIS3_N6thrust23THRUST_200600_302600_NS6detail15normal_iteratorINS9_10device_ptrIjEEEESE_PS5_SF_11less_div_10IjEEE10hipError_tT0_T1_T2_T3_mRjT4_P12ihipStream_tbNS1_7vsmem_tEEUlT_E_NS1_11comp_targetILNS1_3genE3ELNS1_11target_archE908ELNS1_3gpuE7ELNS1_3repE0EEENS1_30default_config_static_selectorELNS0_4arch9wavefront6targetE0EEEvSK_.has_recursion, 0
	.set _ZN7rocprim17ROCPRIM_400000_NS6detail17trampoline_kernelINS0_14default_configENS1_37merge_sort_block_sort_config_selectorIjNS0_10empty_typeEEEZNS1_21merge_sort_block_sortIS3_N6thrust23THRUST_200600_302600_NS6detail15normal_iteratorINS9_10device_ptrIjEEEESE_PS5_SF_11less_div_10IjEEE10hipError_tT0_T1_T2_T3_mRjT4_P12ihipStream_tbNS1_7vsmem_tEEUlT_E_NS1_11comp_targetILNS1_3genE3ELNS1_11target_archE908ELNS1_3gpuE7ELNS1_3repE0EEENS1_30default_config_static_selectorELNS0_4arch9wavefront6targetE0EEEvSK_.has_indirect_call, 0
	.section	.AMDGPU.csdata,"",@progbits
; Kernel info:
; codeLenInByte = 0
; TotalNumSgprs: 0
; NumVgprs: 0
; ScratchSize: 0
; MemoryBound: 0
; FloatMode: 240
; IeeeMode: 1
; LDSByteSize: 0 bytes/workgroup (compile time only)
; SGPRBlocks: 0
; VGPRBlocks: 0
; NumSGPRsForWavesPerEU: 1
; NumVGPRsForWavesPerEU: 1
; Occupancy: 16
; WaveLimiterHint : 0
; COMPUTE_PGM_RSRC2:SCRATCH_EN: 0
; COMPUTE_PGM_RSRC2:USER_SGPR: 6
; COMPUTE_PGM_RSRC2:TRAP_HANDLER: 0
; COMPUTE_PGM_RSRC2:TGID_X_EN: 1
; COMPUTE_PGM_RSRC2:TGID_Y_EN: 0
; COMPUTE_PGM_RSRC2:TGID_Z_EN: 0
; COMPUTE_PGM_RSRC2:TIDIG_COMP_CNT: 0
	.section	.text._ZN7rocprim17ROCPRIM_400000_NS6detail17trampoline_kernelINS0_14default_configENS1_37merge_sort_block_sort_config_selectorIjNS0_10empty_typeEEEZNS1_21merge_sort_block_sortIS3_N6thrust23THRUST_200600_302600_NS6detail15normal_iteratorINS9_10device_ptrIjEEEESE_PS5_SF_11less_div_10IjEEE10hipError_tT0_T1_T2_T3_mRjT4_P12ihipStream_tbNS1_7vsmem_tEEUlT_E_NS1_11comp_targetILNS1_3genE2ELNS1_11target_archE906ELNS1_3gpuE6ELNS1_3repE0EEENS1_30default_config_static_selectorELNS0_4arch9wavefront6targetE0EEEvSK_,"axG",@progbits,_ZN7rocprim17ROCPRIM_400000_NS6detail17trampoline_kernelINS0_14default_configENS1_37merge_sort_block_sort_config_selectorIjNS0_10empty_typeEEEZNS1_21merge_sort_block_sortIS3_N6thrust23THRUST_200600_302600_NS6detail15normal_iteratorINS9_10device_ptrIjEEEESE_PS5_SF_11less_div_10IjEEE10hipError_tT0_T1_T2_T3_mRjT4_P12ihipStream_tbNS1_7vsmem_tEEUlT_E_NS1_11comp_targetILNS1_3genE2ELNS1_11target_archE906ELNS1_3gpuE6ELNS1_3repE0EEENS1_30default_config_static_selectorELNS0_4arch9wavefront6targetE0EEEvSK_,comdat
	.protected	_ZN7rocprim17ROCPRIM_400000_NS6detail17trampoline_kernelINS0_14default_configENS1_37merge_sort_block_sort_config_selectorIjNS0_10empty_typeEEEZNS1_21merge_sort_block_sortIS3_N6thrust23THRUST_200600_302600_NS6detail15normal_iteratorINS9_10device_ptrIjEEEESE_PS5_SF_11less_div_10IjEEE10hipError_tT0_T1_T2_T3_mRjT4_P12ihipStream_tbNS1_7vsmem_tEEUlT_E_NS1_11comp_targetILNS1_3genE2ELNS1_11target_archE906ELNS1_3gpuE6ELNS1_3repE0EEENS1_30default_config_static_selectorELNS0_4arch9wavefront6targetE0EEEvSK_ ; -- Begin function _ZN7rocprim17ROCPRIM_400000_NS6detail17trampoline_kernelINS0_14default_configENS1_37merge_sort_block_sort_config_selectorIjNS0_10empty_typeEEEZNS1_21merge_sort_block_sortIS3_N6thrust23THRUST_200600_302600_NS6detail15normal_iteratorINS9_10device_ptrIjEEEESE_PS5_SF_11less_div_10IjEEE10hipError_tT0_T1_T2_T3_mRjT4_P12ihipStream_tbNS1_7vsmem_tEEUlT_E_NS1_11comp_targetILNS1_3genE2ELNS1_11target_archE906ELNS1_3gpuE6ELNS1_3repE0EEENS1_30default_config_static_selectorELNS0_4arch9wavefront6targetE0EEEvSK_
	.globl	_ZN7rocprim17ROCPRIM_400000_NS6detail17trampoline_kernelINS0_14default_configENS1_37merge_sort_block_sort_config_selectorIjNS0_10empty_typeEEEZNS1_21merge_sort_block_sortIS3_N6thrust23THRUST_200600_302600_NS6detail15normal_iteratorINS9_10device_ptrIjEEEESE_PS5_SF_11less_div_10IjEEE10hipError_tT0_T1_T2_T3_mRjT4_P12ihipStream_tbNS1_7vsmem_tEEUlT_E_NS1_11comp_targetILNS1_3genE2ELNS1_11target_archE906ELNS1_3gpuE6ELNS1_3repE0EEENS1_30default_config_static_selectorELNS0_4arch9wavefront6targetE0EEEvSK_
	.p2align	8
	.type	_ZN7rocprim17ROCPRIM_400000_NS6detail17trampoline_kernelINS0_14default_configENS1_37merge_sort_block_sort_config_selectorIjNS0_10empty_typeEEEZNS1_21merge_sort_block_sortIS3_N6thrust23THRUST_200600_302600_NS6detail15normal_iteratorINS9_10device_ptrIjEEEESE_PS5_SF_11less_div_10IjEEE10hipError_tT0_T1_T2_T3_mRjT4_P12ihipStream_tbNS1_7vsmem_tEEUlT_E_NS1_11comp_targetILNS1_3genE2ELNS1_11target_archE906ELNS1_3gpuE6ELNS1_3repE0EEENS1_30default_config_static_selectorELNS0_4arch9wavefront6targetE0EEEvSK_,@function
_ZN7rocprim17ROCPRIM_400000_NS6detail17trampoline_kernelINS0_14default_configENS1_37merge_sort_block_sort_config_selectorIjNS0_10empty_typeEEEZNS1_21merge_sort_block_sortIS3_N6thrust23THRUST_200600_302600_NS6detail15normal_iteratorINS9_10device_ptrIjEEEESE_PS5_SF_11less_div_10IjEEE10hipError_tT0_T1_T2_T3_mRjT4_P12ihipStream_tbNS1_7vsmem_tEEUlT_E_NS1_11comp_targetILNS1_3genE2ELNS1_11target_archE906ELNS1_3gpuE6ELNS1_3repE0EEENS1_30default_config_static_selectorELNS0_4arch9wavefront6targetE0EEEvSK_: ; @_ZN7rocprim17ROCPRIM_400000_NS6detail17trampoline_kernelINS0_14default_configENS1_37merge_sort_block_sort_config_selectorIjNS0_10empty_typeEEEZNS1_21merge_sort_block_sortIS3_N6thrust23THRUST_200600_302600_NS6detail15normal_iteratorINS9_10device_ptrIjEEEESE_PS5_SF_11less_div_10IjEEE10hipError_tT0_T1_T2_T3_mRjT4_P12ihipStream_tbNS1_7vsmem_tEEUlT_E_NS1_11comp_targetILNS1_3genE2ELNS1_11target_archE906ELNS1_3gpuE6ELNS1_3repE0EEENS1_30default_config_static_selectorELNS0_4arch9wavefront6targetE0EEEvSK_
; %bb.0:
	.section	.rodata,"a",@progbits
	.p2align	6, 0x0
	.amdhsa_kernel _ZN7rocprim17ROCPRIM_400000_NS6detail17trampoline_kernelINS0_14default_configENS1_37merge_sort_block_sort_config_selectorIjNS0_10empty_typeEEEZNS1_21merge_sort_block_sortIS3_N6thrust23THRUST_200600_302600_NS6detail15normal_iteratorINS9_10device_ptrIjEEEESE_PS5_SF_11less_div_10IjEEE10hipError_tT0_T1_T2_T3_mRjT4_P12ihipStream_tbNS1_7vsmem_tEEUlT_E_NS1_11comp_targetILNS1_3genE2ELNS1_11target_archE906ELNS1_3gpuE6ELNS1_3repE0EEENS1_30default_config_static_selectorELNS0_4arch9wavefront6targetE0EEEvSK_
		.amdhsa_group_segment_fixed_size 0
		.amdhsa_private_segment_fixed_size 0
		.amdhsa_kernarg_size 64
		.amdhsa_user_sgpr_count 6
		.amdhsa_user_sgpr_private_segment_buffer 1
		.amdhsa_user_sgpr_dispatch_ptr 0
		.amdhsa_user_sgpr_queue_ptr 0
		.amdhsa_user_sgpr_kernarg_segment_ptr 1
		.amdhsa_user_sgpr_dispatch_id 0
		.amdhsa_user_sgpr_flat_scratch_init 0
		.amdhsa_user_sgpr_private_segment_size 0
		.amdhsa_wavefront_size32 1
		.amdhsa_uses_dynamic_stack 0
		.amdhsa_system_sgpr_private_segment_wavefront_offset 0
		.amdhsa_system_sgpr_workgroup_id_x 1
		.amdhsa_system_sgpr_workgroup_id_y 0
		.amdhsa_system_sgpr_workgroup_id_z 0
		.amdhsa_system_sgpr_workgroup_info 0
		.amdhsa_system_vgpr_workitem_id 0
		.amdhsa_next_free_vgpr 1
		.amdhsa_next_free_sgpr 1
		.amdhsa_reserve_vcc 0
		.amdhsa_reserve_flat_scratch 0
		.amdhsa_float_round_mode_32 0
		.amdhsa_float_round_mode_16_64 0
		.amdhsa_float_denorm_mode_32 3
		.amdhsa_float_denorm_mode_16_64 3
		.amdhsa_dx10_clamp 1
		.amdhsa_ieee_mode 1
		.amdhsa_fp16_overflow 0
		.amdhsa_workgroup_processor_mode 1
		.amdhsa_memory_ordered 1
		.amdhsa_forward_progress 1
		.amdhsa_shared_vgpr_count 0
		.amdhsa_exception_fp_ieee_invalid_op 0
		.amdhsa_exception_fp_denorm_src 0
		.amdhsa_exception_fp_ieee_div_zero 0
		.amdhsa_exception_fp_ieee_overflow 0
		.amdhsa_exception_fp_ieee_underflow 0
		.amdhsa_exception_fp_ieee_inexact 0
		.amdhsa_exception_int_div_zero 0
	.end_amdhsa_kernel
	.section	.text._ZN7rocprim17ROCPRIM_400000_NS6detail17trampoline_kernelINS0_14default_configENS1_37merge_sort_block_sort_config_selectorIjNS0_10empty_typeEEEZNS1_21merge_sort_block_sortIS3_N6thrust23THRUST_200600_302600_NS6detail15normal_iteratorINS9_10device_ptrIjEEEESE_PS5_SF_11less_div_10IjEEE10hipError_tT0_T1_T2_T3_mRjT4_P12ihipStream_tbNS1_7vsmem_tEEUlT_E_NS1_11comp_targetILNS1_3genE2ELNS1_11target_archE906ELNS1_3gpuE6ELNS1_3repE0EEENS1_30default_config_static_selectorELNS0_4arch9wavefront6targetE0EEEvSK_,"axG",@progbits,_ZN7rocprim17ROCPRIM_400000_NS6detail17trampoline_kernelINS0_14default_configENS1_37merge_sort_block_sort_config_selectorIjNS0_10empty_typeEEEZNS1_21merge_sort_block_sortIS3_N6thrust23THRUST_200600_302600_NS6detail15normal_iteratorINS9_10device_ptrIjEEEESE_PS5_SF_11less_div_10IjEEE10hipError_tT0_T1_T2_T3_mRjT4_P12ihipStream_tbNS1_7vsmem_tEEUlT_E_NS1_11comp_targetILNS1_3genE2ELNS1_11target_archE906ELNS1_3gpuE6ELNS1_3repE0EEENS1_30default_config_static_selectorELNS0_4arch9wavefront6targetE0EEEvSK_,comdat
.Lfunc_end142:
	.size	_ZN7rocprim17ROCPRIM_400000_NS6detail17trampoline_kernelINS0_14default_configENS1_37merge_sort_block_sort_config_selectorIjNS0_10empty_typeEEEZNS1_21merge_sort_block_sortIS3_N6thrust23THRUST_200600_302600_NS6detail15normal_iteratorINS9_10device_ptrIjEEEESE_PS5_SF_11less_div_10IjEEE10hipError_tT0_T1_T2_T3_mRjT4_P12ihipStream_tbNS1_7vsmem_tEEUlT_E_NS1_11comp_targetILNS1_3genE2ELNS1_11target_archE906ELNS1_3gpuE6ELNS1_3repE0EEENS1_30default_config_static_selectorELNS0_4arch9wavefront6targetE0EEEvSK_, .Lfunc_end142-_ZN7rocprim17ROCPRIM_400000_NS6detail17trampoline_kernelINS0_14default_configENS1_37merge_sort_block_sort_config_selectorIjNS0_10empty_typeEEEZNS1_21merge_sort_block_sortIS3_N6thrust23THRUST_200600_302600_NS6detail15normal_iteratorINS9_10device_ptrIjEEEESE_PS5_SF_11less_div_10IjEEE10hipError_tT0_T1_T2_T3_mRjT4_P12ihipStream_tbNS1_7vsmem_tEEUlT_E_NS1_11comp_targetILNS1_3genE2ELNS1_11target_archE906ELNS1_3gpuE6ELNS1_3repE0EEENS1_30default_config_static_selectorELNS0_4arch9wavefront6targetE0EEEvSK_
                                        ; -- End function
	.set _ZN7rocprim17ROCPRIM_400000_NS6detail17trampoline_kernelINS0_14default_configENS1_37merge_sort_block_sort_config_selectorIjNS0_10empty_typeEEEZNS1_21merge_sort_block_sortIS3_N6thrust23THRUST_200600_302600_NS6detail15normal_iteratorINS9_10device_ptrIjEEEESE_PS5_SF_11less_div_10IjEEE10hipError_tT0_T1_T2_T3_mRjT4_P12ihipStream_tbNS1_7vsmem_tEEUlT_E_NS1_11comp_targetILNS1_3genE2ELNS1_11target_archE906ELNS1_3gpuE6ELNS1_3repE0EEENS1_30default_config_static_selectorELNS0_4arch9wavefront6targetE0EEEvSK_.num_vgpr, 0
	.set _ZN7rocprim17ROCPRIM_400000_NS6detail17trampoline_kernelINS0_14default_configENS1_37merge_sort_block_sort_config_selectorIjNS0_10empty_typeEEEZNS1_21merge_sort_block_sortIS3_N6thrust23THRUST_200600_302600_NS6detail15normal_iteratorINS9_10device_ptrIjEEEESE_PS5_SF_11less_div_10IjEEE10hipError_tT0_T1_T2_T3_mRjT4_P12ihipStream_tbNS1_7vsmem_tEEUlT_E_NS1_11comp_targetILNS1_3genE2ELNS1_11target_archE906ELNS1_3gpuE6ELNS1_3repE0EEENS1_30default_config_static_selectorELNS0_4arch9wavefront6targetE0EEEvSK_.num_agpr, 0
	.set _ZN7rocprim17ROCPRIM_400000_NS6detail17trampoline_kernelINS0_14default_configENS1_37merge_sort_block_sort_config_selectorIjNS0_10empty_typeEEEZNS1_21merge_sort_block_sortIS3_N6thrust23THRUST_200600_302600_NS6detail15normal_iteratorINS9_10device_ptrIjEEEESE_PS5_SF_11less_div_10IjEEE10hipError_tT0_T1_T2_T3_mRjT4_P12ihipStream_tbNS1_7vsmem_tEEUlT_E_NS1_11comp_targetILNS1_3genE2ELNS1_11target_archE906ELNS1_3gpuE6ELNS1_3repE0EEENS1_30default_config_static_selectorELNS0_4arch9wavefront6targetE0EEEvSK_.numbered_sgpr, 0
	.set _ZN7rocprim17ROCPRIM_400000_NS6detail17trampoline_kernelINS0_14default_configENS1_37merge_sort_block_sort_config_selectorIjNS0_10empty_typeEEEZNS1_21merge_sort_block_sortIS3_N6thrust23THRUST_200600_302600_NS6detail15normal_iteratorINS9_10device_ptrIjEEEESE_PS5_SF_11less_div_10IjEEE10hipError_tT0_T1_T2_T3_mRjT4_P12ihipStream_tbNS1_7vsmem_tEEUlT_E_NS1_11comp_targetILNS1_3genE2ELNS1_11target_archE906ELNS1_3gpuE6ELNS1_3repE0EEENS1_30default_config_static_selectorELNS0_4arch9wavefront6targetE0EEEvSK_.num_named_barrier, 0
	.set _ZN7rocprim17ROCPRIM_400000_NS6detail17trampoline_kernelINS0_14default_configENS1_37merge_sort_block_sort_config_selectorIjNS0_10empty_typeEEEZNS1_21merge_sort_block_sortIS3_N6thrust23THRUST_200600_302600_NS6detail15normal_iteratorINS9_10device_ptrIjEEEESE_PS5_SF_11less_div_10IjEEE10hipError_tT0_T1_T2_T3_mRjT4_P12ihipStream_tbNS1_7vsmem_tEEUlT_E_NS1_11comp_targetILNS1_3genE2ELNS1_11target_archE906ELNS1_3gpuE6ELNS1_3repE0EEENS1_30default_config_static_selectorELNS0_4arch9wavefront6targetE0EEEvSK_.private_seg_size, 0
	.set _ZN7rocprim17ROCPRIM_400000_NS6detail17trampoline_kernelINS0_14default_configENS1_37merge_sort_block_sort_config_selectorIjNS0_10empty_typeEEEZNS1_21merge_sort_block_sortIS3_N6thrust23THRUST_200600_302600_NS6detail15normal_iteratorINS9_10device_ptrIjEEEESE_PS5_SF_11less_div_10IjEEE10hipError_tT0_T1_T2_T3_mRjT4_P12ihipStream_tbNS1_7vsmem_tEEUlT_E_NS1_11comp_targetILNS1_3genE2ELNS1_11target_archE906ELNS1_3gpuE6ELNS1_3repE0EEENS1_30default_config_static_selectorELNS0_4arch9wavefront6targetE0EEEvSK_.uses_vcc, 0
	.set _ZN7rocprim17ROCPRIM_400000_NS6detail17trampoline_kernelINS0_14default_configENS1_37merge_sort_block_sort_config_selectorIjNS0_10empty_typeEEEZNS1_21merge_sort_block_sortIS3_N6thrust23THRUST_200600_302600_NS6detail15normal_iteratorINS9_10device_ptrIjEEEESE_PS5_SF_11less_div_10IjEEE10hipError_tT0_T1_T2_T3_mRjT4_P12ihipStream_tbNS1_7vsmem_tEEUlT_E_NS1_11comp_targetILNS1_3genE2ELNS1_11target_archE906ELNS1_3gpuE6ELNS1_3repE0EEENS1_30default_config_static_selectorELNS0_4arch9wavefront6targetE0EEEvSK_.uses_flat_scratch, 0
	.set _ZN7rocprim17ROCPRIM_400000_NS6detail17trampoline_kernelINS0_14default_configENS1_37merge_sort_block_sort_config_selectorIjNS0_10empty_typeEEEZNS1_21merge_sort_block_sortIS3_N6thrust23THRUST_200600_302600_NS6detail15normal_iteratorINS9_10device_ptrIjEEEESE_PS5_SF_11less_div_10IjEEE10hipError_tT0_T1_T2_T3_mRjT4_P12ihipStream_tbNS1_7vsmem_tEEUlT_E_NS1_11comp_targetILNS1_3genE2ELNS1_11target_archE906ELNS1_3gpuE6ELNS1_3repE0EEENS1_30default_config_static_selectorELNS0_4arch9wavefront6targetE0EEEvSK_.has_dyn_sized_stack, 0
	.set _ZN7rocprim17ROCPRIM_400000_NS6detail17trampoline_kernelINS0_14default_configENS1_37merge_sort_block_sort_config_selectorIjNS0_10empty_typeEEEZNS1_21merge_sort_block_sortIS3_N6thrust23THRUST_200600_302600_NS6detail15normal_iteratorINS9_10device_ptrIjEEEESE_PS5_SF_11less_div_10IjEEE10hipError_tT0_T1_T2_T3_mRjT4_P12ihipStream_tbNS1_7vsmem_tEEUlT_E_NS1_11comp_targetILNS1_3genE2ELNS1_11target_archE906ELNS1_3gpuE6ELNS1_3repE0EEENS1_30default_config_static_selectorELNS0_4arch9wavefront6targetE0EEEvSK_.has_recursion, 0
	.set _ZN7rocprim17ROCPRIM_400000_NS6detail17trampoline_kernelINS0_14default_configENS1_37merge_sort_block_sort_config_selectorIjNS0_10empty_typeEEEZNS1_21merge_sort_block_sortIS3_N6thrust23THRUST_200600_302600_NS6detail15normal_iteratorINS9_10device_ptrIjEEEESE_PS5_SF_11less_div_10IjEEE10hipError_tT0_T1_T2_T3_mRjT4_P12ihipStream_tbNS1_7vsmem_tEEUlT_E_NS1_11comp_targetILNS1_3genE2ELNS1_11target_archE906ELNS1_3gpuE6ELNS1_3repE0EEENS1_30default_config_static_selectorELNS0_4arch9wavefront6targetE0EEEvSK_.has_indirect_call, 0
	.section	.AMDGPU.csdata,"",@progbits
; Kernel info:
; codeLenInByte = 0
; TotalNumSgprs: 0
; NumVgprs: 0
; ScratchSize: 0
; MemoryBound: 0
; FloatMode: 240
; IeeeMode: 1
; LDSByteSize: 0 bytes/workgroup (compile time only)
; SGPRBlocks: 0
; VGPRBlocks: 0
; NumSGPRsForWavesPerEU: 1
; NumVGPRsForWavesPerEU: 1
; Occupancy: 16
; WaveLimiterHint : 0
; COMPUTE_PGM_RSRC2:SCRATCH_EN: 0
; COMPUTE_PGM_RSRC2:USER_SGPR: 6
; COMPUTE_PGM_RSRC2:TRAP_HANDLER: 0
; COMPUTE_PGM_RSRC2:TGID_X_EN: 1
; COMPUTE_PGM_RSRC2:TGID_Y_EN: 0
; COMPUTE_PGM_RSRC2:TGID_Z_EN: 0
; COMPUTE_PGM_RSRC2:TIDIG_COMP_CNT: 0
	.section	.text._ZN7rocprim17ROCPRIM_400000_NS6detail17trampoline_kernelINS0_14default_configENS1_37merge_sort_block_sort_config_selectorIjNS0_10empty_typeEEEZNS1_21merge_sort_block_sortIS3_N6thrust23THRUST_200600_302600_NS6detail15normal_iteratorINS9_10device_ptrIjEEEESE_PS5_SF_11less_div_10IjEEE10hipError_tT0_T1_T2_T3_mRjT4_P12ihipStream_tbNS1_7vsmem_tEEUlT_E_NS1_11comp_targetILNS1_3genE10ELNS1_11target_archE1201ELNS1_3gpuE5ELNS1_3repE0EEENS1_30default_config_static_selectorELNS0_4arch9wavefront6targetE0EEEvSK_,"axG",@progbits,_ZN7rocprim17ROCPRIM_400000_NS6detail17trampoline_kernelINS0_14default_configENS1_37merge_sort_block_sort_config_selectorIjNS0_10empty_typeEEEZNS1_21merge_sort_block_sortIS3_N6thrust23THRUST_200600_302600_NS6detail15normal_iteratorINS9_10device_ptrIjEEEESE_PS5_SF_11less_div_10IjEEE10hipError_tT0_T1_T2_T3_mRjT4_P12ihipStream_tbNS1_7vsmem_tEEUlT_E_NS1_11comp_targetILNS1_3genE10ELNS1_11target_archE1201ELNS1_3gpuE5ELNS1_3repE0EEENS1_30default_config_static_selectorELNS0_4arch9wavefront6targetE0EEEvSK_,comdat
	.protected	_ZN7rocprim17ROCPRIM_400000_NS6detail17trampoline_kernelINS0_14default_configENS1_37merge_sort_block_sort_config_selectorIjNS0_10empty_typeEEEZNS1_21merge_sort_block_sortIS3_N6thrust23THRUST_200600_302600_NS6detail15normal_iteratorINS9_10device_ptrIjEEEESE_PS5_SF_11less_div_10IjEEE10hipError_tT0_T1_T2_T3_mRjT4_P12ihipStream_tbNS1_7vsmem_tEEUlT_E_NS1_11comp_targetILNS1_3genE10ELNS1_11target_archE1201ELNS1_3gpuE5ELNS1_3repE0EEENS1_30default_config_static_selectorELNS0_4arch9wavefront6targetE0EEEvSK_ ; -- Begin function _ZN7rocprim17ROCPRIM_400000_NS6detail17trampoline_kernelINS0_14default_configENS1_37merge_sort_block_sort_config_selectorIjNS0_10empty_typeEEEZNS1_21merge_sort_block_sortIS3_N6thrust23THRUST_200600_302600_NS6detail15normal_iteratorINS9_10device_ptrIjEEEESE_PS5_SF_11less_div_10IjEEE10hipError_tT0_T1_T2_T3_mRjT4_P12ihipStream_tbNS1_7vsmem_tEEUlT_E_NS1_11comp_targetILNS1_3genE10ELNS1_11target_archE1201ELNS1_3gpuE5ELNS1_3repE0EEENS1_30default_config_static_selectorELNS0_4arch9wavefront6targetE0EEEvSK_
	.globl	_ZN7rocprim17ROCPRIM_400000_NS6detail17trampoline_kernelINS0_14default_configENS1_37merge_sort_block_sort_config_selectorIjNS0_10empty_typeEEEZNS1_21merge_sort_block_sortIS3_N6thrust23THRUST_200600_302600_NS6detail15normal_iteratorINS9_10device_ptrIjEEEESE_PS5_SF_11less_div_10IjEEE10hipError_tT0_T1_T2_T3_mRjT4_P12ihipStream_tbNS1_7vsmem_tEEUlT_E_NS1_11comp_targetILNS1_3genE10ELNS1_11target_archE1201ELNS1_3gpuE5ELNS1_3repE0EEENS1_30default_config_static_selectorELNS0_4arch9wavefront6targetE0EEEvSK_
	.p2align	8
	.type	_ZN7rocprim17ROCPRIM_400000_NS6detail17trampoline_kernelINS0_14default_configENS1_37merge_sort_block_sort_config_selectorIjNS0_10empty_typeEEEZNS1_21merge_sort_block_sortIS3_N6thrust23THRUST_200600_302600_NS6detail15normal_iteratorINS9_10device_ptrIjEEEESE_PS5_SF_11less_div_10IjEEE10hipError_tT0_T1_T2_T3_mRjT4_P12ihipStream_tbNS1_7vsmem_tEEUlT_E_NS1_11comp_targetILNS1_3genE10ELNS1_11target_archE1201ELNS1_3gpuE5ELNS1_3repE0EEENS1_30default_config_static_selectorELNS0_4arch9wavefront6targetE0EEEvSK_,@function
_ZN7rocprim17ROCPRIM_400000_NS6detail17trampoline_kernelINS0_14default_configENS1_37merge_sort_block_sort_config_selectorIjNS0_10empty_typeEEEZNS1_21merge_sort_block_sortIS3_N6thrust23THRUST_200600_302600_NS6detail15normal_iteratorINS9_10device_ptrIjEEEESE_PS5_SF_11less_div_10IjEEE10hipError_tT0_T1_T2_T3_mRjT4_P12ihipStream_tbNS1_7vsmem_tEEUlT_E_NS1_11comp_targetILNS1_3genE10ELNS1_11target_archE1201ELNS1_3gpuE5ELNS1_3repE0EEENS1_30default_config_static_selectorELNS0_4arch9wavefront6targetE0EEEvSK_: ; @_ZN7rocprim17ROCPRIM_400000_NS6detail17trampoline_kernelINS0_14default_configENS1_37merge_sort_block_sort_config_selectorIjNS0_10empty_typeEEEZNS1_21merge_sort_block_sortIS3_N6thrust23THRUST_200600_302600_NS6detail15normal_iteratorINS9_10device_ptrIjEEEESE_PS5_SF_11less_div_10IjEEE10hipError_tT0_T1_T2_T3_mRjT4_P12ihipStream_tbNS1_7vsmem_tEEUlT_E_NS1_11comp_targetILNS1_3genE10ELNS1_11target_archE1201ELNS1_3gpuE5ELNS1_3repE0EEENS1_30default_config_static_selectorELNS0_4arch9wavefront6targetE0EEEvSK_
; %bb.0:
	.section	.rodata,"a",@progbits
	.p2align	6, 0x0
	.amdhsa_kernel _ZN7rocprim17ROCPRIM_400000_NS6detail17trampoline_kernelINS0_14default_configENS1_37merge_sort_block_sort_config_selectorIjNS0_10empty_typeEEEZNS1_21merge_sort_block_sortIS3_N6thrust23THRUST_200600_302600_NS6detail15normal_iteratorINS9_10device_ptrIjEEEESE_PS5_SF_11less_div_10IjEEE10hipError_tT0_T1_T2_T3_mRjT4_P12ihipStream_tbNS1_7vsmem_tEEUlT_E_NS1_11comp_targetILNS1_3genE10ELNS1_11target_archE1201ELNS1_3gpuE5ELNS1_3repE0EEENS1_30default_config_static_selectorELNS0_4arch9wavefront6targetE0EEEvSK_
		.amdhsa_group_segment_fixed_size 0
		.amdhsa_private_segment_fixed_size 0
		.amdhsa_kernarg_size 64
		.amdhsa_user_sgpr_count 6
		.amdhsa_user_sgpr_private_segment_buffer 1
		.amdhsa_user_sgpr_dispatch_ptr 0
		.amdhsa_user_sgpr_queue_ptr 0
		.amdhsa_user_sgpr_kernarg_segment_ptr 1
		.amdhsa_user_sgpr_dispatch_id 0
		.amdhsa_user_sgpr_flat_scratch_init 0
		.amdhsa_user_sgpr_private_segment_size 0
		.amdhsa_wavefront_size32 1
		.amdhsa_uses_dynamic_stack 0
		.amdhsa_system_sgpr_private_segment_wavefront_offset 0
		.amdhsa_system_sgpr_workgroup_id_x 1
		.amdhsa_system_sgpr_workgroup_id_y 0
		.amdhsa_system_sgpr_workgroup_id_z 0
		.amdhsa_system_sgpr_workgroup_info 0
		.amdhsa_system_vgpr_workitem_id 0
		.amdhsa_next_free_vgpr 1
		.amdhsa_next_free_sgpr 1
		.amdhsa_reserve_vcc 0
		.amdhsa_reserve_flat_scratch 0
		.amdhsa_float_round_mode_32 0
		.amdhsa_float_round_mode_16_64 0
		.amdhsa_float_denorm_mode_32 3
		.amdhsa_float_denorm_mode_16_64 3
		.amdhsa_dx10_clamp 1
		.amdhsa_ieee_mode 1
		.amdhsa_fp16_overflow 0
		.amdhsa_workgroup_processor_mode 1
		.amdhsa_memory_ordered 1
		.amdhsa_forward_progress 1
		.amdhsa_shared_vgpr_count 0
		.amdhsa_exception_fp_ieee_invalid_op 0
		.amdhsa_exception_fp_denorm_src 0
		.amdhsa_exception_fp_ieee_div_zero 0
		.amdhsa_exception_fp_ieee_overflow 0
		.amdhsa_exception_fp_ieee_underflow 0
		.amdhsa_exception_fp_ieee_inexact 0
		.amdhsa_exception_int_div_zero 0
	.end_amdhsa_kernel
	.section	.text._ZN7rocprim17ROCPRIM_400000_NS6detail17trampoline_kernelINS0_14default_configENS1_37merge_sort_block_sort_config_selectorIjNS0_10empty_typeEEEZNS1_21merge_sort_block_sortIS3_N6thrust23THRUST_200600_302600_NS6detail15normal_iteratorINS9_10device_ptrIjEEEESE_PS5_SF_11less_div_10IjEEE10hipError_tT0_T1_T2_T3_mRjT4_P12ihipStream_tbNS1_7vsmem_tEEUlT_E_NS1_11comp_targetILNS1_3genE10ELNS1_11target_archE1201ELNS1_3gpuE5ELNS1_3repE0EEENS1_30default_config_static_selectorELNS0_4arch9wavefront6targetE0EEEvSK_,"axG",@progbits,_ZN7rocprim17ROCPRIM_400000_NS6detail17trampoline_kernelINS0_14default_configENS1_37merge_sort_block_sort_config_selectorIjNS0_10empty_typeEEEZNS1_21merge_sort_block_sortIS3_N6thrust23THRUST_200600_302600_NS6detail15normal_iteratorINS9_10device_ptrIjEEEESE_PS5_SF_11less_div_10IjEEE10hipError_tT0_T1_T2_T3_mRjT4_P12ihipStream_tbNS1_7vsmem_tEEUlT_E_NS1_11comp_targetILNS1_3genE10ELNS1_11target_archE1201ELNS1_3gpuE5ELNS1_3repE0EEENS1_30default_config_static_selectorELNS0_4arch9wavefront6targetE0EEEvSK_,comdat
.Lfunc_end143:
	.size	_ZN7rocprim17ROCPRIM_400000_NS6detail17trampoline_kernelINS0_14default_configENS1_37merge_sort_block_sort_config_selectorIjNS0_10empty_typeEEEZNS1_21merge_sort_block_sortIS3_N6thrust23THRUST_200600_302600_NS6detail15normal_iteratorINS9_10device_ptrIjEEEESE_PS5_SF_11less_div_10IjEEE10hipError_tT0_T1_T2_T3_mRjT4_P12ihipStream_tbNS1_7vsmem_tEEUlT_E_NS1_11comp_targetILNS1_3genE10ELNS1_11target_archE1201ELNS1_3gpuE5ELNS1_3repE0EEENS1_30default_config_static_selectorELNS0_4arch9wavefront6targetE0EEEvSK_, .Lfunc_end143-_ZN7rocprim17ROCPRIM_400000_NS6detail17trampoline_kernelINS0_14default_configENS1_37merge_sort_block_sort_config_selectorIjNS0_10empty_typeEEEZNS1_21merge_sort_block_sortIS3_N6thrust23THRUST_200600_302600_NS6detail15normal_iteratorINS9_10device_ptrIjEEEESE_PS5_SF_11less_div_10IjEEE10hipError_tT0_T1_T2_T3_mRjT4_P12ihipStream_tbNS1_7vsmem_tEEUlT_E_NS1_11comp_targetILNS1_3genE10ELNS1_11target_archE1201ELNS1_3gpuE5ELNS1_3repE0EEENS1_30default_config_static_selectorELNS0_4arch9wavefront6targetE0EEEvSK_
                                        ; -- End function
	.set _ZN7rocprim17ROCPRIM_400000_NS6detail17trampoline_kernelINS0_14default_configENS1_37merge_sort_block_sort_config_selectorIjNS0_10empty_typeEEEZNS1_21merge_sort_block_sortIS3_N6thrust23THRUST_200600_302600_NS6detail15normal_iteratorINS9_10device_ptrIjEEEESE_PS5_SF_11less_div_10IjEEE10hipError_tT0_T1_T2_T3_mRjT4_P12ihipStream_tbNS1_7vsmem_tEEUlT_E_NS1_11comp_targetILNS1_3genE10ELNS1_11target_archE1201ELNS1_3gpuE5ELNS1_3repE0EEENS1_30default_config_static_selectorELNS0_4arch9wavefront6targetE0EEEvSK_.num_vgpr, 0
	.set _ZN7rocprim17ROCPRIM_400000_NS6detail17trampoline_kernelINS0_14default_configENS1_37merge_sort_block_sort_config_selectorIjNS0_10empty_typeEEEZNS1_21merge_sort_block_sortIS3_N6thrust23THRUST_200600_302600_NS6detail15normal_iteratorINS9_10device_ptrIjEEEESE_PS5_SF_11less_div_10IjEEE10hipError_tT0_T1_T2_T3_mRjT4_P12ihipStream_tbNS1_7vsmem_tEEUlT_E_NS1_11comp_targetILNS1_3genE10ELNS1_11target_archE1201ELNS1_3gpuE5ELNS1_3repE0EEENS1_30default_config_static_selectorELNS0_4arch9wavefront6targetE0EEEvSK_.num_agpr, 0
	.set _ZN7rocprim17ROCPRIM_400000_NS6detail17trampoline_kernelINS0_14default_configENS1_37merge_sort_block_sort_config_selectorIjNS0_10empty_typeEEEZNS1_21merge_sort_block_sortIS3_N6thrust23THRUST_200600_302600_NS6detail15normal_iteratorINS9_10device_ptrIjEEEESE_PS5_SF_11less_div_10IjEEE10hipError_tT0_T1_T2_T3_mRjT4_P12ihipStream_tbNS1_7vsmem_tEEUlT_E_NS1_11comp_targetILNS1_3genE10ELNS1_11target_archE1201ELNS1_3gpuE5ELNS1_3repE0EEENS1_30default_config_static_selectorELNS0_4arch9wavefront6targetE0EEEvSK_.numbered_sgpr, 0
	.set _ZN7rocprim17ROCPRIM_400000_NS6detail17trampoline_kernelINS0_14default_configENS1_37merge_sort_block_sort_config_selectorIjNS0_10empty_typeEEEZNS1_21merge_sort_block_sortIS3_N6thrust23THRUST_200600_302600_NS6detail15normal_iteratorINS9_10device_ptrIjEEEESE_PS5_SF_11less_div_10IjEEE10hipError_tT0_T1_T2_T3_mRjT4_P12ihipStream_tbNS1_7vsmem_tEEUlT_E_NS1_11comp_targetILNS1_3genE10ELNS1_11target_archE1201ELNS1_3gpuE5ELNS1_3repE0EEENS1_30default_config_static_selectorELNS0_4arch9wavefront6targetE0EEEvSK_.num_named_barrier, 0
	.set _ZN7rocprim17ROCPRIM_400000_NS6detail17trampoline_kernelINS0_14default_configENS1_37merge_sort_block_sort_config_selectorIjNS0_10empty_typeEEEZNS1_21merge_sort_block_sortIS3_N6thrust23THRUST_200600_302600_NS6detail15normal_iteratorINS9_10device_ptrIjEEEESE_PS5_SF_11less_div_10IjEEE10hipError_tT0_T1_T2_T3_mRjT4_P12ihipStream_tbNS1_7vsmem_tEEUlT_E_NS1_11comp_targetILNS1_3genE10ELNS1_11target_archE1201ELNS1_3gpuE5ELNS1_3repE0EEENS1_30default_config_static_selectorELNS0_4arch9wavefront6targetE0EEEvSK_.private_seg_size, 0
	.set _ZN7rocprim17ROCPRIM_400000_NS6detail17trampoline_kernelINS0_14default_configENS1_37merge_sort_block_sort_config_selectorIjNS0_10empty_typeEEEZNS1_21merge_sort_block_sortIS3_N6thrust23THRUST_200600_302600_NS6detail15normal_iteratorINS9_10device_ptrIjEEEESE_PS5_SF_11less_div_10IjEEE10hipError_tT0_T1_T2_T3_mRjT4_P12ihipStream_tbNS1_7vsmem_tEEUlT_E_NS1_11comp_targetILNS1_3genE10ELNS1_11target_archE1201ELNS1_3gpuE5ELNS1_3repE0EEENS1_30default_config_static_selectorELNS0_4arch9wavefront6targetE0EEEvSK_.uses_vcc, 0
	.set _ZN7rocprim17ROCPRIM_400000_NS6detail17trampoline_kernelINS0_14default_configENS1_37merge_sort_block_sort_config_selectorIjNS0_10empty_typeEEEZNS1_21merge_sort_block_sortIS3_N6thrust23THRUST_200600_302600_NS6detail15normal_iteratorINS9_10device_ptrIjEEEESE_PS5_SF_11less_div_10IjEEE10hipError_tT0_T1_T2_T3_mRjT4_P12ihipStream_tbNS1_7vsmem_tEEUlT_E_NS1_11comp_targetILNS1_3genE10ELNS1_11target_archE1201ELNS1_3gpuE5ELNS1_3repE0EEENS1_30default_config_static_selectorELNS0_4arch9wavefront6targetE0EEEvSK_.uses_flat_scratch, 0
	.set _ZN7rocprim17ROCPRIM_400000_NS6detail17trampoline_kernelINS0_14default_configENS1_37merge_sort_block_sort_config_selectorIjNS0_10empty_typeEEEZNS1_21merge_sort_block_sortIS3_N6thrust23THRUST_200600_302600_NS6detail15normal_iteratorINS9_10device_ptrIjEEEESE_PS5_SF_11less_div_10IjEEE10hipError_tT0_T1_T2_T3_mRjT4_P12ihipStream_tbNS1_7vsmem_tEEUlT_E_NS1_11comp_targetILNS1_3genE10ELNS1_11target_archE1201ELNS1_3gpuE5ELNS1_3repE0EEENS1_30default_config_static_selectorELNS0_4arch9wavefront6targetE0EEEvSK_.has_dyn_sized_stack, 0
	.set _ZN7rocprim17ROCPRIM_400000_NS6detail17trampoline_kernelINS0_14default_configENS1_37merge_sort_block_sort_config_selectorIjNS0_10empty_typeEEEZNS1_21merge_sort_block_sortIS3_N6thrust23THRUST_200600_302600_NS6detail15normal_iteratorINS9_10device_ptrIjEEEESE_PS5_SF_11less_div_10IjEEE10hipError_tT0_T1_T2_T3_mRjT4_P12ihipStream_tbNS1_7vsmem_tEEUlT_E_NS1_11comp_targetILNS1_3genE10ELNS1_11target_archE1201ELNS1_3gpuE5ELNS1_3repE0EEENS1_30default_config_static_selectorELNS0_4arch9wavefront6targetE0EEEvSK_.has_recursion, 0
	.set _ZN7rocprim17ROCPRIM_400000_NS6detail17trampoline_kernelINS0_14default_configENS1_37merge_sort_block_sort_config_selectorIjNS0_10empty_typeEEEZNS1_21merge_sort_block_sortIS3_N6thrust23THRUST_200600_302600_NS6detail15normal_iteratorINS9_10device_ptrIjEEEESE_PS5_SF_11less_div_10IjEEE10hipError_tT0_T1_T2_T3_mRjT4_P12ihipStream_tbNS1_7vsmem_tEEUlT_E_NS1_11comp_targetILNS1_3genE10ELNS1_11target_archE1201ELNS1_3gpuE5ELNS1_3repE0EEENS1_30default_config_static_selectorELNS0_4arch9wavefront6targetE0EEEvSK_.has_indirect_call, 0
	.section	.AMDGPU.csdata,"",@progbits
; Kernel info:
; codeLenInByte = 0
; TotalNumSgprs: 0
; NumVgprs: 0
; ScratchSize: 0
; MemoryBound: 0
; FloatMode: 240
; IeeeMode: 1
; LDSByteSize: 0 bytes/workgroup (compile time only)
; SGPRBlocks: 0
; VGPRBlocks: 0
; NumSGPRsForWavesPerEU: 1
; NumVGPRsForWavesPerEU: 1
; Occupancy: 16
; WaveLimiterHint : 0
; COMPUTE_PGM_RSRC2:SCRATCH_EN: 0
; COMPUTE_PGM_RSRC2:USER_SGPR: 6
; COMPUTE_PGM_RSRC2:TRAP_HANDLER: 0
; COMPUTE_PGM_RSRC2:TGID_X_EN: 1
; COMPUTE_PGM_RSRC2:TGID_Y_EN: 0
; COMPUTE_PGM_RSRC2:TGID_Z_EN: 0
; COMPUTE_PGM_RSRC2:TIDIG_COMP_CNT: 0
	.section	.text._ZN7rocprim17ROCPRIM_400000_NS6detail17trampoline_kernelINS0_14default_configENS1_37merge_sort_block_sort_config_selectorIjNS0_10empty_typeEEEZNS1_21merge_sort_block_sortIS3_N6thrust23THRUST_200600_302600_NS6detail15normal_iteratorINS9_10device_ptrIjEEEESE_PS5_SF_11less_div_10IjEEE10hipError_tT0_T1_T2_T3_mRjT4_P12ihipStream_tbNS1_7vsmem_tEEUlT_E_NS1_11comp_targetILNS1_3genE10ELNS1_11target_archE1200ELNS1_3gpuE4ELNS1_3repE0EEENS1_30default_config_static_selectorELNS0_4arch9wavefront6targetE0EEEvSK_,"axG",@progbits,_ZN7rocprim17ROCPRIM_400000_NS6detail17trampoline_kernelINS0_14default_configENS1_37merge_sort_block_sort_config_selectorIjNS0_10empty_typeEEEZNS1_21merge_sort_block_sortIS3_N6thrust23THRUST_200600_302600_NS6detail15normal_iteratorINS9_10device_ptrIjEEEESE_PS5_SF_11less_div_10IjEEE10hipError_tT0_T1_T2_T3_mRjT4_P12ihipStream_tbNS1_7vsmem_tEEUlT_E_NS1_11comp_targetILNS1_3genE10ELNS1_11target_archE1200ELNS1_3gpuE4ELNS1_3repE0EEENS1_30default_config_static_selectorELNS0_4arch9wavefront6targetE0EEEvSK_,comdat
	.protected	_ZN7rocprim17ROCPRIM_400000_NS6detail17trampoline_kernelINS0_14default_configENS1_37merge_sort_block_sort_config_selectorIjNS0_10empty_typeEEEZNS1_21merge_sort_block_sortIS3_N6thrust23THRUST_200600_302600_NS6detail15normal_iteratorINS9_10device_ptrIjEEEESE_PS5_SF_11less_div_10IjEEE10hipError_tT0_T1_T2_T3_mRjT4_P12ihipStream_tbNS1_7vsmem_tEEUlT_E_NS1_11comp_targetILNS1_3genE10ELNS1_11target_archE1200ELNS1_3gpuE4ELNS1_3repE0EEENS1_30default_config_static_selectorELNS0_4arch9wavefront6targetE0EEEvSK_ ; -- Begin function _ZN7rocprim17ROCPRIM_400000_NS6detail17trampoline_kernelINS0_14default_configENS1_37merge_sort_block_sort_config_selectorIjNS0_10empty_typeEEEZNS1_21merge_sort_block_sortIS3_N6thrust23THRUST_200600_302600_NS6detail15normal_iteratorINS9_10device_ptrIjEEEESE_PS5_SF_11less_div_10IjEEE10hipError_tT0_T1_T2_T3_mRjT4_P12ihipStream_tbNS1_7vsmem_tEEUlT_E_NS1_11comp_targetILNS1_3genE10ELNS1_11target_archE1200ELNS1_3gpuE4ELNS1_3repE0EEENS1_30default_config_static_selectorELNS0_4arch9wavefront6targetE0EEEvSK_
	.globl	_ZN7rocprim17ROCPRIM_400000_NS6detail17trampoline_kernelINS0_14default_configENS1_37merge_sort_block_sort_config_selectorIjNS0_10empty_typeEEEZNS1_21merge_sort_block_sortIS3_N6thrust23THRUST_200600_302600_NS6detail15normal_iteratorINS9_10device_ptrIjEEEESE_PS5_SF_11less_div_10IjEEE10hipError_tT0_T1_T2_T3_mRjT4_P12ihipStream_tbNS1_7vsmem_tEEUlT_E_NS1_11comp_targetILNS1_3genE10ELNS1_11target_archE1200ELNS1_3gpuE4ELNS1_3repE0EEENS1_30default_config_static_selectorELNS0_4arch9wavefront6targetE0EEEvSK_
	.p2align	8
	.type	_ZN7rocprim17ROCPRIM_400000_NS6detail17trampoline_kernelINS0_14default_configENS1_37merge_sort_block_sort_config_selectorIjNS0_10empty_typeEEEZNS1_21merge_sort_block_sortIS3_N6thrust23THRUST_200600_302600_NS6detail15normal_iteratorINS9_10device_ptrIjEEEESE_PS5_SF_11less_div_10IjEEE10hipError_tT0_T1_T2_T3_mRjT4_P12ihipStream_tbNS1_7vsmem_tEEUlT_E_NS1_11comp_targetILNS1_3genE10ELNS1_11target_archE1200ELNS1_3gpuE4ELNS1_3repE0EEENS1_30default_config_static_selectorELNS0_4arch9wavefront6targetE0EEEvSK_,@function
_ZN7rocprim17ROCPRIM_400000_NS6detail17trampoline_kernelINS0_14default_configENS1_37merge_sort_block_sort_config_selectorIjNS0_10empty_typeEEEZNS1_21merge_sort_block_sortIS3_N6thrust23THRUST_200600_302600_NS6detail15normal_iteratorINS9_10device_ptrIjEEEESE_PS5_SF_11less_div_10IjEEE10hipError_tT0_T1_T2_T3_mRjT4_P12ihipStream_tbNS1_7vsmem_tEEUlT_E_NS1_11comp_targetILNS1_3genE10ELNS1_11target_archE1200ELNS1_3gpuE4ELNS1_3repE0EEENS1_30default_config_static_selectorELNS0_4arch9wavefront6targetE0EEEvSK_: ; @_ZN7rocprim17ROCPRIM_400000_NS6detail17trampoline_kernelINS0_14default_configENS1_37merge_sort_block_sort_config_selectorIjNS0_10empty_typeEEEZNS1_21merge_sort_block_sortIS3_N6thrust23THRUST_200600_302600_NS6detail15normal_iteratorINS9_10device_ptrIjEEEESE_PS5_SF_11less_div_10IjEEE10hipError_tT0_T1_T2_T3_mRjT4_P12ihipStream_tbNS1_7vsmem_tEEUlT_E_NS1_11comp_targetILNS1_3genE10ELNS1_11target_archE1200ELNS1_3gpuE4ELNS1_3repE0EEENS1_30default_config_static_selectorELNS0_4arch9wavefront6targetE0EEEvSK_
; %bb.0:
	.section	.rodata,"a",@progbits
	.p2align	6, 0x0
	.amdhsa_kernel _ZN7rocprim17ROCPRIM_400000_NS6detail17trampoline_kernelINS0_14default_configENS1_37merge_sort_block_sort_config_selectorIjNS0_10empty_typeEEEZNS1_21merge_sort_block_sortIS3_N6thrust23THRUST_200600_302600_NS6detail15normal_iteratorINS9_10device_ptrIjEEEESE_PS5_SF_11less_div_10IjEEE10hipError_tT0_T1_T2_T3_mRjT4_P12ihipStream_tbNS1_7vsmem_tEEUlT_E_NS1_11comp_targetILNS1_3genE10ELNS1_11target_archE1200ELNS1_3gpuE4ELNS1_3repE0EEENS1_30default_config_static_selectorELNS0_4arch9wavefront6targetE0EEEvSK_
		.amdhsa_group_segment_fixed_size 0
		.amdhsa_private_segment_fixed_size 0
		.amdhsa_kernarg_size 64
		.amdhsa_user_sgpr_count 6
		.amdhsa_user_sgpr_private_segment_buffer 1
		.amdhsa_user_sgpr_dispatch_ptr 0
		.amdhsa_user_sgpr_queue_ptr 0
		.amdhsa_user_sgpr_kernarg_segment_ptr 1
		.amdhsa_user_sgpr_dispatch_id 0
		.amdhsa_user_sgpr_flat_scratch_init 0
		.amdhsa_user_sgpr_private_segment_size 0
		.amdhsa_wavefront_size32 1
		.amdhsa_uses_dynamic_stack 0
		.amdhsa_system_sgpr_private_segment_wavefront_offset 0
		.amdhsa_system_sgpr_workgroup_id_x 1
		.amdhsa_system_sgpr_workgroup_id_y 0
		.amdhsa_system_sgpr_workgroup_id_z 0
		.amdhsa_system_sgpr_workgroup_info 0
		.amdhsa_system_vgpr_workitem_id 0
		.amdhsa_next_free_vgpr 1
		.amdhsa_next_free_sgpr 1
		.amdhsa_reserve_vcc 0
		.amdhsa_reserve_flat_scratch 0
		.amdhsa_float_round_mode_32 0
		.amdhsa_float_round_mode_16_64 0
		.amdhsa_float_denorm_mode_32 3
		.amdhsa_float_denorm_mode_16_64 3
		.amdhsa_dx10_clamp 1
		.amdhsa_ieee_mode 1
		.amdhsa_fp16_overflow 0
		.amdhsa_workgroup_processor_mode 1
		.amdhsa_memory_ordered 1
		.amdhsa_forward_progress 1
		.amdhsa_shared_vgpr_count 0
		.amdhsa_exception_fp_ieee_invalid_op 0
		.amdhsa_exception_fp_denorm_src 0
		.amdhsa_exception_fp_ieee_div_zero 0
		.amdhsa_exception_fp_ieee_overflow 0
		.amdhsa_exception_fp_ieee_underflow 0
		.amdhsa_exception_fp_ieee_inexact 0
		.amdhsa_exception_int_div_zero 0
	.end_amdhsa_kernel
	.section	.text._ZN7rocprim17ROCPRIM_400000_NS6detail17trampoline_kernelINS0_14default_configENS1_37merge_sort_block_sort_config_selectorIjNS0_10empty_typeEEEZNS1_21merge_sort_block_sortIS3_N6thrust23THRUST_200600_302600_NS6detail15normal_iteratorINS9_10device_ptrIjEEEESE_PS5_SF_11less_div_10IjEEE10hipError_tT0_T1_T2_T3_mRjT4_P12ihipStream_tbNS1_7vsmem_tEEUlT_E_NS1_11comp_targetILNS1_3genE10ELNS1_11target_archE1200ELNS1_3gpuE4ELNS1_3repE0EEENS1_30default_config_static_selectorELNS0_4arch9wavefront6targetE0EEEvSK_,"axG",@progbits,_ZN7rocprim17ROCPRIM_400000_NS6detail17trampoline_kernelINS0_14default_configENS1_37merge_sort_block_sort_config_selectorIjNS0_10empty_typeEEEZNS1_21merge_sort_block_sortIS3_N6thrust23THRUST_200600_302600_NS6detail15normal_iteratorINS9_10device_ptrIjEEEESE_PS5_SF_11less_div_10IjEEE10hipError_tT0_T1_T2_T3_mRjT4_P12ihipStream_tbNS1_7vsmem_tEEUlT_E_NS1_11comp_targetILNS1_3genE10ELNS1_11target_archE1200ELNS1_3gpuE4ELNS1_3repE0EEENS1_30default_config_static_selectorELNS0_4arch9wavefront6targetE0EEEvSK_,comdat
.Lfunc_end144:
	.size	_ZN7rocprim17ROCPRIM_400000_NS6detail17trampoline_kernelINS0_14default_configENS1_37merge_sort_block_sort_config_selectorIjNS0_10empty_typeEEEZNS1_21merge_sort_block_sortIS3_N6thrust23THRUST_200600_302600_NS6detail15normal_iteratorINS9_10device_ptrIjEEEESE_PS5_SF_11less_div_10IjEEE10hipError_tT0_T1_T2_T3_mRjT4_P12ihipStream_tbNS1_7vsmem_tEEUlT_E_NS1_11comp_targetILNS1_3genE10ELNS1_11target_archE1200ELNS1_3gpuE4ELNS1_3repE0EEENS1_30default_config_static_selectorELNS0_4arch9wavefront6targetE0EEEvSK_, .Lfunc_end144-_ZN7rocprim17ROCPRIM_400000_NS6detail17trampoline_kernelINS0_14default_configENS1_37merge_sort_block_sort_config_selectorIjNS0_10empty_typeEEEZNS1_21merge_sort_block_sortIS3_N6thrust23THRUST_200600_302600_NS6detail15normal_iteratorINS9_10device_ptrIjEEEESE_PS5_SF_11less_div_10IjEEE10hipError_tT0_T1_T2_T3_mRjT4_P12ihipStream_tbNS1_7vsmem_tEEUlT_E_NS1_11comp_targetILNS1_3genE10ELNS1_11target_archE1200ELNS1_3gpuE4ELNS1_3repE0EEENS1_30default_config_static_selectorELNS0_4arch9wavefront6targetE0EEEvSK_
                                        ; -- End function
	.set _ZN7rocprim17ROCPRIM_400000_NS6detail17trampoline_kernelINS0_14default_configENS1_37merge_sort_block_sort_config_selectorIjNS0_10empty_typeEEEZNS1_21merge_sort_block_sortIS3_N6thrust23THRUST_200600_302600_NS6detail15normal_iteratorINS9_10device_ptrIjEEEESE_PS5_SF_11less_div_10IjEEE10hipError_tT0_T1_T2_T3_mRjT4_P12ihipStream_tbNS1_7vsmem_tEEUlT_E_NS1_11comp_targetILNS1_3genE10ELNS1_11target_archE1200ELNS1_3gpuE4ELNS1_3repE0EEENS1_30default_config_static_selectorELNS0_4arch9wavefront6targetE0EEEvSK_.num_vgpr, 0
	.set _ZN7rocprim17ROCPRIM_400000_NS6detail17trampoline_kernelINS0_14default_configENS1_37merge_sort_block_sort_config_selectorIjNS0_10empty_typeEEEZNS1_21merge_sort_block_sortIS3_N6thrust23THRUST_200600_302600_NS6detail15normal_iteratorINS9_10device_ptrIjEEEESE_PS5_SF_11less_div_10IjEEE10hipError_tT0_T1_T2_T3_mRjT4_P12ihipStream_tbNS1_7vsmem_tEEUlT_E_NS1_11comp_targetILNS1_3genE10ELNS1_11target_archE1200ELNS1_3gpuE4ELNS1_3repE0EEENS1_30default_config_static_selectorELNS0_4arch9wavefront6targetE0EEEvSK_.num_agpr, 0
	.set _ZN7rocprim17ROCPRIM_400000_NS6detail17trampoline_kernelINS0_14default_configENS1_37merge_sort_block_sort_config_selectorIjNS0_10empty_typeEEEZNS1_21merge_sort_block_sortIS3_N6thrust23THRUST_200600_302600_NS6detail15normal_iteratorINS9_10device_ptrIjEEEESE_PS5_SF_11less_div_10IjEEE10hipError_tT0_T1_T2_T3_mRjT4_P12ihipStream_tbNS1_7vsmem_tEEUlT_E_NS1_11comp_targetILNS1_3genE10ELNS1_11target_archE1200ELNS1_3gpuE4ELNS1_3repE0EEENS1_30default_config_static_selectorELNS0_4arch9wavefront6targetE0EEEvSK_.numbered_sgpr, 0
	.set _ZN7rocprim17ROCPRIM_400000_NS6detail17trampoline_kernelINS0_14default_configENS1_37merge_sort_block_sort_config_selectorIjNS0_10empty_typeEEEZNS1_21merge_sort_block_sortIS3_N6thrust23THRUST_200600_302600_NS6detail15normal_iteratorINS9_10device_ptrIjEEEESE_PS5_SF_11less_div_10IjEEE10hipError_tT0_T1_T2_T3_mRjT4_P12ihipStream_tbNS1_7vsmem_tEEUlT_E_NS1_11comp_targetILNS1_3genE10ELNS1_11target_archE1200ELNS1_3gpuE4ELNS1_3repE0EEENS1_30default_config_static_selectorELNS0_4arch9wavefront6targetE0EEEvSK_.num_named_barrier, 0
	.set _ZN7rocprim17ROCPRIM_400000_NS6detail17trampoline_kernelINS0_14default_configENS1_37merge_sort_block_sort_config_selectorIjNS0_10empty_typeEEEZNS1_21merge_sort_block_sortIS3_N6thrust23THRUST_200600_302600_NS6detail15normal_iteratorINS9_10device_ptrIjEEEESE_PS5_SF_11less_div_10IjEEE10hipError_tT0_T1_T2_T3_mRjT4_P12ihipStream_tbNS1_7vsmem_tEEUlT_E_NS1_11comp_targetILNS1_3genE10ELNS1_11target_archE1200ELNS1_3gpuE4ELNS1_3repE0EEENS1_30default_config_static_selectorELNS0_4arch9wavefront6targetE0EEEvSK_.private_seg_size, 0
	.set _ZN7rocprim17ROCPRIM_400000_NS6detail17trampoline_kernelINS0_14default_configENS1_37merge_sort_block_sort_config_selectorIjNS0_10empty_typeEEEZNS1_21merge_sort_block_sortIS3_N6thrust23THRUST_200600_302600_NS6detail15normal_iteratorINS9_10device_ptrIjEEEESE_PS5_SF_11less_div_10IjEEE10hipError_tT0_T1_T2_T3_mRjT4_P12ihipStream_tbNS1_7vsmem_tEEUlT_E_NS1_11comp_targetILNS1_3genE10ELNS1_11target_archE1200ELNS1_3gpuE4ELNS1_3repE0EEENS1_30default_config_static_selectorELNS0_4arch9wavefront6targetE0EEEvSK_.uses_vcc, 0
	.set _ZN7rocprim17ROCPRIM_400000_NS6detail17trampoline_kernelINS0_14default_configENS1_37merge_sort_block_sort_config_selectorIjNS0_10empty_typeEEEZNS1_21merge_sort_block_sortIS3_N6thrust23THRUST_200600_302600_NS6detail15normal_iteratorINS9_10device_ptrIjEEEESE_PS5_SF_11less_div_10IjEEE10hipError_tT0_T1_T2_T3_mRjT4_P12ihipStream_tbNS1_7vsmem_tEEUlT_E_NS1_11comp_targetILNS1_3genE10ELNS1_11target_archE1200ELNS1_3gpuE4ELNS1_3repE0EEENS1_30default_config_static_selectorELNS0_4arch9wavefront6targetE0EEEvSK_.uses_flat_scratch, 0
	.set _ZN7rocprim17ROCPRIM_400000_NS6detail17trampoline_kernelINS0_14default_configENS1_37merge_sort_block_sort_config_selectorIjNS0_10empty_typeEEEZNS1_21merge_sort_block_sortIS3_N6thrust23THRUST_200600_302600_NS6detail15normal_iteratorINS9_10device_ptrIjEEEESE_PS5_SF_11less_div_10IjEEE10hipError_tT0_T1_T2_T3_mRjT4_P12ihipStream_tbNS1_7vsmem_tEEUlT_E_NS1_11comp_targetILNS1_3genE10ELNS1_11target_archE1200ELNS1_3gpuE4ELNS1_3repE0EEENS1_30default_config_static_selectorELNS0_4arch9wavefront6targetE0EEEvSK_.has_dyn_sized_stack, 0
	.set _ZN7rocprim17ROCPRIM_400000_NS6detail17trampoline_kernelINS0_14default_configENS1_37merge_sort_block_sort_config_selectorIjNS0_10empty_typeEEEZNS1_21merge_sort_block_sortIS3_N6thrust23THRUST_200600_302600_NS6detail15normal_iteratorINS9_10device_ptrIjEEEESE_PS5_SF_11less_div_10IjEEE10hipError_tT0_T1_T2_T3_mRjT4_P12ihipStream_tbNS1_7vsmem_tEEUlT_E_NS1_11comp_targetILNS1_3genE10ELNS1_11target_archE1200ELNS1_3gpuE4ELNS1_3repE0EEENS1_30default_config_static_selectorELNS0_4arch9wavefront6targetE0EEEvSK_.has_recursion, 0
	.set _ZN7rocprim17ROCPRIM_400000_NS6detail17trampoline_kernelINS0_14default_configENS1_37merge_sort_block_sort_config_selectorIjNS0_10empty_typeEEEZNS1_21merge_sort_block_sortIS3_N6thrust23THRUST_200600_302600_NS6detail15normal_iteratorINS9_10device_ptrIjEEEESE_PS5_SF_11less_div_10IjEEE10hipError_tT0_T1_T2_T3_mRjT4_P12ihipStream_tbNS1_7vsmem_tEEUlT_E_NS1_11comp_targetILNS1_3genE10ELNS1_11target_archE1200ELNS1_3gpuE4ELNS1_3repE0EEENS1_30default_config_static_selectorELNS0_4arch9wavefront6targetE0EEEvSK_.has_indirect_call, 0
	.section	.AMDGPU.csdata,"",@progbits
; Kernel info:
; codeLenInByte = 0
; TotalNumSgprs: 0
; NumVgprs: 0
; ScratchSize: 0
; MemoryBound: 0
; FloatMode: 240
; IeeeMode: 1
; LDSByteSize: 0 bytes/workgroup (compile time only)
; SGPRBlocks: 0
; VGPRBlocks: 0
; NumSGPRsForWavesPerEU: 1
; NumVGPRsForWavesPerEU: 1
; Occupancy: 16
; WaveLimiterHint : 0
; COMPUTE_PGM_RSRC2:SCRATCH_EN: 0
; COMPUTE_PGM_RSRC2:USER_SGPR: 6
; COMPUTE_PGM_RSRC2:TRAP_HANDLER: 0
; COMPUTE_PGM_RSRC2:TGID_X_EN: 1
; COMPUTE_PGM_RSRC2:TGID_Y_EN: 0
; COMPUTE_PGM_RSRC2:TGID_Z_EN: 0
; COMPUTE_PGM_RSRC2:TIDIG_COMP_CNT: 0
	.section	.text._ZN7rocprim17ROCPRIM_400000_NS6detail17trampoline_kernelINS0_14default_configENS1_37merge_sort_block_sort_config_selectorIjNS0_10empty_typeEEEZNS1_21merge_sort_block_sortIS3_N6thrust23THRUST_200600_302600_NS6detail15normal_iteratorINS9_10device_ptrIjEEEESE_PS5_SF_11less_div_10IjEEE10hipError_tT0_T1_T2_T3_mRjT4_P12ihipStream_tbNS1_7vsmem_tEEUlT_E_NS1_11comp_targetILNS1_3genE9ELNS1_11target_archE1100ELNS1_3gpuE3ELNS1_3repE0EEENS1_30default_config_static_selectorELNS0_4arch9wavefront6targetE0EEEvSK_,"axG",@progbits,_ZN7rocprim17ROCPRIM_400000_NS6detail17trampoline_kernelINS0_14default_configENS1_37merge_sort_block_sort_config_selectorIjNS0_10empty_typeEEEZNS1_21merge_sort_block_sortIS3_N6thrust23THRUST_200600_302600_NS6detail15normal_iteratorINS9_10device_ptrIjEEEESE_PS5_SF_11less_div_10IjEEE10hipError_tT0_T1_T2_T3_mRjT4_P12ihipStream_tbNS1_7vsmem_tEEUlT_E_NS1_11comp_targetILNS1_3genE9ELNS1_11target_archE1100ELNS1_3gpuE3ELNS1_3repE0EEENS1_30default_config_static_selectorELNS0_4arch9wavefront6targetE0EEEvSK_,comdat
	.protected	_ZN7rocprim17ROCPRIM_400000_NS6detail17trampoline_kernelINS0_14default_configENS1_37merge_sort_block_sort_config_selectorIjNS0_10empty_typeEEEZNS1_21merge_sort_block_sortIS3_N6thrust23THRUST_200600_302600_NS6detail15normal_iteratorINS9_10device_ptrIjEEEESE_PS5_SF_11less_div_10IjEEE10hipError_tT0_T1_T2_T3_mRjT4_P12ihipStream_tbNS1_7vsmem_tEEUlT_E_NS1_11comp_targetILNS1_3genE9ELNS1_11target_archE1100ELNS1_3gpuE3ELNS1_3repE0EEENS1_30default_config_static_selectorELNS0_4arch9wavefront6targetE0EEEvSK_ ; -- Begin function _ZN7rocprim17ROCPRIM_400000_NS6detail17trampoline_kernelINS0_14default_configENS1_37merge_sort_block_sort_config_selectorIjNS0_10empty_typeEEEZNS1_21merge_sort_block_sortIS3_N6thrust23THRUST_200600_302600_NS6detail15normal_iteratorINS9_10device_ptrIjEEEESE_PS5_SF_11less_div_10IjEEE10hipError_tT0_T1_T2_T3_mRjT4_P12ihipStream_tbNS1_7vsmem_tEEUlT_E_NS1_11comp_targetILNS1_3genE9ELNS1_11target_archE1100ELNS1_3gpuE3ELNS1_3repE0EEENS1_30default_config_static_selectorELNS0_4arch9wavefront6targetE0EEEvSK_
	.globl	_ZN7rocprim17ROCPRIM_400000_NS6detail17trampoline_kernelINS0_14default_configENS1_37merge_sort_block_sort_config_selectorIjNS0_10empty_typeEEEZNS1_21merge_sort_block_sortIS3_N6thrust23THRUST_200600_302600_NS6detail15normal_iteratorINS9_10device_ptrIjEEEESE_PS5_SF_11less_div_10IjEEE10hipError_tT0_T1_T2_T3_mRjT4_P12ihipStream_tbNS1_7vsmem_tEEUlT_E_NS1_11comp_targetILNS1_3genE9ELNS1_11target_archE1100ELNS1_3gpuE3ELNS1_3repE0EEENS1_30default_config_static_selectorELNS0_4arch9wavefront6targetE0EEEvSK_
	.p2align	8
	.type	_ZN7rocprim17ROCPRIM_400000_NS6detail17trampoline_kernelINS0_14default_configENS1_37merge_sort_block_sort_config_selectorIjNS0_10empty_typeEEEZNS1_21merge_sort_block_sortIS3_N6thrust23THRUST_200600_302600_NS6detail15normal_iteratorINS9_10device_ptrIjEEEESE_PS5_SF_11less_div_10IjEEE10hipError_tT0_T1_T2_T3_mRjT4_P12ihipStream_tbNS1_7vsmem_tEEUlT_E_NS1_11comp_targetILNS1_3genE9ELNS1_11target_archE1100ELNS1_3gpuE3ELNS1_3repE0EEENS1_30default_config_static_selectorELNS0_4arch9wavefront6targetE0EEEvSK_,@function
_ZN7rocprim17ROCPRIM_400000_NS6detail17trampoline_kernelINS0_14default_configENS1_37merge_sort_block_sort_config_selectorIjNS0_10empty_typeEEEZNS1_21merge_sort_block_sortIS3_N6thrust23THRUST_200600_302600_NS6detail15normal_iteratorINS9_10device_ptrIjEEEESE_PS5_SF_11less_div_10IjEEE10hipError_tT0_T1_T2_T3_mRjT4_P12ihipStream_tbNS1_7vsmem_tEEUlT_E_NS1_11comp_targetILNS1_3genE9ELNS1_11target_archE1100ELNS1_3gpuE3ELNS1_3repE0EEENS1_30default_config_static_selectorELNS0_4arch9wavefront6targetE0EEEvSK_: ; @_ZN7rocprim17ROCPRIM_400000_NS6detail17trampoline_kernelINS0_14default_configENS1_37merge_sort_block_sort_config_selectorIjNS0_10empty_typeEEEZNS1_21merge_sort_block_sortIS3_N6thrust23THRUST_200600_302600_NS6detail15normal_iteratorINS9_10device_ptrIjEEEESE_PS5_SF_11less_div_10IjEEE10hipError_tT0_T1_T2_T3_mRjT4_P12ihipStream_tbNS1_7vsmem_tEEUlT_E_NS1_11comp_targetILNS1_3genE9ELNS1_11target_archE1100ELNS1_3gpuE3ELNS1_3repE0EEENS1_30default_config_static_selectorELNS0_4arch9wavefront6targetE0EEEvSK_
; %bb.0:
	.section	.rodata,"a",@progbits
	.p2align	6, 0x0
	.amdhsa_kernel _ZN7rocprim17ROCPRIM_400000_NS6detail17trampoline_kernelINS0_14default_configENS1_37merge_sort_block_sort_config_selectorIjNS0_10empty_typeEEEZNS1_21merge_sort_block_sortIS3_N6thrust23THRUST_200600_302600_NS6detail15normal_iteratorINS9_10device_ptrIjEEEESE_PS5_SF_11less_div_10IjEEE10hipError_tT0_T1_T2_T3_mRjT4_P12ihipStream_tbNS1_7vsmem_tEEUlT_E_NS1_11comp_targetILNS1_3genE9ELNS1_11target_archE1100ELNS1_3gpuE3ELNS1_3repE0EEENS1_30default_config_static_selectorELNS0_4arch9wavefront6targetE0EEEvSK_
		.amdhsa_group_segment_fixed_size 0
		.amdhsa_private_segment_fixed_size 0
		.amdhsa_kernarg_size 64
		.amdhsa_user_sgpr_count 6
		.amdhsa_user_sgpr_private_segment_buffer 1
		.amdhsa_user_sgpr_dispatch_ptr 0
		.amdhsa_user_sgpr_queue_ptr 0
		.amdhsa_user_sgpr_kernarg_segment_ptr 1
		.amdhsa_user_sgpr_dispatch_id 0
		.amdhsa_user_sgpr_flat_scratch_init 0
		.amdhsa_user_sgpr_private_segment_size 0
		.amdhsa_wavefront_size32 1
		.amdhsa_uses_dynamic_stack 0
		.amdhsa_system_sgpr_private_segment_wavefront_offset 0
		.amdhsa_system_sgpr_workgroup_id_x 1
		.amdhsa_system_sgpr_workgroup_id_y 0
		.amdhsa_system_sgpr_workgroup_id_z 0
		.amdhsa_system_sgpr_workgroup_info 0
		.amdhsa_system_vgpr_workitem_id 0
		.amdhsa_next_free_vgpr 1
		.amdhsa_next_free_sgpr 1
		.amdhsa_reserve_vcc 0
		.amdhsa_reserve_flat_scratch 0
		.amdhsa_float_round_mode_32 0
		.amdhsa_float_round_mode_16_64 0
		.amdhsa_float_denorm_mode_32 3
		.amdhsa_float_denorm_mode_16_64 3
		.amdhsa_dx10_clamp 1
		.amdhsa_ieee_mode 1
		.amdhsa_fp16_overflow 0
		.amdhsa_workgroup_processor_mode 1
		.amdhsa_memory_ordered 1
		.amdhsa_forward_progress 1
		.amdhsa_shared_vgpr_count 0
		.amdhsa_exception_fp_ieee_invalid_op 0
		.amdhsa_exception_fp_denorm_src 0
		.amdhsa_exception_fp_ieee_div_zero 0
		.amdhsa_exception_fp_ieee_overflow 0
		.amdhsa_exception_fp_ieee_underflow 0
		.amdhsa_exception_fp_ieee_inexact 0
		.amdhsa_exception_int_div_zero 0
	.end_amdhsa_kernel
	.section	.text._ZN7rocprim17ROCPRIM_400000_NS6detail17trampoline_kernelINS0_14default_configENS1_37merge_sort_block_sort_config_selectorIjNS0_10empty_typeEEEZNS1_21merge_sort_block_sortIS3_N6thrust23THRUST_200600_302600_NS6detail15normal_iteratorINS9_10device_ptrIjEEEESE_PS5_SF_11less_div_10IjEEE10hipError_tT0_T1_T2_T3_mRjT4_P12ihipStream_tbNS1_7vsmem_tEEUlT_E_NS1_11comp_targetILNS1_3genE9ELNS1_11target_archE1100ELNS1_3gpuE3ELNS1_3repE0EEENS1_30default_config_static_selectorELNS0_4arch9wavefront6targetE0EEEvSK_,"axG",@progbits,_ZN7rocprim17ROCPRIM_400000_NS6detail17trampoline_kernelINS0_14default_configENS1_37merge_sort_block_sort_config_selectorIjNS0_10empty_typeEEEZNS1_21merge_sort_block_sortIS3_N6thrust23THRUST_200600_302600_NS6detail15normal_iteratorINS9_10device_ptrIjEEEESE_PS5_SF_11less_div_10IjEEE10hipError_tT0_T1_T2_T3_mRjT4_P12ihipStream_tbNS1_7vsmem_tEEUlT_E_NS1_11comp_targetILNS1_3genE9ELNS1_11target_archE1100ELNS1_3gpuE3ELNS1_3repE0EEENS1_30default_config_static_selectorELNS0_4arch9wavefront6targetE0EEEvSK_,comdat
.Lfunc_end145:
	.size	_ZN7rocprim17ROCPRIM_400000_NS6detail17trampoline_kernelINS0_14default_configENS1_37merge_sort_block_sort_config_selectorIjNS0_10empty_typeEEEZNS1_21merge_sort_block_sortIS3_N6thrust23THRUST_200600_302600_NS6detail15normal_iteratorINS9_10device_ptrIjEEEESE_PS5_SF_11less_div_10IjEEE10hipError_tT0_T1_T2_T3_mRjT4_P12ihipStream_tbNS1_7vsmem_tEEUlT_E_NS1_11comp_targetILNS1_3genE9ELNS1_11target_archE1100ELNS1_3gpuE3ELNS1_3repE0EEENS1_30default_config_static_selectorELNS0_4arch9wavefront6targetE0EEEvSK_, .Lfunc_end145-_ZN7rocprim17ROCPRIM_400000_NS6detail17trampoline_kernelINS0_14default_configENS1_37merge_sort_block_sort_config_selectorIjNS0_10empty_typeEEEZNS1_21merge_sort_block_sortIS3_N6thrust23THRUST_200600_302600_NS6detail15normal_iteratorINS9_10device_ptrIjEEEESE_PS5_SF_11less_div_10IjEEE10hipError_tT0_T1_T2_T3_mRjT4_P12ihipStream_tbNS1_7vsmem_tEEUlT_E_NS1_11comp_targetILNS1_3genE9ELNS1_11target_archE1100ELNS1_3gpuE3ELNS1_3repE0EEENS1_30default_config_static_selectorELNS0_4arch9wavefront6targetE0EEEvSK_
                                        ; -- End function
	.set _ZN7rocprim17ROCPRIM_400000_NS6detail17trampoline_kernelINS0_14default_configENS1_37merge_sort_block_sort_config_selectorIjNS0_10empty_typeEEEZNS1_21merge_sort_block_sortIS3_N6thrust23THRUST_200600_302600_NS6detail15normal_iteratorINS9_10device_ptrIjEEEESE_PS5_SF_11less_div_10IjEEE10hipError_tT0_T1_T2_T3_mRjT4_P12ihipStream_tbNS1_7vsmem_tEEUlT_E_NS1_11comp_targetILNS1_3genE9ELNS1_11target_archE1100ELNS1_3gpuE3ELNS1_3repE0EEENS1_30default_config_static_selectorELNS0_4arch9wavefront6targetE0EEEvSK_.num_vgpr, 0
	.set _ZN7rocprim17ROCPRIM_400000_NS6detail17trampoline_kernelINS0_14default_configENS1_37merge_sort_block_sort_config_selectorIjNS0_10empty_typeEEEZNS1_21merge_sort_block_sortIS3_N6thrust23THRUST_200600_302600_NS6detail15normal_iteratorINS9_10device_ptrIjEEEESE_PS5_SF_11less_div_10IjEEE10hipError_tT0_T1_T2_T3_mRjT4_P12ihipStream_tbNS1_7vsmem_tEEUlT_E_NS1_11comp_targetILNS1_3genE9ELNS1_11target_archE1100ELNS1_3gpuE3ELNS1_3repE0EEENS1_30default_config_static_selectorELNS0_4arch9wavefront6targetE0EEEvSK_.num_agpr, 0
	.set _ZN7rocprim17ROCPRIM_400000_NS6detail17trampoline_kernelINS0_14default_configENS1_37merge_sort_block_sort_config_selectorIjNS0_10empty_typeEEEZNS1_21merge_sort_block_sortIS3_N6thrust23THRUST_200600_302600_NS6detail15normal_iteratorINS9_10device_ptrIjEEEESE_PS5_SF_11less_div_10IjEEE10hipError_tT0_T1_T2_T3_mRjT4_P12ihipStream_tbNS1_7vsmem_tEEUlT_E_NS1_11comp_targetILNS1_3genE9ELNS1_11target_archE1100ELNS1_3gpuE3ELNS1_3repE0EEENS1_30default_config_static_selectorELNS0_4arch9wavefront6targetE0EEEvSK_.numbered_sgpr, 0
	.set _ZN7rocprim17ROCPRIM_400000_NS6detail17trampoline_kernelINS0_14default_configENS1_37merge_sort_block_sort_config_selectorIjNS0_10empty_typeEEEZNS1_21merge_sort_block_sortIS3_N6thrust23THRUST_200600_302600_NS6detail15normal_iteratorINS9_10device_ptrIjEEEESE_PS5_SF_11less_div_10IjEEE10hipError_tT0_T1_T2_T3_mRjT4_P12ihipStream_tbNS1_7vsmem_tEEUlT_E_NS1_11comp_targetILNS1_3genE9ELNS1_11target_archE1100ELNS1_3gpuE3ELNS1_3repE0EEENS1_30default_config_static_selectorELNS0_4arch9wavefront6targetE0EEEvSK_.num_named_barrier, 0
	.set _ZN7rocprim17ROCPRIM_400000_NS6detail17trampoline_kernelINS0_14default_configENS1_37merge_sort_block_sort_config_selectorIjNS0_10empty_typeEEEZNS1_21merge_sort_block_sortIS3_N6thrust23THRUST_200600_302600_NS6detail15normal_iteratorINS9_10device_ptrIjEEEESE_PS5_SF_11less_div_10IjEEE10hipError_tT0_T1_T2_T3_mRjT4_P12ihipStream_tbNS1_7vsmem_tEEUlT_E_NS1_11comp_targetILNS1_3genE9ELNS1_11target_archE1100ELNS1_3gpuE3ELNS1_3repE0EEENS1_30default_config_static_selectorELNS0_4arch9wavefront6targetE0EEEvSK_.private_seg_size, 0
	.set _ZN7rocprim17ROCPRIM_400000_NS6detail17trampoline_kernelINS0_14default_configENS1_37merge_sort_block_sort_config_selectorIjNS0_10empty_typeEEEZNS1_21merge_sort_block_sortIS3_N6thrust23THRUST_200600_302600_NS6detail15normal_iteratorINS9_10device_ptrIjEEEESE_PS5_SF_11less_div_10IjEEE10hipError_tT0_T1_T2_T3_mRjT4_P12ihipStream_tbNS1_7vsmem_tEEUlT_E_NS1_11comp_targetILNS1_3genE9ELNS1_11target_archE1100ELNS1_3gpuE3ELNS1_3repE0EEENS1_30default_config_static_selectorELNS0_4arch9wavefront6targetE0EEEvSK_.uses_vcc, 0
	.set _ZN7rocprim17ROCPRIM_400000_NS6detail17trampoline_kernelINS0_14default_configENS1_37merge_sort_block_sort_config_selectorIjNS0_10empty_typeEEEZNS1_21merge_sort_block_sortIS3_N6thrust23THRUST_200600_302600_NS6detail15normal_iteratorINS9_10device_ptrIjEEEESE_PS5_SF_11less_div_10IjEEE10hipError_tT0_T1_T2_T3_mRjT4_P12ihipStream_tbNS1_7vsmem_tEEUlT_E_NS1_11comp_targetILNS1_3genE9ELNS1_11target_archE1100ELNS1_3gpuE3ELNS1_3repE0EEENS1_30default_config_static_selectorELNS0_4arch9wavefront6targetE0EEEvSK_.uses_flat_scratch, 0
	.set _ZN7rocprim17ROCPRIM_400000_NS6detail17trampoline_kernelINS0_14default_configENS1_37merge_sort_block_sort_config_selectorIjNS0_10empty_typeEEEZNS1_21merge_sort_block_sortIS3_N6thrust23THRUST_200600_302600_NS6detail15normal_iteratorINS9_10device_ptrIjEEEESE_PS5_SF_11less_div_10IjEEE10hipError_tT0_T1_T2_T3_mRjT4_P12ihipStream_tbNS1_7vsmem_tEEUlT_E_NS1_11comp_targetILNS1_3genE9ELNS1_11target_archE1100ELNS1_3gpuE3ELNS1_3repE0EEENS1_30default_config_static_selectorELNS0_4arch9wavefront6targetE0EEEvSK_.has_dyn_sized_stack, 0
	.set _ZN7rocprim17ROCPRIM_400000_NS6detail17trampoline_kernelINS0_14default_configENS1_37merge_sort_block_sort_config_selectorIjNS0_10empty_typeEEEZNS1_21merge_sort_block_sortIS3_N6thrust23THRUST_200600_302600_NS6detail15normal_iteratorINS9_10device_ptrIjEEEESE_PS5_SF_11less_div_10IjEEE10hipError_tT0_T1_T2_T3_mRjT4_P12ihipStream_tbNS1_7vsmem_tEEUlT_E_NS1_11comp_targetILNS1_3genE9ELNS1_11target_archE1100ELNS1_3gpuE3ELNS1_3repE0EEENS1_30default_config_static_selectorELNS0_4arch9wavefront6targetE0EEEvSK_.has_recursion, 0
	.set _ZN7rocprim17ROCPRIM_400000_NS6detail17trampoline_kernelINS0_14default_configENS1_37merge_sort_block_sort_config_selectorIjNS0_10empty_typeEEEZNS1_21merge_sort_block_sortIS3_N6thrust23THRUST_200600_302600_NS6detail15normal_iteratorINS9_10device_ptrIjEEEESE_PS5_SF_11less_div_10IjEEE10hipError_tT0_T1_T2_T3_mRjT4_P12ihipStream_tbNS1_7vsmem_tEEUlT_E_NS1_11comp_targetILNS1_3genE9ELNS1_11target_archE1100ELNS1_3gpuE3ELNS1_3repE0EEENS1_30default_config_static_selectorELNS0_4arch9wavefront6targetE0EEEvSK_.has_indirect_call, 0
	.section	.AMDGPU.csdata,"",@progbits
; Kernel info:
; codeLenInByte = 0
; TotalNumSgprs: 0
; NumVgprs: 0
; ScratchSize: 0
; MemoryBound: 0
; FloatMode: 240
; IeeeMode: 1
; LDSByteSize: 0 bytes/workgroup (compile time only)
; SGPRBlocks: 0
; VGPRBlocks: 0
; NumSGPRsForWavesPerEU: 1
; NumVGPRsForWavesPerEU: 1
; Occupancy: 16
; WaveLimiterHint : 0
; COMPUTE_PGM_RSRC2:SCRATCH_EN: 0
; COMPUTE_PGM_RSRC2:USER_SGPR: 6
; COMPUTE_PGM_RSRC2:TRAP_HANDLER: 0
; COMPUTE_PGM_RSRC2:TGID_X_EN: 1
; COMPUTE_PGM_RSRC2:TGID_Y_EN: 0
; COMPUTE_PGM_RSRC2:TGID_Z_EN: 0
; COMPUTE_PGM_RSRC2:TIDIG_COMP_CNT: 0
	.section	.text._ZN7rocprim17ROCPRIM_400000_NS6detail17trampoline_kernelINS0_14default_configENS1_37merge_sort_block_sort_config_selectorIjNS0_10empty_typeEEEZNS1_21merge_sort_block_sortIS3_N6thrust23THRUST_200600_302600_NS6detail15normal_iteratorINS9_10device_ptrIjEEEESE_PS5_SF_11less_div_10IjEEE10hipError_tT0_T1_T2_T3_mRjT4_P12ihipStream_tbNS1_7vsmem_tEEUlT_E_NS1_11comp_targetILNS1_3genE8ELNS1_11target_archE1030ELNS1_3gpuE2ELNS1_3repE0EEENS1_30default_config_static_selectorELNS0_4arch9wavefront6targetE0EEEvSK_,"axG",@progbits,_ZN7rocprim17ROCPRIM_400000_NS6detail17trampoline_kernelINS0_14default_configENS1_37merge_sort_block_sort_config_selectorIjNS0_10empty_typeEEEZNS1_21merge_sort_block_sortIS3_N6thrust23THRUST_200600_302600_NS6detail15normal_iteratorINS9_10device_ptrIjEEEESE_PS5_SF_11less_div_10IjEEE10hipError_tT0_T1_T2_T3_mRjT4_P12ihipStream_tbNS1_7vsmem_tEEUlT_E_NS1_11comp_targetILNS1_3genE8ELNS1_11target_archE1030ELNS1_3gpuE2ELNS1_3repE0EEENS1_30default_config_static_selectorELNS0_4arch9wavefront6targetE0EEEvSK_,comdat
	.protected	_ZN7rocprim17ROCPRIM_400000_NS6detail17trampoline_kernelINS0_14default_configENS1_37merge_sort_block_sort_config_selectorIjNS0_10empty_typeEEEZNS1_21merge_sort_block_sortIS3_N6thrust23THRUST_200600_302600_NS6detail15normal_iteratorINS9_10device_ptrIjEEEESE_PS5_SF_11less_div_10IjEEE10hipError_tT0_T1_T2_T3_mRjT4_P12ihipStream_tbNS1_7vsmem_tEEUlT_E_NS1_11comp_targetILNS1_3genE8ELNS1_11target_archE1030ELNS1_3gpuE2ELNS1_3repE0EEENS1_30default_config_static_selectorELNS0_4arch9wavefront6targetE0EEEvSK_ ; -- Begin function _ZN7rocprim17ROCPRIM_400000_NS6detail17trampoline_kernelINS0_14default_configENS1_37merge_sort_block_sort_config_selectorIjNS0_10empty_typeEEEZNS1_21merge_sort_block_sortIS3_N6thrust23THRUST_200600_302600_NS6detail15normal_iteratorINS9_10device_ptrIjEEEESE_PS5_SF_11less_div_10IjEEE10hipError_tT0_T1_T2_T3_mRjT4_P12ihipStream_tbNS1_7vsmem_tEEUlT_E_NS1_11comp_targetILNS1_3genE8ELNS1_11target_archE1030ELNS1_3gpuE2ELNS1_3repE0EEENS1_30default_config_static_selectorELNS0_4arch9wavefront6targetE0EEEvSK_
	.globl	_ZN7rocprim17ROCPRIM_400000_NS6detail17trampoline_kernelINS0_14default_configENS1_37merge_sort_block_sort_config_selectorIjNS0_10empty_typeEEEZNS1_21merge_sort_block_sortIS3_N6thrust23THRUST_200600_302600_NS6detail15normal_iteratorINS9_10device_ptrIjEEEESE_PS5_SF_11less_div_10IjEEE10hipError_tT0_T1_T2_T3_mRjT4_P12ihipStream_tbNS1_7vsmem_tEEUlT_E_NS1_11comp_targetILNS1_3genE8ELNS1_11target_archE1030ELNS1_3gpuE2ELNS1_3repE0EEENS1_30default_config_static_selectorELNS0_4arch9wavefront6targetE0EEEvSK_
	.p2align	8
	.type	_ZN7rocprim17ROCPRIM_400000_NS6detail17trampoline_kernelINS0_14default_configENS1_37merge_sort_block_sort_config_selectorIjNS0_10empty_typeEEEZNS1_21merge_sort_block_sortIS3_N6thrust23THRUST_200600_302600_NS6detail15normal_iteratorINS9_10device_ptrIjEEEESE_PS5_SF_11less_div_10IjEEE10hipError_tT0_T1_T2_T3_mRjT4_P12ihipStream_tbNS1_7vsmem_tEEUlT_E_NS1_11comp_targetILNS1_3genE8ELNS1_11target_archE1030ELNS1_3gpuE2ELNS1_3repE0EEENS1_30default_config_static_selectorELNS0_4arch9wavefront6targetE0EEEvSK_,@function
_ZN7rocprim17ROCPRIM_400000_NS6detail17trampoline_kernelINS0_14default_configENS1_37merge_sort_block_sort_config_selectorIjNS0_10empty_typeEEEZNS1_21merge_sort_block_sortIS3_N6thrust23THRUST_200600_302600_NS6detail15normal_iteratorINS9_10device_ptrIjEEEESE_PS5_SF_11less_div_10IjEEE10hipError_tT0_T1_T2_T3_mRjT4_P12ihipStream_tbNS1_7vsmem_tEEUlT_E_NS1_11comp_targetILNS1_3genE8ELNS1_11target_archE1030ELNS1_3gpuE2ELNS1_3repE0EEENS1_30default_config_static_selectorELNS0_4arch9wavefront6targetE0EEEvSK_: ; @_ZN7rocprim17ROCPRIM_400000_NS6detail17trampoline_kernelINS0_14default_configENS1_37merge_sort_block_sort_config_selectorIjNS0_10empty_typeEEEZNS1_21merge_sort_block_sortIS3_N6thrust23THRUST_200600_302600_NS6detail15normal_iteratorINS9_10device_ptrIjEEEESE_PS5_SF_11less_div_10IjEEE10hipError_tT0_T1_T2_T3_mRjT4_P12ihipStream_tbNS1_7vsmem_tEEUlT_E_NS1_11comp_targetILNS1_3genE8ELNS1_11target_archE1030ELNS1_3gpuE2ELNS1_3repE0EEENS1_30default_config_static_selectorELNS0_4arch9wavefront6targetE0EEEvSK_
; %bb.0:
	s_clause 0x1
	s_load_dwordx2 s[12:13], s[4:5], 0x40
	s_load_dword s0, s[4:5], 0x0
	s_add_u32 s10, s4, 64
	s_addc_u32 s11, s5, 0
	s_waitcnt lgkmcnt(0)
	s_mul_i32 s1, s13, s8
	s_add_i32 s1, s1, s7
	s_mul_i32 s1, s1, s12
	s_add_i32 s2, s1, s6
	s_cmp_ge_u32 s2, s0
	s_cbranch_scc1 .LBB146_562
; %bb.1:
	s_clause 0x1
	s_load_dwordx2 s[8:9], s[4:5], 0x8
	s_load_dwordx4 s[16:19], s[4:5], 0x18
	s_mov_b32 s3, 0
	v_mov_b32_e32 v3, v1
	s_lshl_b64 s[0:1], s[2:3], 13
	v_lshlrev_b32_e32 v20, 2, v0
	v_lshrrev_b32_e32 v27, 3, v0
	v_or_b32_e32 v29, 0x100, v0
	v_or_b32_e32 v28, 0x200, v0
	;; [unrolled: 1-line block ×7, first 2 shown]
	v_and_b32_e32 v21, 0xfc, v0
	s_waitcnt lgkmcnt(0)
	s_lshr_b64 s[4:5], s[8:9], 11
	s_add_u32 s7, s16, s0
	s_addc_u32 s9, s17, s1
	s_add_u32 s15, s18, s0
	s_addc_u32 s16, s19, s1
	s_cmp_lg_u64 s[4:5], s[2:3]
	s_cbranch_scc0 .LBB146_327
; %bb.2:
	v_add_co_u32 v4, s0, s7, v20
	v_add_co_ci_u32_e64 v5, null, s9, 0, s0
	v_lshrrev_b32_e32 v12, 3, v29
	v_add_co_u32 v6, vcc_lo, 0x800, v4
	v_add_co_ci_u32_e64 v7, null, 0, v5, vcc_lo
	v_add_co_u32 v8, vcc_lo, 0x1000, v4
	v_add_co_ci_u32_e64 v9, null, 0, v5, vcc_lo
	;; [unrolled: 2-line block ×3, first 2 shown]
	s_clause 0x7
	flat_load_dword v1, v[4:5]
	flat_load_dword v4, v[4:5] offset:1024
	flat_load_dword v5, v[6:7]
	flat_load_dword v6, v[6:7] offset:1024
	;; [unrolled: 2-line block ×4, first 2 shown]
	v_and_b32_e32 v11, 28, v27
	v_lshrrev_b32_e32 v13, 3, v28
	v_lshrrev_b32_e32 v14, 3, v26
	;; [unrolled: 1-line block ×6, first 2 shown]
	v_add_nc_u32_e32 v30, v11, v20
	v_and_b32_e32 v11, 60, v12
	v_and_b32_e32 v12, 0x5c, v13
	;; [unrolled: 1-line block ×4, first 2 shown]
	v_lshl_add_u32 v36, v0, 5, v21
	v_and_b32_e32 v15, 0xbc, v16
	v_and_b32_e32 v16, 0xdc, v17
	v_and_b32_e32 v17, 0xfc, v18
	v_add_nc_u32_e32 v37, v11, v20
	v_add_nc_u32_e32 v38, v12, v20
	;; [unrolled: 1-line block ×7, first 2 shown]
	s_waitcnt vmcnt(7) lgkmcnt(7)
	ds_write_b32 v30, v1
	s_waitcnt vmcnt(6) lgkmcnt(7)
	ds_write_b32 v37, v4 offset:1024
	s_waitcnt vmcnt(5) lgkmcnt(7)
	ds_write_b32 v38, v5 offset:2048
	;; [unrolled: 2-line block ×7, first 2 shown]
	s_waitcnt lgkmcnt(0)
	s_barrier
	buffer_gl0_inv
	ds_read2_b32 v[4:5], v36 offset1:1
	ds_read2_b32 v[6:7], v36 offset0:2 offset1:3
	ds_read2_b32 v[8:9], v36 offset0:4 offset1:5
	;; [unrolled: 1-line block ×3, first 2 shown]
	s_waitcnt lgkmcnt(0)
	s_barrier
	buffer_gl0_inv
	s_load_dword s0, s[10:11], 0xc
	v_mov_b32_e32 v1, 0
	s_waitcnt lgkmcnt(0)
	s_lshr_b32 s4, s0, 16
	s_cmp_lt_u32 s6, s12
	v_mad_u32_u24 v13, v2, s4, v3
	s_cselect_b32 s0, 12, 18
	s_add_u32 s0, s10, s0
	s_addc_u32 s1, s11, 0
	global_load_ushort v12, v1, s[0:1]
	s_mov_b32 s1, exec_lo
	s_waitcnt vmcnt(0)
	v_mul_lo_u32 v12, v13, v12
	v_add_lshl_u32 v39, v12, v0, 3
	v_mov_b32_e32 v12, v4
	v_cmpx_gt_u32_e32 0x800, v39
	s_cbranch_execz .LBB146_6
; %bb.3:
	v_mul_hi_i32 v13, 0x66666667, v7
	v_mul_hi_i32 v14, 0x66666667, v6
	;; [unrolled: 1-line block ×5, first 2 shown]
	v_lshrrev_b32_e32 v18, 31, v13
	v_ashrrev_i32_e32 v13, 2, v13
	v_lshrrev_b32_e32 v19, 31, v14
	v_ashrrev_i32_e32 v14, 2, v14
	;; [unrolled: 2-line block ×3, first 2 shown]
	v_add_nc_u32_e32 v13, v13, v18
	v_mul_hi_i32 v18, 0x66666667, v8
	v_lshrrev_b32_e32 v40, 31, v15
	v_ashrrev_i32_e32 v15, 2, v15
	v_add_nc_u32_e32 v14, v14, v19
	v_add_nc_u32_e32 v12, v12, v17
	v_mul_hi_i32 v19, 0x66666667, v10
	v_add_nc_u32_e32 v15, v15, v40
	v_cmp_lt_i32_e32 vcc_lo, v13, v14
	v_lshrrev_b32_e32 v13, 31, v16
	v_ashrrev_i32_e32 v14, 2, v16
	v_lshrrev_b32_e32 v16, 31, v18
	v_ashrrev_i32_e32 v17, 2, v18
	v_mul_hi_i32 v18, 0x66666667, v11
	v_cmp_lt_i32_e64 s0, v12, v15
	v_cndmask_b32_e32 v15, v7, v6, vcc_lo
	v_cndmask_b32_e32 v6, v6, v7, vcc_lo
	v_add_nc_u32_e32 v7, v14, v13
	v_add_nc_u32_e32 v13, v17, v16
	v_cndmask_b32_e64 v12, v4, v5, s0
	v_lshrrev_b32_e32 v17, 31, v19
	v_lshrrev_b32_e32 v14, 31, v18
	v_ashrrev_i32_e32 v16, 2, v18
	v_ashrrev_i32_e32 v18, 2, v19
	v_cndmask_b32_e64 v4, v5, v4, s0
	v_cmp_lt_i32_e32 vcc_lo, v7, v13
	v_mul_hi_i32 v7, 0x66666667, v6
	v_add_nc_u32_e32 v5, v16, v14
	v_add_nc_u32_e32 v13, v18, v17
	v_mul_hi_i32 v14, 0x66666667, v4
	v_cndmask_b32_e32 v16, v9, v8, vcc_lo
	v_cndmask_b32_e32 v8, v8, v9, vcc_lo
	v_mul_hi_i32 v17, 0x66666667, v15
	v_cmp_lt_i32_e32 vcc_lo, v5, v13
	v_lshrrev_b32_e32 v5, 31, v7
	v_ashrrev_i32_e32 v7, 2, v7
	v_mul_hi_i32 v13, 0x66666667, v8
	v_lshrrev_b32_e32 v9, 31, v14
	v_ashrrev_i32_e32 v14, 2, v14
	v_cndmask_b32_e32 v18, v11, v10, vcc_lo
	v_cndmask_b32_e32 v10, v10, v11, vcc_lo
	v_add_nc_u32_e32 v5, v7, v5
	v_mul_hi_i32 v19, 0x66666667, v16
	v_add_nc_u32_e32 v7, v14, v9
	v_lshrrev_b32_e32 v9, 31, v13
	v_ashrrev_i32_e32 v11, 2, v13
	v_lshrrev_b32_e32 v13, 31, v17
	v_ashrrev_i32_e32 v17, 2, v17
	v_mul_hi_i32 v14, 0x66666667, v10
	v_cmp_lt_i32_e32 vcc_lo, v5, v7
	v_add_nc_u32_e32 v7, v11, v9
	v_add_nc_u32_e32 v9, v17, v13
	v_ashrrev_i32_e32 v17, 2, v19
	v_cndmask_b32_e32 v5, v6, v4, vcc_lo
	v_cndmask_b32_e32 v4, v4, v6, vcc_lo
	v_lshrrev_b32_e32 v11, 31, v14
	v_ashrrev_i32_e32 v13, 2, v14
	v_lshrrev_b32_e32 v14, 31, v19
	v_cmp_lt_i32_e64 s0, v7, v9
	v_add_nc_u32_e32 v7, v13, v11
	v_add_nc_u32_e32 v9, v17, v14
	v_cndmask_b32_e64 v6, v8, v15, s0
	v_cndmask_b32_e64 v8, v15, v8, s0
	v_mul_hi_i32 v11, 0x66666667, v4
	v_mul_hi_i32 v14, 0x66666667, v12
	v_cmp_lt_i32_e32 vcc_lo, v7, v9
	v_mul_hi_i32 v9, 0x66666667, v5
	v_mul_hi_i32 v7, 0x66666667, v8
	v_cndmask_b32_e32 v13, v10, v16, vcc_lo
	v_cndmask_b32_e32 v10, v16, v10, vcc_lo
	v_lshrrev_b32_e32 v15, 31, v11
	v_ashrrev_i32_e32 v11, 2, v11
	v_lshrrev_b32_e32 v17, 31, v9
	v_lshrrev_b32_e32 v16, 31, v7
	v_ashrrev_i32_e32 v7, 2, v7
	v_ashrrev_i32_e32 v9, 2, v9
	v_lshrrev_b32_e32 v19, 31, v14
	v_ashrrev_i32_e32 v14, 2, v14
	v_add_nc_u32_e32 v11, v11, v15
	v_add_nc_u32_e32 v7, v7, v16
	v_mul_hi_i32 v16, 0x66666667, v10
	v_add_nc_u32_e32 v9, v9, v17
	v_mul_hi_i32 v17, 0x66666667, v6
	;; [unrolled: 2-line block ×3, first 2 shown]
	v_cmp_lt_i32_e32 vcc_lo, v7, v9
	v_lshrrev_b32_e32 v7, 31, v16
	v_ashrrev_i32_e32 v9, 2, v16
	v_lshrrev_b32_e32 v15, 31, v17
	v_ashrrev_i32_e32 v16, 2, v17
	v_mul_hi_i32 v17, 0x66666667, v18
	v_cmp_lt_i32_e64 s0, v11, v14
	v_cndmask_b32_e32 v14, v8, v5, vcc_lo
	v_cndmask_b32_e32 v5, v5, v8, vcc_lo
	v_add_nc_u32_e32 v7, v9, v7
	v_add_nc_u32_e32 v8, v16, v15
	v_cndmask_b32_e64 v11, v12, v4, s0
	v_lshrrev_b32_e32 v16, 31, v19
	v_lshrrev_b32_e32 v9, 31, v17
	v_ashrrev_i32_e32 v15, 2, v17
	v_ashrrev_i32_e32 v17, 2, v19
	v_cndmask_b32_e64 v4, v4, v12, s0
	v_cmp_lt_i32_e32 vcc_lo, v7, v8
	v_mul_hi_i32 v8, 0x66666667, v5
	v_add_nc_u32_e32 v7, v15, v9
	v_add_nc_u32_e32 v9, v17, v16
	v_mul_hi_i32 v12, 0x66666667, v4
	v_cndmask_b32_e32 v15, v10, v6, vcc_lo
	v_cndmask_b32_e32 v6, v6, v10, vcc_lo
	v_mul_hi_i32 v16, 0x66666667, v14
	v_cmp_lt_i32_e32 vcc_lo, v7, v9
	v_lshrrev_b32_e32 v7, 31, v8
	v_ashrrev_i32_e32 v8, 2, v8
	v_mul_hi_i32 v10, 0x66666667, v6
	v_lshrrev_b32_e32 v9, 31, v12
	v_ashrrev_i32_e32 v12, 2, v12
	v_cndmask_b32_e32 v17, v18, v13, vcc_lo
	v_cndmask_b32_e32 v13, v13, v18, vcc_lo
	v_add_nc_u32_e32 v7, v8, v7
	v_mul_hi_i32 v19, 0x66666667, v15
	v_add_nc_u32_e32 v8, v12, v9
	v_lshrrev_b32_e32 v9, 31, v10
	v_ashrrev_i32_e32 v10, 2, v10
	v_lshrrev_b32_e32 v12, 31, v16
	v_ashrrev_i32_e32 v16, 2, v16
	v_mul_hi_i32 v18, 0x66666667, v13
	v_cmp_lt_i32_e32 vcc_lo, v7, v8
	v_add_nc_u32_e32 v8, v10, v9
	v_add_nc_u32_e32 v9, v16, v12
	v_lshrrev_b32_e32 v16, 31, v19
	v_cndmask_b32_e32 v7, v5, v4, vcc_lo
	v_cndmask_b32_e32 v4, v4, v5, vcc_lo
	v_lshrrev_b32_e32 v10, 31, v18
	v_ashrrev_i32_e32 v12, 2, v18
	v_ashrrev_i32_e32 v18, 2, v19
	v_cmp_lt_i32_e64 s0, v8, v9
	v_add_nc_u32_e32 v8, v12, v10
	v_add_nc_u32_e32 v9, v18, v16
	v_cndmask_b32_e64 v5, v6, v14, s0
	v_cndmask_b32_e64 v6, v14, v6, s0
	v_mul_hi_i32 v10, 0x66666667, v4
	v_mul_hi_i32 v14, 0x66666667, v11
	v_cmp_lt_i32_e32 vcc_lo, v8, v9
	v_mul_hi_i32 v9, 0x66666667, v7
	v_mul_hi_i32 v8, 0x66666667, v6
	v_cndmask_b32_e32 v12, v13, v15, vcc_lo
	v_cndmask_b32_e32 v13, v15, v13, vcc_lo
	v_lshrrev_b32_e32 v15, 31, v10
	v_ashrrev_i32_e32 v10, 2, v10
	v_lshrrev_b32_e32 v18, 31, v9
	v_lshrrev_b32_e32 v16, 31, v8
	v_ashrrev_i32_e32 v8, 2, v8
	v_ashrrev_i32_e32 v9, 2, v9
	v_lshrrev_b32_e32 v19, 31, v14
	v_ashrrev_i32_e32 v14, 2, v14
	v_add_nc_u32_e32 v10, v10, v15
	v_add_nc_u32_e32 v8, v8, v16
	v_mul_hi_i32 v16, 0x66666667, v13
	v_add_nc_u32_e32 v9, v9, v18
	v_mul_hi_i32 v18, 0x66666667, v5
	;; [unrolled: 2-line block ×3, first 2 shown]
	v_cmp_lt_i32_e32 vcc_lo, v8, v9
	v_lshrrev_b32_e32 v8, 31, v16
	v_ashrrev_i32_e32 v9, 2, v16
	v_lshrrev_b32_e32 v15, 31, v18
	v_ashrrev_i32_e32 v16, 2, v18
	v_mul_hi_i32 v18, 0x66666667, v17
	v_cmp_lt_i32_e64 s0, v10, v14
	v_cndmask_b32_e32 v14, v6, v7, vcc_lo
	v_cndmask_b32_e32 v6, v7, v6, vcc_lo
	v_add_nc_u32_e32 v7, v9, v8
	v_add_nc_u32_e32 v8, v16, v15
	v_lshrrev_b32_e32 v16, 31, v19
	v_cndmask_b32_e64 v10, v11, v4, s0
	v_lshrrev_b32_e32 v9, 31, v18
	v_ashrrev_i32_e32 v15, 2, v18
	v_ashrrev_i32_e32 v18, 2, v19
	v_cndmask_b32_e64 v4, v4, v11, s0
	v_cmp_lt_i32_e32 vcc_lo, v7, v8
	v_mul_hi_i32 v8, 0x66666667, v6
	v_add_nc_u32_e32 v7, v15, v9
	v_add_nc_u32_e32 v9, v18, v16
	v_mul_hi_i32 v11, 0x66666667, v4
	v_cndmask_b32_e32 v15, v13, v5, vcc_lo
	v_cndmask_b32_e32 v5, v5, v13, vcc_lo
	v_mul_hi_i32 v16, 0x66666667, v14
	v_cmp_lt_i32_e32 vcc_lo, v7, v9
	v_lshrrev_b32_e32 v7, 31, v8
	v_ashrrev_i32_e32 v8, 2, v8
	v_mul_hi_i32 v13, 0x66666667, v5
	v_lshrrev_b32_e32 v9, 31, v11
	v_cndmask_b32_e32 v19, v17, v12, vcc_lo
	v_cndmask_b32_e32 v12, v12, v17, vcc_lo
	v_ashrrev_i32_e32 v11, 2, v11
	v_mul_hi_i32 v18, 0x66666667, v15
	v_add_nc_u32_e32 v7, v8, v7
	v_mul_hi_i32 v17, 0x66666667, v12
	v_add_nc_u32_e32 v8, v11, v9
	v_lshrrev_b32_e32 v9, 31, v13
	v_ashrrev_i32_e32 v11, 2, v13
	v_lshrrev_b32_e32 v13, 31, v16
	v_ashrrev_i32_e32 v16, 2, v16
	v_cmp_lt_i32_e32 vcc_lo, v7, v8
	v_add_nc_u32_e32 v7, v11, v9
	v_lshrrev_b32_e32 v9, 31, v17
	v_add_nc_u32_e32 v8, v16, v13
	v_ashrrev_i32_e32 v11, 2, v17
	v_lshrrev_b32_e32 v13, 31, v18
	v_ashrrev_i32_e32 v16, 2, v18
	v_cndmask_b32_e32 v17, v6, v4, vcc_lo
	v_cndmask_b32_e32 v4, v4, v6, vcc_lo
	v_cmp_lt_i32_e32 vcc_lo, v7, v8
	v_add_nc_u32_e32 v6, v11, v9
	v_add_nc_u32_e32 v7, v16, v13
	v_mul_hi_i32 v13, 0x66666667, v17
	v_mul_hi_i32 v9, 0x66666667, v4
	v_cndmask_b32_e32 v8, v5, v14, vcc_lo
	v_cndmask_b32_e32 v5, v14, v5, vcc_lo
	v_cmp_lt_i32_e32 vcc_lo, v6, v7
	v_mul_hi_i32 v6, 0x66666667, v10
	v_mul_hi_i32 v41, 0x66666667, v8
	;; [unrolled: 1-line block ×3, first 2 shown]
	v_cndmask_b32_e32 v14, v15, v12, vcc_lo
	v_cndmask_b32_e32 v11, v12, v15, vcc_lo
	v_lshrrev_b32_e32 v12, 31, v9
	v_ashrrev_i32_e32 v9, 2, v9
	v_lshrrev_b32_e32 v15, 31, v6
	v_mul_hi_i32 v40, 0x66666667, v14
	v_ashrrev_i32_e32 v6, 2, v6
	v_lshrrev_b32_e32 v16, 31, v7
	v_ashrrev_i32_e32 v7, 2, v7
	v_lshrrev_b32_e32 v18, 31, v13
	v_ashrrev_i32_e32 v13, 2, v13
	v_add_nc_u32_e32 v9, v9, v12
	v_add_nc_u32_e32 v6, v6, v15
	;; [unrolled: 1-line block ×3, first 2 shown]
	v_ashrrev_i32_e32 v15, 2, v40
	v_add_nc_u32_e32 v12, v13, v18
	v_lshrrev_b32_e32 v13, 31, v40
	v_lshrrev_b32_e32 v16, 31, v41
	v_ashrrev_i32_e32 v18, 2, v41
	v_cmp_lt_i32_e32 vcc_lo, v9, v6
	v_cmp_lt_i32_e64 s0, v7, v12
	v_add_nc_u32_e32 v6, v15, v13
	v_mul_hi_i32 v7, 0x66666667, v19
	v_mul_hi_i32 v13, 0x66666667, v11
	v_add_nc_u32_e32 v9, v18, v16
	v_cndmask_b32_e32 v12, v10, v4, vcc_lo
	v_cndmask_b32_e32 v4, v4, v10, vcc_lo
	v_cndmask_b32_e64 v10, v5, v17, s0
	v_cndmask_b32_e64 v5, v17, v5, s0
	v_cmp_lt_i32_e32 vcc_lo, v6, v9
	v_lshrrev_b32_e32 v6, 31, v7
	v_ashrrev_i32_e32 v7, 2, v7
	v_lshrrev_b32_e32 v9, 31, v13
	v_ashrrev_i32_e32 v13, 2, v13
	v_mul_hi_i32 v15, 0x66666667, v5
	v_mul_hi_i32 v16, 0x66666667, v4
	v_add_nc_u32_e32 v6, v7, v6
	v_cndmask_b32_e32 v17, v14, v8, vcc_lo
	v_add_nc_u32_e32 v7, v13, v9
	v_cndmask_b32_e32 v8, v8, v14, vcc_lo
	v_mul_hi_i32 v40, 0x66666667, v10
	v_lshrrev_b32_e32 v9, 31, v15
	v_cmp_lt_i32_e32 vcc_lo, v6, v7
	v_ashrrev_i32_e32 v13, 2, v15
	v_mul_hi_i32 v15, 0x66666667, v8
	v_lshrrev_b32_e32 v14, 31, v16
	v_ashrrev_i32_e32 v16, 2, v16
	v_cndmask_b32_e32 v18, v11, v19, vcc_lo
	v_add_nc_u32_e32 v6, v13, v9
	v_mul_hi_i32 v41, 0x66666667, v17
	v_cndmask_b32_e32 v19, v19, v11, vcc_lo
	v_add_nc_u32_e32 v7, v16, v14
	v_lshrrev_b32_e32 v9, 31, v15
	v_ashrrev_i32_e32 v13, 2, v15
	v_lshrrev_b32_e32 v15, 31, v40
	v_ashrrev_i32_e32 v40, 2, v40
	v_mul_hi_i32 v16, 0x66666667, v18
	v_cmp_lt_i32_e32 vcc_lo, v6, v7
	v_add_nc_u32_e32 v6, v13, v9
	v_add_nc_u32_e32 v7, v40, v15
	v_lshrrev_b32_e32 v15, 31, v41
	v_ashrrev_i32_e32 v40, 2, v41
	v_cndmask_b32_e32 v14, v5, v4, vcc_lo
	v_lshrrev_b32_e32 v9, 31, v16
	v_ashrrev_i32_e32 v11, 2, v16
	v_cmp_lt_i32_e64 s0, v6, v7
	v_cndmask_b32_e32 v13, v4, v5, vcc_lo
	v_add_nc_u32_e32 v5, v40, v15
	v_add_nc_u32_e32 v4, v11, v9
	v_cndmask_b32_e64 v16, v8, v10, s0
	v_cndmask_b32_e64 v15, v10, v8, s0
	v_cmp_lt_i32_e32 vcc_lo, v4, v5
	v_mov_b32_e32 v4, v12
	v_mov_b32_e32 v5, v13
	;; [unrolled: 1-line block ×8, first 2 shown]
	s_and_saveexec_b32 s0, vcc_lo
	s_cbranch_execz .LBB146_5
; %bb.4:
	v_mov_b32_e32 v4, v12
	v_mov_b32_e32 v9, v17
	v_mov_b32_e32 v10, v18
	v_mov_b32_e32 v5, v13
	v_mov_b32_e32 v6, v14
	v_mov_b32_e32 v7, v15
	v_mov_b32_e32 v8, v16
	v_mov_b32_e32 v11, v19
	v_mov_b32_e32 v9, v18
	v_mov_b32_e32 v10, v17
.LBB146_5:
	s_or_b32 exec_lo, exec_lo, s0
.LBB146_6:
	s_or_b32 exec_lo, exec_lo, s1
	v_mbcnt_lo_u32_b32 v15, -1, 0
	v_and_b32_e32 v13, 0xffffff00, v39
	s_mov_b32 s0, exec_lo
	v_lshlrev_b32_e32 v18, 3, v15
	v_sub_nc_u32_e64 v17, 0x800, v13 clamp
	v_lshlrev_b32_e32 v16, 2, v13
	v_mov_b32_e32 v13, v5
	v_or_b32_e32 v14, 8, v18
	v_and_b32_e32 v19, 8, v18
	v_and_b32_e32 v43, 0xf0, v18
	v_min_u32_e32 v39, v17, v14
	v_min_u32_e32 v44, v17, v19
	v_lshl_or_b32 v19, v15, 5, v16
	v_mov_b32_e32 v15, v7
	v_add_nc_u32_e32 v14, 8, v39
	v_sub_nc_u32_e32 v42, v39, v43
	v_min_u32_e32 v40, v17, v14
	v_mov_b32_e32 v14, v6
	v_min_u32_e32 v45, v44, v42
	v_lshl_or_b32 v42, v43, 2, v16
	ds_write_b128 v19, v[12:15]
	ds_write_b128 v19, v[8:11] offset:16
	v_sub_nc_u32_e32 v41, v40, v39
	; wave barrier
	v_sub_nc_u32_e64 v41, v44, v41 clamp
	v_cmpx_lt_u32_e64 v41, v45
	s_cbranch_execz .LBB146_10
; %bb.7:
	v_lshlrev_b32_e32 v12, 2, v39
	v_lshlrev_b32_e32 v13, 2, v44
	s_mov_b32 s1, 0
	v_add3_u32 v12, v16, v12, v13
	.p2align	6
.LBB146_8:                              ; =>This Inner Loop Header: Depth=1
	v_add_nc_u32_e32 v13, v45, v41
	v_lshrrev_b32_e32 v13, 1, v13
	v_not_b32_e32 v14, v13
	v_lshl_add_u32 v15, v13, 2, v42
	v_lshl_add_u32 v14, v14, 2, v12
	ds_read_b32 v15, v15
	ds_read_b32 v14, v14
	s_waitcnt lgkmcnt(1)
	v_mul_hi_i32 v15, 0x66666667, v15
	s_waitcnt lgkmcnt(0)
	v_mul_hi_i32 v14, 0x66666667, v14
	v_lshrrev_b32_e32 v46, 31, v15
	v_ashrrev_i32_e32 v15, 2, v15
	v_lshrrev_b32_e32 v47, 31, v14
	v_ashrrev_i32_e32 v14, 2, v14
	v_add_nc_u32_e32 v15, v15, v46
	v_add_nc_u32_e32 v46, 1, v13
	v_add_nc_u32_e32 v14, v14, v47
	v_cmp_lt_i32_e32 vcc_lo, v14, v15
	v_cndmask_b32_e32 v45, v45, v13, vcc_lo
	v_cndmask_b32_e32 v41, v46, v41, vcc_lo
	v_cmp_ge_u32_e32 vcc_lo, v41, v45
	s_or_b32 s1, vcc_lo, s1
	s_andn2_b32 exec_lo, exec_lo, s1
	s_cbranch_execnz .LBB146_8
; %bb.9:
	s_or_b32 exec_lo, exec_lo, s1
.LBB146_10:
	s_or_b32 exec_lo, exec_lo, s0
	v_add_nc_u32_e32 v14, v39, v44
	v_add_nc_u32_e32 v13, v41, v43
	v_lshlrev_b32_e32 v12, 3, v0
	v_sub_nc_u32_e32 v14, v14, v41
	v_cmp_le_u32_e32 vcc_lo, v13, v39
	v_cmp_le_u32_e64 s0, v14, v40
	s_or_b32 s0, vcc_lo, s0
	s_and_saveexec_b32 s1, s0
	s_cbranch_execz .LBB146_46
; %bb.11:
	s_mov_b32 s4, exec_lo
	v_cmp_ge_u32_e32 vcc_lo, v13, v39
                                        ; implicit-def: $vgpr4
	v_cmpx_lt_u32_e64 v13, v39
; %bb.12:
	v_lshl_add_u32 v4, v41, 2, v42
	ds_read_b32 v4, v4
; %bb.13:
	s_or_b32 exec_lo, exec_lo, s4
	v_cmp_ge_u32_e64 s4, v14, v40
	s_mov_b32 s5, exec_lo
                                        ; implicit-def: $vgpr5
	v_cmpx_lt_u32_e64 v14, v40
; %bb.14:
	v_lshl_add_u32 v5, v14, 2, v16
	ds_read_b32 v5, v5
; %bb.15:
	s_or_b32 exec_lo, exec_lo, s5
	s_nor_b32 s5, vcc_lo, s4
	s_and_saveexec_b32 s0, s5
	s_cbranch_execz .LBB146_17
; %bb.16:
	s_waitcnt lgkmcnt(0)
	v_mul_hi_i32 v6, 0x66666667, v5
	v_mul_hi_i32 v7, 0x66666667, v4
	s_andn2_b32 s4, s4, exec_lo
	v_lshrrev_b32_e32 v8, 31, v6
	v_ashrrev_i32_e32 v6, 2, v6
	v_lshrrev_b32_e32 v9, 31, v7
	v_ashrrev_i32_e32 v7, 2, v7
	v_add_nc_u32_e32 v6, v6, v8
	v_add_nc_u32_e32 v7, v7, v9
	v_cmp_ge_i32_e32 vcc_lo, v6, v7
	s_and_b32 s5, vcc_lo, exec_lo
	s_or_b32 s4, s4, s5
.LBB146_17:
	s_or_b32 exec_lo, exec_lo, s0
	v_cndmask_b32_e64 v6, v14, v13, s4
	v_cndmask_b32_e64 v7, v40, v39, s4
	s_mov_b32 s0, -1
	s_mov_b32 s5, -1
	s_mov_b32 s13, exec_lo
	v_add_nc_u32_e32 v6, 1, v6
	v_add_nc_u32_e32 v7, -1, v7
	v_cndmask_b32_e64 v8, v6, v14, s4
	v_min_u32_e32 v7, v6, v7
	v_cndmask_b32_e64 v9, v13, v6, s4
	v_lshl_add_u32 v7, v7, 2, v16
	ds_read_b32 v7, v7
	s_waitcnt lgkmcnt(0)
	v_cndmask_b32_e64 v6, v7, v5, s4
	v_cndmask_b32_e64 v7, v4, v7, s4
	v_cmpx_lt_u32_e64 v8, v40
	s_cbranch_execz .LBB146_21
; %bb.18:
	s_mov_b32 s14, 0
	s_mov_b32 s5, exec_lo
	v_cmpx_lt_u32_e64 v9, v39
	s_cbranch_execz .LBB146_20
; %bb.19:
	v_mul_hi_i32 v10, 0x66666667, v6
	v_mul_hi_i32 v11, 0x66666667, v7
	v_lshrrev_b32_e32 v13, 31, v10
	v_ashrrev_i32_e32 v10, 2, v10
	v_lshrrev_b32_e32 v14, 31, v11
	v_ashrrev_i32_e32 v11, 2, v11
	v_add_nc_u32_e32 v10, v10, v13
	v_add_nc_u32_e32 v11, v11, v14
	v_cmp_ge_i32_e32 vcc_lo, v10, v11
	s_and_b32 s14, vcc_lo, exec_lo
.LBB146_20:
	s_or_b32 exec_lo, exec_lo, s5
	s_orn2_b32 s5, s14, exec_lo
.LBB146_21:
	s_or_b32 exec_lo, exec_lo, s13
	v_cndmask_b32_e64 v10, v8, v9, s5
	v_cndmask_b32_e64 v11, v40, v39, s5
	s_mov_b32 s13, exec_lo
	v_add_nc_u32_e32 v13, 1, v10
	v_add_nc_u32_e32 v10, -1, v11
	v_cndmask_b32_e64 v11, v9, v13, s5
	v_min_u32_e32 v10, v13, v10
	v_lshl_add_u32 v10, v10, 2, v16
	ds_read_b32 v14, v10
	v_cndmask_b32_e64 v10, v13, v8, s5
	s_waitcnt lgkmcnt(0)
	v_cndmask_b32_e64 v8, v14, v6, s5
	v_cndmask_b32_e64 v9, v7, v14, s5
	v_cmpx_lt_u32_e64 v10, v40
	s_cbranch_execz .LBB146_25
; %bb.22:
	s_mov_b32 s14, 0
	s_mov_b32 s0, exec_lo
	v_cmpx_lt_u32_e64 v11, v39
	s_cbranch_execz .LBB146_24
; %bb.23:
	v_mul_hi_i32 v13, 0x66666667, v8
	v_mul_hi_i32 v14, 0x66666667, v9
	v_lshrrev_b32_e32 v15, 31, v13
	v_ashrrev_i32_e32 v13, 2, v13
	v_lshrrev_b32_e32 v41, 31, v14
	v_ashrrev_i32_e32 v14, 2, v14
	v_add_nc_u32_e32 v13, v13, v15
	v_add_nc_u32_e32 v14, v14, v41
	v_cmp_ge_i32_e32 vcc_lo, v13, v14
	s_and_b32 s14, vcc_lo, exec_lo
.LBB146_24:
	s_or_b32 exec_lo, exec_lo, s0
	s_orn2_b32 s0, s14, exec_lo
.LBB146_25:
	s_or_b32 exec_lo, exec_lo, s13
	v_cndmask_b32_e64 v13, v10, v11, s0
	v_cndmask_b32_e64 v14, v40, v39, s0
	s_mov_b32 s13, -1
	s_mov_b32 s14, -1
	s_mov_b32 s17, exec_lo
	v_add_nc_u32_e32 v13, 1, v13
	v_add_nc_u32_e32 v14, -1, v14
	v_cndmask_b32_e64 v11, v11, v13, s0
	v_min_u32_e32 v14, v13, v14
	v_lshl_add_u32 v14, v14, 2, v16
	ds_read_b32 v15, v14
	v_cndmask_b32_e64 v14, v13, v10, s0
	s_waitcnt lgkmcnt(0)
	v_cndmask_b32_e64 v10, v15, v8, s0
	v_cndmask_b32_e64 v13, v9, v15, s0
	v_cmpx_lt_u32_e64 v14, v40
	s_cbranch_execz .LBB146_29
; %bb.26:
	s_mov_b32 s18, 0
	s_mov_b32 s14, exec_lo
	v_cmpx_lt_u32_e64 v11, v39
	s_cbranch_execz .LBB146_28
; %bb.27:
	v_mul_hi_i32 v15, 0x66666667, v10
	v_mul_hi_i32 v41, 0x66666667, v13
	v_lshrrev_b32_e32 v42, 31, v15
	v_ashrrev_i32_e32 v15, 2, v15
	v_lshrrev_b32_e32 v43, 31, v41
	v_ashrrev_i32_e32 v41, 2, v41
	v_add_nc_u32_e32 v15, v15, v42
	v_add_nc_u32_e32 v41, v41, v43
	v_cmp_ge_i32_e32 vcc_lo, v15, v41
	s_and_b32 s18, vcc_lo, exec_lo
.LBB146_28:
	s_or_b32 exec_lo, exec_lo, s14
	s_orn2_b32 s14, s18, exec_lo
.LBB146_29:
	s_or_b32 exec_lo, exec_lo, s17
	v_cndmask_b32_e64 v15, v14, v11, s14
	v_cndmask_b32_e64 v41, v40, v39, s14
	s_mov_b32 s17, exec_lo
	v_add_nc_u32_e32 v15, 1, v15
	v_add_nc_u32_e32 v41, -1, v41
	v_cndmask_b32_e64 v11, v11, v15, s14
	v_min_u32_e32 v41, v15, v41
	v_lshl_add_u32 v41, v41, 2, v16
	ds_read_b32 v42, v41
	v_cndmask_b32_e64 v41, v15, v14, s14
	s_waitcnt lgkmcnt(0)
	v_cndmask_b32_e64 v14, v42, v10, s14
	v_cndmask_b32_e64 v15, v13, v42, s14
	v_cmpx_lt_u32_e64 v41, v40
	s_cbranch_execz .LBB146_33
; %bb.30:
	s_mov_b32 s18, 0
	s_mov_b32 s13, exec_lo
	v_cmpx_lt_u32_e64 v11, v39
	s_cbranch_execz .LBB146_32
; %bb.31:
	v_mul_hi_i32 v42, 0x66666667, v14
	v_mul_hi_i32 v43, 0x66666667, v15
	v_lshrrev_b32_e32 v44, 31, v42
	v_ashrrev_i32_e32 v42, 2, v42
	v_lshrrev_b32_e32 v45, 31, v43
	v_ashrrev_i32_e32 v43, 2, v43
	v_add_nc_u32_e32 v42, v42, v44
	v_add_nc_u32_e32 v43, v43, v45
	v_cmp_ge_i32_e32 vcc_lo, v42, v43
	s_and_b32 s18, vcc_lo, exec_lo
.LBB146_32:
	s_or_b32 exec_lo, exec_lo, s13
	s_orn2_b32 s13, s18, exec_lo
.LBB146_33:
	s_or_b32 exec_lo, exec_lo, s17
	v_cndmask_b32_e64 v42, v41, v11, s13
	v_cndmask_b32_e64 v43, v40, v39, s13
	s_mov_b32 s17, -1
	s_mov_b32 s18, -1
	s_mov_b32 s19, exec_lo
	v_add_nc_u32_e32 v42, 1, v42
	v_add_nc_u32_e32 v43, -1, v43
	v_cndmask_b32_e64 v11, v11, v42, s13
	v_min_u32_e32 v43, v42, v43
	v_lshl_add_u32 v43, v43, 2, v16
	ds_read_b32 v44, v43
	v_cndmask_b32_e64 v43, v42, v41, s13
	s_waitcnt lgkmcnt(0)
	v_cndmask_b32_e64 v41, v44, v14, s13
	v_cndmask_b32_e64 v42, v15, v44, s13
	v_cmpx_lt_u32_e64 v43, v40
	s_cbranch_execz .LBB146_37
; %bb.34:
	s_mov_b32 s20, 0
	s_mov_b32 s18, exec_lo
	v_cmpx_lt_u32_e64 v11, v39
	s_cbranch_execz .LBB146_36
; %bb.35:
	v_mul_hi_i32 v44, 0x66666667, v41
	v_mul_hi_i32 v45, 0x66666667, v42
	v_lshrrev_b32_e32 v46, 31, v44
	v_ashrrev_i32_e32 v44, 2, v44
	v_lshrrev_b32_e32 v47, 31, v45
	v_ashrrev_i32_e32 v45, 2, v45
	v_add_nc_u32_e32 v44, v44, v46
	v_add_nc_u32_e32 v45, v45, v47
	v_cmp_ge_i32_e32 vcc_lo, v44, v45
	s_and_b32 s20, vcc_lo, exec_lo
.LBB146_36:
	s_or_b32 exec_lo, exec_lo, s18
	s_orn2_b32 s18, s20, exec_lo
.LBB146_37:
	s_or_b32 exec_lo, exec_lo, s19
	v_cndmask_b32_e64 v44, v43, v11, s18
	v_cndmask_b32_e64 v45, v40, v39, s18
	s_mov_b32 s19, exec_lo
	v_add_nc_u32_e32 v44, 1, v44
	v_add_nc_u32_e32 v45, -1, v45
	v_cndmask_b32_e64 v46, v44, v43, s18
	v_min_u32_e32 v45, v44, v45
	v_lshl_add_u32 v45, v45, 2, v16
	ds_read_b32 v47, v45
	v_cndmask_b32_e64 v45, v11, v44, s18
	s_waitcnt lgkmcnt(0)
	v_cndmask_b32_e64 v43, v47, v41, s18
	v_cndmask_b32_e64 v44, v42, v47, s18
	v_cmpx_lt_u32_e64 v46, v40
	s_cbranch_execz .LBB146_41
; %bb.38:
	s_mov_b32 s20, 0
	s_mov_b32 s17, exec_lo
	v_cmpx_lt_u32_e64 v45, v39
	s_cbranch_execz .LBB146_40
; %bb.39:
	v_mul_hi_i32 v11, 0x66666667, v43
	v_mul_hi_i32 v47, 0x66666667, v44
	v_lshrrev_b32_e32 v48, 31, v11
	v_ashrrev_i32_e32 v11, 2, v11
	v_lshrrev_b32_e32 v49, 31, v47
	v_ashrrev_i32_e32 v47, 2, v47
	v_add_nc_u32_e32 v11, v11, v48
	v_add_nc_u32_e32 v47, v47, v49
	v_cmp_ge_i32_e32 vcc_lo, v11, v47
	s_and_b32 s20, vcc_lo, exec_lo
.LBB146_40:
	s_or_b32 exec_lo, exec_lo, s17
	s_orn2_b32 s17, s20, exec_lo
.LBB146_41:
	s_or_b32 exec_lo, exec_lo, s19
	v_cndmask_b32_e64 v11, v46, v45, s17
	v_cndmask_b32_e64 v48, v40, v39, s17
	s_mov_b32 s19, exec_lo
	v_add_nc_u32_e32 v47, 1, v11
	v_add_nc_u32_e32 v11, -1, v48
	v_cndmask_b32_e64 v46, v47, v46, s17
	v_min_u32_e32 v11, v47, v11
	v_lshl_add_u32 v11, v11, 2, v16
	ds_read_b32 v48, v11
	s_waitcnt lgkmcnt(0)
	v_cndmask_b32_e64 v11, v44, v48, s17
	v_cmpx_lt_u32_e64 v46, v40
	s_cbranch_execz .LBB146_45
; %bb.42:
	v_cndmask_b32_e64 v45, v45, v47, s17
	v_cndmask_b32_e64 v40, v48, v43, s17
	s_mov_b32 s20, exec_lo
	v_cmpx_lt_u32_e64 v45, v39
	s_cbranch_execz .LBB146_44
; %bb.43:
	v_mul_hi_i32 v39, 0x66666667, v40
	v_mul_hi_i32 v45, 0x66666667, v11
	v_lshrrev_b32_e32 v46, 31, v39
	v_ashrrev_i32_e32 v39, 2, v39
	v_lshrrev_b32_e32 v47, 31, v45
	v_ashrrev_i32_e32 v45, 2, v45
	v_add_nc_u32_e32 v39, v39, v46
	v_add_nc_u32_e32 v45, v45, v47
	v_cmp_lt_i32_e32 vcc_lo, v39, v45
	v_cndmask_b32_e32 v40, v11, v40, vcc_lo
.LBB146_44:
	s_or_b32 exec_lo, exec_lo, s20
	v_mov_b32_e32 v11, v40
.LBB146_45:
	s_or_b32 exec_lo, exec_lo, s19
	v_cndmask_b32_e64 v4, v5, v4, s4
	v_cndmask_b32_e64 v5, v6, v7, s5
	;; [unrolled: 1-line block ×7, first 2 shown]
.LBB146_46:
	s_or_b32 exec_lo, exec_lo, s1
	v_and_b32_e32 v40, 0xe0, v18
	v_and_b32_e32 v15, 24, v18
	s_mov_b32 s0, exec_lo
	; wave barrier
	v_or_b32_e32 v13, 16, v40
	v_min_u32_e32 v41, v17, v15
	ds_write_b128 v19, v[4:7]
	ds_write_b128 v19, v[8:11] offset:16
	; wave barrier
	v_min_u32_e32 v13, v17, v13
	v_add_nc_u32_e32 v14, 16, v13
	v_sub_nc_u32_e32 v39, v13, v40
	v_min_u32_e32 v14, v17, v14
	v_min_u32_e32 v42, v41, v39
	v_lshl_add_u32 v39, v40, 2, v16
	v_sub_nc_u32_e32 v15, v14, v13
	v_sub_nc_u32_e64 v15, v41, v15 clamp
	v_cmpx_lt_u32_e64 v15, v42
	s_cbranch_execz .LBB146_50
; %bb.47:
	v_lshlrev_b32_e32 v43, 2, v13
	v_lshlrev_b32_e32 v44, 2, v41
	s_mov_b32 s1, 0
	v_add3_u32 v43, v16, v43, v44
	.p2align	6
.LBB146_48:                             ; =>This Inner Loop Header: Depth=1
	v_add_nc_u32_e32 v44, v42, v15
	v_lshrrev_b32_e32 v44, 1, v44
	v_not_b32_e32 v45, v44
	v_lshl_add_u32 v46, v44, 2, v39
	v_lshl_add_u32 v45, v45, 2, v43
	ds_read_b32 v46, v46
	ds_read_b32 v45, v45
	s_waitcnt lgkmcnt(1)
	v_mul_hi_i32 v46, 0x66666667, v46
	s_waitcnt lgkmcnt(0)
	v_mul_hi_i32 v45, 0x66666667, v45
	v_lshrrev_b32_e32 v47, 31, v46
	v_ashrrev_i32_e32 v46, 2, v46
	v_lshrrev_b32_e32 v48, 31, v45
	v_ashrrev_i32_e32 v45, 2, v45
	v_add_nc_u32_e32 v46, v46, v47
	v_add_nc_u32_e32 v47, 1, v44
	;; [unrolled: 1-line block ×3, first 2 shown]
	v_cmp_lt_i32_e32 vcc_lo, v45, v46
	v_cndmask_b32_e32 v42, v42, v44, vcc_lo
	v_cndmask_b32_e32 v15, v47, v15, vcc_lo
	v_cmp_ge_u32_e32 vcc_lo, v15, v42
	s_or_b32 s1, vcc_lo, s1
	s_andn2_b32 exec_lo, exec_lo, s1
	s_cbranch_execnz .LBB146_48
; %bb.49:
	s_or_b32 exec_lo, exec_lo, s1
.LBB146_50:
	s_or_b32 exec_lo, exec_lo, s0
	v_add_nc_u32_e32 v41, v13, v41
	v_add_nc_u32_e32 v40, v15, v40
	v_sub_nc_u32_e32 v41, v41, v15
	v_cmp_le_u32_e32 vcc_lo, v40, v13
	v_cmp_le_u32_e64 s0, v41, v14
	s_or_b32 s0, vcc_lo, s0
	s_and_saveexec_b32 s1, s0
	s_cbranch_execz .LBB146_86
; %bb.51:
	s_mov_b32 s4, exec_lo
	v_cmp_ge_u32_e32 vcc_lo, v40, v13
                                        ; implicit-def: $vgpr4
	v_cmpx_lt_u32_e64 v40, v13
; %bb.52:
	v_lshl_add_u32 v4, v15, 2, v39
	ds_read_b32 v4, v4
; %bb.53:
	s_or_b32 exec_lo, exec_lo, s4
	v_cmp_ge_u32_e64 s4, v41, v14
	s_mov_b32 s5, exec_lo
                                        ; implicit-def: $vgpr10
	v_cmpx_lt_u32_e64 v41, v14
; %bb.54:
	v_lshl_add_u32 v5, v41, 2, v16
	ds_read_b32 v10, v5
; %bb.55:
	s_or_b32 exec_lo, exec_lo, s5
	s_nor_b32 s5, vcc_lo, s4
	s_and_saveexec_b32 s0, s5
	s_cbranch_execz .LBB146_57
; %bb.56:
	s_waitcnt lgkmcnt(0)
	v_mul_hi_i32 v5, 0x66666667, v10
	v_mul_hi_i32 v6, 0x66666667, v4
	s_andn2_b32 s4, s4, exec_lo
	v_lshrrev_b32_e32 v7, 31, v5
	v_ashrrev_i32_e32 v5, 2, v5
	v_lshrrev_b32_e32 v8, 31, v6
	v_ashrrev_i32_e32 v6, 2, v6
	v_add_nc_u32_e32 v5, v5, v7
	v_add_nc_u32_e32 v6, v6, v8
	v_cmp_ge_i32_e32 vcc_lo, v5, v6
	s_and_b32 s5, vcc_lo, exec_lo
	s_or_b32 s4, s4, s5
.LBB146_57:
	s_or_b32 exec_lo, exec_lo, s0
	v_cndmask_b32_e64 v5, v41, v40, s4
	v_cndmask_b32_e64 v6, v14, v13, s4
	s_mov_b32 s5, -1
	s_mov_b32 s0, -1
	s_mov_b32 s13, exec_lo
	v_add_nc_u32_e32 v5, 1, v5
	v_add_nc_u32_e32 v6, -1, v6
	v_cndmask_b32_e64 v7, v40, v5, s4
	v_min_u32_e32 v6, v5, v6
	v_lshl_add_u32 v6, v6, 2, v16
	ds_read_b32 v8, v6
	v_cndmask_b32_e64 v6, v5, v41, s4
	s_waitcnt lgkmcnt(0)
	v_cndmask_b32_e64 v5, v8, v10, s4
	v_cndmask_b32_e64 v15, v4, v8, s4
	v_cmpx_lt_u32_e64 v6, v14
	s_cbranch_execz .LBB146_61
; %bb.58:
	s_mov_b32 s14, 0
	s_mov_b32 s0, exec_lo
	v_cmpx_lt_u32_e64 v7, v13
	s_cbranch_execz .LBB146_60
; %bb.59:
	v_mul_hi_i32 v8, 0x66666667, v5
	v_mul_hi_i32 v9, 0x66666667, v15
	v_lshrrev_b32_e32 v11, 31, v8
	v_ashrrev_i32_e32 v8, 2, v8
	v_lshrrev_b32_e32 v39, 31, v9
	v_ashrrev_i32_e32 v9, 2, v9
	v_add_nc_u32_e32 v8, v8, v11
	v_add_nc_u32_e32 v9, v9, v39
	v_cmp_ge_i32_e32 vcc_lo, v8, v9
	s_and_b32 s14, vcc_lo, exec_lo
.LBB146_60:
	s_or_b32 exec_lo, exec_lo, s0
	s_orn2_b32 s0, s14, exec_lo
.LBB146_61:
	s_or_b32 exec_lo, exec_lo, s13
	v_cndmask_b32_e64 v8, v6, v7, s0
	v_cndmask_b32_e64 v9, v14, v13, s0
	s_mov_b32 s13, exec_lo
	v_add_nc_u32_e32 v11, 1, v8
	v_add_nc_u32_e32 v8, -1, v9
	v_cndmask_b32_e64 v7, v7, v11, s0
	v_min_u32_e32 v8, v11, v8
	v_lshl_add_u32 v8, v8, 2, v16
	ds_read_b32 v9, v8
	v_cndmask_b32_e64 v8, v11, v6, s0
	s_waitcnt lgkmcnt(0)
	v_cndmask_b32_e64 v6, v9, v5, s0
	v_cndmask_b32_e64 v39, v15, v9, s0
	v_cmpx_lt_u32_e64 v8, v14
	s_cbranch_execz .LBB146_65
; %bb.62:
	s_mov_b32 s14, 0
	s_mov_b32 s5, exec_lo
	v_cmpx_lt_u32_e64 v7, v13
	s_cbranch_execz .LBB146_64
; %bb.63:
	v_mul_hi_i32 v9, 0x66666667, v6
	v_mul_hi_i32 v11, 0x66666667, v39
	v_lshrrev_b32_e32 v40, 31, v9
	v_ashrrev_i32_e32 v9, 2, v9
	v_lshrrev_b32_e32 v41, 31, v11
	v_ashrrev_i32_e32 v11, 2, v11
	v_add_nc_u32_e32 v9, v9, v40
	v_add_nc_u32_e32 v11, v11, v41
	v_cmp_ge_i32_e32 vcc_lo, v9, v11
	s_and_b32 s14, vcc_lo, exec_lo
.LBB146_64:
	s_or_b32 exec_lo, exec_lo, s5
	s_orn2_b32 s5, s14, exec_lo
.LBB146_65:
	s_or_b32 exec_lo, exec_lo, s13
	v_cndmask_b32_e64 v9, v8, v7, s5
	v_cndmask_b32_e64 v11, v14, v13, s5
	s_mov_b32 s14, -1
	s_mov_b32 s13, -1
	s_mov_b32 s17, exec_lo
	v_add_nc_u32_e32 v9, 1, v9
	v_add_nc_u32_e32 v11, -1, v11
	v_cndmask_b32_e64 v8, v9, v8, s5
	v_min_u32_e32 v11, v9, v11
	v_cndmask_b32_e64 v9, v7, v9, s5
	v_lshl_add_u32 v11, v11, 2, v16
	ds_read_b32 v11, v11
	s_waitcnt lgkmcnt(0)
	v_cndmask_b32_e64 v7, v11, v6, s5
	v_cndmask_b32_e64 v40, v39, v11, s5
	v_cmpx_lt_u32_e64 v8, v14
	s_cbranch_execz .LBB146_69
; %bb.66:
	s_mov_b32 s18, 0
	s_mov_b32 s13, exec_lo
	v_cmpx_lt_u32_e64 v9, v13
	s_cbranch_execz .LBB146_68
; %bb.67:
	v_mul_hi_i32 v11, 0x66666667, v7
	v_mul_hi_i32 v41, 0x66666667, v40
	v_lshrrev_b32_e32 v42, 31, v11
	v_ashrrev_i32_e32 v11, 2, v11
	v_lshrrev_b32_e32 v43, 31, v41
	v_ashrrev_i32_e32 v41, 2, v41
	v_add_nc_u32_e32 v11, v11, v42
	v_add_nc_u32_e32 v41, v41, v43
	v_cmp_ge_i32_e32 vcc_lo, v11, v41
	s_and_b32 s18, vcc_lo, exec_lo
.LBB146_68:
	s_or_b32 exec_lo, exec_lo, s13
	s_orn2_b32 s13, s18, exec_lo
.LBB146_69:
	s_or_b32 exec_lo, exec_lo, s17
	v_cndmask_b32_e64 v11, v8, v9, s13
	v_cndmask_b32_e64 v41, v14, v13, s13
	s_mov_b32 s17, exec_lo
	v_add_nc_u32_e32 v42, 1, v11
	v_add_nc_u32_e32 v11, -1, v41
	v_cndmask_b32_e64 v9, v9, v42, s13
	v_min_u32_e32 v11, v42, v11
	v_lshl_add_u32 v11, v11, 2, v16
	ds_read_b32 v41, v11
	v_cndmask_b32_e64 v11, v42, v8, s13
	s_waitcnt lgkmcnt(0)
	v_cndmask_b32_e64 v8, v41, v7, s13
	v_cndmask_b32_e64 v41, v40, v41, s13
	v_cmpx_lt_u32_e64 v11, v14
	s_cbranch_execz .LBB146_73
; %bb.70:
	s_mov_b32 s18, 0
	s_mov_b32 s14, exec_lo
	v_cmpx_lt_u32_e64 v9, v13
	s_cbranch_execz .LBB146_72
; %bb.71:
	v_mul_hi_i32 v42, 0x66666667, v8
	v_mul_hi_i32 v43, 0x66666667, v41
	v_lshrrev_b32_e32 v44, 31, v42
	v_ashrrev_i32_e32 v42, 2, v42
	v_lshrrev_b32_e32 v45, 31, v43
	v_ashrrev_i32_e32 v43, 2, v43
	v_add_nc_u32_e32 v42, v42, v44
	v_add_nc_u32_e32 v43, v43, v45
	v_cmp_ge_i32_e32 vcc_lo, v42, v43
	s_and_b32 s18, vcc_lo, exec_lo
.LBB146_72:
	s_or_b32 exec_lo, exec_lo, s14
	s_orn2_b32 s14, s18, exec_lo
.LBB146_73:
	s_or_b32 exec_lo, exec_lo, s17
	v_cndmask_b32_e64 v42, v11, v9, s14
	v_cndmask_b32_e64 v43, v14, v13, s14
	s_mov_b32 s17, -1
	s_mov_b32 s18, -1
	s_mov_b32 s19, exec_lo
	v_add_nc_u32_e32 v42, 1, v42
	v_add_nc_u32_e32 v43, -1, v43
	v_cndmask_b32_e64 v11, v42, v11, s14
	v_min_u32_e32 v43, v42, v43
	v_lshl_add_u32 v43, v43, 2, v16
	ds_read_b32 v44, v43
	v_cndmask_b32_e64 v43, v9, v42, s14
	s_waitcnt lgkmcnt(0)
	v_cndmask_b32_e64 v9, v44, v8, s14
	v_cndmask_b32_e64 v42, v41, v44, s14
	v_cmpx_lt_u32_e64 v11, v14
	s_cbranch_execz .LBB146_77
; %bb.74:
	s_mov_b32 s20, 0
	s_mov_b32 s18, exec_lo
	v_cmpx_lt_u32_e64 v43, v13
	s_cbranch_execz .LBB146_76
; %bb.75:
	v_mul_hi_i32 v44, 0x66666667, v9
	v_mul_hi_i32 v45, 0x66666667, v42
	v_lshrrev_b32_e32 v46, 31, v44
	v_ashrrev_i32_e32 v44, 2, v44
	v_lshrrev_b32_e32 v47, 31, v45
	v_ashrrev_i32_e32 v45, 2, v45
	v_add_nc_u32_e32 v44, v44, v46
	v_add_nc_u32_e32 v45, v45, v47
	v_cmp_ge_i32_e32 vcc_lo, v44, v45
	s_and_b32 s20, vcc_lo, exec_lo
.LBB146_76:
	s_or_b32 exec_lo, exec_lo, s18
	s_orn2_b32 s18, s20, exec_lo
.LBB146_77:
	s_or_b32 exec_lo, exec_lo, s19
	v_cndmask_b32_e64 v44, v11, v43, s18
	v_cndmask_b32_e64 v45, v14, v13, s18
	s_mov_b32 s19, exec_lo
	v_add_nc_u32_e32 v44, 1, v44
	v_add_nc_u32_e32 v45, -1, v45
	v_cndmask_b32_e64 v11, v44, v11, s18
	v_min_u32_e32 v45, v44, v45
	v_lshl_add_u32 v45, v45, 2, v16
	ds_read_b32 v46, v45
	v_cndmask_b32_e64 v45, v43, v44, s18
	s_waitcnt lgkmcnt(0)
	v_cndmask_b32_e64 v43, v46, v9, s18
	v_cndmask_b32_e64 v44, v42, v46, s18
	v_cmpx_lt_u32_e64 v11, v14
	s_cbranch_execz .LBB146_81
; %bb.78:
	s_mov_b32 s20, 0
	s_mov_b32 s17, exec_lo
	v_cmpx_lt_u32_e64 v45, v13
	s_cbranch_execz .LBB146_80
; %bb.79:
	v_mul_hi_i32 v46, 0x66666667, v43
	v_mul_hi_i32 v47, 0x66666667, v44
	v_lshrrev_b32_e32 v48, 31, v46
	v_ashrrev_i32_e32 v46, 2, v46
	v_lshrrev_b32_e32 v49, 31, v47
	v_ashrrev_i32_e32 v47, 2, v47
	v_add_nc_u32_e32 v46, v46, v48
	v_add_nc_u32_e32 v47, v47, v49
	v_cmp_ge_i32_e32 vcc_lo, v46, v47
	s_and_b32 s20, vcc_lo, exec_lo
.LBB146_80:
	s_or_b32 exec_lo, exec_lo, s17
	s_orn2_b32 s17, s20, exec_lo
.LBB146_81:
	s_or_b32 exec_lo, exec_lo, s19
	v_cndmask_b32_e64 v46, v11, v45, s17
	v_cndmask_b32_e64 v47, v14, v13, s17
	s_mov_b32 s19, exec_lo
	v_add_nc_u32_e32 v46, 1, v46
	v_add_nc_u32_e32 v47, -1, v47
	v_cndmask_b32_e64 v48, v46, v11, s17
	v_min_u32_e32 v47, v46, v47
	v_lshl_add_u32 v47, v47, 2, v16
	ds_read_b32 v47, v47
	s_waitcnt lgkmcnt(0)
	v_cndmask_b32_e64 v11, v44, v47, s17
	v_cmpx_lt_u32_e64 v48, v14
	s_cbranch_execz .LBB146_85
; %bb.82:
	v_cndmask_b32_e64 v45, v45, v46, s17
	v_cndmask_b32_e64 v14, v47, v43, s17
	s_mov_b32 s20, exec_lo
	v_cmpx_lt_u32_e64 v45, v13
	s_cbranch_execz .LBB146_84
; %bb.83:
	v_mul_hi_i32 v13, 0x66666667, v14
	v_mul_hi_i32 v45, 0x66666667, v11
	v_lshrrev_b32_e32 v46, 31, v13
	v_ashrrev_i32_e32 v13, 2, v13
	v_lshrrev_b32_e32 v47, 31, v45
	v_ashrrev_i32_e32 v45, 2, v45
	v_add_nc_u32_e32 v13, v13, v46
	v_add_nc_u32_e32 v45, v45, v47
	v_cmp_lt_i32_e32 vcc_lo, v13, v45
	v_cndmask_b32_e32 v14, v11, v14, vcc_lo
.LBB146_84:
	s_or_b32 exec_lo, exec_lo, s20
	v_mov_b32_e32 v11, v14
.LBB146_85:
	s_or_b32 exec_lo, exec_lo, s19
	v_cndmask_b32_e64 v9, v9, v42, s18
	v_cndmask_b32_e64 v8, v8, v41, s14
	;; [unrolled: 1-line block ×7, first 2 shown]
.LBB146_86:
	s_or_b32 exec_lo, exec_lo, s1
	v_and_b32_e32 v40, 0xc0, v18
	v_and_b32_e32 v15, 56, v18
	s_mov_b32 s0, exec_lo
	; wave barrier
	v_or_b32_e32 v13, 32, v40
	v_min_u32_e32 v41, v17, v15
	ds_write_b128 v19, v[4:7]
	ds_write_b128 v19, v[8:11] offset:16
	; wave barrier
	v_min_u32_e32 v13, v17, v13
	v_add_nc_u32_e32 v14, 32, v13
	v_sub_nc_u32_e32 v39, v13, v40
	v_min_u32_e32 v14, v17, v14
	v_min_u32_e32 v42, v41, v39
	v_lshl_add_u32 v39, v40, 2, v16
	v_sub_nc_u32_e32 v15, v14, v13
	v_sub_nc_u32_e64 v15, v41, v15 clamp
	v_cmpx_lt_u32_e64 v15, v42
	s_cbranch_execz .LBB146_90
; %bb.87:
	v_lshlrev_b32_e32 v43, 2, v13
	v_lshlrev_b32_e32 v44, 2, v41
	s_mov_b32 s1, 0
	v_add3_u32 v43, v16, v43, v44
	.p2align	6
.LBB146_88:                             ; =>This Inner Loop Header: Depth=1
	v_add_nc_u32_e32 v44, v42, v15
	v_lshrrev_b32_e32 v44, 1, v44
	v_not_b32_e32 v45, v44
	v_lshl_add_u32 v46, v44, 2, v39
	v_lshl_add_u32 v45, v45, 2, v43
	ds_read_b32 v46, v46
	ds_read_b32 v45, v45
	s_waitcnt lgkmcnt(1)
	v_mul_hi_i32 v46, 0x66666667, v46
	s_waitcnt lgkmcnt(0)
	v_mul_hi_i32 v45, 0x66666667, v45
	v_lshrrev_b32_e32 v47, 31, v46
	v_ashrrev_i32_e32 v46, 2, v46
	v_lshrrev_b32_e32 v48, 31, v45
	v_ashrrev_i32_e32 v45, 2, v45
	v_add_nc_u32_e32 v46, v46, v47
	v_add_nc_u32_e32 v47, 1, v44
	;; [unrolled: 1-line block ×3, first 2 shown]
	v_cmp_lt_i32_e32 vcc_lo, v45, v46
	v_cndmask_b32_e32 v42, v42, v44, vcc_lo
	v_cndmask_b32_e32 v15, v47, v15, vcc_lo
	v_cmp_ge_u32_e32 vcc_lo, v15, v42
	s_or_b32 s1, vcc_lo, s1
	s_andn2_b32 exec_lo, exec_lo, s1
	s_cbranch_execnz .LBB146_88
; %bb.89:
	s_or_b32 exec_lo, exec_lo, s1
.LBB146_90:
	s_or_b32 exec_lo, exec_lo, s0
	v_add_nc_u32_e32 v41, v13, v41
	v_add_nc_u32_e32 v40, v15, v40
	v_sub_nc_u32_e32 v41, v41, v15
	v_cmp_le_u32_e32 vcc_lo, v40, v13
	v_cmp_le_u32_e64 s0, v41, v14
	s_or_b32 s0, vcc_lo, s0
	s_and_saveexec_b32 s1, s0
	s_cbranch_execz .LBB146_126
; %bb.91:
	s_mov_b32 s4, exec_lo
	v_cmp_ge_u32_e32 vcc_lo, v40, v13
                                        ; implicit-def: $vgpr4
	v_cmpx_lt_u32_e64 v40, v13
; %bb.92:
	v_lshl_add_u32 v4, v15, 2, v39
	ds_read_b32 v4, v4
; %bb.93:
	s_or_b32 exec_lo, exec_lo, s4
	v_cmp_ge_u32_e64 s4, v41, v14
	s_mov_b32 s5, exec_lo
                                        ; implicit-def: $vgpr10
	v_cmpx_lt_u32_e64 v41, v14
; %bb.94:
	v_lshl_add_u32 v5, v41, 2, v16
	ds_read_b32 v10, v5
; %bb.95:
	s_or_b32 exec_lo, exec_lo, s5
	s_nor_b32 s5, vcc_lo, s4
	s_and_saveexec_b32 s0, s5
	s_cbranch_execz .LBB146_97
; %bb.96:
	s_waitcnt lgkmcnt(0)
	v_mul_hi_i32 v5, 0x66666667, v10
	v_mul_hi_i32 v6, 0x66666667, v4
	s_andn2_b32 s4, s4, exec_lo
	v_lshrrev_b32_e32 v7, 31, v5
	v_ashrrev_i32_e32 v5, 2, v5
	v_lshrrev_b32_e32 v8, 31, v6
	v_ashrrev_i32_e32 v6, 2, v6
	v_add_nc_u32_e32 v5, v5, v7
	v_add_nc_u32_e32 v6, v6, v8
	v_cmp_ge_i32_e32 vcc_lo, v5, v6
	s_and_b32 s5, vcc_lo, exec_lo
	s_or_b32 s4, s4, s5
.LBB146_97:
	s_or_b32 exec_lo, exec_lo, s0
	v_cndmask_b32_e64 v5, v41, v40, s4
	v_cndmask_b32_e64 v6, v14, v13, s4
	s_mov_b32 s5, -1
	s_mov_b32 s0, -1
	s_mov_b32 s13, exec_lo
	v_add_nc_u32_e32 v5, 1, v5
	v_add_nc_u32_e32 v6, -1, v6
	v_cndmask_b32_e64 v7, v40, v5, s4
	v_min_u32_e32 v6, v5, v6
	v_lshl_add_u32 v6, v6, 2, v16
	ds_read_b32 v8, v6
	v_cndmask_b32_e64 v6, v5, v41, s4
	s_waitcnt lgkmcnt(0)
	v_cndmask_b32_e64 v5, v8, v10, s4
	v_cndmask_b32_e64 v15, v4, v8, s4
	v_cmpx_lt_u32_e64 v6, v14
	s_cbranch_execz .LBB146_101
; %bb.98:
	s_mov_b32 s14, 0
	s_mov_b32 s0, exec_lo
	v_cmpx_lt_u32_e64 v7, v13
	s_cbranch_execz .LBB146_100
; %bb.99:
	v_mul_hi_i32 v8, 0x66666667, v5
	v_mul_hi_i32 v9, 0x66666667, v15
	v_lshrrev_b32_e32 v11, 31, v8
	v_ashrrev_i32_e32 v8, 2, v8
	v_lshrrev_b32_e32 v39, 31, v9
	v_ashrrev_i32_e32 v9, 2, v9
	v_add_nc_u32_e32 v8, v8, v11
	v_add_nc_u32_e32 v9, v9, v39
	v_cmp_ge_i32_e32 vcc_lo, v8, v9
	s_and_b32 s14, vcc_lo, exec_lo
.LBB146_100:
	s_or_b32 exec_lo, exec_lo, s0
	s_orn2_b32 s0, s14, exec_lo
.LBB146_101:
	s_or_b32 exec_lo, exec_lo, s13
	v_cndmask_b32_e64 v8, v6, v7, s0
	v_cndmask_b32_e64 v9, v14, v13, s0
	s_mov_b32 s13, exec_lo
	v_add_nc_u32_e32 v11, 1, v8
	v_add_nc_u32_e32 v8, -1, v9
	v_cndmask_b32_e64 v7, v7, v11, s0
	v_min_u32_e32 v8, v11, v8
	v_lshl_add_u32 v8, v8, 2, v16
	ds_read_b32 v9, v8
	v_cndmask_b32_e64 v8, v11, v6, s0
	s_waitcnt lgkmcnt(0)
	v_cndmask_b32_e64 v6, v9, v5, s0
	v_cndmask_b32_e64 v39, v15, v9, s0
	v_cmpx_lt_u32_e64 v8, v14
	s_cbranch_execz .LBB146_105
; %bb.102:
	s_mov_b32 s14, 0
	s_mov_b32 s5, exec_lo
	v_cmpx_lt_u32_e64 v7, v13
	s_cbranch_execz .LBB146_104
; %bb.103:
	v_mul_hi_i32 v9, 0x66666667, v6
	v_mul_hi_i32 v11, 0x66666667, v39
	v_lshrrev_b32_e32 v40, 31, v9
	v_ashrrev_i32_e32 v9, 2, v9
	v_lshrrev_b32_e32 v41, 31, v11
	v_ashrrev_i32_e32 v11, 2, v11
	v_add_nc_u32_e32 v9, v9, v40
	v_add_nc_u32_e32 v11, v11, v41
	v_cmp_ge_i32_e32 vcc_lo, v9, v11
	s_and_b32 s14, vcc_lo, exec_lo
.LBB146_104:
	s_or_b32 exec_lo, exec_lo, s5
	s_orn2_b32 s5, s14, exec_lo
.LBB146_105:
	s_or_b32 exec_lo, exec_lo, s13
	v_cndmask_b32_e64 v9, v8, v7, s5
	v_cndmask_b32_e64 v11, v14, v13, s5
	s_mov_b32 s14, -1
	s_mov_b32 s13, -1
	s_mov_b32 s17, exec_lo
	v_add_nc_u32_e32 v9, 1, v9
	v_add_nc_u32_e32 v11, -1, v11
	v_cndmask_b32_e64 v8, v9, v8, s5
	v_min_u32_e32 v11, v9, v11
	v_cndmask_b32_e64 v9, v7, v9, s5
	v_lshl_add_u32 v11, v11, 2, v16
	ds_read_b32 v11, v11
	s_waitcnt lgkmcnt(0)
	v_cndmask_b32_e64 v7, v11, v6, s5
	v_cndmask_b32_e64 v40, v39, v11, s5
	v_cmpx_lt_u32_e64 v8, v14
	s_cbranch_execz .LBB146_109
; %bb.106:
	s_mov_b32 s18, 0
	s_mov_b32 s13, exec_lo
	v_cmpx_lt_u32_e64 v9, v13
	s_cbranch_execz .LBB146_108
; %bb.107:
	v_mul_hi_i32 v11, 0x66666667, v7
	v_mul_hi_i32 v41, 0x66666667, v40
	v_lshrrev_b32_e32 v42, 31, v11
	v_ashrrev_i32_e32 v11, 2, v11
	v_lshrrev_b32_e32 v43, 31, v41
	v_ashrrev_i32_e32 v41, 2, v41
	v_add_nc_u32_e32 v11, v11, v42
	v_add_nc_u32_e32 v41, v41, v43
	v_cmp_ge_i32_e32 vcc_lo, v11, v41
	s_and_b32 s18, vcc_lo, exec_lo
.LBB146_108:
	s_or_b32 exec_lo, exec_lo, s13
	s_orn2_b32 s13, s18, exec_lo
.LBB146_109:
	s_or_b32 exec_lo, exec_lo, s17
	v_cndmask_b32_e64 v11, v8, v9, s13
	v_cndmask_b32_e64 v41, v14, v13, s13
	s_mov_b32 s17, exec_lo
	v_add_nc_u32_e32 v42, 1, v11
	v_add_nc_u32_e32 v11, -1, v41
	v_cndmask_b32_e64 v9, v9, v42, s13
	v_min_u32_e32 v11, v42, v11
	v_lshl_add_u32 v11, v11, 2, v16
	ds_read_b32 v41, v11
	v_cndmask_b32_e64 v11, v42, v8, s13
	s_waitcnt lgkmcnt(0)
	v_cndmask_b32_e64 v8, v41, v7, s13
	v_cndmask_b32_e64 v41, v40, v41, s13
	v_cmpx_lt_u32_e64 v11, v14
	s_cbranch_execz .LBB146_113
; %bb.110:
	s_mov_b32 s18, 0
	s_mov_b32 s14, exec_lo
	v_cmpx_lt_u32_e64 v9, v13
	s_cbranch_execz .LBB146_112
; %bb.111:
	v_mul_hi_i32 v42, 0x66666667, v8
	v_mul_hi_i32 v43, 0x66666667, v41
	v_lshrrev_b32_e32 v44, 31, v42
	v_ashrrev_i32_e32 v42, 2, v42
	v_lshrrev_b32_e32 v45, 31, v43
	v_ashrrev_i32_e32 v43, 2, v43
	v_add_nc_u32_e32 v42, v42, v44
	v_add_nc_u32_e32 v43, v43, v45
	v_cmp_ge_i32_e32 vcc_lo, v42, v43
	s_and_b32 s18, vcc_lo, exec_lo
.LBB146_112:
	s_or_b32 exec_lo, exec_lo, s14
	s_orn2_b32 s14, s18, exec_lo
.LBB146_113:
	s_or_b32 exec_lo, exec_lo, s17
	v_cndmask_b32_e64 v42, v11, v9, s14
	v_cndmask_b32_e64 v43, v14, v13, s14
	s_mov_b32 s17, -1
	s_mov_b32 s18, -1
	s_mov_b32 s19, exec_lo
	v_add_nc_u32_e32 v42, 1, v42
	v_add_nc_u32_e32 v43, -1, v43
	v_cndmask_b32_e64 v11, v42, v11, s14
	v_min_u32_e32 v43, v42, v43
	v_lshl_add_u32 v43, v43, 2, v16
	ds_read_b32 v44, v43
	v_cndmask_b32_e64 v43, v9, v42, s14
	s_waitcnt lgkmcnt(0)
	v_cndmask_b32_e64 v9, v44, v8, s14
	v_cndmask_b32_e64 v42, v41, v44, s14
	v_cmpx_lt_u32_e64 v11, v14
	s_cbranch_execz .LBB146_117
; %bb.114:
	s_mov_b32 s20, 0
	s_mov_b32 s18, exec_lo
	v_cmpx_lt_u32_e64 v43, v13
	s_cbranch_execz .LBB146_116
; %bb.115:
	v_mul_hi_i32 v44, 0x66666667, v9
	v_mul_hi_i32 v45, 0x66666667, v42
	v_lshrrev_b32_e32 v46, 31, v44
	v_ashrrev_i32_e32 v44, 2, v44
	v_lshrrev_b32_e32 v47, 31, v45
	v_ashrrev_i32_e32 v45, 2, v45
	v_add_nc_u32_e32 v44, v44, v46
	v_add_nc_u32_e32 v45, v45, v47
	v_cmp_ge_i32_e32 vcc_lo, v44, v45
	s_and_b32 s20, vcc_lo, exec_lo
.LBB146_116:
	s_or_b32 exec_lo, exec_lo, s18
	s_orn2_b32 s18, s20, exec_lo
.LBB146_117:
	s_or_b32 exec_lo, exec_lo, s19
	v_cndmask_b32_e64 v44, v11, v43, s18
	v_cndmask_b32_e64 v45, v14, v13, s18
	s_mov_b32 s19, exec_lo
	v_add_nc_u32_e32 v44, 1, v44
	v_add_nc_u32_e32 v45, -1, v45
	v_cndmask_b32_e64 v11, v44, v11, s18
	v_min_u32_e32 v45, v44, v45
	v_lshl_add_u32 v45, v45, 2, v16
	ds_read_b32 v46, v45
	v_cndmask_b32_e64 v45, v43, v44, s18
	s_waitcnt lgkmcnt(0)
	v_cndmask_b32_e64 v43, v46, v9, s18
	v_cndmask_b32_e64 v44, v42, v46, s18
	v_cmpx_lt_u32_e64 v11, v14
	s_cbranch_execz .LBB146_121
; %bb.118:
	s_mov_b32 s20, 0
	s_mov_b32 s17, exec_lo
	v_cmpx_lt_u32_e64 v45, v13
	s_cbranch_execz .LBB146_120
; %bb.119:
	v_mul_hi_i32 v46, 0x66666667, v43
	v_mul_hi_i32 v47, 0x66666667, v44
	v_lshrrev_b32_e32 v48, 31, v46
	v_ashrrev_i32_e32 v46, 2, v46
	v_lshrrev_b32_e32 v49, 31, v47
	v_ashrrev_i32_e32 v47, 2, v47
	v_add_nc_u32_e32 v46, v46, v48
	v_add_nc_u32_e32 v47, v47, v49
	v_cmp_ge_i32_e32 vcc_lo, v46, v47
	s_and_b32 s20, vcc_lo, exec_lo
.LBB146_120:
	s_or_b32 exec_lo, exec_lo, s17
	s_orn2_b32 s17, s20, exec_lo
.LBB146_121:
	s_or_b32 exec_lo, exec_lo, s19
	v_cndmask_b32_e64 v46, v11, v45, s17
	v_cndmask_b32_e64 v47, v14, v13, s17
	s_mov_b32 s19, exec_lo
	v_add_nc_u32_e32 v46, 1, v46
	v_add_nc_u32_e32 v47, -1, v47
	v_cndmask_b32_e64 v48, v46, v11, s17
	v_min_u32_e32 v47, v46, v47
	v_lshl_add_u32 v47, v47, 2, v16
	ds_read_b32 v47, v47
	s_waitcnt lgkmcnt(0)
	v_cndmask_b32_e64 v11, v44, v47, s17
	v_cmpx_lt_u32_e64 v48, v14
	s_cbranch_execz .LBB146_125
; %bb.122:
	v_cndmask_b32_e64 v45, v45, v46, s17
	v_cndmask_b32_e64 v14, v47, v43, s17
	s_mov_b32 s20, exec_lo
	v_cmpx_lt_u32_e64 v45, v13
	s_cbranch_execz .LBB146_124
; %bb.123:
	v_mul_hi_i32 v13, 0x66666667, v14
	v_mul_hi_i32 v45, 0x66666667, v11
	v_lshrrev_b32_e32 v46, 31, v13
	v_ashrrev_i32_e32 v13, 2, v13
	v_lshrrev_b32_e32 v47, 31, v45
	v_ashrrev_i32_e32 v45, 2, v45
	v_add_nc_u32_e32 v13, v13, v46
	v_add_nc_u32_e32 v45, v45, v47
	v_cmp_lt_i32_e32 vcc_lo, v13, v45
	v_cndmask_b32_e32 v14, v11, v14, vcc_lo
.LBB146_124:
	s_or_b32 exec_lo, exec_lo, s20
	v_mov_b32_e32 v11, v14
.LBB146_125:
	s_or_b32 exec_lo, exec_lo, s19
	v_cndmask_b32_e64 v9, v9, v42, s18
	v_cndmask_b32_e64 v8, v8, v41, s14
	v_cndmask_b32_e64 v7, v7, v40, s13
	v_cndmask_b32_e64 v6, v6, v39, s5
	v_cndmask_b32_e64 v5, v5, v15, s0
	v_cndmask_b32_e64 v4, v10, v4, s4
	v_cndmask_b32_e64 v10, v43, v44, s17
.LBB146_126:
	s_or_b32 exec_lo, exec_lo, s1
	v_and_b32_e32 v39, 0x80, v18
	v_and_b32_e32 v15, 0x78, v18
	s_mov_b32 s0, exec_lo
	; wave barrier
	v_or_b32_e32 v13, 64, v39
	v_min_u32_e32 v18, v17, v15
	ds_write_b128 v19, v[4:7]
	ds_write_b128 v19, v[8:11] offset:16
	; wave barrier
	v_min_u32_e32 v13, v17, v13
	v_add_nc_u32_e32 v14, 64, v13
	v_min_u32_e32 v14, v17, v14
	v_sub_nc_u32_e32 v17, v13, v39
	v_sub_nc_u32_e32 v15, v14, v13
	v_min_u32_e32 v40, v18, v17
	v_lshl_add_u32 v17, v39, 2, v16
	v_sub_nc_u32_e64 v15, v18, v15 clamp
	v_cmpx_lt_u32_e64 v15, v40
	s_cbranch_execz .LBB146_130
; %bb.127:
	v_lshlrev_b32_e32 v19, 2, v13
	v_lshlrev_b32_e32 v41, 2, v18
	s_mov_b32 s1, 0
	v_add3_u32 v19, v16, v19, v41
	.p2align	6
.LBB146_128:                            ; =>This Inner Loop Header: Depth=1
	v_add_nc_u32_e32 v41, v40, v15
	v_lshrrev_b32_e32 v41, 1, v41
	v_not_b32_e32 v42, v41
	v_lshl_add_u32 v43, v41, 2, v17
	v_lshl_add_u32 v42, v42, 2, v19
	ds_read_b32 v43, v43
	ds_read_b32 v42, v42
	s_waitcnt lgkmcnt(1)
	v_mul_hi_i32 v43, 0x66666667, v43
	s_waitcnt lgkmcnt(0)
	v_mul_hi_i32 v42, 0x66666667, v42
	v_lshrrev_b32_e32 v44, 31, v43
	v_ashrrev_i32_e32 v43, 2, v43
	v_lshrrev_b32_e32 v45, 31, v42
	v_ashrrev_i32_e32 v42, 2, v42
	v_add_nc_u32_e32 v43, v43, v44
	v_add_nc_u32_e32 v44, 1, v41
	v_add_nc_u32_e32 v42, v42, v45
	v_cmp_lt_i32_e32 vcc_lo, v42, v43
	v_cndmask_b32_e32 v40, v40, v41, vcc_lo
	v_cndmask_b32_e32 v15, v44, v15, vcc_lo
	v_cmp_ge_u32_e32 vcc_lo, v15, v40
	s_or_b32 s1, vcc_lo, s1
	s_andn2_b32 exec_lo, exec_lo, s1
	s_cbranch_execnz .LBB146_128
; %bb.129:
	s_or_b32 exec_lo, exec_lo, s1
.LBB146_130:
	s_or_b32 exec_lo, exec_lo, s0
	v_add_nc_u32_e32 v19, v13, v18
	v_add_nc_u32_e32 v18, v15, v39
	v_sub_nc_u32_e32 v19, v19, v15
	v_cmp_le_u32_e32 vcc_lo, v18, v13
	v_cmp_le_u32_e64 s0, v19, v14
	s_or_b32 s0, vcc_lo, s0
	s_and_saveexec_b32 s1, s0
	s_cbranch_execz .LBB146_166
; %bb.131:
	s_mov_b32 s4, exec_lo
	v_cmp_ge_u32_e32 vcc_lo, v18, v13
                                        ; implicit-def: $vgpr4
	v_cmpx_lt_u32_e64 v18, v13
; %bb.132:
	v_lshl_add_u32 v4, v15, 2, v17
	ds_read_b32 v4, v4
; %bb.133:
	s_or_b32 exec_lo, exec_lo, s4
	v_cmp_ge_u32_e64 s4, v19, v14
	s_mov_b32 s5, exec_lo
                                        ; implicit-def: $vgpr10
	v_cmpx_lt_u32_e64 v19, v14
; %bb.134:
	v_lshl_add_u32 v5, v19, 2, v16
	ds_read_b32 v10, v5
; %bb.135:
	s_or_b32 exec_lo, exec_lo, s5
	s_nor_b32 s5, vcc_lo, s4
	s_and_saveexec_b32 s0, s5
	s_cbranch_execz .LBB146_137
; %bb.136:
	s_waitcnt lgkmcnt(0)
	v_mul_hi_i32 v5, 0x66666667, v10
	v_mul_hi_i32 v6, 0x66666667, v4
	s_andn2_b32 s4, s4, exec_lo
	v_lshrrev_b32_e32 v7, 31, v5
	v_ashrrev_i32_e32 v5, 2, v5
	v_lshrrev_b32_e32 v8, 31, v6
	v_ashrrev_i32_e32 v6, 2, v6
	v_add_nc_u32_e32 v5, v5, v7
	v_add_nc_u32_e32 v6, v6, v8
	v_cmp_ge_i32_e32 vcc_lo, v5, v6
	s_and_b32 s5, vcc_lo, exec_lo
	s_or_b32 s4, s4, s5
.LBB146_137:
	s_or_b32 exec_lo, exec_lo, s0
	v_cndmask_b32_e64 v5, v19, v18, s4
	v_cndmask_b32_e64 v6, v14, v13, s4
	s_mov_b32 s5, -1
	s_mov_b32 s0, -1
	s_mov_b32 s13, exec_lo
	v_add_nc_u32_e32 v5, 1, v5
	v_add_nc_u32_e32 v6, -1, v6
	v_cndmask_b32_e64 v7, v18, v5, s4
	v_min_u32_e32 v6, v5, v6
	v_lshl_add_u32 v6, v6, 2, v16
	ds_read_b32 v8, v6
	v_cndmask_b32_e64 v6, v5, v19, s4
	s_waitcnt lgkmcnt(0)
	v_cndmask_b32_e64 v5, v8, v10, s4
	v_cndmask_b32_e64 v15, v4, v8, s4
	v_cmpx_lt_u32_e64 v6, v14
	s_cbranch_execz .LBB146_141
; %bb.138:
	s_mov_b32 s14, 0
	s_mov_b32 s0, exec_lo
	v_cmpx_lt_u32_e64 v7, v13
	s_cbranch_execz .LBB146_140
; %bb.139:
	v_mul_hi_i32 v8, 0x66666667, v5
	v_mul_hi_i32 v9, 0x66666667, v15
	v_lshrrev_b32_e32 v11, 31, v8
	v_ashrrev_i32_e32 v8, 2, v8
	v_lshrrev_b32_e32 v17, 31, v9
	v_ashrrev_i32_e32 v9, 2, v9
	v_add_nc_u32_e32 v8, v8, v11
	v_add_nc_u32_e32 v9, v9, v17
	v_cmp_ge_i32_e32 vcc_lo, v8, v9
	s_and_b32 s14, vcc_lo, exec_lo
.LBB146_140:
	s_or_b32 exec_lo, exec_lo, s0
	s_orn2_b32 s0, s14, exec_lo
.LBB146_141:
	s_or_b32 exec_lo, exec_lo, s13
	v_cndmask_b32_e64 v8, v6, v7, s0
	v_cndmask_b32_e64 v9, v14, v13, s0
	s_mov_b32 s13, exec_lo
	v_add_nc_u32_e32 v11, 1, v8
	v_add_nc_u32_e32 v8, -1, v9
	v_cndmask_b32_e64 v7, v7, v11, s0
	v_min_u32_e32 v8, v11, v8
	v_lshl_add_u32 v8, v8, 2, v16
	ds_read_b32 v9, v8
	v_cndmask_b32_e64 v8, v11, v6, s0
	s_waitcnt lgkmcnt(0)
	v_cndmask_b32_e64 v6, v9, v5, s0
	v_cndmask_b32_e64 v17, v15, v9, s0
	v_cmpx_lt_u32_e64 v8, v14
	s_cbranch_execz .LBB146_145
; %bb.142:
	s_mov_b32 s14, 0
	s_mov_b32 s5, exec_lo
	v_cmpx_lt_u32_e64 v7, v13
	s_cbranch_execz .LBB146_144
; %bb.143:
	v_mul_hi_i32 v9, 0x66666667, v6
	v_mul_hi_i32 v11, 0x66666667, v17
	v_lshrrev_b32_e32 v18, 31, v9
	v_ashrrev_i32_e32 v9, 2, v9
	v_lshrrev_b32_e32 v19, 31, v11
	v_ashrrev_i32_e32 v11, 2, v11
	v_add_nc_u32_e32 v9, v9, v18
	v_add_nc_u32_e32 v11, v11, v19
	v_cmp_ge_i32_e32 vcc_lo, v9, v11
	s_and_b32 s14, vcc_lo, exec_lo
.LBB146_144:
	s_or_b32 exec_lo, exec_lo, s5
	s_orn2_b32 s5, s14, exec_lo
.LBB146_145:
	s_or_b32 exec_lo, exec_lo, s13
	v_cndmask_b32_e64 v9, v8, v7, s5
	v_cndmask_b32_e64 v11, v14, v13, s5
	s_mov_b32 s14, -1
	s_mov_b32 s13, -1
	s_mov_b32 s17, exec_lo
	v_add_nc_u32_e32 v9, 1, v9
	v_add_nc_u32_e32 v11, -1, v11
	v_cndmask_b32_e64 v8, v9, v8, s5
	v_min_u32_e32 v11, v9, v11
	v_cndmask_b32_e64 v9, v7, v9, s5
	v_lshl_add_u32 v11, v11, 2, v16
	ds_read_b32 v11, v11
	s_waitcnt lgkmcnt(0)
	v_cndmask_b32_e64 v7, v11, v6, s5
	v_cndmask_b32_e64 v18, v17, v11, s5
	v_cmpx_lt_u32_e64 v8, v14
	s_cbranch_execz .LBB146_149
; %bb.146:
	s_mov_b32 s18, 0
	s_mov_b32 s13, exec_lo
	v_cmpx_lt_u32_e64 v9, v13
	s_cbranch_execz .LBB146_148
; %bb.147:
	v_mul_hi_i32 v11, 0x66666667, v7
	v_mul_hi_i32 v19, 0x66666667, v18
	v_lshrrev_b32_e32 v39, 31, v11
	v_ashrrev_i32_e32 v11, 2, v11
	v_lshrrev_b32_e32 v40, 31, v19
	v_ashrrev_i32_e32 v19, 2, v19
	v_add_nc_u32_e32 v11, v11, v39
	v_add_nc_u32_e32 v19, v19, v40
	v_cmp_ge_i32_e32 vcc_lo, v11, v19
	s_and_b32 s18, vcc_lo, exec_lo
.LBB146_148:
	s_or_b32 exec_lo, exec_lo, s13
	s_orn2_b32 s13, s18, exec_lo
.LBB146_149:
	s_or_b32 exec_lo, exec_lo, s17
	v_cndmask_b32_e64 v11, v8, v9, s13
	v_cndmask_b32_e64 v19, v14, v13, s13
	s_mov_b32 s17, exec_lo
	v_add_nc_u32_e32 v39, 1, v11
	v_add_nc_u32_e32 v11, -1, v19
	v_cndmask_b32_e64 v9, v9, v39, s13
	v_min_u32_e32 v11, v39, v11
	v_lshl_add_u32 v11, v11, 2, v16
	ds_read_b32 v19, v11
	v_cndmask_b32_e64 v11, v39, v8, s13
	s_waitcnt lgkmcnt(0)
	v_cndmask_b32_e64 v8, v19, v7, s13
	v_cndmask_b32_e64 v19, v18, v19, s13
	v_cmpx_lt_u32_e64 v11, v14
	s_cbranch_execz .LBB146_153
; %bb.150:
	s_mov_b32 s18, 0
	s_mov_b32 s14, exec_lo
	v_cmpx_lt_u32_e64 v9, v13
	s_cbranch_execz .LBB146_152
; %bb.151:
	v_mul_hi_i32 v39, 0x66666667, v8
	v_mul_hi_i32 v40, 0x66666667, v19
	v_lshrrev_b32_e32 v41, 31, v39
	v_ashrrev_i32_e32 v39, 2, v39
	v_lshrrev_b32_e32 v42, 31, v40
	v_ashrrev_i32_e32 v40, 2, v40
	v_add_nc_u32_e32 v39, v39, v41
	v_add_nc_u32_e32 v40, v40, v42
	v_cmp_ge_i32_e32 vcc_lo, v39, v40
	s_and_b32 s18, vcc_lo, exec_lo
.LBB146_152:
	s_or_b32 exec_lo, exec_lo, s14
	s_orn2_b32 s14, s18, exec_lo
.LBB146_153:
	s_or_b32 exec_lo, exec_lo, s17
	v_cndmask_b32_e64 v39, v11, v9, s14
	v_cndmask_b32_e64 v40, v14, v13, s14
	s_mov_b32 s17, -1
	s_mov_b32 s18, -1
	s_mov_b32 s19, exec_lo
	v_add_nc_u32_e32 v39, 1, v39
	v_add_nc_u32_e32 v40, -1, v40
	v_cndmask_b32_e64 v11, v39, v11, s14
	v_min_u32_e32 v40, v39, v40
	v_lshl_add_u32 v40, v40, 2, v16
	ds_read_b32 v41, v40
	v_cndmask_b32_e64 v40, v9, v39, s14
	s_waitcnt lgkmcnt(0)
	v_cndmask_b32_e64 v9, v41, v8, s14
	v_cndmask_b32_e64 v39, v19, v41, s14
	v_cmpx_lt_u32_e64 v11, v14
	s_cbranch_execz .LBB146_157
; %bb.154:
	s_mov_b32 s20, 0
	s_mov_b32 s18, exec_lo
	v_cmpx_lt_u32_e64 v40, v13
	s_cbranch_execz .LBB146_156
; %bb.155:
	v_mul_hi_i32 v41, 0x66666667, v9
	v_mul_hi_i32 v42, 0x66666667, v39
	v_lshrrev_b32_e32 v43, 31, v41
	v_ashrrev_i32_e32 v41, 2, v41
	v_lshrrev_b32_e32 v44, 31, v42
	v_ashrrev_i32_e32 v42, 2, v42
	v_add_nc_u32_e32 v41, v41, v43
	v_add_nc_u32_e32 v42, v42, v44
	v_cmp_ge_i32_e32 vcc_lo, v41, v42
	s_and_b32 s20, vcc_lo, exec_lo
.LBB146_156:
	s_or_b32 exec_lo, exec_lo, s18
	s_orn2_b32 s18, s20, exec_lo
.LBB146_157:
	s_or_b32 exec_lo, exec_lo, s19
	v_cndmask_b32_e64 v41, v11, v40, s18
	v_cndmask_b32_e64 v42, v14, v13, s18
	s_mov_b32 s19, exec_lo
	v_add_nc_u32_e32 v41, 1, v41
	v_add_nc_u32_e32 v42, -1, v42
	v_cndmask_b32_e64 v11, v41, v11, s18
	v_min_u32_e32 v42, v41, v42
	v_lshl_add_u32 v42, v42, 2, v16
	ds_read_b32 v43, v42
	v_cndmask_b32_e64 v42, v40, v41, s18
	s_waitcnt lgkmcnt(0)
	v_cndmask_b32_e64 v40, v43, v9, s18
	v_cndmask_b32_e64 v41, v39, v43, s18
	v_cmpx_lt_u32_e64 v11, v14
	s_cbranch_execz .LBB146_161
; %bb.158:
	s_mov_b32 s20, 0
	s_mov_b32 s17, exec_lo
	v_cmpx_lt_u32_e64 v42, v13
	s_cbranch_execz .LBB146_160
; %bb.159:
	v_mul_hi_i32 v43, 0x66666667, v40
	v_mul_hi_i32 v44, 0x66666667, v41
	v_lshrrev_b32_e32 v45, 31, v43
	v_ashrrev_i32_e32 v43, 2, v43
	v_lshrrev_b32_e32 v46, 31, v44
	v_ashrrev_i32_e32 v44, 2, v44
	v_add_nc_u32_e32 v43, v43, v45
	v_add_nc_u32_e32 v44, v44, v46
	v_cmp_ge_i32_e32 vcc_lo, v43, v44
	s_and_b32 s20, vcc_lo, exec_lo
.LBB146_160:
	s_or_b32 exec_lo, exec_lo, s17
	s_orn2_b32 s17, s20, exec_lo
.LBB146_161:
	s_or_b32 exec_lo, exec_lo, s19
	v_cndmask_b32_e64 v43, v11, v42, s17
	v_cndmask_b32_e64 v44, v14, v13, s17
	s_mov_b32 s19, exec_lo
	v_add_nc_u32_e32 v43, 1, v43
	v_add_nc_u32_e32 v44, -1, v44
	v_min_u32_e32 v44, v43, v44
	v_lshl_add_u32 v16, v44, 2, v16
	v_cndmask_b32_e64 v44, v43, v11, s17
	ds_read_b32 v16, v16
	s_waitcnt lgkmcnt(0)
	v_cndmask_b32_e64 v11, v41, v16, s17
	v_cmpx_lt_u32_e64 v44, v14
	s_cbranch_execz .LBB146_165
; %bb.162:
	v_cndmask_b32_e64 v42, v42, v43, s17
	v_cndmask_b32_e64 v14, v16, v40, s17
	s_mov_b32 s20, exec_lo
	v_cmpx_lt_u32_e64 v42, v13
	s_cbranch_execz .LBB146_164
; %bb.163:
	v_mul_hi_i32 v13, 0x66666667, v14
	v_mul_hi_i32 v16, 0x66666667, v11
	v_lshrrev_b32_e32 v42, 31, v13
	v_ashrrev_i32_e32 v13, 2, v13
	v_lshrrev_b32_e32 v43, 31, v16
	v_ashrrev_i32_e32 v16, 2, v16
	v_add_nc_u32_e32 v13, v13, v42
	v_add_nc_u32_e32 v16, v16, v43
	v_cmp_lt_i32_e32 vcc_lo, v13, v16
	v_cndmask_b32_e32 v14, v11, v14, vcc_lo
.LBB146_164:
	s_or_b32 exec_lo, exec_lo, s20
	v_mov_b32_e32 v11, v14
.LBB146_165:
	s_or_b32 exec_lo, exec_lo, s19
	v_cndmask_b32_e64 v9, v9, v39, s18
	v_cndmask_b32_e64 v8, v8, v19, s14
	;; [unrolled: 1-line block ×7, first 2 shown]
.LBB146_166:
	s_or_b32 exec_lo, exec_lo, s1
	v_and_b32_e32 v18, 0x700, v12
	v_and_b32_e32 v19, 0xf8, v12
	v_lshlrev_b32_e32 v13, 2, v12
	s_mov_b32 s0, exec_lo
	v_or_b32_e32 v14, 0x80, v18
	v_add_nc_u32_e32 v15, 0x100, v18
	; wave barrier
	s_waitcnt lgkmcnt(0)
	s_barrier
	v_sub_nc_u32_e32 v17, v14, v18
	v_sub_nc_u32_e32 v16, v15, v14
	buffer_gl0_inv
	ds_write_b128 v13, v[4:7]
	ds_write_b128 v13, v[8:11] offset:16
	v_min_u32_e32 v39, v19, v17
	v_sub_nc_u32_e64 v16, v19, v16 clamp
	v_lshlrev_b32_e32 v17, 2, v18
	s_waitcnt lgkmcnt(0)
	s_barrier
	buffer_gl0_inv
	v_cmpx_lt_u32_e64 v16, v39
	s_cbranch_execz .LBB146_170
; %bb.167:
	v_lshlrev_b32_e32 v40, 2, v19
	s_mov_b32 s1, 0
	v_lshl_add_u32 v40, v14, 2, v40
	.p2align	6
.LBB146_168:                            ; =>This Inner Loop Header: Depth=1
	v_add_nc_u32_e32 v41, v39, v16
	v_lshrrev_b32_e32 v41, 1, v41
	v_not_b32_e32 v42, v41
	v_lshl_add_u32 v43, v41, 2, v17
	v_lshl_add_u32 v42, v42, 2, v40
	ds_read_b32 v43, v43
	ds_read_b32 v42, v42
	s_waitcnt lgkmcnt(1)
	v_mul_hi_i32 v43, 0x66666667, v43
	s_waitcnt lgkmcnt(0)
	v_mul_hi_i32 v42, 0x66666667, v42
	v_lshrrev_b32_e32 v44, 31, v43
	v_ashrrev_i32_e32 v43, 2, v43
	v_lshrrev_b32_e32 v45, 31, v42
	v_ashrrev_i32_e32 v42, 2, v42
	v_add_nc_u32_e32 v43, v43, v44
	v_add_nc_u32_e32 v44, 1, v41
	;; [unrolled: 1-line block ×3, first 2 shown]
	v_cmp_lt_i32_e32 vcc_lo, v42, v43
	v_cndmask_b32_e32 v39, v39, v41, vcc_lo
	v_cndmask_b32_e32 v16, v44, v16, vcc_lo
	v_cmp_ge_u32_e32 vcc_lo, v16, v39
	s_or_b32 s1, vcc_lo, s1
	s_andn2_b32 exec_lo, exec_lo, s1
	s_cbranch_execnz .LBB146_168
; %bb.169:
	s_or_b32 exec_lo, exec_lo, s1
.LBB146_170:
	s_or_b32 exec_lo, exec_lo, s0
	v_sub_nc_u32_e32 v19, v19, v16
	v_add_nc_u32_e32 v18, v16, v18
	v_add_nc_u32_e32 v19, v19, v14
	v_cmp_le_u32_e32 vcc_lo, v18, v14
	v_cmp_le_u32_e64 s0, v19, v15
	s_or_b32 s0, vcc_lo, s0
	s_and_saveexec_b32 s1, s0
	s_cbranch_execz .LBB146_206
; %bb.171:
	s_mov_b32 s4, exec_lo
	v_cmp_ge_u32_e32 vcc_lo, v18, v14
                                        ; implicit-def: $vgpr4
	v_cmpx_lt_u32_e64 v18, v14
; %bb.172:
	v_lshl_add_u32 v4, v16, 2, v17
	ds_read_b32 v4, v4
; %bb.173:
	s_or_b32 exec_lo, exec_lo, s4
	v_cmp_ge_u32_e64 s4, v19, v15
	s_mov_b32 s5, exec_lo
                                        ; implicit-def: $vgpr10
	v_cmpx_lt_u32_e64 v19, v15
; %bb.174:
	v_lshlrev_b32_e32 v5, 2, v19
	ds_read_b32 v10, v5
; %bb.175:
	s_or_b32 exec_lo, exec_lo, s5
	s_nor_b32 s5, vcc_lo, s4
	s_and_saveexec_b32 s0, s5
	s_cbranch_execz .LBB146_177
; %bb.176:
	s_waitcnt lgkmcnt(0)
	v_mul_hi_i32 v5, 0x66666667, v10
	v_mul_hi_i32 v6, 0x66666667, v4
	s_andn2_b32 s4, s4, exec_lo
	v_lshrrev_b32_e32 v7, 31, v5
	v_ashrrev_i32_e32 v5, 2, v5
	v_lshrrev_b32_e32 v8, 31, v6
	v_ashrrev_i32_e32 v6, 2, v6
	v_add_nc_u32_e32 v5, v5, v7
	v_add_nc_u32_e32 v6, v6, v8
	v_cmp_ge_i32_e32 vcc_lo, v5, v6
	s_and_b32 s5, vcc_lo, exec_lo
	s_or_b32 s4, s4, s5
.LBB146_177:
	s_or_b32 exec_lo, exec_lo, s0
	v_cndmask_b32_e64 v5, v19, v18, s4
	v_cndmask_b32_e64 v6, v15, v14, s4
	s_mov_b32 s5, -1
	s_mov_b32 s0, -1
	s_mov_b32 s13, exec_lo
	v_add_nc_u32_e32 v5, 1, v5
	v_add_nc_u32_e32 v6, -1, v6
	v_cndmask_b32_e64 v7, v18, v5, s4
	v_min_u32_e32 v6, v5, v6
	v_lshlrev_b32_e32 v6, 2, v6
	ds_read_b32 v8, v6
	v_cndmask_b32_e64 v6, v5, v19, s4
	s_waitcnt lgkmcnt(0)
	v_cndmask_b32_e64 v5, v8, v10, s4
	v_cndmask_b32_e64 v16, v4, v8, s4
	v_cmpx_lt_u32_e64 v6, v15
	s_cbranch_execz .LBB146_181
; %bb.178:
	s_mov_b32 s14, 0
	s_mov_b32 s0, exec_lo
	v_cmpx_lt_u32_e64 v7, v14
	s_cbranch_execz .LBB146_180
; %bb.179:
	v_mul_hi_i32 v8, 0x66666667, v5
	v_mul_hi_i32 v9, 0x66666667, v16
	v_lshrrev_b32_e32 v11, 31, v8
	v_ashrrev_i32_e32 v8, 2, v8
	v_lshrrev_b32_e32 v17, 31, v9
	v_ashrrev_i32_e32 v9, 2, v9
	v_add_nc_u32_e32 v8, v8, v11
	v_add_nc_u32_e32 v9, v9, v17
	v_cmp_ge_i32_e32 vcc_lo, v8, v9
	s_and_b32 s14, vcc_lo, exec_lo
.LBB146_180:
	s_or_b32 exec_lo, exec_lo, s0
	s_orn2_b32 s0, s14, exec_lo
.LBB146_181:
	s_or_b32 exec_lo, exec_lo, s13
	v_cndmask_b32_e64 v8, v6, v7, s0
	v_cndmask_b32_e64 v9, v15, v14, s0
	s_mov_b32 s13, exec_lo
	v_add_nc_u32_e32 v11, 1, v8
	v_add_nc_u32_e32 v8, -1, v9
	v_cndmask_b32_e64 v7, v7, v11, s0
	v_min_u32_e32 v8, v11, v8
	v_lshlrev_b32_e32 v8, 2, v8
	ds_read_b32 v9, v8
	v_cndmask_b32_e64 v8, v11, v6, s0
	s_waitcnt lgkmcnt(0)
	v_cndmask_b32_e64 v6, v9, v5, s0
	v_cndmask_b32_e64 v17, v16, v9, s0
	v_cmpx_lt_u32_e64 v8, v15
	s_cbranch_execz .LBB146_185
; %bb.182:
	s_mov_b32 s14, 0
	s_mov_b32 s5, exec_lo
	v_cmpx_lt_u32_e64 v7, v14
	s_cbranch_execz .LBB146_184
; %bb.183:
	v_mul_hi_i32 v9, 0x66666667, v6
	v_mul_hi_i32 v11, 0x66666667, v17
	v_lshrrev_b32_e32 v18, 31, v9
	v_ashrrev_i32_e32 v9, 2, v9
	v_lshrrev_b32_e32 v19, 31, v11
	v_ashrrev_i32_e32 v11, 2, v11
	v_add_nc_u32_e32 v9, v9, v18
	v_add_nc_u32_e32 v11, v11, v19
	v_cmp_ge_i32_e32 vcc_lo, v9, v11
	s_and_b32 s14, vcc_lo, exec_lo
.LBB146_184:
	s_or_b32 exec_lo, exec_lo, s5
	s_orn2_b32 s5, s14, exec_lo
.LBB146_185:
	s_or_b32 exec_lo, exec_lo, s13
	v_cndmask_b32_e64 v9, v8, v7, s5
	v_cndmask_b32_e64 v11, v15, v14, s5
	s_mov_b32 s14, -1
	s_mov_b32 s13, -1
	s_mov_b32 s17, exec_lo
	v_add_nc_u32_e32 v9, 1, v9
	v_add_nc_u32_e32 v11, -1, v11
	v_cndmask_b32_e64 v8, v9, v8, s5
	v_min_u32_e32 v11, v9, v11
	v_cndmask_b32_e64 v9, v7, v9, s5
	v_lshlrev_b32_e32 v11, 2, v11
	ds_read_b32 v11, v11
	s_waitcnt lgkmcnt(0)
	v_cndmask_b32_e64 v7, v11, v6, s5
	v_cndmask_b32_e64 v18, v17, v11, s5
	v_cmpx_lt_u32_e64 v8, v15
	s_cbranch_execz .LBB146_189
; %bb.186:
	s_mov_b32 s18, 0
	s_mov_b32 s13, exec_lo
	v_cmpx_lt_u32_e64 v9, v14
	s_cbranch_execz .LBB146_188
; %bb.187:
	v_mul_hi_i32 v11, 0x66666667, v7
	v_mul_hi_i32 v19, 0x66666667, v18
	v_lshrrev_b32_e32 v39, 31, v11
	v_ashrrev_i32_e32 v11, 2, v11
	v_lshrrev_b32_e32 v40, 31, v19
	v_ashrrev_i32_e32 v19, 2, v19
	v_add_nc_u32_e32 v11, v11, v39
	v_add_nc_u32_e32 v19, v19, v40
	v_cmp_ge_i32_e32 vcc_lo, v11, v19
	s_and_b32 s18, vcc_lo, exec_lo
.LBB146_188:
	s_or_b32 exec_lo, exec_lo, s13
	s_orn2_b32 s13, s18, exec_lo
.LBB146_189:
	s_or_b32 exec_lo, exec_lo, s17
	v_cndmask_b32_e64 v11, v8, v9, s13
	v_cndmask_b32_e64 v19, v15, v14, s13
	s_mov_b32 s17, exec_lo
	v_add_nc_u32_e32 v39, 1, v11
	v_add_nc_u32_e32 v11, -1, v19
	v_cndmask_b32_e64 v9, v9, v39, s13
	v_min_u32_e32 v11, v39, v11
	v_lshlrev_b32_e32 v11, 2, v11
	ds_read_b32 v19, v11
	v_cndmask_b32_e64 v11, v39, v8, s13
	s_waitcnt lgkmcnt(0)
	v_cndmask_b32_e64 v8, v19, v7, s13
	v_cndmask_b32_e64 v19, v18, v19, s13
	v_cmpx_lt_u32_e64 v11, v15
	s_cbranch_execz .LBB146_193
; %bb.190:
	s_mov_b32 s18, 0
	s_mov_b32 s14, exec_lo
	v_cmpx_lt_u32_e64 v9, v14
	s_cbranch_execz .LBB146_192
; %bb.191:
	v_mul_hi_i32 v39, 0x66666667, v8
	v_mul_hi_i32 v40, 0x66666667, v19
	v_lshrrev_b32_e32 v41, 31, v39
	v_ashrrev_i32_e32 v39, 2, v39
	v_lshrrev_b32_e32 v42, 31, v40
	v_ashrrev_i32_e32 v40, 2, v40
	v_add_nc_u32_e32 v39, v39, v41
	v_add_nc_u32_e32 v40, v40, v42
	v_cmp_ge_i32_e32 vcc_lo, v39, v40
	s_and_b32 s18, vcc_lo, exec_lo
.LBB146_192:
	s_or_b32 exec_lo, exec_lo, s14
	s_orn2_b32 s14, s18, exec_lo
.LBB146_193:
	s_or_b32 exec_lo, exec_lo, s17
	v_cndmask_b32_e64 v39, v11, v9, s14
	v_cndmask_b32_e64 v40, v15, v14, s14
	s_mov_b32 s17, -1
	s_mov_b32 s18, -1
	s_mov_b32 s19, exec_lo
	v_add_nc_u32_e32 v39, 1, v39
	v_add_nc_u32_e32 v40, -1, v40
	v_cndmask_b32_e64 v11, v39, v11, s14
	v_min_u32_e32 v40, v39, v40
	v_lshlrev_b32_e32 v40, 2, v40
	ds_read_b32 v41, v40
	v_cndmask_b32_e64 v40, v9, v39, s14
	s_waitcnt lgkmcnt(0)
	v_cndmask_b32_e64 v9, v41, v8, s14
	v_cndmask_b32_e64 v39, v19, v41, s14
	v_cmpx_lt_u32_e64 v11, v15
	s_cbranch_execz .LBB146_197
; %bb.194:
	s_mov_b32 s20, 0
	s_mov_b32 s18, exec_lo
	v_cmpx_lt_u32_e64 v40, v14
	s_cbranch_execz .LBB146_196
; %bb.195:
	v_mul_hi_i32 v41, 0x66666667, v9
	v_mul_hi_i32 v42, 0x66666667, v39
	v_lshrrev_b32_e32 v43, 31, v41
	v_ashrrev_i32_e32 v41, 2, v41
	v_lshrrev_b32_e32 v44, 31, v42
	v_ashrrev_i32_e32 v42, 2, v42
	v_add_nc_u32_e32 v41, v41, v43
	v_add_nc_u32_e32 v42, v42, v44
	v_cmp_ge_i32_e32 vcc_lo, v41, v42
	s_and_b32 s20, vcc_lo, exec_lo
.LBB146_196:
	s_or_b32 exec_lo, exec_lo, s18
	s_orn2_b32 s18, s20, exec_lo
.LBB146_197:
	s_or_b32 exec_lo, exec_lo, s19
	v_cndmask_b32_e64 v41, v11, v40, s18
	v_cndmask_b32_e64 v42, v15, v14, s18
	s_mov_b32 s19, exec_lo
	v_add_nc_u32_e32 v41, 1, v41
	v_add_nc_u32_e32 v42, -1, v42
	v_cndmask_b32_e64 v11, v41, v11, s18
	v_min_u32_e32 v42, v41, v42
	v_lshlrev_b32_e32 v42, 2, v42
	ds_read_b32 v43, v42
	v_cndmask_b32_e64 v42, v40, v41, s18
	s_waitcnt lgkmcnt(0)
	v_cndmask_b32_e64 v40, v43, v9, s18
	v_cndmask_b32_e64 v41, v39, v43, s18
	v_cmpx_lt_u32_e64 v11, v15
	s_cbranch_execz .LBB146_201
; %bb.198:
	s_mov_b32 s20, 0
	s_mov_b32 s17, exec_lo
	v_cmpx_lt_u32_e64 v42, v14
	s_cbranch_execz .LBB146_200
; %bb.199:
	v_mul_hi_i32 v43, 0x66666667, v40
	v_mul_hi_i32 v44, 0x66666667, v41
	v_lshrrev_b32_e32 v45, 31, v43
	v_ashrrev_i32_e32 v43, 2, v43
	v_lshrrev_b32_e32 v46, 31, v44
	v_ashrrev_i32_e32 v44, 2, v44
	v_add_nc_u32_e32 v43, v43, v45
	v_add_nc_u32_e32 v44, v44, v46
	v_cmp_ge_i32_e32 vcc_lo, v43, v44
	s_and_b32 s20, vcc_lo, exec_lo
.LBB146_200:
	s_or_b32 exec_lo, exec_lo, s17
	s_orn2_b32 s17, s20, exec_lo
.LBB146_201:
	s_or_b32 exec_lo, exec_lo, s19
	v_cndmask_b32_e64 v43, v11, v42, s17
	v_cndmask_b32_e64 v44, v15, v14, s17
	s_mov_b32 s19, exec_lo
	v_add_nc_u32_e32 v43, 1, v43
	v_add_nc_u32_e32 v44, -1, v44
	v_cndmask_b32_e64 v45, v43, v11, s17
	v_min_u32_e32 v44, v43, v44
	v_lshlrev_b32_e32 v44, 2, v44
	ds_read_b32 v44, v44
	s_waitcnt lgkmcnt(0)
	v_cndmask_b32_e64 v11, v41, v44, s17
	v_cmpx_lt_u32_e64 v45, v15
	s_cbranch_execz .LBB146_205
; %bb.202:
	v_cndmask_b32_e64 v42, v42, v43, s17
	v_cndmask_b32_e64 v15, v44, v40, s17
	s_mov_b32 s20, exec_lo
	v_cmpx_lt_u32_e64 v42, v14
	s_cbranch_execz .LBB146_204
; %bb.203:
	v_mul_hi_i32 v14, 0x66666667, v15
	v_mul_hi_i32 v42, 0x66666667, v11
	v_lshrrev_b32_e32 v43, 31, v14
	v_ashrrev_i32_e32 v14, 2, v14
	v_lshrrev_b32_e32 v44, 31, v42
	v_ashrrev_i32_e32 v42, 2, v42
	v_add_nc_u32_e32 v14, v14, v43
	v_add_nc_u32_e32 v42, v42, v44
	v_cmp_lt_i32_e32 vcc_lo, v14, v42
	v_cndmask_b32_e32 v15, v11, v15, vcc_lo
.LBB146_204:
	s_or_b32 exec_lo, exec_lo, s20
	v_mov_b32_e32 v11, v15
.LBB146_205:
	s_or_b32 exec_lo, exec_lo, s19
	v_cndmask_b32_e64 v9, v9, v39, s18
	v_cndmask_b32_e64 v8, v8, v19, s14
	;; [unrolled: 1-line block ×7, first 2 shown]
.LBB146_206:
	s_or_b32 exec_lo, exec_lo, s1
	v_and_b32_e32 v18, 0x600, v12
	v_and_b32_e32 v19, 0x1f8, v12
	s_mov_b32 s0, exec_lo
	s_barrier
	v_or_b32_e32 v14, 0x100, v18
	v_add_nc_u32_e32 v15, 0x200, v18
	buffer_gl0_inv
	ds_write_b128 v13, v[4:7]
	ds_write_b128 v13, v[8:11] offset:16
	v_sub_nc_u32_e32 v17, v14, v18
	v_sub_nc_u32_e32 v16, v15, v14
	s_waitcnt lgkmcnt(0)
	s_barrier
	buffer_gl0_inv
	v_min_u32_e32 v39, v19, v17
	v_sub_nc_u32_e64 v16, v19, v16 clamp
	v_lshlrev_b32_e32 v17, 2, v18
	v_cmpx_lt_u32_e64 v16, v39
	s_cbranch_execz .LBB146_210
; %bb.207:
	v_lshlrev_b32_e32 v40, 2, v19
	s_mov_b32 s1, 0
	v_lshl_add_u32 v40, v14, 2, v40
	.p2align	6
.LBB146_208:                            ; =>This Inner Loop Header: Depth=1
	v_add_nc_u32_e32 v41, v39, v16
	v_lshrrev_b32_e32 v41, 1, v41
	v_not_b32_e32 v42, v41
	v_lshl_add_u32 v43, v41, 2, v17
	v_lshl_add_u32 v42, v42, 2, v40
	ds_read_b32 v43, v43
	ds_read_b32 v42, v42
	s_waitcnt lgkmcnt(1)
	v_mul_hi_i32 v43, 0x66666667, v43
	s_waitcnt lgkmcnt(0)
	v_mul_hi_i32 v42, 0x66666667, v42
	v_lshrrev_b32_e32 v44, 31, v43
	v_ashrrev_i32_e32 v43, 2, v43
	v_lshrrev_b32_e32 v45, 31, v42
	v_ashrrev_i32_e32 v42, 2, v42
	v_add_nc_u32_e32 v43, v43, v44
	v_add_nc_u32_e32 v44, 1, v41
	;; [unrolled: 1-line block ×3, first 2 shown]
	v_cmp_lt_i32_e32 vcc_lo, v42, v43
	v_cndmask_b32_e32 v39, v39, v41, vcc_lo
	v_cndmask_b32_e32 v16, v44, v16, vcc_lo
	v_cmp_ge_u32_e32 vcc_lo, v16, v39
	s_or_b32 s1, vcc_lo, s1
	s_andn2_b32 exec_lo, exec_lo, s1
	s_cbranch_execnz .LBB146_208
; %bb.209:
	s_or_b32 exec_lo, exec_lo, s1
.LBB146_210:
	s_or_b32 exec_lo, exec_lo, s0
	v_sub_nc_u32_e32 v19, v19, v16
	v_add_nc_u32_e32 v18, v16, v18
	v_add_nc_u32_e32 v19, v19, v14
	v_cmp_le_u32_e32 vcc_lo, v18, v14
	v_cmp_le_u32_e64 s0, v19, v15
	s_or_b32 s0, vcc_lo, s0
	s_and_saveexec_b32 s1, s0
	s_cbranch_execz .LBB146_246
; %bb.211:
	s_mov_b32 s4, exec_lo
	v_cmp_ge_u32_e32 vcc_lo, v18, v14
                                        ; implicit-def: $vgpr4
	v_cmpx_lt_u32_e64 v18, v14
; %bb.212:
	v_lshl_add_u32 v4, v16, 2, v17
	ds_read_b32 v4, v4
; %bb.213:
	s_or_b32 exec_lo, exec_lo, s4
	v_cmp_ge_u32_e64 s4, v19, v15
	s_mov_b32 s5, exec_lo
                                        ; implicit-def: $vgpr10
	v_cmpx_lt_u32_e64 v19, v15
; %bb.214:
	v_lshlrev_b32_e32 v5, 2, v19
	ds_read_b32 v10, v5
; %bb.215:
	s_or_b32 exec_lo, exec_lo, s5
	s_nor_b32 s5, vcc_lo, s4
	s_and_saveexec_b32 s0, s5
	s_cbranch_execz .LBB146_217
; %bb.216:
	s_waitcnt lgkmcnt(0)
	v_mul_hi_i32 v5, 0x66666667, v10
	v_mul_hi_i32 v6, 0x66666667, v4
	s_andn2_b32 s4, s4, exec_lo
	v_lshrrev_b32_e32 v7, 31, v5
	v_ashrrev_i32_e32 v5, 2, v5
	v_lshrrev_b32_e32 v8, 31, v6
	v_ashrrev_i32_e32 v6, 2, v6
	v_add_nc_u32_e32 v5, v5, v7
	v_add_nc_u32_e32 v6, v6, v8
	v_cmp_ge_i32_e32 vcc_lo, v5, v6
	s_and_b32 s5, vcc_lo, exec_lo
	s_or_b32 s4, s4, s5
.LBB146_217:
	s_or_b32 exec_lo, exec_lo, s0
	v_cndmask_b32_e64 v5, v19, v18, s4
	v_cndmask_b32_e64 v6, v15, v14, s4
	s_mov_b32 s5, -1
	s_mov_b32 s0, -1
	s_mov_b32 s13, exec_lo
	v_add_nc_u32_e32 v5, 1, v5
	v_add_nc_u32_e32 v6, -1, v6
	v_cndmask_b32_e64 v7, v18, v5, s4
	v_min_u32_e32 v6, v5, v6
	v_lshlrev_b32_e32 v6, 2, v6
	ds_read_b32 v8, v6
	v_cndmask_b32_e64 v6, v5, v19, s4
	s_waitcnt lgkmcnt(0)
	v_cndmask_b32_e64 v5, v8, v10, s4
	v_cndmask_b32_e64 v16, v4, v8, s4
	v_cmpx_lt_u32_e64 v6, v15
	s_cbranch_execz .LBB146_221
; %bb.218:
	s_mov_b32 s14, 0
	s_mov_b32 s0, exec_lo
	v_cmpx_lt_u32_e64 v7, v14
	s_cbranch_execz .LBB146_220
; %bb.219:
	v_mul_hi_i32 v8, 0x66666667, v5
	v_mul_hi_i32 v9, 0x66666667, v16
	v_lshrrev_b32_e32 v11, 31, v8
	v_ashrrev_i32_e32 v8, 2, v8
	v_lshrrev_b32_e32 v17, 31, v9
	v_ashrrev_i32_e32 v9, 2, v9
	v_add_nc_u32_e32 v8, v8, v11
	v_add_nc_u32_e32 v9, v9, v17
	v_cmp_ge_i32_e32 vcc_lo, v8, v9
	s_and_b32 s14, vcc_lo, exec_lo
.LBB146_220:
	s_or_b32 exec_lo, exec_lo, s0
	s_orn2_b32 s0, s14, exec_lo
.LBB146_221:
	s_or_b32 exec_lo, exec_lo, s13
	v_cndmask_b32_e64 v8, v6, v7, s0
	v_cndmask_b32_e64 v9, v15, v14, s0
	s_mov_b32 s13, exec_lo
	v_add_nc_u32_e32 v11, 1, v8
	v_add_nc_u32_e32 v8, -1, v9
	v_cndmask_b32_e64 v7, v7, v11, s0
	v_min_u32_e32 v8, v11, v8
	v_lshlrev_b32_e32 v8, 2, v8
	ds_read_b32 v9, v8
	v_cndmask_b32_e64 v8, v11, v6, s0
	s_waitcnt lgkmcnt(0)
	v_cndmask_b32_e64 v6, v9, v5, s0
	v_cndmask_b32_e64 v17, v16, v9, s0
	v_cmpx_lt_u32_e64 v8, v15
	s_cbranch_execz .LBB146_225
; %bb.222:
	s_mov_b32 s14, 0
	s_mov_b32 s5, exec_lo
	v_cmpx_lt_u32_e64 v7, v14
	s_cbranch_execz .LBB146_224
; %bb.223:
	v_mul_hi_i32 v9, 0x66666667, v6
	v_mul_hi_i32 v11, 0x66666667, v17
	v_lshrrev_b32_e32 v18, 31, v9
	v_ashrrev_i32_e32 v9, 2, v9
	v_lshrrev_b32_e32 v19, 31, v11
	v_ashrrev_i32_e32 v11, 2, v11
	v_add_nc_u32_e32 v9, v9, v18
	v_add_nc_u32_e32 v11, v11, v19
	v_cmp_ge_i32_e32 vcc_lo, v9, v11
	s_and_b32 s14, vcc_lo, exec_lo
.LBB146_224:
	s_or_b32 exec_lo, exec_lo, s5
	s_orn2_b32 s5, s14, exec_lo
.LBB146_225:
	s_or_b32 exec_lo, exec_lo, s13
	v_cndmask_b32_e64 v9, v8, v7, s5
	v_cndmask_b32_e64 v11, v15, v14, s5
	s_mov_b32 s14, -1
	s_mov_b32 s13, -1
	s_mov_b32 s17, exec_lo
	v_add_nc_u32_e32 v9, 1, v9
	v_add_nc_u32_e32 v11, -1, v11
	v_cndmask_b32_e64 v8, v9, v8, s5
	v_min_u32_e32 v11, v9, v11
	v_cndmask_b32_e64 v9, v7, v9, s5
	v_lshlrev_b32_e32 v11, 2, v11
	ds_read_b32 v11, v11
	s_waitcnt lgkmcnt(0)
	v_cndmask_b32_e64 v7, v11, v6, s5
	v_cndmask_b32_e64 v18, v17, v11, s5
	v_cmpx_lt_u32_e64 v8, v15
	s_cbranch_execz .LBB146_229
; %bb.226:
	s_mov_b32 s18, 0
	s_mov_b32 s13, exec_lo
	v_cmpx_lt_u32_e64 v9, v14
	s_cbranch_execz .LBB146_228
; %bb.227:
	v_mul_hi_i32 v11, 0x66666667, v7
	v_mul_hi_i32 v19, 0x66666667, v18
	v_lshrrev_b32_e32 v39, 31, v11
	v_ashrrev_i32_e32 v11, 2, v11
	v_lshrrev_b32_e32 v40, 31, v19
	v_ashrrev_i32_e32 v19, 2, v19
	v_add_nc_u32_e32 v11, v11, v39
	v_add_nc_u32_e32 v19, v19, v40
	v_cmp_ge_i32_e32 vcc_lo, v11, v19
	s_and_b32 s18, vcc_lo, exec_lo
.LBB146_228:
	s_or_b32 exec_lo, exec_lo, s13
	s_orn2_b32 s13, s18, exec_lo
.LBB146_229:
	s_or_b32 exec_lo, exec_lo, s17
	v_cndmask_b32_e64 v11, v8, v9, s13
	v_cndmask_b32_e64 v19, v15, v14, s13
	s_mov_b32 s17, exec_lo
	v_add_nc_u32_e32 v39, 1, v11
	v_add_nc_u32_e32 v11, -1, v19
	v_cndmask_b32_e64 v9, v9, v39, s13
	v_min_u32_e32 v11, v39, v11
	v_lshlrev_b32_e32 v11, 2, v11
	ds_read_b32 v19, v11
	v_cndmask_b32_e64 v11, v39, v8, s13
	s_waitcnt lgkmcnt(0)
	v_cndmask_b32_e64 v8, v19, v7, s13
	v_cndmask_b32_e64 v19, v18, v19, s13
	v_cmpx_lt_u32_e64 v11, v15
	s_cbranch_execz .LBB146_233
; %bb.230:
	s_mov_b32 s18, 0
	s_mov_b32 s14, exec_lo
	v_cmpx_lt_u32_e64 v9, v14
	s_cbranch_execz .LBB146_232
; %bb.231:
	v_mul_hi_i32 v39, 0x66666667, v8
	v_mul_hi_i32 v40, 0x66666667, v19
	v_lshrrev_b32_e32 v41, 31, v39
	v_ashrrev_i32_e32 v39, 2, v39
	v_lshrrev_b32_e32 v42, 31, v40
	v_ashrrev_i32_e32 v40, 2, v40
	v_add_nc_u32_e32 v39, v39, v41
	v_add_nc_u32_e32 v40, v40, v42
	v_cmp_ge_i32_e32 vcc_lo, v39, v40
	s_and_b32 s18, vcc_lo, exec_lo
.LBB146_232:
	s_or_b32 exec_lo, exec_lo, s14
	s_orn2_b32 s14, s18, exec_lo
.LBB146_233:
	s_or_b32 exec_lo, exec_lo, s17
	v_cndmask_b32_e64 v39, v11, v9, s14
	v_cndmask_b32_e64 v40, v15, v14, s14
	s_mov_b32 s17, -1
	s_mov_b32 s18, -1
	s_mov_b32 s19, exec_lo
	v_add_nc_u32_e32 v39, 1, v39
	v_add_nc_u32_e32 v40, -1, v40
	v_cndmask_b32_e64 v11, v39, v11, s14
	v_min_u32_e32 v40, v39, v40
	v_lshlrev_b32_e32 v40, 2, v40
	ds_read_b32 v41, v40
	v_cndmask_b32_e64 v40, v9, v39, s14
	s_waitcnt lgkmcnt(0)
	v_cndmask_b32_e64 v9, v41, v8, s14
	v_cndmask_b32_e64 v39, v19, v41, s14
	v_cmpx_lt_u32_e64 v11, v15
	s_cbranch_execz .LBB146_237
; %bb.234:
	s_mov_b32 s20, 0
	s_mov_b32 s18, exec_lo
	v_cmpx_lt_u32_e64 v40, v14
	s_cbranch_execz .LBB146_236
; %bb.235:
	v_mul_hi_i32 v41, 0x66666667, v9
	v_mul_hi_i32 v42, 0x66666667, v39
	v_lshrrev_b32_e32 v43, 31, v41
	v_ashrrev_i32_e32 v41, 2, v41
	v_lshrrev_b32_e32 v44, 31, v42
	v_ashrrev_i32_e32 v42, 2, v42
	v_add_nc_u32_e32 v41, v41, v43
	v_add_nc_u32_e32 v42, v42, v44
	v_cmp_ge_i32_e32 vcc_lo, v41, v42
	s_and_b32 s20, vcc_lo, exec_lo
.LBB146_236:
	s_or_b32 exec_lo, exec_lo, s18
	s_orn2_b32 s18, s20, exec_lo
.LBB146_237:
	s_or_b32 exec_lo, exec_lo, s19
	v_cndmask_b32_e64 v41, v11, v40, s18
	v_cndmask_b32_e64 v42, v15, v14, s18
	s_mov_b32 s19, exec_lo
	v_add_nc_u32_e32 v41, 1, v41
	v_add_nc_u32_e32 v42, -1, v42
	v_cndmask_b32_e64 v11, v41, v11, s18
	v_min_u32_e32 v42, v41, v42
	v_lshlrev_b32_e32 v42, 2, v42
	ds_read_b32 v43, v42
	v_cndmask_b32_e64 v42, v40, v41, s18
	s_waitcnt lgkmcnt(0)
	v_cndmask_b32_e64 v40, v43, v9, s18
	v_cndmask_b32_e64 v41, v39, v43, s18
	v_cmpx_lt_u32_e64 v11, v15
	s_cbranch_execz .LBB146_241
; %bb.238:
	s_mov_b32 s20, 0
	s_mov_b32 s17, exec_lo
	v_cmpx_lt_u32_e64 v42, v14
	s_cbranch_execz .LBB146_240
; %bb.239:
	v_mul_hi_i32 v43, 0x66666667, v40
	v_mul_hi_i32 v44, 0x66666667, v41
	v_lshrrev_b32_e32 v45, 31, v43
	v_ashrrev_i32_e32 v43, 2, v43
	v_lshrrev_b32_e32 v46, 31, v44
	v_ashrrev_i32_e32 v44, 2, v44
	v_add_nc_u32_e32 v43, v43, v45
	v_add_nc_u32_e32 v44, v44, v46
	v_cmp_ge_i32_e32 vcc_lo, v43, v44
	s_and_b32 s20, vcc_lo, exec_lo
.LBB146_240:
	s_or_b32 exec_lo, exec_lo, s17
	s_orn2_b32 s17, s20, exec_lo
.LBB146_241:
	s_or_b32 exec_lo, exec_lo, s19
	v_cndmask_b32_e64 v43, v11, v42, s17
	v_cndmask_b32_e64 v44, v15, v14, s17
	s_mov_b32 s19, exec_lo
	v_add_nc_u32_e32 v43, 1, v43
	v_add_nc_u32_e32 v44, -1, v44
	v_cndmask_b32_e64 v45, v43, v11, s17
	v_min_u32_e32 v44, v43, v44
	v_lshlrev_b32_e32 v44, 2, v44
	ds_read_b32 v44, v44
	s_waitcnt lgkmcnt(0)
	v_cndmask_b32_e64 v11, v41, v44, s17
	v_cmpx_lt_u32_e64 v45, v15
	s_cbranch_execz .LBB146_245
; %bb.242:
	v_cndmask_b32_e64 v42, v42, v43, s17
	v_cndmask_b32_e64 v15, v44, v40, s17
	s_mov_b32 s20, exec_lo
	v_cmpx_lt_u32_e64 v42, v14
	s_cbranch_execz .LBB146_244
; %bb.243:
	v_mul_hi_i32 v14, 0x66666667, v15
	v_mul_hi_i32 v42, 0x66666667, v11
	v_lshrrev_b32_e32 v43, 31, v14
	v_ashrrev_i32_e32 v14, 2, v14
	v_lshrrev_b32_e32 v44, 31, v42
	v_ashrrev_i32_e32 v42, 2, v42
	v_add_nc_u32_e32 v14, v14, v43
	v_add_nc_u32_e32 v42, v42, v44
	v_cmp_lt_i32_e32 vcc_lo, v14, v42
	v_cndmask_b32_e32 v15, v11, v15, vcc_lo
.LBB146_244:
	s_or_b32 exec_lo, exec_lo, s20
	v_mov_b32_e32 v11, v15
.LBB146_245:
	s_or_b32 exec_lo, exec_lo, s19
	v_cndmask_b32_e64 v9, v9, v39, s18
	v_cndmask_b32_e64 v8, v8, v19, s14
	;; [unrolled: 1-line block ×7, first 2 shown]
.LBB146_246:
	s_or_b32 exec_lo, exec_lo, s1
	v_and_b32_e32 v18, 0x400, v12
	v_and_b32_e32 v19, 0x3f8, v12
	s_mov_b32 s0, exec_lo
	s_barrier
	v_or_b32_e32 v14, 0x200, v18
	v_add_nc_u32_e32 v15, 0x400, v18
	buffer_gl0_inv
	ds_write_b128 v13, v[4:7]
	ds_write_b128 v13, v[8:11] offset:16
	v_sub_nc_u32_e32 v17, v14, v18
	v_sub_nc_u32_e32 v16, v15, v14
	s_waitcnt lgkmcnt(0)
	s_barrier
	buffer_gl0_inv
	v_min_u32_e32 v39, v19, v17
	v_sub_nc_u32_e64 v16, v19, v16 clamp
	v_lshlrev_b32_e32 v17, 2, v18
	v_cmpx_lt_u32_e64 v16, v39
	s_cbranch_execz .LBB146_250
; %bb.247:
	v_lshlrev_b32_e32 v40, 2, v19
	s_mov_b32 s1, 0
	v_lshl_add_u32 v40, v14, 2, v40
	.p2align	6
.LBB146_248:                            ; =>This Inner Loop Header: Depth=1
	v_add_nc_u32_e32 v41, v39, v16
	v_lshrrev_b32_e32 v41, 1, v41
	v_not_b32_e32 v42, v41
	v_lshl_add_u32 v43, v41, 2, v17
	v_lshl_add_u32 v42, v42, 2, v40
	ds_read_b32 v43, v43
	ds_read_b32 v42, v42
	s_waitcnt lgkmcnt(1)
	v_mul_hi_i32 v43, 0x66666667, v43
	s_waitcnt lgkmcnt(0)
	v_mul_hi_i32 v42, 0x66666667, v42
	v_lshrrev_b32_e32 v44, 31, v43
	v_ashrrev_i32_e32 v43, 2, v43
	v_lshrrev_b32_e32 v45, 31, v42
	v_ashrrev_i32_e32 v42, 2, v42
	v_add_nc_u32_e32 v43, v43, v44
	v_add_nc_u32_e32 v44, 1, v41
	;; [unrolled: 1-line block ×3, first 2 shown]
	v_cmp_lt_i32_e32 vcc_lo, v42, v43
	v_cndmask_b32_e32 v39, v39, v41, vcc_lo
	v_cndmask_b32_e32 v16, v44, v16, vcc_lo
	v_cmp_ge_u32_e32 vcc_lo, v16, v39
	s_or_b32 s1, vcc_lo, s1
	s_andn2_b32 exec_lo, exec_lo, s1
	s_cbranch_execnz .LBB146_248
; %bb.249:
	s_or_b32 exec_lo, exec_lo, s1
.LBB146_250:
	s_or_b32 exec_lo, exec_lo, s0
	v_sub_nc_u32_e32 v19, v19, v16
	v_add_nc_u32_e32 v18, v16, v18
	v_add_nc_u32_e32 v19, v19, v14
	v_cmp_le_u32_e32 vcc_lo, v18, v14
	v_cmp_le_u32_e64 s0, v19, v15
	s_or_b32 s0, vcc_lo, s0
	s_and_saveexec_b32 s1, s0
	s_cbranch_execz .LBB146_286
; %bb.251:
	s_mov_b32 s4, exec_lo
	v_cmp_ge_u32_e32 vcc_lo, v18, v14
                                        ; implicit-def: $vgpr4
	v_cmpx_lt_u32_e64 v18, v14
; %bb.252:
	v_lshl_add_u32 v4, v16, 2, v17
	ds_read_b32 v4, v4
; %bb.253:
	s_or_b32 exec_lo, exec_lo, s4
	v_cmp_ge_u32_e64 s4, v19, v15
	s_mov_b32 s5, exec_lo
                                        ; implicit-def: $vgpr10
	v_cmpx_lt_u32_e64 v19, v15
; %bb.254:
	v_lshlrev_b32_e32 v5, 2, v19
	ds_read_b32 v10, v5
; %bb.255:
	s_or_b32 exec_lo, exec_lo, s5
	s_nor_b32 s5, vcc_lo, s4
	s_and_saveexec_b32 s0, s5
	s_cbranch_execz .LBB146_257
; %bb.256:
	s_waitcnt lgkmcnt(0)
	v_mul_hi_i32 v5, 0x66666667, v10
	v_mul_hi_i32 v6, 0x66666667, v4
	s_andn2_b32 s4, s4, exec_lo
	v_lshrrev_b32_e32 v7, 31, v5
	v_ashrrev_i32_e32 v5, 2, v5
	v_lshrrev_b32_e32 v8, 31, v6
	v_ashrrev_i32_e32 v6, 2, v6
	v_add_nc_u32_e32 v5, v5, v7
	v_add_nc_u32_e32 v6, v6, v8
	v_cmp_ge_i32_e32 vcc_lo, v5, v6
	s_and_b32 s5, vcc_lo, exec_lo
	s_or_b32 s4, s4, s5
.LBB146_257:
	s_or_b32 exec_lo, exec_lo, s0
	v_cndmask_b32_e64 v5, v19, v18, s4
	v_cndmask_b32_e64 v6, v15, v14, s4
	s_mov_b32 s5, -1
	s_mov_b32 s0, -1
	s_mov_b32 s13, exec_lo
	v_add_nc_u32_e32 v5, 1, v5
	v_add_nc_u32_e32 v6, -1, v6
	v_cndmask_b32_e64 v7, v18, v5, s4
	v_min_u32_e32 v6, v5, v6
	v_lshlrev_b32_e32 v6, 2, v6
	ds_read_b32 v8, v6
	v_cndmask_b32_e64 v6, v5, v19, s4
	s_waitcnt lgkmcnt(0)
	v_cndmask_b32_e64 v5, v8, v10, s4
	v_cndmask_b32_e64 v16, v4, v8, s4
	v_cmpx_lt_u32_e64 v6, v15
	s_cbranch_execz .LBB146_261
; %bb.258:
	s_mov_b32 s14, 0
	s_mov_b32 s0, exec_lo
	v_cmpx_lt_u32_e64 v7, v14
	s_cbranch_execz .LBB146_260
; %bb.259:
	v_mul_hi_i32 v8, 0x66666667, v5
	v_mul_hi_i32 v9, 0x66666667, v16
	v_lshrrev_b32_e32 v11, 31, v8
	v_ashrrev_i32_e32 v8, 2, v8
	v_lshrrev_b32_e32 v17, 31, v9
	v_ashrrev_i32_e32 v9, 2, v9
	v_add_nc_u32_e32 v8, v8, v11
	v_add_nc_u32_e32 v9, v9, v17
	v_cmp_ge_i32_e32 vcc_lo, v8, v9
	s_and_b32 s14, vcc_lo, exec_lo
.LBB146_260:
	s_or_b32 exec_lo, exec_lo, s0
	s_orn2_b32 s0, s14, exec_lo
.LBB146_261:
	s_or_b32 exec_lo, exec_lo, s13
	v_cndmask_b32_e64 v8, v6, v7, s0
	v_cndmask_b32_e64 v9, v15, v14, s0
	s_mov_b32 s13, exec_lo
	v_add_nc_u32_e32 v11, 1, v8
	v_add_nc_u32_e32 v8, -1, v9
	v_cndmask_b32_e64 v7, v7, v11, s0
	v_min_u32_e32 v8, v11, v8
	v_lshlrev_b32_e32 v8, 2, v8
	ds_read_b32 v9, v8
	v_cndmask_b32_e64 v8, v11, v6, s0
	s_waitcnt lgkmcnt(0)
	v_cndmask_b32_e64 v6, v9, v5, s0
	v_cndmask_b32_e64 v17, v16, v9, s0
	v_cmpx_lt_u32_e64 v8, v15
	s_cbranch_execz .LBB146_265
; %bb.262:
	s_mov_b32 s14, 0
	s_mov_b32 s5, exec_lo
	v_cmpx_lt_u32_e64 v7, v14
	s_cbranch_execz .LBB146_264
; %bb.263:
	v_mul_hi_i32 v9, 0x66666667, v6
	v_mul_hi_i32 v11, 0x66666667, v17
	v_lshrrev_b32_e32 v18, 31, v9
	v_ashrrev_i32_e32 v9, 2, v9
	v_lshrrev_b32_e32 v19, 31, v11
	v_ashrrev_i32_e32 v11, 2, v11
	v_add_nc_u32_e32 v9, v9, v18
	v_add_nc_u32_e32 v11, v11, v19
	v_cmp_ge_i32_e32 vcc_lo, v9, v11
	s_and_b32 s14, vcc_lo, exec_lo
.LBB146_264:
	s_or_b32 exec_lo, exec_lo, s5
	s_orn2_b32 s5, s14, exec_lo
.LBB146_265:
	s_or_b32 exec_lo, exec_lo, s13
	v_cndmask_b32_e64 v9, v8, v7, s5
	v_cndmask_b32_e64 v11, v15, v14, s5
	s_mov_b32 s14, -1
	s_mov_b32 s13, -1
	s_mov_b32 s17, exec_lo
	v_add_nc_u32_e32 v9, 1, v9
	v_add_nc_u32_e32 v11, -1, v11
	v_cndmask_b32_e64 v8, v9, v8, s5
	v_min_u32_e32 v11, v9, v11
	v_cndmask_b32_e64 v9, v7, v9, s5
	v_lshlrev_b32_e32 v11, 2, v11
	ds_read_b32 v11, v11
	s_waitcnt lgkmcnt(0)
	v_cndmask_b32_e64 v7, v11, v6, s5
	v_cndmask_b32_e64 v18, v17, v11, s5
	v_cmpx_lt_u32_e64 v8, v15
	s_cbranch_execz .LBB146_269
; %bb.266:
	s_mov_b32 s18, 0
	s_mov_b32 s13, exec_lo
	v_cmpx_lt_u32_e64 v9, v14
	s_cbranch_execz .LBB146_268
; %bb.267:
	v_mul_hi_i32 v11, 0x66666667, v7
	v_mul_hi_i32 v19, 0x66666667, v18
	v_lshrrev_b32_e32 v39, 31, v11
	v_ashrrev_i32_e32 v11, 2, v11
	v_lshrrev_b32_e32 v40, 31, v19
	v_ashrrev_i32_e32 v19, 2, v19
	v_add_nc_u32_e32 v11, v11, v39
	v_add_nc_u32_e32 v19, v19, v40
	v_cmp_ge_i32_e32 vcc_lo, v11, v19
	s_and_b32 s18, vcc_lo, exec_lo
.LBB146_268:
	s_or_b32 exec_lo, exec_lo, s13
	s_orn2_b32 s13, s18, exec_lo
.LBB146_269:
	s_or_b32 exec_lo, exec_lo, s17
	v_cndmask_b32_e64 v11, v8, v9, s13
	v_cndmask_b32_e64 v19, v15, v14, s13
	s_mov_b32 s17, exec_lo
	v_add_nc_u32_e32 v39, 1, v11
	v_add_nc_u32_e32 v11, -1, v19
	v_cndmask_b32_e64 v9, v9, v39, s13
	v_min_u32_e32 v11, v39, v11
	v_lshlrev_b32_e32 v11, 2, v11
	ds_read_b32 v19, v11
	v_cndmask_b32_e64 v11, v39, v8, s13
	s_waitcnt lgkmcnt(0)
	v_cndmask_b32_e64 v8, v19, v7, s13
	v_cndmask_b32_e64 v19, v18, v19, s13
	v_cmpx_lt_u32_e64 v11, v15
	s_cbranch_execz .LBB146_273
; %bb.270:
	s_mov_b32 s18, 0
	s_mov_b32 s14, exec_lo
	v_cmpx_lt_u32_e64 v9, v14
	s_cbranch_execz .LBB146_272
; %bb.271:
	v_mul_hi_i32 v39, 0x66666667, v8
	v_mul_hi_i32 v40, 0x66666667, v19
	v_lshrrev_b32_e32 v41, 31, v39
	v_ashrrev_i32_e32 v39, 2, v39
	v_lshrrev_b32_e32 v42, 31, v40
	v_ashrrev_i32_e32 v40, 2, v40
	v_add_nc_u32_e32 v39, v39, v41
	v_add_nc_u32_e32 v40, v40, v42
	v_cmp_ge_i32_e32 vcc_lo, v39, v40
	s_and_b32 s18, vcc_lo, exec_lo
.LBB146_272:
	s_or_b32 exec_lo, exec_lo, s14
	s_orn2_b32 s14, s18, exec_lo
.LBB146_273:
	s_or_b32 exec_lo, exec_lo, s17
	v_cndmask_b32_e64 v39, v11, v9, s14
	v_cndmask_b32_e64 v40, v15, v14, s14
	s_mov_b32 s17, -1
	s_mov_b32 s18, -1
	s_mov_b32 s19, exec_lo
	v_add_nc_u32_e32 v39, 1, v39
	v_add_nc_u32_e32 v40, -1, v40
	v_cndmask_b32_e64 v11, v39, v11, s14
	v_min_u32_e32 v40, v39, v40
	v_lshlrev_b32_e32 v40, 2, v40
	ds_read_b32 v41, v40
	v_cndmask_b32_e64 v40, v9, v39, s14
	s_waitcnt lgkmcnt(0)
	v_cndmask_b32_e64 v9, v41, v8, s14
	v_cndmask_b32_e64 v39, v19, v41, s14
	v_cmpx_lt_u32_e64 v11, v15
	s_cbranch_execz .LBB146_277
; %bb.274:
	s_mov_b32 s20, 0
	s_mov_b32 s18, exec_lo
	v_cmpx_lt_u32_e64 v40, v14
	s_cbranch_execz .LBB146_276
; %bb.275:
	v_mul_hi_i32 v41, 0x66666667, v9
	v_mul_hi_i32 v42, 0x66666667, v39
	v_lshrrev_b32_e32 v43, 31, v41
	v_ashrrev_i32_e32 v41, 2, v41
	v_lshrrev_b32_e32 v44, 31, v42
	v_ashrrev_i32_e32 v42, 2, v42
	v_add_nc_u32_e32 v41, v41, v43
	v_add_nc_u32_e32 v42, v42, v44
	v_cmp_ge_i32_e32 vcc_lo, v41, v42
	s_and_b32 s20, vcc_lo, exec_lo
.LBB146_276:
	s_or_b32 exec_lo, exec_lo, s18
	s_orn2_b32 s18, s20, exec_lo
.LBB146_277:
	s_or_b32 exec_lo, exec_lo, s19
	v_cndmask_b32_e64 v41, v11, v40, s18
	v_cndmask_b32_e64 v42, v15, v14, s18
	s_mov_b32 s19, exec_lo
	v_add_nc_u32_e32 v41, 1, v41
	v_add_nc_u32_e32 v42, -1, v42
	v_cndmask_b32_e64 v11, v41, v11, s18
	v_min_u32_e32 v42, v41, v42
	v_lshlrev_b32_e32 v42, 2, v42
	ds_read_b32 v43, v42
	v_cndmask_b32_e64 v42, v40, v41, s18
	s_waitcnt lgkmcnt(0)
	v_cndmask_b32_e64 v40, v43, v9, s18
	v_cndmask_b32_e64 v41, v39, v43, s18
	v_cmpx_lt_u32_e64 v11, v15
	s_cbranch_execz .LBB146_281
; %bb.278:
	s_mov_b32 s20, 0
	s_mov_b32 s17, exec_lo
	v_cmpx_lt_u32_e64 v42, v14
	s_cbranch_execz .LBB146_280
; %bb.279:
	v_mul_hi_i32 v43, 0x66666667, v40
	v_mul_hi_i32 v44, 0x66666667, v41
	v_lshrrev_b32_e32 v45, 31, v43
	v_ashrrev_i32_e32 v43, 2, v43
	v_lshrrev_b32_e32 v46, 31, v44
	v_ashrrev_i32_e32 v44, 2, v44
	v_add_nc_u32_e32 v43, v43, v45
	v_add_nc_u32_e32 v44, v44, v46
	v_cmp_ge_i32_e32 vcc_lo, v43, v44
	s_and_b32 s20, vcc_lo, exec_lo
.LBB146_280:
	s_or_b32 exec_lo, exec_lo, s17
	s_orn2_b32 s17, s20, exec_lo
.LBB146_281:
	s_or_b32 exec_lo, exec_lo, s19
	v_cndmask_b32_e64 v43, v11, v42, s17
	v_cndmask_b32_e64 v44, v15, v14, s17
	s_mov_b32 s19, exec_lo
	v_add_nc_u32_e32 v43, 1, v43
	v_add_nc_u32_e32 v44, -1, v44
	v_cndmask_b32_e64 v45, v43, v11, s17
	v_min_u32_e32 v44, v43, v44
	v_lshlrev_b32_e32 v44, 2, v44
	ds_read_b32 v44, v44
	s_waitcnt lgkmcnt(0)
	v_cndmask_b32_e64 v11, v41, v44, s17
	v_cmpx_lt_u32_e64 v45, v15
	s_cbranch_execz .LBB146_285
; %bb.282:
	v_cndmask_b32_e64 v42, v42, v43, s17
	v_cndmask_b32_e64 v15, v44, v40, s17
	s_mov_b32 s20, exec_lo
	v_cmpx_lt_u32_e64 v42, v14
	s_cbranch_execz .LBB146_284
; %bb.283:
	v_mul_hi_i32 v14, 0x66666667, v15
	v_mul_hi_i32 v42, 0x66666667, v11
	v_lshrrev_b32_e32 v43, 31, v14
	v_ashrrev_i32_e32 v14, 2, v14
	v_lshrrev_b32_e32 v44, 31, v42
	v_ashrrev_i32_e32 v42, 2, v42
	v_add_nc_u32_e32 v14, v14, v43
	v_add_nc_u32_e32 v42, v42, v44
	v_cmp_lt_i32_e32 vcc_lo, v14, v42
	v_cndmask_b32_e32 v15, v11, v15, vcc_lo
.LBB146_284:
	s_or_b32 exec_lo, exec_lo, s20
	v_mov_b32_e32 v11, v15
.LBB146_285:
	s_or_b32 exec_lo, exec_lo, s19
	v_cndmask_b32_e64 v9, v9, v39, s18
	v_cndmask_b32_e64 v8, v8, v19, s14
	;; [unrolled: 1-line block ×7, first 2 shown]
.LBB146_286:
	s_or_b32 exec_lo, exec_lo, s1
	v_and_b32_e32 v14, 0x7f8, v12
	s_mov_b32 s0, exec_lo
	s_barrier
	buffer_gl0_inv
	v_subrev_nc_u32_e64 v12, 0x400, v14 clamp
	v_min_u32_e32 v15, 0x400, v14
	ds_write_b128 v13, v[4:7]
	ds_write_b128 v13, v[8:11] offset:16
	s_waitcnt lgkmcnt(0)
	s_barrier
	buffer_gl0_inv
	v_cmpx_lt_u32_e64 v12, v15
	s_cbranch_execz .LBB146_290
; %bb.287:
	v_lshlrev_b32_e32 v13, 2, v14
	s_mov_b32 s1, 0
	v_lshl_add_u32 v13, 0x400, 2, v13
	.p2align	6
.LBB146_288:                            ; =>This Inner Loop Header: Depth=1
	v_add_nc_u32_e32 v16, v15, v12
	v_lshrrev_b32_e32 v16, 1, v16
	v_not_b32_e32 v17, v16
	v_lshlrev_b32_e32 v18, 2, v16
	v_lshl_add_u32 v17, v17, 2, v13
	ds_read_b32 v18, v18
	ds_read_b32 v17, v17
	s_waitcnt lgkmcnt(1)
	v_mul_hi_i32 v18, 0x66666667, v18
	s_waitcnt lgkmcnt(0)
	v_mul_hi_i32 v17, 0x66666667, v17
	v_lshrrev_b32_e32 v19, 31, v18
	v_ashrrev_i32_e32 v18, 2, v18
	v_lshrrev_b32_e32 v39, 31, v17
	v_ashrrev_i32_e32 v17, 2, v17
	v_add_nc_u32_e32 v18, v18, v19
	v_add_nc_u32_e32 v19, 1, v16
	;; [unrolled: 1-line block ×3, first 2 shown]
	v_cmp_lt_i32_e32 vcc_lo, v17, v18
	v_cndmask_b32_e32 v15, v15, v16, vcc_lo
	v_cndmask_b32_e32 v12, v19, v12, vcc_lo
	v_cmp_ge_u32_e32 vcc_lo, v12, v15
	s_or_b32 s1, vcc_lo, s1
	s_andn2_b32 exec_lo, exec_lo, s1
	s_cbranch_execnz .LBB146_288
; %bb.289:
	s_or_b32 exec_lo, exec_lo, s1
.LBB146_290:
	s_or_b32 exec_lo, exec_lo, s0
	v_sub_nc_u32_e32 v13, v14, v12
	v_cmp_ge_u32_e32 vcc_lo, 0x400, v12
	v_add_nc_u32_e32 v13, 0x400, v13
	v_cmp_gt_u32_e64 s0, 0x801, v13
	s_or_b32 s0, vcc_lo, s0
	s_and_saveexec_b32 s1, s0
	s_cbranch_execz .LBB146_326
; %bb.291:
	s_mov_b32 s4, exec_lo
	v_cmp_le_u32_e32 vcc_lo, 0x400, v12
                                        ; implicit-def: $vgpr4
	v_cmpx_gt_u32_e32 0x400, v12
; %bb.292:
	v_lshlrev_b32_e32 v4, 2, v12
	ds_read_b32 v4, v4
; %bb.293:
	s_or_b32 exec_lo, exec_lo, s4
	v_cmp_lt_u32_e64 s4, 0x7ff, v13
	s_mov_b32 s5, exec_lo
                                        ; implicit-def: $vgpr10
	v_cmpx_gt_u32_e32 0x800, v13
; %bb.294:
	v_lshlrev_b32_e32 v5, 2, v13
	ds_read_b32 v10, v5
; %bb.295:
	s_or_b32 exec_lo, exec_lo, s5
	s_nor_b32 s5, vcc_lo, s4
	s_and_saveexec_b32 s0, s5
	s_cbranch_execz .LBB146_297
; %bb.296:
	s_waitcnt lgkmcnt(0)
	v_mul_hi_i32 v5, 0x66666667, v10
	v_mul_hi_i32 v6, 0x66666667, v4
	s_andn2_b32 s4, s4, exec_lo
	v_lshrrev_b32_e32 v7, 31, v5
	v_ashrrev_i32_e32 v5, 2, v5
	v_lshrrev_b32_e32 v8, 31, v6
	v_ashrrev_i32_e32 v6, 2, v6
	v_add_nc_u32_e32 v5, v5, v7
	v_add_nc_u32_e32 v6, v6, v8
	v_cmp_ge_i32_e32 vcc_lo, v5, v6
	s_and_b32 s5, vcc_lo, exec_lo
	s_or_b32 s4, s4, s5
.LBB146_297:
	s_or_b32 exec_lo, exec_lo, s0
	v_cndmask_b32_e64 v5, v13, v12, s4
	v_add_nc_u32_e64 v6, 0x400, -1
	s_mov_b32 s5, -1
	s_mov_b32 s0, -1
	s_mov_b32 s13, exec_lo
	v_add_nc_u32_e32 v5, 1, v5
	v_cndmask_b32_e64 v7, 0x7ff, v6, s4
	v_cndmask_b32_e64 v8, v12, v5, s4
	v_min_u32_e32 v7, v5, v7
	v_lshlrev_b32_e32 v7, 2, v7
	ds_read_b32 v9, v7
	v_cndmask_b32_e64 v7, v5, v13, s4
	s_waitcnt lgkmcnt(0)
	v_cndmask_b32_e64 v5, v9, v10, s4
	v_cndmask_b32_e64 v12, v4, v9, s4
	v_cmpx_gt_u32_e32 0x800, v7
	s_cbranch_execz .LBB146_301
; %bb.298:
	s_mov_b32 s14, 0
	s_mov_b32 s0, exec_lo
	v_cmpx_gt_u32_e32 0x400, v8
	s_cbranch_execz .LBB146_300
; %bb.299:
	v_mul_hi_i32 v9, 0x66666667, v5
	v_mul_hi_i32 v11, 0x66666667, v12
	v_lshrrev_b32_e32 v13, 31, v9
	v_ashrrev_i32_e32 v9, 2, v9
	v_lshrrev_b32_e32 v14, 31, v11
	v_ashrrev_i32_e32 v11, 2, v11
	v_add_nc_u32_e32 v9, v9, v13
	v_add_nc_u32_e32 v11, v11, v14
	v_cmp_ge_i32_e32 vcc_lo, v9, v11
	s_and_b32 s14, vcc_lo, exec_lo
.LBB146_300:
	s_or_b32 exec_lo, exec_lo, s0
	s_orn2_b32 s0, s14, exec_lo
.LBB146_301:
	s_or_b32 exec_lo, exec_lo, s13
	v_cndmask_b32_e64 v9, v7, v8, s0
	v_cndmask_b32_e64 v11, 0x7ff, v6, s0
	s_mov_b32 s13, exec_lo
	v_add_nc_u32_e32 v9, 1, v9
	v_min_u32_e32 v11, v9, v11
	v_cndmask_b32_e64 v7, v9, v7, s0
	v_cndmask_b32_e64 v9, v8, v9, s0
	v_lshlrev_b32_e32 v11, 2, v11
	ds_read_b32 v11, v11
	s_waitcnt lgkmcnt(0)
	v_cndmask_b32_e64 v13, v11, v5, s0
	v_cndmask_b32_e64 v14, v12, v11, s0
	v_cmpx_gt_u32_e32 0x800, v7
	s_cbranch_execz .LBB146_305
; %bb.302:
	s_mov_b32 s14, 0
	s_mov_b32 s5, exec_lo
	v_cmpx_gt_u32_e32 0x400, v9
	s_cbranch_execz .LBB146_304
; %bb.303:
	v_mul_hi_i32 v8, 0x66666667, v13
	v_mul_hi_i32 v11, 0x66666667, v14
	v_lshrrev_b32_e32 v15, 31, v8
	v_ashrrev_i32_e32 v8, 2, v8
	v_lshrrev_b32_e32 v16, 31, v11
	v_ashrrev_i32_e32 v11, 2, v11
	v_add_nc_u32_e32 v8, v8, v15
	v_add_nc_u32_e32 v11, v11, v16
	v_cmp_ge_i32_e32 vcc_lo, v8, v11
	s_and_b32 s14, vcc_lo, exec_lo
.LBB146_304:
	s_or_b32 exec_lo, exec_lo, s5
	s_orn2_b32 s5, s14, exec_lo
.LBB146_305:
	s_or_b32 exec_lo, exec_lo, s13
	v_cndmask_b32_e64 v8, v7, v9, s5
	v_cndmask_b32_e64 v11, 0x7ff, v6, s5
	s_mov_b32 s14, -1
	s_mov_b32 s13, -1
	s_mov_b32 s17, exec_lo
	v_add_nc_u32_e32 v15, 1, v8
	v_min_u32_e32 v8, v15, v11
	v_cndmask_b32_e64 v9, v9, v15, s5
	v_lshlrev_b32_e32 v8, 2, v8
	ds_read_b32 v11, v8
	v_cndmask_b32_e64 v8, v15, v7, s5
	s_waitcnt lgkmcnt(0)
	v_cndmask_b32_e64 v7, v11, v13, s5
	v_cndmask_b32_e64 v15, v14, v11, s5
	v_cmpx_gt_u32_e32 0x800, v8
	s_cbranch_execz .LBB146_309
; %bb.306:
	s_mov_b32 s18, 0
	s_mov_b32 s13, exec_lo
	v_cmpx_gt_u32_e32 0x400, v9
	s_cbranch_execz .LBB146_308
; %bb.307:
	v_mul_hi_i32 v11, 0x66666667, v7
	v_mul_hi_i32 v16, 0x66666667, v15
	v_lshrrev_b32_e32 v17, 31, v11
	v_ashrrev_i32_e32 v11, 2, v11
	v_lshrrev_b32_e32 v18, 31, v16
	v_ashrrev_i32_e32 v16, 2, v16
	v_add_nc_u32_e32 v11, v11, v17
	v_add_nc_u32_e32 v16, v16, v18
	v_cmp_ge_i32_e32 vcc_lo, v11, v16
	s_and_b32 s18, vcc_lo, exec_lo
.LBB146_308:
	s_or_b32 exec_lo, exec_lo, s13
	s_orn2_b32 s13, s18, exec_lo
.LBB146_309:
	s_or_b32 exec_lo, exec_lo, s17
	v_cndmask_b32_e64 v11, v8, v9, s13
	v_cndmask_b32_e64 v16, 0x7ff, v6, s13
	s_mov_b32 s17, exec_lo
	v_add_nc_u32_e32 v17, 1, v11
	v_min_u32_e32 v11, v17, v16
	v_cndmask_b32_e64 v9, v9, v17, s13
	v_lshlrev_b32_e32 v11, 2, v11
	ds_read_b32 v16, v11
	v_cndmask_b32_e64 v11, v17, v8, s13
	s_waitcnt lgkmcnt(0)
	v_cndmask_b32_e64 v8, v16, v7, s13
	v_cndmask_b32_e64 v16, v15, v16, s13
	v_cmpx_gt_u32_e32 0x800, v11
	s_cbranch_execz .LBB146_313
; %bb.310:
	s_mov_b32 s18, 0
	s_mov_b32 s14, exec_lo
	v_cmpx_gt_u32_e32 0x400, v9
	s_cbranch_execz .LBB146_312
; %bb.311:
	v_mul_hi_i32 v17, 0x66666667, v8
	v_mul_hi_i32 v18, 0x66666667, v16
	v_lshrrev_b32_e32 v19, 31, v17
	v_ashrrev_i32_e32 v17, 2, v17
	v_lshrrev_b32_e32 v39, 31, v18
	v_ashrrev_i32_e32 v18, 2, v18
	v_add_nc_u32_e32 v17, v17, v19
	v_add_nc_u32_e32 v18, v18, v39
	v_cmp_ge_i32_e32 vcc_lo, v17, v18
	s_and_b32 s18, vcc_lo, exec_lo
.LBB146_312:
	s_or_b32 exec_lo, exec_lo, s14
	s_orn2_b32 s14, s18, exec_lo
.LBB146_313:
	s_or_b32 exec_lo, exec_lo, s17
	v_cndmask_b32_e64 v17, v11, v9, s14
	v_cndmask_b32_e64 v18, 0x7ff, v6, s14
	s_mov_b32 s17, -1
	s_mov_b32 s18, -1
	s_mov_b32 s19, exec_lo
	v_add_nc_u32_e32 v17, 1, v17
	v_min_u32_e32 v18, v17, v18
	v_cndmask_b32_e64 v11, v17, v11, s14
	v_lshlrev_b32_e32 v18, 2, v18
	ds_read_b32 v19, v18
	v_cndmask_b32_e64 v18, v9, v17, s14
	s_waitcnt lgkmcnt(0)
	v_cndmask_b32_e64 v9, v19, v8, s14
	v_cndmask_b32_e64 v17, v16, v19, s14
	v_cmpx_gt_u32_e32 0x800, v11
	s_cbranch_execz .LBB146_317
; %bb.314:
	s_mov_b32 s20, 0
	s_mov_b32 s18, exec_lo
	v_cmpx_gt_u32_e32 0x400, v18
	s_cbranch_execz .LBB146_316
; %bb.315:
	v_mul_hi_i32 v19, 0x66666667, v9
	v_mul_hi_i32 v39, 0x66666667, v17
	v_lshrrev_b32_e32 v40, 31, v19
	v_ashrrev_i32_e32 v19, 2, v19
	v_lshrrev_b32_e32 v41, 31, v39
	v_ashrrev_i32_e32 v39, 2, v39
	v_add_nc_u32_e32 v19, v19, v40
	v_add_nc_u32_e32 v39, v39, v41
	v_cmp_ge_i32_e32 vcc_lo, v19, v39
	s_and_b32 s20, vcc_lo, exec_lo
.LBB146_316:
	s_or_b32 exec_lo, exec_lo, s18
	s_orn2_b32 s18, s20, exec_lo
.LBB146_317:
	s_or_b32 exec_lo, exec_lo, s19
	v_cndmask_b32_e64 v19, v11, v18, s18
	v_cndmask_b32_e64 v39, 0x7ff, v6, s18
	s_mov_b32 s19, exec_lo
	v_add_nc_u32_e32 v19, 1, v19
	v_min_u32_e32 v39, v19, v39
	v_cndmask_b32_e64 v11, v19, v11, s18
	v_lshlrev_b32_e32 v39, 2, v39
	ds_read_b32 v40, v39
	v_cndmask_b32_e64 v39, v18, v19, s18
	s_waitcnt lgkmcnt(0)
	v_cndmask_b32_e64 v18, v40, v9, s18
	v_cndmask_b32_e64 v19, v17, v40, s18
	v_cmpx_gt_u32_e32 0x800, v11
	s_cbranch_execz .LBB146_321
; %bb.318:
	s_mov_b32 s20, 0
	s_mov_b32 s17, exec_lo
	v_cmpx_gt_u32_e32 0x400, v39
	s_cbranch_execz .LBB146_320
; %bb.319:
	v_mul_hi_i32 v40, 0x66666667, v18
	v_mul_hi_i32 v41, 0x66666667, v19
	v_lshrrev_b32_e32 v42, 31, v40
	v_ashrrev_i32_e32 v40, 2, v40
	v_lshrrev_b32_e32 v43, 31, v41
	v_ashrrev_i32_e32 v41, 2, v41
	v_add_nc_u32_e32 v40, v40, v42
	v_add_nc_u32_e32 v41, v41, v43
	v_cmp_ge_i32_e32 vcc_lo, v40, v41
	s_and_b32 s20, vcc_lo, exec_lo
.LBB146_320:
	s_or_b32 exec_lo, exec_lo, s17
	s_orn2_b32 s17, s20, exec_lo
.LBB146_321:
	s_or_b32 exec_lo, exec_lo, s19
	v_cndmask_b32_e64 v40, v11, v39, s17
	v_cndmask_b32_e64 v41, 0x7ff, v6, s17
	s_mov_b32 s19, exec_lo
	v_add_nc_u32_e32 v6, 1, v40
	v_min_u32_e32 v40, v6, v41
	v_cndmask_b32_e64 v41, v6, v11, s17
	v_lshlrev_b32_e32 v40, 2, v40
	ds_read_b32 v40, v40
	s_waitcnt lgkmcnt(0)
	v_cndmask_b32_e64 v11, v19, v40, s17
	v_cmpx_gt_u32_e32 0x800, v41
	s_cbranch_execz .LBB146_325
; %bb.322:
	v_cndmask_b32_e64 v39, v39, v6, s17
	v_cndmask_b32_e64 v6, v40, v18, s17
	s_mov_b32 s20, exec_lo
	v_cmpx_gt_u32_e32 0x400, v39
	s_cbranch_execz .LBB146_324
; %bb.323:
	v_mul_hi_i32 v39, 0x66666667, v6
	v_mul_hi_i32 v40, 0x66666667, v11
	v_lshrrev_b32_e32 v41, 31, v39
	v_ashrrev_i32_e32 v39, 2, v39
	v_lshrrev_b32_e32 v42, 31, v40
	v_ashrrev_i32_e32 v40, 2, v40
	v_add_nc_u32_e32 v39, v39, v41
	v_add_nc_u32_e32 v40, v40, v42
	v_cmp_lt_i32_e32 vcc_lo, v39, v40
	v_cndmask_b32_e32 v6, v11, v6, vcc_lo
.LBB146_324:
	s_or_b32 exec_lo, exec_lo, s20
	v_mov_b32_e32 v11, v6
.LBB146_325:
	s_or_b32 exec_lo, exec_lo, s19
	v_cndmask_b32_e64 v9, v9, v17, s18
	v_cndmask_b32_e64 v8, v8, v16, s14
	;; [unrolled: 1-line block ×7, first 2 shown]
.LBB146_326:
	s_or_b32 exec_lo, exec_lo, s1
	s_barrier
	buffer_gl0_inv
	s_barrier
	buffer_gl0_inv
	ds_write2_b32 v36, v4, v5 offset1:1
	ds_write2_b32 v36, v6, v7 offset0:2 offset1:3
	ds_write2_b32 v36, v8, v9 offset0:4 offset1:5
	;; [unrolled: 1-line block ×3, first 2 shown]
	s_waitcnt lgkmcnt(0)
	s_barrier
	buffer_gl0_inv
	ds_read_b32 v9, v30
	ds_read_b32 v10, v37 offset:1024
	ds_read_b32 v11, v38 offset:2048
	;; [unrolled: 1-line block ×7, first 2 shown]
	v_add_co_u32 v5, s0, s15, v20
	v_add_co_ci_u32_e64 v6, null, s16, 0, s0
	v_add_co_u32 v7, vcc_lo, 0x800, v5
	v_add_co_ci_u32_e64 v8, null, 0, v6, vcc_lo
	s_waitcnt lgkmcnt(7)
	flat_store_dword v[5:6], v9
	s_waitcnt lgkmcnt(7)
	flat_store_dword v[5:6], v10 offset:1024
	v_add_co_u32 v9, vcc_lo, 0x1000, v5
	v_add_co_ci_u32_e64 v10, null, 0, v6, vcc_lo
	v_add_co_u32 v5, vcc_lo, 0x1800, v5
	v_add_co_ci_u32_e64 v6, null, 0, v6, vcc_lo
	s_waitcnt lgkmcnt(7)
	flat_store_dword v[7:8], v11
	s_waitcnt lgkmcnt(7)
	flat_store_dword v[7:8], v12 offset:1024
	s_waitcnt lgkmcnt(7)
	flat_store_dword v[9:10], v13
	s_waitcnt lgkmcnt(7)
	flat_store_dword v[9:10], v14 offset:1024
	s_mov_b32 s18, -1
	s_waitcnt lgkmcnt(7)
	flat_store_dword v[5:6], v15
	s_branch .LBB146_560
.LBB146_327:
	s_mov_b32 s18, s3
                                        ; implicit-def: $vgpr4
	s_cbranch_execz .LBB146_560
; %bb.328:
	s_waitcnt lgkmcnt(7)
	v_mov_b32_e32 v4, 0
	s_lshl_b64 s[0:1], s[2:3], 11
	s_sub_i32 s17, s8, s0
	v_cmp_gt_u32_e32 vcc_lo, s17, v0
	v_mov_b32_e32 v5, v4
	v_mov_b32_e32 v6, v4
	;; [unrolled: 1-line block ×7, first 2 shown]
	s_and_saveexec_b32 s0, vcc_lo
	s_cbranch_execz .LBB146_336
; %bb.329:
	v_add_co_u32 v5, s1, s7, v20
	v_add_co_ci_u32_e64 v6, null, s9, 0, s1
	v_mov_b32_e32 v12, v4
	v_mov_b32_e32 v7, v4
	;; [unrolled: 1-line block ×3, first 2 shown]
	flat_load_dword v5, v[5:6]
	v_mov_b32_e32 v6, v4
	v_mov_b32_e32 v9, v4
	;; [unrolled: 1-line block ×4, first 2 shown]
	s_waitcnt vmcnt(0) lgkmcnt(0)
	v_mov_b32_e32 v4, v5
	v_mov_b32_e32 v5, v6
	;; [unrolled: 1-line block ×8, first 2 shown]
	s_or_b32 exec_lo, exec_lo, s0
	v_cmp_gt_u32_e64 s0, s17, v29
	s_and_saveexec_b32 s1, s0
	s_cbranch_execnz .LBB146_337
.LBB146_330:
	s_or_b32 exec_lo, exec_lo, s1
	v_cmp_gt_u32_e64 s1, s17, v28
	s_and_saveexec_b32 s2, s1
	s_cbranch_execz .LBB146_338
.LBB146_331:
	v_lshlrev_b32_e32 v1, 2, v28
	v_add_co_u32 v12, s3, s7, v1
	v_add_co_ci_u32_e64 v13, null, s9, 0, s3
	flat_load_dword v6, v[12:13]
	s_or_b32 exec_lo, exec_lo, s2
	v_cmp_gt_u32_e64 s2, s17, v26
	s_and_saveexec_b32 s3, s2
	s_cbranch_execnz .LBB146_339
.LBB146_332:
	s_or_b32 exec_lo, exec_lo, s3
	v_cmp_gt_u32_e64 s3, s17, v25
	s_and_saveexec_b32 s4, s3
	s_cbranch_execz .LBB146_340
.LBB146_333:
	v_lshlrev_b32_e32 v1, 2, v25
	v_add_co_u32 v12, s5, s7, v1
	v_add_co_ci_u32_e64 v13, null, s9, 0, s5
	flat_load_dword v8, v[12:13]
	s_or_b32 exec_lo, exec_lo, s4
	v_cmp_gt_u32_e64 s4, s17, v24
	s_and_saveexec_b32 s5, s4
	s_cbranch_execnz .LBB146_341
.LBB146_334:
	s_or_b32 exec_lo, exec_lo, s5
	v_cmp_gt_u32_e64 s5, s17, v23
	s_and_saveexec_b32 s8, s5
	s_cbranch_execz .LBB146_342
.LBB146_335:
	v_lshlrev_b32_e32 v1, 2, v23
	v_add_co_u32 v12, s13, s7, v1
	v_add_co_ci_u32_e64 v13, null, s9, 0, s13
	flat_load_dword v10, v[12:13]
	s_or_b32 exec_lo, exec_lo, s8
	v_cmp_gt_u32_e64 s18, s17, v22
	s_and_saveexec_b32 s8, s18
	s_cbranch_execnz .LBB146_343
	s_branch .LBB146_344
.LBB146_336:
	s_or_b32 exec_lo, exec_lo, s0
	v_cmp_gt_u32_e64 s0, s17, v29
	s_and_saveexec_b32 s1, s0
	s_cbranch_execz .LBB146_330
.LBB146_337:
	v_add_co_u32 v12, s2, s7, v20
	v_add_co_ci_u32_e64 v13, null, s9, 0, s2
	flat_load_dword v5, v[12:13] offset:1024
	s_or_b32 exec_lo, exec_lo, s1
	v_cmp_gt_u32_e64 s1, s17, v28
	s_and_saveexec_b32 s2, s1
	s_cbranch_execnz .LBB146_331
.LBB146_338:
	s_or_b32 exec_lo, exec_lo, s2
	v_cmp_gt_u32_e64 s2, s17, v26
	s_and_saveexec_b32 s3, s2
	s_cbranch_execz .LBB146_332
.LBB146_339:
	v_lshlrev_b32_e32 v1, 2, v26
	v_add_co_u32 v12, s4, s7, v1
	v_add_co_ci_u32_e64 v13, null, s9, 0, s4
	flat_load_dword v7, v[12:13]
	s_or_b32 exec_lo, exec_lo, s3
	v_cmp_gt_u32_e64 s3, s17, v25
	s_and_saveexec_b32 s4, s3
	s_cbranch_execnz .LBB146_333
.LBB146_340:
	s_or_b32 exec_lo, exec_lo, s4
	v_cmp_gt_u32_e64 s4, s17, v24
	s_and_saveexec_b32 s5, s4
	s_cbranch_execz .LBB146_334
.LBB146_341:
	v_lshlrev_b32_e32 v1, 2, v24
	v_add_co_u32 v12, s8, s7, v1
	v_add_co_ci_u32_e64 v13, null, s9, 0, s8
	flat_load_dword v9, v[12:13]
	s_or_b32 exec_lo, exec_lo, s5
	v_cmp_gt_u32_e64 s5, s17, v23
	s_and_saveexec_b32 s8, s5
	s_cbranch_execnz .LBB146_335
.LBB146_342:
	s_or_b32 exec_lo, exec_lo, s8
	v_cmp_gt_u32_e64 s18, s17, v22
	s_and_saveexec_b32 s8, s18
	s_cbranch_execz .LBB146_344
.LBB146_343:
	v_lshlrev_b32_e32 v1, 2, v22
	v_add_co_u32 v11, s7, s7, v1
	v_add_co_ci_u32_e64 v12, null, s9, 0, s7
	flat_load_dword v11, v[11:12]
.LBB146_344:
	s_or_b32 exec_lo, exec_lo, s8
	v_lshrrev_b32_e32 v1, 3, v29
	v_lshrrev_b32_e32 v12, 3, v28
	v_and_b32_e32 v13, 28, v27
	v_lshrrev_b32_e32 v14, 3, v26
	v_lshrrev_b32_e32 v15, 3, v25
	v_and_b32_e32 v1, 60, v1
	v_and_b32_e32 v12, 0x7c, v12
	v_add_nc_u32_e32 v17, v13, v20
	v_lshrrev_b32_e32 v16, 3, v24
	v_lshl_add_u32 v21, v0, 5, v21
	v_add_nc_u32_e32 v18, v1, v20
	v_add_nc_u32_e32 v19, v12, v20
	v_lshrrev_b32_e32 v1, 3, v23
	v_and_b32_e32 v12, 0x7c, v14
	ds_write_b32 v17, v4
	s_waitcnt vmcnt(0) lgkmcnt(1)
	ds_write_b32 v18, v5 offset:1024
	ds_write_b32 v19, v6 offset:2048
	v_lshrrev_b32_e32 v4, 3, v22
	v_and_b32_e32 v5, 0xfc, v15
	v_and_b32_e32 v6, 0xfc, v16
	;; [unrolled: 1-line block ×3, first 2 shown]
	v_add_nc_u32_e32 v22, v12, v20
	v_and_b32_e32 v4, 0xfc, v4
	v_add_nc_u32_e32 v23, v5, v20
	v_add_nc_u32_e32 v24, v6, v20
	;; [unrolled: 1-line block ×3, first 2 shown]
	ds_write_b32 v22, v7 offset:3072
	v_add_nc_u32_e32 v26, v4, v20
	ds_write_b32 v23, v8 offset:4096
	ds_write_b32 v24, v9 offset:5120
	;; [unrolled: 1-line block ×3, first 2 shown]
	v_mov_b32_e32 v1, 0
	ds_write_b32 v26, v11 offset:7168
	s_waitcnt lgkmcnt(0)
	s_waitcnt_vscnt null, 0x0
	s_barrier
	buffer_gl0_inv
	ds_read2_b32 v[9:10], v21 offset1:1
	ds_read2_b32 v[11:12], v21 offset0:2 offset1:3
	ds_read2_b32 v[13:14], v21 offset0:4 offset1:5
	;; [unrolled: 1-line block ×3, first 2 shown]
	s_waitcnt lgkmcnt(0)
	s_barrier
	buffer_gl0_inv
	s_load_dword s7, s[10:11], 0xc
	s_waitcnt lgkmcnt(0)
	s_lshr_b32 s8, s7, 16
	s_cmp_lt_u32 s6, s12
	v_mad_u32_u24 v2, v2, s8, v3
	s_cselect_b32 s6, 12, 18
	s_add_u32 s6, s10, s6
	s_addc_u32 s7, s11, 0
	global_load_ushort v1, v1, s[6:7]
	s_waitcnt vmcnt(0)
	v_mul_lo_u32 v1, v2, v1
	v_add_lshl_u32 v27, v1, v0, 3
	v_mov_b32_e32 v1, v9
	v_mov_b32_e32 v2, v10
	;; [unrolled: 1-line block ×4, first 2 shown]
	v_sub_nc_u32_e64 v28, s17, v27 clamp
	v_mov_b32_e32 v5, v13
	v_mov_b32_e32 v6, v14
	;; [unrolled: 1-line block ×4, first 2 shown]
	v_cmp_lt_u32_e64 s6, 1, v28
	s_and_saveexec_b32 s8, s6
	s_cbranch_execz .LBB146_348
; %bb.345:
	v_mul_hi_i32 v1, 0x66666667, v10
	v_mul_hi_i32 v2, 0x66666667, v9
	v_lshrrev_b32_e32 v3, 31, v1
	v_ashrrev_i32_e32 v1, 2, v1
	v_lshrrev_b32_e32 v4, 31, v2
	v_ashrrev_i32_e32 v2, 2, v2
	v_add_nc_u32_e32 v1, v1, v3
	v_add_nc_u32_e32 v2, v2, v4
	v_cmp_lt_i32_e64 s7, v1, v2
	v_mov_b32_e32 v1, v9
	v_mov_b32_e32 v2, v10
	;; [unrolled: 1-line block ×8, first 2 shown]
	s_and_saveexec_b32 s9, s7
	s_cbranch_execz .LBB146_347
; %bb.346:
	v_mov_b32_e32 v1, v10
	v_mov_b32_e32 v2, v9
	;; [unrolled: 1-line block ×8, first 2 shown]
.LBB146_347:
	s_or_b32 exec_lo, exec_lo, s9
.LBB146_348:
	s_or_b32 exec_lo, exec_lo, s8
	v_mul_hi_i32 v9, 0x66666667, v12
	v_mul_hi_i32 v10, 0x66666667, v11
	;; [unrolled: 1-line block ×4, first 2 shown]
	v_cmp_lt_u32_e64 s9, 3, v28
	v_mul_hi_i32 v15, 0x66666667, v8
	v_mul_hi_i32 v16, 0x66666667, v7
	v_cmp_lt_u32_e64 s8, 5, v28
	v_lshrrev_b32_e32 v13, 31, v9
	v_ashrrev_i32_e32 v9, 2, v9
	v_lshrrev_b32_e32 v14, 31, v10
	v_ashrrev_i32_e32 v10, 2, v10
	v_cmp_lt_u32_e64 s12, 7, v28
	v_mbcnt_lo_u32_b32 v32, -1, 0
	v_add_nc_u32_e32 v9, v9, v13
	v_lshrrev_b32_e32 v13, 31, v11
	v_add_nc_u32_e32 v10, v10, v14
	v_ashrrev_i32_e32 v11, 2, v11
	v_lshrrev_b32_e32 v14, 31, v12
	v_ashrrev_i32_e32 v12, 2, v12
	v_cmp_lt_i32_e64 s7, v9, v10
	v_add_nc_u32_e32 v11, v11, v13
	v_mul_hi_i32 v9, 0x66666667, v2
	v_add_nc_u32_e32 v12, v12, v14
	v_lshrrev_b32_e32 v10, 31, v15
	s_and_b32 s7, s9, s7
	v_lshrrev_b32_e32 v14, 31, v16
	v_cndmask_b32_e64 v13, v4, v3, s7
	v_cndmask_b32_e64 v3, v3, v4, s7
	v_cmp_lt_i32_e64 s7, v11, v12
	v_ashrrev_i32_e32 v4, 2, v15
	v_ashrrev_i32_e32 v15, 2, v16
	v_lshrrev_b32_e32 v12, 31, v9
	v_mul_hi_i32 v11, 0x66666667, v3
	s_and_b32 s7, s8, s7
	v_add_nc_u32_e32 v4, v4, v10
	v_add_nc_u32_e32 v10, v15, v14
	v_cndmask_b32_e64 v14, v6, v5, s7
	v_cndmask_b32_e64 v5, v5, v6, s7
	v_ashrrev_i32_e32 v9, 2, v9
	v_lshrrev_b32_e32 v6, 31, v11
	v_ashrrev_i32_e32 v11, 2, v11
	v_cmp_lt_i32_e64 s7, v4, v10
	v_mul_hi_i32 v4, 0x66666667, v5
	v_mul_hi_i32 v10, 0x66666667, v13
	v_add_nc_u32_e32 v9, v9, v12
	v_add_nc_u32_e32 v6, v11, v6
	s_and_b32 s7, s12, s7
	v_mul_hi_i32 v12, 0x66666667, v14
	v_cndmask_b32_e64 v11, v8, v7, s7
	v_cndmask_b32_e64 v7, v7, v8, s7
	v_cmp_lt_u32_e64 s7, 2, v28
	v_cmp_lt_i32_e64 s10, v6, v9
	v_lshrrev_b32_e32 v6, 31, v4
	v_ashrrev_i32_e32 v4, 2, v4
	v_lshrrev_b32_e32 v8, 31, v10
	v_ashrrev_i32_e32 v10, 2, v10
	v_mul_hi_i32 v9, 0x66666667, v7
	s_and_b32 s10, s7, s10
	v_cndmask_b32_e64 v15, v3, v2, s10
	v_cndmask_b32_e64 v2, v2, v3, s10
	v_add_nc_u32_e32 v3, v4, v6
	v_add_nc_u32_e32 v4, v10, v8
	v_cmp_lt_u32_e64 s10, 4, v28
	v_lshrrev_b32_e32 v6, 31, v9
	v_ashrrev_i32_e32 v8, 2, v9
	v_lshrrev_b32_e32 v9, 31, v12
	v_cmp_lt_i32_e64 s11, v3, v4
	v_ashrrev_i32_e32 v10, 2, v12
	v_mul_hi_i32 v4, 0x66666667, v2
	v_add_nc_u32_e32 v3, v8, v6
	v_mul_hi_i32 v8, 0x66666667, v1
	s_and_b32 s11, s10, s11
	v_add_nc_u32_e32 v6, v10, v9
	v_cndmask_b32_e64 v9, v5, v13, s11
	v_cndmask_b32_e64 v5, v13, v5, s11
	v_cmp_lt_u32_e64 s11, 6, v28
	v_mul_hi_i32 v12, 0x66666667, v15
	v_cmp_lt_i32_e64 s13, v3, v6
	v_lshrrev_b32_e32 v3, 31, v4
	v_mul_hi_i32 v10, 0x66666667, v5
	v_ashrrev_i32_e32 v4, 2, v4
	v_lshrrev_b32_e32 v6, 31, v8
	v_ashrrev_i32_e32 v8, 2, v8
	s_and_b32 s13, s11, s13
	v_mul_hi_i32 v16, 0x66666667, v9
	v_cndmask_b32_e64 v13, v7, v14, s13
	v_cndmask_b32_e64 v7, v14, v7, s13
	v_add_nc_u32_e32 v3, v4, v3
	v_add_nc_u32_e32 v4, v8, v6
	v_lshrrev_b32_e32 v6, 31, v10
	v_ashrrev_i32_e32 v8, 2, v10
	v_lshrrev_b32_e32 v10, 31, v12
	v_ashrrev_i32_e32 v12, 2, v12
	v_mul_hi_i32 v14, 0x66666667, v7
	v_cmp_lt_i32_e64 s13, v3, v4
	v_add_nc_u32_e32 v3, v8, v6
	v_add_nc_u32_e32 v4, v12, v10
	v_lshrrev_b32_e32 v10, 31, v16
	v_ashrrev_i32_e32 v12, 2, v16
	s_and_b32 s13, s6, s13
	v_lshrrev_b32_e32 v6, 31, v14
	v_cmp_lt_i32_e64 s14, v3, v4
	v_ashrrev_i32_e32 v8, 2, v14
	v_cndmask_b32_e64 v14, v1, v2, s13
	v_cndmask_b32_e64 v1, v2, v1, s13
	v_mul_hi_i32 v4, 0x66666667, v11
	s_and_b32 s13, s9, s14
	v_add_nc_u32_e32 v3, v8, v6
	v_mul_hi_i32 v8, 0x66666667, v13
	v_cndmask_b32_e64 v2, v5, v15, s13
	v_cndmask_b32_e64 v5, v15, v5, s13
	v_add_nc_u32_e32 v6, v12, v10
	v_mul_hi_i32 v12, 0x66666667, v1
	v_mul_hi_i32 v10, 0x66666667, v5
	v_cmp_lt_i32_e64 s13, v3, v6
	v_lshrrev_b32_e32 v3, 31, v4
	v_ashrrev_i32_e32 v4, 2, v4
	v_lshrrev_b32_e32 v6, 31, v8
	v_ashrrev_i32_e32 v8, 2, v8
	s_and_b32 s13, s8, s13
	v_add_nc_u32_e32 v3, v4, v3
	v_cndmask_b32_e64 v15, v7, v9, s13
	v_add_nc_u32_e32 v4, v8, v6
	v_cndmask_b32_e64 v7, v9, v7, s13
	v_lshrrev_b32_e32 v6, 31, v10
	v_ashrrev_i32_e32 v8, 2, v10
	v_lshrrev_b32_e32 v9, 31, v12
	v_ashrrev_i32_e32 v10, 2, v12
	v_cmp_lt_i32_e64 s13, v3, v4
	v_mul_hi_i32 v4, 0x66666667, v7
	v_add_nc_u32_e32 v3, v8, v6
	v_mul_hi_i32 v8, 0x66666667, v2
	v_add_nc_u32_e32 v6, v10, v9
	s_and_b32 s13, s12, s13
	v_mul_hi_i32 v12, 0x66666667, v15
	v_cndmask_b32_e64 v10, v13, v11, s13
	v_cndmask_b32_e64 v9, v11, v13, s13
	v_cmp_lt_i32_e64 s13, v3, v6
	v_lshrrev_b32_e32 v3, 31, v4
	v_ashrrev_i32_e32 v4, 2, v4
	v_lshrrev_b32_e32 v6, 31, v8
	v_ashrrev_i32_e32 v8, 2, v8
	v_mul_hi_i32 v11, 0x66666667, v10
	s_and_b32 s13, s7, s13
	v_add_nc_u32_e32 v3, v4, v3
	v_cndmask_b32_e64 v13, v5, v1, s13
	v_add_nc_u32_e32 v4, v8, v6
	v_cndmask_b32_e64 v1, v1, v5, s13
	v_lshrrev_b32_e32 v8, 31, v12
	v_lshrrev_b32_e32 v5, 31, v11
	v_cmp_lt_i32_e64 s13, v3, v4
	v_ashrrev_i32_e32 v6, 2, v11
	v_ashrrev_i32_e32 v11, 2, v12
	v_mul_hi_i32 v4, 0x66666667, v1
	s_and_b32 s13, s10, s13
	v_add_nc_u32_e32 v3, v6, v5
	v_add_nc_u32_e32 v5, v11, v8
	v_mul_hi_i32 v6, 0x66666667, v14
	v_cndmask_b32_e64 v8, v7, v2, s13
	v_cndmask_b32_e64 v2, v2, v7, s13
	v_mul_hi_i32 v11, 0x66666667, v13
	v_cmp_lt_i32_e64 s13, v3, v5
	v_lshrrev_b32_e32 v3, 31, v4
	v_ashrrev_i32_e32 v4, 2, v4
	v_mul_hi_i32 v7, 0x66666667, v2
	v_lshrrev_b32_e32 v5, 31, v6
	v_ashrrev_i32_e32 v6, 2, v6
	s_and_b32 s13, s11, s13
	v_add_nc_u32_e32 v3, v4, v3
	v_cndmask_b32_e64 v12, v10, v15, s13
	v_cndmask_b32_e64 v10, v15, v10, s13
	v_add_nc_u32_e32 v4, v6, v5
	v_lshrrev_b32_e32 v5, 31, v7
	v_ashrrev_i32_e32 v6, 2, v7
	v_lshrrev_b32_e32 v7, 31, v11
	v_ashrrev_i32_e32 v11, 2, v11
	v_mul_hi_i32 v15, 0x66666667, v10
	v_mul_hi_i32 v16, 0x66666667, v8
	v_cmp_lt_i32_e64 s13, v3, v4
	v_add_nc_u32_e32 v3, v6, v5
	v_add_nc_u32_e32 v4, v11, v7
	s_and_b32 s13, s6, s13
	v_lshrrev_b32_e32 v5, 31, v15
	v_cmp_lt_i32_e64 s14, v3, v4
	v_ashrrev_i32_e32 v6, 2, v15
	v_lshrrev_b32_e32 v7, 31, v16
	v_ashrrev_i32_e32 v11, 2, v16
	v_cndmask_b32_e64 v15, v14, v1, s13
	v_cndmask_b32_e64 v1, v1, v14, s13
	s_and_b32 s13, s9, s14
	v_add_nc_u32_e32 v3, v6, v5
	v_mul_hi_i32 v4, 0x66666667, v9
	v_mul_hi_i32 v6, 0x66666667, v12
	v_add_nc_u32_e32 v5, v11, v7
	v_cndmask_b32_e64 v7, v2, v13, s13
	v_cndmask_b32_e64 v2, v13, v2, s13
	v_mul_hi_i32 v13, 0x66666667, v1
	v_cmp_lt_i32_e64 s13, v3, v5
	v_lshrrev_b32_e32 v3, 31, v4
	v_mul_hi_i32 v11, 0x66666667, v2
	v_ashrrev_i32_e32 v4, 2, v4
	v_lshrrev_b32_e32 v5, 31, v6
	v_ashrrev_i32_e32 v6, 2, v6
	s_and_b32 s13, s8, s13
	v_add_nc_u32_e32 v3, v4, v3
	v_cndmask_b32_e64 v14, v10, v8, s13
	v_add_nc_u32_e32 v4, v6, v5
	v_cndmask_b32_e64 v8, v8, v10, s13
	v_lshrrev_b32_e32 v5, 31, v11
	v_ashrrev_i32_e32 v6, 2, v11
	v_lshrrev_b32_e32 v10, 31, v13
	v_ashrrev_i32_e32 v11, 2, v13
	v_cmp_lt_i32_e64 s13, v3, v4
	v_mul_hi_i32 v4, 0x66666667, v8
	v_add_nc_u32_e32 v3, v6, v5
	v_mul_hi_i32 v6, 0x66666667, v7
	v_add_nc_u32_e32 v5, v11, v10
	s_and_b32 s13, s12, s13
	v_cndmask_b32_e64 v10, v9, v12, s13
	v_cndmask_b32_e64 v9, v12, v9, s13
	v_cmp_lt_i32_e64 s13, v3, v5
	v_lshrrev_b32_e32 v3, 31, v4
	v_ashrrev_i32_e32 v4, 2, v4
	v_lshrrev_b32_e32 v5, 31, v6
	v_ashrrev_i32_e32 v6, 2, v6
	s_and_b32 s13, s7, s13
	v_mul_hi_i32 v11, 0x66666667, v9
	v_mul_hi_i32 v12, 0x66666667, v14
	v_cndmask_b32_e64 v13, v2, v1, s13
	v_cndmask_b32_e64 v1, v1, v2, s13
	v_add_nc_u32_e32 v2, v4, v3
	v_add_nc_u32_e32 v3, v6, v5
	v_lshrrev_b32_e32 v4, 31, v11
	v_ashrrev_i32_e32 v5, 2, v11
	v_cmp_lt_i32_e64 s13, v2, v3
	v_lshrrev_b32_e32 v6, 31, v12
	v_ashrrev_i32_e32 v11, 2, v12
	v_mul_hi_i32 v3, 0x66666667, v1
	v_add_nc_u32_e32 v2, v5, v4
	s_and_b32 s13, s10, s13
	v_mul_hi_i32 v5, 0x66666667, v15
	v_add_nc_u32_e32 v4, v11, v6
	v_cndmask_b32_e64 v6, v8, v7, s13
	v_cndmask_b32_e64 v7, v7, v8, s13
	v_mul_hi_i32 v11, 0x66666667, v13
	v_cmp_lt_i32_e64 s13, v2, v4
	v_lshrrev_b32_e32 v2, 31, v3
	v_mul_hi_i32 v8, 0x66666667, v7
	v_ashrrev_i32_e32 v3, 2, v3
	v_lshrrev_b32_e32 v4, 31, v5
	v_ashrrev_i32_e32 v5, 2, v5
	s_and_b32 s13, s11, s13
	v_cndmask_b32_e64 v12, v9, v14, s13
	v_cndmask_b32_e64 v9, v14, v9, s13
	v_add_nc_u32_e32 v2, v3, v2
	v_add_nc_u32_e32 v3, v5, v4
	v_lshrrev_b32_e32 v4, 31, v8
	v_ashrrev_i32_e32 v5, 2, v8
	v_lshrrev_b32_e32 v8, 31, v11
	v_ashrrev_i32_e32 v11, 2, v11
	v_cmp_lt_i32_e64 s13, v2, v3
	v_mul_hi_i32 v3, 0x66666667, v9
	v_add_nc_u32_e32 v2, v5, v4
	v_mul_hi_i32 v14, 0x66666667, v12
	v_add_nc_u32_e32 v4, v11, v8
	v_mul_hi_i32 v8, 0x66666667, v6
	v_mul_hi_i32 v11, 0x66666667, v10
	s_and_b32 s6, s6, s13
	v_cmp_lt_i32_e64 s13, v2, v4
	v_lshrrev_b32_e32 v2, 31, v3
	v_ashrrev_i32_e32 v3, 2, v3
	v_cndmask_b32_e64 v5, v15, v1, s6
	v_lshrrev_b32_e32 v4, 31, v8
	v_ashrrev_i32_e32 v8, 2, v8
	s_and_b32 s9, s9, s13
	v_add_nc_u32_e32 v2, v3, v2
	v_cndmask_b32_e64 v16, v7, v13, s9
	v_cndmask_b32_e64 v13, v13, v7, s9
	v_add_nc_u32_e32 v3, v8, v4
	v_lshrrev_b32_e32 v4, 31, v11
	v_ashrrev_i32_e32 v7, 2, v11
	v_cndmask_b32_e64 v1, v1, v15, s6
	v_lshrrev_b32_e32 v8, 31, v14
	v_ashrrev_i32_e32 v11, 2, v14
	v_cmp_lt_i32_e64 s6, v2, v3
	v_add_nc_u32_e32 v2, v7, v4
	v_mul_hi_i32 v3, 0x66666667, v13
	v_mul_hi_i32 v7, 0x66666667, v1
	v_add_nc_u32_e32 v4, v11, v8
	s_and_b32 s6, s8, s6
	v_mul_hi_i32 v11, 0x66666667, v16
	v_cndmask_b32_e64 v8, v6, v9, s6
	v_cndmask_b32_e64 v30, v9, v6, s6
	v_cmp_lt_i32_e64 s6, v2, v4
	v_lshrrev_b32_e32 v2, 31, v3
	v_ashrrev_i32_e32 v3, 2, v3
	v_lshrrev_b32_e32 v6, 31, v7
	v_ashrrev_i32_e32 v7, 2, v7
	v_mul_hi_i32 v9, 0x66666667, v8
	s_and_b32 s6, s12, s6
	v_add_nc_u32_e32 v2, v3, v2
	v_cndmask_b32_e64 v4, v10, v12, s6
	v_add_nc_u32_e32 v3, v7, v6
	v_cndmask_b32_e64 v31, v12, v10, s6
	v_ashrrev_i32_e32 v10, 2, v11
	v_mul_hi_i32 v15, 0x66666667, v30
	v_lshrrev_b32_e32 v6, 31, v9
	v_ashrrev_i32_e32 v7, 2, v9
	v_lshrrev_b32_e32 v9, 31, v11
	v_cmp_lt_i32_e64 s6, v2, v3
	v_and_b32_e32 v3, 0xffffff00, v27
	v_lshlrev_b32_e32 v11, 3, v32
	v_add_nc_u32_e32 v2, v7, v6
	v_add_nc_u32_e32 v9, v10, v9
	v_mul_hi_i32 v10, 0x66666667, v31
	v_sub_nc_u32_e64 v12, s17, v3 clamp
	v_or_b32_e32 v14, 8, v11
	s_and_b32 s6, s7, s6
	v_and_b32_e32 v28, 0xf0, v11
	v_cndmask_b32_e64 v7, v13, v1, s6
	v_cndmask_b32_e64 v6, v1, v13, s6
	v_min_u32_e32 v14, v12, v14
	v_cmp_lt_i32_e64 s6, v2, v9
	v_lshrrev_b32_e32 v2, 31, v10
	v_ashrrev_i32_e32 v9, 2, v10
	v_lshrrev_b32_e32 v10, 31, v15
	v_ashrrev_i32_e32 v13, 2, v15
	v_add_nc_u32_e32 v15, 8, v14
	s_and_b32 s6, s10, s6
	v_add_nc_u32_e32 v2, v9, v2
	v_cndmask_b32_e64 v1, v8, v16, s6
	v_add_nc_u32_e32 v9, v13, v10
	v_and_b32_e32 v10, 8, v11
	v_min_u32_e32 v15, v12, v15
	v_cndmask_b32_e64 v8, v16, v8, s6
	s_mov_b32 s7, exec_lo
	v_cmp_lt_i32_e64 s6, v2, v9
	v_min_u32_e32 v29, v12, v10
	v_sub_nc_u32_e32 v2, v15, v14
	v_sub_nc_u32_e32 v9, v14, v28
	v_lshlrev_b32_e32 v10, 2, v3
	s_and_b32 s6, s11, s6
	v_cndmask_b32_e64 v3, v31, v30, s6
	v_sub_nc_u32_e64 v16, v29, v2 clamp
	v_min_u32_e32 v9, v29, v9
	v_lshl_or_b32 v13, v32, 5, v10
	v_cndmask_b32_e64 v2, v30, v31, s6
	v_lshl_or_b32 v27, v28, 2, v10
	ds_write_b128 v13, v[5:8]
	ds_write_b128 v13, v[1:4] offset:16
	; wave barrier
	v_cmpx_lt_u32_e64 v16, v9
	s_cbranch_execz .LBB146_352
; %bb.349:
	v_lshlrev_b32_e32 v30, 2, v14
	v_lshlrev_b32_e32 v31, 2, v29
	s_mov_b32 s8, 0
	v_add3_u32 v30, v10, v30, v31
	s_inst_prefetch 0x1
	.p2align	6
.LBB146_350:                            ; =>This Inner Loop Header: Depth=1
	v_add_nc_u32_e32 v31, v9, v16
	v_lshrrev_b32_e32 v31, 1, v31
	v_not_b32_e32 v32, v31
	v_lshl_add_u32 v33, v31, 2, v27
	v_lshl_add_u32 v32, v32, 2, v30
	ds_read_b32 v33, v33
	ds_read_b32 v32, v32
	s_waitcnt lgkmcnt(1)
	v_mul_hi_i32 v33, 0x66666667, v33
	s_waitcnt lgkmcnt(0)
	v_mul_hi_i32 v32, 0x66666667, v32
	v_lshrrev_b32_e32 v34, 31, v33
	v_ashrrev_i32_e32 v33, 2, v33
	v_lshrrev_b32_e32 v35, 31, v32
	v_ashrrev_i32_e32 v32, 2, v32
	v_add_nc_u32_e32 v33, v33, v34
	v_add_nc_u32_e32 v34, 1, v31
	v_add_nc_u32_e32 v32, v32, v35
	v_cmp_lt_i32_e64 s6, v32, v33
	v_cndmask_b32_e64 v9, v9, v31, s6
	v_cndmask_b32_e64 v16, v34, v16, s6
	v_cmp_ge_u32_e64 s6, v16, v9
	s_or_b32 s8, s6, s8
	s_andn2_b32 exec_lo, exec_lo, s8
	s_cbranch_execnz .LBB146_350
; %bb.351:
	s_inst_prefetch 0x2
	s_or_b32 exec_lo, exec_lo, s8
.LBB146_352:
	s_or_b32 exec_lo, exec_lo, s7
	v_add_nc_u32_e32 v29, v14, v29
	v_add_nc_u32_e32 v28, v16, v28
	v_lshlrev_b32_e32 v9, 3, v0
	v_sub_nc_u32_e32 v29, v29, v16
	v_cmp_le_u32_e64 s6, v28, v14
	v_cmp_le_u32_e64 s7, v29, v15
	s_or_b32 s6, s6, s7
	s_and_saveexec_b32 s8, s6
	s_cbranch_execz .LBB146_388
; %bb.353:
	v_cmp_ge_u32_e64 s6, v28, v14
	s_mov_b32 s9, exec_lo
                                        ; implicit-def: $vgpr1
	v_cmpx_lt_u32_e64 v28, v14
; %bb.354:
	v_lshl_add_u32 v1, v16, 2, v27
	ds_read_b32 v1, v1
; %bb.355:
	s_or_b32 exec_lo, exec_lo, s9
	v_cmp_ge_u32_e64 s9, v29, v15
	s_mov_b32 s10, exec_lo
                                        ; implicit-def: $vgpr2
	v_cmpx_lt_u32_e64 v29, v15
; %bb.356:
	v_lshl_add_u32 v2, v29, 2, v10
	ds_read_b32 v2, v2
; %bb.357:
	s_or_b32 exec_lo, exec_lo, s10
	s_nor_b32 s6, s6, s9
	s_and_saveexec_b32 s7, s6
	s_cbranch_execz .LBB146_359
; %bb.358:
	s_waitcnt lgkmcnt(0)
	v_mul_hi_i32 v3, 0x66666667, v2
	v_mul_hi_i32 v4, 0x66666667, v1
	s_andn2_b32 s9, s9, exec_lo
	v_lshrrev_b32_e32 v5, 31, v3
	v_ashrrev_i32_e32 v3, 2, v3
	v_lshrrev_b32_e32 v6, 31, v4
	v_ashrrev_i32_e32 v4, 2, v4
	v_add_nc_u32_e32 v3, v3, v5
	v_add_nc_u32_e32 v4, v4, v6
	v_cmp_ge_i32_e64 s6, v3, v4
	s_and_b32 s6, s6, exec_lo
	s_or_b32 s9, s9, s6
.LBB146_359:
	s_or_b32 exec_lo, exec_lo, s7
	v_cndmask_b32_e64 v3, v29, v28, s9
	v_cndmask_b32_e64 v4, v15, v14, s9
	s_mov_b32 s7, -1
	s_mov_b32 s10, -1
	s_mov_b32 s11, exec_lo
	v_add_nc_u32_e32 v3, 1, v3
	v_add_nc_u32_e32 v4, -1, v4
	v_cndmask_b32_e64 v5, v28, v3, s9
	v_min_u32_e32 v4, v3, v4
	v_lshl_add_u32 v4, v4, 2, v10
	ds_read_b32 v6, v4
	v_cndmask_b32_e64 v4, v3, v29, s9
	s_waitcnt lgkmcnt(0)
	v_cndmask_b32_e64 v3, v6, v2, s9
	v_cndmask_b32_e64 v6, v1, v6, s9
	v_cmpx_lt_u32_e64 v4, v15
	s_cbranch_execz .LBB146_363
; %bb.360:
	s_mov_b32 s12, 0
	s_mov_b32 s10, exec_lo
	v_cmpx_lt_u32_e64 v5, v14
	s_cbranch_execz .LBB146_362
; %bb.361:
	v_mul_hi_i32 v7, 0x66666667, v3
	v_mul_hi_i32 v8, 0x66666667, v6
	v_lshrrev_b32_e32 v16, 31, v7
	v_ashrrev_i32_e32 v7, 2, v7
	v_lshrrev_b32_e32 v27, 31, v8
	v_ashrrev_i32_e32 v8, 2, v8
	v_add_nc_u32_e32 v7, v7, v16
	v_add_nc_u32_e32 v8, v8, v27
	v_cmp_ge_i32_e64 s6, v7, v8
	s_and_b32 s12, s6, exec_lo
.LBB146_362:
	s_or_b32 exec_lo, exec_lo, s10
	s_orn2_b32 s10, s12, exec_lo
.LBB146_363:
	s_or_b32 exec_lo, exec_lo, s11
	v_cndmask_b32_e64 v7, v4, v5, s10
	v_cndmask_b32_e64 v8, v15, v14, s10
	s_mov_b32 s11, exec_lo
	v_add_nc_u32_e32 v7, 1, v7
	v_add_nc_u32_e32 v8, -1, v8
	v_cndmask_b32_e64 v4, v7, v4, s10
	v_min_u32_e32 v8, v7, v8
	v_cndmask_b32_e64 v5, v5, v7, s10
	v_lshl_add_u32 v8, v8, 2, v10
	ds_read_b32 v8, v8
	s_waitcnt lgkmcnt(0)
	v_cndmask_b32_e64 v7, v8, v3, s10
	v_cndmask_b32_e64 v8, v6, v8, s10
	v_cmpx_lt_u32_e64 v4, v15
	s_cbranch_execz .LBB146_367
; %bb.364:
	s_mov_b32 s12, 0
	s_mov_b32 s7, exec_lo
	v_cmpx_lt_u32_e64 v5, v14
	s_cbranch_execz .LBB146_366
; %bb.365:
	v_mul_hi_i32 v16, 0x66666667, v7
	v_mul_hi_i32 v27, 0x66666667, v8
	v_lshrrev_b32_e32 v28, 31, v16
	v_ashrrev_i32_e32 v16, 2, v16
	v_lshrrev_b32_e32 v29, 31, v27
	v_ashrrev_i32_e32 v27, 2, v27
	v_add_nc_u32_e32 v16, v16, v28
	v_add_nc_u32_e32 v27, v27, v29
	v_cmp_ge_i32_e64 s6, v16, v27
	s_and_b32 s12, s6, exec_lo
.LBB146_366:
	s_or_b32 exec_lo, exec_lo, s7
	s_orn2_b32 s7, s12, exec_lo
.LBB146_367:
	s_or_b32 exec_lo, exec_lo, s11
	v_cndmask_b32_e64 v16, v4, v5, s7
	v_cndmask_b32_e64 v27, v15, v14, s7
	s_mov_b32 s11, -1
	s_mov_b32 s12, -1
	s_mov_b32 s13, exec_lo
	v_add_nc_u32_e32 v16, 1, v16
	v_add_nc_u32_e32 v27, -1, v27
	v_cndmask_b32_e64 v4, v16, v4, s7
	v_min_u32_e32 v27, v16, v27
	v_cndmask_b32_e64 v5, v5, v16, s7
	v_lshl_add_u32 v27, v27, 2, v10
	ds_read_b32 v27, v27
	s_waitcnt lgkmcnt(0)
	v_cndmask_b32_e64 v16, v27, v7, s7
	v_cndmask_b32_e64 v27, v8, v27, s7
	v_cmpx_lt_u32_e64 v4, v15
	s_cbranch_execz .LBB146_371
; %bb.368:
	s_mov_b32 s14, 0
	s_mov_b32 s12, exec_lo
	v_cmpx_lt_u32_e64 v5, v14
	s_cbranch_execz .LBB146_370
; %bb.369:
	v_mul_hi_i32 v28, 0x66666667, v16
	v_mul_hi_i32 v29, 0x66666667, v27
	v_lshrrev_b32_e32 v30, 31, v28
	v_ashrrev_i32_e32 v28, 2, v28
	v_lshrrev_b32_e32 v31, 31, v29
	v_ashrrev_i32_e32 v29, 2, v29
	v_add_nc_u32_e32 v28, v28, v30
	v_add_nc_u32_e32 v29, v29, v31
	v_cmp_ge_i32_e64 s6, v28, v29
	s_and_b32 s14, s6, exec_lo
.LBB146_370:
	s_or_b32 exec_lo, exec_lo, s12
	s_orn2_b32 s12, s14, exec_lo
.LBB146_371:
	s_or_b32 exec_lo, exec_lo, s13
	v_cndmask_b32_e64 v28, v4, v5, s12
	v_cndmask_b32_e64 v29, v15, v14, s12
	s_mov_b32 s13, exec_lo
	v_add_nc_u32_e32 v28, 1, v28
	v_add_nc_u32_e32 v29, -1, v29
	v_cndmask_b32_e64 v4, v28, v4, s12
	v_min_u32_e32 v29, v28, v29
	v_cndmask_b32_e64 v5, v5, v28, s12
	v_lshl_add_u32 v29, v29, 2, v10
	ds_read_b32 v29, v29
	s_waitcnt lgkmcnt(0)
	v_cndmask_b32_e64 v28, v29, v16, s12
	v_cndmask_b32_e64 v29, v27, v29, s12
	v_cmpx_lt_u32_e64 v4, v15
	s_cbranch_execz .LBB146_375
; %bb.372:
	s_mov_b32 s14, 0
	s_mov_b32 s11, exec_lo
	v_cmpx_lt_u32_e64 v5, v14
	s_cbranch_execz .LBB146_374
; %bb.373:
	v_mul_hi_i32 v30, 0x66666667, v28
	v_mul_hi_i32 v31, 0x66666667, v29
	v_lshrrev_b32_e32 v32, 31, v30
	v_ashrrev_i32_e32 v30, 2, v30
	v_lshrrev_b32_e32 v33, 31, v31
	v_ashrrev_i32_e32 v31, 2, v31
	v_add_nc_u32_e32 v30, v30, v32
	v_add_nc_u32_e32 v31, v31, v33
	v_cmp_ge_i32_e64 s6, v30, v31
	s_and_b32 s14, s6, exec_lo
.LBB146_374:
	s_or_b32 exec_lo, exec_lo, s11
	s_orn2_b32 s11, s14, exec_lo
.LBB146_375:
	s_or_b32 exec_lo, exec_lo, s13
	v_cndmask_b32_e64 v30, v4, v5, s11
	v_cndmask_b32_e64 v31, v15, v14, s11
	s_mov_b32 s13, -1
	s_mov_b32 s14, -1
	s_mov_b32 s19, exec_lo
	v_add_nc_u32_e32 v30, 1, v30
	v_add_nc_u32_e32 v31, -1, v31
	v_cndmask_b32_e64 v4, v30, v4, s11
	v_min_u32_e32 v31, v30, v31
	v_cndmask_b32_e64 v5, v5, v30, s11
	v_lshl_add_u32 v31, v31, 2, v10
	ds_read_b32 v31, v31
	s_waitcnt lgkmcnt(0)
	v_cndmask_b32_e64 v30, v31, v28, s11
	v_cndmask_b32_e64 v31, v29, v31, s11
	v_cmpx_lt_u32_e64 v4, v15
	s_cbranch_execz .LBB146_379
; %bb.376:
	s_mov_b32 s20, 0
	s_mov_b32 s14, exec_lo
	v_cmpx_lt_u32_e64 v5, v14
	s_cbranch_execz .LBB146_378
; %bb.377:
	v_mul_hi_i32 v32, 0x66666667, v30
	v_mul_hi_i32 v33, 0x66666667, v31
	v_lshrrev_b32_e32 v34, 31, v32
	v_ashrrev_i32_e32 v32, 2, v32
	v_lshrrev_b32_e32 v35, 31, v33
	v_ashrrev_i32_e32 v33, 2, v33
	v_add_nc_u32_e32 v32, v32, v34
	v_add_nc_u32_e32 v33, v33, v35
	v_cmp_ge_i32_e64 s6, v32, v33
	s_and_b32 s20, s6, exec_lo
.LBB146_378:
	s_or_b32 exec_lo, exec_lo, s14
	s_orn2_b32 s14, s20, exec_lo
.LBB146_379:
	s_or_b32 exec_lo, exec_lo, s19
	v_cndmask_b32_e64 v32, v4, v5, s14
	v_cndmask_b32_e64 v33, v15, v14, s14
	s_mov_b32 s19, exec_lo
	v_add_nc_u32_e32 v32, 1, v32
	v_add_nc_u32_e32 v33, -1, v33
	v_cndmask_b32_e64 v4, v32, v4, s14
	v_min_u32_e32 v33, v32, v33
	v_cndmask_b32_e64 v5, v5, v32, s14
	v_lshl_add_u32 v33, v33, 2, v10
	ds_read_b32 v33, v33
	s_waitcnt lgkmcnt(0)
	v_cndmask_b32_e64 v32, v33, v30, s14
	v_cndmask_b32_e64 v33, v31, v33, s14
	v_cmpx_lt_u32_e64 v4, v15
	s_cbranch_execz .LBB146_383
; %bb.380:
	s_mov_b32 s20, 0
	s_mov_b32 s13, exec_lo
	v_cmpx_lt_u32_e64 v5, v14
	s_cbranch_execz .LBB146_382
; %bb.381:
	v_mul_hi_i32 v34, 0x66666667, v32
	v_mul_hi_i32 v35, 0x66666667, v33
	v_lshrrev_b32_e32 v36, 31, v34
	v_ashrrev_i32_e32 v34, 2, v34
	v_lshrrev_b32_e32 v37, 31, v35
	v_ashrrev_i32_e32 v35, 2, v35
	v_add_nc_u32_e32 v34, v34, v36
	v_add_nc_u32_e32 v35, v35, v37
	v_cmp_ge_i32_e64 s6, v34, v35
	s_and_b32 s20, s6, exec_lo
.LBB146_382:
	s_or_b32 exec_lo, exec_lo, s13
	s_orn2_b32 s13, s20, exec_lo
.LBB146_383:
	s_or_b32 exec_lo, exec_lo, s19
	v_cndmask_b32_e64 v34, v4, v5, s13
	v_cndmask_b32_e64 v35, v15, v14, s13
	s_mov_b32 s19, exec_lo
	v_add_nc_u32_e32 v34, 1, v34
	v_add_nc_u32_e32 v35, -1, v35
	v_cndmask_b32_e64 v36, v34, v4, s13
	v_min_u32_e32 v35, v34, v35
	v_lshl_add_u32 v35, v35, 2, v10
	ds_read_b32 v35, v35
	s_waitcnt lgkmcnt(0)
	v_cndmask_b32_e64 v4, v33, v35, s13
	v_cmpx_lt_u32_e64 v36, v15
	s_cbranch_execz .LBB146_387
; %bb.384:
	v_cndmask_b32_e64 v15, v5, v34, s13
	v_cndmask_b32_e64 v5, v35, v32, s13
	s_mov_b32 s20, exec_lo
	v_cmpx_lt_u32_e64 v15, v14
	s_cbranch_execz .LBB146_386
; %bb.385:
	v_mul_hi_i32 v14, 0x66666667, v5
	v_mul_hi_i32 v15, 0x66666667, v4
	v_lshrrev_b32_e32 v34, 31, v14
	v_ashrrev_i32_e32 v14, 2, v14
	v_lshrrev_b32_e32 v35, 31, v15
	v_ashrrev_i32_e32 v15, 2, v15
	v_add_nc_u32_e32 v14, v14, v34
	v_add_nc_u32_e32 v15, v15, v35
	v_cmp_lt_i32_e64 s6, v14, v15
	v_cndmask_b32_e64 v5, v4, v5, s6
.LBB146_386:
	s_or_b32 exec_lo, exec_lo, s20
	v_mov_b32_e32 v4, v5
.LBB146_387:
	s_or_b32 exec_lo, exec_lo, s19
	v_cndmask_b32_e64 v5, v2, v1, s9
	v_cndmask_b32_e64 v6, v3, v6, s10
	;; [unrolled: 1-line block ×7, first 2 shown]
.LBB146_388:
	s_or_b32 exec_lo, exec_lo, s8
	v_and_b32_e32 v28, 0xe0, v11
	v_and_b32_e32 v16, 24, v11
	s_mov_b32 s7, exec_lo
	; wave barrier
	v_or_b32_e32 v14, 16, v28
	v_min_u32_e32 v29, v12, v16
	ds_write_b128 v13, v[5:8]
	ds_write_b128 v13, v[1:4] offset:16
	; wave barrier
	v_min_u32_e32 v14, v12, v14
	v_add_nc_u32_e32 v15, 16, v14
	v_sub_nc_u32_e32 v27, v14, v28
	v_min_u32_e32 v15, v12, v15
	v_min_u32_e32 v30, v29, v27
	v_lshl_add_u32 v27, v28, 2, v10
	v_sub_nc_u32_e32 v16, v15, v14
	v_sub_nc_u32_e64 v16, v29, v16 clamp
	v_cmpx_lt_u32_e64 v16, v30
	s_cbranch_execz .LBB146_392
; %bb.389:
	v_lshlrev_b32_e32 v31, 2, v14
	v_lshlrev_b32_e32 v32, 2, v29
	s_mov_b32 s8, 0
	v_add3_u32 v31, v10, v31, v32
	s_inst_prefetch 0x1
	.p2align	6
.LBB146_390:                            ; =>This Inner Loop Header: Depth=1
	v_add_nc_u32_e32 v32, v30, v16
	v_lshrrev_b32_e32 v32, 1, v32
	v_not_b32_e32 v33, v32
	v_lshl_add_u32 v34, v32, 2, v27
	v_lshl_add_u32 v33, v33, 2, v31
	ds_read_b32 v34, v34
	ds_read_b32 v33, v33
	s_waitcnt lgkmcnt(1)
	v_mul_hi_i32 v34, 0x66666667, v34
	s_waitcnt lgkmcnt(0)
	v_mul_hi_i32 v33, 0x66666667, v33
	v_lshrrev_b32_e32 v35, 31, v34
	v_ashrrev_i32_e32 v34, 2, v34
	v_lshrrev_b32_e32 v36, 31, v33
	v_ashrrev_i32_e32 v33, 2, v33
	v_add_nc_u32_e32 v34, v34, v35
	v_add_nc_u32_e32 v35, 1, v32
	;; [unrolled: 1-line block ×3, first 2 shown]
	v_cmp_lt_i32_e64 s6, v33, v34
	v_cndmask_b32_e64 v30, v30, v32, s6
	v_cndmask_b32_e64 v16, v35, v16, s6
	v_cmp_ge_u32_e64 s6, v16, v30
	s_or_b32 s8, s6, s8
	s_andn2_b32 exec_lo, exec_lo, s8
	s_cbranch_execnz .LBB146_390
; %bb.391:
	s_inst_prefetch 0x2
	s_or_b32 exec_lo, exec_lo, s8
.LBB146_392:
	s_or_b32 exec_lo, exec_lo, s7
	v_add_nc_u32_e32 v29, v14, v29
	v_add_nc_u32_e32 v28, v16, v28
	v_sub_nc_u32_e32 v29, v29, v16
	v_cmp_le_u32_e64 s6, v28, v14
	v_cmp_le_u32_e64 s7, v29, v15
	s_or_b32 s6, s6, s7
	s_and_saveexec_b32 s8, s6
	s_cbranch_execz .LBB146_428
; %bb.393:
	v_cmp_ge_u32_e64 s6, v28, v14
	s_mov_b32 s9, exec_lo
                                        ; implicit-def: $vgpr1
	v_cmpx_lt_u32_e64 v28, v14
; %bb.394:
	v_lshl_add_u32 v1, v16, 2, v27
	ds_read_b32 v1, v1
; %bb.395:
	s_or_b32 exec_lo, exec_lo, s9
	v_cmp_ge_u32_e64 s9, v29, v15
	s_mov_b32 s10, exec_lo
                                        ; implicit-def: $vgpr2
	v_cmpx_lt_u32_e64 v29, v15
; %bb.396:
	v_lshl_add_u32 v2, v29, 2, v10
	ds_read_b32 v2, v2
; %bb.397:
	s_or_b32 exec_lo, exec_lo, s10
	s_nor_b32 s6, s6, s9
	s_and_saveexec_b32 s7, s6
	s_cbranch_execz .LBB146_399
; %bb.398:
	s_waitcnt lgkmcnt(0)
	v_mul_hi_i32 v3, 0x66666667, v2
	v_mul_hi_i32 v4, 0x66666667, v1
	s_andn2_b32 s9, s9, exec_lo
	v_lshrrev_b32_e32 v5, 31, v3
	v_ashrrev_i32_e32 v3, 2, v3
	v_lshrrev_b32_e32 v6, 31, v4
	v_ashrrev_i32_e32 v4, 2, v4
	v_add_nc_u32_e32 v3, v3, v5
	v_add_nc_u32_e32 v4, v4, v6
	v_cmp_ge_i32_e64 s6, v3, v4
	s_and_b32 s6, s6, exec_lo
	s_or_b32 s9, s9, s6
.LBB146_399:
	s_or_b32 exec_lo, exec_lo, s7
	v_cndmask_b32_e64 v3, v29, v28, s9
	v_cndmask_b32_e64 v4, v15, v14, s9
	s_mov_b32 s7, -1
	s_mov_b32 s10, -1
	s_mov_b32 s11, exec_lo
	v_add_nc_u32_e32 v3, 1, v3
	v_add_nc_u32_e32 v4, -1, v4
	v_cndmask_b32_e64 v5, v28, v3, s9
	v_min_u32_e32 v4, v3, v4
	v_lshl_add_u32 v4, v4, 2, v10
	ds_read_b32 v6, v4
	v_cndmask_b32_e64 v4, v3, v29, s9
	s_waitcnt lgkmcnt(0)
	v_cndmask_b32_e64 v3, v6, v2, s9
	v_cndmask_b32_e64 v6, v1, v6, s9
	v_cmpx_lt_u32_e64 v4, v15
	s_cbranch_execz .LBB146_403
; %bb.400:
	s_mov_b32 s12, 0
	s_mov_b32 s10, exec_lo
	v_cmpx_lt_u32_e64 v5, v14
	s_cbranch_execz .LBB146_402
; %bb.401:
	v_mul_hi_i32 v7, 0x66666667, v3
	v_mul_hi_i32 v8, 0x66666667, v6
	v_lshrrev_b32_e32 v16, 31, v7
	v_ashrrev_i32_e32 v7, 2, v7
	v_lshrrev_b32_e32 v27, 31, v8
	v_ashrrev_i32_e32 v8, 2, v8
	v_add_nc_u32_e32 v7, v7, v16
	v_add_nc_u32_e32 v8, v8, v27
	v_cmp_ge_i32_e64 s6, v7, v8
	s_and_b32 s12, s6, exec_lo
.LBB146_402:
	s_or_b32 exec_lo, exec_lo, s10
	s_orn2_b32 s10, s12, exec_lo
.LBB146_403:
	s_or_b32 exec_lo, exec_lo, s11
	v_cndmask_b32_e64 v7, v4, v5, s10
	v_cndmask_b32_e64 v8, v15, v14, s10
	s_mov_b32 s11, exec_lo
	v_add_nc_u32_e32 v7, 1, v7
	v_add_nc_u32_e32 v8, -1, v8
	v_cndmask_b32_e64 v4, v7, v4, s10
	v_min_u32_e32 v8, v7, v8
	v_cndmask_b32_e64 v5, v5, v7, s10
	v_lshl_add_u32 v8, v8, 2, v10
	ds_read_b32 v8, v8
	s_waitcnt lgkmcnt(0)
	v_cndmask_b32_e64 v7, v8, v3, s10
	v_cndmask_b32_e64 v8, v6, v8, s10
	v_cmpx_lt_u32_e64 v4, v15
	s_cbranch_execz .LBB146_407
; %bb.404:
	s_mov_b32 s12, 0
	s_mov_b32 s7, exec_lo
	v_cmpx_lt_u32_e64 v5, v14
	s_cbranch_execz .LBB146_406
; %bb.405:
	v_mul_hi_i32 v16, 0x66666667, v7
	v_mul_hi_i32 v27, 0x66666667, v8
	v_lshrrev_b32_e32 v28, 31, v16
	v_ashrrev_i32_e32 v16, 2, v16
	v_lshrrev_b32_e32 v29, 31, v27
	v_ashrrev_i32_e32 v27, 2, v27
	v_add_nc_u32_e32 v16, v16, v28
	v_add_nc_u32_e32 v27, v27, v29
	v_cmp_ge_i32_e64 s6, v16, v27
	s_and_b32 s12, s6, exec_lo
.LBB146_406:
	s_or_b32 exec_lo, exec_lo, s7
	s_orn2_b32 s7, s12, exec_lo
.LBB146_407:
	s_or_b32 exec_lo, exec_lo, s11
	v_cndmask_b32_e64 v16, v4, v5, s7
	v_cndmask_b32_e64 v27, v15, v14, s7
	s_mov_b32 s11, -1
	s_mov_b32 s12, -1
	s_mov_b32 s13, exec_lo
	v_add_nc_u32_e32 v16, 1, v16
	v_add_nc_u32_e32 v27, -1, v27
	v_cndmask_b32_e64 v4, v16, v4, s7
	v_min_u32_e32 v27, v16, v27
	v_cndmask_b32_e64 v5, v5, v16, s7
	v_lshl_add_u32 v27, v27, 2, v10
	ds_read_b32 v27, v27
	s_waitcnt lgkmcnt(0)
	v_cndmask_b32_e64 v16, v27, v7, s7
	v_cndmask_b32_e64 v27, v8, v27, s7
	v_cmpx_lt_u32_e64 v4, v15
	s_cbranch_execz .LBB146_411
; %bb.408:
	s_mov_b32 s14, 0
	s_mov_b32 s12, exec_lo
	v_cmpx_lt_u32_e64 v5, v14
	s_cbranch_execz .LBB146_410
; %bb.409:
	v_mul_hi_i32 v28, 0x66666667, v16
	v_mul_hi_i32 v29, 0x66666667, v27
	v_lshrrev_b32_e32 v30, 31, v28
	v_ashrrev_i32_e32 v28, 2, v28
	v_lshrrev_b32_e32 v31, 31, v29
	v_ashrrev_i32_e32 v29, 2, v29
	v_add_nc_u32_e32 v28, v28, v30
	v_add_nc_u32_e32 v29, v29, v31
	v_cmp_ge_i32_e64 s6, v28, v29
	s_and_b32 s14, s6, exec_lo
.LBB146_410:
	s_or_b32 exec_lo, exec_lo, s12
	s_orn2_b32 s12, s14, exec_lo
.LBB146_411:
	s_or_b32 exec_lo, exec_lo, s13
	v_cndmask_b32_e64 v28, v4, v5, s12
	v_cndmask_b32_e64 v29, v15, v14, s12
	s_mov_b32 s13, exec_lo
	v_add_nc_u32_e32 v28, 1, v28
	v_add_nc_u32_e32 v29, -1, v29
	v_cndmask_b32_e64 v4, v28, v4, s12
	v_min_u32_e32 v29, v28, v29
	v_cndmask_b32_e64 v5, v5, v28, s12
	v_lshl_add_u32 v29, v29, 2, v10
	ds_read_b32 v29, v29
	s_waitcnt lgkmcnt(0)
	v_cndmask_b32_e64 v28, v29, v16, s12
	v_cndmask_b32_e64 v29, v27, v29, s12
	v_cmpx_lt_u32_e64 v4, v15
	s_cbranch_execz .LBB146_415
; %bb.412:
	s_mov_b32 s14, 0
	s_mov_b32 s11, exec_lo
	v_cmpx_lt_u32_e64 v5, v14
	s_cbranch_execz .LBB146_414
; %bb.413:
	v_mul_hi_i32 v30, 0x66666667, v28
	v_mul_hi_i32 v31, 0x66666667, v29
	v_lshrrev_b32_e32 v32, 31, v30
	v_ashrrev_i32_e32 v30, 2, v30
	v_lshrrev_b32_e32 v33, 31, v31
	v_ashrrev_i32_e32 v31, 2, v31
	v_add_nc_u32_e32 v30, v30, v32
	v_add_nc_u32_e32 v31, v31, v33
	v_cmp_ge_i32_e64 s6, v30, v31
	s_and_b32 s14, s6, exec_lo
.LBB146_414:
	s_or_b32 exec_lo, exec_lo, s11
	s_orn2_b32 s11, s14, exec_lo
.LBB146_415:
	s_or_b32 exec_lo, exec_lo, s13
	v_cndmask_b32_e64 v30, v4, v5, s11
	v_cndmask_b32_e64 v31, v15, v14, s11
	s_mov_b32 s13, -1
	s_mov_b32 s14, -1
	s_mov_b32 s19, exec_lo
	v_add_nc_u32_e32 v30, 1, v30
	v_add_nc_u32_e32 v31, -1, v31
	v_cndmask_b32_e64 v4, v30, v4, s11
	v_min_u32_e32 v31, v30, v31
	v_cndmask_b32_e64 v5, v5, v30, s11
	v_lshl_add_u32 v31, v31, 2, v10
	ds_read_b32 v31, v31
	s_waitcnt lgkmcnt(0)
	v_cndmask_b32_e64 v30, v31, v28, s11
	v_cndmask_b32_e64 v31, v29, v31, s11
	v_cmpx_lt_u32_e64 v4, v15
	s_cbranch_execz .LBB146_419
; %bb.416:
	s_mov_b32 s20, 0
	s_mov_b32 s14, exec_lo
	v_cmpx_lt_u32_e64 v5, v14
	s_cbranch_execz .LBB146_418
; %bb.417:
	v_mul_hi_i32 v32, 0x66666667, v30
	v_mul_hi_i32 v33, 0x66666667, v31
	v_lshrrev_b32_e32 v34, 31, v32
	v_ashrrev_i32_e32 v32, 2, v32
	v_lshrrev_b32_e32 v35, 31, v33
	v_ashrrev_i32_e32 v33, 2, v33
	v_add_nc_u32_e32 v32, v32, v34
	v_add_nc_u32_e32 v33, v33, v35
	v_cmp_ge_i32_e64 s6, v32, v33
	s_and_b32 s20, s6, exec_lo
.LBB146_418:
	s_or_b32 exec_lo, exec_lo, s14
	s_orn2_b32 s14, s20, exec_lo
.LBB146_419:
	s_or_b32 exec_lo, exec_lo, s19
	v_cndmask_b32_e64 v32, v4, v5, s14
	v_cndmask_b32_e64 v33, v15, v14, s14
	s_mov_b32 s19, exec_lo
	v_add_nc_u32_e32 v32, 1, v32
	v_add_nc_u32_e32 v33, -1, v33
	v_cndmask_b32_e64 v4, v32, v4, s14
	v_min_u32_e32 v33, v32, v33
	v_cndmask_b32_e64 v5, v5, v32, s14
	v_lshl_add_u32 v33, v33, 2, v10
	ds_read_b32 v33, v33
	s_waitcnt lgkmcnt(0)
	v_cndmask_b32_e64 v32, v33, v30, s14
	v_cndmask_b32_e64 v33, v31, v33, s14
	v_cmpx_lt_u32_e64 v4, v15
	s_cbranch_execz .LBB146_423
; %bb.420:
	s_mov_b32 s20, 0
	s_mov_b32 s13, exec_lo
	v_cmpx_lt_u32_e64 v5, v14
	s_cbranch_execz .LBB146_422
; %bb.421:
	v_mul_hi_i32 v34, 0x66666667, v32
	v_mul_hi_i32 v35, 0x66666667, v33
	v_lshrrev_b32_e32 v36, 31, v34
	v_ashrrev_i32_e32 v34, 2, v34
	v_lshrrev_b32_e32 v37, 31, v35
	v_ashrrev_i32_e32 v35, 2, v35
	v_add_nc_u32_e32 v34, v34, v36
	v_add_nc_u32_e32 v35, v35, v37
	v_cmp_ge_i32_e64 s6, v34, v35
	s_and_b32 s20, s6, exec_lo
.LBB146_422:
	s_or_b32 exec_lo, exec_lo, s13
	s_orn2_b32 s13, s20, exec_lo
.LBB146_423:
	s_or_b32 exec_lo, exec_lo, s19
	v_cndmask_b32_e64 v34, v4, v5, s13
	v_cndmask_b32_e64 v35, v15, v14, s13
	s_mov_b32 s19, exec_lo
	v_add_nc_u32_e32 v34, 1, v34
	v_add_nc_u32_e32 v35, -1, v35
	v_cndmask_b32_e64 v36, v34, v4, s13
	v_min_u32_e32 v35, v34, v35
	v_lshl_add_u32 v35, v35, 2, v10
	ds_read_b32 v35, v35
	s_waitcnt lgkmcnt(0)
	v_cndmask_b32_e64 v4, v33, v35, s13
	v_cmpx_lt_u32_e64 v36, v15
	s_cbranch_execz .LBB146_427
; %bb.424:
	v_cndmask_b32_e64 v15, v5, v34, s13
	v_cndmask_b32_e64 v5, v35, v32, s13
	s_mov_b32 s20, exec_lo
	v_cmpx_lt_u32_e64 v15, v14
	s_cbranch_execz .LBB146_426
; %bb.425:
	v_mul_hi_i32 v14, 0x66666667, v5
	v_mul_hi_i32 v15, 0x66666667, v4
	v_lshrrev_b32_e32 v34, 31, v14
	v_ashrrev_i32_e32 v14, 2, v14
	v_lshrrev_b32_e32 v35, 31, v15
	v_ashrrev_i32_e32 v15, 2, v15
	v_add_nc_u32_e32 v14, v14, v34
	v_add_nc_u32_e32 v15, v15, v35
	v_cmp_lt_i32_e64 s6, v14, v15
	v_cndmask_b32_e64 v5, v4, v5, s6
.LBB146_426:
	s_or_b32 exec_lo, exec_lo, s20
	v_mov_b32_e32 v4, v5
.LBB146_427:
	s_or_b32 exec_lo, exec_lo, s19
	v_cndmask_b32_e64 v5, v2, v1, s9
	v_cndmask_b32_e64 v6, v3, v6, s10
	;; [unrolled: 1-line block ×7, first 2 shown]
.LBB146_428:
	s_or_b32 exec_lo, exec_lo, s8
	v_and_b32_e32 v28, 0xc0, v11
	v_and_b32_e32 v16, 56, v11
	s_mov_b32 s7, exec_lo
	; wave barrier
	v_or_b32_e32 v14, 32, v28
	v_min_u32_e32 v29, v12, v16
	ds_write_b128 v13, v[5:8]
	ds_write_b128 v13, v[1:4] offset:16
	; wave barrier
	v_min_u32_e32 v14, v12, v14
	v_add_nc_u32_e32 v15, 32, v14
	v_sub_nc_u32_e32 v27, v14, v28
	v_min_u32_e32 v15, v12, v15
	v_min_u32_e32 v30, v29, v27
	v_lshl_add_u32 v27, v28, 2, v10
	v_sub_nc_u32_e32 v16, v15, v14
	v_sub_nc_u32_e64 v16, v29, v16 clamp
	v_cmpx_lt_u32_e64 v16, v30
	s_cbranch_execz .LBB146_432
; %bb.429:
	v_lshlrev_b32_e32 v31, 2, v14
	v_lshlrev_b32_e32 v32, 2, v29
	s_mov_b32 s8, 0
	v_add3_u32 v31, v10, v31, v32
	s_inst_prefetch 0x1
	.p2align	6
.LBB146_430:                            ; =>This Inner Loop Header: Depth=1
	v_add_nc_u32_e32 v32, v30, v16
	v_lshrrev_b32_e32 v32, 1, v32
	v_not_b32_e32 v33, v32
	v_lshl_add_u32 v34, v32, 2, v27
	v_lshl_add_u32 v33, v33, 2, v31
	ds_read_b32 v34, v34
	ds_read_b32 v33, v33
	s_waitcnt lgkmcnt(1)
	v_mul_hi_i32 v34, 0x66666667, v34
	s_waitcnt lgkmcnt(0)
	v_mul_hi_i32 v33, 0x66666667, v33
	v_lshrrev_b32_e32 v35, 31, v34
	v_ashrrev_i32_e32 v34, 2, v34
	v_lshrrev_b32_e32 v36, 31, v33
	v_ashrrev_i32_e32 v33, 2, v33
	v_add_nc_u32_e32 v34, v34, v35
	v_add_nc_u32_e32 v35, 1, v32
	;; [unrolled: 1-line block ×3, first 2 shown]
	v_cmp_lt_i32_e64 s6, v33, v34
	v_cndmask_b32_e64 v30, v30, v32, s6
	v_cndmask_b32_e64 v16, v35, v16, s6
	v_cmp_ge_u32_e64 s6, v16, v30
	s_or_b32 s8, s6, s8
	s_andn2_b32 exec_lo, exec_lo, s8
	s_cbranch_execnz .LBB146_430
; %bb.431:
	s_inst_prefetch 0x2
	s_or_b32 exec_lo, exec_lo, s8
.LBB146_432:
	s_or_b32 exec_lo, exec_lo, s7
	v_add_nc_u32_e32 v29, v14, v29
	v_add_nc_u32_e32 v28, v16, v28
	v_sub_nc_u32_e32 v29, v29, v16
	v_cmp_le_u32_e64 s6, v28, v14
	v_cmp_le_u32_e64 s7, v29, v15
	s_or_b32 s6, s6, s7
	s_and_saveexec_b32 s8, s6
	s_cbranch_execz .LBB146_468
; %bb.433:
	v_cmp_ge_u32_e64 s6, v28, v14
	s_mov_b32 s9, exec_lo
                                        ; implicit-def: $vgpr1
	v_cmpx_lt_u32_e64 v28, v14
; %bb.434:
	v_lshl_add_u32 v1, v16, 2, v27
	ds_read_b32 v1, v1
; %bb.435:
	s_or_b32 exec_lo, exec_lo, s9
	v_cmp_ge_u32_e64 s9, v29, v15
	s_mov_b32 s10, exec_lo
                                        ; implicit-def: $vgpr2
	v_cmpx_lt_u32_e64 v29, v15
; %bb.436:
	v_lshl_add_u32 v2, v29, 2, v10
	ds_read_b32 v2, v2
; %bb.437:
	s_or_b32 exec_lo, exec_lo, s10
	s_nor_b32 s6, s6, s9
	s_and_saveexec_b32 s7, s6
	s_cbranch_execz .LBB146_439
; %bb.438:
	s_waitcnt lgkmcnt(0)
	v_mul_hi_i32 v3, 0x66666667, v2
	v_mul_hi_i32 v4, 0x66666667, v1
	s_andn2_b32 s9, s9, exec_lo
	v_lshrrev_b32_e32 v5, 31, v3
	v_ashrrev_i32_e32 v3, 2, v3
	v_lshrrev_b32_e32 v6, 31, v4
	v_ashrrev_i32_e32 v4, 2, v4
	v_add_nc_u32_e32 v3, v3, v5
	v_add_nc_u32_e32 v4, v4, v6
	v_cmp_ge_i32_e64 s6, v3, v4
	s_and_b32 s6, s6, exec_lo
	s_or_b32 s9, s9, s6
.LBB146_439:
	s_or_b32 exec_lo, exec_lo, s7
	v_cndmask_b32_e64 v3, v29, v28, s9
	v_cndmask_b32_e64 v4, v15, v14, s9
	s_mov_b32 s7, -1
	s_mov_b32 s10, -1
	s_mov_b32 s11, exec_lo
	v_add_nc_u32_e32 v3, 1, v3
	v_add_nc_u32_e32 v4, -1, v4
	v_cndmask_b32_e64 v5, v28, v3, s9
	v_min_u32_e32 v4, v3, v4
	v_lshl_add_u32 v4, v4, 2, v10
	ds_read_b32 v6, v4
	v_cndmask_b32_e64 v4, v3, v29, s9
	s_waitcnt lgkmcnt(0)
	v_cndmask_b32_e64 v3, v6, v2, s9
	v_cndmask_b32_e64 v6, v1, v6, s9
	v_cmpx_lt_u32_e64 v4, v15
	s_cbranch_execz .LBB146_443
; %bb.440:
	s_mov_b32 s12, 0
	s_mov_b32 s10, exec_lo
	v_cmpx_lt_u32_e64 v5, v14
	s_cbranch_execz .LBB146_442
; %bb.441:
	v_mul_hi_i32 v7, 0x66666667, v3
	v_mul_hi_i32 v8, 0x66666667, v6
	v_lshrrev_b32_e32 v16, 31, v7
	v_ashrrev_i32_e32 v7, 2, v7
	v_lshrrev_b32_e32 v27, 31, v8
	v_ashrrev_i32_e32 v8, 2, v8
	v_add_nc_u32_e32 v7, v7, v16
	v_add_nc_u32_e32 v8, v8, v27
	v_cmp_ge_i32_e64 s6, v7, v8
	s_and_b32 s12, s6, exec_lo
.LBB146_442:
	s_or_b32 exec_lo, exec_lo, s10
	s_orn2_b32 s10, s12, exec_lo
.LBB146_443:
	s_or_b32 exec_lo, exec_lo, s11
	v_cndmask_b32_e64 v7, v4, v5, s10
	v_cndmask_b32_e64 v8, v15, v14, s10
	s_mov_b32 s11, exec_lo
	v_add_nc_u32_e32 v7, 1, v7
	v_add_nc_u32_e32 v8, -1, v8
	v_cndmask_b32_e64 v4, v7, v4, s10
	v_min_u32_e32 v8, v7, v8
	v_cndmask_b32_e64 v5, v5, v7, s10
	v_lshl_add_u32 v8, v8, 2, v10
	ds_read_b32 v8, v8
	s_waitcnt lgkmcnt(0)
	v_cndmask_b32_e64 v7, v8, v3, s10
	v_cndmask_b32_e64 v8, v6, v8, s10
	v_cmpx_lt_u32_e64 v4, v15
	s_cbranch_execz .LBB146_447
; %bb.444:
	s_mov_b32 s12, 0
	s_mov_b32 s7, exec_lo
	v_cmpx_lt_u32_e64 v5, v14
	s_cbranch_execz .LBB146_446
; %bb.445:
	v_mul_hi_i32 v16, 0x66666667, v7
	v_mul_hi_i32 v27, 0x66666667, v8
	v_lshrrev_b32_e32 v28, 31, v16
	v_ashrrev_i32_e32 v16, 2, v16
	v_lshrrev_b32_e32 v29, 31, v27
	v_ashrrev_i32_e32 v27, 2, v27
	v_add_nc_u32_e32 v16, v16, v28
	v_add_nc_u32_e32 v27, v27, v29
	v_cmp_ge_i32_e64 s6, v16, v27
	s_and_b32 s12, s6, exec_lo
.LBB146_446:
	s_or_b32 exec_lo, exec_lo, s7
	s_orn2_b32 s7, s12, exec_lo
.LBB146_447:
	s_or_b32 exec_lo, exec_lo, s11
	v_cndmask_b32_e64 v16, v4, v5, s7
	v_cndmask_b32_e64 v27, v15, v14, s7
	s_mov_b32 s11, -1
	s_mov_b32 s12, -1
	s_mov_b32 s13, exec_lo
	v_add_nc_u32_e32 v16, 1, v16
	v_add_nc_u32_e32 v27, -1, v27
	v_cndmask_b32_e64 v4, v16, v4, s7
	v_min_u32_e32 v27, v16, v27
	v_cndmask_b32_e64 v5, v5, v16, s7
	v_lshl_add_u32 v27, v27, 2, v10
	ds_read_b32 v27, v27
	s_waitcnt lgkmcnt(0)
	v_cndmask_b32_e64 v16, v27, v7, s7
	v_cndmask_b32_e64 v27, v8, v27, s7
	v_cmpx_lt_u32_e64 v4, v15
	s_cbranch_execz .LBB146_451
; %bb.448:
	s_mov_b32 s14, 0
	s_mov_b32 s12, exec_lo
	v_cmpx_lt_u32_e64 v5, v14
	s_cbranch_execz .LBB146_450
; %bb.449:
	v_mul_hi_i32 v28, 0x66666667, v16
	v_mul_hi_i32 v29, 0x66666667, v27
	v_lshrrev_b32_e32 v30, 31, v28
	v_ashrrev_i32_e32 v28, 2, v28
	v_lshrrev_b32_e32 v31, 31, v29
	v_ashrrev_i32_e32 v29, 2, v29
	v_add_nc_u32_e32 v28, v28, v30
	v_add_nc_u32_e32 v29, v29, v31
	v_cmp_ge_i32_e64 s6, v28, v29
	s_and_b32 s14, s6, exec_lo
.LBB146_450:
	s_or_b32 exec_lo, exec_lo, s12
	s_orn2_b32 s12, s14, exec_lo
.LBB146_451:
	s_or_b32 exec_lo, exec_lo, s13
	v_cndmask_b32_e64 v28, v4, v5, s12
	v_cndmask_b32_e64 v29, v15, v14, s12
	s_mov_b32 s13, exec_lo
	v_add_nc_u32_e32 v28, 1, v28
	v_add_nc_u32_e32 v29, -1, v29
	v_cndmask_b32_e64 v4, v28, v4, s12
	v_min_u32_e32 v29, v28, v29
	v_cndmask_b32_e64 v5, v5, v28, s12
	v_lshl_add_u32 v29, v29, 2, v10
	ds_read_b32 v29, v29
	s_waitcnt lgkmcnt(0)
	v_cndmask_b32_e64 v28, v29, v16, s12
	v_cndmask_b32_e64 v29, v27, v29, s12
	v_cmpx_lt_u32_e64 v4, v15
	s_cbranch_execz .LBB146_455
; %bb.452:
	s_mov_b32 s14, 0
	s_mov_b32 s11, exec_lo
	v_cmpx_lt_u32_e64 v5, v14
	s_cbranch_execz .LBB146_454
; %bb.453:
	v_mul_hi_i32 v30, 0x66666667, v28
	v_mul_hi_i32 v31, 0x66666667, v29
	v_lshrrev_b32_e32 v32, 31, v30
	v_ashrrev_i32_e32 v30, 2, v30
	v_lshrrev_b32_e32 v33, 31, v31
	v_ashrrev_i32_e32 v31, 2, v31
	v_add_nc_u32_e32 v30, v30, v32
	v_add_nc_u32_e32 v31, v31, v33
	v_cmp_ge_i32_e64 s6, v30, v31
	s_and_b32 s14, s6, exec_lo
.LBB146_454:
	s_or_b32 exec_lo, exec_lo, s11
	s_orn2_b32 s11, s14, exec_lo
.LBB146_455:
	s_or_b32 exec_lo, exec_lo, s13
	v_cndmask_b32_e64 v30, v4, v5, s11
	v_cndmask_b32_e64 v31, v15, v14, s11
	s_mov_b32 s13, -1
	s_mov_b32 s14, -1
	s_mov_b32 s19, exec_lo
	v_add_nc_u32_e32 v30, 1, v30
	v_add_nc_u32_e32 v31, -1, v31
	v_cndmask_b32_e64 v4, v30, v4, s11
	v_min_u32_e32 v31, v30, v31
	v_cndmask_b32_e64 v5, v5, v30, s11
	v_lshl_add_u32 v31, v31, 2, v10
	ds_read_b32 v31, v31
	s_waitcnt lgkmcnt(0)
	v_cndmask_b32_e64 v30, v31, v28, s11
	v_cndmask_b32_e64 v31, v29, v31, s11
	v_cmpx_lt_u32_e64 v4, v15
	s_cbranch_execz .LBB146_459
; %bb.456:
	s_mov_b32 s20, 0
	s_mov_b32 s14, exec_lo
	v_cmpx_lt_u32_e64 v5, v14
	s_cbranch_execz .LBB146_458
; %bb.457:
	v_mul_hi_i32 v32, 0x66666667, v30
	v_mul_hi_i32 v33, 0x66666667, v31
	v_lshrrev_b32_e32 v34, 31, v32
	v_ashrrev_i32_e32 v32, 2, v32
	v_lshrrev_b32_e32 v35, 31, v33
	v_ashrrev_i32_e32 v33, 2, v33
	v_add_nc_u32_e32 v32, v32, v34
	v_add_nc_u32_e32 v33, v33, v35
	v_cmp_ge_i32_e64 s6, v32, v33
	s_and_b32 s20, s6, exec_lo
.LBB146_458:
	s_or_b32 exec_lo, exec_lo, s14
	s_orn2_b32 s14, s20, exec_lo
.LBB146_459:
	s_or_b32 exec_lo, exec_lo, s19
	v_cndmask_b32_e64 v32, v4, v5, s14
	v_cndmask_b32_e64 v33, v15, v14, s14
	s_mov_b32 s19, exec_lo
	v_add_nc_u32_e32 v32, 1, v32
	v_add_nc_u32_e32 v33, -1, v33
	v_cndmask_b32_e64 v4, v32, v4, s14
	v_min_u32_e32 v33, v32, v33
	v_cndmask_b32_e64 v5, v5, v32, s14
	v_lshl_add_u32 v33, v33, 2, v10
	ds_read_b32 v33, v33
	s_waitcnt lgkmcnt(0)
	v_cndmask_b32_e64 v32, v33, v30, s14
	v_cndmask_b32_e64 v33, v31, v33, s14
	v_cmpx_lt_u32_e64 v4, v15
	s_cbranch_execz .LBB146_463
; %bb.460:
	s_mov_b32 s20, 0
	s_mov_b32 s13, exec_lo
	v_cmpx_lt_u32_e64 v5, v14
	s_cbranch_execz .LBB146_462
; %bb.461:
	v_mul_hi_i32 v34, 0x66666667, v32
	v_mul_hi_i32 v35, 0x66666667, v33
	v_lshrrev_b32_e32 v36, 31, v34
	v_ashrrev_i32_e32 v34, 2, v34
	v_lshrrev_b32_e32 v37, 31, v35
	v_ashrrev_i32_e32 v35, 2, v35
	v_add_nc_u32_e32 v34, v34, v36
	v_add_nc_u32_e32 v35, v35, v37
	v_cmp_ge_i32_e64 s6, v34, v35
	s_and_b32 s20, s6, exec_lo
.LBB146_462:
	s_or_b32 exec_lo, exec_lo, s13
	s_orn2_b32 s13, s20, exec_lo
.LBB146_463:
	s_or_b32 exec_lo, exec_lo, s19
	v_cndmask_b32_e64 v34, v4, v5, s13
	v_cndmask_b32_e64 v35, v15, v14, s13
	s_mov_b32 s19, exec_lo
	v_add_nc_u32_e32 v34, 1, v34
	v_add_nc_u32_e32 v35, -1, v35
	v_cndmask_b32_e64 v36, v34, v4, s13
	v_min_u32_e32 v35, v34, v35
	v_lshl_add_u32 v35, v35, 2, v10
	ds_read_b32 v35, v35
	s_waitcnt lgkmcnt(0)
	v_cndmask_b32_e64 v4, v33, v35, s13
	v_cmpx_lt_u32_e64 v36, v15
	s_cbranch_execz .LBB146_467
; %bb.464:
	v_cndmask_b32_e64 v15, v5, v34, s13
	v_cndmask_b32_e64 v5, v35, v32, s13
	s_mov_b32 s20, exec_lo
	v_cmpx_lt_u32_e64 v15, v14
	s_cbranch_execz .LBB146_466
; %bb.465:
	v_mul_hi_i32 v14, 0x66666667, v5
	v_mul_hi_i32 v15, 0x66666667, v4
	v_lshrrev_b32_e32 v34, 31, v14
	v_ashrrev_i32_e32 v14, 2, v14
	v_lshrrev_b32_e32 v35, 31, v15
	v_ashrrev_i32_e32 v15, 2, v15
	v_add_nc_u32_e32 v14, v14, v34
	v_add_nc_u32_e32 v15, v15, v35
	v_cmp_lt_i32_e64 s6, v14, v15
	v_cndmask_b32_e64 v5, v4, v5, s6
.LBB146_466:
	s_or_b32 exec_lo, exec_lo, s20
	v_mov_b32_e32 v4, v5
.LBB146_467:
	s_or_b32 exec_lo, exec_lo, s19
	v_cndmask_b32_e64 v5, v2, v1, s9
	v_cndmask_b32_e64 v6, v3, v6, s10
	;; [unrolled: 1-line block ×7, first 2 shown]
.LBB146_468:
	s_or_b32 exec_lo, exec_lo, s8
	v_and_b32_e32 v16, 0x80, v11
	v_and_b32_e32 v27, 0x78, v11
	s_mov_b32 s7, exec_lo
	; wave barrier
	v_or_b32_e32 v14, 64, v16
	v_min_u32_e32 v27, v12, v27
	ds_write_b128 v13, v[5:8]
	ds_write_b128 v13, v[1:4] offset:16
	; wave barrier
	v_min_u32_e32 v14, v12, v14
	v_add_nc_u32_e32 v15, 64, v14
	v_min_u32_e32 v11, v12, v15
	v_sub_nc_u32_e32 v15, v14, v16
	v_sub_nc_u32_e32 v12, v11, v14
	v_min_u32_e32 v28, v27, v15
	v_lshl_add_u32 v15, v16, 2, v10
	v_sub_nc_u32_e64 v12, v27, v12 clamp
	v_cmpx_lt_u32_e64 v12, v28
	s_cbranch_execz .LBB146_472
; %bb.469:
	v_lshlrev_b32_e32 v13, 2, v14
	v_lshlrev_b32_e32 v29, 2, v27
	s_mov_b32 s8, 0
	v_add3_u32 v13, v10, v13, v29
	s_inst_prefetch 0x1
	.p2align	6
.LBB146_470:                            ; =>This Inner Loop Header: Depth=1
	v_add_nc_u32_e32 v29, v28, v12
	v_lshrrev_b32_e32 v29, 1, v29
	v_not_b32_e32 v30, v29
	v_lshl_add_u32 v31, v29, 2, v15
	v_lshl_add_u32 v30, v30, 2, v13
	ds_read_b32 v31, v31
	ds_read_b32 v30, v30
	s_waitcnt lgkmcnt(1)
	v_mul_hi_i32 v31, 0x66666667, v31
	s_waitcnt lgkmcnt(0)
	v_mul_hi_i32 v30, 0x66666667, v30
	v_lshrrev_b32_e32 v32, 31, v31
	v_ashrrev_i32_e32 v31, 2, v31
	v_lshrrev_b32_e32 v33, 31, v30
	v_ashrrev_i32_e32 v30, 2, v30
	v_add_nc_u32_e32 v31, v31, v32
	v_add_nc_u32_e32 v32, 1, v29
	;; [unrolled: 1-line block ×3, first 2 shown]
	v_cmp_lt_i32_e64 s6, v30, v31
	v_cndmask_b32_e64 v28, v28, v29, s6
	v_cndmask_b32_e64 v12, v32, v12, s6
	v_cmp_ge_u32_e64 s6, v12, v28
	s_or_b32 s8, s6, s8
	s_andn2_b32 exec_lo, exec_lo, s8
	s_cbranch_execnz .LBB146_470
; %bb.471:
	s_inst_prefetch 0x2
	s_or_b32 exec_lo, exec_lo, s8
.LBB146_472:
	s_or_b32 exec_lo, exec_lo, s7
	v_add_nc_u32_e32 v27, v14, v27
	v_add_nc_u32_e32 v13, v12, v16
	v_sub_nc_u32_e32 v16, v27, v12
	v_cmp_le_u32_e64 s6, v13, v14
	v_cmp_le_u32_e64 s7, v16, v11
	s_or_b32 s6, s6, s7
	s_and_saveexec_b32 s8, s6
	s_cbranch_execz .LBB146_508
; %bb.473:
	v_cmp_ge_u32_e64 s6, v13, v14
	s_mov_b32 s9, exec_lo
                                        ; implicit-def: $vgpr1
	v_cmpx_lt_u32_e64 v13, v14
; %bb.474:
	v_lshl_add_u32 v1, v12, 2, v15
	ds_read_b32 v1, v1
; %bb.475:
	s_or_b32 exec_lo, exec_lo, s9
	v_cmp_ge_u32_e64 s9, v16, v11
	s_mov_b32 s10, exec_lo
                                        ; implicit-def: $vgpr2
	v_cmpx_lt_u32_e64 v16, v11
; %bb.476:
	v_lshl_add_u32 v2, v16, 2, v10
	ds_read_b32 v2, v2
; %bb.477:
	s_or_b32 exec_lo, exec_lo, s10
	s_nor_b32 s6, s6, s9
	s_and_saveexec_b32 s7, s6
	s_cbranch_execz .LBB146_479
; %bb.478:
	s_waitcnt lgkmcnt(0)
	v_mul_hi_i32 v3, 0x66666667, v2
	v_mul_hi_i32 v4, 0x66666667, v1
	s_andn2_b32 s9, s9, exec_lo
	v_lshrrev_b32_e32 v5, 31, v3
	v_ashrrev_i32_e32 v3, 2, v3
	v_lshrrev_b32_e32 v6, 31, v4
	v_ashrrev_i32_e32 v4, 2, v4
	v_add_nc_u32_e32 v3, v3, v5
	v_add_nc_u32_e32 v4, v4, v6
	v_cmp_ge_i32_e64 s6, v3, v4
	s_and_b32 s6, s6, exec_lo
	s_or_b32 s9, s9, s6
.LBB146_479:
	s_or_b32 exec_lo, exec_lo, s7
	v_cndmask_b32_e64 v3, v16, v13, s9
	v_cndmask_b32_e64 v4, v11, v14, s9
	s_mov_b32 s7, -1
	s_mov_b32 s10, -1
	s_mov_b32 s11, exec_lo
	v_add_nc_u32_e32 v3, 1, v3
	v_add_nc_u32_e32 v4, -1, v4
	v_cndmask_b32_e64 v5, v13, v3, s9
	v_min_u32_e32 v4, v3, v4
	v_lshl_add_u32 v4, v4, 2, v10
	ds_read_b32 v6, v4
	v_cndmask_b32_e64 v4, v3, v16, s9
	s_waitcnt lgkmcnt(0)
	v_cndmask_b32_e64 v3, v6, v2, s9
	v_cndmask_b32_e64 v6, v1, v6, s9
	v_cmpx_lt_u32_e64 v4, v11
	s_cbranch_execz .LBB146_483
; %bb.480:
	s_mov_b32 s12, 0
	s_mov_b32 s10, exec_lo
	v_cmpx_lt_u32_e64 v5, v14
	s_cbranch_execz .LBB146_482
; %bb.481:
	v_mul_hi_i32 v7, 0x66666667, v3
	v_mul_hi_i32 v8, 0x66666667, v6
	v_lshrrev_b32_e32 v12, 31, v7
	v_ashrrev_i32_e32 v7, 2, v7
	v_lshrrev_b32_e32 v13, 31, v8
	v_ashrrev_i32_e32 v8, 2, v8
	v_add_nc_u32_e32 v7, v7, v12
	v_add_nc_u32_e32 v8, v8, v13
	v_cmp_ge_i32_e64 s6, v7, v8
	s_and_b32 s12, s6, exec_lo
.LBB146_482:
	s_or_b32 exec_lo, exec_lo, s10
	s_orn2_b32 s10, s12, exec_lo
.LBB146_483:
	s_or_b32 exec_lo, exec_lo, s11
	v_cndmask_b32_e64 v7, v4, v5, s10
	v_cndmask_b32_e64 v8, v11, v14, s10
	s_mov_b32 s11, exec_lo
	v_add_nc_u32_e32 v7, 1, v7
	v_add_nc_u32_e32 v8, -1, v8
	v_cndmask_b32_e64 v4, v7, v4, s10
	v_min_u32_e32 v8, v7, v8
	v_cndmask_b32_e64 v5, v5, v7, s10
	v_lshl_add_u32 v8, v8, 2, v10
	ds_read_b32 v8, v8
	s_waitcnt lgkmcnt(0)
	v_cndmask_b32_e64 v7, v8, v3, s10
	v_cndmask_b32_e64 v8, v6, v8, s10
	v_cmpx_lt_u32_e64 v4, v11
	s_cbranch_execz .LBB146_487
; %bb.484:
	s_mov_b32 s12, 0
	s_mov_b32 s7, exec_lo
	v_cmpx_lt_u32_e64 v5, v14
	s_cbranch_execz .LBB146_486
; %bb.485:
	v_mul_hi_i32 v12, 0x66666667, v7
	v_mul_hi_i32 v13, 0x66666667, v8
	v_lshrrev_b32_e32 v15, 31, v12
	v_ashrrev_i32_e32 v12, 2, v12
	v_lshrrev_b32_e32 v16, 31, v13
	v_ashrrev_i32_e32 v13, 2, v13
	v_add_nc_u32_e32 v12, v12, v15
	v_add_nc_u32_e32 v13, v13, v16
	v_cmp_ge_i32_e64 s6, v12, v13
	s_and_b32 s12, s6, exec_lo
.LBB146_486:
	s_or_b32 exec_lo, exec_lo, s7
	s_orn2_b32 s7, s12, exec_lo
.LBB146_487:
	s_or_b32 exec_lo, exec_lo, s11
	v_cndmask_b32_e64 v12, v4, v5, s7
	v_cndmask_b32_e64 v13, v11, v14, s7
	s_mov_b32 s11, -1
	s_mov_b32 s12, -1
	s_mov_b32 s13, exec_lo
	v_add_nc_u32_e32 v12, 1, v12
	v_add_nc_u32_e32 v13, -1, v13
	v_cndmask_b32_e64 v4, v12, v4, s7
	v_min_u32_e32 v13, v12, v13
	v_cndmask_b32_e64 v5, v5, v12, s7
	v_lshl_add_u32 v13, v13, 2, v10
	ds_read_b32 v13, v13
	s_waitcnt lgkmcnt(0)
	v_cndmask_b32_e64 v12, v13, v7, s7
	v_cndmask_b32_e64 v13, v8, v13, s7
	v_cmpx_lt_u32_e64 v4, v11
	s_cbranch_execz .LBB146_491
; %bb.488:
	s_mov_b32 s14, 0
	s_mov_b32 s12, exec_lo
	v_cmpx_lt_u32_e64 v5, v14
	s_cbranch_execz .LBB146_490
; %bb.489:
	v_mul_hi_i32 v15, 0x66666667, v12
	v_mul_hi_i32 v16, 0x66666667, v13
	v_lshrrev_b32_e32 v27, 31, v15
	v_ashrrev_i32_e32 v15, 2, v15
	v_lshrrev_b32_e32 v28, 31, v16
	v_ashrrev_i32_e32 v16, 2, v16
	v_add_nc_u32_e32 v15, v15, v27
	v_add_nc_u32_e32 v16, v16, v28
	v_cmp_ge_i32_e64 s6, v15, v16
	s_and_b32 s14, s6, exec_lo
.LBB146_490:
	s_or_b32 exec_lo, exec_lo, s12
	s_orn2_b32 s12, s14, exec_lo
.LBB146_491:
	s_or_b32 exec_lo, exec_lo, s13
	v_cndmask_b32_e64 v15, v4, v5, s12
	v_cndmask_b32_e64 v16, v11, v14, s12
	s_mov_b32 s13, exec_lo
	v_add_nc_u32_e32 v15, 1, v15
	v_add_nc_u32_e32 v16, -1, v16
	v_cndmask_b32_e64 v4, v15, v4, s12
	v_min_u32_e32 v16, v15, v16
	v_cndmask_b32_e64 v5, v5, v15, s12
	v_lshl_add_u32 v16, v16, 2, v10
	ds_read_b32 v16, v16
	s_waitcnt lgkmcnt(0)
	v_cndmask_b32_e64 v15, v16, v12, s12
	v_cndmask_b32_e64 v16, v13, v16, s12
	v_cmpx_lt_u32_e64 v4, v11
	s_cbranch_execz .LBB146_495
; %bb.492:
	s_mov_b32 s14, 0
	s_mov_b32 s11, exec_lo
	v_cmpx_lt_u32_e64 v5, v14
	s_cbranch_execz .LBB146_494
; %bb.493:
	v_mul_hi_i32 v27, 0x66666667, v15
	v_mul_hi_i32 v28, 0x66666667, v16
	v_lshrrev_b32_e32 v29, 31, v27
	v_ashrrev_i32_e32 v27, 2, v27
	v_lshrrev_b32_e32 v30, 31, v28
	v_ashrrev_i32_e32 v28, 2, v28
	v_add_nc_u32_e32 v27, v27, v29
	v_add_nc_u32_e32 v28, v28, v30
	v_cmp_ge_i32_e64 s6, v27, v28
	s_and_b32 s14, s6, exec_lo
.LBB146_494:
	s_or_b32 exec_lo, exec_lo, s11
	s_orn2_b32 s11, s14, exec_lo
.LBB146_495:
	s_or_b32 exec_lo, exec_lo, s13
	v_cndmask_b32_e64 v27, v4, v5, s11
	v_cndmask_b32_e64 v28, v11, v14, s11
	s_mov_b32 s13, -1
	s_mov_b32 s14, -1
	s_mov_b32 s19, exec_lo
	v_add_nc_u32_e32 v27, 1, v27
	v_add_nc_u32_e32 v28, -1, v28
	v_cndmask_b32_e64 v4, v27, v4, s11
	v_min_u32_e32 v28, v27, v28
	v_cndmask_b32_e64 v5, v5, v27, s11
	v_lshl_add_u32 v28, v28, 2, v10
	ds_read_b32 v28, v28
	s_waitcnt lgkmcnt(0)
	v_cndmask_b32_e64 v27, v28, v15, s11
	v_cndmask_b32_e64 v28, v16, v28, s11
	v_cmpx_lt_u32_e64 v4, v11
	s_cbranch_execz .LBB146_499
; %bb.496:
	s_mov_b32 s20, 0
	s_mov_b32 s14, exec_lo
	v_cmpx_lt_u32_e64 v5, v14
	s_cbranch_execz .LBB146_498
; %bb.497:
	v_mul_hi_i32 v29, 0x66666667, v27
	v_mul_hi_i32 v30, 0x66666667, v28
	v_lshrrev_b32_e32 v31, 31, v29
	v_ashrrev_i32_e32 v29, 2, v29
	v_lshrrev_b32_e32 v32, 31, v30
	v_ashrrev_i32_e32 v30, 2, v30
	v_add_nc_u32_e32 v29, v29, v31
	v_add_nc_u32_e32 v30, v30, v32
	v_cmp_ge_i32_e64 s6, v29, v30
	s_and_b32 s20, s6, exec_lo
.LBB146_498:
	s_or_b32 exec_lo, exec_lo, s14
	s_orn2_b32 s14, s20, exec_lo
.LBB146_499:
	s_or_b32 exec_lo, exec_lo, s19
	v_cndmask_b32_e64 v29, v4, v5, s14
	v_cndmask_b32_e64 v30, v11, v14, s14
	s_mov_b32 s19, exec_lo
	v_add_nc_u32_e32 v29, 1, v29
	v_add_nc_u32_e32 v30, -1, v30
	v_cndmask_b32_e64 v4, v29, v4, s14
	v_min_u32_e32 v30, v29, v30
	v_cndmask_b32_e64 v5, v5, v29, s14
	v_lshl_add_u32 v30, v30, 2, v10
	ds_read_b32 v30, v30
	s_waitcnt lgkmcnt(0)
	v_cndmask_b32_e64 v29, v30, v27, s14
	v_cndmask_b32_e64 v30, v28, v30, s14
	v_cmpx_lt_u32_e64 v4, v11
	s_cbranch_execz .LBB146_503
; %bb.500:
	s_mov_b32 s20, 0
	s_mov_b32 s13, exec_lo
	v_cmpx_lt_u32_e64 v5, v14
	s_cbranch_execz .LBB146_502
; %bb.501:
	v_mul_hi_i32 v31, 0x66666667, v29
	v_mul_hi_i32 v32, 0x66666667, v30
	v_lshrrev_b32_e32 v33, 31, v31
	v_ashrrev_i32_e32 v31, 2, v31
	v_lshrrev_b32_e32 v34, 31, v32
	v_ashrrev_i32_e32 v32, 2, v32
	v_add_nc_u32_e32 v31, v31, v33
	v_add_nc_u32_e32 v32, v32, v34
	v_cmp_ge_i32_e64 s6, v31, v32
	s_and_b32 s20, s6, exec_lo
.LBB146_502:
	s_or_b32 exec_lo, exec_lo, s13
	s_orn2_b32 s13, s20, exec_lo
.LBB146_503:
	s_or_b32 exec_lo, exec_lo, s19
	v_cndmask_b32_e64 v31, v4, v5, s13
	v_cndmask_b32_e64 v32, v11, v14, s13
	s_mov_b32 s19, exec_lo
	v_add_nc_u32_e32 v31, 1, v31
	v_add_nc_u32_e32 v32, -1, v32
	v_min_u32_e32 v32, v31, v32
	v_lshl_add_u32 v10, v32, 2, v10
	v_cndmask_b32_e64 v32, v31, v4, s13
	ds_read_b32 v10, v10
	s_waitcnt lgkmcnt(0)
	v_cndmask_b32_e64 v4, v30, v10, s13
	v_cmpx_lt_u32_e64 v32, v11
	s_cbranch_execz .LBB146_507
; %bb.504:
	v_cndmask_b32_e64 v11, v5, v31, s13
	v_cndmask_b32_e64 v5, v10, v29, s13
	s_mov_b32 s20, exec_lo
	v_cmpx_lt_u32_e64 v11, v14
	s_cbranch_execz .LBB146_506
; %bb.505:
	v_mul_hi_i32 v10, 0x66666667, v5
	v_mul_hi_i32 v11, 0x66666667, v4
	v_lshrrev_b32_e32 v14, 31, v10
	v_ashrrev_i32_e32 v10, 2, v10
	v_lshrrev_b32_e32 v31, 31, v11
	v_ashrrev_i32_e32 v11, 2, v11
	v_add_nc_u32_e32 v10, v10, v14
	v_add_nc_u32_e32 v11, v11, v31
	v_cmp_lt_i32_e64 s6, v10, v11
	v_cndmask_b32_e64 v5, v4, v5, s6
.LBB146_506:
	s_or_b32 exec_lo, exec_lo, s20
	v_mov_b32_e32 v4, v5
.LBB146_507:
	s_or_b32 exec_lo, exec_lo, s19
	v_cndmask_b32_e64 v5, v2, v1, s9
	v_cndmask_b32_e64 v6, v3, v6, s10
	;; [unrolled: 1-line block ×7, first 2 shown]
.LBB146_508:
	s_or_b32 exec_lo, exec_lo, s8
	s_cmpk_lt_u32 s17, 0x81
	; wave barrier
	s_waitcnt lgkmcnt(0)
	s_barrier
	buffer_gl0_inv
	s_cbranch_scc1 .LBB146_551
; %bb.509:
	v_lshlrev_b32_e32 v10, 2, v9
	s_movk_i32 s8, 0x80
	s_branch .LBB146_513
.LBB146_510:                            ;   in Loop: Header=BB146_513 Depth=1
	s_or_b32 exec_lo, exec_lo, s21
	v_mov_b32_e32 v4, v5
.LBB146_511:                            ;   in Loop: Header=BB146_513 Depth=1
	s_or_b32 exec_lo, exec_lo, s20
	v_cndmask_b32_e64 v5, v2, v1, s10
	v_cndmask_b32_e64 v6, v3, v6, s11
	;; [unrolled: 1-line block ×7, first 2 shown]
.LBB146_512:                            ;   in Loop: Header=BB146_513 Depth=1
	s_or_b32 exec_lo, exec_lo, s9
	s_cmp_lt_u32 s8, s17
	s_barrier
	buffer_gl0_inv
	s_cbranch_scc0 .LBB146_551
.LBB146_513:                            ; =>This Loop Header: Depth=1
                                        ;     Child Loop BB146_515 Depth 2
	s_mov_b32 s6, s8
	s_lshl_b32 s8, s8, 1
	ds_write_b128 v10, v[5:8]
	s_sub_i32 s7, 0, s8
	ds_write_b128 v10, v[1:4] offset:16
	v_and_b32_e32 v15, s7, v9
	s_mov_b32 s7, exec_lo
	s_waitcnt lgkmcnt(0)
	s_barrier
	buffer_gl0_inv
	v_add_nc_u32_e32 v11, s6, v15
	v_min_u32_e32 v11, s17, v11
	v_add_nc_u32_e32 v12, s6, v11
	s_add_i32 s6, s8, -1
	v_sub_nc_u32_e32 v14, v11, v15
	v_and_b32_e32 v13, s6, v9
	v_min_u32_e32 v12, s17, v12
	v_min_u32_e32 v16, s17, v13
	v_sub_nc_u32_e32 v13, v12, v11
	v_min_u32_e32 v27, v16, v14
	v_lshlrev_b32_e32 v14, 2, v15
	v_sub_nc_u32_e64 v13, v16, v13 clamp
	v_cmpx_lt_u32_e64 v13, v27
	s_cbranch_execz .LBB146_517
; %bb.514:                              ;   in Loop: Header=BB146_513 Depth=1
	v_lshlrev_b32_e32 v28, 2, v16
	s_mov_b32 s9, 0
	v_lshl_add_u32 v28, v11, 2, v28
	s_inst_prefetch 0x1
	.p2align	6
.LBB146_515:                            ;   Parent Loop BB146_513 Depth=1
                                        ; =>  This Inner Loop Header: Depth=2
	v_add_nc_u32_e32 v29, v27, v13
	v_lshrrev_b32_e32 v29, 1, v29
	v_not_b32_e32 v30, v29
	v_lshl_add_u32 v31, v29, 2, v14
	v_lshl_add_u32 v30, v30, 2, v28
	ds_read_b32 v31, v31
	ds_read_b32 v30, v30
	s_waitcnt lgkmcnt(1)
	v_mul_hi_i32 v31, 0x66666667, v31
	s_waitcnt lgkmcnt(0)
	v_mul_hi_i32 v30, 0x66666667, v30
	v_lshrrev_b32_e32 v32, 31, v31
	v_ashrrev_i32_e32 v31, 2, v31
	v_lshrrev_b32_e32 v33, 31, v30
	v_ashrrev_i32_e32 v30, 2, v30
	v_add_nc_u32_e32 v31, v31, v32
	v_add_nc_u32_e32 v32, 1, v29
	;; [unrolled: 1-line block ×3, first 2 shown]
	v_cmp_lt_i32_e64 s6, v30, v31
	v_cndmask_b32_e64 v27, v27, v29, s6
	v_cndmask_b32_e64 v13, v32, v13, s6
	v_cmp_ge_u32_e64 s6, v13, v27
	s_or_b32 s9, s6, s9
	s_andn2_b32 exec_lo, exec_lo, s9
	s_cbranch_execnz .LBB146_515
; %bb.516:                              ;   in Loop: Header=BB146_513 Depth=1
	s_inst_prefetch 0x2
	s_or_b32 exec_lo, exec_lo, s9
.LBB146_517:                            ;   in Loop: Header=BB146_513 Depth=1
	s_or_b32 exec_lo, exec_lo, s7
	v_sub_nc_u32_e32 v16, v16, v13
	v_add_nc_u32_e32 v15, v13, v15
	v_add_nc_u32_e32 v16, v16, v11
	v_cmp_le_u32_e64 s6, v15, v11
	v_cmp_le_u32_e64 s7, v16, v12
	s_or_b32 s6, s6, s7
	s_and_saveexec_b32 s9, s6
	s_cbranch_execz .LBB146_512
; %bb.518:                              ;   in Loop: Header=BB146_513 Depth=1
	v_cmp_ge_u32_e64 s6, v15, v11
	s_mov_b32 s10, exec_lo
                                        ; implicit-def: $vgpr1
	v_cmpx_lt_u32_e64 v15, v11
; %bb.519:                              ;   in Loop: Header=BB146_513 Depth=1
	v_lshl_add_u32 v1, v13, 2, v14
	ds_read_b32 v1, v1
; %bb.520:                              ;   in Loop: Header=BB146_513 Depth=1
	s_or_b32 exec_lo, exec_lo, s10
	v_cmp_ge_u32_e64 s10, v16, v12
	s_mov_b32 s11, exec_lo
                                        ; implicit-def: $vgpr2
	v_cmpx_lt_u32_e64 v16, v12
; %bb.521:                              ;   in Loop: Header=BB146_513 Depth=1
	v_lshlrev_b32_e32 v2, 2, v16
	ds_read_b32 v2, v2
; %bb.522:                              ;   in Loop: Header=BB146_513 Depth=1
	s_or_b32 exec_lo, exec_lo, s11
	s_nor_b32 s6, s6, s10
	s_and_saveexec_b32 s7, s6
	s_cbranch_execz .LBB146_524
; %bb.523:                              ;   in Loop: Header=BB146_513 Depth=1
	s_waitcnt lgkmcnt(0)
	v_mul_hi_i32 v3, 0x66666667, v2
	v_mul_hi_i32 v4, 0x66666667, v1
	s_andn2_b32 s10, s10, exec_lo
	v_lshrrev_b32_e32 v5, 31, v3
	v_ashrrev_i32_e32 v3, 2, v3
	v_lshrrev_b32_e32 v6, 31, v4
	v_ashrrev_i32_e32 v4, 2, v4
	v_add_nc_u32_e32 v3, v3, v5
	v_add_nc_u32_e32 v4, v4, v6
	v_cmp_ge_i32_e64 s6, v3, v4
	s_and_b32 s6, s6, exec_lo
	s_or_b32 s10, s10, s6
.LBB146_524:                            ;   in Loop: Header=BB146_513 Depth=1
	s_or_b32 exec_lo, exec_lo, s7
	v_cndmask_b32_e64 v3, v16, v15, s10
	v_cndmask_b32_e64 v4, v12, v11, s10
	s_mov_b32 s7, -1
	s_mov_b32 s11, -1
	s_mov_b32 s12, exec_lo
	v_add_nc_u32_e32 v3, 1, v3
	v_add_nc_u32_e32 v4, -1, v4
	v_cndmask_b32_e64 v5, v15, v3, s10
	v_min_u32_e32 v4, v3, v4
	v_lshlrev_b32_e32 v4, 2, v4
	ds_read_b32 v6, v4
	v_cndmask_b32_e64 v4, v3, v16, s10
	s_waitcnt lgkmcnt(0)
	v_cndmask_b32_e64 v3, v6, v2, s10
	v_cndmask_b32_e64 v6, v1, v6, s10
	v_cmpx_lt_u32_e64 v4, v12
	s_cbranch_execz .LBB146_528
; %bb.525:                              ;   in Loop: Header=BB146_513 Depth=1
	s_mov_b32 s13, 0
	s_mov_b32 s11, exec_lo
	v_cmpx_lt_u32_e64 v5, v11
	s_cbranch_execz .LBB146_527
; %bb.526:                              ;   in Loop: Header=BB146_513 Depth=1
	v_mul_hi_i32 v7, 0x66666667, v3
	v_mul_hi_i32 v8, 0x66666667, v6
	v_lshrrev_b32_e32 v13, 31, v7
	v_ashrrev_i32_e32 v7, 2, v7
	v_lshrrev_b32_e32 v14, 31, v8
	v_ashrrev_i32_e32 v8, 2, v8
	v_add_nc_u32_e32 v7, v7, v13
	v_add_nc_u32_e32 v8, v8, v14
	v_cmp_ge_i32_e64 s6, v7, v8
	s_and_b32 s13, s6, exec_lo
.LBB146_527:                            ;   in Loop: Header=BB146_513 Depth=1
	s_or_b32 exec_lo, exec_lo, s11
	s_orn2_b32 s11, s13, exec_lo
.LBB146_528:                            ;   in Loop: Header=BB146_513 Depth=1
	s_or_b32 exec_lo, exec_lo, s12
	v_cndmask_b32_e64 v7, v4, v5, s11
	v_cndmask_b32_e64 v8, v12, v11, s11
	s_mov_b32 s12, exec_lo
	v_add_nc_u32_e32 v7, 1, v7
	v_add_nc_u32_e32 v8, -1, v8
	v_cndmask_b32_e64 v4, v7, v4, s11
	v_min_u32_e32 v8, v7, v8
	v_cndmask_b32_e64 v5, v5, v7, s11
	v_lshlrev_b32_e32 v8, 2, v8
	ds_read_b32 v8, v8
	s_waitcnt lgkmcnt(0)
	v_cndmask_b32_e64 v7, v8, v3, s11
	v_cndmask_b32_e64 v8, v6, v8, s11
	v_cmpx_lt_u32_e64 v4, v12
	s_cbranch_execz .LBB146_532
; %bb.529:                              ;   in Loop: Header=BB146_513 Depth=1
	s_mov_b32 s13, 0
	s_mov_b32 s7, exec_lo
	v_cmpx_lt_u32_e64 v5, v11
	s_cbranch_execz .LBB146_531
; %bb.530:                              ;   in Loop: Header=BB146_513 Depth=1
	v_mul_hi_i32 v13, 0x66666667, v7
	v_mul_hi_i32 v14, 0x66666667, v8
	v_lshrrev_b32_e32 v15, 31, v13
	v_ashrrev_i32_e32 v13, 2, v13
	v_lshrrev_b32_e32 v16, 31, v14
	v_ashrrev_i32_e32 v14, 2, v14
	v_add_nc_u32_e32 v13, v13, v15
	v_add_nc_u32_e32 v14, v14, v16
	v_cmp_ge_i32_e64 s6, v13, v14
	s_and_b32 s13, s6, exec_lo
.LBB146_531:                            ;   in Loop: Header=BB146_513 Depth=1
	s_or_b32 exec_lo, exec_lo, s7
	s_orn2_b32 s7, s13, exec_lo
.LBB146_532:                            ;   in Loop: Header=BB146_513 Depth=1
	s_or_b32 exec_lo, exec_lo, s12
	v_cndmask_b32_e64 v13, v4, v5, s7
	v_cndmask_b32_e64 v14, v12, v11, s7
	s_mov_b32 s12, -1
	s_mov_b32 s13, -1
	s_mov_b32 s14, exec_lo
	v_add_nc_u32_e32 v13, 1, v13
	v_add_nc_u32_e32 v14, -1, v14
	v_cndmask_b32_e64 v4, v13, v4, s7
	v_min_u32_e32 v14, v13, v14
	v_cndmask_b32_e64 v5, v5, v13, s7
	v_lshlrev_b32_e32 v14, 2, v14
	ds_read_b32 v14, v14
	s_waitcnt lgkmcnt(0)
	v_cndmask_b32_e64 v13, v14, v7, s7
	v_cndmask_b32_e64 v14, v8, v14, s7
	v_cmpx_lt_u32_e64 v4, v12
	s_cbranch_execz .LBB146_536
; %bb.533:                              ;   in Loop: Header=BB146_513 Depth=1
	s_mov_b32 s19, 0
	s_mov_b32 s13, exec_lo
	v_cmpx_lt_u32_e64 v5, v11
	s_cbranch_execz .LBB146_535
; %bb.534:                              ;   in Loop: Header=BB146_513 Depth=1
	v_mul_hi_i32 v15, 0x66666667, v13
	v_mul_hi_i32 v16, 0x66666667, v14
	v_lshrrev_b32_e32 v27, 31, v15
	v_ashrrev_i32_e32 v15, 2, v15
	v_lshrrev_b32_e32 v28, 31, v16
	v_ashrrev_i32_e32 v16, 2, v16
	v_add_nc_u32_e32 v15, v15, v27
	v_add_nc_u32_e32 v16, v16, v28
	v_cmp_ge_i32_e64 s6, v15, v16
	s_and_b32 s19, s6, exec_lo
.LBB146_535:                            ;   in Loop: Header=BB146_513 Depth=1
	s_or_b32 exec_lo, exec_lo, s13
	s_orn2_b32 s13, s19, exec_lo
.LBB146_536:                            ;   in Loop: Header=BB146_513 Depth=1
	s_or_b32 exec_lo, exec_lo, s14
	v_cndmask_b32_e64 v15, v4, v5, s13
	v_cndmask_b32_e64 v16, v12, v11, s13
	s_mov_b32 s14, exec_lo
	v_add_nc_u32_e32 v15, 1, v15
	v_add_nc_u32_e32 v16, -1, v16
	v_cndmask_b32_e64 v4, v15, v4, s13
	v_min_u32_e32 v16, v15, v16
	v_cndmask_b32_e64 v5, v5, v15, s13
	v_lshlrev_b32_e32 v16, 2, v16
	ds_read_b32 v16, v16
	s_waitcnt lgkmcnt(0)
	v_cndmask_b32_e64 v15, v16, v13, s13
	v_cndmask_b32_e64 v16, v14, v16, s13
	v_cmpx_lt_u32_e64 v4, v12
	s_cbranch_execz .LBB146_540
; %bb.537:                              ;   in Loop: Header=BB146_513 Depth=1
	s_mov_b32 s19, 0
	s_mov_b32 s12, exec_lo
	v_cmpx_lt_u32_e64 v5, v11
	s_cbranch_execz .LBB146_539
; %bb.538:                              ;   in Loop: Header=BB146_513 Depth=1
	v_mul_hi_i32 v27, 0x66666667, v15
	v_mul_hi_i32 v28, 0x66666667, v16
	v_lshrrev_b32_e32 v29, 31, v27
	v_ashrrev_i32_e32 v27, 2, v27
	v_lshrrev_b32_e32 v30, 31, v28
	v_ashrrev_i32_e32 v28, 2, v28
	v_add_nc_u32_e32 v27, v27, v29
	v_add_nc_u32_e32 v28, v28, v30
	v_cmp_ge_i32_e64 s6, v27, v28
	s_and_b32 s19, s6, exec_lo
.LBB146_539:                            ;   in Loop: Header=BB146_513 Depth=1
	s_or_b32 exec_lo, exec_lo, s12
	s_orn2_b32 s12, s19, exec_lo
.LBB146_540:                            ;   in Loop: Header=BB146_513 Depth=1
	s_or_b32 exec_lo, exec_lo, s14
	v_cndmask_b32_e64 v27, v4, v5, s12
	v_cndmask_b32_e64 v28, v12, v11, s12
	s_mov_b32 s14, -1
	s_mov_b32 s19, -1
	s_mov_b32 s20, exec_lo
	v_add_nc_u32_e32 v27, 1, v27
	v_add_nc_u32_e32 v28, -1, v28
	v_cndmask_b32_e64 v4, v27, v4, s12
	v_min_u32_e32 v28, v27, v28
	v_cndmask_b32_e64 v5, v5, v27, s12
	v_lshlrev_b32_e32 v28, 2, v28
	ds_read_b32 v28, v28
	s_waitcnt lgkmcnt(0)
	v_cndmask_b32_e64 v27, v28, v15, s12
	v_cndmask_b32_e64 v28, v16, v28, s12
	v_cmpx_lt_u32_e64 v4, v12
	s_cbranch_execz .LBB146_544
; %bb.541:                              ;   in Loop: Header=BB146_513 Depth=1
	s_mov_b32 s21, 0
	s_mov_b32 s19, exec_lo
	v_cmpx_lt_u32_e64 v5, v11
	s_cbranch_execz .LBB146_543
; %bb.542:                              ;   in Loop: Header=BB146_513 Depth=1
	v_mul_hi_i32 v29, 0x66666667, v27
	v_mul_hi_i32 v30, 0x66666667, v28
	v_lshrrev_b32_e32 v31, 31, v29
	v_ashrrev_i32_e32 v29, 2, v29
	v_lshrrev_b32_e32 v32, 31, v30
	v_ashrrev_i32_e32 v30, 2, v30
	v_add_nc_u32_e32 v29, v29, v31
	v_add_nc_u32_e32 v30, v30, v32
	v_cmp_ge_i32_e64 s6, v29, v30
	s_and_b32 s21, s6, exec_lo
.LBB146_543:                            ;   in Loop: Header=BB146_513 Depth=1
	s_or_b32 exec_lo, exec_lo, s19
	s_orn2_b32 s19, s21, exec_lo
.LBB146_544:                            ;   in Loop: Header=BB146_513 Depth=1
	s_or_b32 exec_lo, exec_lo, s20
	v_cndmask_b32_e64 v29, v4, v5, s19
	v_cndmask_b32_e64 v30, v12, v11, s19
	s_mov_b32 s20, exec_lo
	v_add_nc_u32_e32 v29, 1, v29
	v_add_nc_u32_e32 v30, -1, v30
	v_cndmask_b32_e64 v4, v29, v4, s19
	v_min_u32_e32 v30, v29, v30
	v_cndmask_b32_e64 v5, v5, v29, s19
	v_lshlrev_b32_e32 v30, 2, v30
	ds_read_b32 v30, v30
	s_waitcnt lgkmcnt(0)
	v_cndmask_b32_e64 v29, v30, v27, s19
	v_cndmask_b32_e64 v30, v28, v30, s19
	v_cmpx_lt_u32_e64 v4, v12
	s_cbranch_execz .LBB146_548
; %bb.545:                              ;   in Loop: Header=BB146_513 Depth=1
	s_mov_b32 s21, 0
	s_mov_b32 s14, exec_lo
	v_cmpx_lt_u32_e64 v5, v11
	s_cbranch_execz .LBB146_547
; %bb.546:                              ;   in Loop: Header=BB146_513 Depth=1
	v_mul_hi_i32 v31, 0x66666667, v29
	v_mul_hi_i32 v32, 0x66666667, v30
	v_lshrrev_b32_e32 v33, 31, v31
	v_ashrrev_i32_e32 v31, 2, v31
	v_lshrrev_b32_e32 v34, 31, v32
	v_ashrrev_i32_e32 v32, 2, v32
	v_add_nc_u32_e32 v31, v31, v33
	v_add_nc_u32_e32 v32, v32, v34
	v_cmp_ge_i32_e64 s6, v31, v32
	s_and_b32 s21, s6, exec_lo
.LBB146_547:                            ;   in Loop: Header=BB146_513 Depth=1
	s_or_b32 exec_lo, exec_lo, s14
	s_orn2_b32 s14, s21, exec_lo
.LBB146_548:                            ;   in Loop: Header=BB146_513 Depth=1
	s_or_b32 exec_lo, exec_lo, s20
	v_cndmask_b32_e64 v31, v4, v5, s14
	v_cndmask_b32_e64 v32, v12, v11, s14
	s_mov_b32 s20, exec_lo
	v_add_nc_u32_e32 v31, 1, v31
	v_add_nc_u32_e32 v32, -1, v32
	v_cndmask_b32_e64 v33, v31, v4, s14
	v_min_u32_e32 v32, v31, v32
	v_lshlrev_b32_e32 v32, 2, v32
	ds_read_b32 v32, v32
	s_waitcnt lgkmcnt(0)
	v_cndmask_b32_e64 v4, v30, v32, s14
	v_cmpx_lt_u32_e64 v33, v12
	s_cbranch_execz .LBB146_511
; %bb.549:                              ;   in Loop: Header=BB146_513 Depth=1
	v_cndmask_b32_e64 v12, v5, v31, s14
	v_cndmask_b32_e64 v5, v32, v29, s14
	s_mov_b32 s21, exec_lo
	v_cmpx_lt_u32_e64 v12, v11
	s_cbranch_execz .LBB146_510
; %bb.550:                              ;   in Loop: Header=BB146_513 Depth=1
	v_mul_hi_i32 v11, 0x66666667, v5
	v_mul_hi_i32 v12, 0x66666667, v4
	v_lshrrev_b32_e32 v31, 31, v11
	v_ashrrev_i32_e32 v11, 2, v11
	v_lshrrev_b32_e32 v32, 31, v12
	v_ashrrev_i32_e32 v12, 2, v12
	v_add_nc_u32_e32 v11, v11, v31
	v_add_nc_u32_e32 v12, v12, v32
	v_cmp_lt_i32_e64 s6, v11, v12
	v_cndmask_b32_e64 v5, v4, v5, s6
	s_branch .LBB146_510
.LBB146_551:
	s_barrier
	buffer_gl0_inv
	ds_write2_b32 v21, v5, v6 offset1:1
	ds_write2_b32 v21, v7, v8 offset0:2 offset1:3
	ds_write2_b32 v21, v1, v2 offset0:4 offset1:5
	;; [unrolled: 1-line block ×3, first 2 shown]
	s_waitcnt lgkmcnt(0)
	s_barrier
	buffer_gl0_inv
	ds_read_b32 v10, v18 offset:1024
	ds_read_b32 v9, v19 offset:2048
	;; [unrolled: 1-line block ×7, first 2 shown]
	v_add_co_u32 v2, s6, s15, v20
	v_mov_b32_e32 v1, 0
	v_add_co_ci_u32_e64 v3, null, s16, 0, s6
	s_and_saveexec_b32 s6, vcc_lo
	s_cbranch_execz .LBB146_563
; %bb.552:
	ds_read_b32 v11, v17
	s_waitcnt lgkmcnt(0)
	flat_store_dword v[2:3], v11
	s_or_b32 exec_lo, exec_lo, s6
	s_and_saveexec_b32 s6, s0
	s_cbranch_execnz .LBB146_564
.LBB146_553:
	s_or_b32 exec_lo, exec_lo, s6
	s_and_saveexec_b32 s0, s1
	s_cbranch_execz .LBB146_565
.LBB146_554:
	s_waitcnt lgkmcnt(6)
	v_add_co_u32 v10, vcc_lo, 0x800, v2
	v_add_co_ci_u32_e64 v11, null, 0, v3, vcc_lo
	s_waitcnt lgkmcnt(5)
	flat_store_dword v[10:11], v9
	s_or_b32 exec_lo, exec_lo, s0
	s_and_saveexec_b32 s0, s2
	s_cbranch_execnz .LBB146_566
.LBB146_555:
	s_or_b32 exec_lo, exec_lo, s0
	s_and_saveexec_b32 s0, s3
	s_cbranch_execz .LBB146_567
.LBB146_556:
	s_waitcnt lgkmcnt(4)
	v_add_co_u32 v8, vcc_lo, 0x1000, v2
	v_add_co_ci_u32_e64 v9, null, 0, v3, vcc_lo
	s_waitcnt lgkmcnt(3)
	flat_store_dword v[8:9], v7
	s_or_b32 exec_lo, exec_lo, s0
	s_and_saveexec_b32 s0, s4
	s_cbranch_execnz .LBB146_568
.LBB146_557:
	s_or_b32 exec_lo, exec_lo, s0
	s_and_saveexec_b32 s0, s5
	s_cbranch_execz .LBB146_559
.LBB146_558:
	v_add_co_u32 v2, vcc_lo, 0x1800, v2
	v_add_co_ci_u32_e64 v3, null, 0, v3, vcc_lo
	s_waitcnt lgkmcnt(1)
	flat_store_dword v[2:3], v5
.LBB146_559:
	s_or_b32 exec_lo, exec_lo, s0
.LBB146_560:
	s_and_saveexec_b32 s0, s18
	s_cbranch_execz .LBB146_562
; %bb.561:
	v_lshlrev_b64 v[0:1], 2, v[0:1]
	v_add_co_u32 v0, vcc_lo, s15, v0
	v_add_co_ci_u32_e64 v1, null, s16, v1, vcc_lo
	v_add_co_u32 v0, vcc_lo, 0x1800, v0
	v_add_co_ci_u32_e64 v1, null, 0, v1, vcc_lo
	s_waitcnt lgkmcnt(0)
	flat_store_dword v[0:1], v4 offset:1024
.LBB146_562:
	s_endpgm
.LBB146_563:
	s_or_b32 exec_lo, exec_lo, s6
	s_and_saveexec_b32 s6, s0
	s_cbranch_execz .LBB146_553
.LBB146_564:
	s_waitcnt lgkmcnt(6)
	flat_store_dword v[2:3], v10 offset:1024
	s_or_b32 exec_lo, exec_lo, s6
	s_and_saveexec_b32 s0, s1
	s_cbranch_execnz .LBB146_554
.LBB146_565:
	s_or_b32 exec_lo, exec_lo, s0
	s_and_saveexec_b32 s0, s2
	s_cbranch_execz .LBB146_555
.LBB146_566:
	s_waitcnt lgkmcnt(5)
	v_add_co_u32 v9, vcc_lo, 0x800, v2
	v_add_co_ci_u32_e64 v10, null, 0, v3, vcc_lo
	s_waitcnt lgkmcnt(4)
	flat_store_dword v[9:10], v8 offset:1024
	s_or_b32 exec_lo, exec_lo, s0
	s_and_saveexec_b32 s0, s3
	s_cbranch_execnz .LBB146_556
.LBB146_567:
	s_or_b32 exec_lo, exec_lo, s0
	s_and_saveexec_b32 s0, s4
	s_cbranch_execz .LBB146_557
.LBB146_568:
	s_waitcnt lgkmcnt(3)
	v_add_co_u32 v7, vcc_lo, 0x1000, v2
	v_add_co_ci_u32_e64 v8, null, 0, v3, vcc_lo
	s_waitcnt lgkmcnt(2)
	flat_store_dword v[7:8], v6 offset:1024
	s_or_b32 exec_lo, exec_lo, s0
	s_and_saveexec_b32 s0, s5
	s_cbranch_execnz .LBB146_558
	s_branch .LBB146_559
	.section	.rodata,"a",@progbits
	.p2align	6, 0x0
	.amdhsa_kernel _ZN7rocprim17ROCPRIM_400000_NS6detail17trampoline_kernelINS0_14default_configENS1_37merge_sort_block_sort_config_selectorIjNS0_10empty_typeEEEZNS1_21merge_sort_block_sortIS3_N6thrust23THRUST_200600_302600_NS6detail15normal_iteratorINS9_10device_ptrIjEEEESE_PS5_SF_11less_div_10IjEEE10hipError_tT0_T1_T2_T3_mRjT4_P12ihipStream_tbNS1_7vsmem_tEEUlT_E_NS1_11comp_targetILNS1_3genE8ELNS1_11target_archE1030ELNS1_3gpuE2ELNS1_3repE0EEENS1_30default_config_static_selectorELNS0_4arch9wavefront6targetE0EEEvSK_
		.amdhsa_group_segment_fixed_size 8448
		.amdhsa_private_segment_fixed_size 0
		.amdhsa_kernarg_size 320
		.amdhsa_user_sgpr_count 6
		.amdhsa_user_sgpr_private_segment_buffer 1
		.amdhsa_user_sgpr_dispatch_ptr 0
		.amdhsa_user_sgpr_queue_ptr 0
		.amdhsa_user_sgpr_kernarg_segment_ptr 1
		.amdhsa_user_sgpr_dispatch_id 0
		.amdhsa_user_sgpr_flat_scratch_init 0
		.amdhsa_user_sgpr_private_segment_size 0
		.amdhsa_wavefront_size32 1
		.amdhsa_uses_dynamic_stack 0
		.amdhsa_system_sgpr_private_segment_wavefront_offset 0
		.amdhsa_system_sgpr_workgroup_id_x 1
		.amdhsa_system_sgpr_workgroup_id_y 1
		.amdhsa_system_sgpr_workgroup_id_z 1
		.amdhsa_system_sgpr_workgroup_info 0
		.amdhsa_system_vgpr_workitem_id 2
		.amdhsa_next_free_vgpr 50
		.amdhsa_next_free_sgpr 22
		.amdhsa_reserve_vcc 1
		.amdhsa_reserve_flat_scratch 1
		.amdhsa_float_round_mode_32 0
		.amdhsa_float_round_mode_16_64 0
		.amdhsa_float_denorm_mode_32 3
		.amdhsa_float_denorm_mode_16_64 3
		.amdhsa_dx10_clamp 1
		.amdhsa_ieee_mode 1
		.amdhsa_fp16_overflow 0
		.amdhsa_workgroup_processor_mode 1
		.amdhsa_memory_ordered 1
		.amdhsa_forward_progress 1
		.amdhsa_shared_vgpr_count 0
		.amdhsa_exception_fp_ieee_invalid_op 0
		.amdhsa_exception_fp_denorm_src 0
		.amdhsa_exception_fp_ieee_div_zero 0
		.amdhsa_exception_fp_ieee_overflow 0
		.amdhsa_exception_fp_ieee_underflow 0
		.amdhsa_exception_fp_ieee_inexact 0
		.amdhsa_exception_int_div_zero 0
	.end_amdhsa_kernel
	.section	.text._ZN7rocprim17ROCPRIM_400000_NS6detail17trampoline_kernelINS0_14default_configENS1_37merge_sort_block_sort_config_selectorIjNS0_10empty_typeEEEZNS1_21merge_sort_block_sortIS3_N6thrust23THRUST_200600_302600_NS6detail15normal_iteratorINS9_10device_ptrIjEEEESE_PS5_SF_11less_div_10IjEEE10hipError_tT0_T1_T2_T3_mRjT4_P12ihipStream_tbNS1_7vsmem_tEEUlT_E_NS1_11comp_targetILNS1_3genE8ELNS1_11target_archE1030ELNS1_3gpuE2ELNS1_3repE0EEENS1_30default_config_static_selectorELNS0_4arch9wavefront6targetE0EEEvSK_,"axG",@progbits,_ZN7rocprim17ROCPRIM_400000_NS6detail17trampoline_kernelINS0_14default_configENS1_37merge_sort_block_sort_config_selectorIjNS0_10empty_typeEEEZNS1_21merge_sort_block_sortIS3_N6thrust23THRUST_200600_302600_NS6detail15normal_iteratorINS9_10device_ptrIjEEEESE_PS5_SF_11less_div_10IjEEE10hipError_tT0_T1_T2_T3_mRjT4_P12ihipStream_tbNS1_7vsmem_tEEUlT_E_NS1_11comp_targetILNS1_3genE8ELNS1_11target_archE1030ELNS1_3gpuE2ELNS1_3repE0EEENS1_30default_config_static_selectorELNS0_4arch9wavefront6targetE0EEEvSK_,comdat
.Lfunc_end146:
	.size	_ZN7rocprim17ROCPRIM_400000_NS6detail17trampoline_kernelINS0_14default_configENS1_37merge_sort_block_sort_config_selectorIjNS0_10empty_typeEEEZNS1_21merge_sort_block_sortIS3_N6thrust23THRUST_200600_302600_NS6detail15normal_iteratorINS9_10device_ptrIjEEEESE_PS5_SF_11less_div_10IjEEE10hipError_tT0_T1_T2_T3_mRjT4_P12ihipStream_tbNS1_7vsmem_tEEUlT_E_NS1_11comp_targetILNS1_3genE8ELNS1_11target_archE1030ELNS1_3gpuE2ELNS1_3repE0EEENS1_30default_config_static_selectorELNS0_4arch9wavefront6targetE0EEEvSK_, .Lfunc_end146-_ZN7rocprim17ROCPRIM_400000_NS6detail17trampoline_kernelINS0_14default_configENS1_37merge_sort_block_sort_config_selectorIjNS0_10empty_typeEEEZNS1_21merge_sort_block_sortIS3_N6thrust23THRUST_200600_302600_NS6detail15normal_iteratorINS9_10device_ptrIjEEEESE_PS5_SF_11less_div_10IjEEE10hipError_tT0_T1_T2_T3_mRjT4_P12ihipStream_tbNS1_7vsmem_tEEUlT_E_NS1_11comp_targetILNS1_3genE8ELNS1_11target_archE1030ELNS1_3gpuE2ELNS1_3repE0EEENS1_30default_config_static_selectorELNS0_4arch9wavefront6targetE0EEEvSK_
                                        ; -- End function
	.set _ZN7rocprim17ROCPRIM_400000_NS6detail17trampoline_kernelINS0_14default_configENS1_37merge_sort_block_sort_config_selectorIjNS0_10empty_typeEEEZNS1_21merge_sort_block_sortIS3_N6thrust23THRUST_200600_302600_NS6detail15normal_iteratorINS9_10device_ptrIjEEEESE_PS5_SF_11less_div_10IjEEE10hipError_tT0_T1_T2_T3_mRjT4_P12ihipStream_tbNS1_7vsmem_tEEUlT_E_NS1_11comp_targetILNS1_3genE8ELNS1_11target_archE1030ELNS1_3gpuE2ELNS1_3repE0EEENS1_30default_config_static_selectorELNS0_4arch9wavefront6targetE0EEEvSK_.num_vgpr, 50
	.set _ZN7rocprim17ROCPRIM_400000_NS6detail17trampoline_kernelINS0_14default_configENS1_37merge_sort_block_sort_config_selectorIjNS0_10empty_typeEEEZNS1_21merge_sort_block_sortIS3_N6thrust23THRUST_200600_302600_NS6detail15normal_iteratorINS9_10device_ptrIjEEEESE_PS5_SF_11less_div_10IjEEE10hipError_tT0_T1_T2_T3_mRjT4_P12ihipStream_tbNS1_7vsmem_tEEUlT_E_NS1_11comp_targetILNS1_3genE8ELNS1_11target_archE1030ELNS1_3gpuE2ELNS1_3repE0EEENS1_30default_config_static_selectorELNS0_4arch9wavefront6targetE0EEEvSK_.num_agpr, 0
	.set _ZN7rocprim17ROCPRIM_400000_NS6detail17trampoline_kernelINS0_14default_configENS1_37merge_sort_block_sort_config_selectorIjNS0_10empty_typeEEEZNS1_21merge_sort_block_sortIS3_N6thrust23THRUST_200600_302600_NS6detail15normal_iteratorINS9_10device_ptrIjEEEESE_PS5_SF_11less_div_10IjEEE10hipError_tT0_T1_T2_T3_mRjT4_P12ihipStream_tbNS1_7vsmem_tEEUlT_E_NS1_11comp_targetILNS1_3genE8ELNS1_11target_archE1030ELNS1_3gpuE2ELNS1_3repE0EEENS1_30default_config_static_selectorELNS0_4arch9wavefront6targetE0EEEvSK_.numbered_sgpr, 22
	.set _ZN7rocprim17ROCPRIM_400000_NS6detail17trampoline_kernelINS0_14default_configENS1_37merge_sort_block_sort_config_selectorIjNS0_10empty_typeEEEZNS1_21merge_sort_block_sortIS3_N6thrust23THRUST_200600_302600_NS6detail15normal_iteratorINS9_10device_ptrIjEEEESE_PS5_SF_11less_div_10IjEEE10hipError_tT0_T1_T2_T3_mRjT4_P12ihipStream_tbNS1_7vsmem_tEEUlT_E_NS1_11comp_targetILNS1_3genE8ELNS1_11target_archE1030ELNS1_3gpuE2ELNS1_3repE0EEENS1_30default_config_static_selectorELNS0_4arch9wavefront6targetE0EEEvSK_.num_named_barrier, 0
	.set _ZN7rocprim17ROCPRIM_400000_NS6detail17trampoline_kernelINS0_14default_configENS1_37merge_sort_block_sort_config_selectorIjNS0_10empty_typeEEEZNS1_21merge_sort_block_sortIS3_N6thrust23THRUST_200600_302600_NS6detail15normal_iteratorINS9_10device_ptrIjEEEESE_PS5_SF_11less_div_10IjEEE10hipError_tT0_T1_T2_T3_mRjT4_P12ihipStream_tbNS1_7vsmem_tEEUlT_E_NS1_11comp_targetILNS1_3genE8ELNS1_11target_archE1030ELNS1_3gpuE2ELNS1_3repE0EEENS1_30default_config_static_selectorELNS0_4arch9wavefront6targetE0EEEvSK_.private_seg_size, 0
	.set _ZN7rocprim17ROCPRIM_400000_NS6detail17trampoline_kernelINS0_14default_configENS1_37merge_sort_block_sort_config_selectorIjNS0_10empty_typeEEEZNS1_21merge_sort_block_sortIS3_N6thrust23THRUST_200600_302600_NS6detail15normal_iteratorINS9_10device_ptrIjEEEESE_PS5_SF_11less_div_10IjEEE10hipError_tT0_T1_T2_T3_mRjT4_P12ihipStream_tbNS1_7vsmem_tEEUlT_E_NS1_11comp_targetILNS1_3genE8ELNS1_11target_archE1030ELNS1_3gpuE2ELNS1_3repE0EEENS1_30default_config_static_selectorELNS0_4arch9wavefront6targetE0EEEvSK_.uses_vcc, 1
	.set _ZN7rocprim17ROCPRIM_400000_NS6detail17trampoline_kernelINS0_14default_configENS1_37merge_sort_block_sort_config_selectorIjNS0_10empty_typeEEEZNS1_21merge_sort_block_sortIS3_N6thrust23THRUST_200600_302600_NS6detail15normal_iteratorINS9_10device_ptrIjEEEESE_PS5_SF_11less_div_10IjEEE10hipError_tT0_T1_T2_T3_mRjT4_P12ihipStream_tbNS1_7vsmem_tEEUlT_E_NS1_11comp_targetILNS1_3genE8ELNS1_11target_archE1030ELNS1_3gpuE2ELNS1_3repE0EEENS1_30default_config_static_selectorELNS0_4arch9wavefront6targetE0EEEvSK_.uses_flat_scratch, 1
	.set _ZN7rocprim17ROCPRIM_400000_NS6detail17trampoline_kernelINS0_14default_configENS1_37merge_sort_block_sort_config_selectorIjNS0_10empty_typeEEEZNS1_21merge_sort_block_sortIS3_N6thrust23THRUST_200600_302600_NS6detail15normal_iteratorINS9_10device_ptrIjEEEESE_PS5_SF_11less_div_10IjEEE10hipError_tT0_T1_T2_T3_mRjT4_P12ihipStream_tbNS1_7vsmem_tEEUlT_E_NS1_11comp_targetILNS1_3genE8ELNS1_11target_archE1030ELNS1_3gpuE2ELNS1_3repE0EEENS1_30default_config_static_selectorELNS0_4arch9wavefront6targetE0EEEvSK_.has_dyn_sized_stack, 0
	.set _ZN7rocprim17ROCPRIM_400000_NS6detail17trampoline_kernelINS0_14default_configENS1_37merge_sort_block_sort_config_selectorIjNS0_10empty_typeEEEZNS1_21merge_sort_block_sortIS3_N6thrust23THRUST_200600_302600_NS6detail15normal_iteratorINS9_10device_ptrIjEEEESE_PS5_SF_11less_div_10IjEEE10hipError_tT0_T1_T2_T3_mRjT4_P12ihipStream_tbNS1_7vsmem_tEEUlT_E_NS1_11comp_targetILNS1_3genE8ELNS1_11target_archE1030ELNS1_3gpuE2ELNS1_3repE0EEENS1_30default_config_static_selectorELNS0_4arch9wavefront6targetE0EEEvSK_.has_recursion, 0
	.set _ZN7rocprim17ROCPRIM_400000_NS6detail17trampoline_kernelINS0_14default_configENS1_37merge_sort_block_sort_config_selectorIjNS0_10empty_typeEEEZNS1_21merge_sort_block_sortIS3_N6thrust23THRUST_200600_302600_NS6detail15normal_iteratorINS9_10device_ptrIjEEEESE_PS5_SF_11less_div_10IjEEE10hipError_tT0_T1_T2_T3_mRjT4_P12ihipStream_tbNS1_7vsmem_tEEUlT_E_NS1_11comp_targetILNS1_3genE8ELNS1_11target_archE1030ELNS1_3gpuE2ELNS1_3repE0EEENS1_30default_config_static_selectorELNS0_4arch9wavefront6targetE0EEEvSK_.has_indirect_call, 0
	.section	.AMDGPU.csdata,"",@progbits
; Kernel info:
; codeLenInByte = 31168
; TotalNumSgprs: 24
; NumVgprs: 50
; ScratchSize: 0
; MemoryBound: 0
; FloatMode: 240
; IeeeMode: 1
; LDSByteSize: 8448 bytes/workgroup (compile time only)
; SGPRBlocks: 0
; VGPRBlocks: 6
; NumSGPRsForWavesPerEU: 24
; NumVGPRsForWavesPerEU: 50
; Occupancy: 16
; WaveLimiterHint : 1
; COMPUTE_PGM_RSRC2:SCRATCH_EN: 0
; COMPUTE_PGM_RSRC2:USER_SGPR: 6
; COMPUTE_PGM_RSRC2:TRAP_HANDLER: 0
; COMPUTE_PGM_RSRC2:TGID_X_EN: 1
; COMPUTE_PGM_RSRC2:TGID_Y_EN: 1
; COMPUTE_PGM_RSRC2:TGID_Z_EN: 1
; COMPUTE_PGM_RSRC2:TIDIG_COMP_CNT: 2
	.section	.text._ZN7rocprim17ROCPRIM_400000_NS6detail17trampoline_kernelINS0_14default_configENS1_38merge_sort_block_merge_config_selectorIjNS0_10empty_typeEEEZZNS1_27merge_sort_block_merge_implIS3_N6thrust23THRUST_200600_302600_NS6detail15normal_iteratorINS9_10device_ptrIjEEEEPS5_m11less_div_10IjEEE10hipError_tT0_T1_T2_jT3_P12ihipStream_tbPNSt15iterator_traitsISJ_E10value_typeEPNSP_ISK_E10value_typeEPSL_NS1_7vsmem_tEENKUlT_SJ_SK_SL_E_clIPjSE_SF_SF_EESI_SY_SJ_SK_SL_EUlSY_E_NS1_11comp_targetILNS1_3genE0ELNS1_11target_archE4294967295ELNS1_3gpuE0ELNS1_3repE0EEENS1_48merge_mergepath_partition_config_static_selectorELNS0_4arch9wavefront6targetE0EEEvSK_,"axG",@progbits,_ZN7rocprim17ROCPRIM_400000_NS6detail17trampoline_kernelINS0_14default_configENS1_38merge_sort_block_merge_config_selectorIjNS0_10empty_typeEEEZZNS1_27merge_sort_block_merge_implIS3_N6thrust23THRUST_200600_302600_NS6detail15normal_iteratorINS9_10device_ptrIjEEEEPS5_m11less_div_10IjEEE10hipError_tT0_T1_T2_jT3_P12ihipStream_tbPNSt15iterator_traitsISJ_E10value_typeEPNSP_ISK_E10value_typeEPSL_NS1_7vsmem_tEENKUlT_SJ_SK_SL_E_clIPjSE_SF_SF_EESI_SY_SJ_SK_SL_EUlSY_E_NS1_11comp_targetILNS1_3genE0ELNS1_11target_archE4294967295ELNS1_3gpuE0ELNS1_3repE0EEENS1_48merge_mergepath_partition_config_static_selectorELNS0_4arch9wavefront6targetE0EEEvSK_,comdat
	.protected	_ZN7rocprim17ROCPRIM_400000_NS6detail17trampoline_kernelINS0_14default_configENS1_38merge_sort_block_merge_config_selectorIjNS0_10empty_typeEEEZZNS1_27merge_sort_block_merge_implIS3_N6thrust23THRUST_200600_302600_NS6detail15normal_iteratorINS9_10device_ptrIjEEEEPS5_m11less_div_10IjEEE10hipError_tT0_T1_T2_jT3_P12ihipStream_tbPNSt15iterator_traitsISJ_E10value_typeEPNSP_ISK_E10value_typeEPSL_NS1_7vsmem_tEENKUlT_SJ_SK_SL_E_clIPjSE_SF_SF_EESI_SY_SJ_SK_SL_EUlSY_E_NS1_11comp_targetILNS1_3genE0ELNS1_11target_archE4294967295ELNS1_3gpuE0ELNS1_3repE0EEENS1_48merge_mergepath_partition_config_static_selectorELNS0_4arch9wavefront6targetE0EEEvSK_ ; -- Begin function _ZN7rocprim17ROCPRIM_400000_NS6detail17trampoline_kernelINS0_14default_configENS1_38merge_sort_block_merge_config_selectorIjNS0_10empty_typeEEEZZNS1_27merge_sort_block_merge_implIS3_N6thrust23THRUST_200600_302600_NS6detail15normal_iteratorINS9_10device_ptrIjEEEEPS5_m11less_div_10IjEEE10hipError_tT0_T1_T2_jT3_P12ihipStream_tbPNSt15iterator_traitsISJ_E10value_typeEPNSP_ISK_E10value_typeEPSL_NS1_7vsmem_tEENKUlT_SJ_SK_SL_E_clIPjSE_SF_SF_EESI_SY_SJ_SK_SL_EUlSY_E_NS1_11comp_targetILNS1_3genE0ELNS1_11target_archE4294967295ELNS1_3gpuE0ELNS1_3repE0EEENS1_48merge_mergepath_partition_config_static_selectorELNS0_4arch9wavefront6targetE0EEEvSK_
	.globl	_ZN7rocprim17ROCPRIM_400000_NS6detail17trampoline_kernelINS0_14default_configENS1_38merge_sort_block_merge_config_selectorIjNS0_10empty_typeEEEZZNS1_27merge_sort_block_merge_implIS3_N6thrust23THRUST_200600_302600_NS6detail15normal_iteratorINS9_10device_ptrIjEEEEPS5_m11less_div_10IjEEE10hipError_tT0_T1_T2_jT3_P12ihipStream_tbPNSt15iterator_traitsISJ_E10value_typeEPNSP_ISK_E10value_typeEPSL_NS1_7vsmem_tEENKUlT_SJ_SK_SL_E_clIPjSE_SF_SF_EESI_SY_SJ_SK_SL_EUlSY_E_NS1_11comp_targetILNS1_3genE0ELNS1_11target_archE4294967295ELNS1_3gpuE0ELNS1_3repE0EEENS1_48merge_mergepath_partition_config_static_selectorELNS0_4arch9wavefront6targetE0EEEvSK_
	.p2align	8
	.type	_ZN7rocprim17ROCPRIM_400000_NS6detail17trampoline_kernelINS0_14default_configENS1_38merge_sort_block_merge_config_selectorIjNS0_10empty_typeEEEZZNS1_27merge_sort_block_merge_implIS3_N6thrust23THRUST_200600_302600_NS6detail15normal_iteratorINS9_10device_ptrIjEEEEPS5_m11less_div_10IjEEE10hipError_tT0_T1_T2_jT3_P12ihipStream_tbPNSt15iterator_traitsISJ_E10value_typeEPNSP_ISK_E10value_typeEPSL_NS1_7vsmem_tEENKUlT_SJ_SK_SL_E_clIPjSE_SF_SF_EESI_SY_SJ_SK_SL_EUlSY_E_NS1_11comp_targetILNS1_3genE0ELNS1_11target_archE4294967295ELNS1_3gpuE0ELNS1_3repE0EEENS1_48merge_mergepath_partition_config_static_selectorELNS0_4arch9wavefront6targetE0EEEvSK_,@function
_ZN7rocprim17ROCPRIM_400000_NS6detail17trampoline_kernelINS0_14default_configENS1_38merge_sort_block_merge_config_selectorIjNS0_10empty_typeEEEZZNS1_27merge_sort_block_merge_implIS3_N6thrust23THRUST_200600_302600_NS6detail15normal_iteratorINS9_10device_ptrIjEEEEPS5_m11less_div_10IjEEE10hipError_tT0_T1_T2_jT3_P12ihipStream_tbPNSt15iterator_traitsISJ_E10value_typeEPNSP_ISK_E10value_typeEPSL_NS1_7vsmem_tEENKUlT_SJ_SK_SL_E_clIPjSE_SF_SF_EESI_SY_SJ_SK_SL_EUlSY_E_NS1_11comp_targetILNS1_3genE0ELNS1_11target_archE4294967295ELNS1_3gpuE0ELNS1_3repE0EEENS1_48merge_mergepath_partition_config_static_selectorELNS0_4arch9wavefront6targetE0EEEvSK_: ; @_ZN7rocprim17ROCPRIM_400000_NS6detail17trampoline_kernelINS0_14default_configENS1_38merge_sort_block_merge_config_selectorIjNS0_10empty_typeEEEZZNS1_27merge_sort_block_merge_implIS3_N6thrust23THRUST_200600_302600_NS6detail15normal_iteratorINS9_10device_ptrIjEEEEPS5_m11less_div_10IjEEE10hipError_tT0_T1_T2_jT3_P12ihipStream_tbPNSt15iterator_traitsISJ_E10value_typeEPNSP_ISK_E10value_typeEPSL_NS1_7vsmem_tEENKUlT_SJ_SK_SL_E_clIPjSE_SF_SF_EESI_SY_SJ_SK_SL_EUlSY_E_NS1_11comp_targetILNS1_3genE0ELNS1_11target_archE4294967295ELNS1_3gpuE0ELNS1_3repE0EEENS1_48merge_mergepath_partition_config_static_selectorELNS0_4arch9wavefront6targetE0EEEvSK_
; %bb.0:
	.section	.rodata,"a",@progbits
	.p2align	6, 0x0
	.amdhsa_kernel _ZN7rocprim17ROCPRIM_400000_NS6detail17trampoline_kernelINS0_14default_configENS1_38merge_sort_block_merge_config_selectorIjNS0_10empty_typeEEEZZNS1_27merge_sort_block_merge_implIS3_N6thrust23THRUST_200600_302600_NS6detail15normal_iteratorINS9_10device_ptrIjEEEEPS5_m11less_div_10IjEEE10hipError_tT0_T1_T2_jT3_P12ihipStream_tbPNSt15iterator_traitsISJ_E10value_typeEPNSP_ISK_E10value_typeEPSL_NS1_7vsmem_tEENKUlT_SJ_SK_SL_E_clIPjSE_SF_SF_EESI_SY_SJ_SK_SL_EUlSY_E_NS1_11comp_targetILNS1_3genE0ELNS1_11target_archE4294967295ELNS1_3gpuE0ELNS1_3repE0EEENS1_48merge_mergepath_partition_config_static_selectorELNS0_4arch9wavefront6targetE0EEEvSK_
		.amdhsa_group_segment_fixed_size 0
		.amdhsa_private_segment_fixed_size 0
		.amdhsa_kernarg_size 48
		.amdhsa_user_sgpr_count 6
		.amdhsa_user_sgpr_private_segment_buffer 1
		.amdhsa_user_sgpr_dispatch_ptr 0
		.amdhsa_user_sgpr_queue_ptr 0
		.amdhsa_user_sgpr_kernarg_segment_ptr 1
		.amdhsa_user_sgpr_dispatch_id 0
		.amdhsa_user_sgpr_flat_scratch_init 0
		.amdhsa_user_sgpr_private_segment_size 0
		.amdhsa_wavefront_size32 1
		.amdhsa_uses_dynamic_stack 0
		.amdhsa_system_sgpr_private_segment_wavefront_offset 0
		.amdhsa_system_sgpr_workgroup_id_x 1
		.amdhsa_system_sgpr_workgroup_id_y 0
		.amdhsa_system_sgpr_workgroup_id_z 0
		.amdhsa_system_sgpr_workgroup_info 0
		.amdhsa_system_vgpr_workitem_id 0
		.amdhsa_next_free_vgpr 1
		.amdhsa_next_free_sgpr 1
		.amdhsa_reserve_vcc 0
		.amdhsa_reserve_flat_scratch 0
		.amdhsa_float_round_mode_32 0
		.amdhsa_float_round_mode_16_64 0
		.amdhsa_float_denorm_mode_32 3
		.amdhsa_float_denorm_mode_16_64 3
		.amdhsa_dx10_clamp 1
		.amdhsa_ieee_mode 1
		.amdhsa_fp16_overflow 0
		.amdhsa_workgroup_processor_mode 1
		.amdhsa_memory_ordered 1
		.amdhsa_forward_progress 1
		.amdhsa_shared_vgpr_count 0
		.amdhsa_exception_fp_ieee_invalid_op 0
		.amdhsa_exception_fp_denorm_src 0
		.amdhsa_exception_fp_ieee_div_zero 0
		.amdhsa_exception_fp_ieee_overflow 0
		.amdhsa_exception_fp_ieee_underflow 0
		.amdhsa_exception_fp_ieee_inexact 0
		.amdhsa_exception_int_div_zero 0
	.end_amdhsa_kernel
	.section	.text._ZN7rocprim17ROCPRIM_400000_NS6detail17trampoline_kernelINS0_14default_configENS1_38merge_sort_block_merge_config_selectorIjNS0_10empty_typeEEEZZNS1_27merge_sort_block_merge_implIS3_N6thrust23THRUST_200600_302600_NS6detail15normal_iteratorINS9_10device_ptrIjEEEEPS5_m11less_div_10IjEEE10hipError_tT0_T1_T2_jT3_P12ihipStream_tbPNSt15iterator_traitsISJ_E10value_typeEPNSP_ISK_E10value_typeEPSL_NS1_7vsmem_tEENKUlT_SJ_SK_SL_E_clIPjSE_SF_SF_EESI_SY_SJ_SK_SL_EUlSY_E_NS1_11comp_targetILNS1_3genE0ELNS1_11target_archE4294967295ELNS1_3gpuE0ELNS1_3repE0EEENS1_48merge_mergepath_partition_config_static_selectorELNS0_4arch9wavefront6targetE0EEEvSK_,"axG",@progbits,_ZN7rocprim17ROCPRIM_400000_NS6detail17trampoline_kernelINS0_14default_configENS1_38merge_sort_block_merge_config_selectorIjNS0_10empty_typeEEEZZNS1_27merge_sort_block_merge_implIS3_N6thrust23THRUST_200600_302600_NS6detail15normal_iteratorINS9_10device_ptrIjEEEEPS5_m11less_div_10IjEEE10hipError_tT0_T1_T2_jT3_P12ihipStream_tbPNSt15iterator_traitsISJ_E10value_typeEPNSP_ISK_E10value_typeEPSL_NS1_7vsmem_tEENKUlT_SJ_SK_SL_E_clIPjSE_SF_SF_EESI_SY_SJ_SK_SL_EUlSY_E_NS1_11comp_targetILNS1_3genE0ELNS1_11target_archE4294967295ELNS1_3gpuE0ELNS1_3repE0EEENS1_48merge_mergepath_partition_config_static_selectorELNS0_4arch9wavefront6targetE0EEEvSK_,comdat
.Lfunc_end147:
	.size	_ZN7rocprim17ROCPRIM_400000_NS6detail17trampoline_kernelINS0_14default_configENS1_38merge_sort_block_merge_config_selectorIjNS0_10empty_typeEEEZZNS1_27merge_sort_block_merge_implIS3_N6thrust23THRUST_200600_302600_NS6detail15normal_iteratorINS9_10device_ptrIjEEEEPS5_m11less_div_10IjEEE10hipError_tT0_T1_T2_jT3_P12ihipStream_tbPNSt15iterator_traitsISJ_E10value_typeEPNSP_ISK_E10value_typeEPSL_NS1_7vsmem_tEENKUlT_SJ_SK_SL_E_clIPjSE_SF_SF_EESI_SY_SJ_SK_SL_EUlSY_E_NS1_11comp_targetILNS1_3genE0ELNS1_11target_archE4294967295ELNS1_3gpuE0ELNS1_3repE0EEENS1_48merge_mergepath_partition_config_static_selectorELNS0_4arch9wavefront6targetE0EEEvSK_, .Lfunc_end147-_ZN7rocprim17ROCPRIM_400000_NS6detail17trampoline_kernelINS0_14default_configENS1_38merge_sort_block_merge_config_selectorIjNS0_10empty_typeEEEZZNS1_27merge_sort_block_merge_implIS3_N6thrust23THRUST_200600_302600_NS6detail15normal_iteratorINS9_10device_ptrIjEEEEPS5_m11less_div_10IjEEE10hipError_tT0_T1_T2_jT3_P12ihipStream_tbPNSt15iterator_traitsISJ_E10value_typeEPNSP_ISK_E10value_typeEPSL_NS1_7vsmem_tEENKUlT_SJ_SK_SL_E_clIPjSE_SF_SF_EESI_SY_SJ_SK_SL_EUlSY_E_NS1_11comp_targetILNS1_3genE0ELNS1_11target_archE4294967295ELNS1_3gpuE0ELNS1_3repE0EEENS1_48merge_mergepath_partition_config_static_selectorELNS0_4arch9wavefront6targetE0EEEvSK_
                                        ; -- End function
	.set _ZN7rocprim17ROCPRIM_400000_NS6detail17trampoline_kernelINS0_14default_configENS1_38merge_sort_block_merge_config_selectorIjNS0_10empty_typeEEEZZNS1_27merge_sort_block_merge_implIS3_N6thrust23THRUST_200600_302600_NS6detail15normal_iteratorINS9_10device_ptrIjEEEEPS5_m11less_div_10IjEEE10hipError_tT0_T1_T2_jT3_P12ihipStream_tbPNSt15iterator_traitsISJ_E10value_typeEPNSP_ISK_E10value_typeEPSL_NS1_7vsmem_tEENKUlT_SJ_SK_SL_E_clIPjSE_SF_SF_EESI_SY_SJ_SK_SL_EUlSY_E_NS1_11comp_targetILNS1_3genE0ELNS1_11target_archE4294967295ELNS1_3gpuE0ELNS1_3repE0EEENS1_48merge_mergepath_partition_config_static_selectorELNS0_4arch9wavefront6targetE0EEEvSK_.num_vgpr, 0
	.set _ZN7rocprim17ROCPRIM_400000_NS6detail17trampoline_kernelINS0_14default_configENS1_38merge_sort_block_merge_config_selectorIjNS0_10empty_typeEEEZZNS1_27merge_sort_block_merge_implIS3_N6thrust23THRUST_200600_302600_NS6detail15normal_iteratorINS9_10device_ptrIjEEEEPS5_m11less_div_10IjEEE10hipError_tT0_T1_T2_jT3_P12ihipStream_tbPNSt15iterator_traitsISJ_E10value_typeEPNSP_ISK_E10value_typeEPSL_NS1_7vsmem_tEENKUlT_SJ_SK_SL_E_clIPjSE_SF_SF_EESI_SY_SJ_SK_SL_EUlSY_E_NS1_11comp_targetILNS1_3genE0ELNS1_11target_archE4294967295ELNS1_3gpuE0ELNS1_3repE0EEENS1_48merge_mergepath_partition_config_static_selectorELNS0_4arch9wavefront6targetE0EEEvSK_.num_agpr, 0
	.set _ZN7rocprim17ROCPRIM_400000_NS6detail17trampoline_kernelINS0_14default_configENS1_38merge_sort_block_merge_config_selectorIjNS0_10empty_typeEEEZZNS1_27merge_sort_block_merge_implIS3_N6thrust23THRUST_200600_302600_NS6detail15normal_iteratorINS9_10device_ptrIjEEEEPS5_m11less_div_10IjEEE10hipError_tT0_T1_T2_jT3_P12ihipStream_tbPNSt15iterator_traitsISJ_E10value_typeEPNSP_ISK_E10value_typeEPSL_NS1_7vsmem_tEENKUlT_SJ_SK_SL_E_clIPjSE_SF_SF_EESI_SY_SJ_SK_SL_EUlSY_E_NS1_11comp_targetILNS1_3genE0ELNS1_11target_archE4294967295ELNS1_3gpuE0ELNS1_3repE0EEENS1_48merge_mergepath_partition_config_static_selectorELNS0_4arch9wavefront6targetE0EEEvSK_.numbered_sgpr, 0
	.set _ZN7rocprim17ROCPRIM_400000_NS6detail17trampoline_kernelINS0_14default_configENS1_38merge_sort_block_merge_config_selectorIjNS0_10empty_typeEEEZZNS1_27merge_sort_block_merge_implIS3_N6thrust23THRUST_200600_302600_NS6detail15normal_iteratorINS9_10device_ptrIjEEEEPS5_m11less_div_10IjEEE10hipError_tT0_T1_T2_jT3_P12ihipStream_tbPNSt15iterator_traitsISJ_E10value_typeEPNSP_ISK_E10value_typeEPSL_NS1_7vsmem_tEENKUlT_SJ_SK_SL_E_clIPjSE_SF_SF_EESI_SY_SJ_SK_SL_EUlSY_E_NS1_11comp_targetILNS1_3genE0ELNS1_11target_archE4294967295ELNS1_3gpuE0ELNS1_3repE0EEENS1_48merge_mergepath_partition_config_static_selectorELNS0_4arch9wavefront6targetE0EEEvSK_.num_named_barrier, 0
	.set _ZN7rocprim17ROCPRIM_400000_NS6detail17trampoline_kernelINS0_14default_configENS1_38merge_sort_block_merge_config_selectorIjNS0_10empty_typeEEEZZNS1_27merge_sort_block_merge_implIS3_N6thrust23THRUST_200600_302600_NS6detail15normal_iteratorINS9_10device_ptrIjEEEEPS5_m11less_div_10IjEEE10hipError_tT0_T1_T2_jT3_P12ihipStream_tbPNSt15iterator_traitsISJ_E10value_typeEPNSP_ISK_E10value_typeEPSL_NS1_7vsmem_tEENKUlT_SJ_SK_SL_E_clIPjSE_SF_SF_EESI_SY_SJ_SK_SL_EUlSY_E_NS1_11comp_targetILNS1_3genE0ELNS1_11target_archE4294967295ELNS1_3gpuE0ELNS1_3repE0EEENS1_48merge_mergepath_partition_config_static_selectorELNS0_4arch9wavefront6targetE0EEEvSK_.private_seg_size, 0
	.set _ZN7rocprim17ROCPRIM_400000_NS6detail17trampoline_kernelINS0_14default_configENS1_38merge_sort_block_merge_config_selectorIjNS0_10empty_typeEEEZZNS1_27merge_sort_block_merge_implIS3_N6thrust23THRUST_200600_302600_NS6detail15normal_iteratorINS9_10device_ptrIjEEEEPS5_m11less_div_10IjEEE10hipError_tT0_T1_T2_jT3_P12ihipStream_tbPNSt15iterator_traitsISJ_E10value_typeEPNSP_ISK_E10value_typeEPSL_NS1_7vsmem_tEENKUlT_SJ_SK_SL_E_clIPjSE_SF_SF_EESI_SY_SJ_SK_SL_EUlSY_E_NS1_11comp_targetILNS1_3genE0ELNS1_11target_archE4294967295ELNS1_3gpuE0ELNS1_3repE0EEENS1_48merge_mergepath_partition_config_static_selectorELNS0_4arch9wavefront6targetE0EEEvSK_.uses_vcc, 0
	.set _ZN7rocprim17ROCPRIM_400000_NS6detail17trampoline_kernelINS0_14default_configENS1_38merge_sort_block_merge_config_selectorIjNS0_10empty_typeEEEZZNS1_27merge_sort_block_merge_implIS3_N6thrust23THRUST_200600_302600_NS6detail15normal_iteratorINS9_10device_ptrIjEEEEPS5_m11less_div_10IjEEE10hipError_tT0_T1_T2_jT3_P12ihipStream_tbPNSt15iterator_traitsISJ_E10value_typeEPNSP_ISK_E10value_typeEPSL_NS1_7vsmem_tEENKUlT_SJ_SK_SL_E_clIPjSE_SF_SF_EESI_SY_SJ_SK_SL_EUlSY_E_NS1_11comp_targetILNS1_3genE0ELNS1_11target_archE4294967295ELNS1_3gpuE0ELNS1_3repE0EEENS1_48merge_mergepath_partition_config_static_selectorELNS0_4arch9wavefront6targetE0EEEvSK_.uses_flat_scratch, 0
	.set _ZN7rocprim17ROCPRIM_400000_NS6detail17trampoline_kernelINS0_14default_configENS1_38merge_sort_block_merge_config_selectorIjNS0_10empty_typeEEEZZNS1_27merge_sort_block_merge_implIS3_N6thrust23THRUST_200600_302600_NS6detail15normal_iteratorINS9_10device_ptrIjEEEEPS5_m11less_div_10IjEEE10hipError_tT0_T1_T2_jT3_P12ihipStream_tbPNSt15iterator_traitsISJ_E10value_typeEPNSP_ISK_E10value_typeEPSL_NS1_7vsmem_tEENKUlT_SJ_SK_SL_E_clIPjSE_SF_SF_EESI_SY_SJ_SK_SL_EUlSY_E_NS1_11comp_targetILNS1_3genE0ELNS1_11target_archE4294967295ELNS1_3gpuE0ELNS1_3repE0EEENS1_48merge_mergepath_partition_config_static_selectorELNS0_4arch9wavefront6targetE0EEEvSK_.has_dyn_sized_stack, 0
	.set _ZN7rocprim17ROCPRIM_400000_NS6detail17trampoline_kernelINS0_14default_configENS1_38merge_sort_block_merge_config_selectorIjNS0_10empty_typeEEEZZNS1_27merge_sort_block_merge_implIS3_N6thrust23THRUST_200600_302600_NS6detail15normal_iteratorINS9_10device_ptrIjEEEEPS5_m11less_div_10IjEEE10hipError_tT0_T1_T2_jT3_P12ihipStream_tbPNSt15iterator_traitsISJ_E10value_typeEPNSP_ISK_E10value_typeEPSL_NS1_7vsmem_tEENKUlT_SJ_SK_SL_E_clIPjSE_SF_SF_EESI_SY_SJ_SK_SL_EUlSY_E_NS1_11comp_targetILNS1_3genE0ELNS1_11target_archE4294967295ELNS1_3gpuE0ELNS1_3repE0EEENS1_48merge_mergepath_partition_config_static_selectorELNS0_4arch9wavefront6targetE0EEEvSK_.has_recursion, 0
	.set _ZN7rocprim17ROCPRIM_400000_NS6detail17trampoline_kernelINS0_14default_configENS1_38merge_sort_block_merge_config_selectorIjNS0_10empty_typeEEEZZNS1_27merge_sort_block_merge_implIS3_N6thrust23THRUST_200600_302600_NS6detail15normal_iteratorINS9_10device_ptrIjEEEEPS5_m11less_div_10IjEEE10hipError_tT0_T1_T2_jT3_P12ihipStream_tbPNSt15iterator_traitsISJ_E10value_typeEPNSP_ISK_E10value_typeEPSL_NS1_7vsmem_tEENKUlT_SJ_SK_SL_E_clIPjSE_SF_SF_EESI_SY_SJ_SK_SL_EUlSY_E_NS1_11comp_targetILNS1_3genE0ELNS1_11target_archE4294967295ELNS1_3gpuE0ELNS1_3repE0EEENS1_48merge_mergepath_partition_config_static_selectorELNS0_4arch9wavefront6targetE0EEEvSK_.has_indirect_call, 0
	.section	.AMDGPU.csdata,"",@progbits
; Kernel info:
; codeLenInByte = 0
; TotalNumSgprs: 0
; NumVgprs: 0
; ScratchSize: 0
; MemoryBound: 0
; FloatMode: 240
; IeeeMode: 1
; LDSByteSize: 0 bytes/workgroup (compile time only)
; SGPRBlocks: 0
; VGPRBlocks: 0
; NumSGPRsForWavesPerEU: 1
; NumVGPRsForWavesPerEU: 1
; Occupancy: 16
; WaveLimiterHint : 0
; COMPUTE_PGM_RSRC2:SCRATCH_EN: 0
; COMPUTE_PGM_RSRC2:USER_SGPR: 6
; COMPUTE_PGM_RSRC2:TRAP_HANDLER: 0
; COMPUTE_PGM_RSRC2:TGID_X_EN: 1
; COMPUTE_PGM_RSRC2:TGID_Y_EN: 0
; COMPUTE_PGM_RSRC2:TGID_Z_EN: 0
; COMPUTE_PGM_RSRC2:TIDIG_COMP_CNT: 0
	.section	.text._ZN7rocprim17ROCPRIM_400000_NS6detail17trampoline_kernelINS0_14default_configENS1_38merge_sort_block_merge_config_selectorIjNS0_10empty_typeEEEZZNS1_27merge_sort_block_merge_implIS3_N6thrust23THRUST_200600_302600_NS6detail15normal_iteratorINS9_10device_ptrIjEEEEPS5_m11less_div_10IjEEE10hipError_tT0_T1_T2_jT3_P12ihipStream_tbPNSt15iterator_traitsISJ_E10value_typeEPNSP_ISK_E10value_typeEPSL_NS1_7vsmem_tEENKUlT_SJ_SK_SL_E_clIPjSE_SF_SF_EESI_SY_SJ_SK_SL_EUlSY_E_NS1_11comp_targetILNS1_3genE10ELNS1_11target_archE1201ELNS1_3gpuE5ELNS1_3repE0EEENS1_48merge_mergepath_partition_config_static_selectorELNS0_4arch9wavefront6targetE0EEEvSK_,"axG",@progbits,_ZN7rocprim17ROCPRIM_400000_NS6detail17trampoline_kernelINS0_14default_configENS1_38merge_sort_block_merge_config_selectorIjNS0_10empty_typeEEEZZNS1_27merge_sort_block_merge_implIS3_N6thrust23THRUST_200600_302600_NS6detail15normal_iteratorINS9_10device_ptrIjEEEEPS5_m11less_div_10IjEEE10hipError_tT0_T1_T2_jT3_P12ihipStream_tbPNSt15iterator_traitsISJ_E10value_typeEPNSP_ISK_E10value_typeEPSL_NS1_7vsmem_tEENKUlT_SJ_SK_SL_E_clIPjSE_SF_SF_EESI_SY_SJ_SK_SL_EUlSY_E_NS1_11comp_targetILNS1_3genE10ELNS1_11target_archE1201ELNS1_3gpuE5ELNS1_3repE0EEENS1_48merge_mergepath_partition_config_static_selectorELNS0_4arch9wavefront6targetE0EEEvSK_,comdat
	.protected	_ZN7rocprim17ROCPRIM_400000_NS6detail17trampoline_kernelINS0_14default_configENS1_38merge_sort_block_merge_config_selectorIjNS0_10empty_typeEEEZZNS1_27merge_sort_block_merge_implIS3_N6thrust23THRUST_200600_302600_NS6detail15normal_iteratorINS9_10device_ptrIjEEEEPS5_m11less_div_10IjEEE10hipError_tT0_T1_T2_jT3_P12ihipStream_tbPNSt15iterator_traitsISJ_E10value_typeEPNSP_ISK_E10value_typeEPSL_NS1_7vsmem_tEENKUlT_SJ_SK_SL_E_clIPjSE_SF_SF_EESI_SY_SJ_SK_SL_EUlSY_E_NS1_11comp_targetILNS1_3genE10ELNS1_11target_archE1201ELNS1_3gpuE5ELNS1_3repE0EEENS1_48merge_mergepath_partition_config_static_selectorELNS0_4arch9wavefront6targetE0EEEvSK_ ; -- Begin function _ZN7rocprim17ROCPRIM_400000_NS6detail17trampoline_kernelINS0_14default_configENS1_38merge_sort_block_merge_config_selectorIjNS0_10empty_typeEEEZZNS1_27merge_sort_block_merge_implIS3_N6thrust23THRUST_200600_302600_NS6detail15normal_iteratorINS9_10device_ptrIjEEEEPS5_m11less_div_10IjEEE10hipError_tT0_T1_T2_jT3_P12ihipStream_tbPNSt15iterator_traitsISJ_E10value_typeEPNSP_ISK_E10value_typeEPSL_NS1_7vsmem_tEENKUlT_SJ_SK_SL_E_clIPjSE_SF_SF_EESI_SY_SJ_SK_SL_EUlSY_E_NS1_11comp_targetILNS1_3genE10ELNS1_11target_archE1201ELNS1_3gpuE5ELNS1_3repE0EEENS1_48merge_mergepath_partition_config_static_selectorELNS0_4arch9wavefront6targetE0EEEvSK_
	.globl	_ZN7rocprim17ROCPRIM_400000_NS6detail17trampoline_kernelINS0_14default_configENS1_38merge_sort_block_merge_config_selectorIjNS0_10empty_typeEEEZZNS1_27merge_sort_block_merge_implIS3_N6thrust23THRUST_200600_302600_NS6detail15normal_iteratorINS9_10device_ptrIjEEEEPS5_m11less_div_10IjEEE10hipError_tT0_T1_T2_jT3_P12ihipStream_tbPNSt15iterator_traitsISJ_E10value_typeEPNSP_ISK_E10value_typeEPSL_NS1_7vsmem_tEENKUlT_SJ_SK_SL_E_clIPjSE_SF_SF_EESI_SY_SJ_SK_SL_EUlSY_E_NS1_11comp_targetILNS1_3genE10ELNS1_11target_archE1201ELNS1_3gpuE5ELNS1_3repE0EEENS1_48merge_mergepath_partition_config_static_selectorELNS0_4arch9wavefront6targetE0EEEvSK_
	.p2align	8
	.type	_ZN7rocprim17ROCPRIM_400000_NS6detail17trampoline_kernelINS0_14default_configENS1_38merge_sort_block_merge_config_selectorIjNS0_10empty_typeEEEZZNS1_27merge_sort_block_merge_implIS3_N6thrust23THRUST_200600_302600_NS6detail15normal_iteratorINS9_10device_ptrIjEEEEPS5_m11less_div_10IjEEE10hipError_tT0_T1_T2_jT3_P12ihipStream_tbPNSt15iterator_traitsISJ_E10value_typeEPNSP_ISK_E10value_typeEPSL_NS1_7vsmem_tEENKUlT_SJ_SK_SL_E_clIPjSE_SF_SF_EESI_SY_SJ_SK_SL_EUlSY_E_NS1_11comp_targetILNS1_3genE10ELNS1_11target_archE1201ELNS1_3gpuE5ELNS1_3repE0EEENS1_48merge_mergepath_partition_config_static_selectorELNS0_4arch9wavefront6targetE0EEEvSK_,@function
_ZN7rocprim17ROCPRIM_400000_NS6detail17trampoline_kernelINS0_14default_configENS1_38merge_sort_block_merge_config_selectorIjNS0_10empty_typeEEEZZNS1_27merge_sort_block_merge_implIS3_N6thrust23THRUST_200600_302600_NS6detail15normal_iteratorINS9_10device_ptrIjEEEEPS5_m11less_div_10IjEEE10hipError_tT0_T1_T2_jT3_P12ihipStream_tbPNSt15iterator_traitsISJ_E10value_typeEPNSP_ISK_E10value_typeEPSL_NS1_7vsmem_tEENKUlT_SJ_SK_SL_E_clIPjSE_SF_SF_EESI_SY_SJ_SK_SL_EUlSY_E_NS1_11comp_targetILNS1_3genE10ELNS1_11target_archE1201ELNS1_3gpuE5ELNS1_3repE0EEENS1_48merge_mergepath_partition_config_static_selectorELNS0_4arch9wavefront6targetE0EEEvSK_: ; @_ZN7rocprim17ROCPRIM_400000_NS6detail17trampoline_kernelINS0_14default_configENS1_38merge_sort_block_merge_config_selectorIjNS0_10empty_typeEEEZZNS1_27merge_sort_block_merge_implIS3_N6thrust23THRUST_200600_302600_NS6detail15normal_iteratorINS9_10device_ptrIjEEEEPS5_m11less_div_10IjEEE10hipError_tT0_T1_T2_jT3_P12ihipStream_tbPNSt15iterator_traitsISJ_E10value_typeEPNSP_ISK_E10value_typeEPSL_NS1_7vsmem_tEENKUlT_SJ_SK_SL_E_clIPjSE_SF_SF_EESI_SY_SJ_SK_SL_EUlSY_E_NS1_11comp_targetILNS1_3genE10ELNS1_11target_archE1201ELNS1_3gpuE5ELNS1_3repE0EEENS1_48merge_mergepath_partition_config_static_selectorELNS0_4arch9wavefront6targetE0EEEvSK_
; %bb.0:
	.section	.rodata,"a",@progbits
	.p2align	6, 0x0
	.amdhsa_kernel _ZN7rocprim17ROCPRIM_400000_NS6detail17trampoline_kernelINS0_14default_configENS1_38merge_sort_block_merge_config_selectorIjNS0_10empty_typeEEEZZNS1_27merge_sort_block_merge_implIS3_N6thrust23THRUST_200600_302600_NS6detail15normal_iteratorINS9_10device_ptrIjEEEEPS5_m11less_div_10IjEEE10hipError_tT0_T1_T2_jT3_P12ihipStream_tbPNSt15iterator_traitsISJ_E10value_typeEPNSP_ISK_E10value_typeEPSL_NS1_7vsmem_tEENKUlT_SJ_SK_SL_E_clIPjSE_SF_SF_EESI_SY_SJ_SK_SL_EUlSY_E_NS1_11comp_targetILNS1_3genE10ELNS1_11target_archE1201ELNS1_3gpuE5ELNS1_3repE0EEENS1_48merge_mergepath_partition_config_static_selectorELNS0_4arch9wavefront6targetE0EEEvSK_
		.amdhsa_group_segment_fixed_size 0
		.amdhsa_private_segment_fixed_size 0
		.amdhsa_kernarg_size 48
		.amdhsa_user_sgpr_count 6
		.amdhsa_user_sgpr_private_segment_buffer 1
		.amdhsa_user_sgpr_dispatch_ptr 0
		.amdhsa_user_sgpr_queue_ptr 0
		.amdhsa_user_sgpr_kernarg_segment_ptr 1
		.amdhsa_user_sgpr_dispatch_id 0
		.amdhsa_user_sgpr_flat_scratch_init 0
		.amdhsa_user_sgpr_private_segment_size 0
		.amdhsa_wavefront_size32 1
		.amdhsa_uses_dynamic_stack 0
		.amdhsa_system_sgpr_private_segment_wavefront_offset 0
		.amdhsa_system_sgpr_workgroup_id_x 1
		.amdhsa_system_sgpr_workgroup_id_y 0
		.amdhsa_system_sgpr_workgroup_id_z 0
		.amdhsa_system_sgpr_workgroup_info 0
		.amdhsa_system_vgpr_workitem_id 0
		.amdhsa_next_free_vgpr 1
		.amdhsa_next_free_sgpr 1
		.amdhsa_reserve_vcc 0
		.amdhsa_reserve_flat_scratch 0
		.amdhsa_float_round_mode_32 0
		.amdhsa_float_round_mode_16_64 0
		.amdhsa_float_denorm_mode_32 3
		.amdhsa_float_denorm_mode_16_64 3
		.amdhsa_dx10_clamp 1
		.amdhsa_ieee_mode 1
		.amdhsa_fp16_overflow 0
		.amdhsa_workgroup_processor_mode 1
		.amdhsa_memory_ordered 1
		.amdhsa_forward_progress 1
		.amdhsa_shared_vgpr_count 0
		.amdhsa_exception_fp_ieee_invalid_op 0
		.amdhsa_exception_fp_denorm_src 0
		.amdhsa_exception_fp_ieee_div_zero 0
		.amdhsa_exception_fp_ieee_overflow 0
		.amdhsa_exception_fp_ieee_underflow 0
		.amdhsa_exception_fp_ieee_inexact 0
		.amdhsa_exception_int_div_zero 0
	.end_amdhsa_kernel
	.section	.text._ZN7rocprim17ROCPRIM_400000_NS6detail17trampoline_kernelINS0_14default_configENS1_38merge_sort_block_merge_config_selectorIjNS0_10empty_typeEEEZZNS1_27merge_sort_block_merge_implIS3_N6thrust23THRUST_200600_302600_NS6detail15normal_iteratorINS9_10device_ptrIjEEEEPS5_m11less_div_10IjEEE10hipError_tT0_T1_T2_jT3_P12ihipStream_tbPNSt15iterator_traitsISJ_E10value_typeEPNSP_ISK_E10value_typeEPSL_NS1_7vsmem_tEENKUlT_SJ_SK_SL_E_clIPjSE_SF_SF_EESI_SY_SJ_SK_SL_EUlSY_E_NS1_11comp_targetILNS1_3genE10ELNS1_11target_archE1201ELNS1_3gpuE5ELNS1_3repE0EEENS1_48merge_mergepath_partition_config_static_selectorELNS0_4arch9wavefront6targetE0EEEvSK_,"axG",@progbits,_ZN7rocprim17ROCPRIM_400000_NS6detail17trampoline_kernelINS0_14default_configENS1_38merge_sort_block_merge_config_selectorIjNS0_10empty_typeEEEZZNS1_27merge_sort_block_merge_implIS3_N6thrust23THRUST_200600_302600_NS6detail15normal_iteratorINS9_10device_ptrIjEEEEPS5_m11less_div_10IjEEE10hipError_tT0_T1_T2_jT3_P12ihipStream_tbPNSt15iterator_traitsISJ_E10value_typeEPNSP_ISK_E10value_typeEPSL_NS1_7vsmem_tEENKUlT_SJ_SK_SL_E_clIPjSE_SF_SF_EESI_SY_SJ_SK_SL_EUlSY_E_NS1_11comp_targetILNS1_3genE10ELNS1_11target_archE1201ELNS1_3gpuE5ELNS1_3repE0EEENS1_48merge_mergepath_partition_config_static_selectorELNS0_4arch9wavefront6targetE0EEEvSK_,comdat
.Lfunc_end148:
	.size	_ZN7rocprim17ROCPRIM_400000_NS6detail17trampoline_kernelINS0_14default_configENS1_38merge_sort_block_merge_config_selectorIjNS0_10empty_typeEEEZZNS1_27merge_sort_block_merge_implIS3_N6thrust23THRUST_200600_302600_NS6detail15normal_iteratorINS9_10device_ptrIjEEEEPS5_m11less_div_10IjEEE10hipError_tT0_T1_T2_jT3_P12ihipStream_tbPNSt15iterator_traitsISJ_E10value_typeEPNSP_ISK_E10value_typeEPSL_NS1_7vsmem_tEENKUlT_SJ_SK_SL_E_clIPjSE_SF_SF_EESI_SY_SJ_SK_SL_EUlSY_E_NS1_11comp_targetILNS1_3genE10ELNS1_11target_archE1201ELNS1_3gpuE5ELNS1_3repE0EEENS1_48merge_mergepath_partition_config_static_selectorELNS0_4arch9wavefront6targetE0EEEvSK_, .Lfunc_end148-_ZN7rocprim17ROCPRIM_400000_NS6detail17trampoline_kernelINS0_14default_configENS1_38merge_sort_block_merge_config_selectorIjNS0_10empty_typeEEEZZNS1_27merge_sort_block_merge_implIS3_N6thrust23THRUST_200600_302600_NS6detail15normal_iteratorINS9_10device_ptrIjEEEEPS5_m11less_div_10IjEEE10hipError_tT0_T1_T2_jT3_P12ihipStream_tbPNSt15iterator_traitsISJ_E10value_typeEPNSP_ISK_E10value_typeEPSL_NS1_7vsmem_tEENKUlT_SJ_SK_SL_E_clIPjSE_SF_SF_EESI_SY_SJ_SK_SL_EUlSY_E_NS1_11comp_targetILNS1_3genE10ELNS1_11target_archE1201ELNS1_3gpuE5ELNS1_3repE0EEENS1_48merge_mergepath_partition_config_static_selectorELNS0_4arch9wavefront6targetE0EEEvSK_
                                        ; -- End function
	.set _ZN7rocprim17ROCPRIM_400000_NS6detail17trampoline_kernelINS0_14default_configENS1_38merge_sort_block_merge_config_selectorIjNS0_10empty_typeEEEZZNS1_27merge_sort_block_merge_implIS3_N6thrust23THRUST_200600_302600_NS6detail15normal_iteratorINS9_10device_ptrIjEEEEPS5_m11less_div_10IjEEE10hipError_tT0_T1_T2_jT3_P12ihipStream_tbPNSt15iterator_traitsISJ_E10value_typeEPNSP_ISK_E10value_typeEPSL_NS1_7vsmem_tEENKUlT_SJ_SK_SL_E_clIPjSE_SF_SF_EESI_SY_SJ_SK_SL_EUlSY_E_NS1_11comp_targetILNS1_3genE10ELNS1_11target_archE1201ELNS1_3gpuE5ELNS1_3repE0EEENS1_48merge_mergepath_partition_config_static_selectorELNS0_4arch9wavefront6targetE0EEEvSK_.num_vgpr, 0
	.set _ZN7rocprim17ROCPRIM_400000_NS6detail17trampoline_kernelINS0_14default_configENS1_38merge_sort_block_merge_config_selectorIjNS0_10empty_typeEEEZZNS1_27merge_sort_block_merge_implIS3_N6thrust23THRUST_200600_302600_NS6detail15normal_iteratorINS9_10device_ptrIjEEEEPS5_m11less_div_10IjEEE10hipError_tT0_T1_T2_jT3_P12ihipStream_tbPNSt15iterator_traitsISJ_E10value_typeEPNSP_ISK_E10value_typeEPSL_NS1_7vsmem_tEENKUlT_SJ_SK_SL_E_clIPjSE_SF_SF_EESI_SY_SJ_SK_SL_EUlSY_E_NS1_11comp_targetILNS1_3genE10ELNS1_11target_archE1201ELNS1_3gpuE5ELNS1_3repE0EEENS1_48merge_mergepath_partition_config_static_selectorELNS0_4arch9wavefront6targetE0EEEvSK_.num_agpr, 0
	.set _ZN7rocprim17ROCPRIM_400000_NS6detail17trampoline_kernelINS0_14default_configENS1_38merge_sort_block_merge_config_selectorIjNS0_10empty_typeEEEZZNS1_27merge_sort_block_merge_implIS3_N6thrust23THRUST_200600_302600_NS6detail15normal_iteratorINS9_10device_ptrIjEEEEPS5_m11less_div_10IjEEE10hipError_tT0_T1_T2_jT3_P12ihipStream_tbPNSt15iterator_traitsISJ_E10value_typeEPNSP_ISK_E10value_typeEPSL_NS1_7vsmem_tEENKUlT_SJ_SK_SL_E_clIPjSE_SF_SF_EESI_SY_SJ_SK_SL_EUlSY_E_NS1_11comp_targetILNS1_3genE10ELNS1_11target_archE1201ELNS1_3gpuE5ELNS1_3repE0EEENS1_48merge_mergepath_partition_config_static_selectorELNS0_4arch9wavefront6targetE0EEEvSK_.numbered_sgpr, 0
	.set _ZN7rocprim17ROCPRIM_400000_NS6detail17trampoline_kernelINS0_14default_configENS1_38merge_sort_block_merge_config_selectorIjNS0_10empty_typeEEEZZNS1_27merge_sort_block_merge_implIS3_N6thrust23THRUST_200600_302600_NS6detail15normal_iteratorINS9_10device_ptrIjEEEEPS5_m11less_div_10IjEEE10hipError_tT0_T1_T2_jT3_P12ihipStream_tbPNSt15iterator_traitsISJ_E10value_typeEPNSP_ISK_E10value_typeEPSL_NS1_7vsmem_tEENKUlT_SJ_SK_SL_E_clIPjSE_SF_SF_EESI_SY_SJ_SK_SL_EUlSY_E_NS1_11comp_targetILNS1_3genE10ELNS1_11target_archE1201ELNS1_3gpuE5ELNS1_3repE0EEENS1_48merge_mergepath_partition_config_static_selectorELNS0_4arch9wavefront6targetE0EEEvSK_.num_named_barrier, 0
	.set _ZN7rocprim17ROCPRIM_400000_NS6detail17trampoline_kernelINS0_14default_configENS1_38merge_sort_block_merge_config_selectorIjNS0_10empty_typeEEEZZNS1_27merge_sort_block_merge_implIS3_N6thrust23THRUST_200600_302600_NS6detail15normal_iteratorINS9_10device_ptrIjEEEEPS5_m11less_div_10IjEEE10hipError_tT0_T1_T2_jT3_P12ihipStream_tbPNSt15iterator_traitsISJ_E10value_typeEPNSP_ISK_E10value_typeEPSL_NS1_7vsmem_tEENKUlT_SJ_SK_SL_E_clIPjSE_SF_SF_EESI_SY_SJ_SK_SL_EUlSY_E_NS1_11comp_targetILNS1_3genE10ELNS1_11target_archE1201ELNS1_3gpuE5ELNS1_3repE0EEENS1_48merge_mergepath_partition_config_static_selectorELNS0_4arch9wavefront6targetE0EEEvSK_.private_seg_size, 0
	.set _ZN7rocprim17ROCPRIM_400000_NS6detail17trampoline_kernelINS0_14default_configENS1_38merge_sort_block_merge_config_selectorIjNS0_10empty_typeEEEZZNS1_27merge_sort_block_merge_implIS3_N6thrust23THRUST_200600_302600_NS6detail15normal_iteratorINS9_10device_ptrIjEEEEPS5_m11less_div_10IjEEE10hipError_tT0_T1_T2_jT3_P12ihipStream_tbPNSt15iterator_traitsISJ_E10value_typeEPNSP_ISK_E10value_typeEPSL_NS1_7vsmem_tEENKUlT_SJ_SK_SL_E_clIPjSE_SF_SF_EESI_SY_SJ_SK_SL_EUlSY_E_NS1_11comp_targetILNS1_3genE10ELNS1_11target_archE1201ELNS1_3gpuE5ELNS1_3repE0EEENS1_48merge_mergepath_partition_config_static_selectorELNS0_4arch9wavefront6targetE0EEEvSK_.uses_vcc, 0
	.set _ZN7rocprim17ROCPRIM_400000_NS6detail17trampoline_kernelINS0_14default_configENS1_38merge_sort_block_merge_config_selectorIjNS0_10empty_typeEEEZZNS1_27merge_sort_block_merge_implIS3_N6thrust23THRUST_200600_302600_NS6detail15normal_iteratorINS9_10device_ptrIjEEEEPS5_m11less_div_10IjEEE10hipError_tT0_T1_T2_jT3_P12ihipStream_tbPNSt15iterator_traitsISJ_E10value_typeEPNSP_ISK_E10value_typeEPSL_NS1_7vsmem_tEENKUlT_SJ_SK_SL_E_clIPjSE_SF_SF_EESI_SY_SJ_SK_SL_EUlSY_E_NS1_11comp_targetILNS1_3genE10ELNS1_11target_archE1201ELNS1_3gpuE5ELNS1_3repE0EEENS1_48merge_mergepath_partition_config_static_selectorELNS0_4arch9wavefront6targetE0EEEvSK_.uses_flat_scratch, 0
	.set _ZN7rocprim17ROCPRIM_400000_NS6detail17trampoline_kernelINS0_14default_configENS1_38merge_sort_block_merge_config_selectorIjNS0_10empty_typeEEEZZNS1_27merge_sort_block_merge_implIS3_N6thrust23THRUST_200600_302600_NS6detail15normal_iteratorINS9_10device_ptrIjEEEEPS5_m11less_div_10IjEEE10hipError_tT0_T1_T2_jT3_P12ihipStream_tbPNSt15iterator_traitsISJ_E10value_typeEPNSP_ISK_E10value_typeEPSL_NS1_7vsmem_tEENKUlT_SJ_SK_SL_E_clIPjSE_SF_SF_EESI_SY_SJ_SK_SL_EUlSY_E_NS1_11comp_targetILNS1_3genE10ELNS1_11target_archE1201ELNS1_3gpuE5ELNS1_3repE0EEENS1_48merge_mergepath_partition_config_static_selectorELNS0_4arch9wavefront6targetE0EEEvSK_.has_dyn_sized_stack, 0
	.set _ZN7rocprim17ROCPRIM_400000_NS6detail17trampoline_kernelINS0_14default_configENS1_38merge_sort_block_merge_config_selectorIjNS0_10empty_typeEEEZZNS1_27merge_sort_block_merge_implIS3_N6thrust23THRUST_200600_302600_NS6detail15normal_iteratorINS9_10device_ptrIjEEEEPS5_m11less_div_10IjEEE10hipError_tT0_T1_T2_jT3_P12ihipStream_tbPNSt15iterator_traitsISJ_E10value_typeEPNSP_ISK_E10value_typeEPSL_NS1_7vsmem_tEENKUlT_SJ_SK_SL_E_clIPjSE_SF_SF_EESI_SY_SJ_SK_SL_EUlSY_E_NS1_11comp_targetILNS1_3genE10ELNS1_11target_archE1201ELNS1_3gpuE5ELNS1_3repE0EEENS1_48merge_mergepath_partition_config_static_selectorELNS0_4arch9wavefront6targetE0EEEvSK_.has_recursion, 0
	.set _ZN7rocprim17ROCPRIM_400000_NS6detail17trampoline_kernelINS0_14default_configENS1_38merge_sort_block_merge_config_selectorIjNS0_10empty_typeEEEZZNS1_27merge_sort_block_merge_implIS3_N6thrust23THRUST_200600_302600_NS6detail15normal_iteratorINS9_10device_ptrIjEEEEPS5_m11less_div_10IjEEE10hipError_tT0_T1_T2_jT3_P12ihipStream_tbPNSt15iterator_traitsISJ_E10value_typeEPNSP_ISK_E10value_typeEPSL_NS1_7vsmem_tEENKUlT_SJ_SK_SL_E_clIPjSE_SF_SF_EESI_SY_SJ_SK_SL_EUlSY_E_NS1_11comp_targetILNS1_3genE10ELNS1_11target_archE1201ELNS1_3gpuE5ELNS1_3repE0EEENS1_48merge_mergepath_partition_config_static_selectorELNS0_4arch9wavefront6targetE0EEEvSK_.has_indirect_call, 0
	.section	.AMDGPU.csdata,"",@progbits
; Kernel info:
; codeLenInByte = 0
; TotalNumSgprs: 0
; NumVgprs: 0
; ScratchSize: 0
; MemoryBound: 0
; FloatMode: 240
; IeeeMode: 1
; LDSByteSize: 0 bytes/workgroup (compile time only)
; SGPRBlocks: 0
; VGPRBlocks: 0
; NumSGPRsForWavesPerEU: 1
; NumVGPRsForWavesPerEU: 1
; Occupancy: 16
; WaveLimiterHint : 0
; COMPUTE_PGM_RSRC2:SCRATCH_EN: 0
; COMPUTE_PGM_RSRC2:USER_SGPR: 6
; COMPUTE_PGM_RSRC2:TRAP_HANDLER: 0
; COMPUTE_PGM_RSRC2:TGID_X_EN: 1
; COMPUTE_PGM_RSRC2:TGID_Y_EN: 0
; COMPUTE_PGM_RSRC2:TGID_Z_EN: 0
; COMPUTE_PGM_RSRC2:TIDIG_COMP_CNT: 0
	.section	.text._ZN7rocprim17ROCPRIM_400000_NS6detail17trampoline_kernelINS0_14default_configENS1_38merge_sort_block_merge_config_selectorIjNS0_10empty_typeEEEZZNS1_27merge_sort_block_merge_implIS3_N6thrust23THRUST_200600_302600_NS6detail15normal_iteratorINS9_10device_ptrIjEEEEPS5_m11less_div_10IjEEE10hipError_tT0_T1_T2_jT3_P12ihipStream_tbPNSt15iterator_traitsISJ_E10value_typeEPNSP_ISK_E10value_typeEPSL_NS1_7vsmem_tEENKUlT_SJ_SK_SL_E_clIPjSE_SF_SF_EESI_SY_SJ_SK_SL_EUlSY_E_NS1_11comp_targetILNS1_3genE5ELNS1_11target_archE942ELNS1_3gpuE9ELNS1_3repE0EEENS1_48merge_mergepath_partition_config_static_selectorELNS0_4arch9wavefront6targetE0EEEvSK_,"axG",@progbits,_ZN7rocprim17ROCPRIM_400000_NS6detail17trampoline_kernelINS0_14default_configENS1_38merge_sort_block_merge_config_selectorIjNS0_10empty_typeEEEZZNS1_27merge_sort_block_merge_implIS3_N6thrust23THRUST_200600_302600_NS6detail15normal_iteratorINS9_10device_ptrIjEEEEPS5_m11less_div_10IjEEE10hipError_tT0_T1_T2_jT3_P12ihipStream_tbPNSt15iterator_traitsISJ_E10value_typeEPNSP_ISK_E10value_typeEPSL_NS1_7vsmem_tEENKUlT_SJ_SK_SL_E_clIPjSE_SF_SF_EESI_SY_SJ_SK_SL_EUlSY_E_NS1_11comp_targetILNS1_3genE5ELNS1_11target_archE942ELNS1_3gpuE9ELNS1_3repE0EEENS1_48merge_mergepath_partition_config_static_selectorELNS0_4arch9wavefront6targetE0EEEvSK_,comdat
	.protected	_ZN7rocprim17ROCPRIM_400000_NS6detail17trampoline_kernelINS0_14default_configENS1_38merge_sort_block_merge_config_selectorIjNS0_10empty_typeEEEZZNS1_27merge_sort_block_merge_implIS3_N6thrust23THRUST_200600_302600_NS6detail15normal_iteratorINS9_10device_ptrIjEEEEPS5_m11less_div_10IjEEE10hipError_tT0_T1_T2_jT3_P12ihipStream_tbPNSt15iterator_traitsISJ_E10value_typeEPNSP_ISK_E10value_typeEPSL_NS1_7vsmem_tEENKUlT_SJ_SK_SL_E_clIPjSE_SF_SF_EESI_SY_SJ_SK_SL_EUlSY_E_NS1_11comp_targetILNS1_3genE5ELNS1_11target_archE942ELNS1_3gpuE9ELNS1_3repE0EEENS1_48merge_mergepath_partition_config_static_selectorELNS0_4arch9wavefront6targetE0EEEvSK_ ; -- Begin function _ZN7rocprim17ROCPRIM_400000_NS6detail17trampoline_kernelINS0_14default_configENS1_38merge_sort_block_merge_config_selectorIjNS0_10empty_typeEEEZZNS1_27merge_sort_block_merge_implIS3_N6thrust23THRUST_200600_302600_NS6detail15normal_iteratorINS9_10device_ptrIjEEEEPS5_m11less_div_10IjEEE10hipError_tT0_T1_T2_jT3_P12ihipStream_tbPNSt15iterator_traitsISJ_E10value_typeEPNSP_ISK_E10value_typeEPSL_NS1_7vsmem_tEENKUlT_SJ_SK_SL_E_clIPjSE_SF_SF_EESI_SY_SJ_SK_SL_EUlSY_E_NS1_11comp_targetILNS1_3genE5ELNS1_11target_archE942ELNS1_3gpuE9ELNS1_3repE0EEENS1_48merge_mergepath_partition_config_static_selectorELNS0_4arch9wavefront6targetE0EEEvSK_
	.globl	_ZN7rocprim17ROCPRIM_400000_NS6detail17trampoline_kernelINS0_14default_configENS1_38merge_sort_block_merge_config_selectorIjNS0_10empty_typeEEEZZNS1_27merge_sort_block_merge_implIS3_N6thrust23THRUST_200600_302600_NS6detail15normal_iteratorINS9_10device_ptrIjEEEEPS5_m11less_div_10IjEEE10hipError_tT0_T1_T2_jT3_P12ihipStream_tbPNSt15iterator_traitsISJ_E10value_typeEPNSP_ISK_E10value_typeEPSL_NS1_7vsmem_tEENKUlT_SJ_SK_SL_E_clIPjSE_SF_SF_EESI_SY_SJ_SK_SL_EUlSY_E_NS1_11comp_targetILNS1_3genE5ELNS1_11target_archE942ELNS1_3gpuE9ELNS1_3repE0EEENS1_48merge_mergepath_partition_config_static_selectorELNS0_4arch9wavefront6targetE0EEEvSK_
	.p2align	8
	.type	_ZN7rocprim17ROCPRIM_400000_NS6detail17trampoline_kernelINS0_14default_configENS1_38merge_sort_block_merge_config_selectorIjNS0_10empty_typeEEEZZNS1_27merge_sort_block_merge_implIS3_N6thrust23THRUST_200600_302600_NS6detail15normal_iteratorINS9_10device_ptrIjEEEEPS5_m11less_div_10IjEEE10hipError_tT0_T1_T2_jT3_P12ihipStream_tbPNSt15iterator_traitsISJ_E10value_typeEPNSP_ISK_E10value_typeEPSL_NS1_7vsmem_tEENKUlT_SJ_SK_SL_E_clIPjSE_SF_SF_EESI_SY_SJ_SK_SL_EUlSY_E_NS1_11comp_targetILNS1_3genE5ELNS1_11target_archE942ELNS1_3gpuE9ELNS1_3repE0EEENS1_48merge_mergepath_partition_config_static_selectorELNS0_4arch9wavefront6targetE0EEEvSK_,@function
_ZN7rocprim17ROCPRIM_400000_NS6detail17trampoline_kernelINS0_14default_configENS1_38merge_sort_block_merge_config_selectorIjNS0_10empty_typeEEEZZNS1_27merge_sort_block_merge_implIS3_N6thrust23THRUST_200600_302600_NS6detail15normal_iteratorINS9_10device_ptrIjEEEEPS5_m11less_div_10IjEEE10hipError_tT0_T1_T2_jT3_P12ihipStream_tbPNSt15iterator_traitsISJ_E10value_typeEPNSP_ISK_E10value_typeEPSL_NS1_7vsmem_tEENKUlT_SJ_SK_SL_E_clIPjSE_SF_SF_EESI_SY_SJ_SK_SL_EUlSY_E_NS1_11comp_targetILNS1_3genE5ELNS1_11target_archE942ELNS1_3gpuE9ELNS1_3repE0EEENS1_48merge_mergepath_partition_config_static_selectorELNS0_4arch9wavefront6targetE0EEEvSK_: ; @_ZN7rocprim17ROCPRIM_400000_NS6detail17trampoline_kernelINS0_14default_configENS1_38merge_sort_block_merge_config_selectorIjNS0_10empty_typeEEEZZNS1_27merge_sort_block_merge_implIS3_N6thrust23THRUST_200600_302600_NS6detail15normal_iteratorINS9_10device_ptrIjEEEEPS5_m11less_div_10IjEEE10hipError_tT0_T1_T2_jT3_P12ihipStream_tbPNSt15iterator_traitsISJ_E10value_typeEPNSP_ISK_E10value_typeEPSL_NS1_7vsmem_tEENKUlT_SJ_SK_SL_E_clIPjSE_SF_SF_EESI_SY_SJ_SK_SL_EUlSY_E_NS1_11comp_targetILNS1_3genE5ELNS1_11target_archE942ELNS1_3gpuE9ELNS1_3repE0EEENS1_48merge_mergepath_partition_config_static_selectorELNS0_4arch9wavefront6targetE0EEEvSK_
; %bb.0:
	.section	.rodata,"a",@progbits
	.p2align	6, 0x0
	.amdhsa_kernel _ZN7rocprim17ROCPRIM_400000_NS6detail17trampoline_kernelINS0_14default_configENS1_38merge_sort_block_merge_config_selectorIjNS0_10empty_typeEEEZZNS1_27merge_sort_block_merge_implIS3_N6thrust23THRUST_200600_302600_NS6detail15normal_iteratorINS9_10device_ptrIjEEEEPS5_m11less_div_10IjEEE10hipError_tT0_T1_T2_jT3_P12ihipStream_tbPNSt15iterator_traitsISJ_E10value_typeEPNSP_ISK_E10value_typeEPSL_NS1_7vsmem_tEENKUlT_SJ_SK_SL_E_clIPjSE_SF_SF_EESI_SY_SJ_SK_SL_EUlSY_E_NS1_11comp_targetILNS1_3genE5ELNS1_11target_archE942ELNS1_3gpuE9ELNS1_3repE0EEENS1_48merge_mergepath_partition_config_static_selectorELNS0_4arch9wavefront6targetE0EEEvSK_
		.amdhsa_group_segment_fixed_size 0
		.amdhsa_private_segment_fixed_size 0
		.amdhsa_kernarg_size 48
		.amdhsa_user_sgpr_count 6
		.amdhsa_user_sgpr_private_segment_buffer 1
		.amdhsa_user_sgpr_dispatch_ptr 0
		.amdhsa_user_sgpr_queue_ptr 0
		.amdhsa_user_sgpr_kernarg_segment_ptr 1
		.amdhsa_user_sgpr_dispatch_id 0
		.amdhsa_user_sgpr_flat_scratch_init 0
		.amdhsa_user_sgpr_private_segment_size 0
		.amdhsa_wavefront_size32 1
		.amdhsa_uses_dynamic_stack 0
		.amdhsa_system_sgpr_private_segment_wavefront_offset 0
		.amdhsa_system_sgpr_workgroup_id_x 1
		.amdhsa_system_sgpr_workgroup_id_y 0
		.amdhsa_system_sgpr_workgroup_id_z 0
		.amdhsa_system_sgpr_workgroup_info 0
		.amdhsa_system_vgpr_workitem_id 0
		.amdhsa_next_free_vgpr 1
		.amdhsa_next_free_sgpr 1
		.amdhsa_reserve_vcc 0
		.amdhsa_reserve_flat_scratch 0
		.amdhsa_float_round_mode_32 0
		.amdhsa_float_round_mode_16_64 0
		.amdhsa_float_denorm_mode_32 3
		.amdhsa_float_denorm_mode_16_64 3
		.amdhsa_dx10_clamp 1
		.amdhsa_ieee_mode 1
		.amdhsa_fp16_overflow 0
		.amdhsa_workgroup_processor_mode 1
		.amdhsa_memory_ordered 1
		.amdhsa_forward_progress 1
		.amdhsa_shared_vgpr_count 0
		.amdhsa_exception_fp_ieee_invalid_op 0
		.amdhsa_exception_fp_denorm_src 0
		.amdhsa_exception_fp_ieee_div_zero 0
		.amdhsa_exception_fp_ieee_overflow 0
		.amdhsa_exception_fp_ieee_underflow 0
		.amdhsa_exception_fp_ieee_inexact 0
		.amdhsa_exception_int_div_zero 0
	.end_amdhsa_kernel
	.section	.text._ZN7rocprim17ROCPRIM_400000_NS6detail17trampoline_kernelINS0_14default_configENS1_38merge_sort_block_merge_config_selectorIjNS0_10empty_typeEEEZZNS1_27merge_sort_block_merge_implIS3_N6thrust23THRUST_200600_302600_NS6detail15normal_iteratorINS9_10device_ptrIjEEEEPS5_m11less_div_10IjEEE10hipError_tT0_T1_T2_jT3_P12ihipStream_tbPNSt15iterator_traitsISJ_E10value_typeEPNSP_ISK_E10value_typeEPSL_NS1_7vsmem_tEENKUlT_SJ_SK_SL_E_clIPjSE_SF_SF_EESI_SY_SJ_SK_SL_EUlSY_E_NS1_11comp_targetILNS1_3genE5ELNS1_11target_archE942ELNS1_3gpuE9ELNS1_3repE0EEENS1_48merge_mergepath_partition_config_static_selectorELNS0_4arch9wavefront6targetE0EEEvSK_,"axG",@progbits,_ZN7rocprim17ROCPRIM_400000_NS6detail17trampoline_kernelINS0_14default_configENS1_38merge_sort_block_merge_config_selectorIjNS0_10empty_typeEEEZZNS1_27merge_sort_block_merge_implIS3_N6thrust23THRUST_200600_302600_NS6detail15normal_iteratorINS9_10device_ptrIjEEEEPS5_m11less_div_10IjEEE10hipError_tT0_T1_T2_jT3_P12ihipStream_tbPNSt15iterator_traitsISJ_E10value_typeEPNSP_ISK_E10value_typeEPSL_NS1_7vsmem_tEENKUlT_SJ_SK_SL_E_clIPjSE_SF_SF_EESI_SY_SJ_SK_SL_EUlSY_E_NS1_11comp_targetILNS1_3genE5ELNS1_11target_archE942ELNS1_3gpuE9ELNS1_3repE0EEENS1_48merge_mergepath_partition_config_static_selectorELNS0_4arch9wavefront6targetE0EEEvSK_,comdat
.Lfunc_end149:
	.size	_ZN7rocprim17ROCPRIM_400000_NS6detail17trampoline_kernelINS0_14default_configENS1_38merge_sort_block_merge_config_selectorIjNS0_10empty_typeEEEZZNS1_27merge_sort_block_merge_implIS3_N6thrust23THRUST_200600_302600_NS6detail15normal_iteratorINS9_10device_ptrIjEEEEPS5_m11less_div_10IjEEE10hipError_tT0_T1_T2_jT3_P12ihipStream_tbPNSt15iterator_traitsISJ_E10value_typeEPNSP_ISK_E10value_typeEPSL_NS1_7vsmem_tEENKUlT_SJ_SK_SL_E_clIPjSE_SF_SF_EESI_SY_SJ_SK_SL_EUlSY_E_NS1_11comp_targetILNS1_3genE5ELNS1_11target_archE942ELNS1_3gpuE9ELNS1_3repE0EEENS1_48merge_mergepath_partition_config_static_selectorELNS0_4arch9wavefront6targetE0EEEvSK_, .Lfunc_end149-_ZN7rocprim17ROCPRIM_400000_NS6detail17trampoline_kernelINS0_14default_configENS1_38merge_sort_block_merge_config_selectorIjNS0_10empty_typeEEEZZNS1_27merge_sort_block_merge_implIS3_N6thrust23THRUST_200600_302600_NS6detail15normal_iteratorINS9_10device_ptrIjEEEEPS5_m11less_div_10IjEEE10hipError_tT0_T1_T2_jT3_P12ihipStream_tbPNSt15iterator_traitsISJ_E10value_typeEPNSP_ISK_E10value_typeEPSL_NS1_7vsmem_tEENKUlT_SJ_SK_SL_E_clIPjSE_SF_SF_EESI_SY_SJ_SK_SL_EUlSY_E_NS1_11comp_targetILNS1_3genE5ELNS1_11target_archE942ELNS1_3gpuE9ELNS1_3repE0EEENS1_48merge_mergepath_partition_config_static_selectorELNS0_4arch9wavefront6targetE0EEEvSK_
                                        ; -- End function
	.set _ZN7rocprim17ROCPRIM_400000_NS6detail17trampoline_kernelINS0_14default_configENS1_38merge_sort_block_merge_config_selectorIjNS0_10empty_typeEEEZZNS1_27merge_sort_block_merge_implIS3_N6thrust23THRUST_200600_302600_NS6detail15normal_iteratorINS9_10device_ptrIjEEEEPS5_m11less_div_10IjEEE10hipError_tT0_T1_T2_jT3_P12ihipStream_tbPNSt15iterator_traitsISJ_E10value_typeEPNSP_ISK_E10value_typeEPSL_NS1_7vsmem_tEENKUlT_SJ_SK_SL_E_clIPjSE_SF_SF_EESI_SY_SJ_SK_SL_EUlSY_E_NS1_11comp_targetILNS1_3genE5ELNS1_11target_archE942ELNS1_3gpuE9ELNS1_3repE0EEENS1_48merge_mergepath_partition_config_static_selectorELNS0_4arch9wavefront6targetE0EEEvSK_.num_vgpr, 0
	.set _ZN7rocprim17ROCPRIM_400000_NS6detail17trampoline_kernelINS0_14default_configENS1_38merge_sort_block_merge_config_selectorIjNS0_10empty_typeEEEZZNS1_27merge_sort_block_merge_implIS3_N6thrust23THRUST_200600_302600_NS6detail15normal_iteratorINS9_10device_ptrIjEEEEPS5_m11less_div_10IjEEE10hipError_tT0_T1_T2_jT3_P12ihipStream_tbPNSt15iterator_traitsISJ_E10value_typeEPNSP_ISK_E10value_typeEPSL_NS1_7vsmem_tEENKUlT_SJ_SK_SL_E_clIPjSE_SF_SF_EESI_SY_SJ_SK_SL_EUlSY_E_NS1_11comp_targetILNS1_3genE5ELNS1_11target_archE942ELNS1_3gpuE9ELNS1_3repE0EEENS1_48merge_mergepath_partition_config_static_selectorELNS0_4arch9wavefront6targetE0EEEvSK_.num_agpr, 0
	.set _ZN7rocprim17ROCPRIM_400000_NS6detail17trampoline_kernelINS0_14default_configENS1_38merge_sort_block_merge_config_selectorIjNS0_10empty_typeEEEZZNS1_27merge_sort_block_merge_implIS3_N6thrust23THRUST_200600_302600_NS6detail15normal_iteratorINS9_10device_ptrIjEEEEPS5_m11less_div_10IjEEE10hipError_tT0_T1_T2_jT3_P12ihipStream_tbPNSt15iterator_traitsISJ_E10value_typeEPNSP_ISK_E10value_typeEPSL_NS1_7vsmem_tEENKUlT_SJ_SK_SL_E_clIPjSE_SF_SF_EESI_SY_SJ_SK_SL_EUlSY_E_NS1_11comp_targetILNS1_3genE5ELNS1_11target_archE942ELNS1_3gpuE9ELNS1_3repE0EEENS1_48merge_mergepath_partition_config_static_selectorELNS0_4arch9wavefront6targetE0EEEvSK_.numbered_sgpr, 0
	.set _ZN7rocprim17ROCPRIM_400000_NS6detail17trampoline_kernelINS0_14default_configENS1_38merge_sort_block_merge_config_selectorIjNS0_10empty_typeEEEZZNS1_27merge_sort_block_merge_implIS3_N6thrust23THRUST_200600_302600_NS6detail15normal_iteratorINS9_10device_ptrIjEEEEPS5_m11less_div_10IjEEE10hipError_tT0_T1_T2_jT3_P12ihipStream_tbPNSt15iterator_traitsISJ_E10value_typeEPNSP_ISK_E10value_typeEPSL_NS1_7vsmem_tEENKUlT_SJ_SK_SL_E_clIPjSE_SF_SF_EESI_SY_SJ_SK_SL_EUlSY_E_NS1_11comp_targetILNS1_3genE5ELNS1_11target_archE942ELNS1_3gpuE9ELNS1_3repE0EEENS1_48merge_mergepath_partition_config_static_selectorELNS0_4arch9wavefront6targetE0EEEvSK_.num_named_barrier, 0
	.set _ZN7rocprim17ROCPRIM_400000_NS6detail17trampoline_kernelINS0_14default_configENS1_38merge_sort_block_merge_config_selectorIjNS0_10empty_typeEEEZZNS1_27merge_sort_block_merge_implIS3_N6thrust23THRUST_200600_302600_NS6detail15normal_iteratorINS9_10device_ptrIjEEEEPS5_m11less_div_10IjEEE10hipError_tT0_T1_T2_jT3_P12ihipStream_tbPNSt15iterator_traitsISJ_E10value_typeEPNSP_ISK_E10value_typeEPSL_NS1_7vsmem_tEENKUlT_SJ_SK_SL_E_clIPjSE_SF_SF_EESI_SY_SJ_SK_SL_EUlSY_E_NS1_11comp_targetILNS1_3genE5ELNS1_11target_archE942ELNS1_3gpuE9ELNS1_3repE0EEENS1_48merge_mergepath_partition_config_static_selectorELNS0_4arch9wavefront6targetE0EEEvSK_.private_seg_size, 0
	.set _ZN7rocprim17ROCPRIM_400000_NS6detail17trampoline_kernelINS0_14default_configENS1_38merge_sort_block_merge_config_selectorIjNS0_10empty_typeEEEZZNS1_27merge_sort_block_merge_implIS3_N6thrust23THRUST_200600_302600_NS6detail15normal_iteratorINS9_10device_ptrIjEEEEPS5_m11less_div_10IjEEE10hipError_tT0_T1_T2_jT3_P12ihipStream_tbPNSt15iterator_traitsISJ_E10value_typeEPNSP_ISK_E10value_typeEPSL_NS1_7vsmem_tEENKUlT_SJ_SK_SL_E_clIPjSE_SF_SF_EESI_SY_SJ_SK_SL_EUlSY_E_NS1_11comp_targetILNS1_3genE5ELNS1_11target_archE942ELNS1_3gpuE9ELNS1_3repE0EEENS1_48merge_mergepath_partition_config_static_selectorELNS0_4arch9wavefront6targetE0EEEvSK_.uses_vcc, 0
	.set _ZN7rocprim17ROCPRIM_400000_NS6detail17trampoline_kernelINS0_14default_configENS1_38merge_sort_block_merge_config_selectorIjNS0_10empty_typeEEEZZNS1_27merge_sort_block_merge_implIS3_N6thrust23THRUST_200600_302600_NS6detail15normal_iteratorINS9_10device_ptrIjEEEEPS5_m11less_div_10IjEEE10hipError_tT0_T1_T2_jT3_P12ihipStream_tbPNSt15iterator_traitsISJ_E10value_typeEPNSP_ISK_E10value_typeEPSL_NS1_7vsmem_tEENKUlT_SJ_SK_SL_E_clIPjSE_SF_SF_EESI_SY_SJ_SK_SL_EUlSY_E_NS1_11comp_targetILNS1_3genE5ELNS1_11target_archE942ELNS1_3gpuE9ELNS1_3repE0EEENS1_48merge_mergepath_partition_config_static_selectorELNS0_4arch9wavefront6targetE0EEEvSK_.uses_flat_scratch, 0
	.set _ZN7rocprim17ROCPRIM_400000_NS6detail17trampoline_kernelINS0_14default_configENS1_38merge_sort_block_merge_config_selectorIjNS0_10empty_typeEEEZZNS1_27merge_sort_block_merge_implIS3_N6thrust23THRUST_200600_302600_NS6detail15normal_iteratorINS9_10device_ptrIjEEEEPS5_m11less_div_10IjEEE10hipError_tT0_T1_T2_jT3_P12ihipStream_tbPNSt15iterator_traitsISJ_E10value_typeEPNSP_ISK_E10value_typeEPSL_NS1_7vsmem_tEENKUlT_SJ_SK_SL_E_clIPjSE_SF_SF_EESI_SY_SJ_SK_SL_EUlSY_E_NS1_11comp_targetILNS1_3genE5ELNS1_11target_archE942ELNS1_3gpuE9ELNS1_3repE0EEENS1_48merge_mergepath_partition_config_static_selectorELNS0_4arch9wavefront6targetE0EEEvSK_.has_dyn_sized_stack, 0
	.set _ZN7rocprim17ROCPRIM_400000_NS6detail17trampoline_kernelINS0_14default_configENS1_38merge_sort_block_merge_config_selectorIjNS0_10empty_typeEEEZZNS1_27merge_sort_block_merge_implIS3_N6thrust23THRUST_200600_302600_NS6detail15normal_iteratorINS9_10device_ptrIjEEEEPS5_m11less_div_10IjEEE10hipError_tT0_T1_T2_jT3_P12ihipStream_tbPNSt15iterator_traitsISJ_E10value_typeEPNSP_ISK_E10value_typeEPSL_NS1_7vsmem_tEENKUlT_SJ_SK_SL_E_clIPjSE_SF_SF_EESI_SY_SJ_SK_SL_EUlSY_E_NS1_11comp_targetILNS1_3genE5ELNS1_11target_archE942ELNS1_3gpuE9ELNS1_3repE0EEENS1_48merge_mergepath_partition_config_static_selectorELNS0_4arch9wavefront6targetE0EEEvSK_.has_recursion, 0
	.set _ZN7rocprim17ROCPRIM_400000_NS6detail17trampoline_kernelINS0_14default_configENS1_38merge_sort_block_merge_config_selectorIjNS0_10empty_typeEEEZZNS1_27merge_sort_block_merge_implIS3_N6thrust23THRUST_200600_302600_NS6detail15normal_iteratorINS9_10device_ptrIjEEEEPS5_m11less_div_10IjEEE10hipError_tT0_T1_T2_jT3_P12ihipStream_tbPNSt15iterator_traitsISJ_E10value_typeEPNSP_ISK_E10value_typeEPSL_NS1_7vsmem_tEENKUlT_SJ_SK_SL_E_clIPjSE_SF_SF_EESI_SY_SJ_SK_SL_EUlSY_E_NS1_11comp_targetILNS1_3genE5ELNS1_11target_archE942ELNS1_3gpuE9ELNS1_3repE0EEENS1_48merge_mergepath_partition_config_static_selectorELNS0_4arch9wavefront6targetE0EEEvSK_.has_indirect_call, 0
	.section	.AMDGPU.csdata,"",@progbits
; Kernel info:
; codeLenInByte = 0
; TotalNumSgprs: 0
; NumVgprs: 0
; ScratchSize: 0
; MemoryBound: 0
; FloatMode: 240
; IeeeMode: 1
; LDSByteSize: 0 bytes/workgroup (compile time only)
; SGPRBlocks: 0
; VGPRBlocks: 0
; NumSGPRsForWavesPerEU: 1
; NumVGPRsForWavesPerEU: 1
; Occupancy: 16
; WaveLimiterHint : 0
; COMPUTE_PGM_RSRC2:SCRATCH_EN: 0
; COMPUTE_PGM_RSRC2:USER_SGPR: 6
; COMPUTE_PGM_RSRC2:TRAP_HANDLER: 0
; COMPUTE_PGM_RSRC2:TGID_X_EN: 1
; COMPUTE_PGM_RSRC2:TGID_Y_EN: 0
; COMPUTE_PGM_RSRC2:TGID_Z_EN: 0
; COMPUTE_PGM_RSRC2:TIDIG_COMP_CNT: 0
	.section	.text._ZN7rocprim17ROCPRIM_400000_NS6detail17trampoline_kernelINS0_14default_configENS1_38merge_sort_block_merge_config_selectorIjNS0_10empty_typeEEEZZNS1_27merge_sort_block_merge_implIS3_N6thrust23THRUST_200600_302600_NS6detail15normal_iteratorINS9_10device_ptrIjEEEEPS5_m11less_div_10IjEEE10hipError_tT0_T1_T2_jT3_P12ihipStream_tbPNSt15iterator_traitsISJ_E10value_typeEPNSP_ISK_E10value_typeEPSL_NS1_7vsmem_tEENKUlT_SJ_SK_SL_E_clIPjSE_SF_SF_EESI_SY_SJ_SK_SL_EUlSY_E_NS1_11comp_targetILNS1_3genE4ELNS1_11target_archE910ELNS1_3gpuE8ELNS1_3repE0EEENS1_48merge_mergepath_partition_config_static_selectorELNS0_4arch9wavefront6targetE0EEEvSK_,"axG",@progbits,_ZN7rocprim17ROCPRIM_400000_NS6detail17trampoline_kernelINS0_14default_configENS1_38merge_sort_block_merge_config_selectorIjNS0_10empty_typeEEEZZNS1_27merge_sort_block_merge_implIS3_N6thrust23THRUST_200600_302600_NS6detail15normal_iteratorINS9_10device_ptrIjEEEEPS5_m11less_div_10IjEEE10hipError_tT0_T1_T2_jT3_P12ihipStream_tbPNSt15iterator_traitsISJ_E10value_typeEPNSP_ISK_E10value_typeEPSL_NS1_7vsmem_tEENKUlT_SJ_SK_SL_E_clIPjSE_SF_SF_EESI_SY_SJ_SK_SL_EUlSY_E_NS1_11comp_targetILNS1_3genE4ELNS1_11target_archE910ELNS1_3gpuE8ELNS1_3repE0EEENS1_48merge_mergepath_partition_config_static_selectorELNS0_4arch9wavefront6targetE0EEEvSK_,comdat
	.protected	_ZN7rocprim17ROCPRIM_400000_NS6detail17trampoline_kernelINS0_14default_configENS1_38merge_sort_block_merge_config_selectorIjNS0_10empty_typeEEEZZNS1_27merge_sort_block_merge_implIS3_N6thrust23THRUST_200600_302600_NS6detail15normal_iteratorINS9_10device_ptrIjEEEEPS5_m11less_div_10IjEEE10hipError_tT0_T1_T2_jT3_P12ihipStream_tbPNSt15iterator_traitsISJ_E10value_typeEPNSP_ISK_E10value_typeEPSL_NS1_7vsmem_tEENKUlT_SJ_SK_SL_E_clIPjSE_SF_SF_EESI_SY_SJ_SK_SL_EUlSY_E_NS1_11comp_targetILNS1_3genE4ELNS1_11target_archE910ELNS1_3gpuE8ELNS1_3repE0EEENS1_48merge_mergepath_partition_config_static_selectorELNS0_4arch9wavefront6targetE0EEEvSK_ ; -- Begin function _ZN7rocprim17ROCPRIM_400000_NS6detail17trampoline_kernelINS0_14default_configENS1_38merge_sort_block_merge_config_selectorIjNS0_10empty_typeEEEZZNS1_27merge_sort_block_merge_implIS3_N6thrust23THRUST_200600_302600_NS6detail15normal_iteratorINS9_10device_ptrIjEEEEPS5_m11less_div_10IjEEE10hipError_tT0_T1_T2_jT3_P12ihipStream_tbPNSt15iterator_traitsISJ_E10value_typeEPNSP_ISK_E10value_typeEPSL_NS1_7vsmem_tEENKUlT_SJ_SK_SL_E_clIPjSE_SF_SF_EESI_SY_SJ_SK_SL_EUlSY_E_NS1_11comp_targetILNS1_3genE4ELNS1_11target_archE910ELNS1_3gpuE8ELNS1_3repE0EEENS1_48merge_mergepath_partition_config_static_selectorELNS0_4arch9wavefront6targetE0EEEvSK_
	.globl	_ZN7rocprim17ROCPRIM_400000_NS6detail17trampoline_kernelINS0_14default_configENS1_38merge_sort_block_merge_config_selectorIjNS0_10empty_typeEEEZZNS1_27merge_sort_block_merge_implIS3_N6thrust23THRUST_200600_302600_NS6detail15normal_iteratorINS9_10device_ptrIjEEEEPS5_m11less_div_10IjEEE10hipError_tT0_T1_T2_jT3_P12ihipStream_tbPNSt15iterator_traitsISJ_E10value_typeEPNSP_ISK_E10value_typeEPSL_NS1_7vsmem_tEENKUlT_SJ_SK_SL_E_clIPjSE_SF_SF_EESI_SY_SJ_SK_SL_EUlSY_E_NS1_11comp_targetILNS1_3genE4ELNS1_11target_archE910ELNS1_3gpuE8ELNS1_3repE0EEENS1_48merge_mergepath_partition_config_static_selectorELNS0_4arch9wavefront6targetE0EEEvSK_
	.p2align	8
	.type	_ZN7rocprim17ROCPRIM_400000_NS6detail17trampoline_kernelINS0_14default_configENS1_38merge_sort_block_merge_config_selectorIjNS0_10empty_typeEEEZZNS1_27merge_sort_block_merge_implIS3_N6thrust23THRUST_200600_302600_NS6detail15normal_iteratorINS9_10device_ptrIjEEEEPS5_m11less_div_10IjEEE10hipError_tT0_T1_T2_jT3_P12ihipStream_tbPNSt15iterator_traitsISJ_E10value_typeEPNSP_ISK_E10value_typeEPSL_NS1_7vsmem_tEENKUlT_SJ_SK_SL_E_clIPjSE_SF_SF_EESI_SY_SJ_SK_SL_EUlSY_E_NS1_11comp_targetILNS1_3genE4ELNS1_11target_archE910ELNS1_3gpuE8ELNS1_3repE0EEENS1_48merge_mergepath_partition_config_static_selectorELNS0_4arch9wavefront6targetE0EEEvSK_,@function
_ZN7rocprim17ROCPRIM_400000_NS6detail17trampoline_kernelINS0_14default_configENS1_38merge_sort_block_merge_config_selectorIjNS0_10empty_typeEEEZZNS1_27merge_sort_block_merge_implIS3_N6thrust23THRUST_200600_302600_NS6detail15normal_iteratorINS9_10device_ptrIjEEEEPS5_m11less_div_10IjEEE10hipError_tT0_T1_T2_jT3_P12ihipStream_tbPNSt15iterator_traitsISJ_E10value_typeEPNSP_ISK_E10value_typeEPSL_NS1_7vsmem_tEENKUlT_SJ_SK_SL_E_clIPjSE_SF_SF_EESI_SY_SJ_SK_SL_EUlSY_E_NS1_11comp_targetILNS1_3genE4ELNS1_11target_archE910ELNS1_3gpuE8ELNS1_3repE0EEENS1_48merge_mergepath_partition_config_static_selectorELNS0_4arch9wavefront6targetE0EEEvSK_: ; @_ZN7rocprim17ROCPRIM_400000_NS6detail17trampoline_kernelINS0_14default_configENS1_38merge_sort_block_merge_config_selectorIjNS0_10empty_typeEEEZZNS1_27merge_sort_block_merge_implIS3_N6thrust23THRUST_200600_302600_NS6detail15normal_iteratorINS9_10device_ptrIjEEEEPS5_m11less_div_10IjEEE10hipError_tT0_T1_T2_jT3_P12ihipStream_tbPNSt15iterator_traitsISJ_E10value_typeEPNSP_ISK_E10value_typeEPSL_NS1_7vsmem_tEENKUlT_SJ_SK_SL_E_clIPjSE_SF_SF_EESI_SY_SJ_SK_SL_EUlSY_E_NS1_11comp_targetILNS1_3genE4ELNS1_11target_archE910ELNS1_3gpuE8ELNS1_3repE0EEENS1_48merge_mergepath_partition_config_static_selectorELNS0_4arch9wavefront6targetE0EEEvSK_
; %bb.0:
	.section	.rodata,"a",@progbits
	.p2align	6, 0x0
	.amdhsa_kernel _ZN7rocprim17ROCPRIM_400000_NS6detail17trampoline_kernelINS0_14default_configENS1_38merge_sort_block_merge_config_selectorIjNS0_10empty_typeEEEZZNS1_27merge_sort_block_merge_implIS3_N6thrust23THRUST_200600_302600_NS6detail15normal_iteratorINS9_10device_ptrIjEEEEPS5_m11less_div_10IjEEE10hipError_tT0_T1_T2_jT3_P12ihipStream_tbPNSt15iterator_traitsISJ_E10value_typeEPNSP_ISK_E10value_typeEPSL_NS1_7vsmem_tEENKUlT_SJ_SK_SL_E_clIPjSE_SF_SF_EESI_SY_SJ_SK_SL_EUlSY_E_NS1_11comp_targetILNS1_3genE4ELNS1_11target_archE910ELNS1_3gpuE8ELNS1_3repE0EEENS1_48merge_mergepath_partition_config_static_selectorELNS0_4arch9wavefront6targetE0EEEvSK_
		.amdhsa_group_segment_fixed_size 0
		.amdhsa_private_segment_fixed_size 0
		.amdhsa_kernarg_size 48
		.amdhsa_user_sgpr_count 6
		.amdhsa_user_sgpr_private_segment_buffer 1
		.amdhsa_user_sgpr_dispatch_ptr 0
		.amdhsa_user_sgpr_queue_ptr 0
		.amdhsa_user_sgpr_kernarg_segment_ptr 1
		.amdhsa_user_sgpr_dispatch_id 0
		.amdhsa_user_sgpr_flat_scratch_init 0
		.amdhsa_user_sgpr_private_segment_size 0
		.amdhsa_wavefront_size32 1
		.amdhsa_uses_dynamic_stack 0
		.amdhsa_system_sgpr_private_segment_wavefront_offset 0
		.amdhsa_system_sgpr_workgroup_id_x 1
		.amdhsa_system_sgpr_workgroup_id_y 0
		.amdhsa_system_sgpr_workgroup_id_z 0
		.amdhsa_system_sgpr_workgroup_info 0
		.amdhsa_system_vgpr_workitem_id 0
		.amdhsa_next_free_vgpr 1
		.amdhsa_next_free_sgpr 1
		.amdhsa_reserve_vcc 0
		.amdhsa_reserve_flat_scratch 0
		.amdhsa_float_round_mode_32 0
		.amdhsa_float_round_mode_16_64 0
		.amdhsa_float_denorm_mode_32 3
		.amdhsa_float_denorm_mode_16_64 3
		.amdhsa_dx10_clamp 1
		.amdhsa_ieee_mode 1
		.amdhsa_fp16_overflow 0
		.amdhsa_workgroup_processor_mode 1
		.amdhsa_memory_ordered 1
		.amdhsa_forward_progress 1
		.amdhsa_shared_vgpr_count 0
		.amdhsa_exception_fp_ieee_invalid_op 0
		.amdhsa_exception_fp_denorm_src 0
		.amdhsa_exception_fp_ieee_div_zero 0
		.amdhsa_exception_fp_ieee_overflow 0
		.amdhsa_exception_fp_ieee_underflow 0
		.amdhsa_exception_fp_ieee_inexact 0
		.amdhsa_exception_int_div_zero 0
	.end_amdhsa_kernel
	.section	.text._ZN7rocprim17ROCPRIM_400000_NS6detail17trampoline_kernelINS0_14default_configENS1_38merge_sort_block_merge_config_selectorIjNS0_10empty_typeEEEZZNS1_27merge_sort_block_merge_implIS3_N6thrust23THRUST_200600_302600_NS6detail15normal_iteratorINS9_10device_ptrIjEEEEPS5_m11less_div_10IjEEE10hipError_tT0_T1_T2_jT3_P12ihipStream_tbPNSt15iterator_traitsISJ_E10value_typeEPNSP_ISK_E10value_typeEPSL_NS1_7vsmem_tEENKUlT_SJ_SK_SL_E_clIPjSE_SF_SF_EESI_SY_SJ_SK_SL_EUlSY_E_NS1_11comp_targetILNS1_3genE4ELNS1_11target_archE910ELNS1_3gpuE8ELNS1_3repE0EEENS1_48merge_mergepath_partition_config_static_selectorELNS0_4arch9wavefront6targetE0EEEvSK_,"axG",@progbits,_ZN7rocprim17ROCPRIM_400000_NS6detail17trampoline_kernelINS0_14default_configENS1_38merge_sort_block_merge_config_selectorIjNS0_10empty_typeEEEZZNS1_27merge_sort_block_merge_implIS3_N6thrust23THRUST_200600_302600_NS6detail15normal_iteratorINS9_10device_ptrIjEEEEPS5_m11less_div_10IjEEE10hipError_tT0_T1_T2_jT3_P12ihipStream_tbPNSt15iterator_traitsISJ_E10value_typeEPNSP_ISK_E10value_typeEPSL_NS1_7vsmem_tEENKUlT_SJ_SK_SL_E_clIPjSE_SF_SF_EESI_SY_SJ_SK_SL_EUlSY_E_NS1_11comp_targetILNS1_3genE4ELNS1_11target_archE910ELNS1_3gpuE8ELNS1_3repE0EEENS1_48merge_mergepath_partition_config_static_selectorELNS0_4arch9wavefront6targetE0EEEvSK_,comdat
.Lfunc_end150:
	.size	_ZN7rocprim17ROCPRIM_400000_NS6detail17trampoline_kernelINS0_14default_configENS1_38merge_sort_block_merge_config_selectorIjNS0_10empty_typeEEEZZNS1_27merge_sort_block_merge_implIS3_N6thrust23THRUST_200600_302600_NS6detail15normal_iteratorINS9_10device_ptrIjEEEEPS5_m11less_div_10IjEEE10hipError_tT0_T1_T2_jT3_P12ihipStream_tbPNSt15iterator_traitsISJ_E10value_typeEPNSP_ISK_E10value_typeEPSL_NS1_7vsmem_tEENKUlT_SJ_SK_SL_E_clIPjSE_SF_SF_EESI_SY_SJ_SK_SL_EUlSY_E_NS1_11comp_targetILNS1_3genE4ELNS1_11target_archE910ELNS1_3gpuE8ELNS1_3repE0EEENS1_48merge_mergepath_partition_config_static_selectorELNS0_4arch9wavefront6targetE0EEEvSK_, .Lfunc_end150-_ZN7rocprim17ROCPRIM_400000_NS6detail17trampoline_kernelINS0_14default_configENS1_38merge_sort_block_merge_config_selectorIjNS0_10empty_typeEEEZZNS1_27merge_sort_block_merge_implIS3_N6thrust23THRUST_200600_302600_NS6detail15normal_iteratorINS9_10device_ptrIjEEEEPS5_m11less_div_10IjEEE10hipError_tT0_T1_T2_jT3_P12ihipStream_tbPNSt15iterator_traitsISJ_E10value_typeEPNSP_ISK_E10value_typeEPSL_NS1_7vsmem_tEENKUlT_SJ_SK_SL_E_clIPjSE_SF_SF_EESI_SY_SJ_SK_SL_EUlSY_E_NS1_11comp_targetILNS1_3genE4ELNS1_11target_archE910ELNS1_3gpuE8ELNS1_3repE0EEENS1_48merge_mergepath_partition_config_static_selectorELNS0_4arch9wavefront6targetE0EEEvSK_
                                        ; -- End function
	.set _ZN7rocprim17ROCPRIM_400000_NS6detail17trampoline_kernelINS0_14default_configENS1_38merge_sort_block_merge_config_selectorIjNS0_10empty_typeEEEZZNS1_27merge_sort_block_merge_implIS3_N6thrust23THRUST_200600_302600_NS6detail15normal_iteratorINS9_10device_ptrIjEEEEPS5_m11less_div_10IjEEE10hipError_tT0_T1_T2_jT3_P12ihipStream_tbPNSt15iterator_traitsISJ_E10value_typeEPNSP_ISK_E10value_typeEPSL_NS1_7vsmem_tEENKUlT_SJ_SK_SL_E_clIPjSE_SF_SF_EESI_SY_SJ_SK_SL_EUlSY_E_NS1_11comp_targetILNS1_3genE4ELNS1_11target_archE910ELNS1_3gpuE8ELNS1_3repE0EEENS1_48merge_mergepath_partition_config_static_selectorELNS0_4arch9wavefront6targetE0EEEvSK_.num_vgpr, 0
	.set _ZN7rocprim17ROCPRIM_400000_NS6detail17trampoline_kernelINS0_14default_configENS1_38merge_sort_block_merge_config_selectorIjNS0_10empty_typeEEEZZNS1_27merge_sort_block_merge_implIS3_N6thrust23THRUST_200600_302600_NS6detail15normal_iteratorINS9_10device_ptrIjEEEEPS5_m11less_div_10IjEEE10hipError_tT0_T1_T2_jT3_P12ihipStream_tbPNSt15iterator_traitsISJ_E10value_typeEPNSP_ISK_E10value_typeEPSL_NS1_7vsmem_tEENKUlT_SJ_SK_SL_E_clIPjSE_SF_SF_EESI_SY_SJ_SK_SL_EUlSY_E_NS1_11comp_targetILNS1_3genE4ELNS1_11target_archE910ELNS1_3gpuE8ELNS1_3repE0EEENS1_48merge_mergepath_partition_config_static_selectorELNS0_4arch9wavefront6targetE0EEEvSK_.num_agpr, 0
	.set _ZN7rocprim17ROCPRIM_400000_NS6detail17trampoline_kernelINS0_14default_configENS1_38merge_sort_block_merge_config_selectorIjNS0_10empty_typeEEEZZNS1_27merge_sort_block_merge_implIS3_N6thrust23THRUST_200600_302600_NS6detail15normal_iteratorINS9_10device_ptrIjEEEEPS5_m11less_div_10IjEEE10hipError_tT0_T1_T2_jT3_P12ihipStream_tbPNSt15iterator_traitsISJ_E10value_typeEPNSP_ISK_E10value_typeEPSL_NS1_7vsmem_tEENKUlT_SJ_SK_SL_E_clIPjSE_SF_SF_EESI_SY_SJ_SK_SL_EUlSY_E_NS1_11comp_targetILNS1_3genE4ELNS1_11target_archE910ELNS1_3gpuE8ELNS1_3repE0EEENS1_48merge_mergepath_partition_config_static_selectorELNS0_4arch9wavefront6targetE0EEEvSK_.numbered_sgpr, 0
	.set _ZN7rocprim17ROCPRIM_400000_NS6detail17trampoline_kernelINS0_14default_configENS1_38merge_sort_block_merge_config_selectorIjNS0_10empty_typeEEEZZNS1_27merge_sort_block_merge_implIS3_N6thrust23THRUST_200600_302600_NS6detail15normal_iteratorINS9_10device_ptrIjEEEEPS5_m11less_div_10IjEEE10hipError_tT0_T1_T2_jT3_P12ihipStream_tbPNSt15iterator_traitsISJ_E10value_typeEPNSP_ISK_E10value_typeEPSL_NS1_7vsmem_tEENKUlT_SJ_SK_SL_E_clIPjSE_SF_SF_EESI_SY_SJ_SK_SL_EUlSY_E_NS1_11comp_targetILNS1_3genE4ELNS1_11target_archE910ELNS1_3gpuE8ELNS1_3repE0EEENS1_48merge_mergepath_partition_config_static_selectorELNS0_4arch9wavefront6targetE0EEEvSK_.num_named_barrier, 0
	.set _ZN7rocprim17ROCPRIM_400000_NS6detail17trampoline_kernelINS0_14default_configENS1_38merge_sort_block_merge_config_selectorIjNS0_10empty_typeEEEZZNS1_27merge_sort_block_merge_implIS3_N6thrust23THRUST_200600_302600_NS6detail15normal_iteratorINS9_10device_ptrIjEEEEPS5_m11less_div_10IjEEE10hipError_tT0_T1_T2_jT3_P12ihipStream_tbPNSt15iterator_traitsISJ_E10value_typeEPNSP_ISK_E10value_typeEPSL_NS1_7vsmem_tEENKUlT_SJ_SK_SL_E_clIPjSE_SF_SF_EESI_SY_SJ_SK_SL_EUlSY_E_NS1_11comp_targetILNS1_3genE4ELNS1_11target_archE910ELNS1_3gpuE8ELNS1_3repE0EEENS1_48merge_mergepath_partition_config_static_selectorELNS0_4arch9wavefront6targetE0EEEvSK_.private_seg_size, 0
	.set _ZN7rocprim17ROCPRIM_400000_NS6detail17trampoline_kernelINS0_14default_configENS1_38merge_sort_block_merge_config_selectorIjNS0_10empty_typeEEEZZNS1_27merge_sort_block_merge_implIS3_N6thrust23THRUST_200600_302600_NS6detail15normal_iteratorINS9_10device_ptrIjEEEEPS5_m11less_div_10IjEEE10hipError_tT0_T1_T2_jT3_P12ihipStream_tbPNSt15iterator_traitsISJ_E10value_typeEPNSP_ISK_E10value_typeEPSL_NS1_7vsmem_tEENKUlT_SJ_SK_SL_E_clIPjSE_SF_SF_EESI_SY_SJ_SK_SL_EUlSY_E_NS1_11comp_targetILNS1_3genE4ELNS1_11target_archE910ELNS1_3gpuE8ELNS1_3repE0EEENS1_48merge_mergepath_partition_config_static_selectorELNS0_4arch9wavefront6targetE0EEEvSK_.uses_vcc, 0
	.set _ZN7rocprim17ROCPRIM_400000_NS6detail17trampoline_kernelINS0_14default_configENS1_38merge_sort_block_merge_config_selectorIjNS0_10empty_typeEEEZZNS1_27merge_sort_block_merge_implIS3_N6thrust23THRUST_200600_302600_NS6detail15normal_iteratorINS9_10device_ptrIjEEEEPS5_m11less_div_10IjEEE10hipError_tT0_T1_T2_jT3_P12ihipStream_tbPNSt15iterator_traitsISJ_E10value_typeEPNSP_ISK_E10value_typeEPSL_NS1_7vsmem_tEENKUlT_SJ_SK_SL_E_clIPjSE_SF_SF_EESI_SY_SJ_SK_SL_EUlSY_E_NS1_11comp_targetILNS1_3genE4ELNS1_11target_archE910ELNS1_3gpuE8ELNS1_3repE0EEENS1_48merge_mergepath_partition_config_static_selectorELNS0_4arch9wavefront6targetE0EEEvSK_.uses_flat_scratch, 0
	.set _ZN7rocprim17ROCPRIM_400000_NS6detail17trampoline_kernelINS0_14default_configENS1_38merge_sort_block_merge_config_selectorIjNS0_10empty_typeEEEZZNS1_27merge_sort_block_merge_implIS3_N6thrust23THRUST_200600_302600_NS6detail15normal_iteratorINS9_10device_ptrIjEEEEPS5_m11less_div_10IjEEE10hipError_tT0_T1_T2_jT3_P12ihipStream_tbPNSt15iterator_traitsISJ_E10value_typeEPNSP_ISK_E10value_typeEPSL_NS1_7vsmem_tEENKUlT_SJ_SK_SL_E_clIPjSE_SF_SF_EESI_SY_SJ_SK_SL_EUlSY_E_NS1_11comp_targetILNS1_3genE4ELNS1_11target_archE910ELNS1_3gpuE8ELNS1_3repE0EEENS1_48merge_mergepath_partition_config_static_selectorELNS0_4arch9wavefront6targetE0EEEvSK_.has_dyn_sized_stack, 0
	.set _ZN7rocprim17ROCPRIM_400000_NS6detail17trampoline_kernelINS0_14default_configENS1_38merge_sort_block_merge_config_selectorIjNS0_10empty_typeEEEZZNS1_27merge_sort_block_merge_implIS3_N6thrust23THRUST_200600_302600_NS6detail15normal_iteratorINS9_10device_ptrIjEEEEPS5_m11less_div_10IjEEE10hipError_tT0_T1_T2_jT3_P12ihipStream_tbPNSt15iterator_traitsISJ_E10value_typeEPNSP_ISK_E10value_typeEPSL_NS1_7vsmem_tEENKUlT_SJ_SK_SL_E_clIPjSE_SF_SF_EESI_SY_SJ_SK_SL_EUlSY_E_NS1_11comp_targetILNS1_3genE4ELNS1_11target_archE910ELNS1_3gpuE8ELNS1_3repE0EEENS1_48merge_mergepath_partition_config_static_selectorELNS0_4arch9wavefront6targetE0EEEvSK_.has_recursion, 0
	.set _ZN7rocprim17ROCPRIM_400000_NS6detail17trampoline_kernelINS0_14default_configENS1_38merge_sort_block_merge_config_selectorIjNS0_10empty_typeEEEZZNS1_27merge_sort_block_merge_implIS3_N6thrust23THRUST_200600_302600_NS6detail15normal_iteratorINS9_10device_ptrIjEEEEPS5_m11less_div_10IjEEE10hipError_tT0_T1_T2_jT3_P12ihipStream_tbPNSt15iterator_traitsISJ_E10value_typeEPNSP_ISK_E10value_typeEPSL_NS1_7vsmem_tEENKUlT_SJ_SK_SL_E_clIPjSE_SF_SF_EESI_SY_SJ_SK_SL_EUlSY_E_NS1_11comp_targetILNS1_3genE4ELNS1_11target_archE910ELNS1_3gpuE8ELNS1_3repE0EEENS1_48merge_mergepath_partition_config_static_selectorELNS0_4arch9wavefront6targetE0EEEvSK_.has_indirect_call, 0
	.section	.AMDGPU.csdata,"",@progbits
; Kernel info:
; codeLenInByte = 0
; TotalNumSgprs: 0
; NumVgprs: 0
; ScratchSize: 0
; MemoryBound: 0
; FloatMode: 240
; IeeeMode: 1
; LDSByteSize: 0 bytes/workgroup (compile time only)
; SGPRBlocks: 0
; VGPRBlocks: 0
; NumSGPRsForWavesPerEU: 1
; NumVGPRsForWavesPerEU: 1
; Occupancy: 16
; WaveLimiterHint : 0
; COMPUTE_PGM_RSRC2:SCRATCH_EN: 0
; COMPUTE_PGM_RSRC2:USER_SGPR: 6
; COMPUTE_PGM_RSRC2:TRAP_HANDLER: 0
; COMPUTE_PGM_RSRC2:TGID_X_EN: 1
; COMPUTE_PGM_RSRC2:TGID_Y_EN: 0
; COMPUTE_PGM_RSRC2:TGID_Z_EN: 0
; COMPUTE_PGM_RSRC2:TIDIG_COMP_CNT: 0
	.section	.text._ZN7rocprim17ROCPRIM_400000_NS6detail17trampoline_kernelINS0_14default_configENS1_38merge_sort_block_merge_config_selectorIjNS0_10empty_typeEEEZZNS1_27merge_sort_block_merge_implIS3_N6thrust23THRUST_200600_302600_NS6detail15normal_iteratorINS9_10device_ptrIjEEEEPS5_m11less_div_10IjEEE10hipError_tT0_T1_T2_jT3_P12ihipStream_tbPNSt15iterator_traitsISJ_E10value_typeEPNSP_ISK_E10value_typeEPSL_NS1_7vsmem_tEENKUlT_SJ_SK_SL_E_clIPjSE_SF_SF_EESI_SY_SJ_SK_SL_EUlSY_E_NS1_11comp_targetILNS1_3genE3ELNS1_11target_archE908ELNS1_3gpuE7ELNS1_3repE0EEENS1_48merge_mergepath_partition_config_static_selectorELNS0_4arch9wavefront6targetE0EEEvSK_,"axG",@progbits,_ZN7rocprim17ROCPRIM_400000_NS6detail17trampoline_kernelINS0_14default_configENS1_38merge_sort_block_merge_config_selectorIjNS0_10empty_typeEEEZZNS1_27merge_sort_block_merge_implIS3_N6thrust23THRUST_200600_302600_NS6detail15normal_iteratorINS9_10device_ptrIjEEEEPS5_m11less_div_10IjEEE10hipError_tT0_T1_T2_jT3_P12ihipStream_tbPNSt15iterator_traitsISJ_E10value_typeEPNSP_ISK_E10value_typeEPSL_NS1_7vsmem_tEENKUlT_SJ_SK_SL_E_clIPjSE_SF_SF_EESI_SY_SJ_SK_SL_EUlSY_E_NS1_11comp_targetILNS1_3genE3ELNS1_11target_archE908ELNS1_3gpuE7ELNS1_3repE0EEENS1_48merge_mergepath_partition_config_static_selectorELNS0_4arch9wavefront6targetE0EEEvSK_,comdat
	.protected	_ZN7rocprim17ROCPRIM_400000_NS6detail17trampoline_kernelINS0_14default_configENS1_38merge_sort_block_merge_config_selectorIjNS0_10empty_typeEEEZZNS1_27merge_sort_block_merge_implIS3_N6thrust23THRUST_200600_302600_NS6detail15normal_iteratorINS9_10device_ptrIjEEEEPS5_m11less_div_10IjEEE10hipError_tT0_T1_T2_jT3_P12ihipStream_tbPNSt15iterator_traitsISJ_E10value_typeEPNSP_ISK_E10value_typeEPSL_NS1_7vsmem_tEENKUlT_SJ_SK_SL_E_clIPjSE_SF_SF_EESI_SY_SJ_SK_SL_EUlSY_E_NS1_11comp_targetILNS1_3genE3ELNS1_11target_archE908ELNS1_3gpuE7ELNS1_3repE0EEENS1_48merge_mergepath_partition_config_static_selectorELNS0_4arch9wavefront6targetE0EEEvSK_ ; -- Begin function _ZN7rocprim17ROCPRIM_400000_NS6detail17trampoline_kernelINS0_14default_configENS1_38merge_sort_block_merge_config_selectorIjNS0_10empty_typeEEEZZNS1_27merge_sort_block_merge_implIS3_N6thrust23THRUST_200600_302600_NS6detail15normal_iteratorINS9_10device_ptrIjEEEEPS5_m11less_div_10IjEEE10hipError_tT0_T1_T2_jT3_P12ihipStream_tbPNSt15iterator_traitsISJ_E10value_typeEPNSP_ISK_E10value_typeEPSL_NS1_7vsmem_tEENKUlT_SJ_SK_SL_E_clIPjSE_SF_SF_EESI_SY_SJ_SK_SL_EUlSY_E_NS1_11comp_targetILNS1_3genE3ELNS1_11target_archE908ELNS1_3gpuE7ELNS1_3repE0EEENS1_48merge_mergepath_partition_config_static_selectorELNS0_4arch9wavefront6targetE0EEEvSK_
	.globl	_ZN7rocprim17ROCPRIM_400000_NS6detail17trampoline_kernelINS0_14default_configENS1_38merge_sort_block_merge_config_selectorIjNS0_10empty_typeEEEZZNS1_27merge_sort_block_merge_implIS3_N6thrust23THRUST_200600_302600_NS6detail15normal_iteratorINS9_10device_ptrIjEEEEPS5_m11less_div_10IjEEE10hipError_tT0_T1_T2_jT3_P12ihipStream_tbPNSt15iterator_traitsISJ_E10value_typeEPNSP_ISK_E10value_typeEPSL_NS1_7vsmem_tEENKUlT_SJ_SK_SL_E_clIPjSE_SF_SF_EESI_SY_SJ_SK_SL_EUlSY_E_NS1_11comp_targetILNS1_3genE3ELNS1_11target_archE908ELNS1_3gpuE7ELNS1_3repE0EEENS1_48merge_mergepath_partition_config_static_selectorELNS0_4arch9wavefront6targetE0EEEvSK_
	.p2align	8
	.type	_ZN7rocprim17ROCPRIM_400000_NS6detail17trampoline_kernelINS0_14default_configENS1_38merge_sort_block_merge_config_selectorIjNS0_10empty_typeEEEZZNS1_27merge_sort_block_merge_implIS3_N6thrust23THRUST_200600_302600_NS6detail15normal_iteratorINS9_10device_ptrIjEEEEPS5_m11less_div_10IjEEE10hipError_tT0_T1_T2_jT3_P12ihipStream_tbPNSt15iterator_traitsISJ_E10value_typeEPNSP_ISK_E10value_typeEPSL_NS1_7vsmem_tEENKUlT_SJ_SK_SL_E_clIPjSE_SF_SF_EESI_SY_SJ_SK_SL_EUlSY_E_NS1_11comp_targetILNS1_3genE3ELNS1_11target_archE908ELNS1_3gpuE7ELNS1_3repE0EEENS1_48merge_mergepath_partition_config_static_selectorELNS0_4arch9wavefront6targetE0EEEvSK_,@function
_ZN7rocprim17ROCPRIM_400000_NS6detail17trampoline_kernelINS0_14default_configENS1_38merge_sort_block_merge_config_selectorIjNS0_10empty_typeEEEZZNS1_27merge_sort_block_merge_implIS3_N6thrust23THRUST_200600_302600_NS6detail15normal_iteratorINS9_10device_ptrIjEEEEPS5_m11less_div_10IjEEE10hipError_tT0_T1_T2_jT3_P12ihipStream_tbPNSt15iterator_traitsISJ_E10value_typeEPNSP_ISK_E10value_typeEPSL_NS1_7vsmem_tEENKUlT_SJ_SK_SL_E_clIPjSE_SF_SF_EESI_SY_SJ_SK_SL_EUlSY_E_NS1_11comp_targetILNS1_3genE3ELNS1_11target_archE908ELNS1_3gpuE7ELNS1_3repE0EEENS1_48merge_mergepath_partition_config_static_selectorELNS0_4arch9wavefront6targetE0EEEvSK_: ; @_ZN7rocprim17ROCPRIM_400000_NS6detail17trampoline_kernelINS0_14default_configENS1_38merge_sort_block_merge_config_selectorIjNS0_10empty_typeEEEZZNS1_27merge_sort_block_merge_implIS3_N6thrust23THRUST_200600_302600_NS6detail15normal_iteratorINS9_10device_ptrIjEEEEPS5_m11less_div_10IjEEE10hipError_tT0_T1_T2_jT3_P12ihipStream_tbPNSt15iterator_traitsISJ_E10value_typeEPNSP_ISK_E10value_typeEPSL_NS1_7vsmem_tEENKUlT_SJ_SK_SL_E_clIPjSE_SF_SF_EESI_SY_SJ_SK_SL_EUlSY_E_NS1_11comp_targetILNS1_3genE3ELNS1_11target_archE908ELNS1_3gpuE7ELNS1_3repE0EEENS1_48merge_mergepath_partition_config_static_selectorELNS0_4arch9wavefront6targetE0EEEvSK_
; %bb.0:
	.section	.rodata,"a",@progbits
	.p2align	6, 0x0
	.amdhsa_kernel _ZN7rocprim17ROCPRIM_400000_NS6detail17trampoline_kernelINS0_14default_configENS1_38merge_sort_block_merge_config_selectorIjNS0_10empty_typeEEEZZNS1_27merge_sort_block_merge_implIS3_N6thrust23THRUST_200600_302600_NS6detail15normal_iteratorINS9_10device_ptrIjEEEEPS5_m11less_div_10IjEEE10hipError_tT0_T1_T2_jT3_P12ihipStream_tbPNSt15iterator_traitsISJ_E10value_typeEPNSP_ISK_E10value_typeEPSL_NS1_7vsmem_tEENKUlT_SJ_SK_SL_E_clIPjSE_SF_SF_EESI_SY_SJ_SK_SL_EUlSY_E_NS1_11comp_targetILNS1_3genE3ELNS1_11target_archE908ELNS1_3gpuE7ELNS1_3repE0EEENS1_48merge_mergepath_partition_config_static_selectorELNS0_4arch9wavefront6targetE0EEEvSK_
		.amdhsa_group_segment_fixed_size 0
		.amdhsa_private_segment_fixed_size 0
		.amdhsa_kernarg_size 48
		.amdhsa_user_sgpr_count 6
		.amdhsa_user_sgpr_private_segment_buffer 1
		.amdhsa_user_sgpr_dispatch_ptr 0
		.amdhsa_user_sgpr_queue_ptr 0
		.amdhsa_user_sgpr_kernarg_segment_ptr 1
		.amdhsa_user_sgpr_dispatch_id 0
		.amdhsa_user_sgpr_flat_scratch_init 0
		.amdhsa_user_sgpr_private_segment_size 0
		.amdhsa_wavefront_size32 1
		.amdhsa_uses_dynamic_stack 0
		.amdhsa_system_sgpr_private_segment_wavefront_offset 0
		.amdhsa_system_sgpr_workgroup_id_x 1
		.amdhsa_system_sgpr_workgroup_id_y 0
		.amdhsa_system_sgpr_workgroup_id_z 0
		.amdhsa_system_sgpr_workgroup_info 0
		.amdhsa_system_vgpr_workitem_id 0
		.amdhsa_next_free_vgpr 1
		.amdhsa_next_free_sgpr 1
		.amdhsa_reserve_vcc 0
		.amdhsa_reserve_flat_scratch 0
		.amdhsa_float_round_mode_32 0
		.amdhsa_float_round_mode_16_64 0
		.amdhsa_float_denorm_mode_32 3
		.amdhsa_float_denorm_mode_16_64 3
		.amdhsa_dx10_clamp 1
		.amdhsa_ieee_mode 1
		.amdhsa_fp16_overflow 0
		.amdhsa_workgroup_processor_mode 1
		.amdhsa_memory_ordered 1
		.amdhsa_forward_progress 1
		.amdhsa_shared_vgpr_count 0
		.amdhsa_exception_fp_ieee_invalid_op 0
		.amdhsa_exception_fp_denorm_src 0
		.amdhsa_exception_fp_ieee_div_zero 0
		.amdhsa_exception_fp_ieee_overflow 0
		.amdhsa_exception_fp_ieee_underflow 0
		.amdhsa_exception_fp_ieee_inexact 0
		.amdhsa_exception_int_div_zero 0
	.end_amdhsa_kernel
	.section	.text._ZN7rocprim17ROCPRIM_400000_NS6detail17trampoline_kernelINS0_14default_configENS1_38merge_sort_block_merge_config_selectorIjNS0_10empty_typeEEEZZNS1_27merge_sort_block_merge_implIS3_N6thrust23THRUST_200600_302600_NS6detail15normal_iteratorINS9_10device_ptrIjEEEEPS5_m11less_div_10IjEEE10hipError_tT0_T1_T2_jT3_P12ihipStream_tbPNSt15iterator_traitsISJ_E10value_typeEPNSP_ISK_E10value_typeEPSL_NS1_7vsmem_tEENKUlT_SJ_SK_SL_E_clIPjSE_SF_SF_EESI_SY_SJ_SK_SL_EUlSY_E_NS1_11comp_targetILNS1_3genE3ELNS1_11target_archE908ELNS1_3gpuE7ELNS1_3repE0EEENS1_48merge_mergepath_partition_config_static_selectorELNS0_4arch9wavefront6targetE0EEEvSK_,"axG",@progbits,_ZN7rocprim17ROCPRIM_400000_NS6detail17trampoline_kernelINS0_14default_configENS1_38merge_sort_block_merge_config_selectorIjNS0_10empty_typeEEEZZNS1_27merge_sort_block_merge_implIS3_N6thrust23THRUST_200600_302600_NS6detail15normal_iteratorINS9_10device_ptrIjEEEEPS5_m11less_div_10IjEEE10hipError_tT0_T1_T2_jT3_P12ihipStream_tbPNSt15iterator_traitsISJ_E10value_typeEPNSP_ISK_E10value_typeEPSL_NS1_7vsmem_tEENKUlT_SJ_SK_SL_E_clIPjSE_SF_SF_EESI_SY_SJ_SK_SL_EUlSY_E_NS1_11comp_targetILNS1_3genE3ELNS1_11target_archE908ELNS1_3gpuE7ELNS1_3repE0EEENS1_48merge_mergepath_partition_config_static_selectorELNS0_4arch9wavefront6targetE0EEEvSK_,comdat
.Lfunc_end151:
	.size	_ZN7rocprim17ROCPRIM_400000_NS6detail17trampoline_kernelINS0_14default_configENS1_38merge_sort_block_merge_config_selectorIjNS0_10empty_typeEEEZZNS1_27merge_sort_block_merge_implIS3_N6thrust23THRUST_200600_302600_NS6detail15normal_iteratorINS9_10device_ptrIjEEEEPS5_m11less_div_10IjEEE10hipError_tT0_T1_T2_jT3_P12ihipStream_tbPNSt15iterator_traitsISJ_E10value_typeEPNSP_ISK_E10value_typeEPSL_NS1_7vsmem_tEENKUlT_SJ_SK_SL_E_clIPjSE_SF_SF_EESI_SY_SJ_SK_SL_EUlSY_E_NS1_11comp_targetILNS1_3genE3ELNS1_11target_archE908ELNS1_3gpuE7ELNS1_3repE0EEENS1_48merge_mergepath_partition_config_static_selectorELNS0_4arch9wavefront6targetE0EEEvSK_, .Lfunc_end151-_ZN7rocprim17ROCPRIM_400000_NS6detail17trampoline_kernelINS0_14default_configENS1_38merge_sort_block_merge_config_selectorIjNS0_10empty_typeEEEZZNS1_27merge_sort_block_merge_implIS3_N6thrust23THRUST_200600_302600_NS6detail15normal_iteratorINS9_10device_ptrIjEEEEPS5_m11less_div_10IjEEE10hipError_tT0_T1_T2_jT3_P12ihipStream_tbPNSt15iterator_traitsISJ_E10value_typeEPNSP_ISK_E10value_typeEPSL_NS1_7vsmem_tEENKUlT_SJ_SK_SL_E_clIPjSE_SF_SF_EESI_SY_SJ_SK_SL_EUlSY_E_NS1_11comp_targetILNS1_3genE3ELNS1_11target_archE908ELNS1_3gpuE7ELNS1_3repE0EEENS1_48merge_mergepath_partition_config_static_selectorELNS0_4arch9wavefront6targetE0EEEvSK_
                                        ; -- End function
	.set _ZN7rocprim17ROCPRIM_400000_NS6detail17trampoline_kernelINS0_14default_configENS1_38merge_sort_block_merge_config_selectorIjNS0_10empty_typeEEEZZNS1_27merge_sort_block_merge_implIS3_N6thrust23THRUST_200600_302600_NS6detail15normal_iteratorINS9_10device_ptrIjEEEEPS5_m11less_div_10IjEEE10hipError_tT0_T1_T2_jT3_P12ihipStream_tbPNSt15iterator_traitsISJ_E10value_typeEPNSP_ISK_E10value_typeEPSL_NS1_7vsmem_tEENKUlT_SJ_SK_SL_E_clIPjSE_SF_SF_EESI_SY_SJ_SK_SL_EUlSY_E_NS1_11comp_targetILNS1_3genE3ELNS1_11target_archE908ELNS1_3gpuE7ELNS1_3repE0EEENS1_48merge_mergepath_partition_config_static_selectorELNS0_4arch9wavefront6targetE0EEEvSK_.num_vgpr, 0
	.set _ZN7rocprim17ROCPRIM_400000_NS6detail17trampoline_kernelINS0_14default_configENS1_38merge_sort_block_merge_config_selectorIjNS0_10empty_typeEEEZZNS1_27merge_sort_block_merge_implIS3_N6thrust23THRUST_200600_302600_NS6detail15normal_iteratorINS9_10device_ptrIjEEEEPS5_m11less_div_10IjEEE10hipError_tT0_T1_T2_jT3_P12ihipStream_tbPNSt15iterator_traitsISJ_E10value_typeEPNSP_ISK_E10value_typeEPSL_NS1_7vsmem_tEENKUlT_SJ_SK_SL_E_clIPjSE_SF_SF_EESI_SY_SJ_SK_SL_EUlSY_E_NS1_11comp_targetILNS1_3genE3ELNS1_11target_archE908ELNS1_3gpuE7ELNS1_3repE0EEENS1_48merge_mergepath_partition_config_static_selectorELNS0_4arch9wavefront6targetE0EEEvSK_.num_agpr, 0
	.set _ZN7rocprim17ROCPRIM_400000_NS6detail17trampoline_kernelINS0_14default_configENS1_38merge_sort_block_merge_config_selectorIjNS0_10empty_typeEEEZZNS1_27merge_sort_block_merge_implIS3_N6thrust23THRUST_200600_302600_NS6detail15normal_iteratorINS9_10device_ptrIjEEEEPS5_m11less_div_10IjEEE10hipError_tT0_T1_T2_jT3_P12ihipStream_tbPNSt15iterator_traitsISJ_E10value_typeEPNSP_ISK_E10value_typeEPSL_NS1_7vsmem_tEENKUlT_SJ_SK_SL_E_clIPjSE_SF_SF_EESI_SY_SJ_SK_SL_EUlSY_E_NS1_11comp_targetILNS1_3genE3ELNS1_11target_archE908ELNS1_3gpuE7ELNS1_3repE0EEENS1_48merge_mergepath_partition_config_static_selectorELNS0_4arch9wavefront6targetE0EEEvSK_.numbered_sgpr, 0
	.set _ZN7rocprim17ROCPRIM_400000_NS6detail17trampoline_kernelINS0_14default_configENS1_38merge_sort_block_merge_config_selectorIjNS0_10empty_typeEEEZZNS1_27merge_sort_block_merge_implIS3_N6thrust23THRUST_200600_302600_NS6detail15normal_iteratorINS9_10device_ptrIjEEEEPS5_m11less_div_10IjEEE10hipError_tT0_T1_T2_jT3_P12ihipStream_tbPNSt15iterator_traitsISJ_E10value_typeEPNSP_ISK_E10value_typeEPSL_NS1_7vsmem_tEENKUlT_SJ_SK_SL_E_clIPjSE_SF_SF_EESI_SY_SJ_SK_SL_EUlSY_E_NS1_11comp_targetILNS1_3genE3ELNS1_11target_archE908ELNS1_3gpuE7ELNS1_3repE0EEENS1_48merge_mergepath_partition_config_static_selectorELNS0_4arch9wavefront6targetE0EEEvSK_.num_named_barrier, 0
	.set _ZN7rocprim17ROCPRIM_400000_NS6detail17trampoline_kernelINS0_14default_configENS1_38merge_sort_block_merge_config_selectorIjNS0_10empty_typeEEEZZNS1_27merge_sort_block_merge_implIS3_N6thrust23THRUST_200600_302600_NS6detail15normal_iteratorINS9_10device_ptrIjEEEEPS5_m11less_div_10IjEEE10hipError_tT0_T1_T2_jT3_P12ihipStream_tbPNSt15iterator_traitsISJ_E10value_typeEPNSP_ISK_E10value_typeEPSL_NS1_7vsmem_tEENKUlT_SJ_SK_SL_E_clIPjSE_SF_SF_EESI_SY_SJ_SK_SL_EUlSY_E_NS1_11comp_targetILNS1_3genE3ELNS1_11target_archE908ELNS1_3gpuE7ELNS1_3repE0EEENS1_48merge_mergepath_partition_config_static_selectorELNS0_4arch9wavefront6targetE0EEEvSK_.private_seg_size, 0
	.set _ZN7rocprim17ROCPRIM_400000_NS6detail17trampoline_kernelINS0_14default_configENS1_38merge_sort_block_merge_config_selectorIjNS0_10empty_typeEEEZZNS1_27merge_sort_block_merge_implIS3_N6thrust23THRUST_200600_302600_NS6detail15normal_iteratorINS9_10device_ptrIjEEEEPS5_m11less_div_10IjEEE10hipError_tT0_T1_T2_jT3_P12ihipStream_tbPNSt15iterator_traitsISJ_E10value_typeEPNSP_ISK_E10value_typeEPSL_NS1_7vsmem_tEENKUlT_SJ_SK_SL_E_clIPjSE_SF_SF_EESI_SY_SJ_SK_SL_EUlSY_E_NS1_11comp_targetILNS1_3genE3ELNS1_11target_archE908ELNS1_3gpuE7ELNS1_3repE0EEENS1_48merge_mergepath_partition_config_static_selectorELNS0_4arch9wavefront6targetE0EEEvSK_.uses_vcc, 0
	.set _ZN7rocprim17ROCPRIM_400000_NS6detail17trampoline_kernelINS0_14default_configENS1_38merge_sort_block_merge_config_selectorIjNS0_10empty_typeEEEZZNS1_27merge_sort_block_merge_implIS3_N6thrust23THRUST_200600_302600_NS6detail15normal_iteratorINS9_10device_ptrIjEEEEPS5_m11less_div_10IjEEE10hipError_tT0_T1_T2_jT3_P12ihipStream_tbPNSt15iterator_traitsISJ_E10value_typeEPNSP_ISK_E10value_typeEPSL_NS1_7vsmem_tEENKUlT_SJ_SK_SL_E_clIPjSE_SF_SF_EESI_SY_SJ_SK_SL_EUlSY_E_NS1_11comp_targetILNS1_3genE3ELNS1_11target_archE908ELNS1_3gpuE7ELNS1_3repE0EEENS1_48merge_mergepath_partition_config_static_selectorELNS0_4arch9wavefront6targetE0EEEvSK_.uses_flat_scratch, 0
	.set _ZN7rocprim17ROCPRIM_400000_NS6detail17trampoline_kernelINS0_14default_configENS1_38merge_sort_block_merge_config_selectorIjNS0_10empty_typeEEEZZNS1_27merge_sort_block_merge_implIS3_N6thrust23THRUST_200600_302600_NS6detail15normal_iteratorINS9_10device_ptrIjEEEEPS5_m11less_div_10IjEEE10hipError_tT0_T1_T2_jT3_P12ihipStream_tbPNSt15iterator_traitsISJ_E10value_typeEPNSP_ISK_E10value_typeEPSL_NS1_7vsmem_tEENKUlT_SJ_SK_SL_E_clIPjSE_SF_SF_EESI_SY_SJ_SK_SL_EUlSY_E_NS1_11comp_targetILNS1_3genE3ELNS1_11target_archE908ELNS1_3gpuE7ELNS1_3repE0EEENS1_48merge_mergepath_partition_config_static_selectorELNS0_4arch9wavefront6targetE0EEEvSK_.has_dyn_sized_stack, 0
	.set _ZN7rocprim17ROCPRIM_400000_NS6detail17trampoline_kernelINS0_14default_configENS1_38merge_sort_block_merge_config_selectorIjNS0_10empty_typeEEEZZNS1_27merge_sort_block_merge_implIS3_N6thrust23THRUST_200600_302600_NS6detail15normal_iteratorINS9_10device_ptrIjEEEEPS5_m11less_div_10IjEEE10hipError_tT0_T1_T2_jT3_P12ihipStream_tbPNSt15iterator_traitsISJ_E10value_typeEPNSP_ISK_E10value_typeEPSL_NS1_7vsmem_tEENKUlT_SJ_SK_SL_E_clIPjSE_SF_SF_EESI_SY_SJ_SK_SL_EUlSY_E_NS1_11comp_targetILNS1_3genE3ELNS1_11target_archE908ELNS1_3gpuE7ELNS1_3repE0EEENS1_48merge_mergepath_partition_config_static_selectorELNS0_4arch9wavefront6targetE0EEEvSK_.has_recursion, 0
	.set _ZN7rocprim17ROCPRIM_400000_NS6detail17trampoline_kernelINS0_14default_configENS1_38merge_sort_block_merge_config_selectorIjNS0_10empty_typeEEEZZNS1_27merge_sort_block_merge_implIS3_N6thrust23THRUST_200600_302600_NS6detail15normal_iteratorINS9_10device_ptrIjEEEEPS5_m11less_div_10IjEEE10hipError_tT0_T1_T2_jT3_P12ihipStream_tbPNSt15iterator_traitsISJ_E10value_typeEPNSP_ISK_E10value_typeEPSL_NS1_7vsmem_tEENKUlT_SJ_SK_SL_E_clIPjSE_SF_SF_EESI_SY_SJ_SK_SL_EUlSY_E_NS1_11comp_targetILNS1_3genE3ELNS1_11target_archE908ELNS1_3gpuE7ELNS1_3repE0EEENS1_48merge_mergepath_partition_config_static_selectorELNS0_4arch9wavefront6targetE0EEEvSK_.has_indirect_call, 0
	.section	.AMDGPU.csdata,"",@progbits
; Kernel info:
; codeLenInByte = 0
; TotalNumSgprs: 0
; NumVgprs: 0
; ScratchSize: 0
; MemoryBound: 0
; FloatMode: 240
; IeeeMode: 1
; LDSByteSize: 0 bytes/workgroup (compile time only)
; SGPRBlocks: 0
; VGPRBlocks: 0
; NumSGPRsForWavesPerEU: 1
; NumVGPRsForWavesPerEU: 1
; Occupancy: 16
; WaveLimiterHint : 0
; COMPUTE_PGM_RSRC2:SCRATCH_EN: 0
; COMPUTE_PGM_RSRC2:USER_SGPR: 6
; COMPUTE_PGM_RSRC2:TRAP_HANDLER: 0
; COMPUTE_PGM_RSRC2:TGID_X_EN: 1
; COMPUTE_PGM_RSRC2:TGID_Y_EN: 0
; COMPUTE_PGM_RSRC2:TGID_Z_EN: 0
; COMPUTE_PGM_RSRC2:TIDIG_COMP_CNT: 0
	.section	.text._ZN7rocprim17ROCPRIM_400000_NS6detail17trampoline_kernelINS0_14default_configENS1_38merge_sort_block_merge_config_selectorIjNS0_10empty_typeEEEZZNS1_27merge_sort_block_merge_implIS3_N6thrust23THRUST_200600_302600_NS6detail15normal_iteratorINS9_10device_ptrIjEEEEPS5_m11less_div_10IjEEE10hipError_tT0_T1_T2_jT3_P12ihipStream_tbPNSt15iterator_traitsISJ_E10value_typeEPNSP_ISK_E10value_typeEPSL_NS1_7vsmem_tEENKUlT_SJ_SK_SL_E_clIPjSE_SF_SF_EESI_SY_SJ_SK_SL_EUlSY_E_NS1_11comp_targetILNS1_3genE2ELNS1_11target_archE906ELNS1_3gpuE6ELNS1_3repE0EEENS1_48merge_mergepath_partition_config_static_selectorELNS0_4arch9wavefront6targetE0EEEvSK_,"axG",@progbits,_ZN7rocprim17ROCPRIM_400000_NS6detail17trampoline_kernelINS0_14default_configENS1_38merge_sort_block_merge_config_selectorIjNS0_10empty_typeEEEZZNS1_27merge_sort_block_merge_implIS3_N6thrust23THRUST_200600_302600_NS6detail15normal_iteratorINS9_10device_ptrIjEEEEPS5_m11less_div_10IjEEE10hipError_tT0_T1_T2_jT3_P12ihipStream_tbPNSt15iterator_traitsISJ_E10value_typeEPNSP_ISK_E10value_typeEPSL_NS1_7vsmem_tEENKUlT_SJ_SK_SL_E_clIPjSE_SF_SF_EESI_SY_SJ_SK_SL_EUlSY_E_NS1_11comp_targetILNS1_3genE2ELNS1_11target_archE906ELNS1_3gpuE6ELNS1_3repE0EEENS1_48merge_mergepath_partition_config_static_selectorELNS0_4arch9wavefront6targetE0EEEvSK_,comdat
	.protected	_ZN7rocprim17ROCPRIM_400000_NS6detail17trampoline_kernelINS0_14default_configENS1_38merge_sort_block_merge_config_selectorIjNS0_10empty_typeEEEZZNS1_27merge_sort_block_merge_implIS3_N6thrust23THRUST_200600_302600_NS6detail15normal_iteratorINS9_10device_ptrIjEEEEPS5_m11less_div_10IjEEE10hipError_tT0_T1_T2_jT3_P12ihipStream_tbPNSt15iterator_traitsISJ_E10value_typeEPNSP_ISK_E10value_typeEPSL_NS1_7vsmem_tEENKUlT_SJ_SK_SL_E_clIPjSE_SF_SF_EESI_SY_SJ_SK_SL_EUlSY_E_NS1_11comp_targetILNS1_3genE2ELNS1_11target_archE906ELNS1_3gpuE6ELNS1_3repE0EEENS1_48merge_mergepath_partition_config_static_selectorELNS0_4arch9wavefront6targetE0EEEvSK_ ; -- Begin function _ZN7rocprim17ROCPRIM_400000_NS6detail17trampoline_kernelINS0_14default_configENS1_38merge_sort_block_merge_config_selectorIjNS0_10empty_typeEEEZZNS1_27merge_sort_block_merge_implIS3_N6thrust23THRUST_200600_302600_NS6detail15normal_iteratorINS9_10device_ptrIjEEEEPS5_m11less_div_10IjEEE10hipError_tT0_T1_T2_jT3_P12ihipStream_tbPNSt15iterator_traitsISJ_E10value_typeEPNSP_ISK_E10value_typeEPSL_NS1_7vsmem_tEENKUlT_SJ_SK_SL_E_clIPjSE_SF_SF_EESI_SY_SJ_SK_SL_EUlSY_E_NS1_11comp_targetILNS1_3genE2ELNS1_11target_archE906ELNS1_3gpuE6ELNS1_3repE0EEENS1_48merge_mergepath_partition_config_static_selectorELNS0_4arch9wavefront6targetE0EEEvSK_
	.globl	_ZN7rocprim17ROCPRIM_400000_NS6detail17trampoline_kernelINS0_14default_configENS1_38merge_sort_block_merge_config_selectorIjNS0_10empty_typeEEEZZNS1_27merge_sort_block_merge_implIS3_N6thrust23THRUST_200600_302600_NS6detail15normal_iteratorINS9_10device_ptrIjEEEEPS5_m11less_div_10IjEEE10hipError_tT0_T1_T2_jT3_P12ihipStream_tbPNSt15iterator_traitsISJ_E10value_typeEPNSP_ISK_E10value_typeEPSL_NS1_7vsmem_tEENKUlT_SJ_SK_SL_E_clIPjSE_SF_SF_EESI_SY_SJ_SK_SL_EUlSY_E_NS1_11comp_targetILNS1_3genE2ELNS1_11target_archE906ELNS1_3gpuE6ELNS1_3repE0EEENS1_48merge_mergepath_partition_config_static_selectorELNS0_4arch9wavefront6targetE0EEEvSK_
	.p2align	8
	.type	_ZN7rocprim17ROCPRIM_400000_NS6detail17trampoline_kernelINS0_14default_configENS1_38merge_sort_block_merge_config_selectorIjNS0_10empty_typeEEEZZNS1_27merge_sort_block_merge_implIS3_N6thrust23THRUST_200600_302600_NS6detail15normal_iteratorINS9_10device_ptrIjEEEEPS5_m11less_div_10IjEEE10hipError_tT0_T1_T2_jT3_P12ihipStream_tbPNSt15iterator_traitsISJ_E10value_typeEPNSP_ISK_E10value_typeEPSL_NS1_7vsmem_tEENKUlT_SJ_SK_SL_E_clIPjSE_SF_SF_EESI_SY_SJ_SK_SL_EUlSY_E_NS1_11comp_targetILNS1_3genE2ELNS1_11target_archE906ELNS1_3gpuE6ELNS1_3repE0EEENS1_48merge_mergepath_partition_config_static_selectorELNS0_4arch9wavefront6targetE0EEEvSK_,@function
_ZN7rocprim17ROCPRIM_400000_NS6detail17trampoline_kernelINS0_14default_configENS1_38merge_sort_block_merge_config_selectorIjNS0_10empty_typeEEEZZNS1_27merge_sort_block_merge_implIS3_N6thrust23THRUST_200600_302600_NS6detail15normal_iteratorINS9_10device_ptrIjEEEEPS5_m11less_div_10IjEEE10hipError_tT0_T1_T2_jT3_P12ihipStream_tbPNSt15iterator_traitsISJ_E10value_typeEPNSP_ISK_E10value_typeEPSL_NS1_7vsmem_tEENKUlT_SJ_SK_SL_E_clIPjSE_SF_SF_EESI_SY_SJ_SK_SL_EUlSY_E_NS1_11comp_targetILNS1_3genE2ELNS1_11target_archE906ELNS1_3gpuE6ELNS1_3repE0EEENS1_48merge_mergepath_partition_config_static_selectorELNS0_4arch9wavefront6targetE0EEEvSK_: ; @_ZN7rocprim17ROCPRIM_400000_NS6detail17trampoline_kernelINS0_14default_configENS1_38merge_sort_block_merge_config_selectorIjNS0_10empty_typeEEEZZNS1_27merge_sort_block_merge_implIS3_N6thrust23THRUST_200600_302600_NS6detail15normal_iteratorINS9_10device_ptrIjEEEEPS5_m11less_div_10IjEEE10hipError_tT0_T1_T2_jT3_P12ihipStream_tbPNSt15iterator_traitsISJ_E10value_typeEPNSP_ISK_E10value_typeEPSL_NS1_7vsmem_tEENKUlT_SJ_SK_SL_E_clIPjSE_SF_SF_EESI_SY_SJ_SK_SL_EUlSY_E_NS1_11comp_targetILNS1_3genE2ELNS1_11target_archE906ELNS1_3gpuE6ELNS1_3repE0EEENS1_48merge_mergepath_partition_config_static_selectorELNS0_4arch9wavefront6targetE0EEEvSK_
; %bb.0:
	.section	.rodata,"a",@progbits
	.p2align	6, 0x0
	.amdhsa_kernel _ZN7rocprim17ROCPRIM_400000_NS6detail17trampoline_kernelINS0_14default_configENS1_38merge_sort_block_merge_config_selectorIjNS0_10empty_typeEEEZZNS1_27merge_sort_block_merge_implIS3_N6thrust23THRUST_200600_302600_NS6detail15normal_iteratorINS9_10device_ptrIjEEEEPS5_m11less_div_10IjEEE10hipError_tT0_T1_T2_jT3_P12ihipStream_tbPNSt15iterator_traitsISJ_E10value_typeEPNSP_ISK_E10value_typeEPSL_NS1_7vsmem_tEENKUlT_SJ_SK_SL_E_clIPjSE_SF_SF_EESI_SY_SJ_SK_SL_EUlSY_E_NS1_11comp_targetILNS1_3genE2ELNS1_11target_archE906ELNS1_3gpuE6ELNS1_3repE0EEENS1_48merge_mergepath_partition_config_static_selectorELNS0_4arch9wavefront6targetE0EEEvSK_
		.amdhsa_group_segment_fixed_size 0
		.amdhsa_private_segment_fixed_size 0
		.amdhsa_kernarg_size 48
		.amdhsa_user_sgpr_count 6
		.amdhsa_user_sgpr_private_segment_buffer 1
		.amdhsa_user_sgpr_dispatch_ptr 0
		.amdhsa_user_sgpr_queue_ptr 0
		.amdhsa_user_sgpr_kernarg_segment_ptr 1
		.amdhsa_user_sgpr_dispatch_id 0
		.amdhsa_user_sgpr_flat_scratch_init 0
		.amdhsa_user_sgpr_private_segment_size 0
		.amdhsa_wavefront_size32 1
		.amdhsa_uses_dynamic_stack 0
		.amdhsa_system_sgpr_private_segment_wavefront_offset 0
		.amdhsa_system_sgpr_workgroup_id_x 1
		.amdhsa_system_sgpr_workgroup_id_y 0
		.amdhsa_system_sgpr_workgroup_id_z 0
		.amdhsa_system_sgpr_workgroup_info 0
		.amdhsa_system_vgpr_workitem_id 0
		.amdhsa_next_free_vgpr 1
		.amdhsa_next_free_sgpr 1
		.amdhsa_reserve_vcc 0
		.amdhsa_reserve_flat_scratch 0
		.amdhsa_float_round_mode_32 0
		.amdhsa_float_round_mode_16_64 0
		.amdhsa_float_denorm_mode_32 3
		.amdhsa_float_denorm_mode_16_64 3
		.amdhsa_dx10_clamp 1
		.amdhsa_ieee_mode 1
		.amdhsa_fp16_overflow 0
		.amdhsa_workgroup_processor_mode 1
		.amdhsa_memory_ordered 1
		.amdhsa_forward_progress 1
		.amdhsa_shared_vgpr_count 0
		.amdhsa_exception_fp_ieee_invalid_op 0
		.amdhsa_exception_fp_denorm_src 0
		.amdhsa_exception_fp_ieee_div_zero 0
		.amdhsa_exception_fp_ieee_overflow 0
		.amdhsa_exception_fp_ieee_underflow 0
		.amdhsa_exception_fp_ieee_inexact 0
		.amdhsa_exception_int_div_zero 0
	.end_amdhsa_kernel
	.section	.text._ZN7rocprim17ROCPRIM_400000_NS6detail17trampoline_kernelINS0_14default_configENS1_38merge_sort_block_merge_config_selectorIjNS0_10empty_typeEEEZZNS1_27merge_sort_block_merge_implIS3_N6thrust23THRUST_200600_302600_NS6detail15normal_iteratorINS9_10device_ptrIjEEEEPS5_m11less_div_10IjEEE10hipError_tT0_T1_T2_jT3_P12ihipStream_tbPNSt15iterator_traitsISJ_E10value_typeEPNSP_ISK_E10value_typeEPSL_NS1_7vsmem_tEENKUlT_SJ_SK_SL_E_clIPjSE_SF_SF_EESI_SY_SJ_SK_SL_EUlSY_E_NS1_11comp_targetILNS1_3genE2ELNS1_11target_archE906ELNS1_3gpuE6ELNS1_3repE0EEENS1_48merge_mergepath_partition_config_static_selectorELNS0_4arch9wavefront6targetE0EEEvSK_,"axG",@progbits,_ZN7rocprim17ROCPRIM_400000_NS6detail17trampoline_kernelINS0_14default_configENS1_38merge_sort_block_merge_config_selectorIjNS0_10empty_typeEEEZZNS1_27merge_sort_block_merge_implIS3_N6thrust23THRUST_200600_302600_NS6detail15normal_iteratorINS9_10device_ptrIjEEEEPS5_m11less_div_10IjEEE10hipError_tT0_T1_T2_jT3_P12ihipStream_tbPNSt15iterator_traitsISJ_E10value_typeEPNSP_ISK_E10value_typeEPSL_NS1_7vsmem_tEENKUlT_SJ_SK_SL_E_clIPjSE_SF_SF_EESI_SY_SJ_SK_SL_EUlSY_E_NS1_11comp_targetILNS1_3genE2ELNS1_11target_archE906ELNS1_3gpuE6ELNS1_3repE0EEENS1_48merge_mergepath_partition_config_static_selectorELNS0_4arch9wavefront6targetE0EEEvSK_,comdat
.Lfunc_end152:
	.size	_ZN7rocprim17ROCPRIM_400000_NS6detail17trampoline_kernelINS0_14default_configENS1_38merge_sort_block_merge_config_selectorIjNS0_10empty_typeEEEZZNS1_27merge_sort_block_merge_implIS3_N6thrust23THRUST_200600_302600_NS6detail15normal_iteratorINS9_10device_ptrIjEEEEPS5_m11less_div_10IjEEE10hipError_tT0_T1_T2_jT3_P12ihipStream_tbPNSt15iterator_traitsISJ_E10value_typeEPNSP_ISK_E10value_typeEPSL_NS1_7vsmem_tEENKUlT_SJ_SK_SL_E_clIPjSE_SF_SF_EESI_SY_SJ_SK_SL_EUlSY_E_NS1_11comp_targetILNS1_3genE2ELNS1_11target_archE906ELNS1_3gpuE6ELNS1_3repE0EEENS1_48merge_mergepath_partition_config_static_selectorELNS0_4arch9wavefront6targetE0EEEvSK_, .Lfunc_end152-_ZN7rocprim17ROCPRIM_400000_NS6detail17trampoline_kernelINS0_14default_configENS1_38merge_sort_block_merge_config_selectorIjNS0_10empty_typeEEEZZNS1_27merge_sort_block_merge_implIS3_N6thrust23THRUST_200600_302600_NS6detail15normal_iteratorINS9_10device_ptrIjEEEEPS5_m11less_div_10IjEEE10hipError_tT0_T1_T2_jT3_P12ihipStream_tbPNSt15iterator_traitsISJ_E10value_typeEPNSP_ISK_E10value_typeEPSL_NS1_7vsmem_tEENKUlT_SJ_SK_SL_E_clIPjSE_SF_SF_EESI_SY_SJ_SK_SL_EUlSY_E_NS1_11comp_targetILNS1_3genE2ELNS1_11target_archE906ELNS1_3gpuE6ELNS1_3repE0EEENS1_48merge_mergepath_partition_config_static_selectorELNS0_4arch9wavefront6targetE0EEEvSK_
                                        ; -- End function
	.set _ZN7rocprim17ROCPRIM_400000_NS6detail17trampoline_kernelINS0_14default_configENS1_38merge_sort_block_merge_config_selectorIjNS0_10empty_typeEEEZZNS1_27merge_sort_block_merge_implIS3_N6thrust23THRUST_200600_302600_NS6detail15normal_iteratorINS9_10device_ptrIjEEEEPS5_m11less_div_10IjEEE10hipError_tT0_T1_T2_jT3_P12ihipStream_tbPNSt15iterator_traitsISJ_E10value_typeEPNSP_ISK_E10value_typeEPSL_NS1_7vsmem_tEENKUlT_SJ_SK_SL_E_clIPjSE_SF_SF_EESI_SY_SJ_SK_SL_EUlSY_E_NS1_11comp_targetILNS1_3genE2ELNS1_11target_archE906ELNS1_3gpuE6ELNS1_3repE0EEENS1_48merge_mergepath_partition_config_static_selectorELNS0_4arch9wavefront6targetE0EEEvSK_.num_vgpr, 0
	.set _ZN7rocprim17ROCPRIM_400000_NS6detail17trampoline_kernelINS0_14default_configENS1_38merge_sort_block_merge_config_selectorIjNS0_10empty_typeEEEZZNS1_27merge_sort_block_merge_implIS3_N6thrust23THRUST_200600_302600_NS6detail15normal_iteratorINS9_10device_ptrIjEEEEPS5_m11less_div_10IjEEE10hipError_tT0_T1_T2_jT3_P12ihipStream_tbPNSt15iterator_traitsISJ_E10value_typeEPNSP_ISK_E10value_typeEPSL_NS1_7vsmem_tEENKUlT_SJ_SK_SL_E_clIPjSE_SF_SF_EESI_SY_SJ_SK_SL_EUlSY_E_NS1_11comp_targetILNS1_3genE2ELNS1_11target_archE906ELNS1_3gpuE6ELNS1_3repE0EEENS1_48merge_mergepath_partition_config_static_selectorELNS0_4arch9wavefront6targetE0EEEvSK_.num_agpr, 0
	.set _ZN7rocprim17ROCPRIM_400000_NS6detail17trampoline_kernelINS0_14default_configENS1_38merge_sort_block_merge_config_selectorIjNS0_10empty_typeEEEZZNS1_27merge_sort_block_merge_implIS3_N6thrust23THRUST_200600_302600_NS6detail15normal_iteratorINS9_10device_ptrIjEEEEPS5_m11less_div_10IjEEE10hipError_tT0_T1_T2_jT3_P12ihipStream_tbPNSt15iterator_traitsISJ_E10value_typeEPNSP_ISK_E10value_typeEPSL_NS1_7vsmem_tEENKUlT_SJ_SK_SL_E_clIPjSE_SF_SF_EESI_SY_SJ_SK_SL_EUlSY_E_NS1_11comp_targetILNS1_3genE2ELNS1_11target_archE906ELNS1_3gpuE6ELNS1_3repE0EEENS1_48merge_mergepath_partition_config_static_selectorELNS0_4arch9wavefront6targetE0EEEvSK_.numbered_sgpr, 0
	.set _ZN7rocprim17ROCPRIM_400000_NS6detail17trampoline_kernelINS0_14default_configENS1_38merge_sort_block_merge_config_selectorIjNS0_10empty_typeEEEZZNS1_27merge_sort_block_merge_implIS3_N6thrust23THRUST_200600_302600_NS6detail15normal_iteratorINS9_10device_ptrIjEEEEPS5_m11less_div_10IjEEE10hipError_tT0_T1_T2_jT3_P12ihipStream_tbPNSt15iterator_traitsISJ_E10value_typeEPNSP_ISK_E10value_typeEPSL_NS1_7vsmem_tEENKUlT_SJ_SK_SL_E_clIPjSE_SF_SF_EESI_SY_SJ_SK_SL_EUlSY_E_NS1_11comp_targetILNS1_3genE2ELNS1_11target_archE906ELNS1_3gpuE6ELNS1_3repE0EEENS1_48merge_mergepath_partition_config_static_selectorELNS0_4arch9wavefront6targetE0EEEvSK_.num_named_barrier, 0
	.set _ZN7rocprim17ROCPRIM_400000_NS6detail17trampoline_kernelINS0_14default_configENS1_38merge_sort_block_merge_config_selectorIjNS0_10empty_typeEEEZZNS1_27merge_sort_block_merge_implIS3_N6thrust23THRUST_200600_302600_NS6detail15normal_iteratorINS9_10device_ptrIjEEEEPS5_m11less_div_10IjEEE10hipError_tT0_T1_T2_jT3_P12ihipStream_tbPNSt15iterator_traitsISJ_E10value_typeEPNSP_ISK_E10value_typeEPSL_NS1_7vsmem_tEENKUlT_SJ_SK_SL_E_clIPjSE_SF_SF_EESI_SY_SJ_SK_SL_EUlSY_E_NS1_11comp_targetILNS1_3genE2ELNS1_11target_archE906ELNS1_3gpuE6ELNS1_3repE0EEENS1_48merge_mergepath_partition_config_static_selectorELNS0_4arch9wavefront6targetE0EEEvSK_.private_seg_size, 0
	.set _ZN7rocprim17ROCPRIM_400000_NS6detail17trampoline_kernelINS0_14default_configENS1_38merge_sort_block_merge_config_selectorIjNS0_10empty_typeEEEZZNS1_27merge_sort_block_merge_implIS3_N6thrust23THRUST_200600_302600_NS6detail15normal_iteratorINS9_10device_ptrIjEEEEPS5_m11less_div_10IjEEE10hipError_tT0_T1_T2_jT3_P12ihipStream_tbPNSt15iterator_traitsISJ_E10value_typeEPNSP_ISK_E10value_typeEPSL_NS1_7vsmem_tEENKUlT_SJ_SK_SL_E_clIPjSE_SF_SF_EESI_SY_SJ_SK_SL_EUlSY_E_NS1_11comp_targetILNS1_3genE2ELNS1_11target_archE906ELNS1_3gpuE6ELNS1_3repE0EEENS1_48merge_mergepath_partition_config_static_selectorELNS0_4arch9wavefront6targetE0EEEvSK_.uses_vcc, 0
	.set _ZN7rocprim17ROCPRIM_400000_NS6detail17trampoline_kernelINS0_14default_configENS1_38merge_sort_block_merge_config_selectorIjNS0_10empty_typeEEEZZNS1_27merge_sort_block_merge_implIS3_N6thrust23THRUST_200600_302600_NS6detail15normal_iteratorINS9_10device_ptrIjEEEEPS5_m11less_div_10IjEEE10hipError_tT0_T1_T2_jT3_P12ihipStream_tbPNSt15iterator_traitsISJ_E10value_typeEPNSP_ISK_E10value_typeEPSL_NS1_7vsmem_tEENKUlT_SJ_SK_SL_E_clIPjSE_SF_SF_EESI_SY_SJ_SK_SL_EUlSY_E_NS1_11comp_targetILNS1_3genE2ELNS1_11target_archE906ELNS1_3gpuE6ELNS1_3repE0EEENS1_48merge_mergepath_partition_config_static_selectorELNS0_4arch9wavefront6targetE0EEEvSK_.uses_flat_scratch, 0
	.set _ZN7rocprim17ROCPRIM_400000_NS6detail17trampoline_kernelINS0_14default_configENS1_38merge_sort_block_merge_config_selectorIjNS0_10empty_typeEEEZZNS1_27merge_sort_block_merge_implIS3_N6thrust23THRUST_200600_302600_NS6detail15normal_iteratorINS9_10device_ptrIjEEEEPS5_m11less_div_10IjEEE10hipError_tT0_T1_T2_jT3_P12ihipStream_tbPNSt15iterator_traitsISJ_E10value_typeEPNSP_ISK_E10value_typeEPSL_NS1_7vsmem_tEENKUlT_SJ_SK_SL_E_clIPjSE_SF_SF_EESI_SY_SJ_SK_SL_EUlSY_E_NS1_11comp_targetILNS1_3genE2ELNS1_11target_archE906ELNS1_3gpuE6ELNS1_3repE0EEENS1_48merge_mergepath_partition_config_static_selectorELNS0_4arch9wavefront6targetE0EEEvSK_.has_dyn_sized_stack, 0
	.set _ZN7rocprim17ROCPRIM_400000_NS6detail17trampoline_kernelINS0_14default_configENS1_38merge_sort_block_merge_config_selectorIjNS0_10empty_typeEEEZZNS1_27merge_sort_block_merge_implIS3_N6thrust23THRUST_200600_302600_NS6detail15normal_iteratorINS9_10device_ptrIjEEEEPS5_m11less_div_10IjEEE10hipError_tT0_T1_T2_jT3_P12ihipStream_tbPNSt15iterator_traitsISJ_E10value_typeEPNSP_ISK_E10value_typeEPSL_NS1_7vsmem_tEENKUlT_SJ_SK_SL_E_clIPjSE_SF_SF_EESI_SY_SJ_SK_SL_EUlSY_E_NS1_11comp_targetILNS1_3genE2ELNS1_11target_archE906ELNS1_3gpuE6ELNS1_3repE0EEENS1_48merge_mergepath_partition_config_static_selectorELNS0_4arch9wavefront6targetE0EEEvSK_.has_recursion, 0
	.set _ZN7rocprim17ROCPRIM_400000_NS6detail17trampoline_kernelINS0_14default_configENS1_38merge_sort_block_merge_config_selectorIjNS0_10empty_typeEEEZZNS1_27merge_sort_block_merge_implIS3_N6thrust23THRUST_200600_302600_NS6detail15normal_iteratorINS9_10device_ptrIjEEEEPS5_m11less_div_10IjEEE10hipError_tT0_T1_T2_jT3_P12ihipStream_tbPNSt15iterator_traitsISJ_E10value_typeEPNSP_ISK_E10value_typeEPSL_NS1_7vsmem_tEENKUlT_SJ_SK_SL_E_clIPjSE_SF_SF_EESI_SY_SJ_SK_SL_EUlSY_E_NS1_11comp_targetILNS1_3genE2ELNS1_11target_archE906ELNS1_3gpuE6ELNS1_3repE0EEENS1_48merge_mergepath_partition_config_static_selectorELNS0_4arch9wavefront6targetE0EEEvSK_.has_indirect_call, 0
	.section	.AMDGPU.csdata,"",@progbits
; Kernel info:
; codeLenInByte = 0
; TotalNumSgprs: 0
; NumVgprs: 0
; ScratchSize: 0
; MemoryBound: 0
; FloatMode: 240
; IeeeMode: 1
; LDSByteSize: 0 bytes/workgroup (compile time only)
; SGPRBlocks: 0
; VGPRBlocks: 0
; NumSGPRsForWavesPerEU: 1
; NumVGPRsForWavesPerEU: 1
; Occupancy: 16
; WaveLimiterHint : 0
; COMPUTE_PGM_RSRC2:SCRATCH_EN: 0
; COMPUTE_PGM_RSRC2:USER_SGPR: 6
; COMPUTE_PGM_RSRC2:TRAP_HANDLER: 0
; COMPUTE_PGM_RSRC2:TGID_X_EN: 1
; COMPUTE_PGM_RSRC2:TGID_Y_EN: 0
; COMPUTE_PGM_RSRC2:TGID_Z_EN: 0
; COMPUTE_PGM_RSRC2:TIDIG_COMP_CNT: 0
	.section	.text._ZN7rocprim17ROCPRIM_400000_NS6detail17trampoline_kernelINS0_14default_configENS1_38merge_sort_block_merge_config_selectorIjNS0_10empty_typeEEEZZNS1_27merge_sort_block_merge_implIS3_N6thrust23THRUST_200600_302600_NS6detail15normal_iteratorINS9_10device_ptrIjEEEEPS5_m11less_div_10IjEEE10hipError_tT0_T1_T2_jT3_P12ihipStream_tbPNSt15iterator_traitsISJ_E10value_typeEPNSP_ISK_E10value_typeEPSL_NS1_7vsmem_tEENKUlT_SJ_SK_SL_E_clIPjSE_SF_SF_EESI_SY_SJ_SK_SL_EUlSY_E_NS1_11comp_targetILNS1_3genE9ELNS1_11target_archE1100ELNS1_3gpuE3ELNS1_3repE0EEENS1_48merge_mergepath_partition_config_static_selectorELNS0_4arch9wavefront6targetE0EEEvSK_,"axG",@progbits,_ZN7rocprim17ROCPRIM_400000_NS6detail17trampoline_kernelINS0_14default_configENS1_38merge_sort_block_merge_config_selectorIjNS0_10empty_typeEEEZZNS1_27merge_sort_block_merge_implIS3_N6thrust23THRUST_200600_302600_NS6detail15normal_iteratorINS9_10device_ptrIjEEEEPS5_m11less_div_10IjEEE10hipError_tT0_T1_T2_jT3_P12ihipStream_tbPNSt15iterator_traitsISJ_E10value_typeEPNSP_ISK_E10value_typeEPSL_NS1_7vsmem_tEENKUlT_SJ_SK_SL_E_clIPjSE_SF_SF_EESI_SY_SJ_SK_SL_EUlSY_E_NS1_11comp_targetILNS1_3genE9ELNS1_11target_archE1100ELNS1_3gpuE3ELNS1_3repE0EEENS1_48merge_mergepath_partition_config_static_selectorELNS0_4arch9wavefront6targetE0EEEvSK_,comdat
	.protected	_ZN7rocprim17ROCPRIM_400000_NS6detail17trampoline_kernelINS0_14default_configENS1_38merge_sort_block_merge_config_selectorIjNS0_10empty_typeEEEZZNS1_27merge_sort_block_merge_implIS3_N6thrust23THRUST_200600_302600_NS6detail15normal_iteratorINS9_10device_ptrIjEEEEPS5_m11less_div_10IjEEE10hipError_tT0_T1_T2_jT3_P12ihipStream_tbPNSt15iterator_traitsISJ_E10value_typeEPNSP_ISK_E10value_typeEPSL_NS1_7vsmem_tEENKUlT_SJ_SK_SL_E_clIPjSE_SF_SF_EESI_SY_SJ_SK_SL_EUlSY_E_NS1_11comp_targetILNS1_3genE9ELNS1_11target_archE1100ELNS1_3gpuE3ELNS1_3repE0EEENS1_48merge_mergepath_partition_config_static_selectorELNS0_4arch9wavefront6targetE0EEEvSK_ ; -- Begin function _ZN7rocprim17ROCPRIM_400000_NS6detail17trampoline_kernelINS0_14default_configENS1_38merge_sort_block_merge_config_selectorIjNS0_10empty_typeEEEZZNS1_27merge_sort_block_merge_implIS3_N6thrust23THRUST_200600_302600_NS6detail15normal_iteratorINS9_10device_ptrIjEEEEPS5_m11less_div_10IjEEE10hipError_tT0_T1_T2_jT3_P12ihipStream_tbPNSt15iterator_traitsISJ_E10value_typeEPNSP_ISK_E10value_typeEPSL_NS1_7vsmem_tEENKUlT_SJ_SK_SL_E_clIPjSE_SF_SF_EESI_SY_SJ_SK_SL_EUlSY_E_NS1_11comp_targetILNS1_3genE9ELNS1_11target_archE1100ELNS1_3gpuE3ELNS1_3repE0EEENS1_48merge_mergepath_partition_config_static_selectorELNS0_4arch9wavefront6targetE0EEEvSK_
	.globl	_ZN7rocprim17ROCPRIM_400000_NS6detail17trampoline_kernelINS0_14default_configENS1_38merge_sort_block_merge_config_selectorIjNS0_10empty_typeEEEZZNS1_27merge_sort_block_merge_implIS3_N6thrust23THRUST_200600_302600_NS6detail15normal_iteratorINS9_10device_ptrIjEEEEPS5_m11less_div_10IjEEE10hipError_tT0_T1_T2_jT3_P12ihipStream_tbPNSt15iterator_traitsISJ_E10value_typeEPNSP_ISK_E10value_typeEPSL_NS1_7vsmem_tEENKUlT_SJ_SK_SL_E_clIPjSE_SF_SF_EESI_SY_SJ_SK_SL_EUlSY_E_NS1_11comp_targetILNS1_3genE9ELNS1_11target_archE1100ELNS1_3gpuE3ELNS1_3repE0EEENS1_48merge_mergepath_partition_config_static_selectorELNS0_4arch9wavefront6targetE0EEEvSK_
	.p2align	8
	.type	_ZN7rocprim17ROCPRIM_400000_NS6detail17trampoline_kernelINS0_14default_configENS1_38merge_sort_block_merge_config_selectorIjNS0_10empty_typeEEEZZNS1_27merge_sort_block_merge_implIS3_N6thrust23THRUST_200600_302600_NS6detail15normal_iteratorINS9_10device_ptrIjEEEEPS5_m11less_div_10IjEEE10hipError_tT0_T1_T2_jT3_P12ihipStream_tbPNSt15iterator_traitsISJ_E10value_typeEPNSP_ISK_E10value_typeEPSL_NS1_7vsmem_tEENKUlT_SJ_SK_SL_E_clIPjSE_SF_SF_EESI_SY_SJ_SK_SL_EUlSY_E_NS1_11comp_targetILNS1_3genE9ELNS1_11target_archE1100ELNS1_3gpuE3ELNS1_3repE0EEENS1_48merge_mergepath_partition_config_static_selectorELNS0_4arch9wavefront6targetE0EEEvSK_,@function
_ZN7rocprim17ROCPRIM_400000_NS6detail17trampoline_kernelINS0_14default_configENS1_38merge_sort_block_merge_config_selectorIjNS0_10empty_typeEEEZZNS1_27merge_sort_block_merge_implIS3_N6thrust23THRUST_200600_302600_NS6detail15normal_iteratorINS9_10device_ptrIjEEEEPS5_m11less_div_10IjEEE10hipError_tT0_T1_T2_jT3_P12ihipStream_tbPNSt15iterator_traitsISJ_E10value_typeEPNSP_ISK_E10value_typeEPSL_NS1_7vsmem_tEENKUlT_SJ_SK_SL_E_clIPjSE_SF_SF_EESI_SY_SJ_SK_SL_EUlSY_E_NS1_11comp_targetILNS1_3genE9ELNS1_11target_archE1100ELNS1_3gpuE3ELNS1_3repE0EEENS1_48merge_mergepath_partition_config_static_selectorELNS0_4arch9wavefront6targetE0EEEvSK_: ; @_ZN7rocprim17ROCPRIM_400000_NS6detail17trampoline_kernelINS0_14default_configENS1_38merge_sort_block_merge_config_selectorIjNS0_10empty_typeEEEZZNS1_27merge_sort_block_merge_implIS3_N6thrust23THRUST_200600_302600_NS6detail15normal_iteratorINS9_10device_ptrIjEEEEPS5_m11less_div_10IjEEE10hipError_tT0_T1_T2_jT3_P12ihipStream_tbPNSt15iterator_traitsISJ_E10value_typeEPNSP_ISK_E10value_typeEPSL_NS1_7vsmem_tEENKUlT_SJ_SK_SL_E_clIPjSE_SF_SF_EESI_SY_SJ_SK_SL_EUlSY_E_NS1_11comp_targetILNS1_3genE9ELNS1_11target_archE1100ELNS1_3gpuE3ELNS1_3repE0EEENS1_48merge_mergepath_partition_config_static_selectorELNS0_4arch9wavefront6targetE0EEEvSK_
; %bb.0:
	.section	.rodata,"a",@progbits
	.p2align	6, 0x0
	.amdhsa_kernel _ZN7rocprim17ROCPRIM_400000_NS6detail17trampoline_kernelINS0_14default_configENS1_38merge_sort_block_merge_config_selectorIjNS0_10empty_typeEEEZZNS1_27merge_sort_block_merge_implIS3_N6thrust23THRUST_200600_302600_NS6detail15normal_iteratorINS9_10device_ptrIjEEEEPS5_m11less_div_10IjEEE10hipError_tT0_T1_T2_jT3_P12ihipStream_tbPNSt15iterator_traitsISJ_E10value_typeEPNSP_ISK_E10value_typeEPSL_NS1_7vsmem_tEENKUlT_SJ_SK_SL_E_clIPjSE_SF_SF_EESI_SY_SJ_SK_SL_EUlSY_E_NS1_11comp_targetILNS1_3genE9ELNS1_11target_archE1100ELNS1_3gpuE3ELNS1_3repE0EEENS1_48merge_mergepath_partition_config_static_selectorELNS0_4arch9wavefront6targetE0EEEvSK_
		.amdhsa_group_segment_fixed_size 0
		.amdhsa_private_segment_fixed_size 0
		.amdhsa_kernarg_size 48
		.amdhsa_user_sgpr_count 6
		.amdhsa_user_sgpr_private_segment_buffer 1
		.amdhsa_user_sgpr_dispatch_ptr 0
		.amdhsa_user_sgpr_queue_ptr 0
		.amdhsa_user_sgpr_kernarg_segment_ptr 1
		.amdhsa_user_sgpr_dispatch_id 0
		.amdhsa_user_sgpr_flat_scratch_init 0
		.amdhsa_user_sgpr_private_segment_size 0
		.amdhsa_wavefront_size32 1
		.amdhsa_uses_dynamic_stack 0
		.amdhsa_system_sgpr_private_segment_wavefront_offset 0
		.amdhsa_system_sgpr_workgroup_id_x 1
		.amdhsa_system_sgpr_workgroup_id_y 0
		.amdhsa_system_sgpr_workgroup_id_z 0
		.amdhsa_system_sgpr_workgroup_info 0
		.amdhsa_system_vgpr_workitem_id 0
		.amdhsa_next_free_vgpr 1
		.amdhsa_next_free_sgpr 1
		.amdhsa_reserve_vcc 0
		.amdhsa_reserve_flat_scratch 0
		.amdhsa_float_round_mode_32 0
		.amdhsa_float_round_mode_16_64 0
		.amdhsa_float_denorm_mode_32 3
		.amdhsa_float_denorm_mode_16_64 3
		.amdhsa_dx10_clamp 1
		.amdhsa_ieee_mode 1
		.amdhsa_fp16_overflow 0
		.amdhsa_workgroup_processor_mode 1
		.amdhsa_memory_ordered 1
		.amdhsa_forward_progress 1
		.amdhsa_shared_vgpr_count 0
		.amdhsa_exception_fp_ieee_invalid_op 0
		.amdhsa_exception_fp_denorm_src 0
		.amdhsa_exception_fp_ieee_div_zero 0
		.amdhsa_exception_fp_ieee_overflow 0
		.amdhsa_exception_fp_ieee_underflow 0
		.amdhsa_exception_fp_ieee_inexact 0
		.amdhsa_exception_int_div_zero 0
	.end_amdhsa_kernel
	.section	.text._ZN7rocprim17ROCPRIM_400000_NS6detail17trampoline_kernelINS0_14default_configENS1_38merge_sort_block_merge_config_selectorIjNS0_10empty_typeEEEZZNS1_27merge_sort_block_merge_implIS3_N6thrust23THRUST_200600_302600_NS6detail15normal_iteratorINS9_10device_ptrIjEEEEPS5_m11less_div_10IjEEE10hipError_tT0_T1_T2_jT3_P12ihipStream_tbPNSt15iterator_traitsISJ_E10value_typeEPNSP_ISK_E10value_typeEPSL_NS1_7vsmem_tEENKUlT_SJ_SK_SL_E_clIPjSE_SF_SF_EESI_SY_SJ_SK_SL_EUlSY_E_NS1_11comp_targetILNS1_3genE9ELNS1_11target_archE1100ELNS1_3gpuE3ELNS1_3repE0EEENS1_48merge_mergepath_partition_config_static_selectorELNS0_4arch9wavefront6targetE0EEEvSK_,"axG",@progbits,_ZN7rocprim17ROCPRIM_400000_NS6detail17trampoline_kernelINS0_14default_configENS1_38merge_sort_block_merge_config_selectorIjNS0_10empty_typeEEEZZNS1_27merge_sort_block_merge_implIS3_N6thrust23THRUST_200600_302600_NS6detail15normal_iteratorINS9_10device_ptrIjEEEEPS5_m11less_div_10IjEEE10hipError_tT0_T1_T2_jT3_P12ihipStream_tbPNSt15iterator_traitsISJ_E10value_typeEPNSP_ISK_E10value_typeEPSL_NS1_7vsmem_tEENKUlT_SJ_SK_SL_E_clIPjSE_SF_SF_EESI_SY_SJ_SK_SL_EUlSY_E_NS1_11comp_targetILNS1_3genE9ELNS1_11target_archE1100ELNS1_3gpuE3ELNS1_3repE0EEENS1_48merge_mergepath_partition_config_static_selectorELNS0_4arch9wavefront6targetE0EEEvSK_,comdat
.Lfunc_end153:
	.size	_ZN7rocprim17ROCPRIM_400000_NS6detail17trampoline_kernelINS0_14default_configENS1_38merge_sort_block_merge_config_selectorIjNS0_10empty_typeEEEZZNS1_27merge_sort_block_merge_implIS3_N6thrust23THRUST_200600_302600_NS6detail15normal_iteratorINS9_10device_ptrIjEEEEPS5_m11less_div_10IjEEE10hipError_tT0_T1_T2_jT3_P12ihipStream_tbPNSt15iterator_traitsISJ_E10value_typeEPNSP_ISK_E10value_typeEPSL_NS1_7vsmem_tEENKUlT_SJ_SK_SL_E_clIPjSE_SF_SF_EESI_SY_SJ_SK_SL_EUlSY_E_NS1_11comp_targetILNS1_3genE9ELNS1_11target_archE1100ELNS1_3gpuE3ELNS1_3repE0EEENS1_48merge_mergepath_partition_config_static_selectorELNS0_4arch9wavefront6targetE0EEEvSK_, .Lfunc_end153-_ZN7rocprim17ROCPRIM_400000_NS6detail17trampoline_kernelINS0_14default_configENS1_38merge_sort_block_merge_config_selectorIjNS0_10empty_typeEEEZZNS1_27merge_sort_block_merge_implIS3_N6thrust23THRUST_200600_302600_NS6detail15normal_iteratorINS9_10device_ptrIjEEEEPS5_m11less_div_10IjEEE10hipError_tT0_T1_T2_jT3_P12ihipStream_tbPNSt15iterator_traitsISJ_E10value_typeEPNSP_ISK_E10value_typeEPSL_NS1_7vsmem_tEENKUlT_SJ_SK_SL_E_clIPjSE_SF_SF_EESI_SY_SJ_SK_SL_EUlSY_E_NS1_11comp_targetILNS1_3genE9ELNS1_11target_archE1100ELNS1_3gpuE3ELNS1_3repE0EEENS1_48merge_mergepath_partition_config_static_selectorELNS0_4arch9wavefront6targetE0EEEvSK_
                                        ; -- End function
	.set _ZN7rocprim17ROCPRIM_400000_NS6detail17trampoline_kernelINS0_14default_configENS1_38merge_sort_block_merge_config_selectorIjNS0_10empty_typeEEEZZNS1_27merge_sort_block_merge_implIS3_N6thrust23THRUST_200600_302600_NS6detail15normal_iteratorINS9_10device_ptrIjEEEEPS5_m11less_div_10IjEEE10hipError_tT0_T1_T2_jT3_P12ihipStream_tbPNSt15iterator_traitsISJ_E10value_typeEPNSP_ISK_E10value_typeEPSL_NS1_7vsmem_tEENKUlT_SJ_SK_SL_E_clIPjSE_SF_SF_EESI_SY_SJ_SK_SL_EUlSY_E_NS1_11comp_targetILNS1_3genE9ELNS1_11target_archE1100ELNS1_3gpuE3ELNS1_3repE0EEENS1_48merge_mergepath_partition_config_static_selectorELNS0_4arch9wavefront6targetE0EEEvSK_.num_vgpr, 0
	.set _ZN7rocprim17ROCPRIM_400000_NS6detail17trampoline_kernelINS0_14default_configENS1_38merge_sort_block_merge_config_selectorIjNS0_10empty_typeEEEZZNS1_27merge_sort_block_merge_implIS3_N6thrust23THRUST_200600_302600_NS6detail15normal_iteratorINS9_10device_ptrIjEEEEPS5_m11less_div_10IjEEE10hipError_tT0_T1_T2_jT3_P12ihipStream_tbPNSt15iterator_traitsISJ_E10value_typeEPNSP_ISK_E10value_typeEPSL_NS1_7vsmem_tEENKUlT_SJ_SK_SL_E_clIPjSE_SF_SF_EESI_SY_SJ_SK_SL_EUlSY_E_NS1_11comp_targetILNS1_3genE9ELNS1_11target_archE1100ELNS1_3gpuE3ELNS1_3repE0EEENS1_48merge_mergepath_partition_config_static_selectorELNS0_4arch9wavefront6targetE0EEEvSK_.num_agpr, 0
	.set _ZN7rocprim17ROCPRIM_400000_NS6detail17trampoline_kernelINS0_14default_configENS1_38merge_sort_block_merge_config_selectorIjNS0_10empty_typeEEEZZNS1_27merge_sort_block_merge_implIS3_N6thrust23THRUST_200600_302600_NS6detail15normal_iteratorINS9_10device_ptrIjEEEEPS5_m11less_div_10IjEEE10hipError_tT0_T1_T2_jT3_P12ihipStream_tbPNSt15iterator_traitsISJ_E10value_typeEPNSP_ISK_E10value_typeEPSL_NS1_7vsmem_tEENKUlT_SJ_SK_SL_E_clIPjSE_SF_SF_EESI_SY_SJ_SK_SL_EUlSY_E_NS1_11comp_targetILNS1_3genE9ELNS1_11target_archE1100ELNS1_3gpuE3ELNS1_3repE0EEENS1_48merge_mergepath_partition_config_static_selectorELNS0_4arch9wavefront6targetE0EEEvSK_.numbered_sgpr, 0
	.set _ZN7rocprim17ROCPRIM_400000_NS6detail17trampoline_kernelINS0_14default_configENS1_38merge_sort_block_merge_config_selectorIjNS0_10empty_typeEEEZZNS1_27merge_sort_block_merge_implIS3_N6thrust23THRUST_200600_302600_NS6detail15normal_iteratorINS9_10device_ptrIjEEEEPS5_m11less_div_10IjEEE10hipError_tT0_T1_T2_jT3_P12ihipStream_tbPNSt15iterator_traitsISJ_E10value_typeEPNSP_ISK_E10value_typeEPSL_NS1_7vsmem_tEENKUlT_SJ_SK_SL_E_clIPjSE_SF_SF_EESI_SY_SJ_SK_SL_EUlSY_E_NS1_11comp_targetILNS1_3genE9ELNS1_11target_archE1100ELNS1_3gpuE3ELNS1_3repE0EEENS1_48merge_mergepath_partition_config_static_selectorELNS0_4arch9wavefront6targetE0EEEvSK_.num_named_barrier, 0
	.set _ZN7rocprim17ROCPRIM_400000_NS6detail17trampoline_kernelINS0_14default_configENS1_38merge_sort_block_merge_config_selectorIjNS0_10empty_typeEEEZZNS1_27merge_sort_block_merge_implIS3_N6thrust23THRUST_200600_302600_NS6detail15normal_iteratorINS9_10device_ptrIjEEEEPS5_m11less_div_10IjEEE10hipError_tT0_T1_T2_jT3_P12ihipStream_tbPNSt15iterator_traitsISJ_E10value_typeEPNSP_ISK_E10value_typeEPSL_NS1_7vsmem_tEENKUlT_SJ_SK_SL_E_clIPjSE_SF_SF_EESI_SY_SJ_SK_SL_EUlSY_E_NS1_11comp_targetILNS1_3genE9ELNS1_11target_archE1100ELNS1_3gpuE3ELNS1_3repE0EEENS1_48merge_mergepath_partition_config_static_selectorELNS0_4arch9wavefront6targetE0EEEvSK_.private_seg_size, 0
	.set _ZN7rocprim17ROCPRIM_400000_NS6detail17trampoline_kernelINS0_14default_configENS1_38merge_sort_block_merge_config_selectorIjNS0_10empty_typeEEEZZNS1_27merge_sort_block_merge_implIS3_N6thrust23THRUST_200600_302600_NS6detail15normal_iteratorINS9_10device_ptrIjEEEEPS5_m11less_div_10IjEEE10hipError_tT0_T1_T2_jT3_P12ihipStream_tbPNSt15iterator_traitsISJ_E10value_typeEPNSP_ISK_E10value_typeEPSL_NS1_7vsmem_tEENKUlT_SJ_SK_SL_E_clIPjSE_SF_SF_EESI_SY_SJ_SK_SL_EUlSY_E_NS1_11comp_targetILNS1_3genE9ELNS1_11target_archE1100ELNS1_3gpuE3ELNS1_3repE0EEENS1_48merge_mergepath_partition_config_static_selectorELNS0_4arch9wavefront6targetE0EEEvSK_.uses_vcc, 0
	.set _ZN7rocprim17ROCPRIM_400000_NS6detail17trampoline_kernelINS0_14default_configENS1_38merge_sort_block_merge_config_selectorIjNS0_10empty_typeEEEZZNS1_27merge_sort_block_merge_implIS3_N6thrust23THRUST_200600_302600_NS6detail15normal_iteratorINS9_10device_ptrIjEEEEPS5_m11less_div_10IjEEE10hipError_tT0_T1_T2_jT3_P12ihipStream_tbPNSt15iterator_traitsISJ_E10value_typeEPNSP_ISK_E10value_typeEPSL_NS1_7vsmem_tEENKUlT_SJ_SK_SL_E_clIPjSE_SF_SF_EESI_SY_SJ_SK_SL_EUlSY_E_NS1_11comp_targetILNS1_3genE9ELNS1_11target_archE1100ELNS1_3gpuE3ELNS1_3repE0EEENS1_48merge_mergepath_partition_config_static_selectorELNS0_4arch9wavefront6targetE0EEEvSK_.uses_flat_scratch, 0
	.set _ZN7rocprim17ROCPRIM_400000_NS6detail17trampoline_kernelINS0_14default_configENS1_38merge_sort_block_merge_config_selectorIjNS0_10empty_typeEEEZZNS1_27merge_sort_block_merge_implIS3_N6thrust23THRUST_200600_302600_NS6detail15normal_iteratorINS9_10device_ptrIjEEEEPS5_m11less_div_10IjEEE10hipError_tT0_T1_T2_jT3_P12ihipStream_tbPNSt15iterator_traitsISJ_E10value_typeEPNSP_ISK_E10value_typeEPSL_NS1_7vsmem_tEENKUlT_SJ_SK_SL_E_clIPjSE_SF_SF_EESI_SY_SJ_SK_SL_EUlSY_E_NS1_11comp_targetILNS1_3genE9ELNS1_11target_archE1100ELNS1_3gpuE3ELNS1_3repE0EEENS1_48merge_mergepath_partition_config_static_selectorELNS0_4arch9wavefront6targetE0EEEvSK_.has_dyn_sized_stack, 0
	.set _ZN7rocprim17ROCPRIM_400000_NS6detail17trampoline_kernelINS0_14default_configENS1_38merge_sort_block_merge_config_selectorIjNS0_10empty_typeEEEZZNS1_27merge_sort_block_merge_implIS3_N6thrust23THRUST_200600_302600_NS6detail15normal_iteratorINS9_10device_ptrIjEEEEPS5_m11less_div_10IjEEE10hipError_tT0_T1_T2_jT3_P12ihipStream_tbPNSt15iterator_traitsISJ_E10value_typeEPNSP_ISK_E10value_typeEPSL_NS1_7vsmem_tEENKUlT_SJ_SK_SL_E_clIPjSE_SF_SF_EESI_SY_SJ_SK_SL_EUlSY_E_NS1_11comp_targetILNS1_3genE9ELNS1_11target_archE1100ELNS1_3gpuE3ELNS1_3repE0EEENS1_48merge_mergepath_partition_config_static_selectorELNS0_4arch9wavefront6targetE0EEEvSK_.has_recursion, 0
	.set _ZN7rocprim17ROCPRIM_400000_NS6detail17trampoline_kernelINS0_14default_configENS1_38merge_sort_block_merge_config_selectorIjNS0_10empty_typeEEEZZNS1_27merge_sort_block_merge_implIS3_N6thrust23THRUST_200600_302600_NS6detail15normal_iteratorINS9_10device_ptrIjEEEEPS5_m11less_div_10IjEEE10hipError_tT0_T1_T2_jT3_P12ihipStream_tbPNSt15iterator_traitsISJ_E10value_typeEPNSP_ISK_E10value_typeEPSL_NS1_7vsmem_tEENKUlT_SJ_SK_SL_E_clIPjSE_SF_SF_EESI_SY_SJ_SK_SL_EUlSY_E_NS1_11comp_targetILNS1_3genE9ELNS1_11target_archE1100ELNS1_3gpuE3ELNS1_3repE0EEENS1_48merge_mergepath_partition_config_static_selectorELNS0_4arch9wavefront6targetE0EEEvSK_.has_indirect_call, 0
	.section	.AMDGPU.csdata,"",@progbits
; Kernel info:
; codeLenInByte = 0
; TotalNumSgprs: 0
; NumVgprs: 0
; ScratchSize: 0
; MemoryBound: 0
; FloatMode: 240
; IeeeMode: 1
; LDSByteSize: 0 bytes/workgroup (compile time only)
; SGPRBlocks: 0
; VGPRBlocks: 0
; NumSGPRsForWavesPerEU: 1
; NumVGPRsForWavesPerEU: 1
; Occupancy: 16
; WaveLimiterHint : 0
; COMPUTE_PGM_RSRC2:SCRATCH_EN: 0
; COMPUTE_PGM_RSRC2:USER_SGPR: 6
; COMPUTE_PGM_RSRC2:TRAP_HANDLER: 0
; COMPUTE_PGM_RSRC2:TGID_X_EN: 1
; COMPUTE_PGM_RSRC2:TGID_Y_EN: 0
; COMPUTE_PGM_RSRC2:TGID_Z_EN: 0
; COMPUTE_PGM_RSRC2:TIDIG_COMP_CNT: 0
	.section	.text._ZN7rocprim17ROCPRIM_400000_NS6detail17trampoline_kernelINS0_14default_configENS1_38merge_sort_block_merge_config_selectorIjNS0_10empty_typeEEEZZNS1_27merge_sort_block_merge_implIS3_N6thrust23THRUST_200600_302600_NS6detail15normal_iteratorINS9_10device_ptrIjEEEEPS5_m11less_div_10IjEEE10hipError_tT0_T1_T2_jT3_P12ihipStream_tbPNSt15iterator_traitsISJ_E10value_typeEPNSP_ISK_E10value_typeEPSL_NS1_7vsmem_tEENKUlT_SJ_SK_SL_E_clIPjSE_SF_SF_EESI_SY_SJ_SK_SL_EUlSY_E_NS1_11comp_targetILNS1_3genE8ELNS1_11target_archE1030ELNS1_3gpuE2ELNS1_3repE0EEENS1_48merge_mergepath_partition_config_static_selectorELNS0_4arch9wavefront6targetE0EEEvSK_,"axG",@progbits,_ZN7rocprim17ROCPRIM_400000_NS6detail17trampoline_kernelINS0_14default_configENS1_38merge_sort_block_merge_config_selectorIjNS0_10empty_typeEEEZZNS1_27merge_sort_block_merge_implIS3_N6thrust23THRUST_200600_302600_NS6detail15normal_iteratorINS9_10device_ptrIjEEEEPS5_m11less_div_10IjEEE10hipError_tT0_T1_T2_jT3_P12ihipStream_tbPNSt15iterator_traitsISJ_E10value_typeEPNSP_ISK_E10value_typeEPSL_NS1_7vsmem_tEENKUlT_SJ_SK_SL_E_clIPjSE_SF_SF_EESI_SY_SJ_SK_SL_EUlSY_E_NS1_11comp_targetILNS1_3genE8ELNS1_11target_archE1030ELNS1_3gpuE2ELNS1_3repE0EEENS1_48merge_mergepath_partition_config_static_selectorELNS0_4arch9wavefront6targetE0EEEvSK_,comdat
	.protected	_ZN7rocprim17ROCPRIM_400000_NS6detail17trampoline_kernelINS0_14default_configENS1_38merge_sort_block_merge_config_selectorIjNS0_10empty_typeEEEZZNS1_27merge_sort_block_merge_implIS3_N6thrust23THRUST_200600_302600_NS6detail15normal_iteratorINS9_10device_ptrIjEEEEPS5_m11less_div_10IjEEE10hipError_tT0_T1_T2_jT3_P12ihipStream_tbPNSt15iterator_traitsISJ_E10value_typeEPNSP_ISK_E10value_typeEPSL_NS1_7vsmem_tEENKUlT_SJ_SK_SL_E_clIPjSE_SF_SF_EESI_SY_SJ_SK_SL_EUlSY_E_NS1_11comp_targetILNS1_3genE8ELNS1_11target_archE1030ELNS1_3gpuE2ELNS1_3repE0EEENS1_48merge_mergepath_partition_config_static_selectorELNS0_4arch9wavefront6targetE0EEEvSK_ ; -- Begin function _ZN7rocprim17ROCPRIM_400000_NS6detail17trampoline_kernelINS0_14default_configENS1_38merge_sort_block_merge_config_selectorIjNS0_10empty_typeEEEZZNS1_27merge_sort_block_merge_implIS3_N6thrust23THRUST_200600_302600_NS6detail15normal_iteratorINS9_10device_ptrIjEEEEPS5_m11less_div_10IjEEE10hipError_tT0_T1_T2_jT3_P12ihipStream_tbPNSt15iterator_traitsISJ_E10value_typeEPNSP_ISK_E10value_typeEPSL_NS1_7vsmem_tEENKUlT_SJ_SK_SL_E_clIPjSE_SF_SF_EESI_SY_SJ_SK_SL_EUlSY_E_NS1_11comp_targetILNS1_3genE8ELNS1_11target_archE1030ELNS1_3gpuE2ELNS1_3repE0EEENS1_48merge_mergepath_partition_config_static_selectorELNS0_4arch9wavefront6targetE0EEEvSK_
	.globl	_ZN7rocprim17ROCPRIM_400000_NS6detail17trampoline_kernelINS0_14default_configENS1_38merge_sort_block_merge_config_selectorIjNS0_10empty_typeEEEZZNS1_27merge_sort_block_merge_implIS3_N6thrust23THRUST_200600_302600_NS6detail15normal_iteratorINS9_10device_ptrIjEEEEPS5_m11less_div_10IjEEE10hipError_tT0_T1_T2_jT3_P12ihipStream_tbPNSt15iterator_traitsISJ_E10value_typeEPNSP_ISK_E10value_typeEPSL_NS1_7vsmem_tEENKUlT_SJ_SK_SL_E_clIPjSE_SF_SF_EESI_SY_SJ_SK_SL_EUlSY_E_NS1_11comp_targetILNS1_3genE8ELNS1_11target_archE1030ELNS1_3gpuE2ELNS1_3repE0EEENS1_48merge_mergepath_partition_config_static_selectorELNS0_4arch9wavefront6targetE0EEEvSK_
	.p2align	8
	.type	_ZN7rocprim17ROCPRIM_400000_NS6detail17trampoline_kernelINS0_14default_configENS1_38merge_sort_block_merge_config_selectorIjNS0_10empty_typeEEEZZNS1_27merge_sort_block_merge_implIS3_N6thrust23THRUST_200600_302600_NS6detail15normal_iteratorINS9_10device_ptrIjEEEEPS5_m11less_div_10IjEEE10hipError_tT0_T1_T2_jT3_P12ihipStream_tbPNSt15iterator_traitsISJ_E10value_typeEPNSP_ISK_E10value_typeEPSL_NS1_7vsmem_tEENKUlT_SJ_SK_SL_E_clIPjSE_SF_SF_EESI_SY_SJ_SK_SL_EUlSY_E_NS1_11comp_targetILNS1_3genE8ELNS1_11target_archE1030ELNS1_3gpuE2ELNS1_3repE0EEENS1_48merge_mergepath_partition_config_static_selectorELNS0_4arch9wavefront6targetE0EEEvSK_,@function
_ZN7rocprim17ROCPRIM_400000_NS6detail17trampoline_kernelINS0_14default_configENS1_38merge_sort_block_merge_config_selectorIjNS0_10empty_typeEEEZZNS1_27merge_sort_block_merge_implIS3_N6thrust23THRUST_200600_302600_NS6detail15normal_iteratorINS9_10device_ptrIjEEEEPS5_m11less_div_10IjEEE10hipError_tT0_T1_T2_jT3_P12ihipStream_tbPNSt15iterator_traitsISJ_E10value_typeEPNSP_ISK_E10value_typeEPSL_NS1_7vsmem_tEENKUlT_SJ_SK_SL_E_clIPjSE_SF_SF_EESI_SY_SJ_SK_SL_EUlSY_E_NS1_11comp_targetILNS1_3genE8ELNS1_11target_archE1030ELNS1_3gpuE2ELNS1_3repE0EEENS1_48merge_mergepath_partition_config_static_selectorELNS0_4arch9wavefront6targetE0EEEvSK_: ; @_ZN7rocprim17ROCPRIM_400000_NS6detail17trampoline_kernelINS0_14default_configENS1_38merge_sort_block_merge_config_selectorIjNS0_10empty_typeEEEZZNS1_27merge_sort_block_merge_implIS3_N6thrust23THRUST_200600_302600_NS6detail15normal_iteratorINS9_10device_ptrIjEEEEPS5_m11less_div_10IjEEE10hipError_tT0_T1_T2_jT3_P12ihipStream_tbPNSt15iterator_traitsISJ_E10value_typeEPNSP_ISK_E10value_typeEPSL_NS1_7vsmem_tEENKUlT_SJ_SK_SL_E_clIPjSE_SF_SF_EESI_SY_SJ_SK_SL_EUlSY_E_NS1_11comp_targetILNS1_3genE8ELNS1_11target_archE1030ELNS1_3gpuE2ELNS1_3repE0EEENS1_48merge_mergepath_partition_config_static_selectorELNS0_4arch9wavefront6targetE0EEEvSK_
; %bb.0:
	s_load_dword s0, s[4:5], 0x0
	v_lshl_or_b32 v0, s6, 7, v0
	s_waitcnt lgkmcnt(0)
	v_cmp_gt_u32_e32 vcc_lo, s0, v0
	s_and_saveexec_b32 s0, vcc_lo
	s_cbranch_execz .LBB154_6
; %bb.1:
	s_load_dwordx4 s[0:3], s[4:5], 0x8
	v_mov_b32_e32 v2, 0
	v_mov_b32_e32 v11, v2
	s_waitcnt lgkmcnt(0)
	s_lshr_b64 s[6:7], s[0:1], 9
	s_and_b32 s6, s6, -2
	s_sub_i32 s7, 0, s6
	s_add_i32 s6, s6, -1
	v_and_b32_e32 v1, s7, v0
	v_and_b32_e32 v10, s6, v0
	v_lshlrev_b64 v[4:5], 10, v[1:2]
	v_add_co_u32 v6, vcc_lo, v4, s0
	v_add_co_ci_u32_e64 v7, null, s1, v5, vcc_lo
	v_cmp_lt_u64_e32 vcc_lo, s[2:3], v[6:7]
	v_cndmask_b32_e64 v8, v6, s2, vcc_lo
	v_cndmask_b32_e64 v9, v7, s3, vcc_lo
	v_add_co_u32 v6, vcc_lo, v8, s0
	v_add_co_ci_u32_e64 v7, null, s1, v9, vcc_lo
	v_cmp_lt_u64_e32 vcc_lo, s[2:3], v[4:5]
	s_mov_b32 s1, 0
	v_cmp_lt_u64_e64 s0, s[2:3], v[6:7]
	v_cndmask_b32_e64 v2, v4, s2, vcc_lo
	v_cndmask_b32_e64 v3, v5, s3, vcc_lo
	v_lshlrev_b64 v[4:5], 10, v[10:11]
	v_cndmask_b32_e64 v12, v6, s2, s0
	v_cndmask_b32_e64 v1, v7, s3, s0
	s_load_dwordx2 s[2:3], s[4:5], 0x28
	v_sub_co_u32 v6, vcc_lo, v12, v2
	v_sub_co_ci_u32_e64 v7, null, v1, v3, vcc_lo
	v_cmp_lt_u64_e32 vcc_lo, v[6:7], v[4:5]
	v_cndmask_b32_e32 v11, v5, v7, vcc_lo
	v_cndmask_b32_e32 v10, v4, v6, vcc_lo
	v_sub_co_u32 v4, vcc_lo, v8, v12
	v_sub_co_ci_u32_e64 v1, null, v9, v1, vcc_lo
	v_add_co_u32 v4, vcc_lo, v10, v4
	v_add_co_ci_u32_e64 v5, null, v11, v1, vcc_lo
	v_sub_co_u32 v6, vcc_lo, v8, v2
	v_sub_co_ci_u32_e64 v7, null, v9, v3, vcc_lo
	v_cmp_gt_u64_e32 vcc_lo, v[4:5], v[10:11]
	v_cmp_lt_u64_e64 s0, v[10:11], v[6:7]
	v_cndmask_b32_e64 v5, v5, 0, vcc_lo
	v_cndmask_b32_e64 v4, v4, 0, vcc_lo
	v_cndmask_b32_e64 v7, v7, v11, s0
	v_cndmask_b32_e64 v6, v6, v10, s0
	s_mov_b32 s0, exec_lo
	v_cmpx_lt_u64_e64 v[4:5], v[6:7]
	s_cbranch_execz .LBB154_5
; %bb.2:
	s_load_dwordx2 s[4:5], s[4:5], 0x18
	v_lshlrev_b64 v[8:9], 2, v[8:9]
	v_lshlrev_b64 v[12:13], 2, v[2:3]
	;; [unrolled: 1-line block ×3, first 2 shown]
	s_waitcnt lgkmcnt(0)
	v_add_co_u32 v14, vcc_lo, s4, v8
	v_add_co_ci_u32_e64 v15, null, s5, v9, vcc_lo
	v_add_co_u32 v1, vcc_lo, s4, v12
	v_add_co_ci_u32_e64 v8, null, s5, v13, vcc_lo
	;; [unrolled: 2-line block ×3, first 2 shown]
	s_inst_prefetch 0x1
	.p2align	6
.LBB154_3:                              ; =>This Inner Loop Header: Depth=1
	v_add_co_u32 v11, vcc_lo, v6, v4
	v_add_co_ci_u32_e64 v12, null, v7, v5, vcc_lo
	v_lshrrev_b64 v[11:12], 1, v[11:12]
	v_lshlrev_b64 v[13:14], 2, v[11:12]
	v_xor_b32_e32 v15, -4, v13
	v_xor_b32_e32 v16, -1, v14
	v_add_co_u32 v13, vcc_lo, v1, v13
	v_add_co_ci_u32_e64 v14, null, v8, v14, vcc_lo
	v_add_co_u32 v15, vcc_lo, v9, v15
	v_add_co_ci_u32_e64 v16, null, v10, v16, vcc_lo
	v_add_co_u32 v17, vcc_lo, v11, 1
	s_clause 0x1
	global_load_dword v13, v[13:14], off
	global_load_dword v14, v[15:16], off
	s_waitcnt vmcnt(1)
	v_mul_hi_i32 v13, 0x66666667, v13
	s_waitcnt vmcnt(0)
	v_mul_hi_i32 v14, 0x66666667, v14
	v_lshrrev_b32_e32 v15, 31, v13
	v_ashrrev_i32_e32 v13, 2, v13
	v_lshrrev_b32_e32 v16, 31, v14
	v_ashrrev_i32_e32 v14, 2, v14
	v_add_nc_u32_e32 v13, v13, v15
	v_add_co_ci_u32_e64 v15, null, 0, v12, vcc_lo
	v_add_nc_u32_e32 v14, v14, v16
	v_cmp_lt_i32_e32 vcc_lo, v14, v13
	v_cndmask_b32_e32 v7, v7, v12, vcc_lo
	v_cndmask_b32_e32 v6, v6, v11, vcc_lo
	;; [unrolled: 1-line block ×4, first 2 shown]
	v_cmp_ge_u64_e32 vcc_lo, v[4:5], v[6:7]
	s_or_b32 s1, vcc_lo, s1
	s_andn2_b32 exec_lo, exec_lo, s1
	s_cbranch_execnz .LBB154_3
; %bb.4:
	s_inst_prefetch 0x2
	s_or_b32 exec_lo, exec_lo, s1
.LBB154_5:
	s_or_b32 exec_lo, exec_lo, s0
	v_mov_b32_e32 v1, 0
	v_add_co_u32 v2, vcc_lo, v4, v2
	v_add_co_ci_u32_e64 v3, null, v5, v3, vcc_lo
	v_lshlrev_b64 v[0:1], 3, v[0:1]
	s_waitcnt lgkmcnt(0)
	v_add_co_u32 v0, vcc_lo, s2, v0
	v_add_co_ci_u32_e64 v1, null, s3, v1, vcc_lo
	global_store_dwordx2 v[0:1], v[2:3], off
.LBB154_6:
	s_endpgm
	.section	.rodata,"a",@progbits
	.p2align	6, 0x0
	.amdhsa_kernel _ZN7rocprim17ROCPRIM_400000_NS6detail17trampoline_kernelINS0_14default_configENS1_38merge_sort_block_merge_config_selectorIjNS0_10empty_typeEEEZZNS1_27merge_sort_block_merge_implIS3_N6thrust23THRUST_200600_302600_NS6detail15normal_iteratorINS9_10device_ptrIjEEEEPS5_m11less_div_10IjEEE10hipError_tT0_T1_T2_jT3_P12ihipStream_tbPNSt15iterator_traitsISJ_E10value_typeEPNSP_ISK_E10value_typeEPSL_NS1_7vsmem_tEENKUlT_SJ_SK_SL_E_clIPjSE_SF_SF_EESI_SY_SJ_SK_SL_EUlSY_E_NS1_11comp_targetILNS1_3genE8ELNS1_11target_archE1030ELNS1_3gpuE2ELNS1_3repE0EEENS1_48merge_mergepath_partition_config_static_selectorELNS0_4arch9wavefront6targetE0EEEvSK_
		.amdhsa_group_segment_fixed_size 0
		.amdhsa_private_segment_fixed_size 0
		.amdhsa_kernarg_size 48
		.amdhsa_user_sgpr_count 6
		.amdhsa_user_sgpr_private_segment_buffer 1
		.amdhsa_user_sgpr_dispatch_ptr 0
		.amdhsa_user_sgpr_queue_ptr 0
		.amdhsa_user_sgpr_kernarg_segment_ptr 1
		.amdhsa_user_sgpr_dispatch_id 0
		.amdhsa_user_sgpr_flat_scratch_init 0
		.amdhsa_user_sgpr_private_segment_size 0
		.amdhsa_wavefront_size32 1
		.amdhsa_uses_dynamic_stack 0
		.amdhsa_system_sgpr_private_segment_wavefront_offset 0
		.amdhsa_system_sgpr_workgroup_id_x 1
		.amdhsa_system_sgpr_workgroup_id_y 0
		.amdhsa_system_sgpr_workgroup_id_z 0
		.amdhsa_system_sgpr_workgroup_info 0
		.amdhsa_system_vgpr_workitem_id 0
		.amdhsa_next_free_vgpr 18
		.amdhsa_next_free_sgpr 8
		.amdhsa_reserve_vcc 1
		.amdhsa_reserve_flat_scratch 0
		.amdhsa_float_round_mode_32 0
		.amdhsa_float_round_mode_16_64 0
		.amdhsa_float_denorm_mode_32 3
		.amdhsa_float_denorm_mode_16_64 3
		.amdhsa_dx10_clamp 1
		.amdhsa_ieee_mode 1
		.amdhsa_fp16_overflow 0
		.amdhsa_workgroup_processor_mode 1
		.amdhsa_memory_ordered 1
		.amdhsa_forward_progress 1
		.amdhsa_shared_vgpr_count 0
		.amdhsa_exception_fp_ieee_invalid_op 0
		.amdhsa_exception_fp_denorm_src 0
		.amdhsa_exception_fp_ieee_div_zero 0
		.amdhsa_exception_fp_ieee_overflow 0
		.amdhsa_exception_fp_ieee_underflow 0
		.amdhsa_exception_fp_ieee_inexact 0
		.amdhsa_exception_int_div_zero 0
	.end_amdhsa_kernel
	.section	.text._ZN7rocprim17ROCPRIM_400000_NS6detail17trampoline_kernelINS0_14default_configENS1_38merge_sort_block_merge_config_selectorIjNS0_10empty_typeEEEZZNS1_27merge_sort_block_merge_implIS3_N6thrust23THRUST_200600_302600_NS6detail15normal_iteratorINS9_10device_ptrIjEEEEPS5_m11less_div_10IjEEE10hipError_tT0_T1_T2_jT3_P12ihipStream_tbPNSt15iterator_traitsISJ_E10value_typeEPNSP_ISK_E10value_typeEPSL_NS1_7vsmem_tEENKUlT_SJ_SK_SL_E_clIPjSE_SF_SF_EESI_SY_SJ_SK_SL_EUlSY_E_NS1_11comp_targetILNS1_3genE8ELNS1_11target_archE1030ELNS1_3gpuE2ELNS1_3repE0EEENS1_48merge_mergepath_partition_config_static_selectorELNS0_4arch9wavefront6targetE0EEEvSK_,"axG",@progbits,_ZN7rocprim17ROCPRIM_400000_NS6detail17trampoline_kernelINS0_14default_configENS1_38merge_sort_block_merge_config_selectorIjNS0_10empty_typeEEEZZNS1_27merge_sort_block_merge_implIS3_N6thrust23THRUST_200600_302600_NS6detail15normal_iteratorINS9_10device_ptrIjEEEEPS5_m11less_div_10IjEEE10hipError_tT0_T1_T2_jT3_P12ihipStream_tbPNSt15iterator_traitsISJ_E10value_typeEPNSP_ISK_E10value_typeEPSL_NS1_7vsmem_tEENKUlT_SJ_SK_SL_E_clIPjSE_SF_SF_EESI_SY_SJ_SK_SL_EUlSY_E_NS1_11comp_targetILNS1_3genE8ELNS1_11target_archE1030ELNS1_3gpuE2ELNS1_3repE0EEENS1_48merge_mergepath_partition_config_static_selectorELNS0_4arch9wavefront6targetE0EEEvSK_,comdat
.Lfunc_end154:
	.size	_ZN7rocprim17ROCPRIM_400000_NS6detail17trampoline_kernelINS0_14default_configENS1_38merge_sort_block_merge_config_selectorIjNS0_10empty_typeEEEZZNS1_27merge_sort_block_merge_implIS3_N6thrust23THRUST_200600_302600_NS6detail15normal_iteratorINS9_10device_ptrIjEEEEPS5_m11less_div_10IjEEE10hipError_tT0_T1_T2_jT3_P12ihipStream_tbPNSt15iterator_traitsISJ_E10value_typeEPNSP_ISK_E10value_typeEPSL_NS1_7vsmem_tEENKUlT_SJ_SK_SL_E_clIPjSE_SF_SF_EESI_SY_SJ_SK_SL_EUlSY_E_NS1_11comp_targetILNS1_3genE8ELNS1_11target_archE1030ELNS1_3gpuE2ELNS1_3repE0EEENS1_48merge_mergepath_partition_config_static_selectorELNS0_4arch9wavefront6targetE0EEEvSK_, .Lfunc_end154-_ZN7rocprim17ROCPRIM_400000_NS6detail17trampoline_kernelINS0_14default_configENS1_38merge_sort_block_merge_config_selectorIjNS0_10empty_typeEEEZZNS1_27merge_sort_block_merge_implIS3_N6thrust23THRUST_200600_302600_NS6detail15normal_iteratorINS9_10device_ptrIjEEEEPS5_m11less_div_10IjEEE10hipError_tT0_T1_T2_jT3_P12ihipStream_tbPNSt15iterator_traitsISJ_E10value_typeEPNSP_ISK_E10value_typeEPSL_NS1_7vsmem_tEENKUlT_SJ_SK_SL_E_clIPjSE_SF_SF_EESI_SY_SJ_SK_SL_EUlSY_E_NS1_11comp_targetILNS1_3genE8ELNS1_11target_archE1030ELNS1_3gpuE2ELNS1_3repE0EEENS1_48merge_mergepath_partition_config_static_selectorELNS0_4arch9wavefront6targetE0EEEvSK_
                                        ; -- End function
	.set _ZN7rocprim17ROCPRIM_400000_NS6detail17trampoline_kernelINS0_14default_configENS1_38merge_sort_block_merge_config_selectorIjNS0_10empty_typeEEEZZNS1_27merge_sort_block_merge_implIS3_N6thrust23THRUST_200600_302600_NS6detail15normal_iteratorINS9_10device_ptrIjEEEEPS5_m11less_div_10IjEEE10hipError_tT0_T1_T2_jT3_P12ihipStream_tbPNSt15iterator_traitsISJ_E10value_typeEPNSP_ISK_E10value_typeEPSL_NS1_7vsmem_tEENKUlT_SJ_SK_SL_E_clIPjSE_SF_SF_EESI_SY_SJ_SK_SL_EUlSY_E_NS1_11comp_targetILNS1_3genE8ELNS1_11target_archE1030ELNS1_3gpuE2ELNS1_3repE0EEENS1_48merge_mergepath_partition_config_static_selectorELNS0_4arch9wavefront6targetE0EEEvSK_.num_vgpr, 18
	.set _ZN7rocprim17ROCPRIM_400000_NS6detail17trampoline_kernelINS0_14default_configENS1_38merge_sort_block_merge_config_selectorIjNS0_10empty_typeEEEZZNS1_27merge_sort_block_merge_implIS3_N6thrust23THRUST_200600_302600_NS6detail15normal_iteratorINS9_10device_ptrIjEEEEPS5_m11less_div_10IjEEE10hipError_tT0_T1_T2_jT3_P12ihipStream_tbPNSt15iterator_traitsISJ_E10value_typeEPNSP_ISK_E10value_typeEPSL_NS1_7vsmem_tEENKUlT_SJ_SK_SL_E_clIPjSE_SF_SF_EESI_SY_SJ_SK_SL_EUlSY_E_NS1_11comp_targetILNS1_3genE8ELNS1_11target_archE1030ELNS1_3gpuE2ELNS1_3repE0EEENS1_48merge_mergepath_partition_config_static_selectorELNS0_4arch9wavefront6targetE0EEEvSK_.num_agpr, 0
	.set _ZN7rocprim17ROCPRIM_400000_NS6detail17trampoline_kernelINS0_14default_configENS1_38merge_sort_block_merge_config_selectorIjNS0_10empty_typeEEEZZNS1_27merge_sort_block_merge_implIS3_N6thrust23THRUST_200600_302600_NS6detail15normal_iteratorINS9_10device_ptrIjEEEEPS5_m11less_div_10IjEEE10hipError_tT0_T1_T2_jT3_P12ihipStream_tbPNSt15iterator_traitsISJ_E10value_typeEPNSP_ISK_E10value_typeEPSL_NS1_7vsmem_tEENKUlT_SJ_SK_SL_E_clIPjSE_SF_SF_EESI_SY_SJ_SK_SL_EUlSY_E_NS1_11comp_targetILNS1_3genE8ELNS1_11target_archE1030ELNS1_3gpuE2ELNS1_3repE0EEENS1_48merge_mergepath_partition_config_static_selectorELNS0_4arch9wavefront6targetE0EEEvSK_.numbered_sgpr, 8
	.set _ZN7rocprim17ROCPRIM_400000_NS6detail17trampoline_kernelINS0_14default_configENS1_38merge_sort_block_merge_config_selectorIjNS0_10empty_typeEEEZZNS1_27merge_sort_block_merge_implIS3_N6thrust23THRUST_200600_302600_NS6detail15normal_iteratorINS9_10device_ptrIjEEEEPS5_m11less_div_10IjEEE10hipError_tT0_T1_T2_jT3_P12ihipStream_tbPNSt15iterator_traitsISJ_E10value_typeEPNSP_ISK_E10value_typeEPSL_NS1_7vsmem_tEENKUlT_SJ_SK_SL_E_clIPjSE_SF_SF_EESI_SY_SJ_SK_SL_EUlSY_E_NS1_11comp_targetILNS1_3genE8ELNS1_11target_archE1030ELNS1_3gpuE2ELNS1_3repE0EEENS1_48merge_mergepath_partition_config_static_selectorELNS0_4arch9wavefront6targetE0EEEvSK_.num_named_barrier, 0
	.set _ZN7rocprim17ROCPRIM_400000_NS6detail17trampoline_kernelINS0_14default_configENS1_38merge_sort_block_merge_config_selectorIjNS0_10empty_typeEEEZZNS1_27merge_sort_block_merge_implIS3_N6thrust23THRUST_200600_302600_NS6detail15normal_iteratorINS9_10device_ptrIjEEEEPS5_m11less_div_10IjEEE10hipError_tT0_T1_T2_jT3_P12ihipStream_tbPNSt15iterator_traitsISJ_E10value_typeEPNSP_ISK_E10value_typeEPSL_NS1_7vsmem_tEENKUlT_SJ_SK_SL_E_clIPjSE_SF_SF_EESI_SY_SJ_SK_SL_EUlSY_E_NS1_11comp_targetILNS1_3genE8ELNS1_11target_archE1030ELNS1_3gpuE2ELNS1_3repE0EEENS1_48merge_mergepath_partition_config_static_selectorELNS0_4arch9wavefront6targetE0EEEvSK_.private_seg_size, 0
	.set _ZN7rocprim17ROCPRIM_400000_NS6detail17trampoline_kernelINS0_14default_configENS1_38merge_sort_block_merge_config_selectorIjNS0_10empty_typeEEEZZNS1_27merge_sort_block_merge_implIS3_N6thrust23THRUST_200600_302600_NS6detail15normal_iteratorINS9_10device_ptrIjEEEEPS5_m11less_div_10IjEEE10hipError_tT0_T1_T2_jT3_P12ihipStream_tbPNSt15iterator_traitsISJ_E10value_typeEPNSP_ISK_E10value_typeEPSL_NS1_7vsmem_tEENKUlT_SJ_SK_SL_E_clIPjSE_SF_SF_EESI_SY_SJ_SK_SL_EUlSY_E_NS1_11comp_targetILNS1_3genE8ELNS1_11target_archE1030ELNS1_3gpuE2ELNS1_3repE0EEENS1_48merge_mergepath_partition_config_static_selectorELNS0_4arch9wavefront6targetE0EEEvSK_.uses_vcc, 1
	.set _ZN7rocprim17ROCPRIM_400000_NS6detail17trampoline_kernelINS0_14default_configENS1_38merge_sort_block_merge_config_selectorIjNS0_10empty_typeEEEZZNS1_27merge_sort_block_merge_implIS3_N6thrust23THRUST_200600_302600_NS6detail15normal_iteratorINS9_10device_ptrIjEEEEPS5_m11less_div_10IjEEE10hipError_tT0_T1_T2_jT3_P12ihipStream_tbPNSt15iterator_traitsISJ_E10value_typeEPNSP_ISK_E10value_typeEPSL_NS1_7vsmem_tEENKUlT_SJ_SK_SL_E_clIPjSE_SF_SF_EESI_SY_SJ_SK_SL_EUlSY_E_NS1_11comp_targetILNS1_3genE8ELNS1_11target_archE1030ELNS1_3gpuE2ELNS1_3repE0EEENS1_48merge_mergepath_partition_config_static_selectorELNS0_4arch9wavefront6targetE0EEEvSK_.uses_flat_scratch, 0
	.set _ZN7rocprim17ROCPRIM_400000_NS6detail17trampoline_kernelINS0_14default_configENS1_38merge_sort_block_merge_config_selectorIjNS0_10empty_typeEEEZZNS1_27merge_sort_block_merge_implIS3_N6thrust23THRUST_200600_302600_NS6detail15normal_iteratorINS9_10device_ptrIjEEEEPS5_m11less_div_10IjEEE10hipError_tT0_T1_T2_jT3_P12ihipStream_tbPNSt15iterator_traitsISJ_E10value_typeEPNSP_ISK_E10value_typeEPSL_NS1_7vsmem_tEENKUlT_SJ_SK_SL_E_clIPjSE_SF_SF_EESI_SY_SJ_SK_SL_EUlSY_E_NS1_11comp_targetILNS1_3genE8ELNS1_11target_archE1030ELNS1_3gpuE2ELNS1_3repE0EEENS1_48merge_mergepath_partition_config_static_selectorELNS0_4arch9wavefront6targetE0EEEvSK_.has_dyn_sized_stack, 0
	.set _ZN7rocprim17ROCPRIM_400000_NS6detail17trampoline_kernelINS0_14default_configENS1_38merge_sort_block_merge_config_selectorIjNS0_10empty_typeEEEZZNS1_27merge_sort_block_merge_implIS3_N6thrust23THRUST_200600_302600_NS6detail15normal_iteratorINS9_10device_ptrIjEEEEPS5_m11less_div_10IjEEE10hipError_tT0_T1_T2_jT3_P12ihipStream_tbPNSt15iterator_traitsISJ_E10value_typeEPNSP_ISK_E10value_typeEPSL_NS1_7vsmem_tEENKUlT_SJ_SK_SL_E_clIPjSE_SF_SF_EESI_SY_SJ_SK_SL_EUlSY_E_NS1_11comp_targetILNS1_3genE8ELNS1_11target_archE1030ELNS1_3gpuE2ELNS1_3repE0EEENS1_48merge_mergepath_partition_config_static_selectorELNS0_4arch9wavefront6targetE0EEEvSK_.has_recursion, 0
	.set _ZN7rocprim17ROCPRIM_400000_NS6detail17trampoline_kernelINS0_14default_configENS1_38merge_sort_block_merge_config_selectorIjNS0_10empty_typeEEEZZNS1_27merge_sort_block_merge_implIS3_N6thrust23THRUST_200600_302600_NS6detail15normal_iteratorINS9_10device_ptrIjEEEEPS5_m11less_div_10IjEEE10hipError_tT0_T1_T2_jT3_P12ihipStream_tbPNSt15iterator_traitsISJ_E10value_typeEPNSP_ISK_E10value_typeEPSL_NS1_7vsmem_tEENKUlT_SJ_SK_SL_E_clIPjSE_SF_SF_EESI_SY_SJ_SK_SL_EUlSY_E_NS1_11comp_targetILNS1_3genE8ELNS1_11target_archE1030ELNS1_3gpuE2ELNS1_3repE0EEENS1_48merge_mergepath_partition_config_static_selectorELNS0_4arch9wavefront6targetE0EEEvSK_.has_indirect_call, 0
	.section	.AMDGPU.csdata,"",@progbits
; Kernel info:
; codeLenInByte = 720
; TotalNumSgprs: 10
; NumVgprs: 18
; ScratchSize: 0
; MemoryBound: 0
; FloatMode: 240
; IeeeMode: 1
; LDSByteSize: 0 bytes/workgroup (compile time only)
; SGPRBlocks: 0
; VGPRBlocks: 2
; NumSGPRsForWavesPerEU: 10
; NumVGPRsForWavesPerEU: 18
; Occupancy: 16
; WaveLimiterHint : 0
; COMPUTE_PGM_RSRC2:SCRATCH_EN: 0
; COMPUTE_PGM_RSRC2:USER_SGPR: 6
; COMPUTE_PGM_RSRC2:TRAP_HANDLER: 0
; COMPUTE_PGM_RSRC2:TGID_X_EN: 1
; COMPUTE_PGM_RSRC2:TGID_Y_EN: 0
; COMPUTE_PGM_RSRC2:TGID_Z_EN: 0
; COMPUTE_PGM_RSRC2:TIDIG_COMP_CNT: 0
	.section	.text._ZN7rocprim17ROCPRIM_400000_NS6detail17trampoline_kernelINS0_14default_configENS1_38merge_sort_block_merge_config_selectorIjNS0_10empty_typeEEEZZNS1_27merge_sort_block_merge_implIS3_N6thrust23THRUST_200600_302600_NS6detail15normal_iteratorINS9_10device_ptrIjEEEEPS5_m11less_div_10IjEEE10hipError_tT0_T1_T2_jT3_P12ihipStream_tbPNSt15iterator_traitsISJ_E10value_typeEPNSP_ISK_E10value_typeEPSL_NS1_7vsmem_tEENKUlT_SJ_SK_SL_E_clIPjSE_SF_SF_EESI_SY_SJ_SK_SL_EUlSY_E0_NS1_11comp_targetILNS1_3genE0ELNS1_11target_archE4294967295ELNS1_3gpuE0ELNS1_3repE0EEENS1_38merge_mergepath_config_static_selectorELNS0_4arch9wavefront6targetE0EEEvSK_,"axG",@progbits,_ZN7rocprim17ROCPRIM_400000_NS6detail17trampoline_kernelINS0_14default_configENS1_38merge_sort_block_merge_config_selectorIjNS0_10empty_typeEEEZZNS1_27merge_sort_block_merge_implIS3_N6thrust23THRUST_200600_302600_NS6detail15normal_iteratorINS9_10device_ptrIjEEEEPS5_m11less_div_10IjEEE10hipError_tT0_T1_T2_jT3_P12ihipStream_tbPNSt15iterator_traitsISJ_E10value_typeEPNSP_ISK_E10value_typeEPSL_NS1_7vsmem_tEENKUlT_SJ_SK_SL_E_clIPjSE_SF_SF_EESI_SY_SJ_SK_SL_EUlSY_E0_NS1_11comp_targetILNS1_3genE0ELNS1_11target_archE4294967295ELNS1_3gpuE0ELNS1_3repE0EEENS1_38merge_mergepath_config_static_selectorELNS0_4arch9wavefront6targetE0EEEvSK_,comdat
	.protected	_ZN7rocprim17ROCPRIM_400000_NS6detail17trampoline_kernelINS0_14default_configENS1_38merge_sort_block_merge_config_selectorIjNS0_10empty_typeEEEZZNS1_27merge_sort_block_merge_implIS3_N6thrust23THRUST_200600_302600_NS6detail15normal_iteratorINS9_10device_ptrIjEEEEPS5_m11less_div_10IjEEE10hipError_tT0_T1_T2_jT3_P12ihipStream_tbPNSt15iterator_traitsISJ_E10value_typeEPNSP_ISK_E10value_typeEPSL_NS1_7vsmem_tEENKUlT_SJ_SK_SL_E_clIPjSE_SF_SF_EESI_SY_SJ_SK_SL_EUlSY_E0_NS1_11comp_targetILNS1_3genE0ELNS1_11target_archE4294967295ELNS1_3gpuE0ELNS1_3repE0EEENS1_38merge_mergepath_config_static_selectorELNS0_4arch9wavefront6targetE0EEEvSK_ ; -- Begin function _ZN7rocprim17ROCPRIM_400000_NS6detail17trampoline_kernelINS0_14default_configENS1_38merge_sort_block_merge_config_selectorIjNS0_10empty_typeEEEZZNS1_27merge_sort_block_merge_implIS3_N6thrust23THRUST_200600_302600_NS6detail15normal_iteratorINS9_10device_ptrIjEEEEPS5_m11less_div_10IjEEE10hipError_tT0_T1_T2_jT3_P12ihipStream_tbPNSt15iterator_traitsISJ_E10value_typeEPNSP_ISK_E10value_typeEPSL_NS1_7vsmem_tEENKUlT_SJ_SK_SL_E_clIPjSE_SF_SF_EESI_SY_SJ_SK_SL_EUlSY_E0_NS1_11comp_targetILNS1_3genE0ELNS1_11target_archE4294967295ELNS1_3gpuE0ELNS1_3repE0EEENS1_38merge_mergepath_config_static_selectorELNS0_4arch9wavefront6targetE0EEEvSK_
	.globl	_ZN7rocprim17ROCPRIM_400000_NS6detail17trampoline_kernelINS0_14default_configENS1_38merge_sort_block_merge_config_selectorIjNS0_10empty_typeEEEZZNS1_27merge_sort_block_merge_implIS3_N6thrust23THRUST_200600_302600_NS6detail15normal_iteratorINS9_10device_ptrIjEEEEPS5_m11less_div_10IjEEE10hipError_tT0_T1_T2_jT3_P12ihipStream_tbPNSt15iterator_traitsISJ_E10value_typeEPNSP_ISK_E10value_typeEPSL_NS1_7vsmem_tEENKUlT_SJ_SK_SL_E_clIPjSE_SF_SF_EESI_SY_SJ_SK_SL_EUlSY_E0_NS1_11comp_targetILNS1_3genE0ELNS1_11target_archE4294967295ELNS1_3gpuE0ELNS1_3repE0EEENS1_38merge_mergepath_config_static_selectorELNS0_4arch9wavefront6targetE0EEEvSK_
	.p2align	8
	.type	_ZN7rocprim17ROCPRIM_400000_NS6detail17trampoline_kernelINS0_14default_configENS1_38merge_sort_block_merge_config_selectorIjNS0_10empty_typeEEEZZNS1_27merge_sort_block_merge_implIS3_N6thrust23THRUST_200600_302600_NS6detail15normal_iteratorINS9_10device_ptrIjEEEEPS5_m11less_div_10IjEEE10hipError_tT0_T1_T2_jT3_P12ihipStream_tbPNSt15iterator_traitsISJ_E10value_typeEPNSP_ISK_E10value_typeEPSL_NS1_7vsmem_tEENKUlT_SJ_SK_SL_E_clIPjSE_SF_SF_EESI_SY_SJ_SK_SL_EUlSY_E0_NS1_11comp_targetILNS1_3genE0ELNS1_11target_archE4294967295ELNS1_3gpuE0ELNS1_3repE0EEENS1_38merge_mergepath_config_static_selectorELNS0_4arch9wavefront6targetE0EEEvSK_,@function
_ZN7rocprim17ROCPRIM_400000_NS6detail17trampoline_kernelINS0_14default_configENS1_38merge_sort_block_merge_config_selectorIjNS0_10empty_typeEEEZZNS1_27merge_sort_block_merge_implIS3_N6thrust23THRUST_200600_302600_NS6detail15normal_iteratorINS9_10device_ptrIjEEEEPS5_m11less_div_10IjEEE10hipError_tT0_T1_T2_jT3_P12ihipStream_tbPNSt15iterator_traitsISJ_E10value_typeEPNSP_ISK_E10value_typeEPSL_NS1_7vsmem_tEENKUlT_SJ_SK_SL_E_clIPjSE_SF_SF_EESI_SY_SJ_SK_SL_EUlSY_E0_NS1_11comp_targetILNS1_3genE0ELNS1_11target_archE4294967295ELNS1_3gpuE0ELNS1_3repE0EEENS1_38merge_mergepath_config_static_selectorELNS0_4arch9wavefront6targetE0EEEvSK_: ; @_ZN7rocprim17ROCPRIM_400000_NS6detail17trampoline_kernelINS0_14default_configENS1_38merge_sort_block_merge_config_selectorIjNS0_10empty_typeEEEZZNS1_27merge_sort_block_merge_implIS3_N6thrust23THRUST_200600_302600_NS6detail15normal_iteratorINS9_10device_ptrIjEEEEPS5_m11less_div_10IjEEE10hipError_tT0_T1_T2_jT3_P12ihipStream_tbPNSt15iterator_traitsISJ_E10value_typeEPNSP_ISK_E10value_typeEPSL_NS1_7vsmem_tEENKUlT_SJ_SK_SL_E_clIPjSE_SF_SF_EESI_SY_SJ_SK_SL_EUlSY_E0_NS1_11comp_targetILNS1_3genE0ELNS1_11target_archE4294967295ELNS1_3gpuE0ELNS1_3repE0EEENS1_38merge_mergepath_config_static_selectorELNS0_4arch9wavefront6targetE0EEEvSK_
; %bb.0:
	.section	.rodata,"a",@progbits
	.p2align	6, 0x0
	.amdhsa_kernel _ZN7rocprim17ROCPRIM_400000_NS6detail17trampoline_kernelINS0_14default_configENS1_38merge_sort_block_merge_config_selectorIjNS0_10empty_typeEEEZZNS1_27merge_sort_block_merge_implIS3_N6thrust23THRUST_200600_302600_NS6detail15normal_iteratorINS9_10device_ptrIjEEEEPS5_m11less_div_10IjEEE10hipError_tT0_T1_T2_jT3_P12ihipStream_tbPNSt15iterator_traitsISJ_E10value_typeEPNSP_ISK_E10value_typeEPSL_NS1_7vsmem_tEENKUlT_SJ_SK_SL_E_clIPjSE_SF_SF_EESI_SY_SJ_SK_SL_EUlSY_E0_NS1_11comp_targetILNS1_3genE0ELNS1_11target_archE4294967295ELNS1_3gpuE0ELNS1_3repE0EEENS1_38merge_mergepath_config_static_selectorELNS0_4arch9wavefront6targetE0EEEvSK_
		.amdhsa_group_segment_fixed_size 0
		.amdhsa_private_segment_fixed_size 0
		.amdhsa_kernarg_size 72
		.amdhsa_user_sgpr_count 6
		.amdhsa_user_sgpr_private_segment_buffer 1
		.amdhsa_user_sgpr_dispatch_ptr 0
		.amdhsa_user_sgpr_queue_ptr 0
		.amdhsa_user_sgpr_kernarg_segment_ptr 1
		.amdhsa_user_sgpr_dispatch_id 0
		.amdhsa_user_sgpr_flat_scratch_init 0
		.amdhsa_user_sgpr_private_segment_size 0
		.amdhsa_wavefront_size32 1
		.amdhsa_uses_dynamic_stack 0
		.amdhsa_system_sgpr_private_segment_wavefront_offset 0
		.amdhsa_system_sgpr_workgroup_id_x 1
		.amdhsa_system_sgpr_workgroup_id_y 0
		.amdhsa_system_sgpr_workgroup_id_z 0
		.amdhsa_system_sgpr_workgroup_info 0
		.amdhsa_system_vgpr_workitem_id 0
		.amdhsa_next_free_vgpr 1
		.amdhsa_next_free_sgpr 1
		.amdhsa_reserve_vcc 0
		.amdhsa_reserve_flat_scratch 0
		.amdhsa_float_round_mode_32 0
		.amdhsa_float_round_mode_16_64 0
		.amdhsa_float_denorm_mode_32 3
		.amdhsa_float_denorm_mode_16_64 3
		.amdhsa_dx10_clamp 1
		.amdhsa_ieee_mode 1
		.amdhsa_fp16_overflow 0
		.amdhsa_workgroup_processor_mode 1
		.amdhsa_memory_ordered 1
		.amdhsa_forward_progress 1
		.amdhsa_shared_vgpr_count 0
		.amdhsa_exception_fp_ieee_invalid_op 0
		.amdhsa_exception_fp_denorm_src 0
		.amdhsa_exception_fp_ieee_div_zero 0
		.amdhsa_exception_fp_ieee_overflow 0
		.amdhsa_exception_fp_ieee_underflow 0
		.amdhsa_exception_fp_ieee_inexact 0
		.amdhsa_exception_int_div_zero 0
	.end_amdhsa_kernel
	.section	.text._ZN7rocprim17ROCPRIM_400000_NS6detail17trampoline_kernelINS0_14default_configENS1_38merge_sort_block_merge_config_selectorIjNS0_10empty_typeEEEZZNS1_27merge_sort_block_merge_implIS3_N6thrust23THRUST_200600_302600_NS6detail15normal_iteratorINS9_10device_ptrIjEEEEPS5_m11less_div_10IjEEE10hipError_tT0_T1_T2_jT3_P12ihipStream_tbPNSt15iterator_traitsISJ_E10value_typeEPNSP_ISK_E10value_typeEPSL_NS1_7vsmem_tEENKUlT_SJ_SK_SL_E_clIPjSE_SF_SF_EESI_SY_SJ_SK_SL_EUlSY_E0_NS1_11comp_targetILNS1_3genE0ELNS1_11target_archE4294967295ELNS1_3gpuE0ELNS1_3repE0EEENS1_38merge_mergepath_config_static_selectorELNS0_4arch9wavefront6targetE0EEEvSK_,"axG",@progbits,_ZN7rocprim17ROCPRIM_400000_NS6detail17trampoline_kernelINS0_14default_configENS1_38merge_sort_block_merge_config_selectorIjNS0_10empty_typeEEEZZNS1_27merge_sort_block_merge_implIS3_N6thrust23THRUST_200600_302600_NS6detail15normal_iteratorINS9_10device_ptrIjEEEEPS5_m11less_div_10IjEEE10hipError_tT0_T1_T2_jT3_P12ihipStream_tbPNSt15iterator_traitsISJ_E10value_typeEPNSP_ISK_E10value_typeEPSL_NS1_7vsmem_tEENKUlT_SJ_SK_SL_E_clIPjSE_SF_SF_EESI_SY_SJ_SK_SL_EUlSY_E0_NS1_11comp_targetILNS1_3genE0ELNS1_11target_archE4294967295ELNS1_3gpuE0ELNS1_3repE0EEENS1_38merge_mergepath_config_static_selectorELNS0_4arch9wavefront6targetE0EEEvSK_,comdat
.Lfunc_end155:
	.size	_ZN7rocprim17ROCPRIM_400000_NS6detail17trampoline_kernelINS0_14default_configENS1_38merge_sort_block_merge_config_selectorIjNS0_10empty_typeEEEZZNS1_27merge_sort_block_merge_implIS3_N6thrust23THRUST_200600_302600_NS6detail15normal_iteratorINS9_10device_ptrIjEEEEPS5_m11less_div_10IjEEE10hipError_tT0_T1_T2_jT3_P12ihipStream_tbPNSt15iterator_traitsISJ_E10value_typeEPNSP_ISK_E10value_typeEPSL_NS1_7vsmem_tEENKUlT_SJ_SK_SL_E_clIPjSE_SF_SF_EESI_SY_SJ_SK_SL_EUlSY_E0_NS1_11comp_targetILNS1_3genE0ELNS1_11target_archE4294967295ELNS1_3gpuE0ELNS1_3repE0EEENS1_38merge_mergepath_config_static_selectorELNS0_4arch9wavefront6targetE0EEEvSK_, .Lfunc_end155-_ZN7rocprim17ROCPRIM_400000_NS6detail17trampoline_kernelINS0_14default_configENS1_38merge_sort_block_merge_config_selectorIjNS0_10empty_typeEEEZZNS1_27merge_sort_block_merge_implIS3_N6thrust23THRUST_200600_302600_NS6detail15normal_iteratorINS9_10device_ptrIjEEEEPS5_m11less_div_10IjEEE10hipError_tT0_T1_T2_jT3_P12ihipStream_tbPNSt15iterator_traitsISJ_E10value_typeEPNSP_ISK_E10value_typeEPSL_NS1_7vsmem_tEENKUlT_SJ_SK_SL_E_clIPjSE_SF_SF_EESI_SY_SJ_SK_SL_EUlSY_E0_NS1_11comp_targetILNS1_3genE0ELNS1_11target_archE4294967295ELNS1_3gpuE0ELNS1_3repE0EEENS1_38merge_mergepath_config_static_selectorELNS0_4arch9wavefront6targetE0EEEvSK_
                                        ; -- End function
	.set _ZN7rocprim17ROCPRIM_400000_NS6detail17trampoline_kernelINS0_14default_configENS1_38merge_sort_block_merge_config_selectorIjNS0_10empty_typeEEEZZNS1_27merge_sort_block_merge_implIS3_N6thrust23THRUST_200600_302600_NS6detail15normal_iteratorINS9_10device_ptrIjEEEEPS5_m11less_div_10IjEEE10hipError_tT0_T1_T2_jT3_P12ihipStream_tbPNSt15iterator_traitsISJ_E10value_typeEPNSP_ISK_E10value_typeEPSL_NS1_7vsmem_tEENKUlT_SJ_SK_SL_E_clIPjSE_SF_SF_EESI_SY_SJ_SK_SL_EUlSY_E0_NS1_11comp_targetILNS1_3genE0ELNS1_11target_archE4294967295ELNS1_3gpuE0ELNS1_3repE0EEENS1_38merge_mergepath_config_static_selectorELNS0_4arch9wavefront6targetE0EEEvSK_.num_vgpr, 0
	.set _ZN7rocprim17ROCPRIM_400000_NS6detail17trampoline_kernelINS0_14default_configENS1_38merge_sort_block_merge_config_selectorIjNS0_10empty_typeEEEZZNS1_27merge_sort_block_merge_implIS3_N6thrust23THRUST_200600_302600_NS6detail15normal_iteratorINS9_10device_ptrIjEEEEPS5_m11less_div_10IjEEE10hipError_tT0_T1_T2_jT3_P12ihipStream_tbPNSt15iterator_traitsISJ_E10value_typeEPNSP_ISK_E10value_typeEPSL_NS1_7vsmem_tEENKUlT_SJ_SK_SL_E_clIPjSE_SF_SF_EESI_SY_SJ_SK_SL_EUlSY_E0_NS1_11comp_targetILNS1_3genE0ELNS1_11target_archE4294967295ELNS1_3gpuE0ELNS1_3repE0EEENS1_38merge_mergepath_config_static_selectorELNS0_4arch9wavefront6targetE0EEEvSK_.num_agpr, 0
	.set _ZN7rocprim17ROCPRIM_400000_NS6detail17trampoline_kernelINS0_14default_configENS1_38merge_sort_block_merge_config_selectorIjNS0_10empty_typeEEEZZNS1_27merge_sort_block_merge_implIS3_N6thrust23THRUST_200600_302600_NS6detail15normal_iteratorINS9_10device_ptrIjEEEEPS5_m11less_div_10IjEEE10hipError_tT0_T1_T2_jT3_P12ihipStream_tbPNSt15iterator_traitsISJ_E10value_typeEPNSP_ISK_E10value_typeEPSL_NS1_7vsmem_tEENKUlT_SJ_SK_SL_E_clIPjSE_SF_SF_EESI_SY_SJ_SK_SL_EUlSY_E0_NS1_11comp_targetILNS1_3genE0ELNS1_11target_archE4294967295ELNS1_3gpuE0ELNS1_3repE0EEENS1_38merge_mergepath_config_static_selectorELNS0_4arch9wavefront6targetE0EEEvSK_.numbered_sgpr, 0
	.set _ZN7rocprim17ROCPRIM_400000_NS6detail17trampoline_kernelINS0_14default_configENS1_38merge_sort_block_merge_config_selectorIjNS0_10empty_typeEEEZZNS1_27merge_sort_block_merge_implIS3_N6thrust23THRUST_200600_302600_NS6detail15normal_iteratorINS9_10device_ptrIjEEEEPS5_m11less_div_10IjEEE10hipError_tT0_T1_T2_jT3_P12ihipStream_tbPNSt15iterator_traitsISJ_E10value_typeEPNSP_ISK_E10value_typeEPSL_NS1_7vsmem_tEENKUlT_SJ_SK_SL_E_clIPjSE_SF_SF_EESI_SY_SJ_SK_SL_EUlSY_E0_NS1_11comp_targetILNS1_3genE0ELNS1_11target_archE4294967295ELNS1_3gpuE0ELNS1_3repE0EEENS1_38merge_mergepath_config_static_selectorELNS0_4arch9wavefront6targetE0EEEvSK_.num_named_barrier, 0
	.set _ZN7rocprim17ROCPRIM_400000_NS6detail17trampoline_kernelINS0_14default_configENS1_38merge_sort_block_merge_config_selectorIjNS0_10empty_typeEEEZZNS1_27merge_sort_block_merge_implIS3_N6thrust23THRUST_200600_302600_NS6detail15normal_iteratorINS9_10device_ptrIjEEEEPS5_m11less_div_10IjEEE10hipError_tT0_T1_T2_jT3_P12ihipStream_tbPNSt15iterator_traitsISJ_E10value_typeEPNSP_ISK_E10value_typeEPSL_NS1_7vsmem_tEENKUlT_SJ_SK_SL_E_clIPjSE_SF_SF_EESI_SY_SJ_SK_SL_EUlSY_E0_NS1_11comp_targetILNS1_3genE0ELNS1_11target_archE4294967295ELNS1_3gpuE0ELNS1_3repE0EEENS1_38merge_mergepath_config_static_selectorELNS0_4arch9wavefront6targetE0EEEvSK_.private_seg_size, 0
	.set _ZN7rocprim17ROCPRIM_400000_NS6detail17trampoline_kernelINS0_14default_configENS1_38merge_sort_block_merge_config_selectorIjNS0_10empty_typeEEEZZNS1_27merge_sort_block_merge_implIS3_N6thrust23THRUST_200600_302600_NS6detail15normal_iteratorINS9_10device_ptrIjEEEEPS5_m11less_div_10IjEEE10hipError_tT0_T1_T2_jT3_P12ihipStream_tbPNSt15iterator_traitsISJ_E10value_typeEPNSP_ISK_E10value_typeEPSL_NS1_7vsmem_tEENKUlT_SJ_SK_SL_E_clIPjSE_SF_SF_EESI_SY_SJ_SK_SL_EUlSY_E0_NS1_11comp_targetILNS1_3genE0ELNS1_11target_archE4294967295ELNS1_3gpuE0ELNS1_3repE0EEENS1_38merge_mergepath_config_static_selectorELNS0_4arch9wavefront6targetE0EEEvSK_.uses_vcc, 0
	.set _ZN7rocprim17ROCPRIM_400000_NS6detail17trampoline_kernelINS0_14default_configENS1_38merge_sort_block_merge_config_selectorIjNS0_10empty_typeEEEZZNS1_27merge_sort_block_merge_implIS3_N6thrust23THRUST_200600_302600_NS6detail15normal_iteratorINS9_10device_ptrIjEEEEPS5_m11less_div_10IjEEE10hipError_tT0_T1_T2_jT3_P12ihipStream_tbPNSt15iterator_traitsISJ_E10value_typeEPNSP_ISK_E10value_typeEPSL_NS1_7vsmem_tEENKUlT_SJ_SK_SL_E_clIPjSE_SF_SF_EESI_SY_SJ_SK_SL_EUlSY_E0_NS1_11comp_targetILNS1_3genE0ELNS1_11target_archE4294967295ELNS1_3gpuE0ELNS1_3repE0EEENS1_38merge_mergepath_config_static_selectorELNS0_4arch9wavefront6targetE0EEEvSK_.uses_flat_scratch, 0
	.set _ZN7rocprim17ROCPRIM_400000_NS6detail17trampoline_kernelINS0_14default_configENS1_38merge_sort_block_merge_config_selectorIjNS0_10empty_typeEEEZZNS1_27merge_sort_block_merge_implIS3_N6thrust23THRUST_200600_302600_NS6detail15normal_iteratorINS9_10device_ptrIjEEEEPS5_m11less_div_10IjEEE10hipError_tT0_T1_T2_jT3_P12ihipStream_tbPNSt15iterator_traitsISJ_E10value_typeEPNSP_ISK_E10value_typeEPSL_NS1_7vsmem_tEENKUlT_SJ_SK_SL_E_clIPjSE_SF_SF_EESI_SY_SJ_SK_SL_EUlSY_E0_NS1_11comp_targetILNS1_3genE0ELNS1_11target_archE4294967295ELNS1_3gpuE0ELNS1_3repE0EEENS1_38merge_mergepath_config_static_selectorELNS0_4arch9wavefront6targetE0EEEvSK_.has_dyn_sized_stack, 0
	.set _ZN7rocprim17ROCPRIM_400000_NS6detail17trampoline_kernelINS0_14default_configENS1_38merge_sort_block_merge_config_selectorIjNS0_10empty_typeEEEZZNS1_27merge_sort_block_merge_implIS3_N6thrust23THRUST_200600_302600_NS6detail15normal_iteratorINS9_10device_ptrIjEEEEPS5_m11less_div_10IjEEE10hipError_tT0_T1_T2_jT3_P12ihipStream_tbPNSt15iterator_traitsISJ_E10value_typeEPNSP_ISK_E10value_typeEPSL_NS1_7vsmem_tEENKUlT_SJ_SK_SL_E_clIPjSE_SF_SF_EESI_SY_SJ_SK_SL_EUlSY_E0_NS1_11comp_targetILNS1_3genE0ELNS1_11target_archE4294967295ELNS1_3gpuE0ELNS1_3repE0EEENS1_38merge_mergepath_config_static_selectorELNS0_4arch9wavefront6targetE0EEEvSK_.has_recursion, 0
	.set _ZN7rocprim17ROCPRIM_400000_NS6detail17trampoline_kernelINS0_14default_configENS1_38merge_sort_block_merge_config_selectorIjNS0_10empty_typeEEEZZNS1_27merge_sort_block_merge_implIS3_N6thrust23THRUST_200600_302600_NS6detail15normal_iteratorINS9_10device_ptrIjEEEEPS5_m11less_div_10IjEEE10hipError_tT0_T1_T2_jT3_P12ihipStream_tbPNSt15iterator_traitsISJ_E10value_typeEPNSP_ISK_E10value_typeEPSL_NS1_7vsmem_tEENKUlT_SJ_SK_SL_E_clIPjSE_SF_SF_EESI_SY_SJ_SK_SL_EUlSY_E0_NS1_11comp_targetILNS1_3genE0ELNS1_11target_archE4294967295ELNS1_3gpuE0ELNS1_3repE0EEENS1_38merge_mergepath_config_static_selectorELNS0_4arch9wavefront6targetE0EEEvSK_.has_indirect_call, 0
	.section	.AMDGPU.csdata,"",@progbits
; Kernel info:
; codeLenInByte = 0
; TotalNumSgprs: 0
; NumVgprs: 0
; ScratchSize: 0
; MemoryBound: 0
; FloatMode: 240
; IeeeMode: 1
; LDSByteSize: 0 bytes/workgroup (compile time only)
; SGPRBlocks: 0
; VGPRBlocks: 0
; NumSGPRsForWavesPerEU: 1
; NumVGPRsForWavesPerEU: 1
; Occupancy: 16
; WaveLimiterHint : 0
; COMPUTE_PGM_RSRC2:SCRATCH_EN: 0
; COMPUTE_PGM_RSRC2:USER_SGPR: 6
; COMPUTE_PGM_RSRC2:TRAP_HANDLER: 0
; COMPUTE_PGM_RSRC2:TGID_X_EN: 1
; COMPUTE_PGM_RSRC2:TGID_Y_EN: 0
; COMPUTE_PGM_RSRC2:TGID_Z_EN: 0
; COMPUTE_PGM_RSRC2:TIDIG_COMP_CNT: 0
	.section	.text._ZN7rocprim17ROCPRIM_400000_NS6detail17trampoline_kernelINS0_14default_configENS1_38merge_sort_block_merge_config_selectorIjNS0_10empty_typeEEEZZNS1_27merge_sort_block_merge_implIS3_N6thrust23THRUST_200600_302600_NS6detail15normal_iteratorINS9_10device_ptrIjEEEEPS5_m11less_div_10IjEEE10hipError_tT0_T1_T2_jT3_P12ihipStream_tbPNSt15iterator_traitsISJ_E10value_typeEPNSP_ISK_E10value_typeEPSL_NS1_7vsmem_tEENKUlT_SJ_SK_SL_E_clIPjSE_SF_SF_EESI_SY_SJ_SK_SL_EUlSY_E0_NS1_11comp_targetILNS1_3genE10ELNS1_11target_archE1201ELNS1_3gpuE5ELNS1_3repE0EEENS1_38merge_mergepath_config_static_selectorELNS0_4arch9wavefront6targetE0EEEvSK_,"axG",@progbits,_ZN7rocprim17ROCPRIM_400000_NS6detail17trampoline_kernelINS0_14default_configENS1_38merge_sort_block_merge_config_selectorIjNS0_10empty_typeEEEZZNS1_27merge_sort_block_merge_implIS3_N6thrust23THRUST_200600_302600_NS6detail15normal_iteratorINS9_10device_ptrIjEEEEPS5_m11less_div_10IjEEE10hipError_tT0_T1_T2_jT3_P12ihipStream_tbPNSt15iterator_traitsISJ_E10value_typeEPNSP_ISK_E10value_typeEPSL_NS1_7vsmem_tEENKUlT_SJ_SK_SL_E_clIPjSE_SF_SF_EESI_SY_SJ_SK_SL_EUlSY_E0_NS1_11comp_targetILNS1_3genE10ELNS1_11target_archE1201ELNS1_3gpuE5ELNS1_3repE0EEENS1_38merge_mergepath_config_static_selectorELNS0_4arch9wavefront6targetE0EEEvSK_,comdat
	.protected	_ZN7rocprim17ROCPRIM_400000_NS6detail17trampoline_kernelINS0_14default_configENS1_38merge_sort_block_merge_config_selectorIjNS0_10empty_typeEEEZZNS1_27merge_sort_block_merge_implIS3_N6thrust23THRUST_200600_302600_NS6detail15normal_iteratorINS9_10device_ptrIjEEEEPS5_m11less_div_10IjEEE10hipError_tT0_T1_T2_jT3_P12ihipStream_tbPNSt15iterator_traitsISJ_E10value_typeEPNSP_ISK_E10value_typeEPSL_NS1_7vsmem_tEENKUlT_SJ_SK_SL_E_clIPjSE_SF_SF_EESI_SY_SJ_SK_SL_EUlSY_E0_NS1_11comp_targetILNS1_3genE10ELNS1_11target_archE1201ELNS1_3gpuE5ELNS1_3repE0EEENS1_38merge_mergepath_config_static_selectorELNS0_4arch9wavefront6targetE0EEEvSK_ ; -- Begin function _ZN7rocprim17ROCPRIM_400000_NS6detail17trampoline_kernelINS0_14default_configENS1_38merge_sort_block_merge_config_selectorIjNS0_10empty_typeEEEZZNS1_27merge_sort_block_merge_implIS3_N6thrust23THRUST_200600_302600_NS6detail15normal_iteratorINS9_10device_ptrIjEEEEPS5_m11less_div_10IjEEE10hipError_tT0_T1_T2_jT3_P12ihipStream_tbPNSt15iterator_traitsISJ_E10value_typeEPNSP_ISK_E10value_typeEPSL_NS1_7vsmem_tEENKUlT_SJ_SK_SL_E_clIPjSE_SF_SF_EESI_SY_SJ_SK_SL_EUlSY_E0_NS1_11comp_targetILNS1_3genE10ELNS1_11target_archE1201ELNS1_3gpuE5ELNS1_3repE0EEENS1_38merge_mergepath_config_static_selectorELNS0_4arch9wavefront6targetE0EEEvSK_
	.globl	_ZN7rocprim17ROCPRIM_400000_NS6detail17trampoline_kernelINS0_14default_configENS1_38merge_sort_block_merge_config_selectorIjNS0_10empty_typeEEEZZNS1_27merge_sort_block_merge_implIS3_N6thrust23THRUST_200600_302600_NS6detail15normal_iteratorINS9_10device_ptrIjEEEEPS5_m11less_div_10IjEEE10hipError_tT0_T1_T2_jT3_P12ihipStream_tbPNSt15iterator_traitsISJ_E10value_typeEPNSP_ISK_E10value_typeEPSL_NS1_7vsmem_tEENKUlT_SJ_SK_SL_E_clIPjSE_SF_SF_EESI_SY_SJ_SK_SL_EUlSY_E0_NS1_11comp_targetILNS1_3genE10ELNS1_11target_archE1201ELNS1_3gpuE5ELNS1_3repE0EEENS1_38merge_mergepath_config_static_selectorELNS0_4arch9wavefront6targetE0EEEvSK_
	.p2align	8
	.type	_ZN7rocprim17ROCPRIM_400000_NS6detail17trampoline_kernelINS0_14default_configENS1_38merge_sort_block_merge_config_selectorIjNS0_10empty_typeEEEZZNS1_27merge_sort_block_merge_implIS3_N6thrust23THRUST_200600_302600_NS6detail15normal_iteratorINS9_10device_ptrIjEEEEPS5_m11less_div_10IjEEE10hipError_tT0_T1_T2_jT3_P12ihipStream_tbPNSt15iterator_traitsISJ_E10value_typeEPNSP_ISK_E10value_typeEPSL_NS1_7vsmem_tEENKUlT_SJ_SK_SL_E_clIPjSE_SF_SF_EESI_SY_SJ_SK_SL_EUlSY_E0_NS1_11comp_targetILNS1_3genE10ELNS1_11target_archE1201ELNS1_3gpuE5ELNS1_3repE0EEENS1_38merge_mergepath_config_static_selectorELNS0_4arch9wavefront6targetE0EEEvSK_,@function
_ZN7rocprim17ROCPRIM_400000_NS6detail17trampoline_kernelINS0_14default_configENS1_38merge_sort_block_merge_config_selectorIjNS0_10empty_typeEEEZZNS1_27merge_sort_block_merge_implIS3_N6thrust23THRUST_200600_302600_NS6detail15normal_iteratorINS9_10device_ptrIjEEEEPS5_m11less_div_10IjEEE10hipError_tT0_T1_T2_jT3_P12ihipStream_tbPNSt15iterator_traitsISJ_E10value_typeEPNSP_ISK_E10value_typeEPSL_NS1_7vsmem_tEENKUlT_SJ_SK_SL_E_clIPjSE_SF_SF_EESI_SY_SJ_SK_SL_EUlSY_E0_NS1_11comp_targetILNS1_3genE10ELNS1_11target_archE1201ELNS1_3gpuE5ELNS1_3repE0EEENS1_38merge_mergepath_config_static_selectorELNS0_4arch9wavefront6targetE0EEEvSK_: ; @_ZN7rocprim17ROCPRIM_400000_NS6detail17trampoline_kernelINS0_14default_configENS1_38merge_sort_block_merge_config_selectorIjNS0_10empty_typeEEEZZNS1_27merge_sort_block_merge_implIS3_N6thrust23THRUST_200600_302600_NS6detail15normal_iteratorINS9_10device_ptrIjEEEEPS5_m11less_div_10IjEEE10hipError_tT0_T1_T2_jT3_P12ihipStream_tbPNSt15iterator_traitsISJ_E10value_typeEPNSP_ISK_E10value_typeEPSL_NS1_7vsmem_tEENKUlT_SJ_SK_SL_E_clIPjSE_SF_SF_EESI_SY_SJ_SK_SL_EUlSY_E0_NS1_11comp_targetILNS1_3genE10ELNS1_11target_archE1201ELNS1_3gpuE5ELNS1_3repE0EEENS1_38merge_mergepath_config_static_selectorELNS0_4arch9wavefront6targetE0EEEvSK_
; %bb.0:
	.section	.rodata,"a",@progbits
	.p2align	6, 0x0
	.amdhsa_kernel _ZN7rocprim17ROCPRIM_400000_NS6detail17trampoline_kernelINS0_14default_configENS1_38merge_sort_block_merge_config_selectorIjNS0_10empty_typeEEEZZNS1_27merge_sort_block_merge_implIS3_N6thrust23THRUST_200600_302600_NS6detail15normal_iteratorINS9_10device_ptrIjEEEEPS5_m11less_div_10IjEEE10hipError_tT0_T1_T2_jT3_P12ihipStream_tbPNSt15iterator_traitsISJ_E10value_typeEPNSP_ISK_E10value_typeEPSL_NS1_7vsmem_tEENKUlT_SJ_SK_SL_E_clIPjSE_SF_SF_EESI_SY_SJ_SK_SL_EUlSY_E0_NS1_11comp_targetILNS1_3genE10ELNS1_11target_archE1201ELNS1_3gpuE5ELNS1_3repE0EEENS1_38merge_mergepath_config_static_selectorELNS0_4arch9wavefront6targetE0EEEvSK_
		.amdhsa_group_segment_fixed_size 0
		.amdhsa_private_segment_fixed_size 0
		.amdhsa_kernarg_size 72
		.amdhsa_user_sgpr_count 6
		.amdhsa_user_sgpr_private_segment_buffer 1
		.amdhsa_user_sgpr_dispatch_ptr 0
		.amdhsa_user_sgpr_queue_ptr 0
		.amdhsa_user_sgpr_kernarg_segment_ptr 1
		.amdhsa_user_sgpr_dispatch_id 0
		.amdhsa_user_sgpr_flat_scratch_init 0
		.amdhsa_user_sgpr_private_segment_size 0
		.amdhsa_wavefront_size32 1
		.amdhsa_uses_dynamic_stack 0
		.amdhsa_system_sgpr_private_segment_wavefront_offset 0
		.amdhsa_system_sgpr_workgroup_id_x 1
		.amdhsa_system_sgpr_workgroup_id_y 0
		.amdhsa_system_sgpr_workgroup_id_z 0
		.amdhsa_system_sgpr_workgroup_info 0
		.amdhsa_system_vgpr_workitem_id 0
		.amdhsa_next_free_vgpr 1
		.amdhsa_next_free_sgpr 1
		.amdhsa_reserve_vcc 0
		.amdhsa_reserve_flat_scratch 0
		.amdhsa_float_round_mode_32 0
		.amdhsa_float_round_mode_16_64 0
		.amdhsa_float_denorm_mode_32 3
		.amdhsa_float_denorm_mode_16_64 3
		.amdhsa_dx10_clamp 1
		.amdhsa_ieee_mode 1
		.amdhsa_fp16_overflow 0
		.amdhsa_workgroup_processor_mode 1
		.amdhsa_memory_ordered 1
		.amdhsa_forward_progress 1
		.amdhsa_shared_vgpr_count 0
		.amdhsa_exception_fp_ieee_invalid_op 0
		.amdhsa_exception_fp_denorm_src 0
		.amdhsa_exception_fp_ieee_div_zero 0
		.amdhsa_exception_fp_ieee_overflow 0
		.amdhsa_exception_fp_ieee_underflow 0
		.amdhsa_exception_fp_ieee_inexact 0
		.amdhsa_exception_int_div_zero 0
	.end_amdhsa_kernel
	.section	.text._ZN7rocprim17ROCPRIM_400000_NS6detail17trampoline_kernelINS0_14default_configENS1_38merge_sort_block_merge_config_selectorIjNS0_10empty_typeEEEZZNS1_27merge_sort_block_merge_implIS3_N6thrust23THRUST_200600_302600_NS6detail15normal_iteratorINS9_10device_ptrIjEEEEPS5_m11less_div_10IjEEE10hipError_tT0_T1_T2_jT3_P12ihipStream_tbPNSt15iterator_traitsISJ_E10value_typeEPNSP_ISK_E10value_typeEPSL_NS1_7vsmem_tEENKUlT_SJ_SK_SL_E_clIPjSE_SF_SF_EESI_SY_SJ_SK_SL_EUlSY_E0_NS1_11comp_targetILNS1_3genE10ELNS1_11target_archE1201ELNS1_3gpuE5ELNS1_3repE0EEENS1_38merge_mergepath_config_static_selectorELNS0_4arch9wavefront6targetE0EEEvSK_,"axG",@progbits,_ZN7rocprim17ROCPRIM_400000_NS6detail17trampoline_kernelINS0_14default_configENS1_38merge_sort_block_merge_config_selectorIjNS0_10empty_typeEEEZZNS1_27merge_sort_block_merge_implIS3_N6thrust23THRUST_200600_302600_NS6detail15normal_iteratorINS9_10device_ptrIjEEEEPS5_m11less_div_10IjEEE10hipError_tT0_T1_T2_jT3_P12ihipStream_tbPNSt15iterator_traitsISJ_E10value_typeEPNSP_ISK_E10value_typeEPSL_NS1_7vsmem_tEENKUlT_SJ_SK_SL_E_clIPjSE_SF_SF_EESI_SY_SJ_SK_SL_EUlSY_E0_NS1_11comp_targetILNS1_3genE10ELNS1_11target_archE1201ELNS1_3gpuE5ELNS1_3repE0EEENS1_38merge_mergepath_config_static_selectorELNS0_4arch9wavefront6targetE0EEEvSK_,comdat
.Lfunc_end156:
	.size	_ZN7rocprim17ROCPRIM_400000_NS6detail17trampoline_kernelINS0_14default_configENS1_38merge_sort_block_merge_config_selectorIjNS0_10empty_typeEEEZZNS1_27merge_sort_block_merge_implIS3_N6thrust23THRUST_200600_302600_NS6detail15normal_iteratorINS9_10device_ptrIjEEEEPS5_m11less_div_10IjEEE10hipError_tT0_T1_T2_jT3_P12ihipStream_tbPNSt15iterator_traitsISJ_E10value_typeEPNSP_ISK_E10value_typeEPSL_NS1_7vsmem_tEENKUlT_SJ_SK_SL_E_clIPjSE_SF_SF_EESI_SY_SJ_SK_SL_EUlSY_E0_NS1_11comp_targetILNS1_3genE10ELNS1_11target_archE1201ELNS1_3gpuE5ELNS1_3repE0EEENS1_38merge_mergepath_config_static_selectorELNS0_4arch9wavefront6targetE0EEEvSK_, .Lfunc_end156-_ZN7rocprim17ROCPRIM_400000_NS6detail17trampoline_kernelINS0_14default_configENS1_38merge_sort_block_merge_config_selectorIjNS0_10empty_typeEEEZZNS1_27merge_sort_block_merge_implIS3_N6thrust23THRUST_200600_302600_NS6detail15normal_iteratorINS9_10device_ptrIjEEEEPS5_m11less_div_10IjEEE10hipError_tT0_T1_T2_jT3_P12ihipStream_tbPNSt15iterator_traitsISJ_E10value_typeEPNSP_ISK_E10value_typeEPSL_NS1_7vsmem_tEENKUlT_SJ_SK_SL_E_clIPjSE_SF_SF_EESI_SY_SJ_SK_SL_EUlSY_E0_NS1_11comp_targetILNS1_3genE10ELNS1_11target_archE1201ELNS1_3gpuE5ELNS1_3repE0EEENS1_38merge_mergepath_config_static_selectorELNS0_4arch9wavefront6targetE0EEEvSK_
                                        ; -- End function
	.set _ZN7rocprim17ROCPRIM_400000_NS6detail17trampoline_kernelINS0_14default_configENS1_38merge_sort_block_merge_config_selectorIjNS0_10empty_typeEEEZZNS1_27merge_sort_block_merge_implIS3_N6thrust23THRUST_200600_302600_NS6detail15normal_iteratorINS9_10device_ptrIjEEEEPS5_m11less_div_10IjEEE10hipError_tT0_T1_T2_jT3_P12ihipStream_tbPNSt15iterator_traitsISJ_E10value_typeEPNSP_ISK_E10value_typeEPSL_NS1_7vsmem_tEENKUlT_SJ_SK_SL_E_clIPjSE_SF_SF_EESI_SY_SJ_SK_SL_EUlSY_E0_NS1_11comp_targetILNS1_3genE10ELNS1_11target_archE1201ELNS1_3gpuE5ELNS1_3repE0EEENS1_38merge_mergepath_config_static_selectorELNS0_4arch9wavefront6targetE0EEEvSK_.num_vgpr, 0
	.set _ZN7rocprim17ROCPRIM_400000_NS6detail17trampoline_kernelINS0_14default_configENS1_38merge_sort_block_merge_config_selectorIjNS0_10empty_typeEEEZZNS1_27merge_sort_block_merge_implIS3_N6thrust23THRUST_200600_302600_NS6detail15normal_iteratorINS9_10device_ptrIjEEEEPS5_m11less_div_10IjEEE10hipError_tT0_T1_T2_jT3_P12ihipStream_tbPNSt15iterator_traitsISJ_E10value_typeEPNSP_ISK_E10value_typeEPSL_NS1_7vsmem_tEENKUlT_SJ_SK_SL_E_clIPjSE_SF_SF_EESI_SY_SJ_SK_SL_EUlSY_E0_NS1_11comp_targetILNS1_3genE10ELNS1_11target_archE1201ELNS1_3gpuE5ELNS1_3repE0EEENS1_38merge_mergepath_config_static_selectorELNS0_4arch9wavefront6targetE0EEEvSK_.num_agpr, 0
	.set _ZN7rocprim17ROCPRIM_400000_NS6detail17trampoline_kernelINS0_14default_configENS1_38merge_sort_block_merge_config_selectorIjNS0_10empty_typeEEEZZNS1_27merge_sort_block_merge_implIS3_N6thrust23THRUST_200600_302600_NS6detail15normal_iteratorINS9_10device_ptrIjEEEEPS5_m11less_div_10IjEEE10hipError_tT0_T1_T2_jT3_P12ihipStream_tbPNSt15iterator_traitsISJ_E10value_typeEPNSP_ISK_E10value_typeEPSL_NS1_7vsmem_tEENKUlT_SJ_SK_SL_E_clIPjSE_SF_SF_EESI_SY_SJ_SK_SL_EUlSY_E0_NS1_11comp_targetILNS1_3genE10ELNS1_11target_archE1201ELNS1_3gpuE5ELNS1_3repE0EEENS1_38merge_mergepath_config_static_selectorELNS0_4arch9wavefront6targetE0EEEvSK_.numbered_sgpr, 0
	.set _ZN7rocprim17ROCPRIM_400000_NS6detail17trampoline_kernelINS0_14default_configENS1_38merge_sort_block_merge_config_selectorIjNS0_10empty_typeEEEZZNS1_27merge_sort_block_merge_implIS3_N6thrust23THRUST_200600_302600_NS6detail15normal_iteratorINS9_10device_ptrIjEEEEPS5_m11less_div_10IjEEE10hipError_tT0_T1_T2_jT3_P12ihipStream_tbPNSt15iterator_traitsISJ_E10value_typeEPNSP_ISK_E10value_typeEPSL_NS1_7vsmem_tEENKUlT_SJ_SK_SL_E_clIPjSE_SF_SF_EESI_SY_SJ_SK_SL_EUlSY_E0_NS1_11comp_targetILNS1_3genE10ELNS1_11target_archE1201ELNS1_3gpuE5ELNS1_3repE0EEENS1_38merge_mergepath_config_static_selectorELNS0_4arch9wavefront6targetE0EEEvSK_.num_named_barrier, 0
	.set _ZN7rocprim17ROCPRIM_400000_NS6detail17trampoline_kernelINS0_14default_configENS1_38merge_sort_block_merge_config_selectorIjNS0_10empty_typeEEEZZNS1_27merge_sort_block_merge_implIS3_N6thrust23THRUST_200600_302600_NS6detail15normal_iteratorINS9_10device_ptrIjEEEEPS5_m11less_div_10IjEEE10hipError_tT0_T1_T2_jT3_P12ihipStream_tbPNSt15iterator_traitsISJ_E10value_typeEPNSP_ISK_E10value_typeEPSL_NS1_7vsmem_tEENKUlT_SJ_SK_SL_E_clIPjSE_SF_SF_EESI_SY_SJ_SK_SL_EUlSY_E0_NS1_11comp_targetILNS1_3genE10ELNS1_11target_archE1201ELNS1_3gpuE5ELNS1_3repE0EEENS1_38merge_mergepath_config_static_selectorELNS0_4arch9wavefront6targetE0EEEvSK_.private_seg_size, 0
	.set _ZN7rocprim17ROCPRIM_400000_NS6detail17trampoline_kernelINS0_14default_configENS1_38merge_sort_block_merge_config_selectorIjNS0_10empty_typeEEEZZNS1_27merge_sort_block_merge_implIS3_N6thrust23THRUST_200600_302600_NS6detail15normal_iteratorINS9_10device_ptrIjEEEEPS5_m11less_div_10IjEEE10hipError_tT0_T1_T2_jT3_P12ihipStream_tbPNSt15iterator_traitsISJ_E10value_typeEPNSP_ISK_E10value_typeEPSL_NS1_7vsmem_tEENKUlT_SJ_SK_SL_E_clIPjSE_SF_SF_EESI_SY_SJ_SK_SL_EUlSY_E0_NS1_11comp_targetILNS1_3genE10ELNS1_11target_archE1201ELNS1_3gpuE5ELNS1_3repE0EEENS1_38merge_mergepath_config_static_selectorELNS0_4arch9wavefront6targetE0EEEvSK_.uses_vcc, 0
	.set _ZN7rocprim17ROCPRIM_400000_NS6detail17trampoline_kernelINS0_14default_configENS1_38merge_sort_block_merge_config_selectorIjNS0_10empty_typeEEEZZNS1_27merge_sort_block_merge_implIS3_N6thrust23THRUST_200600_302600_NS6detail15normal_iteratorINS9_10device_ptrIjEEEEPS5_m11less_div_10IjEEE10hipError_tT0_T1_T2_jT3_P12ihipStream_tbPNSt15iterator_traitsISJ_E10value_typeEPNSP_ISK_E10value_typeEPSL_NS1_7vsmem_tEENKUlT_SJ_SK_SL_E_clIPjSE_SF_SF_EESI_SY_SJ_SK_SL_EUlSY_E0_NS1_11comp_targetILNS1_3genE10ELNS1_11target_archE1201ELNS1_3gpuE5ELNS1_3repE0EEENS1_38merge_mergepath_config_static_selectorELNS0_4arch9wavefront6targetE0EEEvSK_.uses_flat_scratch, 0
	.set _ZN7rocprim17ROCPRIM_400000_NS6detail17trampoline_kernelINS0_14default_configENS1_38merge_sort_block_merge_config_selectorIjNS0_10empty_typeEEEZZNS1_27merge_sort_block_merge_implIS3_N6thrust23THRUST_200600_302600_NS6detail15normal_iteratorINS9_10device_ptrIjEEEEPS5_m11less_div_10IjEEE10hipError_tT0_T1_T2_jT3_P12ihipStream_tbPNSt15iterator_traitsISJ_E10value_typeEPNSP_ISK_E10value_typeEPSL_NS1_7vsmem_tEENKUlT_SJ_SK_SL_E_clIPjSE_SF_SF_EESI_SY_SJ_SK_SL_EUlSY_E0_NS1_11comp_targetILNS1_3genE10ELNS1_11target_archE1201ELNS1_3gpuE5ELNS1_3repE0EEENS1_38merge_mergepath_config_static_selectorELNS0_4arch9wavefront6targetE0EEEvSK_.has_dyn_sized_stack, 0
	.set _ZN7rocprim17ROCPRIM_400000_NS6detail17trampoline_kernelINS0_14default_configENS1_38merge_sort_block_merge_config_selectorIjNS0_10empty_typeEEEZZNS1_27merge_sort_block_merge_implIS3_N6thrust23THRUST_200600_302600_NS6detail15normal_iteratorINS9_10device_ptrIjEEEEPS5_m11less_div_10IjEEE10hipError_tT0_T1_T2_jT3_P12ihipStream_tbPNSt15iterator_traitsISJ_E10value_typeEPNSP_ISK_E10value_typeEPSL_NS1_7vsmem_tEENKUlT_SJ_SK_SL_E_clIPjSE_SF_SF_EESI_SY_SJ_SK_SL_EUlSY_E0_NS1_11comp_targetILNS1_3genE10ELNS1_11target_archE1201ELNS1_3gpuE5ELNS1_3repE0EEENS1_38merge_mergepath_config_static_selectorELNS0_4arch9wavefront6targetE0EEEvSK_.has_recursion, 0
	.set _ZN7rocprim17ROCPRIM_400000_NS6detail17trampoline_kernelINS0_14default_configENS1_38merge_sort_block_merge_config_selectorIjNS0_10empty_typeEEEZZNS1_27merge_sort_block_merge_implIS3_N6thrust23THRUST_200600_302600_NS6detail15normal_iteratorINS9_10device_ptrIjEEEEPS5_m11less_div_10IjEEE10hipError_tT0_T1_T2_jT3_P12ihipStream_tbPNSt15iterator_traitsISJ_E10value_typeEPNSP_ISK_E10value_typeEPSL_NS1_7vsmem_tEENKUlT_SJ_SK_SL_E_clIPjSE_SF_SF_EESI_SY_SJ_SK_SL_EUlSY_E0_NS1_11comp_targetILNS1_3genE10ELNS1_11target_archE1201ELNS1_3gpuE5ELNS1_3repE0EEENS1_38merge_mergepath_config_static_selectorELNS0_4arch9wavefront6targetE0EEEvSK_.has_indirect_call, 0
	.section	.AMDGPU.csdata,"",@progbits
; Kernel info:
; codeLenInByte = 0
; TotalNumSgprs: 0
; NumVgprs: 0
; ScratchSize: 0
; MemoryBound: 0
; FloatMode: 240
; IeeeMode: 1
; LDSByteSize: 0 bytes/workgroup (compile time only)
; SGPRBlocks: 0
; VGPRBlocks: 0
; NumSGPRsForWavesPerEU: 1
; NumVGPRsForWavesPerEU: 1
; Occupancy: 16
; WaveLimiterHint : 0
; COMPUTE_PGM_RSRC2:SCRATCH_EN: 0
; COMPUTE_PGM_RSRC2:USER_SGPR: 6
; COMPUTE_PGM_RSRC2:TRAP_HANDLER: 0
; COMPUTE_PGM_RSRC2:TGID_X_EN: 1
; COMPUTE_PGM_RSRC2:TGID_Y_EN: 0
; COMPUTE_PGM_RSRC2:TGID_Z_EN: 0
; COMPUTE_PGM_RSRC2:TIDIG_COMP_CNT: 0
	.section	.text._ZN7rocprim17ROCPRIM_400000_NS6detail17trampoline_kernelINS0_14default_configENS1_38merge_sort_block_merge_config_selectorIjNS0_10empty_typeEEEZZNS1_27merge_sort_block_merge_implIS3_N6thrust23THRUST_200600_302600_NS6detail15normal_iteratorINS9_10device_ptrIjEEEEPS5_m11less_div_10IjEEE10hipError_tT0_T1_T2_jT3_P12ihipStream_tbPNSt15iterator_traitsISJ_E10value_typeEPNSP_ISK_E10value_typeEPSL_NS1_7vsmem_tEENKUlT_SJ_SK_SL_E_clIPjSE_SF_SF_EESI_SY_SJ_SK_SL_EUlSY_E0_NS1_11comp_targetILNS1_3genE5ELNS1_11target_archE942ELNS1_3gpuE9ELNS1_3repE0EEENS1_38merge_mergepath_config_static_selectorELNS0_4arch9wavefront6targetE0EEEvSK_,"axG",@progbits,_ZN7rocprim17ROCPRIM_400000_NS6detail17trampoline_kernelINS0_14default_configENS1_38merge_sort_block_merge_config_selectorIjNS0_10empty_typeEEEZZNS1_27merge_sort_block_merge_implIS3_N6thrust23THRUST_200600_302600_NS6detail15normal_iteratorINS9_10device_ptrIjEEEEPS5_m11less_div_10IjEEE10hipError_tT0_T1_T2_jT3_P12ihipStream_tbPNSt15iterator_traitsISJ_E10value_typeEPNSP_ISK_E10value_typeEPSL_NS1_7vsmem_tEENKUlT_SJ_SK_SL_E_clIPjSE_SF_SF_EESI_SY_SJ_SK_SL_EUlSY_E0_NS1_11comp_targetILNS1_3genE5ELNS1_11target_archE942ELNS1_3gpuE9ELNS1_3repE0EEENS1_38merge_mergepath_config_static_selectorELNS0_4arch9wavefront6targetE0EEEvSK_,comdat
	.protected	_ZN7rocprim17ROCPRIM_400000_NS6detail17trampoline_kernelINS0_14default_configENS1_38merge_sort_block_merge_config_selectorIjNS0_10empty_typeEEEZZNS1_27merge_sort_block_merge_implIS3_N6thrust23THRUST_200600_302600_NS6detail15normal_iteratorINS9_10device_ptrIjEEEEPS5_m11less_div_10IjEEE10hipError_tT0_T1_T2_jT3_P12ihipStream_tbPNSt15iterator_traitsISJ_E10value_typeEPNSP_ISK_E10value_typeEPSL_NS1_7vsmem_tEENKUlT_SJ_SK_SL_E_clIPjSE_SF_SF_EESI_SY_SJ_SK_SL_EUlSY_E0_NS1_11comp_targetILNS1_3genE5ELNS1_11target_archE942ELNS1_3gpuE9ELNS1_3repE0EEENS1_38merge_mergepath_config_static_selectorELNS0_4arch9wavefront6targetE0EEEvSK_ ; -- Begin function _ZN7rocprim17ROCPRIM_400000_NS6detail17trampoline_kernelINS0_14default_configENS1_38merge_sort_block_merge_config_selectorIjNS0_10empty_typeEEEZZNS1_27merge_sort_block_merge_implIS3_N6thrust23THRUST_200600_302600_NS6detail15normal_iteratorINS9_10device_ptrIjEEEEPS5_m11less_div_10IjEEE10hipError_tT0_T1_T2_jT3_P12ihipStream_tbPNSt15iterator_traitsISJ_E10value_typeEPNSP_ISK_E10value_typeEPSL_NS1_7vsmem_tEENKUlT_SJ_SK_SL_E_clIPjSE_SF_SF_EESI_SY_SJ_SK_SL_EUlSY_E0_NS1_11comp_targetILNS1_3genE5ELNS1_11target_archE942ELNS1_3gpuE9ELNS1_3repE0EEENS1_38merge_mergepath_config_static_selectorELNS0_4arch9wavefront6targetE0EEEvSK_
	.globl	_ZN7rocprim17ROCPRIM_400000_NS6detail17trampoline_kernelINS0_14default_configENS1_38merge_sort_block_merge_config_selectorIjNS0_10empty_typeEEEZZNS1_27merge_sort_block_merge_implIS3_N6thrust23THRUST_200600_302600_NS6detail15normal_iteratorINS9_10device_ptrIjEEEEPS5_m11less_div_10IjEEE10hipError_tT0_T1_T2_jT3_P12ihipStream_tbPNSt15iterator_traitsISJ_E10value_typeEPNSP_ISK_E10value_typeEPSL_NS1_7vsmem_tEENKUlT_SJ_SK_SL_E_clIPjSE_SF_SF_EESI_SY_SJ_SK_SL_EUlSY_E0_NS1_11comp_targetILNS1_3genE5ELNS1_11target_archE942ELNS1_3gpuE9ELNS1_3repE0EEENS1_38merge_mergepath_config_static_selectorELNS0_4arch9wavefront6targetE0EEEvSK_
	.p2align	8
	.type	_ZN7rocprim17ROCPRIM_400000_NS6detail17trampoline_kernelINS0_14default_configENS1_38merge_sort_block_merge_config_selectorIjNS0_10empty_typeEEEZZNS1_27merge_sort_block_merge_implIS3_N6thrust23THRUST_200600_302600_NS6detail15normal_iteratorINS9_10device_ptrIjEEEEPS5_m11less_div_10IjEEE10hipError_tT0_T1_T2_jT3_P12ihipStream_tbPNSt15iterator_traitsISJ_E10value_typeEPNSP_ISK_E10value_typeEPSL_NS1_7vsmem_tEENKUlT_SJ_SK_SL_E_clIPjSE_SF_SF_EESI_SY_SJ_SK_SL_EUlSY_E0_NS1_11comp_targetILNS1_3genE5ELNS1_11target_archE942ELNS1_3gpuE9ELNS1_3repE0EEENS1_38merge_mergepath_config_static_selectorELNS0_4arch9wavefront6targetE0EEEvSK_,@function
_ZN7rocprim17ROCPRIM_400000_NS6detail17trampoline_kernelINS0_14default_configENS1_38merge_sort_block_merge_config_selectorIjNS0_10empty_typeEEEZZNS1_27merge_sort_block_merge_implIS3_N6thrust23THRUST_200600_302600_NS6detail15normal_iteratorINS9_10device_ptrIjEEEEPS5_m11less_div_10IjEEE10hipError_tT0_T1_T2_jT3_P12ihipStream_tbPNSt15iterator_traitsISJ_E10value_typeEPNSP_ISK_E10value_typeEPSL_NS1_7vsmem_tEENKUlT_SJ_SK_SL_E_clIPjSE_SF_SF_EESI_SY_SJ_SK_SL_EUlSY_E0_NS1_11comp_targetILNS1_3genE5ELNS1_11target_archE942ELNS1_3gpuE9ELNS1_3repE0EEENS1_38merge_mergepath_config_static_selectorELNS0_4arch9wavefront6targetE0EEEvSK_: ; @_ZN7rocprim17ROCPRIM_400000_NS6detail17trampoline_kernelINS0_14default_configENS1_38merge_sort_block_merge_config_selectorIjNS0_10empty_typeEEEZZNS1_27merge_sort_block_merge_implIS3_N6thrust23THRUST_200600_302600_NS6detail15normal_iteratorINS9_10device_ptrIjEEEEPS5_m11less_div_10IjEEE10hipError_tT0_T1_T2_jT3_P12ihipStream_tbPNSt15iterator_traitsISJ_E10value_typeEPNSP_ISK_E10value_typeEPSL_NS1_7vsmem_tEENKUlT_SJ_SK_SL_E_clIPjSE_SF_SF_EESI_SY_SJ_SK_SL_EUlSY_E0_NS1_11comp_targetILNS1_3genE5ELNS1_11target_archE942ELNS1_3gpuE9ELNS1_3repE0EEENS1_38merge_mergepath_config_static_selectorELNS0_4arch9wavefront6targetE0EEEvSK_
; %bb.0:
	.section	.rodata,"a",@progbits
	.p2align	6, 0x0
	.amdhsa_kernel _ZN7rocprim17ROCPRIM_400000_NS6detail17trampoline_kernelINS0_14default_configENS1_38merge_sort_block_merge_config_selectorIjNS0_10empty_typeEEEZZNS1_27merge_sort_block_merge_implIS3_N6thrust23THRUST_200600_302600_NS6detail15normal_iteratorINS9_10device_ptrIjEEEEPS5_m11less_div_10IjEEE10hipError_tT0_T1_T2_jT3_P12ihipStream_tbPNSt15iterator_traitsISJ_E10value_typeEPNSP_ISK_E10value_typeEPSL_NS1_7vsmem_tEENKUlT_SJ_SK_SL_E_clIPjSE_SF_SF_EESI_SY_SJ_SK_SL_EUlSY_E0_NS1_11comp_targetILNS1_3genE5ELNS1_11target_archE942ELNS1_3gpuE9ELNS1_3repE0EEENS1_38merge_mergepath_config_static_selectorELNS0_4arch9wavefront6targetE0EEEvSK_
		.amdhsa_group_segment_fixed_size 0
		.amdhsa_private_segment_fixed_size 0
		.amdhsa_kernarg_size 72
		.amdhsa_user_sgpr_count 6
		.amdhsa_user_sgpr_private_segment_buffer 1
		.amdhsa_user_sgpr_dispatch_ptr 0
		.amdhsa_user_sgpr_queue_ptr 0
		.amdhsa_user_sgpr_kernarg_segment_ptr 1
		.amdhsa_user_sgpr_dispatch_id 0
		.amdhsa_user_sgpr_flat_scratch_init 0
		.amdhsa_user_sgpr_private_segment_size 0
		.amdhsa_wavefront_size32 1
		.amdhsa_uses_dynamic_stack 0
		.amdhsa_system_sgpr_private_segment_wavefront_offset 0
		.amdhsa_system_sgpr_workgroup_id_x 1
		.amdhsa_system_sgpr_workgroup_id_y 0
		.amdhsa_system_sgpr_workgroup_id_z 0
		.amdhsa_system_sgpr_workgroup_info 0
		.amdhsa_system_vgpr_workitem_id 0
		.amdhsa_next_free_vgpr 1
		.amdhsa_next_free_sgpr 1
		.amdhsa_reserve_vcc 0
		.amdhsa_reserve_flat_scratch 0
		.amdhsa_float_round_mode_32 0
		.amdhsa_float_round_mode_16_64 0
		.amdhsa_float_denorm_mode_32 3
		.amdhsa_float_denorm_mode_16_64 3
		.amdhsa_dx10_clamp 1
		.amdhsa_ieee_mode 1
		.amdhsa_fp16_overflow 0
		.amdhsa_workgroup_processor_mode 1
		.amdhsa_memory_ordered 1
		.amdhsa_forward_progress 1
		.amdhsa_shared_vgpr_count 0
		.amdhsa_exception_fp_ieee_invalid_op 0
		.amdhsa_exception_fp_denorm_src 0
		.amdhsa_exception_fp_ieee_div_zero 0
		.amdhsa_exception_fp_ieee_overflow 0
		.amdhsa_exception_fp_ieee_underflow 0
		.amdhsa_exception_fp_ieee_inexact 0
		.amdhsa_exception_int_div_zero 0
	.end_amdhsa_kernel
	.section	.text._ZN7rocprim17ROCPRIM_400000_NS6detail17trampoline_kernelINS0_14default_configENS1_38merge_sort_block_merge_config_selectorIjNS0_10empty_typeEEEZZNS1_27merge_sort_block_merge_implIS3_N6thrust23THRUST_200600_302600_NS6detail15normal_iteratorINS9_10device_ptrIjEEEEPS5_m11less_div_10IjEEE10hipError_tT0_T1_T2_jT3_P12ihipStream_tbPNSt15iterator_traitsISJ_E10value_typeEPNSP_ISK_E10value_typeEPSL_NS1_7vsmem_tEENKUlT_SJ_SK_SL_E_clIPjSE_SF_SF_EESI_SY_SJ_SK_SL_EUlSY_E0_NS1_11comp_targetILNS1_3genE5ELNS1_11target_archE942ELNS1_3gpuE9ELNS1_3repE0EEENS1_38merge_mergepath_config_static_selectorELNS0_4arch9wavefront6targetE0EEEvSK_,"axG",@progbits,_ZN7rocprim17ROCPRIM_400000_NS6detail17trampoline_kernelINS0_14default_configENS1_38merge_sort_block_merge_config_selectorIjNS0_10empty_typeEEEZZNS1_27merge_sort_block_merge_implIS3_N6thrust23THRUST_200600_302600_NS6detail15normal_iteratorINS9_10device_ptrIjEEEEPS5_m11less_div_10IjEEE10hipError_tT0_T1_T2_jT3_P12ihipStream_tbPNSt15iterator_traitsISJ_E10value_typeEPNSP_ISK_E10value_typeEPSL_NS1_7vsmem_tEENKUlT_SJ_SK_SL_E_clIPjSE_SF_SF_EESI_SY_SJ_SK_SL_EUlSY_E0_NS1_11comp_targetILNS1_3genE5ELNS1_11target_archE942ELNS1_3gpuE9ELNS1_3repE0EEENS1_38merge_mergepath_config_static_selectorELNS0_4arch9wavefront6targetE0EEEvSK_,comdat
.Lfunc_end157:
	.size	_ZN7rocprim17ROCPRIM_400000_NS6detail17trampoline_kernelINS0_14default_configENS1_38merge_sort_block_merge_config_selectorIjNS0_10empty_typeEEEZZNS1_27merge_sort_block_merge_implIS3_N6thrust23THRUST_200600_302600_NS6detail15normal_iteratorINS9_10device_ptrIjEEEEPS5_m11less_div_10IjEEE10hipError_tT0_T1_T2_jT3_P12ihipStream_tbPNSt15iterator_traitsISJ_E10value_typeEPNSP_ISK_E10value_typeEPSL_NS1_7vsmem_tEENKUlT_SJ_SK_SL_E_clIPjSE_SF_SF_EESI_SY_SJ_SK_SL_EUlSY_E0_NS1_11comp_targetILNS1_3genE5ELNS1_11target_archE942ELNS1_3gpuE9ELNS1_3repE0EEENS1_38merge_mergepath_config_static_selectorELNS0_4arch9wavefront6targetE0EEEvSK_, .Lfunc_end157-_ZN7rocprim17ROCPRIM_400000_NS6detail17trampoline_kernelINS0_14default_configENS1_38merge_sort_block_merge_config_selectorIjNS0_10empty_typeEEEZZNS1_27merge_sort_block_merge_implIS3_N6thrust23THRUST_200600_302600_NS6detail15normal_iteratorINS9_10device_ptrIjEEEEPS5_m11less_div_10IjEEE10hipError_tT0_T1_T2_jT3_P12ihipStream_tbPNSt15iterator_traitsISJ_E10value_typeEPNSP_ISK_E10value_typeEPSL_NS1_7vsmem_tEENKUlT_SJ_SK_SL_E_clIPjSE_SF_SF_EESI_SY_SJ_SK_SL_EUlSY_E0_NS1_11comp_targetILNS1_3genE5ELNS1_11target_archE942ELNS1_3gpuE9ELNS1_3repE0EEENS1_38merge_mergepath_config_static_selectorELNS0_4arch9wavefront6targetE0EEEvSK_
                                        ; -- End function
	.set _ZN7rocprim17ROCPRIM_400000_NS6detail17trampoline_kernelINS0_14default_configENS1_38merge_sort_block_merge_config_selectorIjNS0_10empty_typeEEEZZNS1_27merge_sort_block_merge_implIS3_N6thrust23THRUST_200600_302600_NS6detail15normal_iteratorINS9_10device_ptrIjEEEEPS5_m11less_div_10IjEEE10hipError_tT0_T1_T2_jT3_P12ihipStream_tbPNSt15iterator_traitsISJ_E10value_typeEPNSP_ISK_E10value_typeEPSL_NS1_7vsmem_tEENKUlT_SJ_SK_SL_E_clIPjSE_SF_SF_EESI_SY_SJ_SK_SL_EUlSY_E0_NS1_11comp_targetILNS1_3genE5ELNS1_11target_archE942ELNS1_3gpuE9ELNS1_3repE0EEENS1_38merge_mergepath_config_static_selectorELNS0_4arch9wavefront6targetE0EEEvSK_.num_vgpr, 0
	.set _ZN7rocprim17ROCPRIM_400000_NS6detail17trampoline_kernelINS0_14default_configENS1_38merge_sort_block_merge_config_selectorIjNS0_10empty_typeEEEZZNS1_27merge_sort_block_merge_implIS3_N6thrust23THRUST_200600_302600_NS6detail15normal_iteratorINS9_10device_ptrIjEEEEPS5_m11less_div_10IjEEE10hipError_tT0_T1_T2_jT3_P12ihipStream_tbPNSt15iterator_traitsISJ_E10value_typeEPNSP_ISK_E10value_typeEPSL_NS1_7vsmem_tEENKUlT_SJ_SK_SL_E_clIPjSE_SF_SF_EESI_SY_SJ_SK_SL_EUlSY_E0_NS1_11comp_targetILNS1_3genE5ELNS1_11target_archE942ELNS1_3gpuE9ELNS1_3repE0EEENS1_38merge_mergepath_config_static_selectorELNS0_4arch9wavefront6targetE0EEEvSK_.num_agpr, 0
	.set _ZN7rocprim17ROCPRIM_400000_NS6detail17trampoline_kernelINS0_14default_configENS1_38merge_sort_block_merge_config_selectorIjNS0_10empty_typeEEEZZNS1_27merge_sort_block_merge_implIS3_N6thrust23THRUST_200600_302600_NS6detail15normal_iteratorINS9_10device_ptrIjEEEEPS5_m11less_div_10IjEEE10hipError_tT0_T1_T2_jT3_P12ihipStream_tbPNSt15iterator_traitsISJ_E10value_typeEPNSP_ISK_E10value_typeEPSL_NS1_7vsmem_tEENKUlT_SJ_SK_SL_E_clIPjSE_SF_SF_EESI_SY_SJ_SK_SL_EUlSY_E0_NS1_11comp_targetILNS1_3genE5ELNS1_11target_archE942ELNS1_3gpuE9ELNS1_3repE0EEENS1_38merge_mergepath_config_static_selectorELNS0_4arch9wavefront6targetE0EEEvSK_.numbered_sgpr, 0
	.set _ZN7rocprim17ROCPRIM_400000_NS6detail17trampoline_kernelINS0_14default_configENS1_38merge_sort_block_merge_config_selectorIjNS0_10empty_typeEEEZZNS1_27merge_sort_block_merge_implIS3_N6thrust23THRUST_200600_302600_NS6detail15normal_iteratorINS9_10device_ptrIjEEEEPS5_m11less_div_10IjEEE10hipError_tT0_T1_T2_jT3_P12ihipStream_tbPNSt15iterator_traitsISJ_E10value_typeEPNSP_ISK_E10value_typeEPSL_NS1_7vsmem_tEENKUlT_SJ_SK_SL_E_clIPjSE_SF_SF_EESI_SY_SJ_SK_SL_EUlSY_E0_NS1_11comp_targetILNS1_3genE5ELNS1_11target_archE942ELNS1_3gpuE9ELNS1_3repE0EEENS1_38merge_mergepath_config_static_selectorELNS0_4arch9wavefront6targetE0EEEvSK_.num_named_barrier, 0
	.set _ZN7rocprim17ROCPRIM_400000_NS6detail17trampoline_kernelINS0_14default_configENS1_38merge_sort_block_merge_config_selectorIjNS0_10empty_typeEEEZZNS1_27merge_sort_block_merge_implIS3_N6thrust23THRUST_200600_302600_NS6detail15normal_iteratorINS9_10device_ptrIjEEEEPS5_m11less_div_10IjEEE10hipError_tT0_T1_T2_jT3_P12ihipStream_tbPNSt15iterator_traitsISJ_E10value_typeEPNSP_ISK_E10value_typeEPSL_NS1_7vsmem_tEENKUlT_SJ_SK_SL_E_clIPjSE_SF_SF_EESI_SY_SJ_SK_SL_EUlSY_E0_NS1_11comp_targetILNS1_3genE5ELNS1_11target_archE942ELNS1_3gpuE9ELNS1_3repE0EEENS1_38merge_mergepath_config_static_selectorELNS0_4arch9wavefront6targetE0EEEvSK_.private_seg_size, 0
	.set _ZN7rocprim17ROCPRIM_400000_NS6detail17trampoline_kernelINS0_14default_configENS1_38merge_sort_block_merge_config_selectorIjNS0_10empty_typeEEEZZNS1_27merge_sort_block_merge_implIS3_N6thrust23THRUST_200600_302600_NS6detail15normal_iteratorINS9_10device_ptrIjEEEEPS5_m11less_div_10IjEEE10hipError_tT0_T1_T2_jT3_P12ihipStream_tbPNSt15iterator_traitsISJ_E10value_typeEPNSP_ISK_E10value_typeEPSL_NS1_7vsmem_tEENKUlT_SJ_SK_SL_E_clIPjSE_SF_SF_EESI_SY_SJ_SK_SL_EUlSY_E0_NS1_11comp_targetILNS1_3genE5ELNS1_11target_archE942ELNS1_3gpuE9ELNS1_3repE0EEENS1_38merge_mergepath_config_static_selectorELNS0_4arch9wavefront6targetE0EEEvSK_.uses_vcc, 0
	.set _ZN7rocprim17ROCPRIM_400000_NS6detail17trampoline_kernelINS0_14default_configENS1_38merge_sort_block_merge_config_selectorIjNS0_10empty_typeEEEZZNS1_27merge_sort_block_merge_implIS3_N6thrust23THRUST_200600_302600_NS6detail15normal_iteratorINS9_10device_ptrIjEEEEPS5_m11less_div_10IjEEE10hipError_tT0_T1_T2_jT3_P12ihipStream_tbPNSt15iterator_traitsISJ_E10value_typeEPNSP_ISK_E10value_typeEPSL_NS1_7vsmem_tEENKUlT_SJ_SK_SL_E_clIPjSE_SF_SF_EESI_SY_SJ_SK_SL_EUlSY_E0_NS1_11comp_targetILNS1_3genE5ELNS1_11target_archE942ELNS1_3gpuE9ELNS1_3repE0EEENS1_38merge_mergepath_config_static_selectorELNS0_4arch9wavefront6targetE0EEEvSK_.uses_flat_scratch, 0
	.set _ZN7rocprim17ROCPRIM_400000_NS6detail17trampoline_kernelINS0_14default_configENS1_38merge_sort_block_merge_config_selectorIjNS0_10empty_typeEEEZZNS1_27merge_sort_block_merge_implIS3_N6thrust23THRUST_200600_302600_NS6detail15normal_iteratorINS9_10device_ptrIjEEEEPS5_m11less_div_10IjEEE10hipError_tT0_T1_T2_jT3_P12ihipStream_tbPNSt15iterator_traitsISJ_E10value_typeEPNSP_ISK_E10value_typeEPSL_NS1_7vsmem_tEENKUlT_SJ_SK_SL_E_clIPjSE_SF_SF_EESI_SY_SJ_SK_SL_EUlSY_E0_NS1_11comp_targetILNS1_3genE5ELNS1_11target_archE942ELNS1_3gpuE9ELNS1_3repE0EEENS1_38merge_mergepath_config_static_selectorELNS0_4arch9wavefront6targetE0EEEvSK_.has_dyn_sized_stack, 0
	.set _ZN7rocprim17ROCPRIM_400000_NS6detail17trampoline_kernelINS0_14default_configENS1_38merge_sort_block_merge_config_selectorIjNS0_10empty_typeEEEZZNS1_27merge_sort_block_merge_implIS3_N6thrust23THRUST_200600_302600_NS6detail15normal_iteratorINS9_10device_ptrIjEEEEPS5_m11less_div_10IjEEE10hipError_tT0_T1_T2_jT3_P12ihipStream_tbPNSt15iterator_traitsISJ_E10value_typeEPNSP_ISK_E10value_typeEPSL_NS1_7vsmem_tEENKUlT_SJ_SK_SL_E_clIPjSE_SF_SF_EESI_SY_SJ_SK_SL_EUlSY_E0_NS1_11comp_targetILNS1_3genE5ELNS1_11target_archE942ELNS1_3gpuE9ELNS1_3repE0EEENS1_38merge_mergepath_config_static_selectorELNS0_4arch9wavefront6targetE0EEEvSK_.has_recursion, 0
	.set _ZN7rocprim17ROCPRIM_400000_NS6detail17trampoline_kernelINS0_14default_configENS1_38merge_sort_block_merge_config_selectorIjNS0_10empty_typeEEEZZNS1_27merge_sort_block_merge_implIS3_N6thrust23THRUST_200600_302600_NS6detail15normal_iteratorINS9_10device_ptrIjEEEEPS5_m11less_div_10IjEEE10hipError_tT0_T1_T2_jT3_P12ihipStream_tbPNSt15iterator_traitsISJ_E10value_typeEPNSP_ISK_E10value_typeEPSL_NS1_7vsmem_tEENKUlT_SJ_SK_SL_E_clIPjSE_SF_SF_EESI_SY_SJ_SK_SL_EUlSY_E0_NS1_11comp_targetILNS1_3genE5ELNS1_11target_archE942ELNS1_3gpuE9ELNS1_3repE0EEENS1_38merge_mergepath_config_static_selectorELNS0_4arch9wavefront6targetE0EEEvSK_.has_indirect_call, 0
	.section	.AMDGPU.csdata,"",@progbits
; Kernel info:
; codeLenInByte = 0
; TotalNumSgprs: 0
; NumVgprs: 0
; ScratchSize: 0
; MemoryBound: 0
; FloatMode: 240
; IeeeMode: 1
; LDSByteSize: 0 bytes/workgroup (compile time only)
; SGPRBlocks: 0
; VGPRBlocks: 0
; NumSGPRsForWavesPerEU: 1
; NumVGPRsForWavesPerEU: 1
; Occupancy: 16
; WaveLimiterHint : 0
; COMPUTE_PGM_RSRC2:SCRATCH_EN: 0
; COMPUTE_PGM_RSRC2:USER_SGPR: 6
; COMPUTE_PGM_RSRC2:TRAP_HANDLER: 0
; COMPUTE_PGM_RSRC2:TGID_X_EN: 1
; COMPUTE_PGM_RSRC2:TGID_Y_EN: 0
; COMPUTE_PGM_RSRC2:TGID_Z_EN: 0
; COMPUTE_PGM_RSRC2:TIDIG_COMP_CNT: 0
	.section	.text._ZN7rocprim17ROCPRIM_400000_NS6detail17trampoline_kernelINS0_14default_configENS1_38merge_sort_block_merge_config_selectorIjNS0_10empty_typeEEEZZNS1_27merge_sort_block_merge_implIS3_N6thrust23THRUST_200600_302600_NS6detail15normal_iteratorINS9_10device_ptrIjEEEEPS5_m11less_div_10IjEEE10hipError_tT0_T1_T2_jT3_P12ihipStream_tbPNSt15iterator_traitsISJ_E10value_typeEPNSP_ISK_E10value_typeEPSL_NS1_7vsmem_tEENKUlT_SJ_SK_SL_E_clIPjSE_SF_SF_EESI_SY_SJ_SK_SL_EUlSY_E0_NS1_11comp_targetILNS1_3genE4ELNS1_11target_archE910ELNS1_3gpuE8ELNS1_3repE0EEENS1_38merge_mergepath_config_static_selectorELNS0_4arch9wavefront6targetE0EEEvSK_,"axG",@progbits,_ZN7rocprim17ROCPRIM_400000_NS6detail17trampoline_kernelINS0_14default_configENS1_38merge_sort_block_merge_config_selectorIjNS0_10empty_typeEEEZZNS1_27merge_sort_block_merge_implIS3_N6thrust23THRUST_200600_302600_NS6detail15normal_iteratorINS9_10device_ptrIjEEEEPS5_m11less_div_10IjEEE10hipError_tT0_T1_T2_jT3_P12ihipStream_tbPNSt15iterator_traitsISJ_E10value_typeEPNSP_ISK_E10value_typeEPSL_NS1_7vsmem_tEENKUlT_SJ_SK_SL_E_clIPjSE_SF_SF_EESI_SY_SJ_SK_SL_EUlSY_E0_NS1_11comp_targetILNS1_3genE4ELNS1_11target_archE910ELNS1_3gpuE8ELNS1_3repE0EEENS1_38merge_mergepath_config_static_selectorELNS0_4arch9wavefront6targetE0EEEvSK_,comdat
	.protected	_ZN7rocprim17ROCPRIM_400000_NS6detail17trampoline_kernelINS0_14default_configENS1_38merge_sort_block_merge_config_selectorIjNS0_10empty_typeEEEZZNS1_27merge_sort_block_merge_implIS3_N6thrust23THRUST_200600_302600_NS6detail15normal_iteratorINS9_10device_ptrIjEEEEPS5_m11less_div_10IjEEE10hipError_tT0_T1_T2_jT3_P12ihipStream_tbPNSt15iterator_traitsISJ_E10value_typeEPNSP_ISK_E10value_typeEPSL_NS1_7vsmem_tEENKUlT_SJ_SK_SL_E_clIPjSE_SF_SF_EESI_SY_SJ_SK_SL_EUlSY_E0_NS1_11comp_targetILNS1_3genE4ELNS1_11target_archE910ELNS1_3gpuE8ELNS1_3repE0EEENS1_38merge_mergepath_config_static_selectorELNS0_4arch9wavefront6targetE0EEEvSK_ ; -- Begin function _ZN7rocprim17ROCPRIM_400000_NS6detail17trampoline_kernelINS0_14default_configENS1_38merge_sort_block_merge_config_selectorIjNS0_10empty_typeEEEZZNS1_27merge_sort_block_merge_implIS3_N6thrust23THRUST_200600_302600_NS6detail15normal_iteratorINS9_10device_ptrIjEEEEPS5_m11less_div_10IjEEE10hipError_tT0_T1_T2_jT3_P12ihipStream_tbPNSt15iterator_traitsISJ_E10value_typeEPNSP_ISK_E10value_typeEPSL_NS1_7vsmem_tEENKUlT_SJ_SK_SL_E_clIPjSE_SF_SF_EESI_SY_SJ_SK_SL_EUlSY_E0_NS1_11comp_targetILNS1_3genE4ELNS1_11target_archE910ELNS1_3gpuE8ELNS1_3repE0EEENS1_38merge_mergepath_config_static_selectorELNS0_4arch9wavefront6targetE0EEEvSK_
	.globl	_ZN7rocprim17ROCPRIM_400000_NS6detail17trampoline_kernelINS0_14default_configENS1_38merge_sort_block_merge_config_selectorIjNS0_10empty_typeEEEZZNS1_27merge_sort_block_merge_implIS3_N6thrust23THRUST_200600_302600_NS6detail15normal_iteratorINS9_10device_ptrIjEEEEPS5_m11less_div_10IjEEE10hipError_tT0_T1_T2_jT3_P12ihipStream_tbPNSt15iterator_traitsISJ_E10value_typeEPNSP_ISK_E10value_typeEPSL_NS1_7vsmem_tEENKUlT_SJ_SK_SL_E_clIPjSE_SF_SF_EESI_SY_SJ_SK_SL_EUlSY_E0_NS1_11comp_targetILNS1_3genE4ELNS1_11target_archE910ELNS1_3gpuE8ELNS1_3repE0EEENS1_38merge_mergepath_config_static_selectorELNS0_4arch9wavefront6targetE0EEEvSK_
	.p2align	8
	.type	_ZN7rocprim17ROCPRIM_400000_NS6detail17trampoline_kernelINS0_14default_configENS1_38merge_sort_block_merge_config_selectorIjNS0_10empty_typeEEEZZNS1_27merge_sort_block_merge_implIS3_N6thrust23THRUST_200600_302600_NS6detail15normal_iteratorINS9_10device_ptrIjEEEEPS5_m11less_div_10IjEEE10hipError_tT0_T1_T2_jT3_P12ihipStream_tbPNSt15iterator_traitsISJ_E10value_typeEPNSP_ISK_E10value_typeEPSL_NS1_7vsmem_tEENKUlT_SJ_SK_SL_E_clIPjSE_SF_SF_EESI_SY_SJ_SK_SL_EUlSY_E0_NS1_11comp_targetILNS1_3genE4ELNS1_11target_archE910ELNS1_3gpuE8ELNS1_3repE0EEENS1_38merge_mergepath_config_static_selectorELNS0_4arch9wavefront6targetE0EEEvSK_,@function
_ZN7rocprim17ROCPRIM_400000_NS6detail17trampoline_kernelINS0_14default_configENS1_38merge_sort_block_merge_config_selectorIjNS0_10empty_typeEEEZZNS1_27merge_sort_block_merge_implIS3_N6thrust23THRUST_200600_302600_NS6detail15normal_iteratorINS9_10device_ptrIjEEEEPS5_m11less_div_10IjEEE10hipError_tT0_T1_T2_jT3_P12ihipStream_tbPNSt15iterator_traitsISJ_E10value_typeEPNSP_ISK_E10value_typeEPSL_NS1_7vsmem_tEENKUlT_SJ_SK_SL_E_clIPjSE_SF_SF_EESI_SY_SJ_SK_SL_EUlSY_E0_NS1_11comp_targetILNS1_3genE4ELNS1_11target_archE910ELNS1_3gpuE8ELNS1_3repE0EEENS1_38merge_mergepath_config_static_selectorELNS0_4arch9wavefront6targetE0EEEvSK_: ; @_ZN7rocprim17ROCPRIM_400000_NS6detail17trampoline_kernelINS0_14default_configENS1_38merge_sort_block_merge_config_selectorIjNS0_10empty_typeEEEZZNS1_27merge_sort_block_merge_implIS3_N6thrust23THRUST_200600_302600_NS6detail15normal_iteratorINS9_10device_ptrIjEEEEPS5_m11less_div_10IjEEE10hipError_tT0_T1_T2_jT3_P12ihipStream_tbPNSt15iterator_traitsISJ_E10value_typeEPNSP_ISK_E10value_typeEPSL_NS1_7vsmem_tEENKUlT_SJ_SK_SL_E_clIPjSE_SF_SF_EESI_SY_SJ_SK_SL_EUlSY_E0_NS1_11comp_targetILNS1_3genE4ELNS1_11target_archE910ELNS1_3gpuE8ELNS1_3repE0EEENS1_38merge_mergepath_config_static_selectorELNS0_4arch9wavefront6targetE0EEEvSK_
; %bb.0:
	.section	.rodata,"a",@progbits
	.p2align	6, 0x0
	.amdhsa_kernel _ZN7rocprim17ROCPRIM_400000_NS6detail17trampoline_kernelINS0_14default_configENS1_38merge_sort_block_merge_config_selectorIjNS0_10empty_typeEEEZZNS1_27merge_sort_block_merge_implIS3_N6thrust23THRUST_200600_302600_NS6detail15normal_iteratorINS9_10device_ptrIjEEEEPS5_m11less_div_10IjEEE10hipError_tT0_T1_T2_jT3_P12ihipStream_tbPNSt15iterator_traitsISJ_E10value_typeEPNSP_ISK_E10value_typeEPSL_NS1_7vsmem_tEENKUlT_SJ_SK_SL_E_clIPjSE_SF_SF_EESI_SY_SJ_SK_SL_EUlSY_E0_NS1_11comp_targetILNS1_3genE4ELNS1_11target_archE910ELNS1_3gpuE8ELNS1_3repE0EEENS1_38merge_mergepath_config_static_selectorELNS0_4arch9wavefront6targetE0EEEvSK_
		.amdhsa_group_segment_fixed_size 0
		.amdhsa_private_segment_fixed_size 0
		.amdhsa_kernarg_size 72
		.amdhsa_user_sgpr_count 6
		.amdhsa_user_sgpr_private_segment_buffer 1
		.amdhsa_user_sgpr_dispatch_ptr 0
		.amdhsa_user_sgpr_queue_ptr 0
		.amdhsa_user_sgpr_kernarg_segment_ptr 1
		.amdhsa_user_sgpr_dispatch_id 0
		.amdhsa_user_sgpr_flat_scratch_init 0
		.amdhsa_user_sgpr_private_segment_size 0
		.amdhsa_wavefront_size32 1
		.amdhsa_uses_dynamic_stack 0
		.amdhsa_system_sgpr_private_segment_wavefront_offset 0
		.amdhsa_system_sgpr_workgroup_id_x 1
		.amdhsa_system_sgpr_workgroup_id_y 0
		.amdhsa_system_sgpr_workgroup_id_z 0
		.amdhsa_system_sgpr_workgroup_info 0
		.amdhsa_system_vgpr_workitem_id 0
		.amdhsa_next_free_vgpr 1
		.amdhsa_next_free_sgpr 1
		.amdhsa_reserve_vcc 0
		.amdhsa_reserve_flat_scratch 0
		.amdhsa_float_round_mode_32 0
		.amdhsa_float_round_mode_16_64 0
		.amdhsa_float_denorm_mode_32 3
		.amdhsa_float_denorm_mode_16_64 3
		.amdhsa_dx10_clamp 1
		.amdhsa_ieee_mode 1
		.amdhsa_fp16_overflow 0
		.amdhsa_workgroup_processor_mode 1
		.amdhsa_memory_ordered 1
		.amdhsa_forward_progress 1
		.amdhsa_shared_vgpr_count 0
		.amdhsa_exception_fp_ieee_invalid_op 0
		.amdhsa_exception_fp_denorm_src 0
		.amdhsa_exception_fp_ieee_div_zero 0
		.amdhsa_exception_fp_ieee_overflow 0
		.amdhsa_exception_fp_ieee_underflow 0
		.amdhsa_exception_fp_ieee_inexact 0
		.amdhsa_exception_int_div_zero 0
	.end_amdhsa_kernel
	.section	.text._ZN7rocprim17ROCPRIM_400000_NS6detail17trampoline_kernelINS0_14default_configENS1_38merge_sort_block_merge_config_selectorIjNS0_10empty_typeEEEZZNS1_27merge_sort_block_merge_implIS3_N6thrust23THRUST_200600_302600_NS6detail15normal_iteratorINS9_10device_ptrIjEEEEPS5_m11less_div_10IjEEE10hipError_tT0_T1_T2_jT3_P12ihipStream_tbPNSt15iterator_traitsISJ_E10value_typeEPNSP_ISK_E10value_typeEPSL_NS1_7vsmem_tEENKUlT_SJ_SK_SL_E_clIPjSE_SF_SF_EESI_SY_SJ_SK_SL_EUlSY_E0_NS1_11comp_targetILNS1_3genE4ELNS1_11target_archE910ELNS1_3gpuE8ELNS1_3repE0EEENS1_38merge_mergepath_config_static_selectorELNS0_4arch9wavefront6targetE0EEEvSK_,"axG",@progbits,_ZN7rocprim17ROCPRIM_400000_NS6detail17trampoline_kernelINS0_14default_configENS1_38merge_sort_block_merge_config_selectorIjNS0_10empty_typeEEEZZNS1_27merge_sort_block_merge_implIS3_N6thrust23THRUST_200600_302600_NS6detail15normal_iteratorINS9_10device_ptrIjEEEEPS5_m11less_div_10IjEEE10hipError_tT0_T1_T2_jT3_P12ihipStream_tbPNSt15iterator_traitsISJ_E10value_typeEPNSP_ISK_E10value_typeEPSL_NS1_7vsmem_tEENKUlT_SJ_SK_SL_E_clIPjSE_SF_SF_EESI_SY_SJ_SK_SL_EUlSY_E0_NS1_11comp_targetILNS1_3genE4ELNS1_11target_archE910ELNS1_3gpuE8ELNS1_3repE0EEENS1_38merge_mergepath_config_static_selectorELNS0_4arch9wavefront6targetE0EEEvSK_,comdat
.Lfunc_end158:
	.size	_ZN7rocprim17ROCPRIM_400000_NS6detail17trampoline_kernelINS0_14default_configENS1_38merge_sort_block_merge_config_selectorIjNS0_10empty_typeEEEZZNS1_27merge_sort_block_merge_implIS3_N6thrust23THRUST_200600_302600_NS6detail15normal_iteratorINS9_10device_ptrIjEEEEPS5_m11less_div_10IjEEE10hipError_tT0_T1_T2_jT3_P12ihipStream_tbPNSt15iterator_traitsISJ_E10value_typeEPNSP_ISK_E10value_typeEPSL_NS1_7vsmem_tEENKUlT_SJ_SK_SL_E_clIPjSE_SF_SF_EESI_SY_SJ_SK_SL_EUlSY_E0_NS1_11comp_targetILNS1_3genE4ELNS1_11target_archE910ELNS1_3gpuE8ELNS1_3repE0EEENS1_38merge_mergepath_config_static_selectorELNS0_4arch9wavefront6targetE0EEEvSK_, .Lfunc_end158-_ZN7rocprim17ROCPRIM_400000_NS6detail17trampoline_kernelINS0_14default_configENS1_38merge_sort_block_merge_config_selectorIjNS0_10empty_typeEEEZZNS1_27merge_sort_block_merge_implIS3_N6thrust23THRUST_200600_302600_NS6detail15normal_iteratorINS9_10device_ptrIjEEEEPS5_m11less_div_10IjEEE10hipError_tT0_T1_T2_jT3_P12ihipStream_tbPNSt15iterator_traitsISJ_E10value_typeEPNSP_ISK_E10value_typeEPSL_NS1_7vsmem_tEENKUlT_SJ_SK_SL_E_clIPjSE_SF_SF_EESI_SY_SJ_SK_SL_EUlSY_E0_NS1_11comp_targetILNS1_3genE4ELNS1_11target_archE910ELNS1_3gpuE8ELNS1_3repE0EEENS1_38merge_mergepath_config_static_selectorELNS0_4arch9wavefront6targetE0EEEvSK_
                                        ; -- End function
	.set _ZN7rocprim17ROCPRIM_400000_NS6detail17trampoline_kernelINS0_14default_configENS1_38merge_sort_block_merge_config_selectorIjNS0_10empty_typeEEEZZNS1_27merge_sort_block_merge_implIS3_N6thrust23THRUST_200600_302600_NS6detail15normal_iteratorINS9_10device_ptrIjEEEEPS5_m11less_div_10IjEEE10hipError_tT0_T1_T2_jT3_P12ihipStream_tbPNSt15iterator_traitsISJ_E10value_typeEPNSP_ISK_E10value_typeEPSL_NS1_7vsmem_tEENKUlT_SJ_SK_SL_E_clIPjSE_SF_SF_EESI_SY_SJ_SK_SL_EUlSY_E0_NS1_11comp_targetILNS1_3genE4ELNS1_11target_archE910ELNS1_3gpuE8ELNS1_3repE0EEENS1_38merge_mergepath_config_static_selectorELNS0_4arch9wavefront6targetE0EEEvSK_.num_vgpr, 0
	.set _ZN7rocprim17ROCPRIM_400000_NS6detail17trampoline_kernelINS0_14default_configENS1_38merge_sort_block_merge_config_selectorIjNS0_10empty_typeEEEZZNS1_27merge_sort_block_merge_implIS3_N6thrust23THRUST_200600_302600_NS6detail15normal_iteratorINS9_10device_ptrIjEEEEPS5_m11less_div_10IjEEE10hipError_tT0_T1_T2_jT3_P12ihipStream_tbPNSt15iterator_traitsISJ_E10value_typeEPNSP_ISK_E10value_typeEPSL_NS1_7vsmem_tEENKUlT_SJ_SK_SL_E_clIPjSE_SF_SF_EESI_SY_SJ_SK_SL_EUlSY_E0_NS1_11comp_targetILNS1_3genE4ELNS1_11target_archE910ELNS1_3gpuE8ELNS1_3repE0EEENS1_38merge_mergepath_config_static_selectorELNS0_4arch9wavefront6targetE0EEEvSK_.num_agpr, 0
	.set _ZN7rocprim17ROCPRIM_400000_NS6detail17trampoline_kernelINS0_14default_configENS1_38merge_sort_block_merge_config_selectorIjNS0_10empty_typeEEEZZNS1_27merge_sort_block_merge_implIS3_N6thrust23THRUST_200600_302600_NS6detail15normal_iteratorINS9_10device_ptrIjEEEEPS5_m11less_div_10IjEEE10hipError_tT0_T1_T2_jT3_P12ihipStream_tbPNSt15iterator_traitsISJ_E10value_typeEPNSP_ISK_E10value_typeEPSL_NS1_7vsmem_tEENKUlT_SJ_SK_SL_E_clIPjSE_SF_SF_EESI_SY_SJ_SK_SL_EUlSY_E0_NS1_11comp_targetILNS1_3genE4ELNS1_11target_archE910ELNS1_3gpuE8ELNS1_3repE0EEENS1_38merge_mergepath_config_static_selectorELNS0_4arch9wavefront6targetE0EEEvSK_.numbered_sgpr, 0
	.set _ZN7rocprim17ROCPRIM_400000_NS6detail17trampoline_kernelINS0_14default_configENS1_38merge_sort_block_merge_config_selectorIjNS0_10empty_typeEEEZZNS1_27merge_sort_block_merge_implIS3_N6thrust23THRUST_200600_302600_NS6detail15normal_iteratorINS9_10device_ptrIjEEEEPS5_m11less_div_10IjEEE10hipError_tT0_T1_T2_jT3_P12ihipStream_tbPNSt15iterator_traitsISJ_E10value_typeEPNSP_ISK_E10value_typeEPSL_NS1_7vsmem_tEENKUlT_SJ_SK_SL_E_clIPjSE_SF_SF_EESI_SY_SJ_SK_SL_EUlSY_E0_NS1_11comp_targetILNS1_3genE4ELNS1_11target_archE910ELNS1_3gpuE8ELNS1_3repE0EEENS1_38merge_mergepath_config_static_selectorELNS0_4arch9wavefront6targetE0EEEvSK_.num_named_barrier, 0
	.set _ZN7rocprim17ROCPRIM_400000_NS6detail17trampoline_kernelINS0_14default_configENS1_38merge_sort_block_merge_config_selectorIjNS0_10empty_typeEEEZZNS1_27merge_sort_block_merge_implIS3_N6thrust23THRUST_200600_302600_NS6detail15normal_iteratorINS9_10device_ptrIjEEEEPS5_m11less_div_10IjEEE10hipError_tT0_T1_T2_jT3_P12ihipStream_tbPNSt15iterator_traitsISJ_E10value_typeEPNSP_ISK_E10value_typeEPSL_NS1_7vsmem_tEENKUlT_SJ_SK_SL_E_clIPjSE_SF_SF_EESI_SY_SJ_SK_SL_EUlSY_E0_NS1_11comp_targetILNS1_3genE4ELNS1_11target_archE910ELNS1_3gpuE8ELNS1_3repE0EEENS1_38merge_mergepath_config_static_selectorELNS0_4arch9wavefront6targetE0EEEvSK_.private_seg_size, 0
	.set _ZN7rocprim17ROCPRIM_400000_NS6detail17trampoline_kernelINS0_14default_configENS1_38merge_sort_block_merge_config_selectorIjNS0_10empty_typeEEEZZNS1_27merge_sort_block_merge_implIS3_N6thrust23THRUST_200600_302600_NS6detail15normal_iteratorINS9_10device_ptrIjEEEEPS5_m11less_div_10IjEEE10hipError_tT0_T1_T2_jT3_P12ihipStream_tbPNSt15iterator_traitsISJ_E10value_typeEPNSP_ISK_E10value_typeEPSL_NS1_7vsmem_tEENKUlT_SJ_SK_SL_E_clIPjSE_SF_SF_EESI_SY_SJ_SK_SL_EUlSY_E0_NS1_11comp_targetILNS1_3genE4ELNS1_11target_archE910ELNS1_3gpuE8ELNS1_3repE0EEENS1_38merge_mergepath_config_static_selectorELNS0_4arch9wavefront6targetE0EEEvSK_.uses_vcc, 0
	.set _ZN7rocprim17ROCPRIM_400000_NS6detail17trampoline_kernelINS0_14default_configENS1_38merge_sort_block_merge_config_selectorIjNS0_10empty_typeEEEZZNS1_27merge_sort_block_merge_implIS3_N6thrust23THRUST_200600_302600_NS6detail15normal_iteratorINS9_10device_ptrIjEEEEPS5_m11less_div_10IjEEE10hipError_tT0_T1_T2_jT3_P12ihipStream_tbPNSt15iterator_traitsISJ_E10value_typeEPNSP_ISK_E10value_typeEPSL_NS1_7vsmem_tEENKUlT_SJ_SK_SL_E_clIPjSE_SF_SF_EESI_SY_SJ_SK_SL_EUlSY_E0_NS1_11comp_targetILNS1_3genE4ELNS1_11target_archE910ELNS1_3gpuE8ELNS1_3repE0EEENS1_38merge_mergepath_config_static_selectorELNS0_4arch9wavefront6targetE0EEEvSK_.uses_flat_scratch, 0
	.set _ZN7rocprim17ROCPRIM_400000_NS6detail17trampoline_kernelINS0_14default_configENS1_38merge_sort_block_merge_config_selectorIjNS0_10empty_typeEEEZZNS1_27merge_sort_block_merge_implIS3_N6thrust23THRUST_200600_302600_NS6detail15normal_iteratorINS9_10device_ptrIjEEEEPS5_m11less_div_10IjEEE10hipError_tT0_T1_T2_jT3_P12ihipStream_tbPNSt15iterator_traitsISJ_E10value_typeEPNSP_ISK_E10value_typeEPSL_NS1_7vsmem_tEENKUlT_SJ_SK_SL_E_clIPjSE_SF_SF_EESI_SY_SJ_SK_SL_EUlSY_E0_NS1_11comp_targetILNS1_3genE4ELNS1_11target_archE910ELNS1_3gpuE8ELNS1_3repE0EEENS1_38merge_mergepath_config_static_selectorELNS0_4arch9wavefront6targetE0EEEvSK_.has_dyn_sized_stack, 0
	.set _ZN7rocprim17ROCPRIM_400000_NS6detail17trampoline_kernelINS0_14default_configENS1_38merge_sort_block_merge_config_selectorIjNS0_10empty_typeEEEZZNS1_27merge_sort_block_merge_implIS3_N6thrust23THRUST_200600_302600_NS6detail15normal_iteratorINS9_10device_ptrIjEEEEPS5_m11less_div_10IjEEE10hipError_tT0_T1_T2_jT3_P12ihipStream_tbPNSt15iterator_traitsISJ_E10value_typeEPNSP_ISK_E10value_typeEPSL_NS1_7vsmem_tEENKUlT_SJ_SK_SL_E_clIPjSE_SF_SF_EESI_SY_SJ_SK_SL_EUlSY_E0_NS1_11comp_targetILNS1_3genE4ELNS1_11target_archE910ELNS1_3gpuE8ELNS1_3repE0EEENS1_38merge_mergepath_config_static_selectorELNS0_4arch9wavefront6targetE0EEEvSK_.has_recursion, 0
	.set _ZN7rocprim17ROCPRIM_400000_NS6detail17trampoline_kernelINS0_14default_configENS1_38merge_sort_block_merge_config_selectorIjNS0_10empty_typeEEEZZNS1_27merge_sort_block_merge_implIS3_N6thrust23THRUST_200600_302600_NS6detail15normal_iteratorINS9_10device_ptrIjEEEEPS5_m11less_div_10IjEEE10hipError_tT0_T1_T2_jT3_P12ihipStream_tbPNSt15iterator_traitsISJ_E10value_typeEPNSP_ISK_E10value_typeEPSL_NS1_7vsmem_tEENKUlT_SJ_SK_SL_E_clIPjSE_SF_SF_EESI_SY_SJ_SK_SL_EUlSY_E0_NS1_11comp_targetILNS1_3genE4ELNS1_11target_archE910ELNS1_3gpuE8ELNS1_3repE0EEENS1_38merge_mergepath_config_static_selectorELNS0_4arch9wavefront6targetE0EEEvSK_.has_indirect_call, 0
	.section	.AMDGPU.csdata,"",@progbits
; Kernel info:
; codeLenInByte = 0
; TotalNumSgprs: 0
; NumVgprs: 0
; ScratchSize: 0
; MemoryBound: 0
; FloatMode: 240
; IeeeMode: 1
; LDSByteSize: 0 bytes/workgroup (compile time only)
; SGPRBlocks: 0
; VGPRBlocks: 0
; NumSGPRsForWavesPerEU: 1
; NumVGPRsForWavesPerEU: 1
; Occupancy: 16
; WaveLimiterHint : 0
; COMPUTE_PGM_RSRC2:SCRATCH_EN: 0
; COMPUTE_PGM_RSRC2:USER_SGPR: 6
; COMPUTE_PGM_RSRC2:TRAP_HANDLER: 0
; COMPUTE_PGM_RSRC2:TGID_X_EN: 1
; COMPUTE_PGM_RSRC2:TGID_Y_EN: 0
; COMPUTE_PGM_RSRC2:TGID_Z_EN: 0
; COMPUTE_PGM_RSRC2:TIDIG_COMP_CNT: 0
	.section	.text._ZN7rocprim17ROCPRIM_400000_NS6detail17trampoline_kernelINS0_14default_configENS1_38merge_sort_block_merge_config_selectorIjNS0_10empty_typeEEEZZNS1_27merge_sort_block_merge_implIS3_N6thrust23THRUST_200600_302600_NS6detail15normal_iteratorINS9_10device_ptrIjEEEEPS5_m11less_div_10IjEEE10hipError_tT0_T1_T2_jT3_P12ihipStream_tbPNSt15iterator_traitsISJ_E10value_typeEPNSP_ISK_E10value_typeEPSL_NS1_7vsmem_tEENKUlT_SJ_SK_SL_E_clIPjSE_SF_SF_EESI_SY_SJ_SK_SL_EUlSY_E0_NS1_11comp_targetILNS1_3genE3ELNS1_11target_archE908ELNS1_3gpuE7ELNS1_3repE0EEENS1_38merge_mergepath_config_static_selectorELNS0_4arch9wavefront6targetE0EEEvSK_,"axG",@progbits,_ZN7rocprim17ROCPRIM_400000_NS6detail17trampoline_kernelINS0_14default_configENS1_38merge_sort_block_merge_config_selectorIjNS0_10empty_typeEEEZZNS1_27merge_sort_block_merge_implIS3_N6thrust23THRUST_200600_302600_NS6detail15normal_iteratorINS9_10device_ptrIjEEEEPS5_m11less_div_10IjEEE10hipError_tT0_T1_T2_jT3_P12ihipStream_tbPNSt15iterator_traitsISJ_E10value_typeEPNSP_ISK_E10value_typeEPSL_NS1_7vsmem_tEENKUlT_SJ_SK_SL_E_clIPjSE_SF_SF_EESI_SY_SJ_SK_SL_EUlSY_E0_NS1_11comp_targetILNS1_3genE3ELNS1_11target_archE908ELNS1_3gpuE7ELNS1_3repE0EEENS1_38merge_mergepath_config_static_selectorELNS0_4arch9wavefront6targetE0EEEvSK_,comdat
	.protected	_ZN7rocprim17ROCPRIM_400000_NS6detail17trampoline_kernelINS0_14default_configENS1_38merge_sort_block_merge_config_selectorIjNS0_10empty_typeEEEZZNS1_27merge_sort_block_merge_implIS3_N6thrust23THRUST_200600_302600_NS6detail15normal_iteratorINS9_10device_ptrIjEEEEPS5_m11less_div_10IjEEE10hipError_tT0_T1_T2_jT3_P12ihipStream_tbPNSt15iterator_traitsISJ_E10value_typeEPNSP_ISK_E10value_typeEPSL_NS1_7vsmem_tEENKUlT_SJ_SK_SL_E_clIPjSE_SF_SF_EESI_SY_SJ_SK_SL_EUlSY_E0_NS1_11comp_targetILNS1_3genE3ELNS1_11target_archE908ELNS1_3gpuE7ELNS1_3repE0EEENS1_38merge_mergepath_config_static_selectorELNS0_4arch9wavefront6targetE0EEEvSK_ ; -- Begin function _ZN7rocprim17ROCPRIM_400000_NS6detail17trampoline_kernelINS0_14default_configENS1_38merge_sort_block_merge_config_selectorIjNS0_10empty_typeEEEZZNS1_27merge_sort_block_merge_implIS3_N6thrust23THRUST_200600_302600_NS6detail15normal_iteratorINS9_10device_ptrIjEEEEPS5_m11less_div_10IjEEE10hipError_tT0_T1_T2_jT3_P12ihipStream_tbPNSt15iterator_traitsISJ_E10value_typeEPNSP_ISK_E10value_typeEPSL_NS1_7vsmem_tEENKUlT_SJ_SK_SL_E_clIPjSE_SF_SF_EESI_SY_SJ_SK_SL_EUlSY_E0_NS1_11comp_targetILNS1_3genE3ELNS1_11target_archE908ELNS1_3gpuE7ELNS1_3repE0EEENS1_38merge_mergepath_config_static_selectorELNS0_4arch9wavefront6targetE0EEEvSK_
	.globl	_ZN7rocprim17ROCPRIM_400000_NS6detail17trampoline_kernelINS0_14default_configENS1_38merge_sort_block_merge_config_selectorIjNS0_10empty_typeEEEZZNS1_27merge_sort_block_merge_implIS3_N6thrust23THRUST_200600_302600_NS6detail15normal_iteratorINS9_10device_ptrIjEEEEPS5_m11less_div_10IjEEE10hipError_tT0_T1_T2_jT3_P12ihipStream_tbPNSt15iterator_traitsISJ_E10value_typeEPNSP_ISK_E10value_typeEPSL_NS1_7vsmem_tEENKUlT_SJ_SK_SL_E_clIPjSE_SF_SF_EESI_SY_SJ_SK_SL_EUlSY_E0_NS1_11comp_targetILNS1_3genE3ELNS1_11target_archE908ELNS1_3gpuE7ELNS1_3repE0EEENS1_38merge_mergepath_config_static_selectorELNS0_4arch9wavefront6targetE0EEEvSK_
	.p2align	8
	.type	_ZN7rocprim17ROCPRIM_400000_NS6detail17trampoline_kernelINS0_14default_configENS1_38merge_sort_block_merge_config_selectorIjNS0_10empty_typeEEEZZNS1_27merge_sort_block_merge_implIS3_N6thrust23THRUST_200600_302600_NS6detail15normal_iteratorINS9_10device_ptrIjEEEEPS5_m11less_div_10IjEEE10hipError_tT0_T1_T2_jT3_P12ihipStream_tbPNSt15iterator_traitsISJ_E10value_typeEPNSP_ISK_E10value_typeEPSL_NS1_7vsmem_tEENKUlT_SJ_SK_SL_E_clIPjSE_SF_SF_EESI_SY_SJ_SK_SL_EUlSY_E0_NS1_11comp_targetILNS1_3genE3ELNS1_11target_archE908ELNS1_3gpuE7ELNS1_3repE0EEENS1_38merge_mergepath_config_static_selectorELNS0_4arch9wavefront6targetE0EEEvSK_,@function
_ZN7rocprim17ROCPRIM_400000_NS6detail17trampoline_kernelINS0_14default_configENS1_38merge_sort_block_merge_config_selectorIjNS0_10empty_typeEEEZZNS1_27merge_sort_block_merge_implIS3_N6thrust23THRUST_200600_302600_NS6detail15normal_iteratorINS9_10device_ptrIjEEEEPS5_m11less_div_10IjEEE10hipError_tT0_T1_T2_jT3_P12ihipStream_tbPNSt15iterator_traitsISJ_E10value_typeEPNSP_ISK_E10value_typeEPSL_NS1_7vsmem_tEENKUlT_SJ_SK_SL_E_clIPjSE_SF_SF_EESI_SY_SJ_SK_SL_EUlSY_E0_NS1_11comp_targetILNS1_3genE3ELNS1_11target_archE908ELNS1_3gpuE7ELNS1_3repE0EEENS1_38merge_mergepath_config_static_selectorELNS0_4arch9wavefront6targetE0EEEvSK_: ; @_ZN7rocprim17ROCPRIM_400000_NS6detail17trampoline_kernelINS0_14default_configENS1_38merge_sort_block_merge_config_selectorIjNS0_10empty_typeEEEZZNS1_27merge_sort_block_merge_implIS3_N6thrust23THRUST_200600_302600_NS6detail15normal_iteratorINS9_10device_ptrIjEEEEPS5_m11less_div_10IjEEE10hipError_tT0_T1_T2_jT3_P12ihipStream_tbPNSt15iterator_traitsISJ_E10value_typeEPNSP_ISK_E10value_typeEPSL_NS1_7vsmem_tEENKUlT_SJ_SK_SL_E_clIPjSE_SF_SF_EESI_SY_SJ_SK_SL_EUlSY_E0_NS1_11comp_targetILNS1_3genE3ELNS1_11target_archE908ELNS1_3gpuE7ELNS1_3repE0EEENS1_38merge_mergepath_config_static_selectorELNS0_4arch9wavefront6targetE0EEEvSK_
; %bb.0:
	.section	.rodata,"a",@progbits
	.p2align	6, 0x0
	.amdhsa_kernel _ZN7rocprim17ROCPRIM_400000_NS6detail17trampoline_kernelINS0_14default_configENS1_38merge_sort_block_merge_config_selectorIjNS0_10empty_typeEEEZZNS1_27merge_sort_block_merge_implIS3_N6thrust23THRUST_200600_302600_NS6detail15normal_iteratorINS9_10device_ptrIjEEEEPS5_m11less_div_10IjEEE10hipError_tT0_T1_T2_jT3_P12ihipStream_tbPNSt15iterator_traitsISJ_E10value_typeEPNSP_ISK_E10value_typeEPSL_NS1_7vsmem_tEENKUlT_SJ_SK_SL_E_clIPjSE_SF_SF_EESI_SY_SJ_SK_SL_EUlSY_E0_NS1_11comp_targetILNS1_3genE3ELNS1_11target_archE908ELNS1_3gpuE7ELNS1_3repE0EEENS1_38merge_mergepath_config_static_selectorELNS0_4arch9wavefront6targetE0EEEvSK_
		.amdhsa_group_segment_fixed_size 0
		.amdhsa_private_segment_fixed_size 0
		.amdhsa_kernarg_size 72
		.amdhsa_user_sgpr_count 6
		.amdhsa_user_sgpr_private_segment_buffer 1
		.amdhsa_user_sgpr_dispatch_ptr 0
		.amdhsa_user_sgpr_queue_ptr 0
		.amdhsa_user_sgpr_kernarg_segment_ptr 1
		.amdhsa_user_sgpr_dispatch_id 0
		.amdhsa_user_sgpr_flat_scratch_init 0
		.amdhsa_user_sgpr_private_segment_size 0
		.amdhsa_wavefront_size32 1
		.amdhsa_uses_dynamic_stack 0
		.amdhsa_system_sgpr_private_segment_wavefront_offset 0
		.amdhsa_system_sgpr_workgroup_id_x 1
		.amdhsa_system_sgpr_workgroup_id_y 0
		.amdhsa_system_sgpr_workgroup_id_z 0
		.amdhsa_system_sgpr_workgroup_info 0
		.amdhsa_system_vgpr_workitem_id 0
		.amdhsa_next_free_vgpr 1
		.amdhsa_next_free_sgpr 1
		.amdhsa_reserve_vcc 0
		.amdhsa_reserve_flat_scratch 0
		.amdhsa_float_round_mode_32 0
		.amdhsa_float_round_mode_16_64 0
		.amdhsa_float_denorm_mode_32 3
		.amdhsa_float_denorm_mode_16_64 3
		.amdhsa_dx10_clamp 1
		.amdhsa_ieee_mode 1
		.amdhsa_fp16_overflow 0
		.amdhsa_workgroup_processor_mode 1
		.amdhsa_memory_ordered 1
		.amdhsa_forward_progress 1
		.amdhsa_shared_vgpr_count 0
		.amdhsa_exception_fp_ieee_invalid_op 0
		.amdhsa_exception_fp_denorm_src 0
		.amdhsa_exception_fp_ieee_div_zero 0
		.amdhsa_exception_fp_ieee_overflow 0
		.amdhsa_exception_fp_ieee_underflow 0
		.amdhsa_exception_fp_ieee_inexact 0
		.amdhsa_exception_int_div_zero 0
	.end_amdhsa_kernel
	.section	.text._ZN7rocprim17ROCPRIM_400000_NS6detail17trampoline_kernelINS0_14default_configENS1_38merge_sort_block_merge_config_selectorIjNS0_10empty_typeEEEZZNS1_27merge_sort_block_merge_implIS3_N6thrust23THRUST_200600_302600_NS6detail15normal_iteratorINS9_10device_ptrIjEEEEPS5_m11less_div_10IjEEE10hipError_tT0_T1_T2_jT3_P12ihipStream_tbPNSt15iterator_traitsISJ_E10value_typeEPNSP_ISK_E10value_typeEPSL_NS1_7vsmem_tEENKUlT_SJ_SK_SL_E_clIPjSE_SF_SF_EESI_SY_SJ_SK_SL_EUlSY_E0_NS1_11comp_targetILNS1_3genE3ELNS1_11target_archE908ELNS1_3gpuE7ELNS1_3repE0EEENS1_38merge_mergepath_config_static_selectorELNS0_4arch9wavefront6targetE0EEEvSK_,"axG",@progbits,_ZN7rocprim17ROCPRIM_400000_NS6detail17trampoline_kernelINS0_14default_configENS1_38merge_sort_block_merge_config_selectorIjNS0_10empty_typeEEEZZNS1_27merge_sort_block_merge_implIS3_N6thrust23THRUST_200600_302600_NS6detail15normal_iteratorINS9_10device_ptrIjEEEEPS5_m11less_div_10IjEEE10hipError_tT0_T1_T2_jT3_P12ihipStream_tbPNSt15iterator_traitsISJ_E10value_typeEPNSP_ISK_E10value_typeEPSL_NS1_7vsmem_tEENKUlT_SJ_SK_SL_E_clIPjSE_SF_SF_EESI_SY_SJ_SK_SL_EUlSY_E0_NS1_11comp_targetILNS1_3genE3ELNS1_11target_archE908ELNS1_3gpuE7ELNS1_3repE0EEENS1_38merge_mergepath_config_static_selectorELNS0_4arch9wavefront6targetE0EEEvSK_,comdat
.Lfunc_end159:
	.size	_ZN7rocprim17ROCPRIM_400000_NS6detail17trampoline_kernelINS0_14default_configENS1_38merge_sort_block_merge_config_selectorIjNS0_10empty_typeEEEZZNS1_27merge_sort_block_merge_implIS3_N6thrust23THRUST_200600_302600_NS6detail15normal_iteratorINS9_10device_ptrIjEEEEPS5_m11less_div_10IjEEE10hipError_tT0_T1_T2_jT3_P12ihipStream_tbPNSt15iterator_traitsISJ_E10value_typeEPNSP_ISK_E10value_typeEPSL_NS1_7vsmem_tEENKUlT_SJ_SK_SL_E_clIPjSE_SF_SF_EESI_SY_SJ_SK_SL_EUlSY_E0_NS1_11comp_targetILNS1_3genE3ELNS1_11target_archE908ELNS1_3gpuE7ELNS1_3repE0EEENS1_38merge_mergepath_config_static_selectorELNS0_4arch9wavefront6targetE0EEEvSK_, .Lfunc_end159-_ZN7rocprim17ROCPRIM_400000_NS6detail17trampoline_kernelINS0_14default_configENS1_38merge_sort_block_merge_config_selectorIjNS0_10empty_typeEEEZZNS1_27merge_sort_block_merge_implIS3_N6thrust23THRUST_200600_302600_NS6detail15normal_iteratorINS9_10device_ptrIjEEEEPS5_m11less_div_10IjEEE10hipError_tT0_T1_T2_jT3_P12ihipStream_tbPNSt15iterator_traitsISJ_E10value_typeEPNSP_ISK_E10value_typeEPSL_NS1_7vsmem_tEENKUlT_SJ_SK_SL_E_clIPjSE_SF_SF_EESI_SY_SJ_SK_SL_EUlSY_E0_NS1_11comp_targetILNS1_3genE3ELNS1_11target_archE908ELNS1_3gpuE7ELNS1_3repE0EEENS1_38merge_mergepath_config_static_selectorELNS0_4arch9wavefront6targetE0EEEvSK_
                                        ; -- End function
	.set _ZN7rocprim17ROCPRIM_400000_NS6detail17trampoline_kernelINS0_14default_configENS1_38merge_sort_block_merge_config_selectorIjNS0_10empty_typeEEEZZNS1_27merge_sort_block_merge_implIS3_N6thrust23THRUST_200600_302600_NS6detail15normal_iteratorINS9_10device_ptrIjEEEEPS5_m11less_div_10IjEEE10hipError_tT0_T1_T2_jT3_P12ihipStream_tbPNSt15iterator_traitsISJ_E10value_typeEPNSP_ISK_E10value_typeEPSL_NS1_7vsmem_tEENKUlT_SJ_SK_SL_E_clIPjSE_SF_SF_EESI_SY_SJ_SK_SL_EUlSY_E0_NS1_11comp_targetILNS1_3genE3ELNS1_11target_archE908ELNS1_3gpuE7ELNS1_3repE0EEENS1_38merge_mergepath_config_static_selectorELNS0_4arch9wavefront6targetE0EEEvSK_.num_vgpr, 0
	.set _ZN7rocprim17ROCPRIM_400000_NS6detail17trampoline_kernelINS0_14default_configENS1_38merge_sort_block_merge_config_selectorIjNS0_10empty_typeEEEZZNS1_27merge_sort_block_merge_implIS3_N6thrust23THRUST_200600_302600_NS6detail15normal_iteratorINS9_10device_ptrIjEEEEPS5_m11less_div_10IjEEE10hipError_tT0_T1_T2_jT3_P12ihipStream_tbPNSt15iterator_traitsISJ_E10value_typeEPNSP_ISK_E10value_typeEPSL_NS1_7vsmem_tEENKUlT_SJ_SK_SL_E_clIPjSE_SF_SF_EESI_SY_SJ_SK_SL_EUlSY_E0_NS1_11comp_targetILNS1_3genE3ELNS1_11target_archE908ELNS1_3gpuE7ELNS1_3repE0EEENS1_38merge_mergepath_config_static_selectorELNS0_4arch9wavefront6targetE0EEEvSK_.num_agpr, 0
	.set _ZN7rocprim17ROCPRIM_400000_NS6detail17trampoline_kernelINS0_14default_configENS1_38merge_sort_block_merge_config_selectorIjNS0_10empty_typeEEEZZNS1_27merge_sort_block_merge_implIS3_N6thrust23THRUST_200600_302600_NS6detail15normal_iteratorINS9_10device_ptrIjEEEEPS5_m11less_div_10IjEEE10hipError_tT0_T1_T2_jT3_P12ihipStream_tbPNSt15iterator_traitsISJ_E10value_typeEPNSP_ISK_E10value_typeEPSL_NS1_7vsmem_tEENKUlT_SJ_SK_SL_E_clIPjSE_SF_SF_EESI_SY_SJ_SK_SL_EUlSY_E0_NS1_11comp_targetILNS1_3genE3ELNS1_11target_archE908ELNS1_3gpuE7ELNS1_3repE0EEENS1_38merge_mergepath_config_static_selectorELNS0_4arch9wavefront6targetE0EEEvSK_.numbered_sgpr, 0
	.set _ZN7rocprim17ROCPRIM_400000_NS6detail17trampoline_kernelINS0_14default_configENS1_38merge_sort_block_merge_config_selectorIjNS0_10empty_typeEEEZZNS1_27merge_sort_block_merge_implIS3_N6thrust23THRUST_200600_302600_NS6detail15normal_iteratorINS9_10device_ptrIjEEEEPS5_m11less_div_10IjEEE10hipError_tT0_T1_T2_jT3_P12ihipStream_tbPNSt15iterator_traitsISJ_E10value_typeEPNSP_ISK_E10value_typeEPSL_NS1_7vsmem_tEENKUlT_SJ_SK_SL_E_clIPjSE_SF_SF_EESI_SY_SJ_SK_SL_EUlSY_E0_NS1_11comp_targetILNS1_3genE3ELNS1_11target_archE908ELNS1_3gpuE7ELNS1_3repE0EEENS1_38merge_mergepath_config_static_selectorELNS0_4arch9wavefront6targetE0EEEvSK_.num_named_barrier, 0
	.set _ZN7rocprim17ROCPRIM_400000_NS6detail17trampoline_kernelINS0_14default_configENS1_38merge_sort_block_merge_config_selectorIjNS0_10empty_typeEEEZZNS1_27merge_sort_block_merge_implIS3_N6thrust23THRUST_200600_302600_NS6detail15normal_iteratorINS9_10device_ptrIjEEEEPS5_m11less_div_10IjEEE10hipError_tT0_T1_T2_jT3_P12ihipStream_tbPNSt15iterator_traitsISJ_E10value_typeEPNSP_ISK_E10value_typeEPSL_NS1_7vsmem_tEENKUlT_SJ_SK_SL_E_clIPjSE_SF_SF_EESI_SY_SJ_SK_SL_EUlSY_E0_NS1_11comp_targetILNS1_3genE3ELNS1_11target_archE908ELNS1_3gpuE7ELNS1_3repE0EEENS1_38merge_mergepath_config_static_selectorELNS0_4arch9wavefront6targetE0EEEvSK_.private_seg_size, 0
	.set _ZN7rocprim17ROCPRIM_400000_NS6detail17trampoline_kernelINS0_14default_configENS1_38merge_sort_block_merge_config_selectorIjNS0_10empty_typeEEEZZNS1_27merge_sort_block_merge_implIS3_N6thrust23THRUST_200600_302600_NS6detail15normal_iteratorINS9_10device_ptrIjEEEEPS5_m11less_div_10IjEEE10hipError_tT0_T1_T2_jT3_P12ihipStream_tbPNSt15iterator_traitsISJ_E10value_typeEPNSP_ISK_E10value_typeEPSL_NS1_7vsmem_tEENKUlT_SJ_SK_SL_E_clIPjSE_SF_SF_EESI_SY_SJ_SK_SL_EUlSY_E0_NS1_11comp_targetILNS1_3genE3ELNS1_11target_archE908ELNS1_3gpuE7ELNS1_3repE0EEENS1_38merge_mergepath_config_static_selectorELNS0_4arch9wavefront6targetE0EEEvSK_.uses_vcc, 0
	.set _ZN7rocprim17ROCPRIM_400000_NS6detail17trampoline_kernelINS0_14default_configENS1_38merge_sort_block_merge_config_selectorIjNS0_10empty_typeEEEZZNS1_27merge_sort_block_merge_implIS3_N6thrust23THRUST_200600_302600_NS6detail15normal_iteratorINS9_10device_ptrIjEEEEPS5_m11less_div_10IjEEE10hipError_tT0_T1_T2_jT3_P12ihipStream_tbPNSt15iterator_traitsISJ_E10value_typeEPNSP_ISK_E10value_typeEPSL_NS1_7vsmem_tEENKUlT_SJ_SK_SL_E_clIPjSE_SF_SF_EESI_SY_SJ_SK_SL_EUlSY_E0_NS1_11comp_targetILNS1_3genE3ELNS1_11target_archE908ELNS1_3gpuE7ELNS1_3repE0EEENS1_38merge_mergepath_config_static_selectorELNS0_4arch9wavefront6targetE0EEEvSK_.uses_flat_scratch, 0
	.set _ZN7rocprim17ROCPRIM_400000_NS6detail17trampoline_kernelINS0_14default_configENS1_38merge_sort_block_merge_config_selectorIjNS0_10empty_typeEEEZZNS1_27merge_sort_block_merge_implIS3_N6thrust23THRUST_200600_302600_NS6detail15normal_iteratorINS9_10device_ptrIjEEEEPS5_m11less_div_10IjEEE10hipError_tT0_T1_T2_jT3_P12ihipStream_tbPNSt15iterator_traitsISJ_E10value_typeEPNSP_ISK_E10value_typeEPSL_NS1_7vsmem_tEENKUlT_SJ_SK_SL_E_clIPjSE_SF_SF_EESI_SY_SJ_SK_SL_EUlSY_E0_NS1_11comp_targetILNS1_3genE3ELNS1_11target_archE908ELNS1_3gpuE7ELNS1_3repE0EEENS1_38merge_mergepath_config_static_selectorELNS0_4arch9wavefront6targetE0EEEvSK_.has_dyn_sized_stack, 0
	.set _ZN7rocprim17ROCPRIM_400000_NS6detail17trampoline_kernelINS0_14default_configENS1_38merge_sort_block_merge_config_selectorIjNS0_10empty_typeEEEZZNS1_27merge_sort_block_merge_implIS3_N6thrust23THRUST_200600_302600_NS6detail15normal_iteratorINS9_10device_ptrIjEEEEPS5_m11less_div_10IjEEE10hipError_tT0_T1_T2_jT3_P12ihipStream_tbPNSt15iterator_traitsISJ_E10value_typeEPNSP_ISK_E10value_typeEPSL_NS1_7vsmem_tEENKUlT_SJ_SK_SL_E_clIPjSE_SF_SF_EESI_SY_SJ_SK_SL_EUlSY_E0_NS1_11comp_targetILNS1_3genE3ELNS1_11target_archE908ELNS1_3gpuE7ELNS1_3repE0EEENS1_38merge_mergepath_config_static_selectorELNS0_4arch9wavefront6targetE0EEEvSK_.has_recursion, 0
	.set _ZN7rocprim17ROCPRIM_400000_NS6detail17trampoline_kernelINS0_14default_configENS1_38merge_sort_block_merge_config_selectorIjNS0_10empty_typeEEEZZNS1_27merge_sort_block_merge_implIS3_N6thrust23THRUST_200600_302600_NS6detail15normal_iteratorINS9_10device_ptrIjEEEEPS5_m11less_div_10IjEEE10hipError_tT0_T1_T2_jT3_P12ihipStream_tbPNSt15iterator_traitsISJ_E10value_typeEPNSP_ISK_E10value_typeEPSL_NS1_7vsmem_tEENKUlT_SJ_SK_SL_E_clIPjSE_SF_SF_EESI_SY_SJ_SK_SL_EUlSY_E0_NS1_11comp_targetILNS1_3genE3ELNS1_11target_archE908ELNS1_3gpuE7ELNS1_3repE0EEENS1_38merge_mergepath_config_static_selectorELNS0_4arch9wavefront6targetE0EEEvSK_.has_indirect_call, 0
	.section	.AMDGPU.csdata,"",@progbits
; Kernel info:
; codeLenInByte = 0
; TotalNumSgprs: 0
; NumVgprs: 0
; ScratchSize: 0
; MemoryBound: 0
; FloatMode: 240
; IeeeMode: 1
; LDSByteSize: 0 bytes/workgroup (compile time only)
; SGPRBlocks: 0
; VGPRBlocks: 0
; NumSGPRsForWavesPerEU: 1
; NumVGPRsForWavesPerEU: 1
; Occupancy: 16
; WaveLimiterHint : 0
; COMPUTE_PGM_RSRC2:SCRATCH_EN: 0
; COMPUTE_PGM_RSRC2:USER_SGPR: 6
; COMPUTE_PGM_RSRC2:TRAP_HANDLER: 0
; COMPUTE_PGM_RSRC2:TGID_X_EN: 1
; COMPUTE_PGM_RSRC2:TGID_Y_EN: 0
; COMPUTE_PGM_RSRC2:TGID_Z_EN: 0
; COMPUTE_PGM_RSRC2:TIDIG_COMP_CNT: 0
	.section	.text._ZN7rocprim17ROCPRIM_400000_NS6detail17trampoline_kernelINS0_14default_configENS1_38merge_sort_block_merge_config_selectorIjNS0_10empty_typeEEEZZNS1_27merge_sort_block_merge_implIS3_N6thrust23THRUST_200600_302600_NS6detail15normal_iteratorINS9_10device_ptrIjEEEEPS5_m11less_div_10IjEEE10hipError_tT0_T1_T2_jT3_P12ihipStream_tbPNSt15iterator_traitsISJ_E10value_typeEPNSP_ISK_E10value_typeEPSL_NS1_7vsmem_tEENKUlT_SJ_SK_SL_E_clIPjSE_SF_SF_EESI_SY_SJ_SK_SL_EUlSY_E0_NS1_11comp_targetILNS1_3genE2ELNS1_11target_archE906ELNS1_3gpuE6ELNS1_3repE0EEENS1_38merge_mergepath_config_static_selectorELNS0_4arch9wavefront6targetE0EEEvSK_,"axG",@progbits,_ZN7rocprim17ROCPRIM_400000_NS6detail17trampoline_kernelINS0_14default_configENS1_38merge_sort_block_merge_config_selectorIjNS0_10empty_typeEEEZZNS1_27merge_sort_block_merge_implIS3_N6thrust23THRUST_200600_302600_NS6detail15normal_iteratorINS9_10device_ptrIjEEEEPS5_m11less_div_10IjEEE10hipError_tT0_T1_T2_jT3_P12ihipStream_tbPNSt15iterator_traitsISJ_E10value_typeEPNSP_ISK_E10value_typeEPSL_NS1_7vsmem_tEENKUlT_SJ_SK_SL_E_clIPjSE_SF_SF_EESI_SY_SJ_SK_SL_EUlSY_E0_NS1_11comp_targetILNS1_3genE2ELNS1_11target_archE906ELNS1_3gpuE6ELNS1_3repE0EEENS1_38merge_mergepath_config_static_selectorELNS0_4arch9wavefront6targetE0EEEvSK_,comdat
	.protected	_ZN7rocprim17ROCPRIM_400000_NS6detail17trampoline_kernelINS0_14default_configENS1_38merge_sort_block_merge_config_selectorIjNS0_10empty_typeEEEZZNS1_27merge_sort_block_merge_implIS3_N6thrust23THRUST_200600_302600_NS6detail15normal_iteratorINS9_10device_ptrIjEEEEPS5_m11less_div_10IjEEE10hipError_tT0_T1_T2_jT3_P12ihipStream_tbPNSt15iterator_traitsISJ_E10value_typeEPNSP_ISK_E10value_typeEPSL_NS1_7vsmem_tEENKUlT_SJ_SK_SL_E_clIPjSE_SF_SF_EESI_SY_SJ_SK_SL_EUlSY_E0_NS1_11comp_targetILNS1_3genE2ELNS1_11target_archE906ELNS1_3gpuE6ELNS1_3repE0EEENS1_38merge_mergepath_config_static_selectorELNS0_4arch9wavefront6targetE0EEEvSK_ ; -- Begin function _ZN7rocprim17ROCPRIM_400000_NS6detail17trampoline_kernelINS0_14default_configENS1_38merge_sort_block_merge_config_selectorIjNS0_10empty_typeEEEZZNS1_27merge_sort_block_merge_implIS3_N6thrust23THRUST_200600_302600_NS6detail15normal_iteratorINS9_10device_ptrIjEEEEPS5_m11less_div_10IjEEE10hipError_tT0_T1_T2_jT3_P12ihipStream_tbPNSt15iterator_traitsISJ_E10value_typeEPNSP_ISK_E10value_typeEPSL_NS1_7vsmem_tEENKUlT_SJ_SK_SL_E_clIPjSE_SF_SF_EESI_SY_SJ_SK_SL_EUlSY_E0_NS1_11comp_targetILNS1_3genE2ELNS1_11target_archE906ELNS1_3gpuE6ELNS1_3repE0EEENS1_38merge_mergepath_config_static_selectorELNS0_4arch9wavefront6targetE0EEEvSK_
	.globl	_ZN7rocprim17ROCPRIM_400000_NS6detail17trampoline_kernelINS0_14default_configENS1_38merge_sort_block_merge_config_selectorIjNS0_10empty_typeEEEZZNS1_27merge_sort_block_merge_implIS3_N6thrust23THRUST_200600_302600_NS6detail15normal_iteratorINS9_10device_ptrIjEEEEPS5_m11less_div_10IjEEE10hipError_tT0_T1_T2_jT3_P12ihipStream_tbPNSt15iterator_traitsISJ_E10value_typeEPNSP_ISK_E10value_typeEPSL_NS1_7vsmem_tEENKUlT_SJ_SK_SL_E_clIPjSE_SF_SF_EESI_SY_SJ_SK_SL_EUlSY_E0_NS1_11comp_targetILNS1_3genE2ELNS1_11target_archE906ELNS1_3gpuE6ELNS1_3repE0EEENS1_38merge_mergepath_config_static_selectorELNS0_4arch9wavefront6targetE0EEEvSK_
	.p2align	8
	.type	_ZN7rocprim17ROCPRIM_400000_NS6detail17trampoline_kernelINS0_14default_configENS1_38merge_sort_block_merge_config_selectorIjNS0_10empty_typeEEEZZNS1_27merge_sort_block_merge_implIS3_N6thrust23THRUST_200600_302600_NS6detail15normal_iteratorINS9_10device_ptrIjEEEEPS5_m11less_div_10IjEEE10hipError_tT0_T1_T2_jT3_P12ihipStream_tbPNSt15iterator_traitsISJ_E10value_typeEPNSP_ISK_E10value_typeEPSL_NS1_7vsmem_tEENKUlT_SJ_SK_SL_E_clIPjSE_SF_SF_EESI_SY_SJ_SK_SL_EUlSY_E0_NS1_11comp_targetILNS1_3genE2ELNS1_11target_archE906ELNS1_3gpuE6ELNS1_3repE0EEENS1_38merge_mergepath_config_static_selectorELNS0_4arch9wavefront6targetE0EEEvSK_,@function
_ZN7rocprim17ROCPRIM_400000_NS6detail17trampoline_kernelINS0_14default_configENS1_38merge_sort_block_merge_config_selectorIjNS0_10empty_typeEEEZZNS1_27merge_sort_block_merge_implIS3_N6thrust23THRUST_200600_302600_NS6detail15normal_iteratorINS9_10device_ptrIjEEEEPS5_m11less_div_10IjEEE10hipError_tT0_T1_T2_jT3_P12ihipStream_tbPNSt15iterator_traitsISJ_E10value_typeEPNSP_ISK_E10value_typeEPSL_NS1_7vsmem_tEENKUlT_SJ_SK_SL_E_clIPjSE_SF_SF_EESI_SY_SJ_SK_SL_EUlSY_E0_NS1_11comp_targetILNS1_3genE2ELNS1_11target_archE906ELNS1_3gpuE6ELNS1_3repE0EEENS1_38merge_mergepath_config_static_selectorELNS0_4arch9wavefront6targetE0EEEvSK_: ; @_ZN7rocprim17ROCPRIM_400000_NS6detail17trampoline_kernelINS0_14default_configENS1_38merge_sort_block_merge_config_selectorIjNS0_10empty_typeEEEZZNS1_27merge_sort_block_merge_implIS3_N6thrust23THRUST_200600_302600_NS6detail15normal_iteratorINS9_10device_ptrIjEEEEPS5_m11less_div_10IjEEE10hipError_tT0_T1_T2_jT3_P12ihipStream_tbPNSt15iterator_traitsISJ_E10value_typeEPNSP_ISK_E10value_typeEPSL_NS1_7vsmem_tEENKUlT_SJ_SK_SL_E_clIPjSE_SF_SF_EESI_SY_SJ_SK_SL_EUlSY_E0_NS1_11comp_targetILNS1_3genE2ELNS1_11target_archE906ELNS1_3gpuE6ELNS1_3repE0EEENS1_38merge_mergepath_config_static_selectorELNS0_4arch9wavefront6targetE0EEEvSK_
; %bb.0:
	.section	.rodata,"a",@progbits
	.p2align	6, 0x0
	.amdhsa_kernel _ZN7rocprim17ROCPRIM_400000_NS6detail17trampoline_kernelINS0_14default_configENS1_38merge_sort_block_merge_config_selectorIjNS0_10empty_typeEEEZZNS1_27merge_sort_block_merge_implIS3_N6thrust23THRUST_200600_302600_NS6detail15normal_iteratorINS9_10device_ptrIjEEEEPS5_m11less_div_10IjEEE10hipError_tT0_T1_T2_jT3_P12ihipStream_tbPNSt15iterator_traitsISJ_E10value_typeEPNSP_ISK_E10value_typeEPSL_NS1_7vsmem_tEENKUlT_SJ_SK_SL_E_clIPjSE_SF_SF_EESI_SY_SJ_SK_SL_EUlSY_E0_NS1_11comp_targetILNS1_3genE2ELNS1_11target_archE906ELNS1_3gpuE6ELNS1_3repE0EEENS1_38merge_mergepath_config_static_selectorELNS0_4arch9wavefront6targetE0EEEvSK_
		.amdhsa_group_segment_fixed_size 0
		.amdhsa_private_segment_fixed_size 0
		.amdhsa_kernarg_size 72
		.amdhsa_user_sgpr_count 6
		.amdhsa_user_sgpr_private_segment_buffer 1
		.amdhsa_user_sgpr_dispatch_ptr 0
		.amdhsa_user_sgpr_queue_ptr 0
		.amdhsa_user_sgpr_kernarg_segment_ptr 1
		.amdhsa_user_sgpr_dispatch_id 0
		.amdhsa_user_sgpr_flat_scratch_init 0
		.amdhsa_user_sgpr_private_segment_size 0
		.amdhsa_wavefront_size32 1
		.amdhsa_uses_dynamic_stack 0
		.amdhsa_system_sgpr_private_segment_wavefront_offset 0
		.amdhsa_system_sgpr_workgroup_id_x 1
		.amdhsa_system_sgpr_workgroup_id_y 0
		.amdhsa_system_sgpr_workgroup_id_z 0
		.amdhsa_system_sgpr_workgroup_info 0
		.amdhsa_system_vgpr_workitem_id 0
		.amdhsa_next_free_vgpr 1
		.amdhsa_next_free_sgpr 1
		.amdhsa_reserve_vcc 0
		.amdhsa_reserve_flat_scratch 0
		.amdhsa_float_round_mode_32 0
		.amdhsa_float_round_mode_16_64 0
		.amdhsa_float_denorm_mode_32 3
		.amdhsa_float_denorm_mode_16_64 3
		.amdhsa_dx10_clamp 1
		.amdhsa_ieee_mode 1
		.amdhsa_fp16_overflow 0
		.amdhsa_workgroup_processor_mode 1
		.amdhsa_memory_ordered 1
		.amdhsa_forward_progress 1
		.amdhsa_shared_vgpr_count 0
		.amdhsa_exception_fp_ieee_invalid_op 0
		.amdhsa_exception_fp_denorm_src 0
		.amdhsa_exception_fp_ieee_div_zero 0
		.amdhsa_exception_fp_ieee_overflow 0
		.amdhsa_exception_fp_ieee_underflow 0
		.amdhsa_exception_fp_ieee_inexact 0
		.amdhsa_exception_int_div_zero 0
	.end_amdhsa_kernel
	.section	.text._ZN7rocprim17ROCPRIM_400000_NS6detail17trampoline_kernelINS0_14default_configENS1_38merge_sort_block_merge_config_selectorIjNS0_10empty_typeEEEZZNS1_27merge_sort_block_merge_implIS3_N6thrust23THRUST_200600_302600_NS6detail15normal_iteratorINS9_10device_ptrIjEEEEPS5_m11less_div_10IjEEE10hipError_tT0_T1_T2_jT3_P12ihipStream_tbPNSt15iterator_traitsISJ_E10value_typeEPNSP_ISK_E10value_typeEPSL_NS1_7vsmem_tEENKUlT_SJ_SK_SL_E_clIPjSE_SF_SF_EESI_SY_SJ_SK_SL_EUlSY_E0_NS1_11comp_targetILNS1_3genE2ELNS1_11target_archE906ELNS1_3gpuE6ELNS1_3repE0EEENS1_38merge_mergepath_config_static_selectorELNS0_4arch9wavefront6targetE0EEEvSK_,"axG",@progbits,_ZN7rocprim17ROCPRIM_400000_NS6detail17trampoline_kernelINS0_14default_configENS1_38merge_sort_block_merge_config_selectorIjNS0_10empty_typeEEEZZNS1_27merge_sort_block_merge_implIS3_N6thrust23THRUST_200600_302600_NS6detail15normal_iteratorINS9_10device_ptrIjEEEEPS5_m11less_div_10IjEEE10hipError_tT0_T1_T2_jT3_P12ihipStream_tbPNSt15iterator_traitsISJ_E10value_typeEPNSP_ISK_E10value_typeEPSL_NS1_7vsmem_tEENKUlT_SJ_SK_SL_E_clIPjSE_SF_SF_EESI_SY_SJ_SK_SL_EUlSY_E0_NS1_11comp_targetILNS1_3genE2ELNS1_11target_archE906ELNS1_3gpuE6ELNS1_3repE0EEENS1_38merge_mergepath_config_static_selectorELNS0_4arch9wavefront6targetE0EEEvSK_,comdat
.Lfunc_end160:
	.size	_ZN7rocprim17ROCPRIM_400000_NS6detail17trampoline_kernelINS0_14default_configENS1_38merge_sort_block_merge_config_selectorIjNS0_10empty_typeEEEZZNS1_27merge_sort_block_merge_implIS3_N6thrust23THRUST_200600_302600_NS6detail15normal_iteratorINS9_10device_ptrIjEEEEPS5_m11less_div_10IjEEE10hipError_tT0_T1_T2_jT3_P12ihipStream_tbPNSt15iterator_traitsISJ_E10value_typeEPNSP_ISK_E10value_typeEPSL_NS1_7vsmem_tEENKUlT_SJ_SK_SL_E_clIPjSE_SF_SF_EESI_SY_SJ_SK_SL_EUlSY_E0_NS1_11comp_targetILNS1_3genE2ELNS1_11target_archE906ELNS1_3gpuE6ELNS1_3repE0EEENS1_38merge_mergepath_config_static_selectorELNS0_4arch9wavefront6targetE0EEEvSK_, .Lfunc_end160-_ZN7rocprim17ROCPRIM_400000_NS6detail17trampoline_kernelINS0_14default_configENS1_38merge_sort_block_merge_config_selectorIjNS0_10empty_typeEEEZZNS1_27merge_sort_block_merge_implIS3_N6thrust23THRUST_200600_302600_NS6detail15normal_iteratorINS9_10device_ptrIjEEEEPS5_m11less_div_10IjEEE10hipError_tT0_T1_T2_jT3_P12ihipStream_tbPNSt15iterator_traitsISJ_E10value_typeEPNSP_ISK_E10value_typeEPSL_NS1_7vsmem_tEENKUlT_SJ_SK_SL_E_clIPjSE_SF_SF_EESI_SY_SJ_SK_SL_EUlSY_E0_NS1_11comp_targetILNS1_3genE2ELNS1_11target_archE906ELNS1_3gpuE6ELNS1_3repE0EEENS1_38merge_mergepath_config_static_selectorELNS0_4arch9wavefront6targetE0EEEvSK_
                                        ; -- End function
	.set _ZN7rocprim17ROCPRIM_400000_NS6detail17trampoline_kernelINS0_14default_configENS1_38merge_sort_block_merge_config_selectorIjNS0_10empty_typeEEEZZNS1_27merge_sort_block_merge_implIS3_N6thrust23THRUST_200600_302600_NS6detail15normal_iteratorINS9_10device_ptrIjEEEEPS5_m11less_div_10IjEEE10hipError_tT0_T1_T2_jT3_P12ihipStream_tbPNSt15iterator_traitsISJ_E10value_typeEPNSP_ISK_E10value_typeEPSL_NS1_7vsmem_tEENKUlT_SJ_SK_SL_E_clIPjSE_SF_SF_EESI_SY_SJ_SK_SL_EUlSY_E0_NS1_11comp_targetILNS1_3genE2ELNS1_11target_archE906ELNS1_3gpuE6ELNS1_3repE0EEENS1_38merge_mergepath_config_static_selectorELNS0_4arch9wavefront6targetE0EEEvSK_.num_vgpr, 0
	.set _ZN7rocprim17ROCPRIM_400000_NS6detail17trampoline_kernelINS0_14default_configENS1_38merge_sort_block_merge_config_selectorIjNS0_10empty_typeEEEZZNS1_27merge_sort_block_merge_implIS3_N6thrust23THRUST_200600_302600_NS6detail15normal_iteratorINS9_10device_ptrIjEEEEPS5_m11less_div_10IjEEE10hipError_tT0_T1_T2_jT3_P12ihipStream_tbPNSt15iterator_traitsISJ_E10value_typeEPNSP_ISK_E10value_typeEPSL_NS1_7vsmem_tEENKUlT_SJ_SK_SL_E_clIPjSE_SF_SF_EESI_SY_SJ_SK_SL_EUlSY_E0_NS1_11comp_targetILNS1_3genE2ELNS1_11target_archE906ELNS1_3gpuE6ELNS1_3repE0EEENS1_38merge_mergepath_config_static_selectorELNS0_4arch9wavefront6targetE0EEEvSK_.num_agpr, 0
	.set _ZN7rocprim17ROCPRIM_400000_NS6detail17trampoline_kernelINS0_14default_configENS1_38merge_sort_block_merge_config_selectorIjNS0_10empty_typeEEEZZNS1_27merge_sort_block_merge_implIS3_N6thrust23THRUST_200600_302600_NS6detail15normal_iteratorINS9_10device_ptrIjEEEEPS5_m11less_div_10IjEEE10hipError_tT0_T1_T2_jT3_P12ihipStream_tbPNSt15iterator_traitsISJ_E10value_typeEPNSP_ISK_E10value_typeEPSL_NS1_7vsmem_tEENKUlT_SJ_SK_SL_E_clIPjSE_SF_SF_EESI_SY_SJ_SK_SL_EUlSY_E0_NS1_11comp_targetILNS1_3genE2ELNS1_11target_archE906ELNS1_3gpuE6ELNS1_3repE0EEENS1_38merge_mergepath_config_static_selectorELNS0_4arch9wavefront6targetE0EEEvSK_.numbered_sgpr, 0
	.set _ZN7rocprim17ROCPRIM_400000_NS6detail17trampoline_kernelINS0_14default_configENS1_38merge_sort_block_merge_config_selectorIjNS0_10empty_typeEEEZZNS1_27merge_sort_block_merge_implIS3_N6thrust23THRUST_200600_302600_NS6detail15normal_iteratorINS9_10device_ptrIjEEEEPS5_m11less_div_10IjEEE10hipError_tT0_T1_T2_jT3_P12ihipStream_tbPNSt15iterator_traitsISJ_E10value_typeEPNSP_ISK_E10value_typeEPSL_NS1_7vsmem_tEENKUlT_SJ_SK_SL_E_clIPjSE_SF_SF_EESI_SY_SJ_SK_SL_EUlSY_E0_NS1_11comp_targetILNS1_3genE2ELNS1_11target_archE906ELNS1_3gpuE6ELNS1_3repE0EEENS1_38merge_mergepath_config_static_selectorELNS0_4arch9wavefront6targetE0EEEvSK_.num_named_barrier, 0
	.set _ZN7rocprim17ROCPRIM_400000_NS6detail17trampoline_kernelINS0_14default_configENS1_38merge_sort_block_merge_config_selectorIjNS0_10empty_typeEEEZZNS1_27merge_sort_block_merge_implIS3_N6thrust23THRUST_200600_302600_NS6detail15normal_iteratorINS9_10device_ptrIjEEEEPS5_m11less_div_10IjEEE10hipError_tT0_T1_T2_jT3_P12ihipStream_tbPNSt15iterator_traitsISJ_E10value_typeEPNSP_ISK_E10value_typeEPSL_NS1_7vsmem_tEENKUlT_SJ_SK_SL_E_clIPjSE_SF_SF_EESI_SY_SJ_SK_SL_EUlSY_E0_NS1_11comp_targetILNS1_3genE2ELNS1_11target_archE906ELNS1_3gpuE6ELNS1_3repE0EEENS1_38merge_mergepath_config_static_selectorELNS0_4arch9wavefront6targetE0EEEvSK_.private_seg_size, 0
	.set _ZN7rocprim17ROCPRIM_400000_NS6detail17trampoline_kernelINS0_14default_configENS1_38merge_sort_block_merge_config_selectorIjNS0_10empty_typeEEEZZNS1_27merge_sort_block_merge_implIS3_N6thrust23THRUST_200600_302600_NS6detail15normal_iteratorINS9_10device_ptrIjEEEEPS5_m11less_div_10IjEEE10hipError_tT0_T1_T2_jT3_P12ihipStream_tbPNSt15iterator_traitsISJ_E10value_typeEPNSP_ISK_E10value_typeEPSL_NS1_7vsmem_tEENKUlT_SJ_SK_SL_E_clIPjSE_SF_SF_EESI_SY_SJ_SK_SL_EUlSY_E0_NS1_11comp_targetILNS1_3genE2ELNS1_11target_archE906ELNS1_3gpuE6ELNS1_3repE0EEENS1_38merge_mergepath_config_static_selectorELNS0_4arch9wavefront6targetE0EEEvSK_.uses_vcc, 0
	.set _ZN7rocprim17ROCPRIM_400000_NS6detail17trampoline_kernelINS0_14default_configENS1_38merge_sort_block_merge_config_selectorIjNS0_10empty_typeEEEZZNS1_27merge_sort_block_merge_implIS3_N6thrust23THRUST_200600_302600_NS6detail15normal_iteratorINS9_10device_ptrIjEEEEPS5_m11less_div_10IjEEE10hipError_tT0_T1_T2_jT3_P12ihipStream_tbPNSt15iterator_traitsISJ_E10value_typeEPNSP_ISK_E10value_typeEPSL_NS1_7vsmem_tEENKUlT_SJ_SK_SL_E_clIPjSE_SF_SF_EESI_SY_SJ_SK_SL_EUlSY_E0_NS1_11comp_targetILNS1_3genE2ELNS1_11target_archE906ELNS1_3gpuE6ELNS1_3repE0EEENS1_38merge_mergepath_config_static_selectorELNS0_4arch9wavefront6targetE0EEEvSK_.uses_flat_scratch, 0
	.set _ZN7rocprim17ROCPRIM_400000_NS6detail17trampoline_kernelINS0_14default_configENS1_38merge_sort_block_merge_config_selectorIjNS0_10empty_typeEEEZZNS1_27merge_sort_block_merge_implIS3_N6thrust23THRUST_200600_302600_NS6detail15normal_iteratorINS9_10device_ptrIjEEEEPS5_m11less_div_10IjEEE10hipError_tT0_T1_T2_jT3_P12ihipStream_tbPNSt15iterator_traitsISJ_E10value_typeEPNSP_ISK_E10value_typeEPSL_NS1_7vsmem_tEENKUlT_SJ_SK_SL_E_clIPjSE_SF_SF_EESI_SY_SJ_SK_SL_EUlSY_E0_NS1_11comp_targetILNS1_3genE2ELNS1_11target_archE906ELNS1_3gpuE6ELNS1_3repE0EEENS1_38merge_mergepath_config_static_selectorELNS0_4arch9wavefront6targetE0EEEvSK_.has_dyn_sized_stack, 0
	.set _ZN7rocprim17ROCPRIM_400000_NS6detail17trampoline_kernelINS0_14default_configENS1_38merge_sort_block_merge_config_selectorIjNS0_10empty_typeEEEZZNS1_27merge_sort_block_merge_implIS3_N6thrust23THRUST_200600_302600_NS6detail15normal_iteratorINS9_10device_ptrIjEEEEPS5_m11less_div_10IjEEE10hipError_tT0_T1_T2_jT3_P12ihipStream_tbPNSt15iterator_traitsISJ_E10value_typeEPNSP_ISK_E10value_typeEPSL_NS1_7vsmem_tEENKUlT_SJ_SK_SL_E_clIPjSE_SF_SF_EESI_SY_SJ_SK_SL_EUlSY_E0_NS1_11comp_targetILNS1_3genE2ELNS1_11target_archE906ELNS1_3gpuE6ELNS1_3repE0EEENS1_38merge_mergepath_config_static_selectorELNS0_4arch9wavefront6targetE0EEEvSK_.has_recursion, 0
	.set _ZN7rocprim17ROCPRIM_400000_NS6detail17trampoline_kernelINS0_14default_configENS1_38merge_sort_block_merge_config_selectorIjNS0_10empty_typeEEEZZNS1_27merge_sort_block_merge_implIS3_N6thrust23THRUST_200600_302600_NS6detail15normal_iteratorINS9_10device_ptrIjEEEEPS5_m11less_div_10IjEEE10hipError_tT0_T1_T2_jT3_P12ihipStream_tbPNSt15iterator_traitsISJ_E10value_typeEPNSP_ISK_E10value_typeEPSL_NS1_7vsmem_tEENKUlT_SJ_SK_SL_E_clIPjSE_SF_SF_EESI_SY_SJ_SK_SL_EUlSY_E0_NS1_11comp_targetILNS1_3genE2ELNS1_11target_archE906ELNS1_3gpuE6ELNS1_3repE0EEENS1_38merge_mergepath_config_static_selectorELNS0_4arch9wavefront6targetE0EEEvSK_.has_indirect_call, 0
	.section	.AMDGPU.csdata,"",@progbits
; Kernel info:
; codeLenInByte = 0
; TotalNumSgprs: 0
; NumVgprs: 0
; ScratchSize: 0
; MemoryBound: 0
; FloatMode: 240
; IeeeMode: 1
; LDSByteSize: 0 bytes/workgroup (compile time only)
; SGPRBlocks: 0
; VGPRBlocks: 0
; NumSGPRsForWavesPerEU: 1
; NumVGPRsForWavesPerEU: 1
; Occupancy: 16
; WaveLimiterHint : 0
; COMPUTE_PGM_RSRC2:SCRATCH_EN: 0
; COMPUTE_PGM_RSRC2:USER_SGPR: 6
; COMPUTE_PGM_RSRC2:TRAP_HANDLER: 0
; COMPUTE_PGM_RSRC2:TGID_X_EN: 1
; COMPUTE_PGM_RSRC2:TGID_Y_EN: 0
; COMPUTE_PGM_RSRC2:TGID_Z_EN: 0
; COMPUTE_PGM_RSRC2:TIDIG_COMP_CNT: 0
	.section	.text._ZN7rocprim17ROCPRIM_400000_NS6detail17trampoline_kernelINS0_14default_configENS1_38merge_sort_block_merge_config_selectorIjNS0_10empty_typeEEEZZNS1_27merge_sort_block_merge_implIS3_N6thrust23THRUST_200600_302600_NS6detail15normal_iteratorINS9_10device_ptrIjEEEEPS5_m11less_div_10IjEEE10hipError_tT0_T1_T2_jT3_P12ihipStream_tbPNSt15iterator_traitsISJ_E10value_typeEPNSP_ISK_E10value_typeEPSL_NS1_7vsmem_tEENKUlT_SJ_SK_SL_E_clIPjSE_SF_SF_EESI_SY_SJ_SK_SL_EUlSY_E0_NS1_11comp_targetILNS1_3genE9ELNS1_11target_archE1100ELNS1_3gpuE3ELNS1_3repE0EEENS1_38merge_mergepath_config_static_selectorELNS0_4arch9wavefront6targetE0EEEvSK_,"axG",@progbits,_ZN7rocprim17ROCPRIM_400000_NS6detail17trampoline_kernelINS0_14default_configENS1_38merge_sort_block_merge_config_selectorIjNS0_10empty_typeEEEZZNS1_27merge_sort_block_merge_implIS3_N6thrust23THRUST_200600_302600_NS6detail15normal_iteratorINS9_10device_ptrIjEEEEPS5_m11less_div_10IjEEE10hipError_tT0_T1_T2_jT3_P12ihipStream_tbPNSt15iterator_traitsISJ_E10value_typeEPNSP_ISK_E10value_typeEPSL_NS1_7vsmem_tEENKUlT_SJ_SK_SL_E_clIPjSE_SF_SF_EESI_SY_SJ_SK_SL_EUlSY_E0_NS1_11comp_targetILNS1_3genE9ELNS1_11target_archE1100ELNS1_3gpuE3ELNS1_3repE0EEENS1_38merge_mergepath_config_static_selectorELNS0_4arch9wavefront6targetE0EEEvSK_,comdat
	.protected	_ZN7rocprim17ROCPRIM_400000_NS6detail17trampoline_kernelINS0_14default_configENS1_38merge_sort_block_merge_config_selectorIjNS0_10empty_typeEEEZZNS1_27merge_sort_block_merge_implIS3_N6thrust23THRUST_200600_302600_NS6detail15normal_iteratorINS9_10device_ptrIjEEEEPS5_m11less_div_10IjEEE10hipError_tT0_T1_T2_jT3_P12ihipStream_tbPNSt15iterator_traitsISJ_E10value_typeEPNSP_ISK_E10value_typeEPSL_NS1_7vsmem_tEENKUlT_SJ_SK_SL_E_clIPjSE_SF_SF_EESI_SY_SJ_SK_SL_EUlSY_E0_NS1_11comp_targetILNS1_3genE9ELNS1_11target_archE1100ELNS1_3gpuE3ELNS1_3repE0EEENS1_38merge_mergepath_config_static_selectorELNS0_4arch9wavefront6targetE0EEEvSK_ ; -- Begin function _ZN7rocprim17ROCPRIM_400000_NS6detail17trampoline_kernelINS0_14default_configENS1_38merge_sort_block_merge_config_selectorIjNS0_10empty_typeEEEZZNS1_27merge_sort_block_merge_implIS3_N6thrust23THRUST_200600_302600_NS6detail15normal_iteratorINS9_10device_ptrIjEEEEPS5_m11less_div_10IjEEE10hipError_tT0_T1_T2_jT3_P12ihipStream_tbPNSt15iterator_traitsISJ_E10value_typeEPNSP_ISK_E10value_typeEPSL_NS1_7vsmem_tEENKUlT_SJ_SK_SL_E_clIPjSE_SF_SF_EESI_SY_SJ_SK_SL_EUlSY_E0_NS1_11comp_targetILNS1_3genE9ELNS1_11target_archE1100ELNS1_3gpuE3ELNS1_3repE0EEENS1_38merge_mergepath_config_static_selectorELNS0_4arch9wavefront6targetE0EEEvSK_
	.globl	_ZN7rocprim17ROCPRIM_400000_NS6detail17trampoline_kernelINS0_14default_configENS1_38merge_sort_block_merge_config_selectorIjNS0_10empty_typeEEEZZNS1_27merge_sort_block_merge_implIS3_N6thrust23THRUST_200600_302600_NS6detail15normal_iteratorINS9_10device_ptrIjEEEEPS5_m11less_div_10IjEEE10hipError_tT0_T1_T2_jT3_P12ihipStream_tbPNSt15iterator_traitsISJ_E10value_typeEPNSP_ISK_E10value_typeEPSL_NS1_7vsmem_tEENKUlT_SJ_SK_SL_E_clIPjSE_SF_SF_EESI_SY_SJ_SK_SL_EUlSY_E0_NS1_11comp_targetILNS1_3genE9ELNS1_11target_archE1100ELNS1_3gpuE3ELNS1_3repE0EEENS1_38merge_mergepath_config_static_selectorELNS0_4arch9wavefront6targetE0EEEvSK_
	.p2align	8
	.type	_ZN7rocprim17ROCPRIM_400000_NS6detail17trampoline_kernelINS0_14default_configENS1_38merge_sort_block_merge_config_selectorIjNS0_10empty_typeEEEZZNS1_27merge_sort_block_merge_implIS3_N6thrust23THRUST_200600_302600_NS6detail15normal_iteratorINS9_10device_ptrIjEEEEPS5_m11less_div_10IjEEE10hipError_tT0_T1_T2_jT3_P12ihipStream_tbPNSt15iterator_traitsISJ_E10value_typeEPNSP_ISK_E10value_typeEPSL_NS1_7vsmem_tEENKUlT_SJ_SK_SL_E_clIPjSE_SF_SF_EESI_SY_SJ_SK_SL_EUlSY_E0_NS1_11comp_targetILNS1_3genE9ELNS1_11target_archE1100ELNS1_3gpuE3ELNS1_3repE0EEENS1_38merge_mergepath_config_static_selectorELNS0_4arch9wavefront6targetE0EEEvSK_,@function
_ZN7rocprim17ROCPRIM_400000_NS6detail17trampoline_kernelINS0_14default_configENS1_38merge_sort_block_merge_config_selectorIjNS0_10empty_typeEEEZZNS1_27merge_sort_block_merge_implIS3_N6thrust23THRUST_200600_302600_NS6detail15normal_iteratorINS9_10device_ptrIjEEEEPS5_m11less_div_10IjEEE10hipError_tT0_T1_T2_jT3_P12ihipStream_tbPNSt15iterator_traitsISJ_E10value_typeEPNSP_ISK_E10value_typeEPSL_NS1_7vsmem_tEENKUlT_SJ_SK_SL_E_clIPjSE_SF_SF_EESI_SY_SJ_SK_SL_EUlSY_E0_NS1_11comp_targetILNS1_3genE9ELNS1_11target_archE1100ELNS1_3gpuE3ELNS1_3repE0EEENS1_38merge_mergepath_config_static_selectorELNS0_4arch9wavefront6targetE0EEEvSK_: ; @_ZN7rocprim17ROCPRIM_400000_NS6detail17trampoline_kernelINS0_14default_configENS1_38merge_sort_block_merge_config_selectorIjNS0_10empty_typeEEEZZNS1_27merge_sort_block_merge_implIS3_N6thrust23THRUST_200600_302600_NS6detail15normal_iteratorINS9_10device_ptrIjEEEEPS5_m11less_div_10IjEEE10hipError_tT0_T1_T2_jT3_P12ihipStream_tbPNSt15iterator_traitsISJ_E10value_typeEPNSP_ISK_E10value_typeEPSL_NS1_7vsmem_tEENKUlT_SJ_SK_SL_E_clIPjSE_SF_SF_EESI_SY_SJ_SK_SL_EUlSY_E0_NS1_11comp_targetILNS1_3genE9ELNS1_11target_archE1100ELNS1_3gpuE3ELNS1_3repE0EEENS1_38merge_mergepath_config_static_selectorELNS0_4arch9wavefront6targetE0EEEvSK_
; %bb.0:
	.section	.rodata,"a",@progbits
	.p2align	6, 0x0
	.amdhsa_kernel _ZN7rocprim17ROCPRIM_400000_NS6detail17trampoline_kernelINS0_14default_configENS1_38merge_sort_block_merge_config_selectorIjNS0_10empty_typeEEEZZNS1_27merge_sort_block_merge_implIS3_N6thrust23THRUST_200600_302600_NS6detail15normal_iteratorINS9_10device_ptrIjEEEEPS5_m11less_div_10IjEEE10hipError_tT0_T1_T2_jT3_P12ihipStream_tbPNSt15iterator_traitsISJ_E10value_typeEPNSP_ISK_E10value_typeEPSL_NS1_7vsmem_tEENKUlT_SJ_SK_SL_E_clIPjSE_SF_SF_EESI_SY_SJ_SK_SL_EUlSY_E0_NS1_11comp_targetILNS1_3genE9ELNS1_11target_archE1100ELNS1_3gpuE3ELNS1_3repE0EEENS1_38merge_mergepath_config_static_selectorELNS0_4arch9wavefront6targetE0EEEvSK_
		.amdhsa_group_segment_fixed_size 0
		.amdhsa_private_segment_fixed_size 0
		.amdhsa_kernarg_size 72
		.amdhsa_user_sgpr_count 6
		.amdhsa_user_sgpr_private_segment_buffer 1
		.amdhsa_user_sgpr_dispatch_ptr 0
		.amdhsa_user_sgpr_queue_ptr 0
		.amdhsa_user_sgpr_kernarg_segment_ptr 1
		.amdhsa_user_sgpr_dispatch_id 0
		.amdhsa_user_sgpr_flat_scratch_init 0
		.amdhsa_user_sgpr_private_segment_size 0
		.amdhsa_wavefront_size32 1
		.amdhsa_uses_dynamic_stack 0
		.amdhsa_system_sgpr_private_segment_wavefront_offset 0
		.amdhsa_system_sgpr_workgroup_id_x 1
		.amdhsa_system_sgpr_workgroup_id_y 0
		.amdhsa_system_sgpr_workgroup_id_z 0
		.amdhsa_system_sgpr_workgroup_info 0
		.amdhsa_system_vgpr_workitem_id 0
		.amdhsa_next_free_vgpr 1
		.amdhsa_next_free_sgpr 1
		.amdhsa_reserve_vcc 0
		.amdhsa_reserve_flat_scratch 0
		.amdhsa_float_round_mode_32 0
		.amdhsa_float_round_mode_16_64 0
		.amdhsa_float_denorm_mode_32 3
		.amdhsa_float_denorm_mode_16_64 3
		.amdhsa_dx10_clamp 1
		.amdhsa_ieee_mode 1
		.amdhsa_fp16_overflow 0
		.amdhsa_workgroup_processor_mode 1
		.amdhsa_memory_ordered 1
		.amdhsa_forward_progress 1
		.amdhsa_shared_vgpr_count 0
		.amdhsa_exception_fp_ieee_invalid_op 0
		.amdhsa_exception_fp_denorm_src 0
		.amdhsa_exception_fp_ieee_div_zero 0
		.amdhsa_exception_fp_ieee_overflow 0
		.amdhsa_exception_fp_ieee_underflow 0
		.amdhsa_exception_fp_ieee_inexact 0
		.amdhsa_exception_int_div_zero 0
	.end_amdhsa_kernel
	.section	.text._ZN7rocprim17ROCPRIM_400000_NS6detail17trampoline_kernelINS0_14default_configENS1_38merge_sort_block_merge_config_selectorIjNS0_10empty_typeEEEZZNS1_27merge_sort_block_merge_implIS3_N6thrust23THRUST_200600_302600_NS6detail15normal_iteratorINS9_10device_ptrIjEEEEPS5_m11less_div_10IjEEE10hipError_tT0_T1_T2_jT3_P12ihipStream_tbPNSt15iterator_traitsISJ_E10value_typeEPNSP_ISK_E10value_typeEPSL_NS1_7vsmem_tEENKUlT_SJ_SK_SL_E_clIPjSE_SF_SF_EESI_SY_SJ_SK_SL_EUlSY_E0_NS1_11comp_targetILNS1_3genE9ELNS1_11target_archE1100ELNS1_3gpuE3ELNS1_3repE0EEENS1_38merge_mergepath_config_static_selectorELNS0_4arch9wavefront6targetE0EEEvSK_,"axG",@progbits,_ZN7rocprim17ROCPRIM_400000_NS6detail17trampoline_kernelINS0_14default_configENS1_38merge_sort_block_merge_config_selectorIjNS0_10empty_typeEEEZZNS1_27merge_sort_block_merge_implIS3_N6thrust23THRUST_200600_302600_NS6detail15normal_iteratorINS9_10device_ptrIjEEEEPS5_m11less_div_10IjEEE10hipError_tT0_T1_T2_jT3_P12ihipStream_tbPNSt15iterator_traitsISJ_E10value_typeEPNSP_ISK_E10value_typeEPSL_NS1_7vsmem_tEENKUlT_SJ_SK_SL_E_clIPjSE_SF_SF_EESI_SY_SJ_SK_SL_EUlSY_E0_NS1_11comp_targetILNS1_3genE9ELNS1_11target_archE1100ELNS1_3gpuE3ELNS1_3repE0EEENS1_38merge_mergepath_config_static_selectorELNS0_4arch9wavefront6targetE0EEEvSK_,comdat
.Lfunc_end161:
	.size	_ZN7rocprim17ROCPRIM_400000_NS6detail17trampoline_kernelINS0_14default_configENS1_38merge_sort_block_merge_config_selectorIjNS0_10empty_typeEEEZZNS1_27merge_sort_block_merge_implIS3_N6thrust23THRUST_200600_302600_NS6detail15normal_iteratorINS9_10device_ptrIjEEEEPS5_m11less_div_10IjEEE10hipError_tT0_T1_T2_jT3_P12ihipStream_tbPNSt15iterator_traitsISJ_E10value_typeEPNSP_ISK_E10value_typeEPSL_NS1_7vsmem_tEENKUlT_SJ_SK_SL_E_clIPjSE_SF_SF_EESI_SY_SJ_SK_SL_EUlSY_E0_NS1_11comp_targetILNS1_3genE9ELNS1_11target_archE1100ELNS1_3gpuE3ELNS1_3repE0EEENS1_38merge_mergepath_config_static_selectorELNS0_4arch9wavefront6targetE0EEEvSK_, .Lfunc_end161-_ZN7rocprim17ROCPRIM_400000_NS6detail17trampoline_kernelINS0_14default_configENS1_38merge_sort_block_merge_config_selectorIjNS0_10empty_typeEEEZZNS1_27merge_sort_block_merge_implIS3_N6thrust23THRUST_200600_302600_NS6detail15normal_iteratorINS9_10device_ptrIjEEEEPS5_m11less_div_10IjEEE10hipError_tT0_T1_T2_jT3_P12ihipStream_tbPNSt15iterator_traitsISJ_E10value_typeEPNSP_ISK_E10value_typeEPSL_NS1_7vsmem_tEENKUlT_SJ_SK_SL_E_clIPjSE_SF_SF_EESI_SY_SJ_SK_SL_EUlSY_E0_NS1_11comp_targetILNS1_3genE9ELNS1_11target_archE1100ELNS1_3gpuE3ELNS1_3repE0EEENS1_38merge_mergepath_config_static_selectorELNS0_4arch9wavefront6targetE0EEEvSK_
                                        ; -- End function
	.set _ZN7rocprim17ROCPRIM_400000_NS6detail17trampoline_kernelINS0_14default_configENS1_38merge_sort_block_merge_config_selectorIjNS0_10empty_typeEEEZZNS1_27merge_sort_block_merge_implIS3_N6thrust23THRUST_200600_302600_NS6detail15normal_iteratorINS9_10device_ptrIjEEEEPS5_m11less_div_10IjEEE10hipError_tT0_T1_T2_jT3_P12ihipStream_tbPNSt15iterator_traitsISJ_E10value_typeEPNSP_ISK_E10value_typeEPSL_NS1_7vsmem_tEENKUlT_SJ_SK_SL_E_clIPjSE_SF_SF_EESI_SY_SJ_SK_SL_EUlSY_E0_NS1_11comp_targetILNS1_3genE9ELNS1_11target_archE1100ELNS1_3gpuE3ELNS1_3repE0EEENS1_38merge_mergepath_config_static_selectorELNS0_4arch9wavefront6targetE0EEEvSK_.num_vgpr, 0
	.set _ZN7rocprim17ROCPRIM_400000_NS6detail17trampoline_kernelINS0_14default_configENS1_38merge_sort_block_merge_config_selectorIjNS0_10empty_typeEEEZZNS1_27merge_sort_block_merge_implIS3_N6thrust23THRUST_200600_302600_NS6detail15normal_iteratorINS9_10device_ptrIjEEEEPS5_m11less_div_10IjEEE10hipError_tT0_T1_T2_jT3_P12ihipStream_tbPNSt15iterator_traitsISJ_E10value_typeEPNSP_ISK_E10value_typeEPSL_NS1_7vsmem_tEENKUlT_SJ_SK_SL_E_clIPjSE_SF_SF_EESI_SY_SJ_SK_SL_EUlSY_E0_NS1_11comp_targetILNS1_3genE9ELNS1_11target_archE1100ELNS1_3gpuE3ELNS1_3repE0EEENS1_38merge_mergepath_config_static_selectorELNS0_4arch9wavefront6targetE0EEEvSK_.num_agpr, 0
	.set _ZN7rocprim17ROCPRIM_400000_NS6detail17trampoline_kernelINS0_14default_configENS1_38merge_sort_block_merge_config_selectorIjNS0_10empty_typeEEEZZNS1_27merge_sort_block_merge_implIS3_N6thrust23THRUST_200600_302600_NS6detail15normal_iteratorINS9_10device_ptrIjEEEEPS5_m11less_div_10IjEEE10hipError_tT0_T1_T2_jT3_P12ihipStream_tbPNSt15iterator_traitsISJ_E10value_typeEPNSP_ISK_E10value_typeEPSL_NS1_7vsmem_tEENKUlT_SJ_SK_SL_E_clIPjSE_SF_SF_EESI_SY_SJ_SK_SL_EUlSY_E0_NS1_11comp_targetILNS1_3genE9ELNS1_11target_archE1100ELNS1_3gpuE3ELNS1_3repE0EEENS1_38merge_mergepath_config_static_selectorELNS0_4arch9wavefront6targetE0EEEvSK_.numbered_sgpr, 0
	.set _ZN7rocprim17ROCPRIM_400000_NS6detail17trampoline_kernelINS0_14default_configENS1_38merge_sort_block_merge_config_selectorIjNS0_10empty_typeEEEZZNS1_27merge_sort_block_merge_implIS3_N6thrust23THRUST_200600_302600_NS6detail15normal_iteratorINS9_10device_ptrIjEEEEPS5_m11less_div_10IjEEE10hipError_tT0_T1_T2_jT3_P12ihipStream_tbPNSt15iterator_traitsISJ_E10value_typeEPNSP_ISK_E10value_typeEPSL_NS1_7vsmem_tEENKUlT_SJ_SK_SL_E_clIPjSE_SF_SF_EESI_SY_SJ_SK_SL_EUlSY_E0_NS1_11comp_targetILNS1_3genE9ELNS1_11target_archE1100ELNS1_3gpuE3ELNS1_3repE0EEENS1_38merge_mergepath_config_static_selectorELNS0_4arch9wavefront6targetE0EEEvSK_.num_named_barrier, 0
	.set _ZN7rocprim17ROCPRIM_400000_NS6detail17trampoline_kernelINS0_14default_configENS1_38merge_sort_block_merge_config_selectorIjNS0_10empty_typeEEEZZNS1_27merge_sort_block_merge_implIS3_N6thrust23THRUST_200600_302600_NS6detail15normal_iteratorINS9_10device_ptrIjEEEEPS5_m11less_div_10IjEEE10hipError_tT0_T1_T2_jT3_P12ihipStream_tbPNSt15iterator_traitsISJ_E10value_typeEPNSP_ISK_E10value_typeEPSL_NS1_7vsmem_tEENKUlT_SJ_SK_SL_E_clIPjSE_SF_SF_EESI_SY_SJ_SK_SL_EUlSY_E0_NS1_11comp_targetILNS1_3genE9ELNS1_11target_archE1100ELNS1_3gpuE3ELNS1_3repE0EEENS1_38merge_mergepath_config_static_selectorELNS0_4arch9wavefront6targetE0EEEvSK_.private_seg_size, 0
	.set _ZN7rocprim17ROCPRIM_400000_NS6detail17trampoline_kernelINS0_14default_configENS1_38merge_sort_block_merge_config_selectorIjNS0_10empty_typeEEEZZNS1_27merge_sort_block_merge_implIS3_N6thrust23THRUST_200600_302600_NS6detail15normal_iteratorINS9_10device_ptrIjEEEEPS5_m11less_div_10IjEEE10hipError_tT0_T1_T2_jT3_P12ihipStream_tbPNSt15iterator_traitsISJ_E10value_typeEPNSP_ISK_E10value_typeEPSL_NS1_7vsmem_tEENKUlT_SJ_SK_SL_E_clIPjSE_SF_SF_EESI_SY_SJ_SK_SL_EUlSY_E0_NS1_11comp_targetILNS1_3genE9ELNS1_11target_archE1100ELNS1_3gpuE3ELNS1_3repE0EEENS1_38merge_mergepath_config_static_selectorELNS0_4arch9wavefront6targetE0EEEvSK_.uses_vcc, 0
	.set _ZN7rocprim17ROCPRIM_400000_NS6detail17trampoline_kernelINS0_14default_configENS1_38merge_sort_block_merge_config_selectorIjNS0_10empty_typeEEEZZNS1_27merge_sort_block_merge_implIS3_N6thrust23THRUST_200600_302600_NS6detail15normal_iteratorINS9_10device_ptrIjEEEEPS5_m11less_div_10IjEEE10hipError_tT0_T1_T2_jT3_P12ihipStream_tbPNSt15iterator_traitsISJ_E10value_typeEPNSP_ISK_E10value_typeEPSL_NS1_7vsmem_tEENKUlT_SJ_SK_SL_E_clIPjSE_SF_SF_EESI_SY_SJ_SK_SL_EUlSY_E0_NS1_11comp_targetILNS1_3genE9ELNS1_11target_archE1100ELNS1_3gpuE3ELNS1_3repE0EEENS1_38merge_mergepath_config_static_selectorELNS0_4arch9wavefront6targetE0EEEvSK_.uses_flat_scratch, 0
	.set _ZN7rocprim17ROCPRIM_400000_NS6detail17trampoline_kernelINS0_14default_configENS1_38merge_sort_block_merge_config_selectorIjNS0_10empty_typeEEEZZNS1_27merge_sort_block_merge_implIS3_N6thrust23THRUST_200600_302600_NS6detail15normal_iteratorINS9_10device_ptrIjEEEEPS5_m11less_div_10IjEEE10hipError_tT0_T1_T2_jT3_P12ihipStream_tbPNSt15iterator_traitsISJ_E10value_typeEPNSP_ISK_E10value_typeEPSL_NS1_7vsmem_tEENKUlT_SJ_SK_SL_E_clIPjSE_SF_SF_EESI_SY_SJ_SK_SL_EUlSY_E0_NS1_11comp_targetILNS1_3genE9ELNS1_11target_archE1100ELNS1_3gpuE3ELNS1_3repE0EEENS1_38merge_mergepath_config_static_selectorELNS0_4arch9wavefront6targetE0EEEvSK_.has_dyn_sized_stack, 0
	.set _ZN7rocprim17ROCPRIM_400000_NS6detail17trampoline_kernelINS0_14default_configENS1_38merge_sort_block_merge_config_selectorIjNS0_10empty_typeEEEZZNS1_27merge_sort_block_merge_implIS3_N6thrust23THRUST_200600_302600_NS6detail15normal_iteratorINS9_10device_ptrIjEEEEPS5_m11less_div_10IjEEE10hipError_tT0_T1_T2_jT3_P12ihipStream_tbPNSt15iterator_traitsISJ_E10value_typeEPNSP_ISK_E10value_typeEPSL_NS1_7vsmem_tEENKUlT_SJ_SK_SL_E_clIPjSE_SF_SF_EESI_SY_SJ_SK_SL_EUlSY_E0_NS1_11comp_targetILNS1_3genE9ELNS1_11target_archE1100ELNS1_3gpuE3ELNS1_3repE0EEENS1_38merge_mergepath_config_static_selectorELNS0_4arch9wavefront6targetE0EEEvSK_.has_recursion, 0
	.set _ZN7rocprim17ROCPRIM_400000_NS6detail17trampoline_kernelINS0_14default_configENS1_38merge_sort_block_merge_config_selectorIjNS0_10empty_typeEEEZZNS1_27merge_sort_block_merge_implIS3_N6thrust23THRUST_200600_302600_NS6detail15normal_iteratorINS9_10device_ptrIjEEEEPS5_m11less_div_10IjEEE10hipError_tT0_T1_T2_jT3_P12ihipStream_tbPNSt15iterator_traitsISJ_E10value_typeEPNSP_ISK_E10value_typeEPSL_NS1_7vsmem_tEENKUlT_SJ_SK_SL_E_clIPjSE_SF_SF_EESI_SY_SJ_SK_SL_EUlSY_E0_NS1_11comp_targetILNS1_3genE9ELNS1_11target_archE1100ELNS1_3gpuE3ELNS1_3repE0EEENS1_38merge_mergepath_config_static_selectorELNS0_4arch9wavefront6targetE0EEEvSK_.has_indirect_call, 0
	.section	.AMDGPU.csdata,"",@progbits
; Kernel info:
; codeLenInByte = 0
; TotalNumSgprs: 0
; NumVgprs: 0
; ScratchSize: 0
; MemoryBound: 0
; FloatMode: 240
; IeeeMode: 1
; LDSByteSize: 0 bytes/workgroup (compile time only)
; SGPRBlocks: 0
; VGPRBlocks: 0
; NumSGPRsForWavesPerEU: 1
; NumVGPRsForWavesPerEU: 1
; Occupancy: 16
; WaveLimiterHint : 0
; COMPUTE_PGM_RSRC2:SCRATCH_EN: 0
; COMPUTE_PGM_RSRC2:USER_SGPR: 6
; COMPUTE_PGM_RSRC2:TRAP_HANDLER: 0
; COMPUTE_PGM_RSRC2:TGID_X_EN: 1
; COMPUTE_PGM_RSRC2:TGID_Y_EN: 0
; COMPUTE_PGM_RSRC2:TGID_Z_EN: 0
; COMPUTE_PGM_RSRC2:TIDIG_COMP_CNT: 0
	.section	.text._ZN7rocprim17ROCPRIM_400000_NS6detail17trampoline_kernelINS0_14default_configENS1_38merge_sort_block_merge_config_selectorIjNS0_10empty_typeEEEZZNS1_27merge_sort_block_merge_implIS3_N6thrust23THRUST_200600_302600_NS6detail15normal_iteratorINS9_10device_ptrIjEEEEPS5_m11less_div_10IjEEE10hipError_tT0_T1_T2_jT3_P12ihipStream_tbPNSt15iterator_traitsISJ_E10value_typeEPNSP_ISK_E10value_typeEPSL_NS1_7vsmem_tEENKUlT_SJ_SK_SL_E_clIPjSE_SF_SF_EESI_SY_SJ_SK_SL_EUlSY_E0_NS1_11comp_targetILNS1_3genE8ELNS1_11target_archE1030ELNS1_3gpuE2ELNS1_3repE0EEENS1_38merge_mergepath_config_static_selectorELNS0_4arch9wavefront6targetE0EEEvSK_,"axG",@progbits,_ZN7rocprim17ROCPRIM_400000_NS6detail17trampoline_kernelINS0_14default_configENS1_38merge_sort_block_merge_config_selectorIjNS0_10empty_typeEEEZZNS1_27merge_sort_block_merge_implIS3_N6thrust23THRUST_200600_302600_NS6detail15normal_iteratorINS9_10device_ptrIjEEEEPS5_m11less_div_10IjEEE10hipError_tT0_T1_T2_jT3_P12ihipStream_tbPNSt15iterator_traitsISJ_E10value_typeEPNSP_ISK_E10value_typeEPSL_NS1_7vsmem_tEENKUlT_SJ_SK_SL_E_clIPjSE_SF_SF_EESI_SY_SJ_SK_SL_EUlSY_E0_NS1_11comp_targetILNS1_3genE8ELNS1_11target_archE1030ELNS1_3gpuE2ELNS1_3repE0EEENS1_38merge_mergepath_config_static_selectorELNS0_4arch9wavefront6targetE0EEEvSK_,comdat
	.protected	_ZN7rocprim17ROCPRIM_400000_NS6detail17trampoline_kernelINS0_14default_configENS1_38merge_sort_block_merge_config_selectorIjNS0_10empty_typeEEEZZNS1_27merge_sort_block_merge_implIS3_N6thrust23THRUST_200600_302600_NS6detail15normal_iteratorINS9_10device_ptrIjEEEEPS5_m11less_div_10IjEEE10hipError_tT0_T1_T2_jT3_P12ihipStream_tbPNSt15iterator_traitsISJ_E10value_typeEPNSP_ISK_E10value_typeEPSL_NS1_7vsmem_tEENKUlT_SJ_SK_SL_E_clIPjSE_SF_SF_EESI_SY_SJ_SK_SL_EUlSY_E0_NS1_11comp_targetILNS1_3genE8ELNS1_11target_archE1030ELNS1_3gpuE2ELNS1_3repE0EEENS1_38merge_mergepath_config_static_selectorELNS0_4arch9wavefront6targetE0EEEvSK_ ; -- Begin function _ZN7rocprim17ROCPRIM_400000_NS6detail17trampoline_kernelINS0_14default_configENS1_38merge_sort_block_merge_config_selectorIjNS0_10empty_typeEEEZZNS1_27merge_sort_block_merge_implIS3_N6thrust23THRUST_200600_302600_NS6detail15normal_iteratorINS9_10device_ptrIjEEEEPS5_m11less_div_10IjEEE10hipError_tT0_T1_T2_jT3_P12ihipStream_tbPNSt15iterator_traitsISJ_E10value_typeEPNSP_ISK_E10value_typeEPSL_NS1_7vsmem_tEENKUlT_SJ_SK_SL_E_clIPjSE_SF_SF_EESI_SY_SJ_SK_SL_EUlSY_E0_NS1_11comp_targetILNS1_3genE8ELNS1_11target_archE1030ELNS1_3gpuE2ELNS1_3repE0EEENS1_38merge_mergepath_config_static_selectorELNS0_4arch9wavefront6targetE0EEEvSK_
	.globl	_ZN7rocprim17ROCPRIM_400000_NS6detail17trampoline_kernelINS0_14default_configENS1_38merge_sort_block_merge_config_selectorIjNS0_10empty_typeEEEZZNS1_27merge_sort_block_merge_implIS3_N6thrust23THRUST_200600_302600_NS6detail15normal_iteratorINS9_10device_ptrIjEEEEPS5_m11less_div_10IjEEE10hipError_tT0_T1_T2_jT3_P12ihipStream_tbPNSt15iterator_traitsISJ_E10value_typeEPNSP_ISK_E10value_typeEPSL_NS1_7vsmem_tEENKUlT_SJ_SK_SL_E_clIPjSE_SF_SF_EESI_SY_SJ_SK_SL_EUlSY_E0_NS1_11comp_targetILNS1_3genE8ELNS1_11target_archE1030ELNS1_3gpuE2ELNS1_3repE0EEENS1_38merge_mergepath_config_static_selectorELNS0_4arch9wavefront6targetE0EEEvSK_
	.p2align	8
	.type	_ZN7rocprim17ROCPRIM_400000_NS6detail17trampoline_kernelINS0_14default_configENS1_38merge_sort_block_merge_config_selectorIjNS0_10empty_typeEEEZZNS1_27merge_sort_block_merge_implIS3_N6thrust23THRUST_200600_302600_NS6detail15normal_iteratorINS9_10device_ptrIjEEEEPS5_m11less_div_10IjEEE10hipError_tT0_T1_T2_jT3_P12ihipStream_tbPNSt15iterator_traitsISJ_E10value_typeEPNSP_ISK_E10value_typeEPSL_NS1_7vsmem_tEENKUlT_SJ_SK_SL_E_clIPjSE_SF_SF_EESI_SY_SJ_SK_SL_EUlSY_E0_NS1_11comp_targetILNS1_3genE8ELNS1_11target_archE1030ELNS1_3gpuE2ELNS1_3repE0EEENS1_38merge_mergepath_config_static_selectorELNS0_4arch9wavefront6targetE0EEEvSK_,@function
_ZN7rocprim17ROCPRIM_400000_NS6detail17trampoline_kernelINS0_14default_configENS1_38merge_sort_block_merge_config_selectorIjNS0_10empty_typeEEEZZNS1_27merge_sort_block_merge_implIS3_N6thrust23THRUST_200600_302600_NS6detail15normal_iteratorINS9_10device_ptrIjEEEEPS5_m11less_div_10IjEEE10hipError_tT0_T1_T2_jT3_P12ihipStream_tbPNSt15iterator_traitsISJ_E10value_typeEPNSP_ISK_E10value_typeEPSL_NS1_7vsmem_tEENKUlT_SJ_SK_SL_E_clIPjSE_SF_SF_EESI_SY_SJ_SK_SL_EUlSY_E0_NS1_11comp_targetILNS1_3genE8ELNS1_11target_archE1030ELNS1_3gpuE2ELNS1_3repE0EEENS1_38merge_mergepath_config_static_selectorELNS0_4arch9wavefront6targetE0EEEvSK_: ; @_ZN7rocprim17ROCPRIM_400000_NS6detail17trampoline_kernelINS0_14default_configENS1_38merge_sort_block_merge_config_selectorIjNS0_10empty_typeEEEZZNS1_27merge_sort_block_merge_implIS3_N6thrust23THRUST_200600_302600_NS6detail15normal_iteratorINS9_10device_ptrIjEEEEPS5_m11less_div_10IjEEE10hipError_tT0_T1_T2_jT3_P12ihipStream_tbPNSt15iterator_traitsISJ_E10value_typeEPNSP_ISK_E10value_typeEPSL_NS1_7vsmem_tEENKUlT_SJ_SK_SL_E_clIPjSE_SF_SF_EESI_SY_SJ_SK_SL_EUlSY_E0_NS1_11comp_targetILNS1_3genE8ELNS1_11target_archE1030ELNS1_3gpuE2ELNS1_3repE0EEENS1_38merge_mergepath_config_static_selectorELNS0_4arch9wavefront6targetE0EEEvSK_
; %bb.0:
	s_clause 0x1
	s_load_dwordx2 s[22:23], s[4:5], 0x48
	s_load_dword s0, s[4:5], 0x38
	s_add_u32 s20, s4, 0x48
	s_addc_u32 s21, s5, 0
	s_waitcnt lgkmcnt(0)
	s_mul_i32 s1, s23, s8
	s_add_i32 s1, s1, s7
	s_mul_i32 s1, s1, s22
	s_add_i32 s18, s1, s6
	s_cmp_ge_u32 s18, s0
	s_cbranch_scc1 .LBB162_35
; %bb.1:
	s_clause 0x1
	s_load_dwordx2 s[0:1], s[4:5], 0x40
	s_load_dwordx4 s[8:11], s[4:5], 0x28
	s_mov_b32 s19, 0
	s_lshl_b64 s[2:3], s[18:19], 3
	s_waitcnt lgkmcnt(0)
	s_add_u32 s0, s0, s2
	s_addc_u32 s1, s1, s3
	s_lshl_b64 s[16:17], s[18:19], 10
	s_load_dwordx4 s[12:15], s[0:1], 0x0
	s_lshr_b64 s[0:1], s[10:11], 9
	s_mov_b32 s1, s19
	s_and_b32 s0, s0, -2
	s_sub_i32 s30, 0, s0
	s_and_b32 s0, s18, s30
	s_lshl_b64 s[24:25], s[0:1], 10
	s_sub_u32 s7, s16, s24
	s_subb_u32 s23, s17, s25
	s_lshl_b64 s[26:27], s[0:1], 11
	s_load_dwordx4 s[0:3], s[4:5], 0x8
	s_add_u32 s4, s26, s10
	s_addc_u32 s26, s27, s11
	s_add_u32 s5, s4, s7
	s_addc_u32 s23, s26, s23
	s_waitcnt lgkmcnt(0)
	s_sub_u32 s7, s5, s14
	s_subb_u32 s15, s23, s15
	s_add_u32 s28, s7, 0x400
	s_addc_u32 s29, s15, 0
	v_cmp_lt_u64_e64 s7, s[8:9], s[28:29]
	s_and_b32 s7, s7, exec_lo
	s_cselect_b32 s7, s8, s28
	s_or_b32 s15, s18, s30
	s_cmp_lg_u32 s15, -1
	s_mov_b32 s15, -1
	s_cbranch_scc1 .LBB162_3
; %bb.2:
	s_sub_u32 s24, s4, s24
	s_subb_u32 s25, s26, s25
	v_cmp_lt_u64_e64 s4, s[8:9], s[24:25]
	s_and_b32 s4, s4, exec_lo
	s_cselect_b32 s14, s8, s24
	s_add_u32 s10, s24, s10
	s_addc_u32 s11, s25, s11
	v_cmp_lt_u64_e64 s4, s[8:9], s[10:11]
	s_and_b32 s4, s4, exec_lo
	s_cselect_b32 s7, s8, s10
.LBB162_3:
	s_lshr_b64 s[24:25], s[8:9], 10
	v_mov_b32_e32 v4, 0
	s_cmp_lg_u64 s[24:25], s[18:19]
	v_lshlrev_b32_e32 v5, 2, v0
	s_cselect_b32 s4, -1, 0
	s_sub_u32 s10, s5, s12
	s_subb_u32 s11, s23, s13
	global_load_dword v1, v4, s[20:21] offset:14
	v_cmp_lt_u64_e64 s5, s[8:9], s[10:11]
                                        ; implicit-def: $vgpr6
	s_and_b32 s5, s5, exec_lo
	s_cselect_b32 s26, s8, s10
	s_cselect_b32 s27, s9, s11
	s_sub_i32 s5, s14, s12
	s_lshl_b64 s[12:13], s[12:13], 2
	s_sub_i32 s7, s7, s26
	s_add_u32 s11, s0, s12
	s_addc_u32 s12, s1, s13
	s_lshl_b64 s[26:27], s[26:27], 2
	s_add_u32 s9, s0, s26
	s_addc_u32 s10, s1, s27
	s_cmp_lt_u32 s6, s22
	s_cselect_b32 s0, 12, 18
	s_add_u32 s0, s20, s0
	s_addc_u32 s1, s21, 0
	s_cmp_eq_u64 s[24:25], s[18:19]
	global_load_ushort v2, v4, s[0:1]
	s_waitcnt vmcnt(1)
	v_lshrrev_b32_e32 v3, 16, v1
	v_and_b32_e32 v1, 0xffff, v1
	v_mul_lo_u32 v1, v1, v3
                                        ; implicit-def: $vgpr3
	s_waitcnt vmcnt(0)
	v_mul_lo_u32 v1, v1, v2
                                        ; implicit-def: $vgpr2
	v_add_nc_u32_e32 v1, v1, v0
	s_cbranch_scc1 .LBB162_5
; %bb.4:
	v_mov_b32_e32 v2, v4
	v_sub_co_u32 v3, vcc_lo, v0, s5
	v_add_co_u32 v10, s0, s11, v5
	v_lshlrev_b64 v[6:7], 2, v[1:2]
	v_add_co_ci_u32_e64 v11, null, s12, 0, s0
	v_lshlrev_b64 v[8:9], 2, v[3:4]
	s_mov_b32 s15, 0
	v_add_co_u32 v6, s0, s11, v6
	v_add_co_ci_u32_e64 v7, null, s12, v7, s0
	v_sub_co_u32 v3, s0, v1, s5
	v_lshlrev_b64 v[2:3], 2, v[3:4]
	v_add_co_u32 v4, s1, s9, v8
	v_add_co_ci_u32_e64 v8, null, s10, v9, s1
	v_add_co_u32 v9, s1, s9, v2
	v_add_co_ci_u32_e64 v12, null, s10, v3, s1
	v_cndmask_b32_e32 v3, v8, v11, vcc_lo
	v_cndmask_b32_e32 v2, v4, v10, vcc_lo
	v_cndmask_b32_e64 v6, v9, v6, s0
	v_cndmask_b32_e64 v7, v12, v7, s0
	s_add_i32 s0, s5, s7
	global_load_dword v3, v[2:3], off
	global_load_dword v2, v[6:7], off
	v_mov_b32_e32 v6, s0
.LBB162_5:
	s_andn2_b32 vcc_lo, exec_lo, s15
	s_cbranch_vccnz .LBB162_11
; %bb.6:
	s_waitcnt vmcnt(0)
	v_mov_b32_e32 v2, 0
	v_mov_b32_e32 v3, 0
	s_add_i32 s1, s5, s7
	s_mov_b32 s6, exec_lo
	v_cmpx_gt_u32_e64 s1, v0
	s_cbranch_execz .LBB162_8
; %bb.7:
	v_sub_co_u32 v3, vcc_lo, v0, s5
	v_mov_b32_e32 v4, 0
	v_add_co_u32 v6, s0, s11, v5
	v_add_co_ci_u32_e64 v7, null, s12, 0, s0
	v_lshlrev_b64 v[3:4], 2, v[3:4]
	v_add_co_u32 v3, s0, s9, v3
	v_add_co_ci_u32_e64 v4, null, s10, v4, s0
	v_cndmask_b32_e32 v3, v3, v6, vcc_lo
	v_cndmask_b32_e32 v4, v4, v7, vcc_lo
	global_load_dword v3, v[3:4], off
.LBB162_8:
	s_or_b32 exec_lo, exec_lo, s6
	s_mov_b32 s6, exec_lo
	v_cmpx_gt_u32_e64 s1, v1
	s_cbranch_execz .LBB162_10
; %bb.9:
	v_mov_b32_e32 v2, 0
	v_lshlrev_b64 v[6:7], 2, v[1:2]
	v_add_co_u32 v4, vcc_lo, s11, v6
	v_add_co_ci_u32_e64 v6, null, s12, v7, vcc_lo
	v_sub_co_u32 v1, vcc_lo, v1, s5
	v_lshlrev_b64 v[1:2], 2, v[1:2]
	v_add_co_u32 v1, s0, s9, v1
	v_add_co_ci_u32_e64 v2, null, s10, v2, s0
	v_cndmask_b32_e32 v1, v1, v4, vcc_lo
	v_cndmask_b32_e32 v2, v2, v6, vcc_lo
	global_load_dword v2, v[1:2], off
.LBB162_10:
	s_or_b32 exec_lo, exec_lo, s6
	v_mov_b32_e32 v6, s1
.LBB162_11:
	v_lshlrev_b32_e32 v1, 1, v0
	s_mov_b32 s0, exec_lo
	s_waitcnt vmcnt(0)
	ds_write2st64_b32 v5, v3, v2 offset1:8
	s_waitcnt lgkmcnt(0)
	s_barrier
	v_min_u32_e32 v7, v6, v1
	buffer_gl0_inv
	v_sub_nc_u32_e64 v4, v7, s7 clamp
	v_min_u32_e32 v8, s5, v7
	v_cmpx_lt_u32_e64 v4, v8
	s_cbranch_execz .LBB162_15
; %bb.12:
	v_lshlrev_b32_e32 v9, 2, v7
	s_mov_b32 s1, 0
	v_lshl_add_u32 v9, s5, 2, v9
	.p2align	6
.LBB162_13:                             ; =>This Inner Loop Header: Depth=1
	v_add_nc_u32_e32 v10, v8, v4
	v_lshrrev_b32_e32 v10, 1, v10
	v_not_b32_e32 v11, v10
	v_lshlrev_b32_e32 v12, 2, v10
	v_lshl_add_u32 v11, v11, 2, v9
	ds_read_b32 v12, v12
	ds_read_b32 v11, v11
	s_waitcnt lgkmcnt(1)
	v_mul_hi_i32 v12, 0x66666667, v12
	s_waitcnt lgkmcnt(0)
	v_mul_hi_i32 v11, 0x66666667, v11
	v_lshrrev_b32_e32 v13, 31, v12
	v_ashrrev_i32_e32 v12, 2, v12
	v_lshrrev_b32_e32 v14, 31, v11
	v_ashrrev_i32_e32 v11, 2, v11
	v_add_nc_u32_e32 v12, v12, v13
	v_add_nc_u32_e32 v13, 1, v10
	;; [unrolled: 1-line block ×3, first 2 shown]
	v_cmp_lt_i32_e32 vcc_lo, v11, v12
	v_cndmask_b32_e32 v8, v8, v10, vcc_lo
	v_cndmask_b32_e32 v4, v13, v4, vcc_lo
	v_cmp_ge_u32_e32 vcc_lo, v4, v8
	s_or_b32 s1, vcc_lo, s1
	s_andn2_b32 exec_lo, exec_lo, s1
	s_cbranch_execnz .LBB162_13
; %bb.14:
	s_or_b32 exec_lo, exec_lo, s1
.LBB162_15:
	s_or_b32 exec_lo, exec_lo, s0
	v_sub_nc_u32_e32 v7, v7, v4
	v_cmp_ge_u32_e32 vcc_lo, s5, v4
	v_add_nc_u32_e32 v8, s5, v7
	v_cmp_le_u32_e64 s0, v8, v6
	s_or_b32 s0, vcc_lo, s0
	s_and_saveexec_b32 s1, s0
	s_cbranch_execz .LBB162_27
; %bb.16:
	s_mov_b32 s6, exec_lo
	v_cmp_le_u32_e32 vcc_lo, s5, v4
                                        ; implicit-def: $vgpr3
	v_cmpx_gt_u32_e64 s5, v4
; %bb.17:
	v_lshlrev_b32_e32 v2, 2, v4
	ds_read_b32 v3, v2
; %bb.18:
	s_or_b32 exec_lo, exec_lo, s6
	v_cmp_ge_u32_e64 s6, v8, v6
	s_mov_b32 s7, exec_lo
                                        ; implicit-def: $vgpr7
	v_cmpx_lt_u32_e64 v8, v6
; %bb.19:
	v_lshlrev_b32_e32 v2, 2, v8
	ds_read_b32 v7, v2
; %bb.20:
	s_or_b32 exec_lo, exec_lo, s7
	s_nor_b32 s7, vcc_lo, s6
	s_and_saveexec_b32 s0, s7
	s_cbranch_execz .LBB162_22
; %bb.21:
	s_waitcnt lgkmcnt(0)
	v_mul_hi_i32 v2, 0x66666667, v7
	v_mul_hi_i32 v9, 0x66666667, v3
	s_andn2_b32 s6, s6, exec_lo
	v_lshrrev_b32_e32 v10, 31, v2
	v_ashrrev_i32_e32 v2, 2, v2
	v_lshrrev_b32_e32 v11, 31, v9
	v_ashrrev_i32_e32 v9, 2, v9
	v_add_nc_u32_e32 v2, v2, v10
	v_add_nc_u32_e32 v9, v9, v11
	v_cmp_ge_i32_e32 vcc_lo, v2, v9
	s_and_b32 s7, vcc_lo, exec_lo
	s_or_b32 s6, s6, s7
.LBB162_22:
	s_or_b32 exec_lo, exec_lo, s0
	v_cndmask_b32_e64 v2, v8, v4, s6
	v_cndmask_b32_e64 v10, v6, s5, s6
	s_mov_b32 s0, exec_lo
	v_add_nc_u32_e32 v9, 1, v2
	v_add_nc_u32_e32 v2, -1, v10
	v_cndmask_b32_e64 v8, v9, v8, s6
	v_min_u32_e32 v2, v9, v2
	v_lshlrev_b32_e32 v2, 2, v2
	ds_read_b32 v10, v2
	s_waitcnt lgkmcnt(0)
	v_cndmask_b32_e64 v2, v3, v10, s6
	v_cmpx_lt_u32_e64 v8, v6
	s_cbranch_execz .LBB162_26
; %bb.23:
	v_cndmask_b32_e64 v6, v4, v9, s6
	v_cndmask_b32_e64 v4, v10, v7, s6
	v_cmp_gt_u32_e32 vcc_lo, s5, v6
	s_and_saveexec_b32 s5, vcc_lo
	s_cbranch_execz .LBB162_25
; %bb.24:
	v_mul_hi_i32 v6, 0x66666667, v4
	v_mul_hi_i32 v8, 0x66666667, v2
	v_lshrrev_b32_e32 v9, 31, v6
	v_ashrrev_i32_e32 v6, 2, v6
	v_lshrrev_b32_e32 v10, 31, v8
	v_ashrrev_i32_e32 v8, 2, v8
	v_add_nc_u32_e32 v6, v6, v9
	v_add_nc_u32_e32 v8, v8, v10
	v_cmp_lt_i32_e32 vcc_lo, v6, v8
	v_cndmask_b32_e32 v4, v2, v4, vcc_lo
.LBB162_25:
	s_or_b32 exec_lo, exec_lo, s5
	v_mov_b32_e32 v2, v4
.LBB162_26:
	s_or_b32 exec_lo, exec_lo, s0
	v_cndmask_b32_e64 v3, v7, v3, s6
.LBB162_27:
	s_or_b32 exec_lo, exec_lo, s1
	v_lshrrev_b32_e32 v6, 2, v0
	v_or_b32_e32 v4, 0x200, v0
	v_lshrrev_b32_e32 v7, 3, v0
	s_lshl_b64 s[0:1], s[16:17], 2
	v_and_b32_e32 v6, 0x7c, v6
	v_lshrrev_b32_e32 v8, 3, v4
	s_add_u32 s0, s2, s0
	s_barrier
	buffer_gl0_inv
	v_lshl_add_u32 v1, v1, 2, v6
	v_and_b32_e32 v6, 60, v7
	v_and_b32_e32 v7, 0x7c, v8
	s_barrier
	buffer_gl0_inv
	s_addc_u32 s1, s3, s1
	ds_write2_b32 v1, v3, v2 offset1:1
	v_add_co_u32 v1, s0, s0, v5
	v_add_nc_u32_e32 v6, v6, v5
	v_add_nc_u32_e32 v7, v7, v5
	v_add_co_ci_u32_e64 v2, null, s1, 0, s0
	s_and_b32 vcc_lo, exec_lo, s4
	s_waitcnt lgkmcnt(0)
	s_cbranch_vccz .LBB162_29
; %bb.28:
	s_barrier
	buffer_gl0_inv
	ds_read_b32 v5, v6
	ds_read_b32 v3, v7 offset:2048
	s_mov_b32 s0, -1
	s_waitcnt lgkmcnt(1)
	global_store_dword v[1:2], v5, off
	s_cbranch_execz .LBB162_30
	s_branch .LBB162_33
.LBB162_29:
	s_mov_b32 s0, 0
                                        ; implicit-def: $vgpr3
.LBB162_30:
	s_barrier
	s_waitcnt lgkmcnt(0)
	s_waitcnt_vscnt null, 0x0
	buffer_gl0_inv
	ds_read_b32 v3, v7 offset:2048
	s_sub_i32 s0, s8, s16
	s_mov_b32 s1, exec_lo
	v_cmpx_gt_u32_e64 s0, v0
	s_cbranch_execz .LBB162_32
; %bb.31:
	ds_read_b32 v0, v6
	s_waitcnt lgkmcnt(0)
	global_store_dword v[1:2], v0, off
.LBB162_32:
	s_or_b32 exec_lo, exec_lo, s1
	v_cmp_gt_u32_e64 s0, s0, v4
.LBB162_33:
	s_and_saveexec_b32 s1, s0
	s_cbranch_execz .LBB162_35
; %bb.34:
	v_add_co_u32 v0, vcc_lo, 0x800, v1
	v_add_co_ci_u32_e64 v1, null, 0, v2, vcc_lo
	s_waitcnt lgkmcnt(0)
	global_store_dword v[0:1], v3, off
.LBB162_35:
	s_endpgm
	.section	.rodata,"a",@progbits
	.p2align	6, 0x0
	.amdhsa_kernel _ZN7rocprim17ROCPRIM_400000_NS6detail17trampoline_kernelINS0_14default_configENS1_38merge_sort_block_merge_config_selectorIjNS0_10empty_typeEEEZZNS1_27merge_sort_block_merge_implIS3_N6thrust23THRUST_200600_302600_NS6detail15normal_iteratorINS9_10device_ptrIjEEEEPS5_m11less_div_10IjEEE10hipError_tT0_T1_T2_jT3_P12ihipStream_tbPNSt15iterator_traitsISJ_E10value_typeEPNSP_ISK_E10value_typeEPSL_NS1_7vsmem_tEENKUlT_SJ_SK_SL_E_clIPjSE_SF_SF_EESI_SY_SJ_SK_SL_EUlSY_E0_NS1_11comp_targetILNS1_3genE8ELNS1_11target_archE1030ELNS1_3gpuE2ELNS1_3repE0EEENS1_38merge_mergepath_config_static_selectorELNS0_4arch9wavefront6targetE0EEEvSK_
		.amdhsa_group_segment_fixed_size 4224
		.amdhsa_private_segment_fixed_size 0
		.amdhsa_kernarg_size 328
		.amdhsa_user_sgpr_count 6
		.amdhsa_user_sgpr_private_segment_buffer 1
		.amdhsa_user_sgpr_dispatch_ptr 0
		.amdhsa_user_sgpr_queue_ptr 0
		.amdhsa_user_sgpr_kernarg_segment_ptr 1
		.amdhsa_user_sgpr_dispatch_id 0
		.amdhsa_user_sgpr_flat_scratch_init 0
		.amdhsa_user_sgpr_private_segment_size 0
		.amdhsa_wavefront_size32 1
		.amdhsa_uses_dynamic_stack 0
		.amdhsa_system_sgpr_private_segment_wavefront_offset 0
		.amdhsa_system_sgpr_workgroup_id_x 1
		.amdhsa_system_sgpr_workgroup_id_y 1
		.amdhsa_system_sgpr_workgroup_id_z 1
		.amdhsa_system_sgpr_workgroup_info 0
		.amdhsa_system_vgpr_workitem_id 0
		.amdhsa_next_free_vgpr 15
		.amdhsa_next_free_sgpr 31
		.amdhsa_reserve_vcc 1
		.amdhsa_reserve_flat_scratch 0
		.amdhsa_float_round_mode_32 0
		.amdhsa_float_round_mode_16_64 0
		.amdhsa_float_denorm_mode_32 3
		.amdhsa_float_denorm_mode_16_64 3
		.amdhsa_dx10_clamp 1
		.amdhsa_ieee_mode 1
		.amdhsa_fp16_overflow 0
		.amdhsa_workgroup_processor_mode 1
		.amdhsa_memory_ordered 1
		.amdhsa_forward_progress 1
		.amdhsa_shared_vgpr_count 0
		.amdhsa_exception_fp_ieee_invalid_op 0
		.amdhsa_exception_fp_denorm_src 0
		.amdhsa_exception_fp_ieee_div_zero 0
		.amdhsa_exception_fp_ieee_overflow 0
		.amdhsa_exception_fp_ieee_underflow 0
		.amdhsa_exception_fp_ieee_inexact 0
		.amdhsa_exception_int_div_zero 0
	.end_amdhsa_kernel
	.section	.text._ZN7rocprim17ROCPRIM_400000_NS6detail17trampoline_kernelINS0_14default_configENS1_38merge_sort_block_merge_config_selectorIjNS0_10empty_typeEEEZZNS1_27merge_sort_block_merge_implIS3_N6thrust23THRUST_200600_302600_NS6detail15normal_iteratorINS9_10device_ptrIjEEEEPS5_m11less_div_10IjEEE10hipError_tT0_T1_T2_jT3_P12ihipStream_tbPNSt15iterator_traitsISJ_E10value_typeEPNSP_ISK_E10value_typeEPSL_NS1_7vsmem_tEENKUlT_SJ_SK_SL_E_clIPjSE_SF_SF_EESI_SY_SJ_SK_SL_EUlSY_E0_NS1_11comp_targetILNS1_3genE8ELNS1_11target_archE1030ELNS1_3gpuE2ELNS1_3repE0EEENS1_38merge_mergepath_config_static_selectorELNS0_4arch9wavefront6targetE0EEEvSK_,"axG",@progbits,_ZN7rocprim17ROCPRIM_400000_NS6detail17trampoline_kernelINS0_14default_configENS1_38merge_sort_block_merge_config_selectorIjNS0_10empty_typeEEEZZNS1_27merge_sort_block_merge_implIS3_N6thrust23THRUST_200600_302600_NS6detail15normal_iteratorINS9_10device_ptrIjEEEEPS5_m11less_div_10IjEEE10hipError_tT0_T1_T2_jT3_P12ihipStream_tbPNSt15iterator_traitsISJ_E10value_typeEPNSP_ISK_E10value_typeEPSL_NS1_7vsmem_tEENKUlT_SJ_SK_SL_E_clIPjSE_SF_SF_EESI_SY_SJ_SK_SL_EUlSY_E0_NS1_11comp_targetILNS1_3genE8ELNS1_11target_archE1030ELNS1_3gpuE2ELNS1_3repE0EEENS1_38merge_mergepath_config_static_selectorELNS0_4arch9wavefront6targetE0EEEvSK_,comdat
.Lfunc_end162:
	.size	_ZN7rocprim17ROCPRIM_400000_NS6detail17trampoline_kernelINS0_14default_configENS1_38merge_sort_block_merge_config_selectorIjNS0_10empty_typeEEEZZNS1_27merge_sort_block_merge_implIS3_N6thrust23THRUST_200600_302600_NS6detail15normal_iteratorINS9_10device_ptrIjEEEEPS5_m11less_div_10IjEEE10hipError_tT0_T1_T2_jT3_P12ihipStream_tbPNSt15iterator_traitsISJ_E10value_typeEPNSP_ISK_E10value_typeEPSL_NS1_7vsmem_tEENKUlT_SJ_SK_SL_E_clIPjSE_SF_SF_EESI_SY_SJ_SK_SL_EUlSY_E0_NS1_11comp_targetILNS1_3genE8ELNS1_11target_archE1030ELNS1_3gpuE2ELNS1_3repE0EEENS1_38merge_mergepath_config_static_selectorELNS0_4arch9wavefront6targetE0EEEvSK_, .Lfunc_end162-_ZN7rocprim17ROCPRIM_400000_NS6detail17trampoline_kernelINS0_14default_configENS1_38merge_sort_block_merge_config_selectorIjNS0_10empty_typeEEEZZNS1_27merge_sort_block_merge_implIS3_N6thrust23THRUST_200600_302600_NS6detail15normal_iteratorINS9_10device_ptrIjEEEEPS5_m11less_div_10IjEEE10hipError_tT0_T1_T2_jT3_P12ihipStream_tbPNSt15iterator_traitsISJ_E10value_typeEPNSP_ISK_E10value_typeEPSL_NS1_7vsmem_tEENKUlT_SJ_SK_SL_E_clIPjSE_SF_SF_EESI_SY_SJ_SK_SL_EUlSY_E0_NS1_11comp_targetILNS1_3genE8ELNS1_11target_archE1030ELNS1_3gpuE2ELNS1_3repE0EEENS1_38merge_mergepath_config_static_selectorELNS0_4arch9wavefront6targetE0EEEvSK_
                                        ; -- End function
	.set _ZN7rocprim17ROCPRIM_400000_NS6detail17trampoline_kernelINS0_14default_configENS1_38merge_sort_block_merge_config_selectorIjNS0_10empty_typeEEEZZNS1_27merge_sort_block_merge_implIS3_N6thrust23THRUST_200600_302600_NS6detail15normal_iteratorINS9_10device_ptrIjEEEEPS5_m11less_div_10IjEEE10hipError_tT0_T1_T2_jT3_P12ihipStream_tbPNSt15iterator_traitsISJ_E10value_typeEPNSP_ISK_E10value_typeEPSL_NS1_7vsmem_tEENKUlT_SJ_SK_SL_E_clIPjSE_SF_SF_EESI_SY_SJ_SK_SL_EUlSY_E0_NS1_11comp_targetILNS1_3genE8ELNS1_11target_archE1030ELNS1_3gpuE2ELNS1_3repE0EEENS1_38merge_mergepath_config_static_selectorELNS0_4arch9wavefront6targetE0EEEvSK_.num_vgpr, 15
	.set _ZN7rocprim17ROCPRIM_400000_NS6detail17trampoline_kernelINS0_14default_configENS1_38merge_sort_block_merge_config_selectorIjNS0_10empty_typeEEEZZNS1_27merge_sort_block_merge_implIS3_N6thrust23THRUST_200600_302600_NS6detail15normal_iteratorINS9_10device_ptrIjEEEEPS5_m11less_div_10IjEEE10hipError_tT0_T1_T2_jT3_P12ihipStream_tbPNSt15iterator_traitsISJ_E10value_typeEPNSP_ISK_E10value_typeEPSL_NS1_7vsmem_tEENKUlT_SJ_SK_SL_E_clIPjSE_SF_SF_EESI_SY_SJ_SK_SL_EUlSY_E0_NS1_11comp_targetILNS1_3genE8ELNS1_11target_archE1030ELNS1_3gpuE2ELNS1_3repE0EEENS1_38merge_mergepath_config_static_selectorELNS0_4arch9wavefront6targetE0EEEvSK_.num_agpr, 0
	.set _ZN7rocprim17ROCPRIM_400000_NS6detail17trampoline_kernelINS0_14default_configENS1_38merge_sort_block_merge_config_selectorIjNS0_10empty_typeEEEZZNS1_27merge_sort_block_merge_implIS3_N6thrust23THRUST_200600_302600_NS6detail15normal_iteratorINS9_10device_ptrIjEEEEPS5_m11less_div_10IjEEE10hipError_tT0_T1_T2_jT3_P12ihipStream_tbPNSt15iterator_traitsISJ_E10value_typeEPNSP_ISK_E10value_typeEPSL_NS1_7vsmem_tEENKUlT_SJ_SK_SL_E_clIPjSE_SF_SF_EESI_SY_SJ_SK_SL_EUlSY_E0_NS1_11comp_targetILNS1_3genE8ELNS1_11target_archE1030ELNS1_3gpuE2ELNS1_3repE0EEENS1_38merge_mergepath_config_static_selectorELNS0_4arch9wavefront6targetE0EEEvSK_.numbered_sgpr, 31
	.set _ZN7rocprim17ROCPRIM_400000_NS6detail17trampoline_kernelINS0_14default_configENS1_38merge_sort_block_merge_config_selectorIjNS0_10empty_typeEEEZZNS1_27merge_sort_block_merge_implIS3_N6thrust23THRUST_200600_302600_NS6detail15normal_iteratorINS9_10device_ptrIjEEEEPS5_m11less_div_10IjEEE10hipError_tT0_T1_T2_jT3_P12ihipStream_tbPNSt15iterator_traitsISJ_E10value_typeEPNSP_ISK_E10value_typeEPSL_NS1_7vsmem_tEENKUlT_SJ_SK_SL_E_clIPjSE_SF_SF_EESI_SY_SJ_SK_SL_EUlSY_E0_NS1_11comp_targetILNS1_3genE8ELNS1_11target_archE1030ELNS1_3gpuE2ELNS1_3repE0EEENS1_38merge_mergepath_config_static_selectorELNS0_4arch9wavefront6targetE0EEEvSK_.num_named_barrier, 0
	.set _ZN7rocprim17ROCPRIM_400000_NS6detail17trampoline_kernelINS0_14default_configENS1_38merge_sort_block_merge_config_selectorIjNS0_10empty_typeEEEZZNS1_27merge_sort_block_merge_implIS3_N6thrust23THRUST_200600_302600_NS6detail15normal_iteratorINS9_10device_ptrIjEEEEPS5_m11less_div_10IjEEE10hipError_tT0_T1_T2_jT3_P12ihipStream_tbPNSt15iterator_traitsISJ_E10value_typeEPNSP_ISK_E10value_typeEPSL_NS1_7vsmem_tEENKUlT_SJ_SK_SL_E_clIPjSE_SF_SF_EESI_SY_SJ_SK_SL_EUlSY_E0_NS1_11comp_targetILNS1_3genE8ELNS1_11target_archE1030ELNS1_3gpuE2ELNS1_3repE0EEENS1_38merge_mergepath_config_static_selectorELNS0_4arch9wavefront6targetE0EEEvSK_.private_seg_size, 0
	.set _ZN7rocprim17ROCPRIM_400000_NS6detail17trampoline_kernelINS0_14default_configENS1_38merge_sort_block_merge_config_selectorIjNS0_10empty_typeEEEZZNS1_27merge_sort_block_merge_implIS3_N6thrust23THRUST_200600_302600_NS6detail15normal_iteratorINS9_10device_ptrIjEEEEPS5_m11less_div_10IjEEE10hipError_tT0_T1_T2_jT3_P12ihipStream_tbPNSt15iterator_traitsISJ_E10value_typeEPNSP_ISK_E10value_typeEPSL_NS1_7vsmem_tEENKUlT_SJ_SK_SL_E_clIPjSE_SF_SF_EESI_SY_SJ_SK_SL_EUlSY_E0_NS1_11comp_targetILNS1_3genE8ELNS1_11target_archE1030ELNS1_3gpuE2ELNS1_3repE0EEENS1_38merge_mergepath_config_static_selectorELNS0_4arch9wavefront6targetE0EEEvSK_.uses_vcc, 1
	.set _ZN7rocprim17ROCPRIM_400000_NS6detail17trampoline_kernelINS0_14default_configENS1_38merge_sort_block_merge_config_selectorIjNS0_10empty_typeEEEZZNS1_27merge_sort_block_merge_implIS3_N6thrust23THRUST_200600_302600_NS6detail15normal_iteratorINS9_10device_ptrIjEEEEPS5_m11less_div_10IjEEE10hipError_tT0_T1_T2_jT3_P12ihipStream_tbPNSt15iterator_traitsISJ_E10value_typeEPNSP_ISK_E10value_typeEPSL_NS1_7vsmem_tEENKUlT_SJ_SK_SL_E_clIPjSE_SF_SF_EESI_SY_SJ_SK_SL_EUlSY_E0_NS1_11comp_targetILNS1_3genE8ELNS1_11target_archE1030ELNS1_3gpuE2ELNS1_3repE0EEENS1_38merge_mergepath_config_static_selectorELNS0_4arch9wavefront6targetE0EEEvSK_.uses_flat_scratch, 0
	.set _ZN7rocprim17ROCPRIM_400000_NS6detail17trampoline_kernelINS0_14default_configENS1_38merge_sort_block_merge_config_selectorIjNS0_10empty_typeEEEZZNS1_27merge_sort_block_merge_implIS3_N6thrust23THRUST_200600_302600_NS6detail15normal_iteratorINS9_10device_ptrIjEEEEPS5_m11less_div_10IjEEE10hipError_tT0_T1_T2_jT3_P12ihipStream_tbPNSt15iterator_traitsISJ_E10value_typeEPNSP_ISK_E10value_typeEPSL_NS1_7vsmem_tEENKUlT_SJ_SK_SL_E_clIPjSE_SF_SF_EESI_SY_SJ_SK_SL_EUlSY_E0_NS1_11comp_targetILNS1_3genE8ELNS1_11target_archE1030ELNS1_3gpuE2ELNS1_3repE0EEENS1_38merge_mergepath_config_static_selectorELNS0_4arch9wavefront6targetE0EEEvSK_.has_dyn_sized_stack, 0
	.set _ZN7rocprim17ROCPRIM_400000_NS6detail17trampoline_kernelINS0_14default_configENS1_38merge_sort_block_merge_config_selectorIjNS0_10empty_typeEEEZZNS1_27merge_sort_block_merge_implIS3_N6thrust23THRUST_200600_302600_NS6detail15normal_iteratorINS9_10device_ptrIjEEEEPS5_m11less_div_10IjEEE10hipError_tT0_T1_T2_jT3_P12ihipStream_tbPNSt15iterator_traitsISJ_E10value_typeEPNSP_ISK_E10value_typeEPSL_NS1_7vsmem_tEENKUlT_SJ_SK_SL_E_clIPjSE_SF_SF_EESI_SY_SJ_SK_SL_EUlSY_E0_NS1_11comp_targetILNS1_3genE8ELNS1_11target_archE1030ELNS1_3gpuE2ELNS1_3repE0EEENS1_38merge_mergepath_config_static_selectorELNS0_4arch9wavefront6targetE0EEEvSK_.has_recursion, 0
	.set _ZN7rocprim17ROCPRIM_400000_NS6detail17trampoline_kernelINS0_14default_configENS1_38merge_sort_block_merge_config_selectorIjNS0_10empty_typeEEEZZNS1_27merge_sort_block_merge_implIS3_N6thrust23THRUST_200600_302600_NS6detail15normal_iteratorINS9_10device_ptrIjEEEEPS5_m11less_div_10IjEEE10hipError_tT0_T1_T2_jT3_P12ihipStream_tbPNSt15iterator_traitsISJ_E10value_typeEPNSP_ISK_E10value_typeEPSL_NS1_7vsmem_tEENKUlT_SJ_SK_SL_E_clIPjSE_SF_SF_EESI_SY_SJ_SK_SL_EUlSY_E0_NS1_11comp_targetILNS1_3genE8ELNS1_11target_archE1030ELNS1_3gpuE2ELNS1_3repE0EEENS1_38merge_mergepath_config_static_selectorELNS0_4arch9wavefront6targetE0EEEvSK_.has_indirect_call, 0
	.section	.AMDGPU.csdata,"",@progbits
; Kernel info:
; codeLenInByte = 1708
; TotalNumSgprs: 33
; NumVgprs: 15
; ScratchSize: 0
; MemoryBound: 0
; FloatMode: 240
; IeeeMode: 1
; LDSByteSize: 4224 bytes/workgroup (compile time only)
; SGPRBlocks: 0
; VGPRBlocks: 1
; NumSGPRsForWavesPerEU: 33
; NumVGPRsForWavesPerEU: 15
; Occupancy: 16
; WaveLimiterHint : 1
; COMPUTE_PGM_RSRC2:SCRATCH_EN: 0
; COMPUTE_PGM_RSRC2:USER_SGPR: 6
; COMPUTE_PGM_RSRC2:TRAP_HANDLER: 0
; COMPUTE_PGM_RSRC2:TGID_X_EN: 1
; COMPUTE_PGM_RSRC2:TGID_Y_EN: 1
; COMPUTE_PGM_RSRC2:TGID_Z_EN: 1
; COMPUTE_PGM_RSRC2:TIDIG_COMP_CNT: 0
	.section	.text._ZN7rocprim17ROCPRIM_400000_NS6detail17trampoline_kernelINS0_14default_configENS1_38merge_sort_block_merge_config_selectorIjNS0_10empty_typeEEEZZNS1_27merge_sort_block_merge_implIS3_N6thrust23THRUST_200600_302600_NS6detail15normal_iteratorINS9_10device_ptrIjEEEEPS5_m11less_div_10IjEEE10hipError_tT0_T1_T2_jT3_P12ihipStream_tbPNSt15iterator_traitsISJ_E10value_typeEPNSP_ISK_E10value_typeEPSL_NS1_7vsmem_tEENKUlT_SJ_SK_SL_E_clIPjSE_SF_SF_EESI_SY_SJ_SK_SL_EUlSY_E1_NS1_11comp_targetILNS1_3genE0ELNS1_11target_archE4294967295ELNS1_3gpuE0ELNS1_3repE0EEENS1_36merge_oddeven_config_static_selectorELNS0_4arch9wavefront6targetE0EEEvSK_,"axG",@progbits,_ZN7rocprim17ROCPRIM_400000_NS6detail17trampoline_kernelINS0_14default_configENS1_38merge_sort_block_merge_config_selectorIjNS0_10empty_typeEEEZZNS1_27merge_sort_block_merge_implIS3_N6thrust23THRUST_200600_302600_NS6detail15normal_iteratorINS9_10device_ptrIjEEEEPS5_m11less_div_10IjEEE10hipError_tT0_T1_T2_jT3_P12ihipStream_tbPNSt15iterator_traitsISJ_E10value_typeEPNSP_ISK_E10value_typeEPSL_NS1_7vsmem_tEENKUlT_SJ_SK_SL_E_clIPjSE_SF_SF_EESI_SY_SJ_SK_SL_EUlSY_E1_NS1_11comp_targetILNS1_3genE0ELNS1_11target_archE4294967295ELNS1_3gpuE0ELNS1_3repE0EEENS1_36merge_oddeven_config_static_selectorELNS0_4arch9wavefront6targetE0EEEvSK_,comdat
	.protected	_ZN7rocprim17ROCPRIM_400000_NS6detail17trampoline_kernelINS0_14default_configENS1_38merge_sort_block_merge_config_selectorIjNS0_10empty_typeEEEZZNS1_27merge_sort_block_merge_implIS3_N6thrust23THRUST_200600_302600_NS6detail15normal_iteratorINS9_10device_ptrIjEEEEPS5_m11less_div_10IjEEE10hipError_tT0_T1_T2_jT3_P12ihipStream_tbPNSt15iterator_traitsISJ_E10value_typeEPNSP_ISK_E10value_typeEPSL_NS1_7vsmem_tEENKUlT_SJ_SK_SL_E_clIPjSE_SF_SF_EESI_SY_SJ_SK_SL_EUlSY_E1_NS1_11comp_targetILNS1_3genE0ELNS1_11target_archE4294967295ELNS1_3gpuE0ELNS1_3repE0EEENS1_36merge_oddeven_config_static_selectorELNS0_4arch9wavefront6targetE0EEEvSK_ ; -- Begin function _ZN7rocprim17ROCPRIM_400000_NS6detail17trampoline_kernelINS0_14default_configENS1_38merge_sort_block_merge_config_selectorIjNS0_10empty_typeEEEZZNS1_27merge_sort_block_merge_implIS3_N6thrust23THRUST_200600_302600_NS6detail15normal_iteratorINS9_10device_ptrIjEEEEPS5_m11less_div_10IjEEE10hipError_tT0_T1_T2_jT3_P12ihipStream_tbPNSt15iterator_traitsISJ_E10value_typeEPNSP_ISK_E10value_typeEPSL_NS1_7vsmem_tEENKUlT_SJ_SK_SL_E_clIPjSE_SF_SF_EESI_SY_SJ_SK_SL_EUlSY_E1_NS1_11comp_targetILNS1_3genE0ELNS1_11target_archE4294967295ELNS1_3gpuE0ELNS1_3repE0EEENS1_36merge_oddeven_config_static_selectorELNS0_4arch9wavefront6targetE0EEEvSK_
	.globl	_ZN7rocprim17ROCPRIM_400000_NS6detail17trampoline_kernelINS0_14default_configENS1_38merge_sort_block_merge_config_selectorIjNS0_10empty_typeEEEZZNS1_27merge_sort_block_merge_implIS3_N6thrust23THRUST_200600_302600_NS6detail15normal_iteratorINS9_10device_ptrIjEEEEPS5_m11less_div_10IjEEE10hipError_tT0_T1_T2_jT3_P12ihipStream_tbPNSt15iterator_traitsISJ_E10value_typeEPNSP_ISK_E10value_typeEPSL_NS1_7vsmem_tEENKUlT_SJ_SK_SL_E_clIPjSE_SF_SF_EESI_SY_SJ_SK_SL_EUlSY_E1_NS1_11comp_targetILNS1_3genE0ELNS1_11target_archE4294967295ELNS1_3gpuE0ELNS1_3repE0EEENS1_36merge_oddeven_config_static_selectorELNS0_4arch9wavefront6targetE0EEEvSK_
	.p2align	8
	.type	_ZN7rocprim17ROCPRIM_400000_NS6detail17trampoline_kernelINS0_14default_configENS1_38merge_sort_block_merge_config_selectorIjNS0_10empty_typeEEEZZNS1_27merge_sort_block_merge_implIS3_N6thrust23THRUST_200600_302600_NS6detail15normal_iteratorINS9_10device_ptrIjEEEEPS5_m11less_div_10IjEEE10hipError_tT0_T1_T2_jT3_P12ihipStream_tbPNSt15iterator_traitsISJ_E10value_typeEPNSP_ISK_E10value_typeEPSL_NS1_7vsmem_tEENKUlT_SJ_SK_SL_E_clIPjSE_SF_SF_EESI_SY_SJ_SK_SL_EUlSY_E1_NS1_11comp_targetILNS1_3genE0ELNS1_11target_archE4294967295ELNS1_3gpuE0ELNS1_3repE0EEENS1_36merge_oddeven_config_static_selectorELNS0_4arch9wavefront6targetE0EEEvSK_,@function
_ZN7rocprim17ROCPRIM_400000_NS6detail17trampoline_kernelINS0_14default_configENS1_38merge_sort_block_merge_config_selectorIjNS0_10empty_typeEEEZZNS1_27merge_sort_block_merge_implIS3_N6thrust23THRUST_200600_302600_NS6detail15normal_iteratorINS9_10device_ptrIjEEEEPS5_m11less_div_10IjEEE10hipError_tT0_T1_T2_jT3_P12ihipStream_tbPNSt15iterator_traitsISJ_E10value_typeEPNSP_ISK_E10value_typeEPSL_NS1_7vsmem_tEENKUlT_SJ_SK_SL_E_clIPjSE_SF_SF_EESI_SY_SJ_SK_SL_EUlSY_E1_NS1_11comp_targetILNS1_3genE0ELNS1_11target_archE4294967295ELNS1_3gpuE0ELNS1_3repE0EEENS1_36merge_oddeven_config_static_selectorELNS0_4arch9wavefront6targetE0EEEvSK_: ; @_ZN7rocprim17ROCPRIM_400000_NS6detail17trampoline_kernelINS0_14default_configENS1_38merge_sort_block_merge_config_selectorIjNS0_10empty_typeEEEZZNS1_27merge_sort_block_merge_implIS3_N6thrust23THRUST_200600_302600_NS6detail15normal_iteratorINS9_10device_ptrIjEEEEPS5_m11less_div_10IjEEE10hipError_tT0_T1_T2_jT3_P12ihipStream_tbPNSt15iterator_traitsISJ_E10value_typeEPNSP_ISK_E10value_typeEPSL_NS1_7vsmem_tEENKUlT_SJ_SK_SL_E_clIPjSE_SF_SF_EESI_SY_SJ_SK_SL_EUlSY_E1_NS1_11comp_targetILNS1_3genE0ELNS1_11target_archE4294967295ELNS1_3gpuE0ELNS1_3repE0EEENS1_36merge_oddeven_config_static_selectorELNS0_4arch9wavefront6targetE0EEEvSK_
; %bb.0:
	.section	.rodata,"a",@progbits
	.p2align	6, 0x0
	.amdhsa_kernel _ZN7rocprim17ROCPRIM_400000_NS6detail17trampoline_kernelINS0_14default_configENS1_38merge_sort_block_merge_config_selectorIjNS0_10empty_typeEEEZZNS1_27merge_sort_block_merge_implIS3_N6thrust23THRUST_200600_302600_NS6detail15normal_iteratorINS9_10device_ptrIjEEEEPS5_m11less_div_10IjEEE10hipError_tT0_T1_T2_jT3_P12ihipStream_tbPNSt15iterator_traitsISJ_E10value_typeEPNSP_ISK_E10value_typeEPSL_NS1_7vsmem_tEENKUlT_SJ_SK_SL_E_clIPjSE_SF_SF_EESI_SY_SJ_SK_SL_EUlSY_E1_NS1_11comp_targetILNS1_3genE0ELNS1_11target_archE4294967295ELNS1_3gpuE0ELNS1_3repE0EEENS1_36merge_oddeven_config_static_selectorELNS0_4arch9wavefront6targetE0EEEvSK_
		.amdhsa_group_segment_fixed_size 0
		.amdhsa_private_segment_fixed_size 0
		.amdhsa_kernarg_size 56
		.amdhsa_user_sgpr_count 6
		.amdhsa_user_sgpr_private_segment_buffer 1
		.amdhsa_user_sgpr_dispatch_ptr 0
		.amdhsa_user_sgpr_queue_ptr 0
		.amdhsa_user_sgpr_kernarg_segment_ptr 1
		.amdhsa_user_sgpr_dispatch_id 0
		.amdhsa_user_sgpr_flat_scratch_init 0
		.amdhsa_user_sgpr_private_segment_size 0
		.amdhsa_wavefront_size32 1
		.amdhsa_uses_dynamic_stack 0
		.amdhsa_system_sgpr_private_segment_wavefront_offset 0
		.amdhsa_system_sgpr_workgroup_id_x 1
		.amdhsa_system_sgpr_workgroup_id_y 0
		.amdhsa_system_sgpr_workgroup_id_z 0
		.amdhsa_system_sgpr_workgroup_info 0
		.amdhsa_system_vgpr_workitem_id 0
		.amdhsa_next_free_vgpr 1
		.amdhsa_next_free_sgpr 1
		.amdhsa_reserve_vcc 0
		.amdhsa_reserve_flat_scratch 0
		.amdhsa_float_round_mode_32 0
		.amdhsa_float_round_mode_16_64 0
		.amdhsa_float_denorm_mode_32 3
		.amdhsa_float_denorm_mode_16_64 3
		.amdhsa_dx10_clamp 1
		.amdhsa_ieee_mode 1
		.amdhsa_fp16_overflow 0
		.amdhsa_workgroup_processor_mode 1
		.amdhsa_memory_ordered 1
		.amdhsa_forward_progress 1
		.amdhsa_shared_vgpr_count 0
		.amdhsa_exception_fp_ieee_invalid_op 0
		.amdhsa_exception_fp_denorm_src 0
		.amdhsa_exception_fp_ieee_div_zero 0
		.amdhsa_exception_fp_ieee_overflow 0
		.amdhsa_exception_fp_ieee_underflow 0
		.amdhsa_exception_fp_ieee_inexact 0
		.amdhsa_exception_int_div_zero 0
	.end_amdhsa_kernel
	.section	.text._ZN7rocprim17ROCPRIM_400000_NS6detail17trampoline_kernelINS0_14default_configENS1_38merge_sort_block_merge_config_selectorIjNS0_10empty_typeEEEZZNS1_27merge_sort_block_merge_implIS3_N6thrust23THRUST_200600_302600_NS6detail15normal_iteratorINS9_10device_ptrIjEEEEPS5_m11less_div_10IjEEE10hipError_tT0_T1_T2_jT3_P12ihipStream_tbPNSt15iterator_traitsISJ_E10value_typeEPNSP_ISK_E10value_typeEPSL_NS1_7vsmem_tEENKUlT_SJ_SK_SL_E_clIPjSE_SF_SF_EESI_SY_SJ_SK_SL_EUlSY_E1_NS1_11comp_targetILNS1_3genE0ELNS1_11target_archE4294967295ELNS1_3gpuE0ELNS1_3repE0EEENS1_36merge_oddeven_config_static_selectorELNS0_4arch9wavefront6targetE0EEEvSK_,"axG",@progbits,_ZN7rocprim17ROCPRIM_400000_NS6detail17trampoline_kernelINS0_14default_configENS1_38merge_sort_block_merge_config_selectorIjNS0_10empty_typeEEEZZNS1_27merge_sort_block_merge_implIS3_N6thrust23THRUST_200600_302600_NS6detail15normal_iteratorINS9_10device_ptrIjEEEEPS5_m11less_div_10IjEEE10hipError_tT0_T1_T2_jT3_P12ihipStream_tbPNSt15iterator_traitsISJ_E10value_typeEPNSP_ISK_E10value_typeEPSL_NS1_7vsmem_tEENKUlT_SJ_SK_SL_E_clIPjSE_SF_SF_EESI_SY_SJ_SK_SL_EUlSY_E1_NS1_11comp_targetILNS1_3genE0ELNS1_11target_archE4294967295ELNS1_3gpuE0ELNS1_3repE0EEENS1_36merge_oddeven_config_static_selectorELNS0_4arch9wavefront6targetE0EEEvSK_,comdat
.Lfunc_end163:
	.size	_ZN7rocprim17ROCPRIM_400000_NS6detail17trampoline_kernelINS0_14default_configENS1_38merge_sort_block_merge_config_selectorIjNS0_10empty_typeEEEZZNS1_27merge_sort_block_merge_implIS3_N6thrust23THRUST_200600_302600_NS6detail15normal_iteratorINS9_10device_ptrIjEEEEPS5_m11less_div_10IjEEE10hipError_tT0_T1_T2_jT3_P12ihipStream_tbPNSt15iterator_traitsISJ_E10value_typeEPNSP_ISK_E10value_typeEPSL_NS1_7vsmem_tEENKUlT_SJ_SK_SL_E_clIPjSE_SF_SF_EESI_SY_SJ_SK_SL_EUlSY_E1_NS1_11comp_targetILNS1_3genE0ELNS1_11target_archE4294967295ELNS1_3gpuE0ELNS1_3repE0EEENS1_36merge_oddeven_config_static_selectorELNS0_4arch9wavefront6targetE0EEEvSK_, .Lfunc_end163-_ZN7rocprim17ROCPRIM_400000_NS6detail17trampoline_kernelINS0_14default_configENS1_38merge_sort_block_merge_config_selectorIjNS0_10empty_typeEEEZZNS1_27merge_sort_block_merge_implIS3_N6thrust23THRUST_200600_302600_NS6detail15normal_iteratorINS9_10device_ptrIjEEEEPS5_m11less_div_10IjEEE10hipError_tT0_T1_T2_jT3_P12ihipStream_tbPNSt15iterator_traitsISJ_E10value_typeEPNSP_ISK_E10value_typeEPSL_NS1_7vsmem_tEENKUlT_SJ_SK_SL_E_clIPjSE_SF_SF_EESI_SY_SJ_SK_SL_EUlSY_E1_NS1_11comp_targetILNS1_3genE0ELNS1_11target_archE4294967295ELNS1_3gpuE0ELNS1_3repE0EEENS1_36merge_oddeven_config_static_selectorELNS0_4arch9wavefront6targetE0EEEvSK_
                                        ; -- End function
	.set _ZN7rocprim17ROCPRIM_400000_NS6detail17trampoline_kernelINS0_14default_configENS1_38merge_sort_block_merge_config_selectorIjNS0_10empty_typeEEEZZNS1_27merge_sort_block_merge_implIS3_N6thrust23THRUST_200600_302600_NS6detail15normal_iteratorINS9_10device_ptrIjEEEEPS5_m11less_div_10IjEEE10hipError_tT0_T1_T2_jT3_P12ihipStream_tbPNSt15iterator_traitsISJ_E10value_typeEPNSP_ISK_E10value_typeEPSL_NS1_7vsmem_tEENKUlT_SJ_SK_SL_E_clIPjSE_SF_SF_EESI_SY_SJ_SK_SL_EUlSY_E1_NS1_11comp_targetILNS1_3genE0ELNS1_11target_archE4294967295ELNS1_3gpuE0ELNS1_3repE0EEENS1_36merge_oddeven_config_static_selectorELNS0_4arch9wavefront6targetE0EEEvSK_.num_vgpr, 0
	.set _ZN7rocprim17ROCPRIM_400000_NS6detail17trampoline_kernelINS0_14default_configENS1_38merge_sort_block_merge_config_selectorIjNS0_10empty_typeEEEZZNS1_27merge_sort_block_merge_implIS3_N6thrust23THRUST_200600_302600_NS6detail15normal_iteratorINS9_10device_ptrIjEEEEPS5_m11less_div_10IjEEE10hipError_tT0_T1_T2_jT3_P12ihipStream_tbPNSt15iterator_traitsISJ_E10value_typeEPNSP_ISK_E10value_typeEPSL_NS1_7vsmem_tEENKUlT_SJ_SK_SL_E_clIPjSE_SF_SF_EESI_SY_SJ_SK_SL_EUlSY_E1_NS1_11comp_targetILNS1_3genE0ELNS1_11target_archE4294967295ELNS1_3gpuE0ELNS1_3repE0EEENS1_36merge_oddeven_config_static_selectorELNS0_4arch9wavefront6targetE0EEEvSK_.num_agpr, 0
	.set _ZN7rocprim17ROCPRIM_400000_NS6detail17trampoline_kernelINS0_14default_configENS1_38merge_sort_block_merge_config_selectorIjNS0_10empty_typeEEEZZNS1_27merge_sort_block_merge_implIS3_N6thrust23THRUST_200600_302600_NS6detail15normal_iteratorINS9_10device_ptrIjEEEEPS5_m11less_div_10IjEEE10hipError_tT0_T1_T2_jT3_P12ihipStream_tbPNSt15iterator_traitsISJ_E10value_typeEPNSP_ISK_E10value_typeEPSL_NS1_7vsmem_tEENKUlT_SJ_SK_SL_E_clIPjSE_SF_SF_EESI_SY_SJ_SK_SL_EUlSY_E1_NS1_11comp_targetILNS1_3genE0ELNS1_11target_archE4294967295ELNS1_3gpuE0ELNS1_3repE0EEENS1_36merge_oddeven_config_static_selectorELNS0_4arch9wavefront6targetE0EEEvSK_.numbered_sgpr, 0
	.set _ZN7rocprim17ROCPRIM_400000_NS6detail17trampoline_kernelINS0_14default_configENS1_38merge_sort_block_merge_config_selectorIjNS0_10empty_typeEEEZZNS1_27merge_sort_block_merge_implIS3_N6thrust23THRUST_200600_302600_NS6detail15normal_iteratorINS9_10device_ptrIjEEEEPS5_m11less_div_10IjEEE10hipError_tT0_T1_T2_jT3_P12ihipStream_tbPNSt15iterator_traitsISJ_E10value_typeEPNSP_ISK_E10value_typeEPSL_NS1_7vsmem_tEENKUlT_SJ_SK_SL_E_clIPjSE_SF_SF_EESI_SY_SJ_SK_SL_EUlSY_E1_NS1_11comp_targetILNS1_3genE0ELNS1_11target_archE4294967295ELNS1_3gpuE0ELNS1_3repE0EEENS1_36merge_oddeven_config_static_selectorELNS0_4arch9wavefront6targetE0EEEvSK_.num_named_barrier, 0
	.set _ZN7rocprim17ROCPRIM_400000_NS6detail17trampoline_kernelINS0_14default_configENS1_38merge_sort_block_merge_config_selectorIjNS0_10empty_typeEEEZZNS1_27merge_sort_block_merge_implIS3_N6thrust23THRUST_200600_302600_NS6detail15normal_iteratorINS9_10device_ptrIjEEEEPS5_m11less_div_10IjEEE10hipError_tT0_T1_T2_jT3_P12ihipStream_tbPNSt15iterator_traitsISJ_E10value_typeEPNSP_ISK_E10value_typeEPSL_NS1_7vsmem_tEENKUlT_SJ_SK_SL_E_clIPjSE_SF_SF_EESI_SY_SJ_SK_SL_EUlSY_E1_NS1_11comp_targetILNS1_3genE0ELNS1_11target_archE4294967295ELNS1_3gpuE0ELNS1_3repE0EEENS1_36merge_oddeven_config_static_selectorELNS0_4arch9wavefront6targetE0EEEvSK_.private_seg_size, 0
	.set _ZN7rocprim17ROCPRIM_400000_NS6detail17trampoline_kernelINS0_14default_configENS1_38merge_sort_block_merge_config_selectorIjNS0_10empty_typeEEEZZNS1_27merge_sort_block_merge_implIS3_N6thrust23THRUST_200600_302600_NS6detail15normal_iteratorINS9_10device_ptrIjEEEEPS5_m11less_div_10IjEEE10hipError_tT0_T1_T2_jT3_P12ihipStream_tbPNSt15iterator_traitsISJ_E10value_typeEPNSP_ISK_E10value_typeEPSL_NS1_7vsmem_tEENKUlT_SJ_SK_SL_E_clIPjSE_SF_SF_EESI_SY_SJ_SK_SL_EUlSY_E1_NS1_11comp_targetILNS1_3genE0ELNS1_11target_archE4294967295ELNS1_3gpuE0ELNS1_3repE0EEENS1_36merge_oddeven_config_static_selectorELNS0_4arch9wavefront6targetE0EEEvSK_.uses_vcc, 0
	.set _ZN7rocprim17ROCPRIM_400000_NS6detail17trampoline_kernelINS0_14default_configENS1_38merge_sort_block_merge_config_selectorIjNS0_10empty_typeEEEZZNS1_27merge_sort_block_merge_implIS3_N6thrust23THRUST_200600_302600_NS6detail15normal_iteratorINS9_10device_ptrIjEEEEPS5_m11less_div_10IjEEE10hipError_tT0_T1_T2_jT3_P12ihipStream_tbPNSt15iterator_traitsISJ_E10value_typeEPNSP_ISK_E10value_typeEPSL_NS1_7vsmem_tEENKUlT_SJ_SK_SL_E_clIPjSE_SF_SF_EESI_SY_SJ_SK_SL_EUlSY_E1_NS1_11comp_targetILNS1_3genE0ELNS1_11target_archE4294967295ELNS1_3gpuE0ELNS1_3repE0EEENS1_36merge_oddeven_config_static_selectorELNS0_4arch9wavefront6targetE0EEEvSK_.uses_flat_scratch, 0
	.set _ZN7rocprim17ROCPRIM_400000_NS6detail17trampoline_kernelINS0_14default_configENS1_38merge_sort_block_merge_config_selectorIjNS0_10empty_typeEEEZZNS1_27merge_sort_block_merge_implIS3_N6thrust23THRUST_200600_302600_NS6detail15normal_iteratorINS9_10device_ptrIjEEEEPS5_m11less_div_10IjEEE10hipError_tT0_T1_T2_jT3_P12ihipStream_tbPNSt15iterator_traitsISJ_E10value_typeEPNSP_ISK_E10value_typeEPSL_NS1_7vsmem_tEENKUlT_SJ_SK_SL_E_clIPjSE_SF_SF_EESI_SY_SJ_SK_SL_EUlSY_E1_NS1_11comp_targetILNS1_3genE0ELNS1_11target_archE4294967295ELNS1_3gpuE0ELNS1_3repE0EEENS1_36merge_oddeven_config_static_selectorELNS0_4arch9wavefront6targetE0EEEvSK_.has_dyn_sized_stack, 0
	.set _ZN7rocprim17ROCPRIM_400000_NS6detail17trampoline_kernelINS0_14default_configENS1_38merge_sort_block_merge_config_selectorIjNS0_10empty_typeEEEZZNS1_27merge_sort_block_merge_implIS3_N6thrust23THRUST_200600_302600_NS6detail15normal_iteratorINS9_10device_ptrIjEEEEPS5_m11less_div_10IjEEE10hipError_tT0_T1_T2_jT3_P12ihipStream_tbPNSt15iterator_traitsISJ_E10value_typeEPNSP_ISK_E10value_typeEPSL_NS1_7vsmem_tEENKUlT_SJ_SK_SL_E_clIPjSE_SF_SF_EESI_SY_SJ_SK_SL_EUlSY_E1_NS1_11comp_targetILNS1_3genE0ELNS1_11target_archE4294967295ELNS1_3gpuE0ELNS1_3repE0EEENS1_36merge_oddeven_config_static_selectorELNS0_4arch9wavefront6targetE0EEEvSK_.has_recursion, 0
	.set _ZN7rocprim17ROCPRIM_400000_NS6detail17trampoline_kernelINS0_14default_configENS1_38merge_sort_block_merge_config_selectorIjNS0_10empty_typeEEEZZNS1_27merge_sort_block_merge_implIS3_N6thrust23THRUST_200600_302600_NS6detail15normal_iteratorINS9_10device_ptrIjEEEEPS5_m11less_div_10IjEEE10hipError_tT0_T1_T2_jT3_P12ihipStream_tbPNSt15iterator_traitsISJ_E10value_typeEPNSP_ISK_E10value_typeEPSL_NS1_7vsmem_tEENKUlT_SJ_SK_SL_E_clIPjSE_SF_SF_EESI_SY_SJ_SK_SL_EUlSY_E1_NS1_11comp_targetILNS1_3genE0ELNS1_11target_archE4294967295ELNS1_3gpuE0ELNS1_3repE0EEENS1_36merge_oddeven_config_static_selectorELNS0_4arch9wavefront6targetE0EEEvSK_.has_indirect_call, 0
	.section	.AMDGPU.csdata,"",@progbits
; Kernel info:
; codeLenInByte = 0
; TotalNumSgprs: 0
; NumVgprs: 0
; ScratchSize: 0
; MemoryBound: 0
; FloatMode: 240
; IeeeMode: 1
; LDSByteSize: 0 bytes/workgroup (compile time only)
; SGPRBlocks: 0
; VGPRBlocks: 0
; NumSGPRsForWavesPerEU: 1
; NumVGPRsForWavesPerEU: 1
; Occupancy: 16
; WaveLimiterHint : 0
; COMPUTE_PGM_RSRC2:SCRATCH_EN: 0
; COMPUTE_PGM_RSRC2:USER_SGPR: 6
; COMPUTE_PGM_RSRC2:TRAP_HANDLER: 0
; COMPUTE_PGM_RSRC2:TGID_X_EN: 1
; COMPUTE_PGM_RSRC2:TGID_Y_EN: 0
; COMPUTE_PGM_RSRC2:TGID_Z_EN: 0
; COMPUTE_PGM_RSRC2:TIDIG_COMP_CNT: 0
	.section	.text._ZN7rocprim17ROCPRIM_400000_NS6detail17trampoline_kernelINS0_14default_configENS1_38merge_sort_block_merge_config_selectorIjNS0_10empty_typeEEEZZNS1_27merge_sort_block_merge_implIS3_N6thrust23THRUST_200600_302600_NS6detail15normal_iteratorINS9_10device_ptrIjEEEEPS5_m11less_div_10IjEEE10hipError_tT0_T1_T2_jT3_P12ihipStream_tbPNSt15iterator_traitsISJ_E10value_typeEPNSP_ISK_E10value_typeEPSL_NS1_7vsmem_tEENKUlT_SJ_SK_SL_E_clIPjSE_SF_SF_EESI_SY_SJ_SK_SL_EUlSY_E1_NS1_11comp_targetILNS1_3genE10ELNS1_11target_archE1201ELNS1_3gpuE5ELNS1_3repE0EEENS1_36merge_oddeven_config_static_selectorELNS0_4arch9wavefront6targetE0EEEvSK_,"axG",@progbits,_ZN7rocprim17ROCPRIM_400000_NS6detail17trampoline_kernelINS0_14default_configENS1_38merge_sort_block_merge_config_selectorIjNS0_10empty_typeEEEZZNS1_27merge_sort_block_merge_implIS3_N6thrust23THRUST_200600_302600_NS6detail15normal_iteratorINS9_10device_ptrIjEEEEPS5_m11less_div_10IjEEE10hipError_tT0_T1_T2_jT3_P12ihipStream_tbPNSt15iterator_traitsISJ_E10value_typeEPNSP_ISK_E10value_typeEPSL_NS1_7vsmem_tEENKUlT_SJ_SK_SL_E_clIPjSE_SF_SF_EESI_SY_SJ_SK_SL_EUlSY_E1_NS1_11comp_targetILNS1_3genE10ELNS1_11target_archE1201ELNS1_3gpuE5ELNS1_3repE0EEENS1_36merge_oddeven_config_static_selectorELNS0_4arch9wavefront6targetE0EEEvSK_,comdat
	.protected	_ZN7rocprim17ROCPRIM_400000_NS6detail17trampoline_kernelINS0_14default_configENS1_38merge_sort_block_merge_config_selectorIjNS0_10empty_typeEEEZZNS1_27merge_sort_block_merge_implIS3_N6thrust23THRUST_200600_302600_NS6detail15normal_iteratorINS9_10device_ptrIjEEEEPS5_m11less_div_10IjEEE10hipError_tT0_T1_T2_jT3_P12ihipStream_tbPNSt15iterator_traitsISJ_E10value_typeEPNSP_ISK_E10value_typeEPSL_NS1_7vsmem_tEENKUlT_SJ_SK_SL_E_clIPjSE_SF_SF_EESI_SY_SJ_SK_SL_EUlSY_E1_NS1_11comp_targetILNS1_3genE10ELNS1_11target_archE1201ELNS1_3gpuE5ELNS1_3repE0EEENS1_36merge_oddeven_config_static_selectorELNS0_4arch9wavefront6targetE0EEEvSK_ ; -- Begin function _ZN7rocprim17ROCPRIM_400000_NS6detail17trampoline_kernelINS0_14default_configENS1_38merge_sort_block_merge_config_selectorIjNS0_10empty_typeEEEZZNS1_27merge_sort_block_merge_implIS3_N6thrust23THRUST_200600_302600_NS6detail15normal_iteratorINS9_10device_ptrIjEEEEPS5_m11less_div_10IjEEE10hipError_tT0_T1_T2_jT3_P12ihipStream_tbPNSt15iterator_traitsISJ_E10value_typeEPNSP_ISK_E10value_typeEPSL_NS1_7vsmem_tEENKUlT_SJ_SK_SL_E_clIPjSE_SF_SF_EESI_SY_SJ_SK_SL_EUlSY_E1_NS1_11comp_targetILNS1_3genE10ELNS1_11target_archE1201ELNS1_3gpuE5ELNS1_3repE0EEENS1_36merge_oddeven_config_static_selectorELNS0_4arch9wavefront6targetE0EEEvSK_
	.globl	_ZN7rocprim17ROCPRIM_400000_NS6detail17trampoline_kernelINS0_14default_configENS1_38merge_sort_block_merge_config_selectorIjNS0_10empty_typeEEEZZNS1_27merge_sort_block_merge_implIS3_N6thrust23THRUST_200600_302600_NS6detail15normal_iteratorINS9_10device_ptrIjEEEEPS5_m11less_div_10IjEEE10hipError_tT0_T1_T2_jT3_P12ihipStream_tbPNSt15iterator_traitsISJ_E10value_typeEPNSP_ISK_E10value_typeEPSL_NS1_7vsmem_tEENKUlT_SJ_SK_SL_E_clIPjSE_SF_SF_EESI_SY_SJ_SK_SL_EUlSY_E1_NS1_11comp_targetILNS1_3genE10ELNS1_11target_archE1201ELNS1_3gpuE5ELNS1_3repE0EEENS1_36merge_oddeven_config_static_selectorELNS0_4arch9wavefront6targetE0EEEvSK_
	.p2align	8
	.type	_ZN7rocprim17ROCPRIM_400000_NS6detail17trampoline_kernelINS0_14default_configENS1_38merge_sort_block_merge_config_selectorIjNS0_10empty_typeEEEZZNS1_27merge_sort_block_merge_implIS3_N6thrust23THRUST_200600_302600_NS6detail15normal_iteratorINS9_10device_ptrIjEEEEPS5_m11less_div_10IjEEE10hipError_tT0_T1_T2_jT3_P12ihipStream_tbPNSt15iterator_traitsISJ_E10value_typeEPNSP_ISK_E10value_typeEPSL_NS1_7vsmem_tEENKUlT_SJ_SK_SL_E_clIPjSE_SF_SF_EESI_SY_SJ_SK_SL_EUlSY_E1_NS1_11comp_targetILNS1_3genE10ELNS1_11target_archE1201ELNS1_3gpuE5ELNS1_3repE0EEENS1_36merge_oddeven_config_static_selectorELNS0_4arch9wavefront6targetE0EEEvSK_,@function
_ZN7rocprim17ROCPRIM_400000_NS6detail17trampoline_kernelINS0_14default_configENS1_38merge_sort_block_merge_config_selectorIjNS0_10empty_typeEEEZZNS1_27merge_sort_block_merge_implIS3_N6thrust23THRUST_200600_302600_NS6detail15normal_iteratorINS9_10device_ptrIjEEEEPS5_m11less_div_10IjEEE10hipError_tT0_T1_T2_jT3_P12ihipStream_tbPNSt15iterator_traitsISJ_E10value_typeEPNSP_ISK_E10value_typeEPSL_NS1_7vsmem_tEENKUlT_SJ_SK_SL_E_clIPjSE_SF_SF_EESI_SY_SJ_SK_SL_EUlSY_E1_NS1_11comp_targetILNS1_3genE10ELNS1_11target_archE1201ELNS1_3gpuE5ELNS1_3repE0EEENS1_36merge_oddeven_config_static_selectorELNS0_4arch9wavefront6targetE0EEEvSK_: ; @_ZN7rocprim17ROCPRIM_400000_NS6detail17trampoline_kernelINS0_14default_configENS1_38merge_sort_block_merge_config_selectorIjNS0_10empty_typeEEEZZNS1_27merge_sort_block_merge_implIS3_N6thrust23THRUST_200600_302600_NS6detail15normal_iteratorINS9_10device_ptrIjEEEEPS5_m11less_div_10IjEEE10hipError_tT0_T1_T2_jT3_P12ihipStream_tbPNSt15iterator_traitsISJ_E10value_typeEPNSP_ISK_E10value_typeEPSL_NS1_7vsmem_tEENKUlT_SJ_SK_SL_E_clIPjSE_SF_SF_EESI_SY_SJ_SK_SL_EUlSY_E1_NS1_11comp_targetILNS1_3genE10ELNS1_11target_archE1201ELNS1_3gpuE5ELNS1_3repE0EEENS1_36merge_oddeven_config_static_selectorELNS0_4arch9wavefront6targetE0EEEvSK_
; %bb.0:
	.section	.rodata,"a",@progbits
	.p2align	6, 0x0
	.amdhsa_kernel _ZN7rocprim17ROCPRIM_400000_NS6detail17trampoline_kernelINS0_14default_configENS1_38merge_sort_block_merge_config_selectorIjNS0_10empty_typeEEEZZNS1_27merge_sort_block_merge_implIS3_N6thrust23THRUST_200600_302600_NS6detail15normal_iteratorINS9_10device_ptrIjEEEEPS5_m11less_div_10IjEEE10hipError_tT0_T1_T2_jT3_P12ihipStream_tbPNSt15iterator_traitsISJ_E10value_typeEPNSP_ISK_E10value_typeEPSL_NS1_7vsmem_tEENKUlT_SJ_SK_SL_E_clIPjSE_SF_SF_EESI_SY_SJ_SK_SL_EUlSY_E1_NS1_11comp_targetILNS1_3genE10ELNS1_11target_archE1201ELNS1_3gpuE5ELNS1_3repE0EEENS1_36merge_oddeven_config_static_selectorELNS0_4arch9wavefront6targetE0EEEvSK_
		.amdhsa_group_segment_fixed_size 0
		.amdhsa_private_segment_fixed_size 0
		.amdhsa_kernarg_size 56
		.amdhsa_user_sgpr_count 6
		.amdhsa_user_sgpr_private_segment_buffer 1
		.amdhsa_user_sgpr_dispatch_ptr 0
		.amdhsa_user_sgpr_queue_ptr 0
		.amdhsa_user_sgpr_kernarg_segment_ptr 1
		.amdhsa_user_sgpr_dispatch_id 0
		.amdhsa_user_sgpr_flat_scratch_init 0
		.amdhsa_user_sgpr_private_segment_size 0
		.amdhsa_wavefront_size32 1
		.amdhsa_uses_dynamic_stack 0
		.amdhsa_system_sgpr_private_segment_wavefront_offset 0
		.amdhsa_system_sgpr_workgroup_id_x 1
		.amdhsa_system_sgpr_workgroup_id_y 0
		.amdhsa_system_sgpr_workgroup_id_z 0
		.amdhsa_system_sgpr_workgroup_info 0
		.amdhsa_system_vgpr_workitem_id 0
		.amdhsa_next_free_vgpr 1
		.amdhsa_next_free_sgpr 1
		.amdhsa_reserve_vcc 0
		.amdhsa_reserve_flat_scratch 0
		.amdhsa_float_round_mode_32 0
		.amdhsa_float_round_mode_16_64 0
		.amdhsa_float_denorm_mode_32 3
		.amdhsa_float_denorm_mode_16_64 3
		.amdhsa_dx10_clamp 1
		.amdhsa_ieee_mode 1
		.amdhsa_fp16_overflow 0
		.amdhsa_workgroup_processor_mode 1
		.amdhsa_memory_ordered 1
		.amdhsa_forward_progress 1
		.amdhsa_shared_vgpr_count 0
		.amdhsa_exception_fp_ieee_invalid_op 0
		.amdhsa_exception_fp_denorm_src 0
		.amdhsa_exception_fp_ieee_div_zero 0
		.amdhsa_exception_fp_ieee_overflow 0
		.amdhsa_exception_fp_ieee_underflow 0
		.amdhsa_exception_fp_ieee_inexact 0
		.amdhsa_exception_int_div_zero 0
	.end_amdhsa_kernel
	.section	.text._ZN7rocprim17ROCPRIM_400000_NS6detail17trampoline_kernelINS0_14default_configENS1_38merge_sort_block_merge_config_selectorIjNS0_10empty_typeEEEZZNS1_27merge_sort_block_merge_implIS3_N6thrust23THRUST_200600_302600_NS6detail15normal_iteratorINS9_10device_ptrIjEEEEPS5_m11less_div_10IjEEE10hipError_tT0_T1_T2_jT3_P12ihipStream_tbPNSt15iterator_traitsISJ_E10value_typeEPNSP_ISK_E10value_typeEPSL_NS1_7vsmem_tEENKUlT_SJ_SK_SL_E_clIPjSE_SF_SF_EESI_SY_SJ_SK_SL_EUlSY_E1_NS1_11comp_targetILNS1_3genE10ELNS1_11target_archE1201ELNS1_3gpuE5ELNS1_3repE0EEENS1_36merge_oddeven_config_static_selectorELNS0_4arch9wavefront6targetE0EEEvSK_,"axG",@progbits,_ZN7rocprim17ROCPRIM_400000_NS6detail17trampoline_kernelINS0_14default_configENS1_38merge_sort_block_merge_config_selectorIjNS0_10empty_typeEEEZZNS1_27merge_sort_block_merge_implIS3_N6thrust23THRUST_200600_302600_NS6detail15normal_iteratorINS9_10device_ptrIjEEEEPS5_m11less_div_10IjEEE10hipError_tT0_T1_T2_jT3_P12ihipStream_tbPNSt15iterator_traitsISJ_E10value_typeEPNSP_ISK_E10value_typeEPSL_NS1_7vsmem_tEENKUlT_SJ_SK_SL_E_clIPjSE_SF_SF_EESI_SY_SJ_SK_SL_EUlSY_E1_NS1_11comp_targetILNS1_3genE10ELNS1_11target_archE1201ELNS1_3gpuE5ELNS1_3repE0EEENS1_36merge_oddeven_config_static_selectorELNS0_4arch9wavefront6targetE0EEEvSK_,comdat
.Lfunc_end164:
	.size	_ZN7rocprim17ROCPRIM_400000_NS6detail17trampoline_kernelINS0_14default_configENS1_38merge_sort_block_merge_config_selectorIjNS0_10empty_typeEEEZZNS1_27merge_sort_block_merge_implIS3_N6thrust23THRUST_200600_302600_NS6detail15normal_iteratorINS9_10device_ptrIjEEEEPS5_m11less_div_10IjEEE10hipError_tT0_T1_T2_jT3_P12ihipStream_tbPNSt15iterator_traitsISJ_E10value_typeEPNSP_ISK_E10value_typeEPSL_NS1_7vsmem_tEENKUlT_SJ_SK_SL_E_clIPjSE_SF_SF_EESI_SY_SJ_SK_SL_EUlSY_E1_NS1_11comp_targetILNS1_3genE10ELNS1_11target_archE1201ELNS1_3gpuE5ELNS1_3repE0EEENS1_36merge_oddeven_config_static_selectorELNS0_4arch9wavefront6targetE0EEEvSK_, .Lfunc_end164-_ZN7rocprim17ROCPRIM_400000_NS6detail17trampoline_kernelINS0_14default_configENS1_38merge_sort_block_merge_config_selectorIjNS0_10empty_typeEEEZZNS1_27merge_sort_block_merge_implIS3_N6thrust23THRUST_200600_302600_NS6detail15normal_iteratorINS9_10device_ptrIjEEEEPS5_m11less_div_10IjEEE10hipError_tT0_T1_T2_jT3_P12ihipStream_tbPNSt15iterator_traitsISJ_E10value_typeEPNSP_ISK_E10value_typeEPSL_NS1_7vsmem_tEENKUlT_SJ_SK_SL_E_clIPjSE_SF_SF_EESI_SY_SJ_SK_SL_EUlSY_E1_NS1_11comp_targetILNS1_3genE10ELNS1_11target_archE1201ELNS1_3gpuE5ELNS1_3repE0EEENS1_36merge_oddeven_config_static_selectorELNS0_4arch9wavefront6targetE0EEEvSK_
                                        ; -- End function
	.set _ZN7rocprim17ROCPRIM_400000_NS6detail17trampoline_kernelINS0_14default_configENS1_38merge_sort_block_merge_config_selectorIjNS0_10empty_typeEEEZZNS1_27merge_sort_block_merge_implIS3_N6thrust23THRUST_200600_302600_NS6detail15normal_iteratorINS9_10device_ptrIjEEEEPS5_m11less_div_10IjEEE10hipError_tT0_T1_T2_jT3_P12ihipStream_tbPNSt15iterator_traitsISJ_E10value_typeEPNSP_ISK_E10value_typeEPSL_NS1_7vsmem_tEENKUlT_SJ_SK_SL_E_clIPjSE_SF_SF_EESI_SY_SJ_SK_SL_EUlSY_E1_NS1_11comp_targetILNS1_3genE10ELNS1_11target_archE1201ELNS1_3gpuE5ELNS1_3repE0EEENS1_36merge_oddeven_config_static_selectorELNS0_4arch9wavefront6targetE0EEEvSK_.num_vgpr, 0
	.set _ZN7rocprim17ROCPRIM_400000_NS6detail17trampoline_kernelINS0_14default_configENS1_38merge_sort_block_merge_config_selectorIjNS0_10empty_typeEEEZZNS1_27merge_sort_block_merge_implIS3_N6thrust23THRUST_200600_302600_NS6detail15normal_iteratorINS9_10device_ptrIjEEEEPS5_m11less_div_10IjEEE10hipError_tT0_T1_T2_jT3_P12ihipStream_tbPNSt15iterator_traitsISJ_E10value_typeEPNSP_ISK_E10value_typeEPSL_NS1_7vsmem_tEENKUlT_SJ_SK_SL_E_clIPjSE_SF_SF_EESI_SY_SJ_SK_SL_EUlSY_E1_NS1_11comp_targetILNS1_3genE10ELNS1_11target_archE1201ELNS1_3gpuE5ELNS1_3repE0EEENS1_36merge_oddeven_config_static_selectorELNS0_4arch9wavefront6targetE0EEEvSK_.num_agpr, 0
	.set _ZN7rocprim17ROCPRIM_400000_NS6detail17trampoline_kernelINS0_14default_configENS1_38merge_sort_block_merge_config_selectorIjNS0_10empty_typeEEEZZNS1_27merge_sort_block_merge_implIS3_N6thrust23THRUST_200600_302600_NS6detail15normal_iteratorINS9_10device_ptrIjEEEEPS5_m11less_div_10IjEEE10hipError_tT0_T1_T2_jT3_P12ihipStream_tbPNSt15iterator_traitsISJ_E10value_typeEPNSP_ISK_E10value_typeEPSL_NS1_7vsmem_tEENKUlT_SJ_SK_SL_E_clIPjSE_SF_SF_EESI_SY_SJ_SK_SL_EUlSY_E1_NS1_11comp_targetILNS1_3genE10ELNS1_11target_archE1201ELNS1_3gpuE5ELNS1_3repE0EEENS1_36merge_oddeven_config_static_selectorELNS0_4arch9wavefront6targetE0EEEvSK_.numbered_sgpr, 0
	.set _ZN7rocprim17ROCPRIM_400000_NS6detail17trampoline_kernelINS0_14default_configENS1_38merge_sort_block_merge_config_selectorIjNS0_10empty_typeEEEZZNS1_27merge_sort_block_merge_implIS3_N6thrust23THRUST_200600_302600_NS6detail15normal_iteratorINS9_10device_ptrIjEEEEPS5_m11less_div_10IjEEE10hipError_tT0_T1_T2_jT3_P12ihipStream_tbPNSt15iterator_traitsISJ_E10value_typeEPNSP_ISK_E10value_typeEPSL_NS1_7vsmem_tEENKUlT_SJ_SK_SL_E_clIPjSE_SF_SF_EESI_SY_SJ_SK_SL_EUlSY_E1_NS1_11comp_targetILNS1_3genE10ELNS1_11target_archE1201ELNS1_3gpuE5ELNS1_3repE0EEENS1_36merge_oddeven_config_static_selectorELNS0_4arch9wavefront6targetE0EEEvSK_.num_named_barrier, 0
	.set _ZN7rocprim17ROCPRIM_400000_NS6detail17trampoline_kernelINS0_14default_configENS1_38merge_sort_block_merge_config_selectorIjNS0_10empty_typeEEEZZNS1_27merge_sort_block_merge_implIS3_N6thrust23THRUST_200600_302600_NS6detail15normal_iteratorINS9_10device_ptrIjEEEEPS5_m11less_div_10IjEEE10hipError_tT0_T1_T2_jT3_P12ihipStream_tbPNSt15iterator_traitsISJ_E10value_typeEPNSP_ISK_E10value_typeEPSL_NS1_7vsmem_tEENKUlT_SJ_SK_SL_E_clIPjSE_SF_SF_EESI_SY_SJ_SK_SL_EUlSY_E1_NS1_11comp_targetILNS1_3genE10ELNS1_11target_archE1201ELNS1_3gpuE5ELNS1_3repE0EEENS1_36merge_oddeven_config_static_selectorELNS0_4arch9wavefront6targetE0EEEvSK_.private_seg_size, 0
	.set _ZN7rocprim17ROCPRIM_400000_NS6detail17trampoline_kernelINS0_14default_configENS1_38merge_sort_block_merge_config_selectorIjNS0_10empty_typeEEEZZNS1_27merge_sort_block_merge_implIS3_N6thrust23THRUST_200600_302600_NS6detail15normal_iteratorINS9_10device_ptrIjEEEEPS5_m11less_div_10IjEEE10hipError_tT0_T1_T2_jT3_P12ihipStream_tbPNSt15iterator_traitsISJ_E10value_typeEPNSP_ISK_E10value_typeEPSL_NS1_7vsmem_tEENKUlT_SJ_SK_SL_E_clIPjSE_SF_SF_EESI_SY_SJ_SK_SL_EUlSY_E1_NS1_11comp_targetILNS1_3genE10ELNS1_11target_archE1201ELNS1_3gpuE5ELNS1_3repE0EEENS1_36merge_oddeven_config_static_selectorELNS0_4arch9wavefront6targetE0EEEvSK_.uses_vcc, 0
	.set _ZN7rocprim17ROCPRIM_400000_NS6detail17trampoline_kernelINS0_14default_configENS1_38merge_sort_block_merge_config_selectorIjNS0_10empty_typeEEEZZNS1_27merge_sort_block_merge_implIS3_N6thrust23THRUST_200600_302600_NS6detail15normal_iteratorINS9_10device_ptrIjEEEEPS5_m11less_div_10IjEEE10hipError_tT0_T1_T2_jT3_P12ihipStream_tbPNSt15iterator_traitsISJ_E10value_typeEPNSP_ISK_E10value_typeEPSL_NS1_7vsmem_tEENKUlT_SJ_SK_SL_E_clIPjSE_SF_SF_EESI_SY_SJ_SK_SL_EUlSY_E1_NS1_11comp_targetILNS1_3genE10ELNS1_11target_archE1201ELNS1_3gpuE5ELNS1_3repE0EEENS1_36merge_oddeven_config_static_selectorELNS0_4arch9wavefront6targetE0EEEvSK_.uses_flat_scratch, 0
	.set _ZN7rocprim17ROCPRIM_400000_NS6detail17trampoline_kernelINS0_14default_configENS1_38merge_sort_block_merge_config_selectorIjNS0_10empty_typeEEEZZNS1_27merge_sort_block_merge_implIS3_N6thrust23THRUST_200600_302600_NS6detail15normal_iteratorINS9_10device_ptrIjEEEEPS5_m11less_div_10IjEEE10hipError_tT0_T1_T2_jT3_P12ihipStream_tbPNSt15iterator_traitsISJ_E10value_typeEPNSP_ISK_E10value_typeEPSL_NS1_7vsmem_tEENKUlT_SJ_SK_SL_E_clIPjSE_SF_SF_EESI_SY_SJ_SK_SL_EUlSY_E1_NS1_11comp_targetILNS1_3genE10ELNS1_11target_archE1201ELNS1_3gpuE5ELNS1_3repE0EEENS1_36merge_oddeven_config_static_selectorELNS0_4arch9wavefront6targetE0EEEvSK_.has_dyn_sized_stack, 0
	.set _ZN7rocprim17ROCPRIM_400000_NS6detail17trampoline_kernelINS0_14default_configENS1_38merge_sort_block_merge_config_selectorIjNS0_10empty_typeEEEZZNS1_27merge_sort_block_merge_implIS3_N6thrust23THRUST_200600_302600_NS6detail15normal_iteratorINS9_10device_ptrIjEEEEPS5_m11less_div_10IjEEE10hipError_tT0_T1_T2_jT3_P12ihipStream_tbPNSt15iterator_traitsISJ_E10value_typeEPNSP_ISK_E10value_typeEPSL_NS1_7vsmem_tEENKUlT_SJ_SK_SL_E_clIPjSE_SF_SF_EESI_SY_SJ_SK_SL_EUlSY_E1_NS1_11comp_targetILNS1_3genE10ELNS1_11target_archE1201ELNS1_3gpuE5ELNS1_3repE0EEENS1_36merge_oddeven_config_static_selectorELNS0_4arch9wavefront6targetE0EEEvSK_.has_recursion, 0
	.set _ZN7rocprim17ROCPRIM_400000_NS6detail17trampoline_kernelINS0_14default_configENS1_38merge_sort_block_merge_config_selectorIjNS0_10empty_typeEEEZZNS1_27merge_sort_block_merge_implIS3_N6thrust23THRUST_200600_302600_NS6detail15normal_iteratorINS9_10device_ptrIjEEEEPS5_m11less_div_10IjEEE10hipError_tT0_T1_T2_jT3_P12ihipStream_tbPNSt15iterator_traitsISJ_E10value_typeEPNSP_ISK_E10value_typeEPSL_NS1_7vsmem_tEENKUlT_SJ_SK_SL_E_clIPjSE_SF_SF_EESI_SY_SJ_SK_SL_EUlSY_E1_NS1_11comp_targetILNS1_3genE10ELNS1_11target_archE1201ELNS1_3gpuE5ELNS1_3repE0EEENS1_36merge_oddeven_config_static_selectorELNS0_4arch9wavefront6targetE0EEEvSK_.has_indirect_call, 0
	.section	.AMDGPU.csdata,"",@progbits
; Kernel info:
; codeLenInByte = 0
; TotalNumSgprs: 0
; NumVgprs: 0
; ScratchSize: 0
; MemoryBound: 0
; FloatMode: 240
; IeeeMode: 1
; LDSByteSize: 0 bytes/workgroup (compile time only)
; SGPRBlocks: 0
; VGPRBlocks: 0
; NumSGPRsForWavesPerEU: 1
; NumVGPRsForWavesPerEU: 1
; Occupancy: 16
; WaveLimiterHint : 0
; COMPUTE_PGM_RSRC2:SCRATCH_EN: 0
; COMPUTE_PGM_RSRC2:USER_SGPR: 6
; COMPUTE_PGM_RSRC2:TRAP_HANDLER: 0
; COMPUTE_PGM_RSRC2:TGID_X_EN: 1
; COMPUTE_PGM_RSRC2:TGID_Y_EN: 0
; COMPUTE_PGM_RSRC2:TGID_Z_EN: 0
; COMPUTE_PGM_RSRC2:TIDIG_COMP_CNT: 0
	.section	.text._ZN7rocprim17ROCPRIM_400000_NS6detail17trampoline_kernelINS0_14default_configENS1_38merge_sort_block_merge_config_selectorIjNS0_10empty_typeEEEZZNS1_27merge_sort_block_merge_implIS3_N6thrust23THRUST_200600_302600_NS6detail15normal_iteratorINS9_10device_ptrIjEEEEPS5_m11less_div_10IjEEE10hipError_tT0_T1_T2_jT3_P12ihipStream_tbPNSt15iterator_traitsISJ_E10value_typeEPNSP_ISK_E10value_typeEPSL_NS1_7vsmem_tEENKUlT_SJ_SK_SL_E_clIPjSE_SF_SF_EESI_SY_SJ_SK_SL_EUlSY_E1_NS1_11comp_targetILNS1_3genE5ELNS1_11target_archE942ELNS1_3gpuE9ELNS1_3repE0EEENS1_36merge_oddeven_config_static_selectorELNS0_4arch9wavefront6targetE0EEEvSK_,"axG",@progbits,_ZN7rocprim17ROCPRIM_400000_NS6detail17trampoline_kernelINS0_14default_configENS1_38merge_sort_block_merge_config_selectorIjNS0_10empty_typeEEEZZNS1_27merge_sort_block_merge_implIS3_N6thrust23THRUST_200600_302600_NS6detail15normal_iteratorINS9_10device_ptrIjEEEEPS5_m11less_div_10IjEEE10hipError_tT0_T1_T2_jT3_P12ihipStream_tbPNSt15iterator_traitsISJ_E10value_typeEPNSP_ISK_E10value_typeEPSL_NS1_7vsmem_tEENKUlT_SJ_SK_SL_E_clIPjSE_SF_SF_EESI_SY_SJ_SK_SL_EUlSY_E1_NS1_11comp_targetILNS1_3genE5ELNS1_11target_archE942ELNS1_3gpuE9ELNS1_3repE0EEENS1_36merge_oddeven_config_static_selectorELNS0_4arch9wavefront6targetE0EEEvSK_,comdat
	.protected	_ZN7rocprim17ROCPRIM_400000_NS6detail17trampoline_kernelINS0_14default_configENS1_38merge_sort_block_merge_config_selectorIjNS0_10empty_typeEEEZZNS1_27merge_sort_block_merge_implIS3_N6thrust23THRUST_200600_302600_NS6detail15normal_iteratorINS9_10device_ptrIjEEEEPS5_m11less_div_10IjEEE10hipError_tT0_T1_T2_jT3_P12ihipStream_tbPNSt15iterator_traitsISJ_E10value_typeEPNSP_ISK_E10value_typeEPSL_NS1_7vsmem_tEENKUlT_SJ_SK_SL_E_clIPjSE_SF_SF_EESI_SY_SJ_SK_SL_EUlSY_E1_NS1_11comp_targetILNS1_3genE5ELNS1_11target_archE942ELNS1_3gpuE9ELNS1_3repE0EEENS1_36merge_oddeven_config_static_selectorELNS0_4arch9wavefront6targetE0EEEvSK_ ; -- Begin function _ZN7rocprim17ROCPRIM_400000_NS6detail17trampoline_kernelINS0_14default_configENS1_38merge_sort_block_merge_config_selectorIjNS0_10empty_typeEEEZZNS1_27merge_sort_block_merge_implIS3_N6thrust23THRUST_200600_302600_NS6detail15normal_iteratorINS9_10device_ptrIjEEEEPS5_m11less_div_10IjEEE10hipError_tT0_T1_T2_jT3_P12ihipStream_tbPNSt15iterator_traitsISJ_E10value_typeEPNSP_ISK_E10value_typeEPSL_NS1_7vsmem_tEENKUlT_SJ_SK_SL_E_clIPjSE_SF_SF_EESI_SY_SJ_SK_SL_EUlSY_E1_NS1_11comp_targetILNS1_3genE5ELNS1_11target_archE942ELNS1_3gpuE9ELNS1_3repE0EEENS1_36merge_oddeven_config_static_selectorELNS0_4arch9wavefront6targetE0EEEvSK_
	.globl	_ZN7rocprim17ROCPRIM_400000_NS6detail17trampoline_kernelINS0_14default_configENS1_38merge_sort_block_merge_config_selectorIjNS0_10empty_typeEEEZZNS1_27merge_sort_block_merge_implIS3_N6thrust23THRUST_200600_302600_NS6detail15normal_iteratorINS9_10device_ptrIjEEEEPS5_m11less_div_10IjEEE10hipError_tT0_T1_T2_jT3_P12ihipStream_tbPNSt15iterator_traitsISJ_E10value_typeEPNSP_ISK_E10value_typeEPSL_NS1_7vsmem_tEENKUlT_SJ_SK_SL_E_clIPjSE_SF_SF_EESI_SY_SJ_SK_SL_EUlSY_E1_NS1_11comp_targetILNS1_3genE5ELNS1_11target_archE942ELNS1_3gpuE9ELNS1_3repE0EEENS1_36merge_oddeven_config_static_selectorELNS0_4arch9wavefront6targetE0EEEvSK_
	.p2align	8
	.type	_ZN7rocprim17ROCPRIM_400000_NS6detail17trampoline_kernelINS0_14default_configENS1_38merge_sort_block_merge_config_selectorIjNS0_10empty_typeEEEZZNS1_27merge_sort_block_merge_implIS3_N6thrust23THRUST_200600_302600_NS6detail15normal_iteratorINS9_10device_ptrIjEEEEPS5_m11less_div_10IjEEE10hipError_tT0_T1_T2_jT3_P12ihipStream_tbPNSt15iterator_traitsISJ_E10value_typeEPNSP_ISK_E10value_typeEPSL_NS1_7vsmem_tEENKUlT_SJ_SK_SL_E_clIPjSE_SF_SF_EESI_SY_SJ_SK_SL_EUlSY_E1_NS1_11comp_targetILNS1_3genE5ELNS1_11target_archE942ELNS1_3gpuE9ELNS1_3repE0EEENS1_36merge_oddeven_config_static_selectorELNS0_4arch9wavefront6targetE0EEEvSK_,@function
_ZN7rocprim17ROCPRIM_400000_NS6detail17trampoline_kernelINS0_14default_configENS1_38merge_sort_block_merge_config_selectorIjNS0_10empty_typeEEEZZNS1_27merge_sort_block_merge_implIS3_N6thrust23THRUST_200600_302600_NS6detail15normal_iteratorINS9_10device_ptrIjEEEEPS5_m11less_div_10IjEEE10hipError_tT0_T1_T2_jT3_P12ihipStream_tbPNSt15iterator_traitsISJ_E10value_typeEPNSP_ISK_E10value_typeEPSL_NS1_7vsmem_tEENKUlT_SJ_SK_SL_E_clIPjSE_SF_SF_EESI_SY_SJ_SK_SL_EUlSY_E1_NS1_11comp_targetILNS1_3genE5ELNS1_11target_archE942ELNS1_3gpuE9ELNS1_3repE0EEENS1_36merge_oddeven_config_static_selectorELNS0_4arch9wavefront6targetE0EEEvSK_: ; @_ZN7rocprim17ROCPRIM_400000_NS6detail17trampoline_kernelINS0_14default_configENS1_38merge_sort_block_merge_config_selectorIjNS0_10empty_typeEEEZZNS1_27merge_sort_block_merge_implIS3_N6thrust23THRUST_200600_302600_NS6detail15normal_iteratorINS9_10device_ptrIjEEEEPS5_m11less_div_10IjEEE10hipError_tT0_T1_T2_jT3_P12ihipStream_tbPNSt15iterator_traitsISJ_E10value_typeEPNSP_ISK_E10value_typeEPSL_NS1_7vsmem_tEENKUlT_SJ_SK_SL_E_clIPjSE_SF_SF_EESI_SY_SJ_SK_SL_EUlSY_E1_NS1_11comp_targetILNS1_3genE5ELNS1_11target_archE942ELNS1_3gpuE9ELNS1_3repE0EEENS1_36merge_oddeven_config_static_selectorELNS0_4arch9wavefront6targetE0EEEvSK_
; %bb.0:
	.section	.rodata,"a",@progbits
	.p2align	6, 0x0
	.amdhsa_kernel _ZN7rocprim17ROCPRIM_400000_NS6detail17trampoline_kernelINS0_14default_configENS1_38merge_sort_block_merge_config_selectorIjNS0_10empty_typeEEEZZNS1_27merge_sort_block_merge_implIS3_N6thrust23THRUST_200600_302600_NS6detail15normal_iteratorINS9_10device_ptrIjEEEEPS5_m11less_div_10IjEEE10hipError_tT0_T1_T2_jT3_P12ihipStream_tbPNSt15iterator_traitsISJ_E10value_typeEPNSP_ISK_E10value_typeEPSL_NS1_7vsmem_tEENKUlT_SJ_SK_SL_E_clIPjSE_SF_SF_EESI_SY_SJ_SK_SL_EUlSY_E1_NS1_11comp_targetILNS1_3genE5ELNS1_11target_archE942ELNS1_3gpuE9ELNS1_3repE0EEENS1_36merge_oddeven_config_static_selectorELNS0_4arch9wavefront6targetE0EEEvSK_
		.amdhsa_group_segment_fixed_size 0
		.amdhsa_private_segment_fixed_size 0
		.amdhsa_kernarg_size 56
		.amdhsa_user_sgpr_count 6
		.amdhsa_user_sgpr_private_segment_buffer 1
		.amdhsa_user_sgpr_dispatch_ptr 0
		.amdhsa_user_sgpr_queue_ptr 0
		.amdhsa_user_sgpr_kernarg_segment_ptr 1
		.amdhsa_user_sgpr_dispatch_id 0
		.amdhsa_user_sgpr_flat_scratch_init 0
		.amdhsa_user_sgpr_private_segment_size 0
		.amdhsa_wavefront_size32 1
		.amdhsa_uses_dynamic_stack 0
		.amdhsa_system_sgpr_private_segment_wavefront_offset 0
		.amdhsa_system_sgpr_workgroup_id_x 1
		.amdhsa_system_sgpr_workgroup_id_y 0
		.amdhsa_system_sgpr_workgroup_id_z 0
		.amdhsa_system_sgpr_workgroup_info 0
		.amdhsa_system_vgpr_workitem_id 0
		.amdhsa_next_free_vgpr 1
		.amdhsa_next_free_sgpr 1
		.amdhsa_reserve_vcc 0
		.amdhsa_reserve_flat_scratch 0
		.amdhsa_float_round_mode_32 0
		.amdhsa_float_round_mode_16_64 0
		.amdhsa_float_denorm_mode_32 3
		.amdhsa_float_denorm_mode_16_64 3
		.amdhsa_dx10_clamp 1
		.amdhsa_ieee_mode 1
		.amdhsa_fp16_overflow 0
		.amdhsa_workgroup_processor_mode 1
		.amdhsa_memory_ordered 1
		.amdhsa_forward_progress 1
		.amdhsa_shared_vgpr_count 0
		.amdhsa_exception_fp_ieee_invalid_op 0
		.amdhsa_exception_fp_denorm_src 0
		.amdhsa_exception_fp_ieee_div_zero 0
		.amdhsa_exception_fp_ieee_overflow 0
		.amdhsa_exception_fp_ieee_underflow 0
		.amdhsa_exception_fp_ieee_inexact 0
		.amdhsa_exception_int_div_zero 0
	.end_amdhsa_kernel
	.section	.text._ZN7rocprim17ROCPRIM_400000_NS6detail17trampoline_kernelINS0_14default_configENS1_38merge_sort_block_merge_config_selectorIjNS0_10empty_typeEEEZZNS1_27merge_sort_block_merge_implIS3_N6thrust23THRUST_200600_302600_NS6detail15normal_iteratorINS9_10device_ptrIjEEEEPS5_m11less_div_10IjEEE10hipError_tT0_T1_T2_jT3_P12ihipStream_tbPNSt15iterator_traitsISJ_E10value_typeEPNSP_ISK_E10value_typeEPSL_NS1_7vsmem_tEENKUlT_SJ_SK_SL_E_clIPjSE_SF_SF_EESI_SY_SJ_SK_SL_EUlSY_E1_NS1_11comp_targetILNS1_3genE5ELNS1_11target_archE942ELNS1_3gpuE9ELNS1_3repE0EEENS1_36merge_oddeven_config_static_selectorELNS0_4arch9wavefront6targetE0EEEvSK_,"axG",@progbits,_ZN7rocprim17ROCPRIM_400000_NS6detail17trampoline_kernelINS0_14default_configENS1_38merge_sort_block_merge_config_selectorIjNS0_10empty_typeEEEZZNS1_27merge_sort_block_merge_implIS3_N6thrust23THRUST_200600_302600_NS6detail15normal_iteratorINS9_10device_ptrIjEEEEPS5_m11less_div_10IjEEE10hipError_tT0_T1_T2_jT3_P12ihipStream_tbPNSt15iterator_traitsISJ_E10value_typeEPNSP_ISK_E10value_typeEPSL_NS1_7vsmem_tEENKUlT_SJ_SK_SL_E_clIPjSE_SF_SF_EESI_SY_SJ_SK_SL_EUlSY_E1_NS1_11comp_targetILNS1_3genE5ELNS1_11target_archE942ELNS1_3gpuE9ELNS1_3repE0EEENS1_36merge_oddeven_config_static_selectorELNS0_4arch9wavefront6targetE0EEEvSK_,comdat
.Lfunc_end165:
	.size	_ZN7rocprim17ROCPRIM_400000_NS6detail17trampoline_kernelINS0_14default_configENS1_38merge_sort_block_merge_config_selectorIjNS0_10empty_typeEEEZZNS1_27merge_sort_block_merge_implIS3_N6thrust23THRUST_200600_302600_NS6detail15normal_iteratorINS9_10device_ptrIjEEEEPS5_m11less_div_10IjEEE10hipError_tT0_T1_T2_jT3_P12ihipStream_tbPNSt15iterator_traitsISJ_E10value_typeEPNSP_ISK_E10value_typeEPSL_NS1_7vsmem_tEENKUlT_SJ_SK_SL_E_clIPjSE_SF_SF_EESI_SY_SJ_SK_SL_EUlSY_E1_NS1_11comp_targetILNS1_3genE5ELNS1_11target_archE942ELNS1_3gpuE9ELNS1_3repE0EEENS1_36merge_oddeven_config_static_selectorELNS0_4arch9wavefront6targetE0EEEvSK_, .Lfunc_end165-_ZN7rocprim17ROCPRIM_400000_NS6detail17trampoline_kernelINS0_14default_configENS1_38merge_sort_block_merge_config_selectorIjNS0_10empty_typeEEEZZNS1_27merge_sort_block_merge_implIS3_N6thrust23THRUST_200600_302600_NS6detail15normal_iteratorINS9_10device_ptrIjEEEEPS5_m11less_div_10IjEEE10hipError_tT0_T1_T2_jT3_P12ihipStream_tbPNSt15iterator_traitsISJ_E10value_typeEPNSP_ISK_E10value_typeEPSL_NS1_7vsmem_tEENKUlT_SJ_SK_SL_E_clIPjSE_SF_SF_EESI_SY_SJ_SK_SL_EUlSY_E1_NS1_11comp_targetILNS1_3genE5ELNS1_11target_archE942ELNS1_3gpuE9ELNS1_3repE0EEENS1_36merge_oddeven_config_static_selectorELNS0_4arch9wavefront6targetE0EEEvSK_
                                        ; -- End function
	.set _ZN7rocprim17ROCPRIM_400000_NS6detail17trampoline_kernelINS0_14default_configENS1_38merge_sort_block_merge_config_selectorIjNS0_10empty_typeEEEZZNS1_27merge_sort_block_merge_implIS3_N6thrust23THRUST_200600_302600_NS6detail15normal_iteratorINS9_10device_ptrIjEEEEPS5_m11less_div_10IjEEE10hipError_tT0_T1_T2_jT3_P12ihipStream_tbPNSt15iterator_traitsISJ_E10value_typeEPNSP_ISK_E10value_typeEPSL_NS1_7vsmem_tEENKUlT_SJ_SK_SL_E_clIPjSE_SF_SF_EESI_SY_SJ_SK_SL_EUlSY_E1_NS1_11comp_targetILNS1_3genE5ELNS1_11target_archE942ELNS1_3gpuE9ELNS1_3repE0EEENS1_36merge_oddeven_config_static_selectorELNS0_4arch9wavefront6targetE0EEEvSK_.num_vgpr, 0
	.set _ZN7rocprim17ROCPRIM_400000_NS6detail17trampoline_kernelINS0_14default_configENS1_38merge_sort_block_merge_config_selectorIjNS0_10empty_typeEEEZZNS1_27merge_sort_block_merge_implIS3_N6thrust23THRUST_200600_302600_NS6detail15normal_iteratorINS9_10device_ptrIjEEEEPS5_m11less_div_10IjEEE10hipError_tT0_T1_T2_jT3_P12ihipStream_tbPNSt15iterator_traitsISJ_E10value_typeEPNSP_ISK_E10value_typeEPSL_NS1_7vsmem_tEENKUlT_SJ_SK_SL_E_clIPjSE_SF_SF_EESI_SY_SJ_SK_SL_EUlSY_E1_NS1_11comp_targetILNS1_3genE5ELNS1_11target_archE942ELNS1_3gpuE9ELNS1_3repE0EEENS1_36merge_oddeven_config_static_selectorELNS0_4arch9wavefront6targetE0EEEvSK_.num_agpr, 0
	.set _ZN7rocprim17ROCPRIM_400000_NS6detail17trampoline_kernelINS0_14default_configENS1_38merge_sort_block_merge_config_selectorIjNS0_10empty_typeEEEZZNS1_27merge_sort_block_merge_implIS3_N6thrust23THRUST_200600_302600_NS6detail15normal_iteratorINS9_10device_ptrIjEEEEPS5_m11less_div_10IjEEE10hipError_tT0_T1_T2_jT3_P12ihipStream_tbPNSt15iterator_traitsISJ_E10value_typeEPNSP_ISK_E10value_typeEPSL_NS1_7vsmem_tEENKUlT_SJ_SK_SL_E_clIPjSE_SF_SF_EESI_SY_SJ_SK_SL_EUlSY_E1_NS1_11comp_targetILNS1_3genE5ELNS1_11target_archE942ELNS1_3gpuE9ELNS1_3repE0EEENS1_36merge_oddeven_config_static_selectorELNS0_4arch9wavefront6targetE0EEEvSK_.numbered_sgpr, 0
	.set _ZN7rocprim17ROCPRIM_400000_NS6detail17trampoline_kernelINS0_14default_configENS1_38merge_sort_block_merge_config_selectorIjNS0_10empty_typeEEEZZNS1_27merge_sort_block_merge_implIS3_N6thrust23THRUST_200600_302600_NS6detail15normal_iteratorINS9_10device_ptrIjEEEEPS5_m11less_div_10IjEEE10hipError_tT0_T1_T2_jT3_P12ihipStream_tbPNSt15iterator_traitsISJ_E10value_typeEPNSP_ISK_E10value_typeEPSL_NS1_7vsmem_tEENKUlT_SJ_SK_SL_E_clIPjSE_SF_SF_EESI_SY_SJ_SK_SL_EUlSY_E1_NS1_11comp_targetILNS1_3genE5ELNS1_11target_archE942ELNS1_3gpuE9ELNS1_3repE0EEENS1_36merge_oddeven_config_static_selectorELNS0_4arch9wavefront6targetE0EEEvSK_.num_named_barrier, 0
	.set _ZN7rocprim17ROCPRIM_400000_NS6detail17trampoline_kernelINS0_14default_configENS1_38merge_sort_block_merge_config_selectorIjNS0_10empty_typeEEEZZNS1_27merge_sort_block_merge_implIS3_N6thrust23THRUST_200600_302600_NS6detail15normal_iteratorINS9_10device_ptrIjEEEEPS5_m11less_div_10IjEEE10hipError_tT0_T1_T2_jT3_P12ihipStream_tbPNSt15iterator_traitsISJ_E10value_typeEPNSP_ISK_E10value_typeEPSL_NS1_7vsmem_tEENKUlT_SJ_SK_SL_E_clIPjSE_SF_SF_EESI_SY_SJ_SK_SL_EUlSY_E1_NS1_11comp_targetILNS1_3genE5ELNS1_11target_archE942ELNS1_3gpuE9ELNS1_3repE0EEENS1_36merge_oddeven_config_static_selectorELNS0_4arch9wavefront6targetE0EEEvSK_.private_seg_size, 0
	.set _ZN7rocprim17ROCPRIM_400000_NS6detail17trampoline_kernelINS0_14default_configENS1_38merge_sort_block_merge_config_selectorIjNS0_10empty_typeEEEZZNS1_27merge_sort_block_merge_implIS3_N6thrust23THRUST_200600_302600_NS6detail15normal_iteratorINS9_10device_ptrIjEEEEPS5_m11less_div_10IjEEE10hipError_tT0_T1_T2_jT3_P12ihipStream_tbPNSt15iterator_traitsISJ_E10value_typeEPNSP_ISK_E10value_typeEPSL_NS1_7vsmem_tEENKUlT_SJ_SK_SL_E_clIPjSE_SF_SF_EESI_SY_SJ_SK_SL_EUlSY_E1_NS1_11comp_targetILNS1_3genE5ELNS1_11target_archE942ELNS1_3gpuE9ELNS1_3repE0EEENS1_36merge_oddeven_config_static_selectorELNS0_4arch9wavefront6targetE0EEEvSK_.uses_vcc, 0
	.set _ZN7rocprim17ROCPRIM_400000_NS6detail17trampoline_kernelINS0_14default_configENS1_38merge_sort_block_merge_config_selectorIjNS0_10empty_typeEEEZZNS1_27merge_sort_block_merge_implIS3_N6thrust23THRUST_200600_302600_NS6detail15normal_iteratorINS9_10device_ptrIjEEEEPS5_m11less_div_10IjEEE10hipError_tT0_T1_T2_jT3_P12ihipStream_tbPNSt15iterator_traitsISJ_E10value_typeEPNSP_ISK_E10value_typeEPSL_NS1_7vsmem_tEENKUlT_SJ_SK_SL_E_clIPjSE_SF_SF_EESI_SY_SJ_SK_SL_EUlSY_E1_NS1_11comp_targetILNS1_3genE5ELNS1_11target_archE942ELNS1_3gpuE9ELNS1_3repE0EEENS1_36merge_oddeven_config_static_selectorELNS0_4arch9wavefront6targetE0EEEvSK_.uses_flat_scratch, 0
	.set _ZN7rocprim17ROCPRIM_400000_NS6detail17trampoline_kernelINS0_14default_configENS1_38merge_sort_block_merge_config_selectorIjNS0_10empty_typeEEEZZNS1_27merge_sort_block_merge_implIS3_N6thrust23THRUST_200600_302600_NS6detail15normal_iteratorINS9_10device_ptrIjEEEEPS5_m11less_div_10IjEEE10hipError_tT0_T1_T2_jT3_P12ihipStream_tbPNSt15iterator_traitsISJ_E10value_typeEPNSP_ISK_E10value_typeEPSL_NS1_7vsmem_tEENKUlT_SJ_SK_SL_E_clIPjSE_SF_SF_EESI_SY_SJ_SK_SL_EUlSY_E1_NS1_11comp_targetILNS1_3genE5ELNS1_11target_archE942ELNS1_3gpuE9ELNS1_3repE0EEENS1_36merge_oddeven_config_static_selectorELNS0_4arch9wavefront6targetE0EEEvSK_.has_dyn_sized_stack, 0
	.set _ZN7rocprim17ROCPRIM_400000_NS6detail17trampoline_kernelINS0_14default_configENS1_38merge_sort_block_merge_config_selectorIjNS0_10empty_typeEEEZZNS1_27merge_sort_block_merge_implIS3_N6thrust23THRUST_200600_302600_NS6detail15normal_iteratorINS9_10device_ptrIjEEEEPS5_m11less_div_10IjEEE10hipError_tT0_T1_T2_jT3_P12ihipStream_tbPNSt15iterator_traitsISJ_E10value_typeEPNSP_ISK_E10value_typeEPSL_NS1_7vsmem_tEENKUlT_SJ_SK_SL_E_clIPjSE_SF_SF_EESI_SY_SJ_SK_SL_EUlSY_E1_NS1_11comp_targetILNS1_3genE5ELNS1_11target_archE942ELNS1_3gpuE9ELNS1_3repE0EEENS1_36merge_oddeven_config_static_selectorELNS0_4arch9wavefront6targetE0EEEvSK_.has_recursion, 0
	.set _ZN7rocprim17ROCPRIM_400000_NS6detail17trampoline_kernelINS0_14default_configENS1_38merge_sort_block_merge_config_selectorIjNS0_10empty_typeEEEZZNS1_27merge_sort_block_merge_implIS3_N6thrust23THRUST_200600_302600_NS6detail15normal_iteratorINS9_10device_ptrIjEEEEPS5_m11less_div_10IjEEE10hipError_tT0_T1_T2_jT3_P12ihipStream_tbPNSt15iterator_traitsISJ_E10value_typeEPNSP_ISK_E10value_typeEPSL_NS1_7vsmem_tEENKUlT_SJ_SK_SL_E_clIPjSE_SF_SF_EESI_SY_SJ_SK_SL_EUlSY_E1_NS1_11comp_targetILNS1_3genE5ELNS1_11target_archE942ELNS1_3gpuE9ELNS1_3repE0EEENS1_36merge_oddeven_config_static_selectorELNS0_4arch9wavefront6targetE0EEEvSK_.has_indirect_call, 0
	.section	.AMDGPU.csdata,"",@progbits
; Kernel info:
; codeLenInByte = 0
; TotalNumSgprs: 0
; NumVgprs: 0
; ScratchSize: 0
; MemoryBound: 0
; FloatMode: 240
; IeeeMode: 1
; LDSByteSize: 0 bytes/workgroup (compile time only)
; SGPRBlocks: 0
; VGPRBlocks: 0
; NumSGPRsForWavesPerEU: 1
; NumVGPRsForWavesPerEU: 1
; Occupancy: 16
; WaveLimiterHint : 0
; COMPUTE_PGM_RSRC2:SCRATCH_EN: 0
; COMPUTE_PGM_RSRC2:USER_SGPR: 6
; COMPUTE_PGM_RSRC2:TRAP_HANDLER: 0
; COMPUTE_PGM_RSRC2:TGID_X_EN: 1
; COMPUTE_PGM_RSRC2:TGID_Y_EN: 0
; COMPUTE_PGM_RSRC2:TGID_Z_EN: 0
; COMPUTE_PGM_RSRC2:TIDIG_COMP_CNT: 0
	.section	.text._ZN7rocprim17ROCPRIM_400000_NS6detail17trampoline_kernelINS0_14default_configENS1_38merge_sort_block_merge_config_selectorIjNS0_10empty_typeEEEZZNS1_27merge_sort_block_merge_implIS3_N6thrust23THRUST_200600_302600_NS6detail15normal_iteratorINS9_10device_ptrIjEEEEPS5_m11less_div_10IjEEE10hipError_tT0_T1_T2_jT3_P12ihipStream_tbPNSt15iterator_traitsISJ_E10value_typeEPNSP_ISK_E10value_typeEPSL_NS1_7vsmem_tEENKUlT_SJ_SK_SL_E_clIPjSE_SF_SF_EESI_SY_SJ_SK_SL_EUlSY_E1_NS1_11comp_targetILNS1_3genE4ELNS1_11target_archE910ELNS1_3gpuE8ELNS1_3repE0EEENS1_36merge_oddeven_config_static_selectorELNS0_4arch9wavefront6targetE0EEEvSK_,"axG",@progbits,_ZN7rocprim17ROCPRIM_400000_NS6detail17trampoline_kernelINS0_14default_configENS1_38merge_sort_block_merge_config_selectorIjNS0_10empty_typeEEEZZNS1_27merge_sort_block_merge_implIS3_N6thrust23THRUST_200600_302600_NS6detail15normal_iteratorINS9_10device_ptrIjEEEEPS5_m11less_div_10IjEEE10hipError_tT0_T1_T2_jT3_P12ihipStream_tbPNSt15iterator_traitsISJ_E10value_typeEPNSP_ISK_E10value_typeEPSL_NS1_7vsmem_tEENKUlT_SJ_SK_SL_E_clIPjSE_SF_SF_EESI_SY_SJ_SK_SL_EUlSY_E1_NS1_11comp_targetILNS1_3genE4ELNS1_11target_archE910ELNS1_3gpuE8ELNS1_3repE0EEENS1_36merge_oddeven_config_static_selectorELNS0_4arch9wavefront6targetE0EEEvSK_,comdat
	.protected	_ZN7rocprim17ROCPRIM_400000_NS6detail17trampoline_kernelINS0_14default_configENS1_38merge_sort_block_merge_config_selectorIjNS0_10empty_typeEEEZZNS1_27merge_sort_block_merge_implIS3_N6thrust23THRUST_200600_302600_NS6detail15normal_iteratorINS9_10device_ptrIjEEEEPS5_m11less_div_10IjEEE10hipError_tT0_T1_T2_jT3_P12ihipStream_tbPNSt15iterator_traitsISJ_E10value_typeEPNSP_ISK_E10value_typeEPSL_NS1_7vsmem_tEENKUlT_SJ_SK_SL_E_clIPjSE_SF_SF_EESI_SY_SJ_SK_SL_EUlSY_E1_NS1_11comp_targetILNS1_3genE4ELNS1_11target_archE910ELNS1_3gpuE8ELNS1_3repE0EEENS1_36merge_oddeven_config_static_selectorELNS0_4arch9wavefront6targetE0EEEvSK_ ; -- Begin function _ZN7rocprim17ROCPRIM_400000_NS6detail17trampoline_kernelINS0_14default_configENS1_38merge_sort_block_merge_config_selectorIjNS0_10empty_typeEEEZZNS1_27merge_sort_block_merge_implIS3_N6thrust23THRUST_200600_302600_NS6detail15normal_iteratorINS9_10device_ptrIjEEEEPS5_m11less_div_10IjEEE10hipError_tT0_T1_T2_jT3_P12ihipStream_tbPNSt15iterator_traitsISJ_E10value_typeEPNSP_ISK_E10value_typeEPSL_NS1_7vsmem_tEENKUlT_SJ_SK_SL_E_clIPjSE_SF_SF_EESI_SY_SJ_SK_SL_EUlSY_E1_NS1_11comp_targetILNS1_3genE4ELNS1_11target_archE910ELNS1_3gpuE8ELNS1_3repE0EEENS1_36merge_oddeven_config_static_selectorELNS0_4arch9wavefront6targetE0EEEvSK_
	.globl	_ZN7rocprim17ROCPRIM_400000_NS6detail17trampoline_kernelINS0_14default_configENS1_38merge_sort_block_merge_config_selectorIjNS0_10empty_typeEEEZZNS1_27merge_sort_block_merge_implIS3_N6thrust23THRUST_200600_302600_NS6detail15normal_iteratorINS9_10device_ptrIjEEEEPS5_m11less_div_10IjEEE10hipError_tT0_T1_T2_jT3_P12ihipStream_tbPNSt15iterator_traitsISJ_E10value_typeEPNSP_ISK_E10value_typeEPSL_NS1_7vsmem_tEENKUlT_SJ_SK_SL_E_clIPjSE_SF_SF_EESI_SY_SJ_SK_SL_EUlSY_E1_NS1_11comp_targetILNS1_3genE4ELNS1_11target_archE910ELNS1_3gpuE8ELNS1_3repE0EEENS1_36merge_oddeven_config_static_selectorELNS0_4arch9wavefront6targetE0EEEvSK_
	.p2align	8
	.type	_ZN7rocprim17ROCPRIM_400000_NS6detail17trampoline_kernelINS0_14default_configENS1_38merge_sort_block_merge_config_selectorIjNS0_10empty_typeEEEZZNS1_27merge_sort_block_merge_implIS3_N6thrust23THRUST_200600_302600_NS6detail15normal_iteratorINS9_10device_ptrIjEEEEPS5_m11less_div_10IjEEE10hipError_tT0_T1_T2_jT3_P12ihipStream_tbPNSt15iterator_traitsISJ_E10value_typeEPNSP_ISK_E10value_typeEPSL_NS1_7vsmem_tEENKUlT_SJ_SK_SL_E_clIPjSE_SF_SF_EESI_SY_SJ_SK_SL_EUlSY_E1_NS1_11comp_targetILNS1_3genE4ELNS1_11target_archE910ELNS1_3gpuE8ELNS1_3repE0EEENS1_36merge_oddeven_config_static_selectorELNS0_4arch9wavefront6targetE0EEEvSK_,@function
_ZN7rocprim17ROCPRIM_400000_NS6detail17trampoline_kernelINS0_14default_configENS1_38merge_sort_block_merge_config_selectorIjNS0_10empty_typeEEEZZNS1_27merge_sort_block_merge_implIS3_N6thrust23THRUST_200600_302600_NS6detail15normal_iteratorINS9_10device_ptrIjEEEEPS5_m11less_div_10IjEEE10hipError_tT0_T1_T2_jT3_P12ihipStream_tbPNSt15iterator_traitsISJ_E10value_typeEPNSP_ISK_E10value_typeEPSL_NS1_7vsmem_tEENKUlT_SJ_SK_SL_E_clIPjSE_SF_SF_EESI_SY_SJ_SK_SL_EUlSY_E1_NS1_11comp_targetILNS1_3genE4ELNS1_11target_archE910ELNS1_3gpuE8ELNS1_3repE0EEENS1_36merge_oddeven_config_static_selectorELNS0_4arch9wavefront6targetE0EEEvSK_: ; @_ZN7rocprim17ROCPRIM_400000_NS6detail17trampoline_kernelINS0_14default_configENS1_38merge_sort_block_merge_config_selectorIjNS0_10empty_typeEEEZZNS1_27merge_sort_block_merge_implIS3_N6thrust23THRUST_200600_302600_NS6detail15normal_iteratorINS9_10device_ptrIjEEEEPS5_m11less_div_10IjEEE10hipError_tT0_T1_T2_jT3_P12ihipStream_tbPNSt15iterator_traitsISJ_E10value_typeEPNSP_ISK_E10value_typeEPSL_NS1_7vsmem_tEENKUlT_SJ_SK_SL_E_clIPjSE_SF_SF_EESI_SY_SJ_SK_SL_EUlSY_E1_NS1_11comp_targetILNS1_3genE4ELNS1_11target_archE910ELNS1_3gpuE8ELNS1_3repE0EEENS1_36merge_oddeven_config_static_selectorELNS0_4arch9wavefront6targetE0EEEvSK_
; %bb.0:
	.section	.rodata,"a",@progbits
	.p2align	6, 0x0
	.amdhsa_kernel _ZN7rocprim17ROCPRIM_400000_NS6detail17trampoline_kernelINS0_14default_configENS1_38merge_sort_block_merge_config_selectorIjNS0_10empty_typeEEEZZNS1_27merge_sort_block_merge_implIS3_N6thrust23THRUST_200600_302600_NS6detail15normal_iteratorINS9_10device_ptrIjEEEEPS5_m11less_div_10IjEEE10hipError_tT0_T1_T2_jT3_P12ihipStream_tbPNSt15iterator_traitsISJ_E10value_typeEPNSP_ISK_E10value_typeEPSL_NS1_7vsmem_tEENKUlT_SJ_SK_SL_E_clIPjSE_SF_SF_EESI_SY_SJ_SK_SL_EUlSY_E1_NS1_11comp_targetILNS1_3genE4ELNS1_11target_archE910ELNS1_3gpuE8ELNS1_3repE0EEENS1_36merge_oddeven_config_static_selectorELNS0_4arch9wavefront6targetE0EEEvSK_
		.amdhsa_group_segment_fixed_size 0
		.amdhsa_private_segment_fixed_size 0
		.amdhsa_kernarg_size 56
		.amdhsa_user_sgpr_count 6
		.amdhsa_user_sgpr_private_segment_buffer 1
		.amdhsa_user_sgpr_dispatch_ptr 0
		.amdhsa_user_sgpr_queue_ptr 0
		.amdhsa_user_sgpr_kernarg_segment_ptr 1
		.amdhsa_user_sgpr_dispatch_id 0
		.amdhsa_user_sgpr_flat_scratch_init 0
		.amdhsa_user_sgpr_private_segment_size 0
		.amdhsa_wavefront_size32 1
		.amdhsa_uses_dynamic_stack 0
		.amdhsa_system_sgpr_private_segment_wavefront_offset 0
		.amdhsa_system_sgpr_workgroup_id_x 1
		.amdhsa_system_sgpr_workgroup_id_y 0
		.amdhsa_system_sgpr_workgroup_id_z 0
		.amdhsa_system_sgpr_workgroup_info 0
		.amdhsa_system_vgpr_workitem_id 0
		.amdhsa_next_free_vgpr 1
		.amdhsa_next_free_sgpr 1
		.amdhsa_reserve_vcc 0
		.amdhsa_reserve_flat_scratch 0
		.amdhsa_float_round_mode_32 0
		.amdhsa_float_round_mode_16_64 0
		.amdhsa_float_denorm_mode_32 3
		.amdhsa_float_denorm_mode_16_64 3
		.amdhsa_dx10_clamp 1
		.amdhsa_ieee_mode 1
		.amdhsa_fp16_overflow 0
		.amdhsa_workgroup_processor_mode 1
		.amdhsa_memory_ordered 1
		.amdhsa_forward_progress 1
		.amdhsa_shared_vgpr_count 0
		.amdhsa_exception_fp_ieee_invalid_op 0
		.amdhsa_exception_fp_denorm_src 0
		.amdhsa_exception_fp_ieee_div_zero 0
		.amdhsa_exception_fp_ieee_overflow 0
		.amdhsa_exception_fp_ieee_underflow 0
		.amdhsa_exception_fp_ieee_inexact 0
		.amdhsa_exception_int_div_zero 0
	.end_amdhsa_kernel
	.section	.text._ZN7rocprim17ROCPRIM_400000_NS6detail17trampoline_kernelINS0_14default_configENS1_38merge_sort_block_merge_config_selectorIjNS0_10empty_typeEEEZZNS1_27merge_sort_block_merge_implIS3_N6thrust23THRUST_200600_302600_NS6detail15normal_iteratorINS9_10device_ptrIjEEEEPS5_m11less_div_10IjEEE10hipError_tT0_T1_T2_jT3_P12ihipStream_tbPNSt15iterator_traitsISJ_E10value_typeEPNSP_ISK_E10value_typeEPSL_NS1_7vsmem_tEENKUlT_SJ_SK_SL_E_clIPjSE_SF_SF_EESI_SY_SJ_SK_SL_EUlSY_E1_NS1_11comp_targetILNS1_3genE4ELNS1_11target_archE910ELNS1_3gpuE8ELNS1_3repE0EEENS1_36merge_oddeven_config_static_selectorELNS0_4arch9wavefront6targetE0EEEvSK_,"axG",@progbits,_ZN7rocprim17ROCPRIM_400000_NS6detail17trampoline_kernelINS0_14default_configENS1_38merge_sort_block_merge_config_selectorIjNS0_10empty_typeEEEZZNS1_27merge_sort_block_merge_implIS3_N6thrust23THRUST_200600_302600_NS6detail15normal_iteratorINS9_10device_ptrIjEEEEPS5_m11less_div_10IjEEE10hipError_tT0_T1_T2_jT3_P12ihipStream_tbPNSt15iterator_traitsISJ_E10value_typeEPNSP_ISK_E10value_typeEPSL_NS1_7vsmem_tEENKUlT_SJ_SK_SL_E_clIPjSE_SF_SF_EESI_SY_SJ_SK_SL_EUlSY_E1_NS1_11comp_targetILNS1_3genE4ELNS1_11target_archE910ELNS1_3gpuE8ELNS1_3repE0EEENS1_36merge_oddeven_config_static_selectorELNS0_4arch9wavefront6targetE0EEEvSK_,comdat
.Lfunc_end166:
	.size	_ZN7rocprim17ROCPRIM_400000_NS6detail17trampoline_kernelINS0_14default_configENS1_38merge_sort_block_merge_config_selectorIjNS0_10empty_typeEEEZZNS1_27merge_sort_block_merge_implIS3_N6thrust23THRUST_200600_302600_NS6detail15normal_iteratorINS9_10device_ptrIjEEEEPS5_m11less_div_10IjEEE10hipError_tT0_T1_T2_jT3_P12ihipStream_tbPNSt15iterator_traitsISJ_E10value_typeEPNSP_ISK_E10value_typeEPSL_NS1_7vsmem_tEENKUlT_SJ_SK_SL_E_clIPjSE_SF_SF_EESI_SY_SJ_SK_SL_EUlSY_E1_NS1_11comp_targetILNS1_3genE4ELNS1_11target_archE910ELNS1_3gpuE8ELNS1_3repE0EEENS1_36merge_oddeven_config_static_selectorELNS0_4arch9wavefront6targetE0EEEvSK_, .Lfunc_end166-_ZN7rocprim17ROCPRIM_400000_NS6detail17trampoline_kernelINS0_14default_configENS1_38merge_sort_block_merge_config_selectorIjNS0_10empty_typeEEEZZNS1_27merge_sort_block_merge_implIS3_N6thrust23THRUST_200600_302600_NS6detail15normal_iteratorINS9_10device_ptrIjEEEEPS5_m11less_div_10IjEEE10hipError_tT0_T1_T2_jT3_P12ihipStream_tbPNSt15iterator_traitsISJ_E10value_typeEPNSP_ISK_E10value_typeEPSL_NS1_7vsmem_tEENKUlT_SJ_SK_SL_E_clIPjSE_SF_SF_EESI_SY_SJ_SK_SL_EUlSY_E1_NS1_11comp_targetILNS1_3genE4ELNS1_11target_archE910ELNS1_3gpuE8ELNS1_3repE0EEENS1_36merge_oddeven_config_static_selectorELNS0_4arch9wavefront6targetE0EEEvSK_
                                        ; -- End function
	.set _ZN7rocprim17ROCPRIM_400000_NS6detail17trampoline_kernelINS0_14default_configENS1_38merge_sort_block_merge_config_selectorIjNS0_10empty_typeEEEZZNS1_27merge_sort_block_merge_implIS3_N6thrust23THRUST_200600_302600_NS6detail15normal_iteratorINS9_10device_ptrIjEEEEPS5_m11less_div_10IjEEE10hipError_tT0_T1_T2_jT3_P12ihipStream_tbPNSt15iterator_traitsISJ_E10value_typeEPNSP_ISK_E10value_typeEPSL_NS1_7vsmem_tEENKUlT_SJ_SK_SL_E_clIPjSE_SF_SF_EESI_SY_SJ_SK_SL_EUlSY_E1_NS1_11comp_targetILNS1_3genE4ELNS1_11target_archE910ELNS1_3gpuE8ELNS1_3repE0EEENS1_36merge_oddeven_config_static_selectorELNS0_4arch9wavefront6targetE0EEEvSK_.num_vgpr, 0
	.set _ZN7rocprim17ROCPRIM_400000_NS6detail17trampoline_kernelINS0_14default_configENS1_38merge_sort_block_merge_config_selectorIjNS0_10empty_typeEEEZZNS1_27merge_sort_block_merge_implIS3_N6thrust23THRUST_200600_302600_NS6detail15normal_iteratorINS9_10device_ptrIjEEEEPS5_m11less_div_10IjEEE10hipError_tT0_T1_T2_jT3_P12ihipStream_tbPNSt15iterator_traitsISJ_E10value_typeEPNSP_ISK_E10value_typeEPSL_NS1_7vsmem_tEENKUlT_SJ_SK_SL_E_clIPjSE_SF_SF_EESI_SY_SJ_SK_SL_EUlSY_E1_NS1_11comp_targetILNS1_3genE4ELNS1_11target_archE910ELNS1_3gpuE8ELNS1_3repE0EEENS1_36merge_oddeven_config_static_selectorELNS0_4arch9wavefront6targetE0EEEvSK_.num_agpr, 0
	.set _ZN7rocprim17ROCPRIM_400000_NS6detail17trampoline_kernelINS0_14default_configENS1_38merge_sort_block_merge_config_selectorIjNS0_10empty_typeEEEZZNS1_27merge_sort_block_merge_implIS3_N6thrust23THRUST_200600_302600_NS6detail15normal_iteratorINS9_10device_ptrIjEEEEPS5_m11less_div_10IjEEE10hipError_tT0_T1_T2_jT3_P12ihipStream_tbPNSt15iterator_traitsISJ_E10value_typeEPNSP_ISK_E10value_typeEPSL_NS1_7vsmem_tEENKUlT_SJ_SK_SL_E_clIPjSE_SF_SF_EESI_SY_SJ_SK_SL_EUlSY_E1_NS1_11comp_targetILNS1_3genE4ELNS1_11target_archE910ELNS1_3gpuE8ELNS1_3repE0EEENS1_36merge_oddeven_config_static_selectorELNS0_4arch9wavefront6targetE0EEEvSK_.numbered_sgpr, 0
	.set _ZN7rocprim17ROCPRIM_400000_NS6detail17trampoline_kernelINS0_14default_configENS1_38merge_sort_block_merge_config_selectorIjNS0_10empty_typeEEEZZNS1_27merge_sort_block_merge_implIS3_N6thrust23THRUST_200600_302600_NS6detail15normal_iteratorINS9_10device_ptrIjEEEEPS5_m11less_div_10IjEEE10hipError_tT0_T1_T2_jT3_P12ihipStream_tbPNSt15iterator_traitsISJ_E10value_typeEPNSP_ISK_E10value_typeEPSL_NS1_7vsmem_tEENKUlT_SJ_SK_SL_E_clIPjSE_SF_SF_EESI_SY_SJ_SK_SL_EUlSY_E1_NS1_11comp_targetILNS1_3genE4ELNS1_11target_archE910ELNS1_3gpuE8ELNS1_3repE0EEENS1_36merge_oddeven_config_static_selectorELNS0_4arch9wavefront6targetE0EEEvSK_.num_named_barrier, 0
	.set _ZN7rocprim17ROCPRIM_400000_NS6detail17trampoline_kernelINS0_14default_configENS1_38merge_sort_block_merge_config_selectorIjNS0_10empty_typeEEEZZNS1_27merge_sort_block_merge_implIS3_N6thrust23THRUST_200600_302600_NS6detail15normal_iteratorINS9_10device_ptrIjEEEEPS5_m11less_div_10IjEEE10hipError_tT0_T1_T2_jT3_P12ihipStream_tbPNSt15iterator_traitsISJ_E10value_typeEPNSP_ISK_E10value_typeEPSL_NS1_7vsmem_tEENKUlT_SJ_SK_SL_E_clIPjSE_SF_SF_EESI_SY_SJ_SK_SL_EUlSY_E1_NS1_11comp_targetILNS1_3genE4ELNS1_11target_archE910ELNS1_3gpuE8ELNS1_3repE0EEENS1_36merge_oddeven_config_static_selectorELNS0_4arch9wavefront6targetE0EEEvSK_.private_seg_size, 0
	.set _ZN7rocprim17ROCPRIM_400000_NS6detail17trampoline_kernelINS0_14default_configENS1_38merge_sort_block_merge_config_selectorIjNS0_10empty_typeEEEZZNS1_27merge_sort_block_merge_implIS3_N6thrust23THRUST_200600_302600_NS6detail15normal_iteratorINS9_10device_ptrIjEEEEPS5_m11less_div_10IjEEE10hipError_tT0_T1_T2_jT3_P12ihipStream_tbPNSt15iterator_traitsISJ_E10value_typeEPNSP_ISK_E10value_typeEPSL_NS1_7vsmem_tEENKUlT_SJ_SK_SL_E_clIPjSE_SF_SF_EESI_SY_SJ_SK_SL_EUlSY_E1_NS1_11comp_targetILNS1_3genE4ELNS1_11target_archE910ELNS1_3gpuE8ELNS1_3repE0EEENS1_36merge_oddeven_config_static_selectorELNS0_4arch9wavefront6targetE0EEEvSK_.uses_vcc, 0
	.set _ZN7rocprim17ROCPRIM_400000_NS6detail17trampoline_kernelINS0_14default_configENS1_38merge_sort_block_merge_config_selectorIjNS0_10empty_typeEEEZZNS1_27merge_sort_block_merge_implIS3_N6thrust23THRUST_200600_302600_NS6detail15normal_iteratorINS9_10device_ptrIjEEEEPS5_m11less_div_10IjEEE10hipError_tT0_T1_T2_jT3_P12ihipStream_tbPNSt15iterator_traitsISJ_E10value_typeEPNSP_ISK_E10value_typeEPSL_NS1_7vsmem_tEENKUlT_SJ_SK_SL_E_clIPjSE_SF_SF_EESI_SY_SJ_SK_SL_EUlSY_E1_NS1_11comp_targetILNS1_3genE4ELNS1_11target_archE910ELNS1_3gpuE8ELNS1_3repE0EEENS1_36merge_oddeven_config_static_selectorELNS0_4arch9wavefront6targetE0EEEvSK_.uses_flat_scratch, 0
	.set _ZN7rocprim17ROCPRIM_400000_NS6detail17trampoline_kernelINS0_14default_configENS1_38merge_sort_block_merge_config_selectorIjNS0_10empty_typeEEEZZNS1_27merge_sort_block_merge_implIS3_N6thrust23THRUST_200600_302600_NS6detail15normal_iteratorINS9_10device_ptrIjEEEEPS5_m11less_div_10IjEEE10hipError_tT0_T1_T2_jT3_P12ihipStream_tbPNSt15iterator_traitsISJ_E10value_typeEPNSP_ISK_E10value_typeEPSL_NS1_7vsmem_tEENKUlT_SJ_SK_SL_E_clIPjSE_SF_SF_EESI_SY_SJ_SK_SL_EUlSY_E1_NS1_11comp_targetILNS1_3genE4ELNS1_11target_archE910ELNS1_3gpuE8ELNS1_3repE0EEENS1_36merge_oddeven_config_static_selectorELNS0_4arch9wavefront6targetE0EEEvSK_.has_dyn_sized_stack, 0
	.set _ZN7rocprim17ROCPRIM_400000_NS6detail17trampoline_kernelINS0_14default_configENS1_38merge_sort_block_merge_config_selectorIjNS0_10empty_typeEEEZZNS1_27merge_sort_block_merge_implIS3_N6thrust23THRUST_200600_302600_NS6detail15normal_iteratorINS9_10device_ptrIjEEEEPS5_m11less_div_10IjEEE10hipError_tT0_T1_T2_jT3_P12ihipStream_tbPNSt15iterator_traitsISJ_E10value_typeEPNSP_ISK_E10value_typeEPSL_NS1_7vsmem_tEENKUlT_SJ_SK_SL_E_clIPjSE_SF_SF_EESI_SY_SJ_SK_SL_EUlSY_E1_NS1_11comp_targetILNS1_3genE4ELNS1_11target_archE910ELNS1_3gpuE8ELNS1_3repE0EEENS1_36merge_oddeven_config_static_selectorELNS0_4arch9wavefront6targetE0EEEvSK_.has_recursion, 0
	.set _ZN7rocprim17ROCPRIM_400000_NS6detail17trampoline_kernelINS0_14default_configENS1_38merge_sort_block_merge_config_selectorIjNS0_10empty_typeEEEZZNS1_27merge_sort_block_merge_implIS3_N6thrust23THRUST_200600_302600_NS6detail15normal_iteratorINS9_10device_ptrIjEEEEPS5_m11less_div_10IjEEE10hipError_tT0_T1_T2_jT3_P12ihipStream_tbPNSt15iterator_traitsISJ_E10value_typeEPNSP_ISK_E10value_typeEPSL_NS1_7vsmem_tEENKUlT_SJ_SK_SL_E_clIPjSE_SF_SF_EESI_SY_SJ_SK_SL_EUlSY_E1_NS1_11comp_targetILNS1_3genE4ELNS1_11target_archE910ELNS1_3gpuE8ELNS1_3repE0EEENS1_36merge_oddeven_config_static_selectorELNS0_4arch9wavefront6targetE0EEEvSK_.has_indirect_call, 0
	.section	.AMDGPU.csdata,"",@progbits
; Kernel info:
; codeLenInByte = 0
; TotalNumSgprs: 0
; NumVgprs: 0
; ScratchSize: 0
; MemoryBound: 0
; FloatMode: 240
; IeeeMode: 1
; LDSByteSize: 0 bytes/workgroup (compile time only)
; SGPRBlocks: 0
; VGPRBlocks: 0
; NumSGPRsForWavesPerEU: 1
; NumVGPRsForWavesPerEU: 1
; Occupancy: 16
; WaveLimiterHint : 0
; COMPUTE_PGM_RSRC2:SCRATCH_EN: 0
; COMPUTE_PGM_RSRC2:USER_SGPR: 6
; COMPUTE_PGM_RSRC2:TRAP_HANDLER: 0
; COMPUTE_PGM_RSRC2:TGID_X_EN: 1
; COMPUTE_PGM_RSRC2:TGID_Y_EN: 0
; COMPUTE_PGM_RSRC2:TGID_Z_EN: 0
; COMPUTE_PGM_RSRC2:TIDIG_COMP_CNT: 0
	.section	.text._ZN7rocprim17ROCPRIM_400000_NS6detail17trampoline_kernelINS0_14default_configENS1_38merge_sort_block_merge_config_selectorIjNS0_10empty_typeEEEZZNS1_27merge_sort_block_merge_implIS3_N6thrust23THRUST_200600_302600_NS6detail15normal_iteratorINS9_10device_ptrIjEEEEPS5_m11less_div_10IjEEE10hipError_tT0_T1_T2_jT3_P12ihipStream_tbPNSt15iterator_traitsISJ_E10value_typeEPNSP_ISK_E10value_typeEPSL_NS1_7vsmem_tEENKUlT_SJ_SK_SL_E_clIPjSE_SF_SF_EESI_SY_SJ_SK_SL_EUlSY_E1_NS1_11comp_targetILNS1_3genE3ELNS1_11target_archE908ELNS1_3gpuE7ELNS1_3repE0EEENS1_36merge_oddeven_config_static_selectorELNS0_4arch9wavefront6targetE0EEEvSK_,"axG",@progbits,_ZN7rocprim17ROCPRIM_400000_NS6detail17trampoline_kernelINS0_14default_configENS1_38merge_sort_block_merge_config_selectorIjNS0_10empty_typeEEEZZNS1_27merge_sort_block_merge_implIS3_N6thrust23THRUST_200600_302600_NS6detail15normal_iteratorINS9_10device_ptrIjEEEEPS5_m11less_div_10IjEEE10hipError_tT0_T1_T2_jT3_P12ihipStream_tbPNSt15iterator_traitsISJ_E10value_typeEPNSP_ISK_E10value_typeEPSL_NS1_7vsmem_tEENKUlT_SJ_SK_SL_E_clIPjSE_SF_SF_EESI_SY_SJ_SK_SL_EUlSY_E1_NS1_11comp_targetILNS1_3genE3ELNS1_11target_archE908ELNS1_3gpuE7ELNS1_3repE0EEENS1_36merge_oddeven_config_static_selectorELNS0_4arch9wavefront6targetE0EEEvSK_,comdat
	.protected	_ZN7rocprim17ROCPRIM_400000_NS6detail17trampoline_kernelINS0_14default_configENS1_38merge_sort_block_merge_config_selectorIjNS0_10empty_typeEEEZZNS1_27merge_sort_block_merge_implIS3_N6thrust23THRUST_200600_302600_NS6detail15normal_iteratorINS9_10device_ptrIjEEEEPS5_m11less_div_10IjEEE10hipError_tT0_T1_T2_jT3_P12ihipStream_tbPNSt15iterator_traitsISJ_E10value_typeEPNSP_ISK_E10value_typeEPSL_NS1_7vsmem_tEENKUlT_SJ_SK_SL_E_clIPjSE_SF_SF_EESI_SY_SJ_SK_SL_EUlSY_E1_NS1_11comp_targetILNS1_3genE3ELNS1_11target_archE908ELNS1_3gpuE7ELNS1_3repE0EEENS1_36merge_oddeven_config_static_selectorELNS0_4arch9wavefront6targetE0EEEvSK_ ; -- Begin function _ZN7rocprim17ROCPRIM_400000_NS6detail17trampoline_kernelINS0_14default_configENS1_38merge_sort_block_merge_config_selectorIjNS0_10empty_typeEEEZZNS1_27merge_sort_block_merge_implIS3_N6thrust23THRUST_200600_302600_NS6detail15normal_iteratorINS9_10device_ptrIjEEEEPS5_m11less_div_10IjEEE10hipError_tT0_T1_T2_jT3_P12ihipStream_tbPNSt15iterator_traitsISJ_E10value_typeEPNSP_ISK_E10value_typeEPSL_NS1_7vsmem_tEENKUlT_SJ_SK_SL_E_clIPjSE_SF_SF_EESI_SY_SJ_SK_SL_EUlSY_E1_NS1_11comp_targetILNS1_3genE3ELNS1_11target_archE908ELNS1_3gpuE7ELNS1_3repE0EEENS1_36merge_oddeven_config_static_selectorELNS0_4arch9wavefront6targetE0EEEvSK_
	.globl	_ZN7rocprim17ROCPRIM_400000_NS6detail17trampoline_kernelINS0_14default_configENS1_38merge_sort_block_merge_config_selectorIjNS0_10empty_typeEEEZZNS1_27merge_sort_block_merge_implIS3_N6thrust23THRUST_200600_302600_NS6detail15normal_iteratorINS9_10device_ptrIjEEEEPS5_m11less_div_10IjEEE10hipError_tT0_T1_T2_jT3_P12ihipStream_tbPNSt15iterator_traitsISJ_E10value_typeEPNSP_ISK_E10value_typeEPSL_NS1_7vsmem_tEENKUlT_SJ_SK_SL_E_clIPjSE_SF_SF_EESI_SY_SJ_SK_SL_EUlSY_E1_NS1_11comp_targetILNS1_3genE3ELNS1_11target_archE908ELNS1_3gpuE7ELNS1_3repE0EEENS1_36merge_oddeven_config_static_selectorELNS0_4arch9wavefront6targetE0EEEvSK_
	.p2align	8
	.type	_ZN7rocprim17ROCPRIM_400000_NS6detail17trampoline_kernelINS0_14default_configENS1_38merge_sort_block_merge_config_selectorIjNS0_10empty_typeEEEZZNS1_27merge_sort_block_merge_implIS3_N6thrust23THRUST_200600_302600_NS6detail15normal_iteratorINS9_10device_ptrIjEEEEPS5_m11less_div_10IjEEE10hipError_tT0_T1_T2_jT3_P12ihipStream_tbPNSt15iterator_traitsISJ_E10value_typeEPNSP_ISK_E10value_typeEPSL_NS1_7vsmem_tEENKUlT_SJ_SK_SL_E_clIPjSE_SF_SF_EESI_SY_SJ_SK_SL_EUlSY_E1_NS1_11comp_targetILNS1_3genE3ELNS1_11target_archE908ELNS1_3gpuE7ELNS1_3repE0EEENS1_36merge_oddeven_config_static_selectorELNS0_4arch9wavefront6targetE0EEEvSK_,@function
_ZN7rocprim17ROCPRIM_400000_NS6detail17trampoline_kernelINS0_14default_configENS1_38merge_sort_block_merge_config_selectorIjNS0_10empty_typeEEEZZNS1_27merge_sort_block_merge_implIS3_N6thrust23THRUST_200600_302600_NS6detail15normal_iteratorINS9_10device_ptrIjEEEEPS5_m11less_div_10IjEEE10hipError_tT0_T1_T2_jT3_P12ihipStream_tbPNSt15iterator_traitsISJ_E10value_typeEPNSP_ISK_E10value_typeEPSL_NS1_7vsmem_tEENKUlT_SJ_SK_SL_E_clIPjSE_SF_SF_EESI_SY_SJ_SK_SL_EUlSY_E1_NS1_11comp_targetILNS1_3genE3ELNS1_11target_archE908ELNS1_3gpuE7ELNS1_3repE0EEENS1_36merge_oddeven_config_static_selectorELNS0_4arch9wavefront6targetE0EEEvSK_: ; @_ZN7rocprim17ROCPRIM_400000_NS6detail17trampoline_kernelINS0_14default_configENS1_38merge_sort_block_merge_config_selectorIjNS0_10empty_typeEEEZZNS1_27merge_sort_block_merge_implIS3_N6thrust23THRUST_200600_302600_NS6detail15normal_iteratorINS9_10device_ptrIjEEEEPS5_m11less_div_10IjEEE10hipError_tT0_T1_T2_jT3_P12ihipStream_tbPNSt15iterator_traitsISJ_E10value_typeEPNSP_ISK_E10value_typeEPSL_NS1_7vsmem_tEENKUlT_SJ_SK_SL_E_clIPjSE_SF_SF_EESI_SY_SJ_SK_SL_EUlSY_E1_NS1_11comp_targetILNS1_3genE3ELNS1_11target_archE908ELNS1_3gpuE7ELNS1_3repE0EEENS1_36merge_oddeven_config_static_selectorELNS0_4arch9wavefront6targetE0EEEvSK_
; %bb.0:
	.section	.rodata,"a",@progbits
	.p2align	6, 0x0
	.amdhsa_kernel _ZN7rocprim17ROCPRIM_400000_NS6detail17trampoline_kernelINS0_14default_configENS1_38merge_sort_block_merge_config_selectorIjNS0_10empty_typeEEEZZNS1_27merge_sort_block_merge_implIS3_N6thrust23THRUST_200600_302600_NS6detail15normal_iteratorINS9_10device_ptrIjEEEEPS5_m11less_div_10IjEEE10hipError_tT0_T1_T2_jT3_P12ihipStream_tbPNSt15iterator_traitsISJ_E10value_typeEPNSP_ISK_E10value_typeEPSL_NS1_7vsmem_tEENKUlT_SJ_SK_SL_E_clIPjSE_SF_SF_EESI_SY_SJ_SK_SL_EUlSY_E1_NS1_11comp_targetILNS1_3genE3ELNS1_11target_archE908ELNS1_3gpuE7ELNS1_3repE0EEENS1_36merge_oddeven_config_static_selectorELNS0_4arch9wavefront6targetE0EEEvSK_
		.amdhsa_group_segment_fixed_size 0
		.amdhsa_private_segment_fixed_size 0
		.amdhsa_kernarg_size 56
		.amdhsa_user_sgpr_count 6
		.amdhsa_user_sgpr_private_segment_buffer 1
		.amdhsa_user_sgpr_dispatch_ptr 0
		.amdhsa_user_sgpr_queue_ptr 0
		.amdhsa_user_sgpr_kernarg_segment_ptr 1
		.amdhsa_user_sgpr_dispatch_id 0
		.amdhsa_user_sgpr_flat_scratch_init 0
		.amdhsa_user_sgpr_private_segment_size 0
		.amdhsa_wavefront_size32 1
		.amdhsa_uses_dynamic_stack 0
		.amdhsa_system_sgpr_private_segment_wavefront_offset 0
		.amdhsa_system_sgpr_workgroup_id_x 1
		.amdhsa_system_sgpr_workgroup_id_y 0
		.amdhsa_system_sgpr_workgroup_id_z 0
		.amdhsa_system_sgpr_workgroup_info 0
		.amdhsa_system_vgpr_workitem_id 0
		.amdhsa_next_free_vgpr 1
		.amdhsa_next_free_sgpr 1
		.amdhsa_reserve_vcc 0
		.amdhsa_reserve_flat_scratch 0
		.amdhsa_float_round_mode_32 0
		.amdhsa_float_round_mode_16_64 0
		.amdhsa_float_denorm_mode_32 3
		.amdhsa_float_denorm_mode_16_64 3
		.amdhsa_dx10_clamp 1
		.amdhsa_ieee_mode 1
		.amdhsa_fp16_overflow 0
		.amdhsa_workgroup_processor_mode 1
		.amdhsa_memory_ordered 1
		.amdhsa_forward_progress 1
		.amdhsa_shared_vgpr_count 0
		.amdhsa_exception_fp_ieee_invalid_op 0
		.amdhsa_exception_fp_denorm_src 0
		.amdhsa_exception_fp_ieee_div_zero 0
		.amdhsa_exception_fp_ieee_overflow 0
		.amdhsa_exception_fp_ieee_underflow 0
		.amdhsa_exception_fp_ieee_inexact 0
		.amdhsa_exception_int_div_zero 0
	.end_amdhsa_kernel
	.section	.text._ZN7rocprim17ROCPRIM_400000_NS6detail17trampoline_kernelINS0_14default_configENS1_38merge_sort_block_merge_config_selectorIjNS0_10empty_typeEEEZZNS1_27merge_sort_block_merge_implIS3_N6thrust23THRUST_200600_302600_NS6detail15normal_iteratorINS9_10device_ptrIjEEEEPS5_m11less_div_10IjEEE10hipError_tT0_T1_T2_jT3_P12ihipStream_tbPNSt15iterator_traitsISJ_E10value_typeEPNSP_ISK_E10value_typeEPSL_NS1_7vsmem_tEENKUlT_SJ_SK_SL_E_clIPjSE_SF_SF_EESI_SY_SJ_SK_SL_EUlSY_E1_NS1_11comp_targetILNS1_3genE3ELNS1_11target_archE908ELNS1_3gpuE7ELNS1_3repE0EEENS1_36merge_oddeven_config_static_selectorELNS0_4arch9wavefront6targetE0EEEvSK_,"axG",@progbits,_ZN7rocprim17ROCPRIM_400000_NS6detail17trampoline_kernelINS0_14default_configENS1_38merge_sort_block_merge_config_selectorIjNS0_10empty_typeEEEZZNS1_27merge_sort_block_merge_implIS3_N6thrust23THRUST_200600_302600_NS6detail15normal_iteratorINS9_10device_ptrIjEEEEPS5_m11less_div_10IjEEE10hipError_tT0_T1_T2_jT3_P12ihipStream_tbPNSt15iterator_traitsISJ_E10value_typeEPNSP_ISK_E10value_typeEPSL_NS1_7vsmem_tEENKUlT_SJ_SK_SL_E_clIPjSE_SF_SF_EESI_SY_SJ_SK_SL_EUlSY_E1_NS1_11comp_targetILNS1_3genE3ELNS1_11target_archE908ELNS1_3gpuE7ELNS1_3repE0EEENS1_36merge_oddeven_config_static_selectorELNS0_4arch9wavefront6targetE0EEEvSK_,comdat
.Lfunc_end167:
	.size	_ZN7rocprim17ROCPRIM_400000_NS6detail17trampoline_kernelINS0_14default_configENS1_38merge_sort_block_merge_config_selectorIjNS0_10empty_typeEEEZZNS1_27merge_sort_block_merge_implIS3_N6thrust23THRUST_200600_302600_NS6detail15normal_iteratorINS9_10device_ptrIjEEEEPS5_m11less_div_10IjEEE10hipError_tT0_T1_T2_jT3_P12ihipStream_tbPNSt15iterator_traitsISJ_E10value_typeEPNSP_ISK_E10value_typeEPSL_NS1_7vsmem_tEENKUlT_SJ_SK_SL_E_clIPjSE_SF_SF_EESI_SY_SJ_SK_SL_EUlSY_E1_NS1_11comp_targetILNS1_3genE3ELNS1_11target_archE908ELNS1_3gpuE7ELNS1_3repE0EEENS1_36merge_oddeven_config_static_selectorELNS0_4arch9wavefront6targetE0EEEvSK_, .Lfunc_end167-_ZN7rocprim17ROCPRIM_400000_NS6detail17trampoline_kernelINS0_14default_configENS1_38merge_sort_block_merge_config_selectorIjNS0_10empty_typeEEEZZNS1_27merge_sort_block_merge_implIS3_N6thrust23THRUST_200600_302600_NS6detail15normal_iteratorINS9_10device_ptrIjEEEEPS5_m11less_div_10IjEEE10hipError_tT0_T1_T2_jT3_P12ihipStream_tbPNSt15iterator_traitsISJ_E10value_typeEPNSP_ISK_E10value_typeEPSL_NS1_7vsmem_tEENKUlT_SJ_SK_SL_E_clIPjSE_SF_SF_EESI_SY_SJ_SK_SL_EUlSY_E1_NS1_11comp_targetILNS1_3genE3ELNS1_11target_archE908ELNS1_3gpuE7ELNS1_3repE0EEENS1_36merge_oddeven_config_static_selectorELNS0_4arch9wavefront6targetE0EEEvSK_
                                        ; -- End function
	.set _ZN7rocprim17ROCPRIM_400000_NS6detail17trampoline_kernelINS0_14default_configENS1_38merge_sort_block_merge_config_selectorIjNS0_10empty_typeEEEZZNS1_27merge_sort_block_merge_implIS3_N6thrust23THRUST_200600_302600_NS6detail15normal_iteratorINS9_10device_ptrIjEEEEPS5_m11less_div_10IjEEE10hipError_tT0_T1_T2_jT3_P12ihipStream_tbPNSt15iterator_traitsISJ_E10value_typeEPNSP_ISK_E10value_typeEPSL_NS1_7vsmem_tEENKUlT_SJ_SK_SL_E_clIPjSE_SF_SF_EESI_SY_SJ_SK_SL_EUlSY_E1_NS1_11comp_targetILNS1_3genE3ELNS1_11target_archE908ELNS1_3gpuE7ELNS1_3repE0EEENS1_36merge_oddeven_config_static_selectorELNS0_4arch9wavefront6targetE0EEEvSK_.num_vgpr, 0
	.set _ZN7rocprim17ROCPRIM_400000_NS6detail17trampoline_kernelINS0_14default_configENS1_38merge_sort_block_merge_config_selectorIjNS0_10empty_typeEEEZZNS1_27merge_sort_block_merge_implIS3_N6thrust23THRUST_200600_302600_NS6detail15normal_iteratorINS9_10device_ptrIjEEEEPS5_m11less_div_10IjEEE10hipError_tT0_T1_T2_jT3_P12ihipStream_tbPNSt15iterator_traitsISJ_E10value_typeEPNSP_ISK_E10value_typeEPSL_NS1_7vsmem_tEENKUlT_SJ_SK_SL_E_clIPjSE_SF_SF_EESI_SY_SJ_SK_SL_EUlSY_E1_NS1_11comp_targetILNS1_3genE3ELNS1_11target_archE908ELNS1_3gpuE7ELNS1_3repE0EEENS1_36merge_oddeven_config_static_selectorELNS0_4arch9wavefront6targetE0EEEvSK_.num_agpr, 0
	.set _ZN7rocprim17ROCPRIM_400000_NS6detail17trampoline_kernelINS0_14default_configENS1_38merge_sort_block_merge_config_selectorIjNS0_10empty_typeEEEZZNS1_27merge_sort_block_merge_implIS3_N6thrust23THRUST_200600_302600_NS6detail15normal_iteratorINS9_10device_ptrIjEEEEPS5_m11less_div_10IjEEE10hipError_tT0_T1_T2_jT3_P12ihipStream_tbPNSt15iterator_traitsISJ_E10value_typeEPNSP_ISK_E10value_typeEPSL_NS1_7vsmem_tEENKUlT_SJ_SK_SL_E_clIPjSE_SF_SF_EESI_SY_SJ_SK_SL_EUlSY_E1_NS1_11comp_targetILNS1_3genE3ELNS1_11target_archE908ELNS1_3gpuE7ELNS1_3repE0EEENS1_36merge_oddeven_config_static_selectorELNS0_4arch9wavefront6targetE0EEEvSK_.numbered_sgpr, 0
	.set _ZN7rocprim17ROCPRIM_400000_NS6detail17trampoline_kernelINS0_14default_configENS1_38merge_sort_block_merge_config_selectorIjNS0_10empty_typeEEEZZNS1_27merge_sort_block_merge_implIS3_N6thrust23THRUST_200600_302600_NS6detail15normal_iteratorINS9_10device_ptrIjEEEEPS5_m11less_div_10IjEEE10hipError_tT0_T1_T2_jT3_P12ihipStream_tbPNSt15iterator_traitsISJ_E10value_typeEPNSP_ISK_E10value_typeEPSL_NS1_7vsmem_tEENKUlT_SJ_SK_SL_E_clIPjSE_SF_SF_EESI_SY_SJ_SK_SL_EUlSY_E1_NS1_11comp_targetILNS1_3genE3ELNS1_11target_archE908ELNS1_3gpuE7ELNS1_3repE0EEENS1_36merge_oddeven_config_static_selectorELNS0_4arch9wavefront6targetE0EEEvSK_.num_named_barrier, 0
	.set _ZN7rocprim17ROCPRIM_400000_NS6detail17trampoline_kernelINS0_14default_configENS1_38merge_sort_block_merge_config_selectorIjNS0_10empty_typeEEEZZNS1_27merge_sort_block_merge_implIS3_N6thrust23THRUST_200600_302600_NS6detail15normal_iteratorINS9_10device_ptrIjEEEEPS5_m11less_div_10IjEEE10hipError_tT0_T1_T2_jT3_P12ihipStream_tbPNSt15iterator_traitsISJ_E10value_typeEPNSP_ISK_E10value_typeEPSL_NS1_7vsmem_tEENKUlT_SJ_SK_SL_E_clIPjSE_SF_SF_EESI_SY_SJ_SK_SL_EUlSY_E1_NS1_11comp_targetILNS1_3genE3ELNS1_11target_archE908ELNS1_3gpuE7ELNS1_3repE0EEENS1_36merge_oddeven_config_static_selectorELNS0_4arch9wavefront6targetE0EEEvSK_.private_seg_size, 0
	.set _ZN7rocprim17ROCPRIM_400000_NS6detail17trampoline_kernelINS0_14default_configENS1_38merge_sort_block_merge_config_selectorIjNS0_10empty_typeEEEZZNS1_27merge_sort_block_merge_implIS3_N6thrust23THRUST_200600_302600_NS6detail15normal_iteratorINS9_10device_ptrIjEEEEPS5_m11less_div_10IjEEE10hipError_tT0_T1_T2_jT3_P12ihipStream_tbPNSt15iterator_traitsISJ_E10value_typeEPNSP_ISK_E10value_typeEPSL_NS1_7vsmem_tEENKUlT_SJ_SK_SL_E_clIPjSE_SF_SF_EESI_SY_SJ_SK_SL_EUlSY_E1_NS1_11comp_targetILNS1_3genE3ELNS1_11target_archE908ELNS1_3gpuE7ELNS1_3repE0EEENS1_36merge_oddeven_config_static_selectorELNS0_4arch9wavefront6targetE0EEEvSK_.uses_vcc, 0
	.set _ZN7rocprim17ROCPRIM_400000_NS6detail17trampoline_kernelINS0_14default_configENS1_38merge_sort_block_merge_config_selectorIjNS0_10empty_typeEEEZZNS1_27merge_sort_block_merge_implIS3_N6thrust23THRUST_200600_302600_NS6detail15normal_iteratorINS9_10device_ptrIjEEEEPS5_m11less_div_10IjEEE10hipError_tT0_T1_T2_jT3_P12ihipStream_tbPNSt15iterator_traitsISJ_E10value_typeEPNSP_ISK_E10value_typeEPSL_NS1_7vsmem_tEENKUlT_SJ_SK_SL_E_clIPjSE_SF_SF_EESI_SY_SJ_SK_SL_EUlSY_E1_NS1_11comp_targetILNS1_3genE3ELNS1_11target_archE908ELNS1_3gpuE7ELNS1_3repE0EEENS1_36merge_oddeven_config_static_selectorELNS0_4arch9wavefront6targetE0EEEvSK_.uses_flat_scratch, 0
	.set _ZN7rocprim17ROCPRIM_400000_NS6detail17trampoline_kernelINS0_14default_configENS1_38merge_sort_block_merge_config_selectorIjNS0_10empty_typeEEEZZNS1_27merge_sort_block_merge_implIS3_N6thrust23THRUST_200600_302600_NS6detail15normal_iteratorINS9_10device_ptrIjEEEEPS5_m11less_div_10IjEEE10hipError_tT0_T1_T2_jT3_P12ihipStream_tbPNSt15iterator_traitsISJ_E10value_typeEPNSP_ISK_E10value_typeEPSL_NS1_7vsmem_tEENKUlT_SJ_SK_SL_E_clIPjSE_SF_SF_EESI_SY_SJ_SK_SL_EUlSY_E1_NS1_11comp_targetILNS1_3genE3ELNS1_11target_archE908ELNS1_3gpuE7ELNS1_3repE0EEENS1_36merge_oddeven_config_static_selectorELNS0_4arch9wavefront6targetE0EEEvSK_.has_dyn_sized_stack, 0
	.set _ZN7rocprim17ROCPRIM_400000_NS6detail17trampoline_kernelINS0_14default_configENS1_38merge_sort_block_merge_config_selectorIjNS0_10empty_typeEEEZZNS1_27merge_sort_block_merge_implIS3_N6thrust23THRUST_200600_302600_NS6detail15normal_iteratorINS9_10device_ptrIjEEEEPS5_m11less_div_10IjEEE10hipError_tT0_T1_T2_jT3_P12ihipStream_tbPNSt15iterator_traitsISJ_E10value_typeEPNSP_ISK_E10value_typeEPSL_NS1_7vsmem_tEENKUlT_SJ_SK_SL_E_clIPjSE_SF_SF_EESI_SY_SJ_SK_SL_EUlSY_E1_NS1_11comp_targetILNS1_3genE3ELNS1_11target_archE908ELNS1_3gpuE7ELNS1_3repE0EEENS1_36merge_oddeven_config_static_selectorELNS0_4arch9wavefront6targetE0EEEvSK_.has_recursion, 0
	.set _ZN7rocprim17ROCPRIM_400000_NS6detail17trampoline_kernelINS0_14default_configENS1_38merge_sort_block_merge_config_selectorIjNS0_10empty_typeEEEZZNS1_27merge_sort_block_merge_implIS3_N6thrust23THRUST_200600_302600_NS6detail15normal_iteratorINS9_10device_ptrIjEEEEPS5_m11less_div_10IjEEE10hipError_tT0_T1_T2_jT3_P12ihipStream_tbPNSt15iterator_traitsISJ_E10value_typeEPNSP_ISK_E10value_typeEPSL_NS1_7vsmem_tEENKUlT_SJ_SK_SL_E_clIPjSE_SF_SF_EESI_SY_SJ_SK_SL_EUlSY_E1_NS1_11comp_targetILNS1_3genE3ELNS1_11target_archE908ELNS1_3gpuE7ELNS1_3repE0EEENS1_36merge_oddeven_config_static_selectorELNS0_4arch9wavefront6targetE0EEEvSK_.has_indirect_call, 0
	.section	.AMDGPU.csdata,"",@progbits
; Kernel info:
; codeLenInByte = 0
; TotalNumSgprs: 0
; NumVgprs: 0
; ScratchSize: 0
; MemoryBound: 0
; FloatMode: 240
; IeeeMode: 1
; LDSByteSize: 0 bytes/workgroup (compile time only)
; SGPRBlocks: 0
; VGPRBlocks: 0
; NumSGPRsForWavesPerEU: 1
; NumVGPRsForWavesPerEU: 1
; Occupancy: 16
; WaveLimiterHint : 0
; COMPUTE_PGM_RSRC2:SCRATCH_EN: 0
; COMPUTE_PGM_RSRC2:USER_SGPR: 6
; COMPUTE_PGM_RSRC2:TRAP_HANDLER: 0
; COMPUTE_PGM_RSRC2:TGID_X_EN: 1
; COMPUTE_PGM_RSRC2:TGID_Y_EN: 0
; COMPUTE_PGM_RSRC2:TGID_Z_EN: 0
; COMPUTE_PGM_RSRC2:TIDIG_COMP_CNT: 0
	.section	.text._ZN7rocprim17ROCPRIM_400000_NS6detail17trampoline_kernelINS0_14default_configENS1_38merge_sort_block_merge_config_selectorIjNS0_10empty_typeEEEZZNS1_27merge_sort_block_merge_implIS3_N6thrust23THRUST_200600_302600_NS6detail15normal_iteratorINS9_10device_ptrIjEEEEPS5_m11less_div_10IjEEE10hipError_tT0_T1_T2_jT3_P12ihipStream_tbPNSt15iterator_traitsISJ_E10value_typeEPNSP_ISK_E10value_typeEPSL_NS1_7vsmem_tEENKUlT_SJ_SK_SL_E_clIPjSE_SF_SF_EESI_SY_SJ_SK_SL_EUlSY_E1_NS1_11comp_targetILNS1_3genE2ELNS1_11target_archE906ELNS1_3gpuE6ELNS1_3repE0EEENS1_36merge_oddeven_config_static_selectorELNS0_4arch9wavefront6targetE0EEEvSK_,"axG",@progbits,_ZN7rocprim17ROCPRIM_400000_NS6detail17trampoline_kernelINS0_14default_configENS1_38merge_sort_block_merge_config_selectorIjNS0_10empty_typeEEEZZNS1_27merge_sort_block_merge_implIS3_N6thrust23THRUST_200600_302600_NS6detail15normal_iteratorINS9_10device_ptrIjEEEEPS5_m11less_div_10IjEEE10hipError_tT0_T1_T2_jT3_P12ihipStream_tbPNSt15iterator_traitsISJ_E10value_typeEPNSP_ISK_E10value_typeEPSL_NS1_7vsmem_tEENKUlT_SJ_SK_SL_E_clIPjSE_SF_SF_EESI_SY_SJ_SK_SL_EUlSY_E1_NS1_11comp_targetILNS1_3genE2ELNS1_11target_archE906ELNS1_3gpuE6ELNS1_3repE0EEENS1_36merge_oddeven_config_static_selectorELNS0_4arch9wavefront6targetE0EEEvSK_,comdat
	.protected	_ZN7rocprim17ROCPRIM_400000_NS6detail17trampoline_kernelINS0_14default_configENS1_38merge_sort_block_merge_config_selectorIjNS0_10empty_typeEEEZZNS1_27merge_sort_block_merge_implIS3_N6thrust23THRUST_200600_302600_NS6detail15normal_iteratorINS9_10device_ptrIjEEEEPS5_m11less_div_10IjEEE10hipError_tT0_T1_T2_jT3_P12ihipStream_tbPNSt15iterator_traitsISJ_E10value_typeEPNSP_ISK_E10value_typeEPSL_NS1_7vsmem_tEENKUlT_SJ_SK_SL_E_clIPjSE_SF_SF_EESI_SY_SJ_SK_SL_EUlSY_E1_NS1_11comp_targetILNS1_3genE2ELNS1_11target_archE906ELNS1_3gpuE6ELNS1_3repE0EEENS1_36merge_oddeven_config_static_selectorELNS0_4arch9wavefront6targetE0EEEvSK_ ; -- Begin function _ZN7rocprim17ROCPRIM_400000_NS6detail17trampoline_kernelINS0_14default_configENS1_38merge_sort_block_merge_config_selectorIjNS0_10empty_typeEEEZZNS1_27merge_sort_block_merge_implIS3_N6thrust23THRUST_200600_302600_NS6detail15normal_iteratorINS9_10device_ptrIjEEEEPS5_m11less_div_10IjEEE10hipError_tT0_T1_T2_jT3_P12ihipStream_tbPNSt15iterator_traitsISJ_E10value_typeEPNSP_ISK_E10value_typeEPSL_NS1_7vsmem_tEENKUlT_SJ_SK_SL_E_clIPjSE_SF_SF_EESI_SY_SJ_SK_SL_EUlSY_E1_NS1_11comp_targetILNS1_3genE2ELNS1_11target_archE906ELNS1_3gpuE6ELNS1_3repE0EEENS1_36merge_oddeven_config_static_selectorELNS0_4arch9wavefront6targetE0EEEvSK_
	.globl	_ZN7rocprim17ROCPRIM_400000_NS6detail17trampoline_kernelINS0_14default_configENS1_38merge_sort_block_merge_config_selectorIjNS0_10empty_typeEEEZZNS1_27merge_sort_block_merge_implIS3_N6thrust23THRUST_200600_302600_NS6detail15normal_iteratorINS9_10device_ptrIjEEEEPS5_m11less_div_10IjEEE10hipError_tT0_T1_T2_jT3_P12ihipStream_tbPNSt15iterator_traitsISJ_E10value_typeEPNSP_ISK_E10value_typeEPSL_NS1_7vsmem_tEENKUlT_SJ_SK_SL_E_clIPjSE_SF_SF_EESI_SY_SJ_SK_SL_EUlSY_E1_NS1_11comp_targetILNS1_3genE2ELNS1_11target_archE906ELNS1_3gpuE6ELNS1_3repE0EEENS1_36merge_oddeven_config_static_selectorELNS0_4arch9wavefront6targetE0EEEvSK_
	.p2align	8
	.type	_ZN7rocprim17ROCPRIM_400000_NS6detail17trampoline_kernelINS0_14default_configENS1_38merge_sort_block_merge_config_selectorIjNS0_10empty_typeEEEZZNS1_27merge_sort_block_merge_implIS3_N6thrust23THRUST_200600_302600_NS6detail15normal_iteratorINS9_10device_ptrIjEEEEPS5_m11less_div_10IjEEE10hipError_tT0_T1_T2_jT3_P12ihipStream_tbPNSt15iterator_traitsISJ_E10value_typeEPNSP_ISK_E10value_typeEPSL_NS1_7vsmem_tEENKUlT_SJ_SK_SL_E_clIPjSE_SF_SF_EESI_SY_SJ_SK_SL_EUlSY_E1_NS1_11comp_targetILNS1_3genE2ELNS1_11target_archE906ELNS1_3gpuE6ELNS1_3repE0EEENS1_36merge_oddeven_config_static_selectorELNS0_4arch9wavefront6targetE0EEEvSK_,@function
_ZN7rocprim17ROCPRIM_400000_NS6detail17trampoline_kernelINS0_14default_configENS1_38merge_sort_block_merge_config_selectorIjNS0_10empty_typeEEEZZNS1_27merge_sort_block_merge_implIS3_N6thrust23THRUST_200600_302600_NS6detail15normal_iteratorINS9_10device_ptrIjEEEEPS5_m11less_div_10IjEEE10hipError_tT0_T1_T2_jT3_P12ihipStream_tbPNSt15iterator_traitsISJ_E10value_typeEPNSP_ISK_E10value_typeEPSL_NS1_7vsmem_tEENKUlT_SJ_SK_SL_E_clIPjSE_SF_SF_EESI_SY_SJ_SK_SL_EUlSY_E1_NS1_11comp_targetILNS1_3genE2ELNS1_11target_archE906ELNS1_3gpuE6ELNS1_3repE0EEENS1_36merge_oddeven_config_static_selectorELNS0_4arch9wavefront6targetE0EEEvSK_: ; @_ZN7rocprim17ROCPRIM_400000_NS6detail17trampoline_kernelINS0_14default_configENS1_38merge_sort_block_merge_config_selectorIjNS0_10empty_typeEEEZZNS1_27merge_sort_block_merge_implIS3_N6thrust23THRUST_200600_302600_NS6detail15normal_iteratorINS9_10device_ptrIjEEEEPS5_m11less_div_10IjEEE10hipError_tT0_T1_T2_jT3_P12ihipStream_tbPNSt15iterator_traitsISJ_E10value_typeEPNSP_ISK_E10value_typeEPSL_NS1_7vsmem_tEENKUlT_SJ_SK_SL_E_clIPjSE_SF_SF_EESI_SY_SJ_SK_SL_EUlSY_E1_NS1_11comp_targetILNS1_3genE2ELNS1_11target_archE906ELNS1_3gpuE6ELNS1_3repE0EEENS1_36merge_oddeven_config_static_selectorELNS0_4arch9wavefront6targetE0EEEvSK_
; %bb.0:
	.section	.rodata,"a",@progbits
	.p2align	6, 0x0
	.amdhsa_kernel _ZN7rocprim17ROCPRIM_400000_NS6detail17trampoline_kernelINS0_14default_configENS1_38merge_sort_block_merge_config_selectorIjNS0_10empty_typeEEEZZNS1_27merge_sort_block_merge_implIS3_N6thrust23THRUST_200600_302600_NS6detail15normal_iteratorINS9_10device_ptrIjEEEEPS5_m11less_div_10IjEEE10hipError_tT0_T1_T2_jT3_P12ihipStream_tbPNSt15iterator_traitsISJ_E10value_typeEPNSP_ISK_E10value_typeEPSL_NS1_7vsmem_tEENKUlT_SJ_SK_SL_E_clIPjSE_SF_SF_EESI_SY_SJ_SK_SL_EUlSY_E1_NS1_11comp_targetILNS1_3genE2ELNS1_11target_archE906ELNS1_3gpuE6ELNS1_3repE0EEENS1_36merge_oddeven_config_static_selectorELNS0_4arch9wavefront6targetE0EEEvSK_
		.amdhsa_group_segment_fixed_size 0
		.amdhsa_private_segment_fixed_size 0
		.amdhsa_kernarg_size 56
		.amdhsa_user_sgpr_count 6
		.amdhsa_user_sgpr_private_segment_buffer 1
		.amdhsa_user_sgpr_dispatch_ptr 0
		.amdhsa_user_sgpr_queue_ptr 0
		.amdhsa_user_sgpr_kernarg_segment_ptr 1
		.amdhsa_user_sgpr_dispatch_id 0
		.amdhsa_user_sgpr_flat_scratch_init 0
		.amdhsa_user_sgpr_private_segment_size 0
		.amdhsa_wavefront_size32 1
		.amdhsa_uses_dynamic_stack 0
		.amdhsa_system_sgpr_private_segment_wavefront_offset 0
		.amdhsa_system_sgpr_workgroup_id_x 1
		.amdhsa_system_sgpr_workgroup_id_y 0
		.amdhsa_system_sgpr_workgroup_id_z 0
		.amdhsa_system_sgpr_workgroup_info 0
		.amdhsa_system_vgpr_workitem_id 0
		.amdhsa_next_free_vgpr 1
		.amdhsa_next_free_sgpr 1
		.amdhsa_reserve_vcc 0
		.amdhsa_reserve_flat_scratch 0
		.amdhsa_float_round_mode_32 0
		.amdhsa_float_round_mode_16_64 0
		.amdhsa_float_denorm_mode_32 3
		.amdhsa_float_denorm_mode_16_64 3
		.amdhsa_dx10_clamp 1
		.amdhsa_ieee_mode 1
		.amdhsa_fp16_overflow 0
		.amdhsa_workgroup_processor_mode 1
		.amdhsa_memory_ordered 1
		.amdhsa_forward_progress 1
		.amdhsa_shared_vgpr_count 0
		.amdhsa_exception_fp_ieee_invalid_op 0
		.amdhsa_exception_fp_denorm_src 0
		.amdhsa_exception_fp_ieee_div_zero 0
		.amdhsa_exception_fp_ieee_overflow 0
		.amdhsa_exception_fp_ieee_underflow 0
		.amdhsa_exception_fp_ieee_inexact 0
		.amdhsa_exception_int_div_zero 0
	.end_amdhsa_kernel
	.section	.text._ZN7rocprim17ROCPRIM_400000_NS6detail17trampoline_kernelINS0_14default_configENS1_38merge_sort_block_merge_config_selectorIjNS0_10empty_typeEEEZZNS1_27merge_sort_block_merge_implIS3_N6thrust23THRUST_200600_302600_NS6detail15normal_iteratorINS9_10device_ptrIjEEEEPS5_m11less_div_10IjEEE10hipError_tT0_T1_T2_jT3_P12ihipStream_tbPNSt15iterator_traitsISJ_E10value_typeEPNSP_ISK_E10value_typeEPSL_NS1_7vsmem_tEENKUlT_SJ_SK_SL_E_clIPjSE_SF_SF_EESI_SY_SJ_SK_SL_EUlSY_E1_NS1_11comp_targetILNS1_3genE2ELNS1_11target_archE906ELNS1_3gpuE6ELNS1_3repE0EEENS1_36merge_oddeven_config_static_selectorELNS0_4arch9wavefront6targetE0EEEvSK_,"axG",@progbits,_ZN7rocprim17ROCPRIM_400000_NS6detail17trampoline_kernelINS0_14default_configENS1_38merge_sort_block_merge_config_selectorIjNS0_10empty_typeEEEZZNS1_27merge_sort_block_merge_implIS3_N6thrust23THRUST_200600_302600_NS6detail15normal_iteratorINS9_10device_ptrIjEEEEPS5_m11less_div_10IjEEE10hipError_tT0_T1_T2_jT3_P12ihipStream_tbPNSt15iterator_traitsISJ_E10value_typeEPNSP_ISK_E10value_typeEPSL_NS1_7vsmem_tEENKUlT_SJ_SK_SL_E_clIPjSE_SF_SF_EESI_SY_SJ_SK_SL_EUlSY_E1_NS1_11comp_targetILNS1_3genE2ELNS1_11target_archE906ELNS1_3gpuE6ELNS1_3repE0EEENS1_36merge_oddeven_config_static_selectorELNS0_4arch9wavefront6targetE0EEEvSK_,comdat
.Lfunc_end168:
	.size	_ZN7rocprim17ROCPRIM_400000_NS6detail17trampoline_kernelINS0_14default_configENS1_38merge_sort_block_merge_config_selectorIjNS0_10empty_typeEEEZZNS1_27merge_sort_block_merge_implIS3_N6thrust23THRUST_200600_302600_NS6detail15normal_iteratorINS9_10device_ptrIjEEEEPS5_m11less_div_10IjEEE10hipError_tT0_T1_T2_jT3_P12ihipStream_tbPNSt15iterator_traitsISJ_E10value_typeEPNSP_ISK_E10value_typeEPSL_NS1_7vsmem_tEENKUlT_SJ_SK_SL_E_clIPjSE_SF_SF_EESI_SY_SJ_SK_SL_EUlSY_E1_NS1_11comp_targetILNS1_3genE2ELNS1_11target_archE906ELNS1_3gpuE6ELNS1_3repE0EEENS1_36merge_oddeven_config_static_selectorELNS0_4arch9wavefront6targetE0EEEvSK_, .Lfunc_end168-_ZN7rocprim17ROCPRIM_400000_NS6detail17trampoline_kernelINS0_14default_configENS1_38merge_sort_block_merge_config_selectorIjNS0_10empty_typeEEEZZNS1_27merge_sort_block_merge_implIS3_N6thrust23THRUST_200600_302600_NS6detail15normal_iteratorINS9_10device_ptrIjEEEEPS5_m11less_div_10IjEEE10hipError_tT0_T1_T2_jT3_P12ihipStream_tbPNSt15iterator_traitsISJ_E10value_typeEPNSP_ISK_E10value_typeEPSL_NS1_7vsmem_tEENKUlT_SJ_SK_SL_E_clIPjSE_SF_SF_EESI_SY_SJ_SK_SL_EUlSY_E1_NS1_11comp_targetILNS1_3genE2ELNS1_11target_archE906ELNS1_3gpuE6ELNS1_3repE0EEENS1_36merge_oddeven_config_static_selectorELNS0_4arch9wavefront6targetE0EEEvSK_
                                        ; -- End function
	.set _ZN7rocprim17ROCPRIM_400000_NS6detail17trampoline_kernelINS0_14default_configENS1_38merge_sort_block_merge_config_selectorIjNS0_10empty_typeEEEZZNS1_27merge_sort_block_merge_implIS3_N6thrust23THRUST_200600_302600_NS6detail15normal_iteratorINS9_10device_ptrIjEEEEPS5_m11less_div_10IjEEE10hipError_tT0_T1_T2_jT3_P12ihipStream_tbPNSt15iterator_traitsISJ_E10value_typeEPNSP_ISK_E10value_typeEPSL_NS1_7vsmem_tEENKUlT_SJ_SK_SL_E_clIPjSE_SF_SF_EESI_SY_SJ_SK_SL_EUlSY_E1_NS1_11comp_targetILNS1_3genE2ELNS1_11target_archE906ELNS1_3gpuE6ELNS1_3repE0EEENS1_36merge_oddeven_config_static_selectorELNS0_4arch9wavefront6targetE0EEEvSK_.num_vgpr, 0
	.set _ZN7rocprim17ROCPRIM_400000_NS6detail17trampoline_kernelINS0_14default_configENS1_38merge_sort_block_merge_config_selectorIjNS0_10empty_typeEEEZZNS1_27merge_sort_block_merge_implIS3_N6thrust23THRUST_200600_302600_NS6detail15normal_iteratorINS9_10device_ptrIjEEEEPS5_m11less_div_10IjEEE10hipError_tT0_T1_T2_jT3_P12ihipStream_tbPNSt15iterator_traitsISJ_E10value_typeEPNSP_ISK_E10value_typeEPSL_NS1_7vsmem_tEENKUlT_SJ_SK_SL_E_clIPjSE_SF_SF_EESI_SY_SJ_SK_SL_EUlSY_E1_NS1_11comp_targetILNS1_3genE2ELNS1_11target_archE906ELNS1_3gpuE6ELNS1_3repE0EEENS1_36merge_oddeven_config_static_selectorELNS0_4arch9wavefront6targetE0EEEvSK_.num_agpr, 0
	.set _ZN7rocprim17ROCPRIM_400000_NS6detail17trampoline_kernelINS0_14default_configENS1_38merge_sort_block_merge_config_selectorIjNS0_10empty_typeEEEZZNS1_27merge_sort_block_merge_implIS3_N6thrust23THRUST_200600_302600_NS6detail15normal_iteratorINS9_10device_ptrIjEEEEPS5_m11less_div_10IjEEE10hipError_tT0_T1_T2_jT3_P12ihipStream_tbPNSt15iterator_traitsISJ_E10value_typeEPNSP_ISK_E10value_typeEPSL_NS1_7vsmem_tEENKUlT_SJ_SK_SL_E_clIPjSE_SF_SF_EESI_SY_SJ_SK_SL_EUlSY_E1_NS1_11comp_targetILNS1_3genE2ELNS1_11target_archE906ELNS1_3gpuE6ELNS1_3repE0EEENS1_36merge_oddeven_config_static_selectorELNS0_4arch9wavefront6targetE0EEEvSK_.numbered_sgpr, 0
	.set _ZN7rocprim17ROCPRIM_400000_NS6detail17trampoline_kernelINS0_14default_configENS1_38merge_sort_block_merge_config_selectorIjNS0_10empty_typeEEEZZNS1_27merge_sort_block_merge_implIS3_N6thrust23THRUST_200600_302600_NS6detail15normal_iteratorINS9_10device_ptrIjEEEEPS5_m11less_div_10IjEEE10hipError_tT0_T1_T2_jT3_P12ihipStream_tbPNSt15iterator_traitsISJ_E10value_typeEPNSP_ISK_E10value_typeEPSL_NS1_7vsmem_tEENKUlT_SJ_SK_SL_E_clIPjSE_SF_SF_EESI_SY_SJ_SK_SL_EUlSY_E1_NS1_11comp_targetILNS1_3genE2ELNS1_11target_archE906ELNS1_3gpuE6ELNS1_3repE0EEENS1_36merge_oddeven_config_static_selectorELNS0_4arch9wavefront6targetE0EEEvSK_.num_named_barrier, 0
	.set _ZN7rocprim17ROCPRIM_400000_NS6detail17trampoline_kernelINS0_14default_configENS1_38merge_sort_block_merge_config_selectorIjNS0_10empty_typeEEEZZNS1_27merge_sort_block_merge_implIS3_N6thrust23THRUST_200600_302600_NS6detail15normal_iteratorINS9_10device_ptrIjEEEEPS5_m11less_div_10IjEEE10hipError_tT0_T1_T2_jT3_P12ihipStream_tbPNSt15iterator_traitsISJ_E10value_typeEPNSP_ISK_E10value_typeEPSL_NS1_7vsmem_tEENKUlT_SJ_SK_SL_E_clIPjSE_SF_SF_EESI_SY_SJ_SK_SL_EUlSY_E1_NS1_11comp_targetILNS1_3genE2ELNS1_11target_archE906ELNS1_3gpuE6ELNS1_3repE0EEENS1_36merge_oddeven_config_static_selectorELNS0_4arch9wavefront6targetE0EEEvSK_.private_seg_size, 0
	.set _ZN7rocprim17ROCPRIM_400000_NS6detail17trampoline_kernelINS0_14default_configENS1_38merge_sort_block_merge_config_selectorIjNS0_10empty_typeEEEZZNS1_27merge_sort_block_merge_implIS3_N6thrust23THRUST_200600_302600_NS6detail15normal_iteratorINS9_10device_ptrIjEEEEPS5_m11less_div_10IjEEE10hipError_tT0_T1_T2_jT3_P12ihipStream_tbPNSt15iterator_traitsISJ_E10value_typeEPNSP_ISK_E10value_typeEPSL_NS1_7vsmem_tEENKUlT_SJ_SK_SL_E_clIPjSE_SF_SF_EESI_SY_SJ_SK_SL_EUlSY_E1_NS1_11comp_targetILNS1_3genE2ELNS1_11target_archE906ELNS1_3gpuE6ELNS1_3repE0EEENS1_36merge_oddeven_config_static_selectorELNS0_4arch9wavefront6targetE0EEEvSK_.uses_vcc, 0
	.set _ZN7rocprim17ROCPRIM_400000_NS6detail17trampoline_kernelINS0_14default_configENS1_38merge_sort_block_merge_config_selectorIjNS0_10empty_typeEEEZZNS1_27merge_sort_block_merge_implIS3_N6thrust23THRUST_200600_302600_NS6detail15normal_iteratorINS9_10device_ptrIjEEEEPS5_m11less_div_10IjEEE10hipError_tT0_T1_T2_jT3_P12ihipStream_tbPNSt15iterator_traitsISJ_E10value_typeEPNSP_ISK_E10value_typeEPSL_NS1_7vsmem_tEENKUlT_SJ_SK_SL_E_clIPjSE_SF_SF_EESI_SY_SJ_SK_SL_EUlSY_E1_NS1_11comp_targetILNS1_3genE2ELNS1_11target_archE906ELNS1_3gpuE6ELNS1_3repE0EEENS1_36merge_oddeven_config_static_selectorELNS0_4arch9wavefront6targetE0EEEvSK_.uses_flat_scratch, 0
	.set _ZN7rocprim17ROCPRIM_400000_NS6detail17trampoline_kernelINS0_14default_configENS1_38merge_sort_block_merge_config_selectorIjNS0_10empty_typeEEEZZNS1_27merge_sort_block_merge_implIS3_N6thrust23THRUST_200600_302600_NS6detail15normal_iteratorINS9_10device_ptrIjEEEEPS5_m11less_div_10IjEEE10hipError_tT0_T1_T2_jT3_P12ihipStream_tbPNSt15iterator_traitsISJ_E10value_typeEPNSP_ISK_E10value_typeEPSL_NS1_7vsmem_tEENKUlT_SJ_SK_SL_E_clIPjSE_SF_SF_EESI_SY_SJ_SK_SL_EUlSY_E1_NS1_11comp_targetILNS1_3genE2ELNS1_11target_archE906ELNS1_3gpuE6ELNS1_3repE0EEENS1_36merge_oddeven_config_static_selectorELNS0_4arch9wavefront6targetE0EEEvSK_.has_dyn_sized_stack, 0
	.set _ZN7rocprim17ROCPRIM_400000_NS6detail17trampoline_kernelINS0_14default_configENS1_38merge_sort_block_merge_config_selectorIjNS0_10empty_typeEEEZZNS1_27merge_sort_block_merge_implIS3_N6thrust23THRUST_200600_302600_NS6detail15normal_iteratorINS9_10device_ptrIjEEEEPS5_m11less_div_10IjEEE10hipError_tT0_T1_T2_jT3_P12ihipStream_tbPNSt15iterator_traitsISJ_E10value_typeEPNSP_ISK_E10value_typeEPSL_NS1_7vsmem_tEENKUlT_SJ_SK_SL_E_clIPjSE_SF_SF_EESI_SY_SJ_SK_SL_EUlSY_E1_NS1_11comp_targetILNS1_3genE2ELNS1_11target_archE906ELNS1_3gpuE6ELNS1_3repE0EEENS1_36merge_oddeven_config_static_selectorELNS0_4arch9wavefront6targetE0EEEvSK_.has_recursion, 0
	.set _ZN7rocprim17ROCPRIM_400000_NS6detail17trampoline_kernelINS0_14default_configENS1_38merge_sort_block_merge_config_selectorIjNS0_10empty_typeEEEZZNS1_27merge_sort_block_merge_implIS3_N6thrust23THRUST_200600_302600_NS6detail15normal_iteratorINS9_10device_ptrIjEEEEPS5_m11less_div_10IjEEE10hipError_tT0_T1_T2_jT3_P12ihipStream_tbPNSt15iterator_traitsISJ_E10value_typeEPNSP_ISK_E10value_typeEPSL_NS1_7vsmem_tEENKUlT_SJ_SK_SL_E_clIPjSE_SF_SF_EESI_SY_SJ_SK_SL_EUlSY_E1_NS1_11comp_targetILNS1_3genE2ELNS1_11target_archE906ELNS1_3gpuE6ELNS1_3repE0EEENS1_36merge_oddeven_config_static_selectorELNS0_4arch9wavefront6targetE0EEEvSK_.has_indirect_call, 0
	.section	.AMDGPU.csdata,"",@progbits
; Kernel info:
; codeLenInByte = 0
; TotalNumSgprs: 0
; NumVgprs: 0
; ScratchSize: 0
; MemoryBound: 0
; FloatMode: 240
; IeeeMode: 1
; LDSByteSize: 0 bytes/workgroup (compile time only)
; SGPRBlocks: 0
; VGPRBlocks: 0
; NumSGPRsForWavesPerEU: 1
; NumVGPRsForWavesPerEU: 1
; Occupancy: 16
; WaveLimiterHint : 0
; COMPUTE_PGM_RSRC2:SCRATCH_EN: 0
; COMPUTE_PGM_RSRC2:USER_SGPR: 6
; COMPUTE_PGM_RSRC2:TRAP_HANDLER: 0
; COMPUTE_PGM_RSRC2:TGID_X_EN: 1
; COMPUTE_PGM_RSRC2:TGID_Y_EN: 0
; COMPUTE_PGM_RSRC2:TGID_Z_EN: 0
; COMPUTE_PGM_RSRC2:TIDIG_COMP_CNT: 0
	.section	.text._ZN7rocprim17ROCPRIM_400000_NS6detail17trampoline_kernelINS0_14default_configENS1_38merge_sort_block_merge_config_selectorIjNS0_10empty_typeEEEZZNS1_27merge_sort_block_merge_implIS3_N6thrust23THRUST_200600_302600_NS6detail15normal_iteratorINS9_10device_ptrIjEEEEPS5_m11less_div_10IjEEE10hipError_tT0_T1_T2_jT3_P12ihipStream_tbPNSt15iterator_traitsISJ_E10value_typeEPNSP_ISK_E10value_typeEPSL_NS1_7vsmem_tEENKUlT_SJ_SK_SL_E_clIPjSE_SF_SF_EESI_SY_SJ_SK_SL_EUlSY_E1_NS1_11comp_targetILNS1_3genE9ELNS1_11target_archE1100ELNS1_3gpuE3ELNS1_3repE0EEENS1_36merge_oddeven_config_static_selectorELNS0_4arch9wavefront6targetE0EEEvSK_,"axG",@progbits,_ZN7rocprim17ROCPRIM_400000_NS6detail17trampoline_kernelINS0_14default_configENS1_38merge_sort_block_merge_config_selectorIjNS0_10empty_typeEEEZZNS1_27merge_sort_block_merge_implIS3_N6thrust23THRUST_200600_302600_NS6detail15normal_iteratorINS9_10device_ptrIjEEEEPS5_m11less_div_10IjEEE10hipError_tT0_T1_T2_jT3_P12ihipStream_tbPNSt15iterator_traitsISJ_E10value_typeEPNSP_ISK_E10value_typeEPSL_NS1_7vsmem_tEENKUlT_SJ_SK_SL_E_clIPjSE_SF_SF_EESI_SY_SJ_SK_SL_EUlSY_E1_NS1_11comp_targetILNS1_3genE9ELNS1_11target_archE1100ELNS1_3gpuE3ELNS1_3repE0EEENS1_36merge_oddeven_config_static_selectorELNS0_4arch9wavefront6targetE0EEEvSK_,comdat
	.protected	_ZN7rocprim17ROCPRIM_400000_NS6detail17trampoline_kernelINS0_14default_configENS1_38merge_sort_block_merge_config_selectorIjNS0_10empty_typeEEEZZNS1_27merge_sort_block_merge_implIS3_N6thrust23THRUST_200600_302600_NS6detail15normal_iteratorINS9_10device_ptrIjEEEEPS5_m11less_div_10IjEEE10hipError_tT0_T1_T2_jT3_P12ihipStream_tbPNSt15iterator_traitsISJ_E10value_typeEPNSP_ISK_E10value_typeEPSL_NS1_7vsmem_tEENKUlT_SJ_SK_SL_E_clIPjSE_SF_SF_EESI_SY_SJ_SK_SL_EUlSY_E1_NS1_11comp_targetILNS1_3genE9ELNS1_11target_archE1100ELNS1_3gpuE3ELNS1_3repE0EEENS1_36merge_oddeven_config_static_selectorELNS0_4arch9wavefront6targetE0EEEvSK_ ; -- Begin function _ZN7rocprim17ROCPRIM_400000_NS6detail17trampoline_kernelINS0_14default_configENS1_38merge_sort_block_merge_config_selectorIjNS0_10empty_typeEEEZZNS1_27merge_sort_block_merge_implIS3_N6thrust23THRUST_200600_302600_NS6detail15normal_iteratorINS9_10device_ptrIjEEEEPS5_m11less_div_10IjEEE10hipError_tT0_T1_T2_jT3_P12ihipStream_tbPNSt15iterator_traitsISJ_E10value_typeEPNSP_ISK_E10value_typeEPSL_NS1_7vsmem_tEENKUlT_SJ_SK_SL_E_clIPjSE_SF_SF_EESI_SY_SJ_SK_SL_EUlSY_E1_NS1_11comp_targetILNS1_3genE9ELNS1_11target_archE1100ELNS1_3gpuE3ELNS1_3repE0EEENS1_36merge_oddeven_config_static_selectorELNS0_4arch9wavefront6targetE0EEEvSK_
	.globl	_ZN7rocprim17ROCPRIM_400000_NS6detail17trampoline_kernelINS0_14default_configENS1_38merge_sort_block_merge_config_selectorIjNS0_10empty_typeEEEZZNS1_27merge_sort_block_merge_implIS3_N6thrust23THRUST_200600_302600_NS6detail15normal_iteratorINS9_10device_ptrIjEEEEPS5_m11less_div_10IjEEE10hipError_tT0_T1_T2_jT3_P12ihipStream_tbPNSt15iterator_traitsISJ_E10value_typeEPNSP_ISK_E10value_typeEPSL_NS1_7vsmem_tEENKUlT_SJ_SK_SL_E_clIPjSE_SF_SF_EESI_SY_SJ_SK_SL_EUlSY_E1_NS1_11comp_targetILNS1_3genE9ELNS1_11target_archE1100ELNS1_3gpuE3ELNS1_3repE0EEENS1_36merge_oddeven_config_static_selectorELNS0_4arch9wavefront6targetE0EEEvSK_
	.p2align	8
	.type	_ZN7rocprim17ROCPRIM_400000_NS6detail17trampoline_kernelINS0_14default_configENS1_38merge_sort_block_merge_config_selectorIjNS0_10empty_typeEEEZZNS1_27merge_sort_block_merge_implIS3_N6thrust23THRUST_200600_302600_NS6detail15normal_iteratorINS9_10device_ptrIjEEEEPS5_m11less_div_10IjEEE10hipError_tT0_T1_T2_jT3_P12ihipStream_tbPNSt15iterator_traitsISJ_E10value_typeEPNSP_ISK_E10value_typeEPSL_NS1_7vsmem_tEENKUlT_SJ_SK_SL_E_clIPjSE_SF_SF_EESI_SY_SJ_SK_SL_EUlSY_E1_NS1_11comp_targetILNS1_3genE9ELNS1_11target_archE1100ELNS1_3gpuE3ELNS1_3repE0EEENS1_36merge_oddeven_config_static_selectorELNS0_4arch9wavefront6targetE0EEEvSK_,@function
_ZN7rocprim17ROCPRIM_400000_NS6detail17trampoline_kernelINS0_14default_configENS1_38merge_sort_block_merge_config_selectorIjNS0_10empty_typeEEEZZNS1_27merge_sort_block_merge_implIS3_N6thrust23THRUST_200600_302600_NS6detail15normal_iteratorINS9_10device_ptrIjEEEEPS5_m11less_div_10IjEEE10hipError_tT0_T1_T2_jT3_P12ihipStream_tbPNSt15iterator_traitsISJ_E10value_typeEPNSP_ISK_E10value_typeEPSL_NS1_7vsmem_tEENKUlT_SJ_SK_SL_E_clIPjSE_SF_SF_EESI_SY_SJ_SK_SL_EUlSY_E1_NS1_11comp_targetILNS1_3genE9ELNS1_11target_archE1100ELNS1_3gpuE3ELNS1_3repE0EEENS1_36merge_oddeven_config_static_selectorELNS0_4arch9wavefront6targetE0EEEvSK_: ; @_ZN7rocprim17ROCPRIM_400000_NS6detail17trampoline_kernelINS0_14default_configENS1_38merge_sort_block_merge_config_selectorIjNS0_10empty_typeEEEZZNS1_27merge_sort_block_merge_implIS3_N6thrust23THRUST_200600_302600_NS6detail15normal_iteratorINS9_10device_ptrIjEEEEPS5_m11less_div_10IjEEE10hipError_tT0_T1_T2_jT3_P12ihipStream_tbPNSt15iterator_traitsISJ_E10value_typeEPNSP_ISK_E10value_typeEPSL_NS1_7vsmem_tEENKUlT_SJ_SK_SL_E_clIPjSE_SF_SF_EESI_SY_SJ_SK_SL_EUlSY_E1_NS1_11comp_targetILNS1_3genE9ELNS1_11target_archE1100ELNS1_3gpuE3ELNS1_3repE0EEENS1_36merge_oddeven_config_static_selectorELNS0_4arch9wavefront6targetE0EEEvSK_
; %bb.0:
	.section	.rodata,"a",@progbits
	.p2align	6, 0x0
	.amdhsa_kernel _ZN7rocprim17ROCPRIM_400000_NS6detail17trampoline_kernelINS0_14default_configENS1_38merge_sort_block_merge_config_selectorIjNS0_10empty_typeEEEZZNS1_27merge_sort_block_merge_implIS3_N6thrust23THRUST_200600_302600_NS6detail15normal_iteratorINS9_10device_ptrIjEEEEPS5_m11less_div_10IjEEE10hipError_tT0_T1_T2_jT3_P12ihipStream_tbPNSt15iterator_traitsISJ_E10value_typeEPNSP_ISK_E10value_typeEPSL_NS1_7vsmem_tEENKUlT_SJ_SK_SL_E_clIPjSE_SF_SF_EESI_SY_SJ_SK_SL_EUlSY_E1_NS1_11comp_targetILNS1_3genE9ELNS1_11target_archE1100ELNS1_3gpuE3ELNS1_3repE0EEENS1_36merge_oddeven_config_static_selectorELNS0_4arch9wavefront6targetE0EEEvSK_
		.amdhsa_group_segment_fixed_size 0
		.amdhsa_private_segment_fixed_size 0
		.amdhsa_kernarg_size 56
		.amdhsa_user_sgpr_count 6
		.amdhsa_user_sgpr_private_segment_buffer 1
		.amdhsa_user_sgpr_dispatch_ptr 0
		.amdhsa_user_sgpr_queue_ptr 0
		.amdhsa_user_sgpr_kernarg_segment_ptr 1
		.amdhsa_user_sgpr_dispatch_id 0
		.amdhsa_user_sgpr_flat_scratch_init 0
		.amdhsa_user_sgpr_private_segment_size 0
		.amdhsa_wavefront_size32 1
		.amdhsa_uses_dynamic_stack 0
		.amdhsa_system_sgpr_private_segment_wavefront_offset 0
		.amdhsa_system_sgpr_workgroup_id_x 1
		.amdhsa_system_sgpr_workgroup_id_y 0
		.amdhsa_system_sgpr_workgroup_id_z 0
		.amdhsa_system_sgpr_workgroup_info 0
		.amdhsa_system_vgpr_workitem_id 0
		.amdhsa_next_free_vgpr 1
		.amdhsa_next_free_sgpr 1
		.amdhsa_reserve_vcc 0
		.amdhsa_reserve_flat_scratch 0
		.amdhsa_float_round_mode_32 0
		.amdhsa_float_round_mode_16_64 0
		.amdhsa_float_denorm_mode_32 3
		.amdhsa_float_denorm_mode_16_64 3
		.amdhsa_dx10_clamp 1
		.amdhsa_ieee_mode 1
		.amdhsa_fp16_overflow 0
		.amdhsa_workgroup_processor_mode 1
		.amdhsa_memory_ordered 1
		.amdhsa_forward_progress 1
		.amdhsa_shared_vgpr_count 0
		.amdhsa_exception_fp_ieee_invalid_op 0
		.amdhsa_exception_fp_denorm_src 0
		.amdhsa_exception_fp_ieee_div_zero 0
		.amdhsa_exception_fp_ieee_overflow 0
		.amdhsa_exception_fp_ieee_underflow 0
		.amdhsa_exception_fp_ieee_inexact 0
		.amdhsa_exception_int_div_zero 0
	.end_amdhsa_kernel
	.section	.text._ZN7rocprim17ROCPRIM_400000_NS6detail17trampoline_kernelINS0_14default_configENS1_38merge_sort_block_merge_config_selectorIjNS0_10empty_typeEEEZZNS1_27merge_sort_block_merge_implIS3_N6thrust23THRUST_200600_302600_NS6detail15normal_iteratorINS9_10device_ptrIjEEEEPS5_m11less_div_10IjEEE10hipError_tT0_T1_T2_jT3_P12ihipStream_tbPNSt15iterator_traitsISJ_E10value_typeEPNSP_ISK_E10value_typeEPSL_NS1_7vsmem_tEENKUlT_SJ_SK_SL_E_clIPjSE_SF_SF_EESI_SY_SJ_SK_SL_EUlSY_E1_NS1_11comp_targetILNS1_3genE9ELNS1_11target_archE1100ELNS1_3gpuE3ELNS1_3repE0EEENS1_36merge_oddeven_config_static_selectorELNS0_4arch9wavefront6targetE0EEEvSK_,"axG",@progbits,_ZN7rocprim17ROCPRIM_400000_NS6detail17trampoline_kernelINS0_14default_configENS1_38merge_sort_block_merge_config_selectorIjNS0_10empty_typeEEEZZNS1_27merge_sort_block_merge_implIS3_N6thrust23THRUST_200600_302600_NS6detail15normal_iteratorINS9_10device_ptrIjEEEEPS5_m11less_div_10IjEEE10hipError_tT0_T1_T2_jT3_P12ihipStream_tbPNSt15iterator_traitsISJ_E10value_typeEPNSP_ISK_E10value_typeEPSL_NS1_7vsmem_tEENKUlT_SJ_SK_SL_E_clIPjSE_SF_SF_EESI_SY_SJ_SK_SL_EUlSY_E1_NS1_11comp_targetILNS1_3genE9ELNS1_11target_archE1100ELNS1_3gpuE3ELNS1_3repE0EEENS1_36merge_oddeven_config_static_selectorELNS0_4arch9wavefront6targetE0EEEvSK_,comdat
.Lfunc_end169:
	.size	_ZN7rocprim17ROCPRIM_400000_NS6detail17trampoline_kernelINS0_14default_configENS1_38merge_sort_block_merge_config_selectorIjNS0_10empty_typeEEEZZNS1_27merge_sort_block_merge_implIS3_N6thrust23THRUST_200600_302600_NS6detail15normal_iteratorINS9_10device_ptrIjEEEEPS5_m11less_div_10IjEEE10hipError_tT0_T1_T2_jT3_P12ihipStream_tbPNSt15iterator_traitsISJ_E10value_typeEPNSP_ISK_E10value_typeEPSL_NS1_7vsmem_tEENKUlT_SJ_SK_SL_E_clIPjSE_SF_SF_EESI_SY_SJ_SK_SL_EUlSY_E1_NS1_11comp_targetILNS1_3genE9ELNS1_11target_archE1100ELNS1_3gpuE3ELNS1_3repE0EEENS1_36merge_oddeven_config_static_selectorELNS0_4arch9wavefront6targetE0EEEvSK_, .Lfunc_end169-_ZN7rocprim17ROCPRIM_400000_NS6detail17trampoline_kernelINS0_14default_configENS1_38merge_sort_block_merge_config_selectorIjNS0_10empty_typeEEEZZNS1_27merge_sort_block_merge_implIS3_N6thrust23THRUST_200600_302600_NS6detail15normal_iteratorINS9_10device_ptrIjEEEEPS5_m11less_div_10IjEEE10hipError_tT0_T1_T2_jT3_P12ihipStream_tbPNSt15iterator_traitsISJ_E10value_typeEPNSP_ISK_E10value_typeEPSL_NS1_7vsmem_tEENKUlT_SJ_SK_SL_E_clIPjSE_SF_SF_EESI_SY_SJ_SK_SL_EUlSY_E1_NS1_11comp_targetILNS1_3genE9ELNS1_11target_archE1100ELNS1_3gpuE3ELNS1_3repE0EEENS1_36merge_oddeven_config_static_selectorELNS0_4arch9wavefront6targetE0EEEvSK_
                                        ; -- End function
	.set _ZN7rocprim17ROCPRIM_400000_NS6detail17trampoline_kernelINS0_14default_configENS1_38merge_sort_block_merge_config_selectorIjNS0_10empty_typeEEEZZNS1_27merge_sort_block_merge_implIS3_N6thrust23THRUST_200600_302600_NS6detail15normal_iteratorINS9_10device_ptrIjEEEEPS5_m11less_div_10IjEEE10hipError_tT0_T1_T2_jT3_P12ihipStream_tbPNSt15iterator_traitsISJ_E10value_typeEPNSP_ISK_E10value_typeEPSL_NS1_7vsmem_tEENKUlT_SJ_SK_SL_E_clIPjSE_SF_SF_EESI_SY_SJ_SK_SL_EUlSY_E1_NS1_11comp_targetILNS1_3genE9ELNS1_11target_archE1100ELNS1_3gpuE3ELNS1_3repE0EEENS1_36merge_oddeven_config_static_selectorELNS0_4arch9wavefront6targetE0EEEvSK_.num_vgpr, 0
	.set _ZN7rocprim17ROCPRIM_400000_NS6detail17trampoline_kernelINS0_14default_configENS1_38merge_sort_block_merge_config_selectorIjNS0_10empty_typeEEEZZNS1_27merge_sort_block_merge_implIS3_N6thrust23THRUST_200600_302600_NS6detail15normal_iteratorINS9_10device_ptrIjEEEEPS5_m11less_div_10IjEEE10hipError_tT0_T1_T2_jT3_P12ihipStream_tbPNSt15iterator_traitsISJ_E10value_typeEPNSP_ISK_E10value_typeEPSL_NS1_7vsmem_tEENKUlT_SJ_SK_SL_E_clIPjSE_SF_SF_EESI_SY_SJ_SK_SL_EUlSY_E1_NS1_11comp_targetILNS1_3genE9ELNS1_11target_archE1100ELNS1_3gpuE3ELNS1_3repE0EEENS1_36merge_oddeven_config_static_selectorELNS0_4arch9wavefront6targetE0EEEvSK_.num_agpr, 0
	.set _ZN7rocprim17ROCPRIM_400000_NS6detail17trampoline_kernelINS0_14default_configENS1_38merge_sort_block_merge_config_selectorIjNS0_10empty_typeEEEZZNS1_27merge_sort_block_merge_implIS3_N6thrust23THRUST_200600_302600_NS6detail15normal_iteratorINS9_10device_ptrIjEEEEPS5_m11less_div_10IjEEE10hipError_tT0_T1_T2_jT3_P12ihipStream_tbPNSt15iterator_traitsISJ_E10value_typeEPNSP_ISK_E10value_typeEPSL_NS1_7vsmem_tEENKUlT_SJ_SK_SL_E_clIPjSE_SF_SF_EESI_SY_SJ_SK_SL_EUlSY_E1_NS1_11comp_targetILNS1_3genE9ELNS1_11target_archE1100ELNS1_3gpuE3ELNS1_3repE0EEENS1_36merge_oddeven_config_static_selectorELNS0_4arch9wavefront6targetE0EEEvSK_.numbered_sgpr, 0
	.set _ZN7rocprim17ROCPRIM_400000_NS6detail17trampoline_kernelINS0_14default_configENS1_38merge_sort_block_merge_config_selectorIjNS0_10empty_typeEEEZZNS1_27merge_sort_block_merge_implIS3_N6thrust23THRUST_200600_302600_NS6detail15normal_iteratorINS9_10device_ptrIjEEEEPS5_m11less_div_10IjEEE10hipError_tT0_T1_T2_jT3_P12ihipStream_tbPNSt15iterator_traitsISJ_E10value_typeEPNSP_ISK_E10value_typeEPSL_NS1_7vsmem_tEENKUlT_SJ_SK_SL_E_clIPjSE_SF_SF_EESI_SY_SJ_SK_SL_EUlSY_E1_NS1_11comp_targetILNS1_3genE9ELNS1_11target_archE1100ELNS1_3gpuE3ELNS1_3repE0EEENS1_36merge_oddeven_config_static_selectorELNS0_4arch9wavefront6targetE0EEEvSK_.num_named_barrier, 0
	.set _ZN7rocprim17ROCPRIM_400000_NS6detail17trampoline_kernelINS0_14default_configENS1_38merge_sort_block_merge_config_selectorIjNS0_10empty_typeEEEZZNS1_27merge_sort_block_merge_implIS3_N6thrust23THRUST_200600_302600_NS6detail15normal_iteratorINS9_10device_ptrIjEEEEPS5_m11less_div_10IjEEE10hipError_tT0_T1_T2_jT3_P12ihipStream_tbPNSt15iterator_traitsISJ_E10value_typeEPNSP_ISK_E10value_typeEPSL_NS1_7vsmem_tEENKUlT_SJ_SK_SL_E_clIPjSE_SF_SF_EESI_SY_SJ_SK_SL_EUlSY_E1_NS1_11comp_targetILNS1_3genE9ELNS1_11target_archE1100ELNS1_3gpuE3ELNS1_3repE0EEENS1_36merge_oddeven_config_static_selectorELNS0_4arch9wavefront6targetE0EEEvSK_.private_seg_size, 0
	.set _ZN7rocprim17ROCPRIM_400000_NS6detail17trampoline_kernelINS0_14default_configENS1_38merge_sort_block_merge_config_selectorIjNS0_10empty_typeEEEZZNS1_27merge_sort_block_merge_implIS3_N6thrust23THRUST_200600_302600_NS6detail15normal_iteratorINS9_10device_ptrIjEEEEPS5_m11less_div_10IjEEE10hipError_tT0_T1_T2_jT3_P12ihipStream_tbPNSt15iterator_traitsISJ_E10value_typeEPNSP_ISK_E10value_typeEPSL_NS1_7vsmem_tEENKUlT_SJ_SK_SL_E_clIPjSE_SF_SF_EESI_SY_SJ_SK_SL_EUlSY_E1_NS1_11comp_targetILNS1_3genE9ELNS1_11target_archE1100ELNS1_3gpuE3ELNS1_3repE0EEENS1_36merge_oddeven_config_static_selectorELNS0_4arch9wavefront6targetE0EEEvSK_.uses_vcc, 0
	.set _ZN7rocprim17ROCPRIM_400000_NS6detail17trampoline_kernelINS0_14default_configENS1_38merge_sort_block_merge_config_selectorIjNS0_10empty_typeEEEZZNS1_27merge_sort_block_merge_implIS3_N6thrust23THRUST_200600_302600_NS6detail15normal_iteratorINS9_10device_ptrIjEEEEPS5_m11less_div_10IjEEE10hipError_tT0_T1_T2_jT3_P12ihipStream_tbPNSt15iterator_traitsISJ_E10value_typeEPNSP_ISK_E10value_typeEPSL_NS1_7vsmem_tEENKUlT_SJ_SK_SL_E_clIPjSE_SF_SF_EESI_SY_SJ_SK_SL_EUlSY_E1_NS1_11comp_targetILNS1_3genE9ELNS1_11target_archE1100ELNS1_3gpuE3ELNS1_3repE0EEENS1_36merge_oddeven_config_static_selectorELNS0_4arch9wavefront6targetE0EEEvSK_.uses_flat_scratch, 0
	.set _ZN7rocprim17ROCPRIM_400000_NS6detail17trampoline_kernelINS0_14default_configENS1_38merge_sort_block_merge_config_selectorIjNS0_10empty_typeEEEZZNS1_27merge_sort_block_merge_implIS3_N6thrust23THRUST_200600_302600_NS6detail15normal_iteratorINS9_10device_ptrIjEEEEPS5_m11less_div_10IjEEE10hipError_tT0_T1_T2_jT3_P12ihipStream_tbPNSt15iterator_traitsISJ_E10value_typeEPNSP_ISK_E10value_typeEPSL_NS1_7vsmem_tEENKUlT_SJ_SK_SL_E_clIPjSE_SF_SF_EESI_SY_SJ_SK_SL_EUlSY_E1_NS1_11comp_targetILNS1_3genE9ELNS1_11target_archE1100ELNS1_3gpuE3ELNS1_3repE0EEENS1_36merge_oddeven_config_static_selectorELNS0_4arch9wavefront6targetE0EEEvSK_.has_dyn_sized_stack, 0
	.set _ZN7rocprim17ROCPRIM_400000_NS6detail17trampoline_kernelINS0_14default_configENS1_38merge_sort_block_merge_config_selectorIjNS0_10empty_typeEEEZZNS1_27merge_sort_block_merge_implIS3_N6thrust23THRUST_200600_302600_NS6detail15normal_iteratorINS9_10device_ptrIjEEEEPS5_m11less_div_10IjEEE10hipError_tT0_T1_T2_jT3_P12ihipStream_tbPNSt15iterator_traitsISJ_E10value_typeEPNSP_ISK_E10value_typeEPSL_NS1_7vsmem_tEENKUlT_SJ_SK_SL_E_clIPjSE_SF_SF_EESI_SY_SJ_SK_SL_EUlSY_E1_NS1_11comp_targetILNS1_3genE9ELNS1_11target_archE1100ELNS1_3gpuE3ELNS1_3repE0EEENS1_36merge_oddeven_config_static_selectorELNS0_4arch9wavefront6targetE0EEEvSK_.has_recursion, 0
	.set _ZN7rocprim17ROCPRIM_400000_NS6detail17trampoline_kernelINS0_14default_configENS1_38merge_sort_block_merge_config_selectorIjNS0_10empty_typeEEEZZNS1_27merge_sort_block_merge_implIS3_N6thrust23THRUST_200600_302600_NS6detail15normal_iteratorINS9_10device_ptrIjEEEEPS5_m11less_div_10IjEEE10hipError_tT0_T1_T2_jT3_P12ihipStream_tbPNSt15iterator_traitsISJ_E10value_typeEPNSP_ISK_E10value_typeEPSL_NS1_7vsmem_tEENKUlT_SJ_SK_SL_E_clIPjSE_SF_SF_EESI_SY_SJ_SK_SL_EUlSY_E1_NS1_11comp_targetILNS1_3genE9ELNS1_11target_archE1100ELNS1_3gpuE3ELNS1_3repE0EEENS1_36merge_oddeven_config_static_selectorELNS0_4arch9wavefront6targetE0EEEvSK_.has_indirect_call, 0
	.section	.AMDGPU.csdata,"",@progbits
; Kernel info:
; codeLenInByte = 0
; TotalNumSgprs: 0
; NumVgprs: 0
; ScratchSize: 0
; MemoryBound: 0
; FloatMode: 240
; IeeeMode: 1
; LDSByteSize: 0 bytes/workgroup (compile time only)
; SGPRBlocks: 0
; VGPRBlocks: 0
; NumSGPRsForWavesPerEU: 1
; NumVGPRsForWavesPerEU: 1
; Occupancy: 16
; WaveLimiterHint : 0
; COMPUTE_PGM_RSRC2:SCRATCH_EN: 0
; COMPUTE_PGM_RSRC2:USER_SGPR: 6
; COMPUTE_PGM_RSRC2:TRAP_HANDLER: 0
; COMPUTE_PGM_RSRC2:TGID_X_EN: 1
; COMPUTE_PGM_RSRC2:TGID_Y_EN: 0
; COMPUTE_PGM_RSRC2:TGID_Z_EN: 0
; COMPUTE_PGM_RSRC2:TIDIG_COMP_CNT: 0
	.section	.text._ZN7rocprim17ROCPRIM_400000_NS6detail17trampoline_kernelINS0_14default_configENS1_38merge_sort_block_merge_config_selectorIjNS0_10empty_typeEEEZZNS1_27merge_sort_block_merge_implIS3_N6thrust23THRUST_200600_302600_NS6detail15normal_iteratorINS9_10device_ptrIjEEEEPS5_m11less_div_10IjEEE10hipError_tT0_T1_T2_jT3_P12ihipStream_tbPNSt15iterator_traitsISJ_E10value_typeEPNSP_ISK_E10value_typeEPSL_NS1_7vsmem_tEENKUlT_SJ_SK_SL_E_clIPjSE_SF_SF_EESI_SY_SJ_SK_SL_EUlSY_E1_NS1_11comp_targetILNS1_3genE8ELNS1_11target_archE1030ELNS1_3gpuE2ELNS1_3repE0EEENS1_36merge_oddeven_config_static_selectorELNS0_4arch9wavefront6targetE0EEEvSK_,"axG",@progbits,_ZN7rocprim17ROCPRIM_400000_NS6detail17trampoline_kernelINS0_14default_configENS1_38merge_sort_block_merge_config_selectorIjNS0_10empty_typeEEEZZNS1_27merge_sort_block_merge_implIS3_N6thrust23THRUST_200600_302600_NS6detail15normal_iteratorINS9_10device_ptrIjEEEEPS5_m11less_div_10IjEEE10hipError_tT0_T1_T2_jT3_P12ihipStream_tbPNSt15iterator_traitsISJ_E10value_typeEPNSP_ISK_E10value_typeEPSL_NS1_7vsmem_tEENKUlT_SJ_SK_SL_E_clIPjSE_SF_SF_EESI_SY_SJ_SK_SL_EUlSY_E1_NS1_11comp_targetILNS1_3genE8ELNS1_11target_archE1030ELNS1_3gpuE2ELNS1_3repE0EEENS1_36merge_oddeven_config_static_selectorELNS0_4arch9wavefront6targetE0EEEvSK_,comdat
	.protected	_ZN7rocprim17ROCPRIM_400000_NS6detail17trampoline_kernelINS0_14default_configENS1_38merge_sort_block_merge_config_selectorIjNS0_10empty_typeEEEZZNS1_27merge_sort_block_merge_implIS3_N6thrust23THRUST_200600_302600_NS6detail15normal_iteratorINS9_10device_ptrIjEEEEPS5_m11less_div_10IjEEE10hipError_tT0_T1_T2_jT3_P12ihipStream_tbPNSt15iterator_traitsISJ_E10value_typeEPNSP_ISK_E10value_typeEPSL_NS1_7vsmem_tEENKUlT_SJ_SK_SL_E_clIPjSE_SF_SF_EESI_SY_SJ_SK_SL_EUlSY_E1_NS1_11comp_targetILNS1_3genE8ELNS1_11target_archE1030ELNS1_3gpuE2ELNS1_3repE0EEENS1_36merge_oddeven_config_static_selectorELNS0_4arch9wavefront6targetE0EEEvSK_ ; -- Begin function _ZN7rocprim17ROCPRIM_400000_NS6detail17trampoline_kernelINS0_14default_configENS1_38merge_sort_block_merge_config_selectorIjNS0_10empty_typeEEEZZNS1_27merge_sort_block_merge_implIS3_N6thrust23THRUST_200600_302600_NS6detail15normal_iteratorINS9_10device_ptrIjEEEEPS5_m11less_div_10IjEEE10hipError_tT0_T1_T2_jT3_P12ihipStream_tbPNSt15iterator_traitsISJ_E10value_typeEPNSP_ISK_E10value_typeEPSL_NS1_7vsmem_tEENKUlT_SJ_SK_SL_E_clIPjSE_SF_SF_EESI_SY_SJ_SK_SL_EUlSY_E1_NS1_11comp_targetILNS1_3genE8ELNS1_11target_archE1030ELNS1_3gpuE2ELNS1_3repE0EEENS1_36merge_oddeven_config_static_selectorELNS0_4arch9wavefront6targetE0EEEvSK_
	.globl	_ZN7rocprim17ROCPRIM_400000_NS6detail17trampoline_kernelINS0_14default_configENS1_38merge_sort_block_merge_config_selectorIjNS0_10empty_typeEEEZZNS1_27merge_sort_block_merge_implIS3_N6thrust23THRUST_200600_302600_NS6detail15normal_iteratorINS9_10device_ptrIjEEEEPS5_m11less_div_10IjEEE10hipError_tT0_T1_T2_jT3_P12ihipStream_tbPNSt15iterator_traitsISJ_E10value_typeEPNSP_ISK_E10value_typeEPSL_NS1_7vsmem_tEENKUlT_SJ_SK_SL_E_clIPjSE_SF_SF_EESI_SY_SJ_SK_SL_EUlSY_E1_NS1_11comp_targetILNS1_3genE8ELNS1_11target_archE1030ELNS1_3gpuE2ELNS1_3repE0EEENS1_36merge_oddeven_config_static_selectorELNS0_4arch9wavefront6targetE0EEEvSK_
	.p2align	8
	.type	_ZN7rocprim17ROCPRIM_400000_NS6detail17trampoline_kernelINS0_14default_configENS1_38merge_sort_block_merge_config_selectorIjNS0_10empty_typeEEEZZNS1_27merge_sort_block_merge_implIS3_N6thrust23THRUST_200600_302600_NS6detail15normal_iteratorINS9_10device_ptrIjEEEEPS5_m11less_div_10IjEEE10hipError_tT0_T1_T2_jT3_P12ihipStream_tbPNSt15iterator_traitsISJ_E10value_typeEPNSP_ISK_E10value_typeEPSL_NS1_7vsmem_tEENKUlT_SJ_SK_SL_E_clIPjSE_SF_SF_EESI_SY_SJ_SK_SL_EUlSY_E1_NS1_11comp_targetILNS1_3genE8ELNS1_11target_archE1030ELNS1_3gpuE2ELNS1_3repE0EEENS1_36merge_oddeven_config_static_selectorELNS0_4arch9wavefront6targetE0EEEvSK_,@function
_ZN7rocprim17ROCPRIM_400000_NS6detail17trampoline_kernelINS0_14default_configENS1_38merge_sort_block_merge_config_selectorIjNS0_10empty_typeEEEZZNS1_27merge_sort_block_merge_implIS3_N6thrust23THRUST_200600_302600_NS6detail15normal_iteratorINS9_10device_ptrIjEEEEPS5_m11less_div_10IjEEE10hipError_tT0_T1_T2_jT3_P12ihipStream_tbPNSt15iterator_traitsISJ_E10value_typeEPNSP_ISK_E10value_typeEPSL_NS1_7vsmem_tEENKUlT_SJ_SK_SL_E_clIPjSE_SF_SF_EESI_SY_SJ_SK_SL_EUlSY_E1_NS1_11comp_targetILNS1_3genE8ELNS1_11target_archE1030ELNS1_3gpuE2ELNS1_3repE0EEENS1_36merge_oddeven_config_static_selectorELNS0_4arch9wavefront6targetE0EEEvSK_: ; @_ZN7rocprim17ROCPRIM_400000_NS6detail17trampoline_kernelINS0_14default_configENS1_38merge_sort_block_merge_config_selectorIjNS0_10empty_typeEEEZZNS1_27merge_sort_block_merge_implIS3_N6thrust23THRUST_200600_302600_NS6detail15normal_iteratorINS9_10device_ptrIjEEEEPS5_m11less_div_10IjEEE10hipError_tT0_T1_T2_jT3_P12ihipStream_tbPNSt15iterator_traitsISJ_E10value_typeEPNSP_ISK_E10value_typeEPSL_NS1_7vsmem_tEENKUlT_SJ_SK_SL_E_clIPjSE_SF_SF_EESI_SY_SJ_SK_SL_EUlSY_E1_NS1_11comp_targetILNS1_3genE8ELNS1_11target_archE1030ELNS1_3gpuE2ELNS1_3repE0EEENS1_36merge_oddeven_config_static_selectorELNS0_4arch9wavefront6targetE0EEEvSK_
; %bb.0:
	s_load_dword s7, s[4:5], 0x20
	s_waitcnt lgkmcnt(0)
	s_lshr_b32 s0, s7, 8
	s_cmp_lg_u32 s6, s0
	s_cselect_b32 s13, -1, 0
	s_cmp_eq_u32 s6, s0
	s_cselect_b32 s12, -1, 0
	s_lshl_b32 s2, s6, 8
	s_sub_i32 s0, s7, s2
	v_cmp_gt_u32_e64 s1, s0, v0
	s_or_b32 s0, s13, s1
	s_and_saveexec_b32 s3, s0
	s_cbranch_execz .LBB170_20
; %bb.1:
	s_load_dwordx4 s[8:11], s[4:5], 0x0
	s_mov_b32 s3, 0
	v_lshlrev_b32_e32 v1, 2, v0
	s_lshl_b64 s[14:15], s[2:3], 2
	s_load_dword s5, s[4:5], 0x28
	v_add_nc_u32_e32 v0, s2, v0
	s_waitcnt lgkmcnt(0)
	s_add_u32 s14, s8, s14
	s_addc_u32 s15, s9, s15
	global_load_dword v2, v1, s[14:15]
	s_lshr_b32 s0, s5, 8
	s_sub_i32 s4, 0, s0
	s_and_b32 s4, s6, s4
	s_and_b32 s0, s4, s0
	s_lshl_b32 s6, s4, 8
	s_sub_i32 s4, 0, s5
	s_cmp_eq_u32 s0, 0
	s_cselect_b32 s0, -1, 0
	s_and_b32 s14, s0, exec_lo
	s_cselect_b32 s4, s5, s4
	s_add_i32 s4, s4, s6
	s_cmp_lt_u32 s4, s7
	s_cbranch_scc1 .LBB170_3
; %bb.2:
	v_cmp_gt_u32_e32 vcc_lo, s7, v0
	s_or_b32 s3, vcc_lo, s13
	s_and_b32 s3, s3, exec_lo
	s_cbranch_execz .LBB170_4
	s_branch .LBB170_18
.LBB170_3:
.LBB170_4:
	s_waitcnt vmcnt(0)
	v_mul_hi_i32 v1, 0x66666667, v2
	s_min_u32 s2, s4, s7
	s_and_b32 vcc_lo, exec_lo, s12
	s_add_i32 s13, s6, s2
	s_min_u32 s6, s6, s2
	v_subrev_nc_u32_e32 v0, s13, v0
	s_add_i32 s5, s2, s5
	s_min_u32 s5, s5, s7
	v_lshrrev_b32_e32 v4, 31, v1
	v_ashrrev_i32_e32 v1, 2, v1
	v_add_nc_u32_e32 v3, s6, v0
	v_add_nc_u32_e32 v4, v1, v4
	s_cbranch_vccz .LBB170_12
; %bb.5:
                                        ; implicit-def: $vgpr0
	s_and_saveexec_b32 s6, s1
	s_cbranch_execz .LBB170_11
; %bb.6:
	v_mov_b32_e32 v5, s2
	s_cmp_ge_u32 s4, s5
	s_cbranch_scc1 .LBB170_10
; %bb.7:
	v_mov_b32_e32 v6, s5
	v_mov_b32_e32 v5, s2
	;; [unrolled: 1-line block ×3, first 2 shown]
	s_mov_b32 s1, 0
	s_inst_prefetch 0x1
	.p2align	6
.LBB170_8:                              ; =>This Inner Loop Header: Depth=1
	v_add_nc_u32_e32 v0, v5, v6
	v_lshrrev_b32_e32 v0, 1, v0
	v_lshlrev_b64 v[7:8], 2, v[0:1]
	v_add_co_u32 v7, vcc_lo, s8, v7
	v_add_co_ci_u32_e64 v8, null, s9, v8, vcc_lo
	global_load_dword v7, v[7:8], off
	s_waitcnt vmcnt(0)
	v_mul_hi_i32 v7, 0x66666667, v7
	v_lshrrev_b32_e32 v8, 31, v7
	v_ashrrev_i32_e32 v7, 2, v7
	v_add_nc_u32_e32 v7, v7, v8
	v_cmp_lt_i32_e32 vcc_lo, v7, v4
	v_cndmask_b32_e64 v8, 0, 1, vcc_lo
	v_cmp_ge_i32_e32 vcc_lo, v4, v7
	v_cndmask_b32_e64 v7, 0, 1, vcc_lo
	v_cndmask_b32_e64 v7, v7, v8, s0
	v_add_nc_u32_e32 v8, 1, v0
	v_and_b32_e32 v7, 1, v7
	v_cmp_eq_u32_e32 vcc_lo, 1, v7
	v_cndmask_b32_e32 v6, v0, v6, vcc_lo
	v_cndmask_b32_e32 v5, v5, v8, vcc_lo
	v_cmp_ge_u32_e32 vcc_lo, v5, v6
	s_or_b32 s1, vcc_lo, s1
	s_andn2_b32 exec_lo, exec_lo, s1
	s_cbranch_execnz .LBB170_8
; %bb.9:
	s_inst_prefetch 0x2
	s_or_b32 exec_lo, exec_lo, s1
.LBB170_10:
	v_add_nc_u32_e32 v0, v5, v3
	s_or_b32 s3, s3, exec_lo
.LBB170_11:
	s_or_b32 exec_lo, exec_lo, s6
	s_branch .LBB170_18
.LBB170_12:
                                        ; implicit-def: $vgpr0
	s_cbranch_execz .LBB170_18
; %bb.13:
	v_mov_b32_e32 v5, s2
	s_cmp_ge_u32 s4, s5
	s_cbranch_scc1 .LBB170_17
; %bb.14:
	v_mov_b32_e32 v6, s5
	v_mov_b32_e32 v5, s2
	;; [unrolled: 1-line block ×3, first 2 shown]
	s_mov_b32 s1, 0
	s_inst_prefetch 0x1
	.p2align	6
.LBB170_15:                             ; =>This Inner Loop Header: Depth=1
	v_add_nc_u32_e32 v0, v5, v6
	v_lshrrev_b32_e32 v0, 1, v0
	v_lshlrev_b64 v[7:8], 2, v[0:1]
	v_add_co_u32 v7, vcc_lo, s8, v7
	v_add_co_ci_u32_e64 v8, null, s9, v8, vcc_lo
	global_load_dword v7, v[7:8], off
	s_waitcnt vmcnt(0)
	v_mul_hi_i32 v7, 0x66666667, v7
	v_lshrrev_b32_e32 v8, 31, v7
	v_ashrrev_i32_e32 v7, 2, v7
	v_add_nc_u32_e32 v7, v7, v8
	v_cmp_lt_i32_e32 vcc_lo, v7, v4
	v_cndmask_b32_e64 v8, 0, 1, vcc_lo
	v_cmp_ge_i32_e32 vcc_lo, v4, v7
	v_cndmask_b32_e64 v7, 0, 1, vcc_lo
	v_cndmask_b32_e64 v7, v7, v8, s0
	v_add_nc_u32_e32 v8, 1, v0
	v_and_b32_e32 v7, 1, v7
	v_cmp_eq_u32_e32 vcc_lo, 1, v7
	v_cndmask_b32_e32 v6, v0, v6, vcc_lo
	v_cndmask_b32_e32 v5, v5, v8, vcc_lo
	v_cmp_ge_u32_e32 vcc_lo, v5, v6
	s_or_b32 s1, vcc_lo, s1
	s_andn2_b32 exec_lo, exec_lo, s1
	s_cbranch_execnz .LBB170_15
; %bb.16:
	s_inst_prefetch 0x2
	s_or_b32 exec_lo, exec_lo, s1
.LBB170_17:
	v_add_nc_u32_e32 v0, v5, v3
	s_mov_b32 s3, -1
.LBB170_18:
	s_and_b32 exec_lo, exec_lo, s3
	s_cbranch_execz .LBB170_20
; %bb.19:
	v_mov_b32_e32 v1, 0
	v_lshlrev_b64 v[0:1], 2, v[0:1]
	v_add_co_u32 v0, vcc_lo, s10, v0
	v_add_co_ci_u32_e64 v1, null, s11, v1, vcc_lo
	s_waitcnt vmcnt(0)
	global_store_dword v[0:1], v2, off
.LBB170_20:
	s_endpgm
	.section	.rodata,"a",@progbits
	.p2align	6, 0x0
	.amdhsa_kernel _ZN7rocprim17ROCPRIM_400000_NS6detail17trampoline_kernelINS0_14default_configENS1_38merge_sort_block_merge_config_selectorIjNS0_10empty_typeEEEZZNS1_27merge_sort_block_merge_implIS3_N6thrust23THRUST_200600_302600_NS6detail15normal_iteratorINS9_10device_ptrIjEEEEPS5_m11less_div_10IjEEE10hipError_tT0_T1_T2_jT3_P12ihipStream_tbPNSt15iterator_traitsISJ_E10value_typeEPNSP_ISK_E10value_typeEPSL_NS1_7vsmem_tEENKUlT_SJ_SK_SL_E_clIPjSE_SF_SF_EESI_SY_SJ_SK_SL_EUlSY_E1_NS1_11comp_targetILNS1_3genE8ELNS1_11target_archE1030ELNS1_3gpuE2ELNS1_3repE0EEENS1_36merge_oddeven_config_static_selectorELNS0_4arch9wavefront6targetE0EEEvSK_
		.amdhsa_group_segment_fixed_size 0
		.amdhsa_private_segment_fixed_size 0
		.amdhsa_kernarg_size 56
		.amdhsa_user_sgpr_count 6
		.amdhsa_user_sgpr_private_segment_buffer 1
		.amdhsa_user_sgpr_dispatch_ptr 0
		.amdhsa_user_sgpr_queue_ptr 0
		.amdhsa_user_sgpr_kernarg_segment_ptr 1
		.amdhsa_user_sgpr_dispatch_id 0
		.amdhsa_user_sgpr_flat_scratch_init 0
		.amdhsa_user_sgpr_private_segment_size 0
		.amdhsa_wavefront_size32 1
		.amdhsa_uses_dynamic_stack 0
		.amdhsa_system_sgpr_private_segment_wavefront_offset 0
		.amdhsa_system_sgpr_workgroup_id_x 1
		.amdhsa_system_sgpr_workgroup_id_y 0
		.amdhsa_system_sgpr_workgroup_id_z 0
		.amdhsa_system_sgpr_workgroup_info 0
		.amdhsa_system_vgpr_workitem_id 0
		.amdhsa_next_free_vgpr 9
		.amdhsa_next_free_sgpr 16
		.amdhsa_reserve_vcc 1
		.amdhsa_reserve_flat_scratch 0
		.amdhsa_float_round_mode_32 0
		.amdhsa_float_round_mode_16_64 0
		.amdhsa_float_denorm_mode_32 3
		.amdhsa_float_denorm_mode_16_64 3
		.amdhsa_dx10_clamp 1
		.amdhsa_ieee_mode 1
		.amdhsa_fp16_overflow 0
		.amdhsa_workgroup_processor_mode 1
		.amdhsa_memory_ordered 1
		.amdhsa_forward_progress 1
		.amdhsa_shared_vgpr_count 0
		.amdhsa_exception_fp_ieee_invalid_op 0
		.amdhsa_exception_fp_denorm_src 0
		.amdhsa_exception_fp_ieee_div_zero 0
		.amdhsa_exception_fp_ieee_overflow 0
		.amdhsa_exception_fp_ieee_underflow 0
		.amdhsa_exception_fp_ieee_inexact 0
		.amdhsa_exception_int_div_zero 0
	.end_amdhsa_kernel
	.section	.text._ZN7rocprim17ROCPRIM_400000_NS6detail17trampoline_kernelINS0_14default_configENS1_38merge_sort_block_merge_config_selectorIjNS0_10empty_typeEEEZZNS1_27merge_sort_block_merge_implIS3_N6thrust23THRUST_200600_302600_NS6detail15normal_iteratorINS9_10device_ptrIjEEEEPS5_m11less_div_10IjEEE10hipError_tT0_T1_T2_jT3_P12ihipStream_tbPNSt15iterator_traitsISJ_E10value_typeEPNSP_ISK_E10value_typeEPSL_NS1_7vsmem_tEENKUlT_SJ_SK_SL_E_clIPjSE_SF_SF_EESI_SY_SJ_SK_SL_EUlSY_E1_NS1_11comp_targetILNS1_3genE8ELNS1_11target_archE1030ELNS1_3gpuE2ELNS1_3repE0EEENS1_36merge_oddeven_config_static_selectorELNS0_4arch9wavefront6targetE0EEEvSK_,"axG",@progbits,_ZN7rocprim17ROCPRIM_400000_NS6detail17trampoline_kernelINS0_14default_configENS1_38merge_sort_block_merge_config_selectorIjNS0_10empty_typeEEEZZNS1_27merge_sort_block_merge_implIS3_N6thrust23THRUST_200600_302600_NS6detail15normal_iteratorINS9_10device_ptrIjEEEEPS5_m11less_div_10IjEEE10hipError_tT0_T1_T2_jT3_P12ihipStream_tbPNSt15iterator_traitsISJ_E10value_typeEPNSP_ISK_E10value_typeEPSL_NS1_7vsmem_tEENKUlT_SJ_SK_SL_E_clIPjSE_SF_SF_EESI_SY_SJ_SK_SL_EUlSY_E1_NS1_11comp_targetILNS1_3genE8ELNS1_11target_archE1030ELNS1_3gpuE2ELNS1_3repE0EEENS1_36merge_oddeven_config_static_selectorELNS0_4arch9wavefront6targetE0EEEvSK_,comdat
.Lfunc_end170:
	.size	_ZN7rocprim17ROCPRIM_400000_NS6detail17trampoline_kernelINS0_14default_configENS1_38merge_sort_block_merge_config_selectorIjNS0_10empty_typeEEEZZNS1_27merge_sort_block_merge_implIS3_N6thrust23THRUST_200600_302600_NS6detail15normal_iteratorINS9_10device_ptrIjEEEEPS5_m11less_div_10IjEEE10hipError_tT0_T1_T2_jT3_P12ihipStream_tbPNSt15iterator_traitsISJ_E10value_typeEPNSP_ISK_E10value_typeEPSL_NS1_7vsmem_tEENKUlT_SJ_SK_SL_E_clIPjSE_SF_SF_EESI_SY_SJ_SK_SL_EUlSY_E1_NS1_11comp_targetILNS1_3genE8ELNS1_11target_archE1030ELNS1_3gpuE2ELNS1_3repE0EEENS1_36merge_oddeven_config_static_selectorELNS0_4arch9wavefront6targetE0EEEvSK_, .Lfunc_end170-_ZN7rocprim17ROCPRIM_400000_NS6detail17trampoline_kernelINS0_14default_configENS1_38merge_sort_block_merge_config_selectorIjNS0_10empty_typeEEEZZNS1_27merge_sort_block_merge_implIS3_N6thrust23THRUST_200600_302600_NS6detail15normal_iteratorINS9_10device_ptrIjEEEEPS5_m11less_div_10IjEEE10hipError_tT0_T1_T2_jT3_P12ihipStream_tbPNSt15iterator_traitsISJ_E10value_typeEPNSP_ISK_E10value_typeEPSL_NS1_7vsmem_tEENKUlT_SJ_SK_SL_E_clIPjSE_SF_SF_EESI_SY_SJ_SK_SL_EUlSY_E1_NS1_11comp_targetILNS1_3genE8ELNS1_11target_archE1030ELNS1_3gpuE2ELNS1_3repE0EEENS1_36merge_oddeven_config_static_selectorELNS0_4arch9wavefront6targetE0EEEvSK_
                                        ; -- End function
	.set _ZN7rocprim17ROCPRIM_400000_NS6detail17trampoline_kernelINS0_14default_configENS1_38merge_sort_block_merge_config_selectorIjNS0_10empty_typeEEEZZNS1_27merge_sort_block_merge_implIS3_N6thrust23THRUST_200600_302600_NS6detail15normal_iteratorINS9_10device_ptrIjEEEEPS5_m11less_div_10IjEEE10hipError_tT0_T1_T2_jT3_P12ihipStream_tbPNSt15iterator_traitsISJ_E10value_typeEPNSP_ISK_E10value_typeEPSL_NS1_7vsmem_tEENKUlT_SJ_SK_SL_E_clIPjSE_SF_SF_EESI_SY_SJ_SK_SL_EUlSY_E1_NS1_11comp_targetILNS1_3genE8ELNS1_11target_archE1030ELNS1_3gpuE2ELNS1_3repE0EEENS1_36merge_oddeven_config_static_selectorELNS0_4arch9wavefront6targetE0EEEvSK_.num_vgpr, 9
	.set _ZN7rocprim17ROCPRIM_400000_NS6detail17trampoline_kernelINS0_14default_configENS1_38merge_sort_block_merge_config_selectorIjNS0_10empty_typeEEEZZNS1_27merge_sort_block_merge_implIS3_N6thrust23THRUST_200600_302600_NS6detail15normal_iteratorINS9_10device_ptrIjEEEEPS5_m11less_div_10IjEEE10hipError_tT0_T1_T2_jT3_P12ihipStream_tbPNSt15iterator_traitsISJ_E10value_typeEPNSP_ISK_E10value_typeEPSL_NS1_7vsmem_tEENKUlT_SJ_SK_SL_E_clIPjSE_SF_SF_EESI_SY_SJ_SK_SL_EUlSY_E1_NS1_11comp_targetILNS1_3genE8ELNS1_11target_archE1030ELNS1_3gpuE2ELNS1_3repE0EEENS1_36merge_oddeven_config_static_selectorELNS0_4arch9wavefront6targetE0EEEvSK_.num_agpr, 0
	.set _ZN7rocprim17ROCPRIM_400000_NS6detail17trampoline_kernelINS0_14default_configENS1_38merge_sort_block_merge_config_selectorIjNS0_10empty_typeEEEZZNS1_27merge_sort_block_merge_implIS3_N6thrust23THRUST_200600_302600_NS6detail15normal_iteratorINS9_10device_ptrIjEEEEPS5_m11less_div_10IjEEE10hipError_tT0_T1_T2_jT3_P12ihipStream_tbPNSt15iterator_traitsISJ_E10value_typeEPNSP_ISK_E10value_typeEPSL_NS1_7vsmem_tEENKUlT_SJ_SK_SL_E_clIPjSE_SF_SF_EESI_SY_SJ_SK_SL_EUlSY_E1_NS1_11comp_targetILNS1_3genE8ELNS1_11target_archE1030ELNS1_3gpuE2ELNS1_3repE0EEENS1_36merge_oddeven_config_static_selectorELNS0_4arch9wavefront6targetE0EEEvSK_.numbered_sgpr, 16
	.set _ZN7rocprim17ROCPRIM_400000_NS6detail17trampoline_kernelINS0_14default_configENS1_38merge_sort_block_merge_config_selectorIjNS0_10empty_typeEEEZZNS1_27merge_sort_block_merge_implIS3_N6thrust23THRUST_200600_302600_NS6detail15normal_iteratorINS9_10device_ptrIjEEEEPS5_m11less_div_10IjEEE10hipError_tT0_T1_T2_jT3_P12ihipStream_tbPNSt15iterator_traitsISJ_E10value_typeEPNSP_ISK_E10value_typeEPSL_NS1_7vsmem_tEENKUlT_SJ_SK_SL_E_clIPjSE_SF_SF_EESI_SY_SJ_SK_SL_EUlSY_E1_NS1_11comp_targetILNS1_3genE8ELNS1_11target_archE1030ELNS1_3gpuE2ELNS1_3repE0EEENS1_36merge_oddeven_config_static_selectorELNS0_4arch9wavefront6targetE0EEEvSK_.num_named_barrier, 0
	.set _ZN7rocprim17ROCPRIM_400000_NS6detail17trampoline_kernelINS0_14default_configENS1_38merge_sort_block_merge_config_selectorIjNS0_10empty_typeEEEZZNS1_27merge_sort_block_merge_implIS3_N6thrust23THRUST_200600_302600_NS6detail15normal_iteratorINS9_10device_ptrIjEEEEPS5_m11less_div_10IjEEE10hipError_tT0_T1_T2_jT3_P12ihipStream_tbPNSt15iterator_traitsISJ_E10value_typeEPNSP_ISK_E10value_typeEPSL_NS1_7vsmem_tEENKUlT_SJ_SK_SL_E_clIPjSE_SF_SF_EESI_SY_SJ_SK_SL_EUlSY_E1_NS1_11comp_targetILNS1_3genE8ELNS1_11target_archE1030ELNS1_3gpuE2ELNS1_3repE0EEENS1_36merge_oddeven_config_static_selectorELNS0_4arch9wavefront6targetE0EEEvSK_.private_seg_size, 0
	.set _ZN7rocprim17ROCPRIM_400000_NS6detail17trampoline_kernelINS0_14default_configENS1_38merge_sort_block_merge_config_selectorIjNS0_10empty_typeEEEZZNS1_27merge_sort_block_merge_implIS3_N6thrust23THRUST_200600_302600_NS6detail15normal_iteratorINS9_10device_ptrIjEEEEPS5_m11less_div_10IjEEE10hipError_tT0_T1_T2_jT3_P12ihipStream_tbPNSt15iterator_traitsISJ_E10value_typeEPNSP_ISK_E10value_typeEPSL_NS1_7vsmem_tEENKUlT_SJ_SK_SL_E_clIPjSE_SF_SF_EESI_SY_SJ_SK_SL_EUlSY_E1_NS1_11comp_targetILNS1_3genE8ELNS1_11target_archE1030ELNS1_3gpuE2ELNS1_3repE0EEENS1_36merge_oddeven_config_static_selectorELNS0_4arch9wavefront6targetE0EEEvSK_.uses_vcc, 1
	.set _ZN7rocprim17ROCPRIM_400000_NS6detail17trampoline_kernelINS0_14default_configENS1_38merge_sort_block_merge_config_selectorIjNS0_10empty_typeEEEZZNS1_27merge_sort_block_merge_implIS3_N6thrust23THRUST_200600_302600_NS6detail15normal_iteratorINS9_10device_ptrIjEEEEPS5_m11less_div_10IjEEE10hipError_tT0_T1_T2_jT3_P12ihipStream_tbPNSt15iterator_traitsISJ_E10value_typeEPNSP_ISK_E10value_typeEPSL_NS1_7vsmem_tEENKUlT_SJ_SK_SL_E_clIPjSE_SF_SF_EESI_SY_SJ_SK_SL_EUlSY_E1_NS1_11comp_targetILNS1_3genE8ELNS1_11target_archE1030ELNS1_3gpuE2ELNS1_3repE0EEENS1_36merge_oddeven_config_static_selectorELNS0_4arch9wavefront6targetE0EEEvSK_.uses_flat_scratch, 0
	.set _ZN7rocprim17ROCPRIM_400000_NS6detail17trampoline_kernelINS0_14default_configENS1_38merge_sort_block_merge_config_selectorIjNS0_10empty_typeEEEZZNS1_27merge_sort_block_merge_implIS3_N6thrust23THRUST_200600_302600_NS6detail15normal_iteratorINS9_10device_ptrIjEEEEPS5_m11less_div_10IjEEE10hipError_tT0_T1_T2_jT3_P12ihipStream_tbPNSt15iterator_traitsISJ_E10value_typeEPNSP_ISK_E10value_typeEPSL_NS1_7vsmem_tEENKUlT_SJ_SK_SL_E_clIPjSE_SF_SF_EESI_SY_SJ_SK_SL_EUlSY_E1_NS1_11comp_targetILNS1_3genE8ELNS1_11target_archE1030ELNS1_3gpuE2ELNS1_3repE0EEENS1_36merge_oddeven_config_static_selectorELNS0_4arch9wavefront6targetE0EEEvSK_.has_dyn_sized_stack, 0
	.set _ZN7rocprim17ROCPRIM_400000_NS6detail17trampoline_kernelINS0_14default_configENS1_38merge_sort_block_merge_config_selectorIjNS0_10empty_typeEEEZZNS1_27merge_sort_block_merge_implIS3_N6thrust23THRUST_200600_302600_NS6detail15normal_iteratorINS9_10device_ptrIjEEEEPS5_m11less_div_10IjEEE10hipError_tT0_T1_T2_jT3_P12ihipStream_tbPNSt15iterator_traitsISJ_E10value_typeEPNSP_ISK_E10value_typeEPSL_NS1_7vsmem_tEENKUlT_SJ_SK_SL_E_clIPjSE_SF_SF_EESI_SY_SJ_SK_SL_EUlSY_E1_NS1_11comp_targetILNS1_3genE8ELNS1_11target_archE1030ELNS1_3gpuE2ELNS1_3repE0EEENS1_36merge_oddeven_config_static_selectorELNS0_4arch9wavefront6targetE0EEEvSK_.has_recursion, 0
	.set _ZN7rocprim17ROCPRIM_400000_NS6detail17trampoline_kernelINS0_14default_configENS1_38merge_sort_block_merge_config_selectorIjNS0_10empty_typeEEEZZNS1_27merge_sort_block_merge_implIS3_N6thrust23THRUST_200600_302600_NS6detail15normal_iteratorINS9_10device_ptrIjEEEEPS5_m11less_div_10IjEEE10hipError_tT0_T1_T2_jT3_P12ihipStream_tbPNSt15iterator_traitsISJ_E10value_typeEPNSP_ISK_E10value_typeEPSL_NS1_7vsmem_tEENKUlT_SJ_SK_SL_E_clIPjSE_SF_SF_EESI_SY_SJ_SK_SL_EUlSY_E1_NS1_11comp_targetILNS1_3genE8ELNS1_11target_archE1030ELNS1_3gpuE2ELNS1_3repE0EEENS1_36merge_oddeven_config_static_selectorELNS0_4arch9wavefront6targetE0EEEvSK_.has_indirect_call, 0
	.section	.AMDGPU.csdata,"",@progbits
; Kernel info:
; codeLenInByte = 780
; TotalNumSgprs: 18
; NumVgprs: 9
; ScratchSize: 0
; MemoryBound: 0
; FloatMode: 240
; IeeeMode: 1
; LDSByteSize: 0 bytes/workgroup (compile time only)
; SGPRBlocks: 0
; VGPRBlocks: 1
; NumSGPRsForWavesPerEU: 18
; NumVGPRsForWavesPerEU: 9
; Occupancy: 16
; WaveLimiterHint : 0
; COMPUTE_PGM_RSRC2:SCRATCH_EN: 0
; COMPUTE_PGM_RSRC2:USER_SGPR: 6
; COMPUTE_PGM_RSRC2:TRAP_HANDLER: 0
; COMPUTE_PGM_RSRC2:TGID_X_EN: 1
; COMPUTE_PGM_RSRC2:TGID_Y_EN: 0
; COMPUTE_PGM_RSRC2:TGID_Z_EN: 0
; COMPUTE_PGM_RSRC2:TIDIG_COMP_CNT: 0
	.section	.text._ZN7rocprim17ROCPRIM_400000_NS6detail17trampoline_kernelINS0_14default_configENS1_38merge_sort_block_merge_config_selectorIjNS0_10empty_typeEEEZZNS1_27merge_sort_block_merge_implIS3_N6thrust23THRUST_200600_302600_NS6detail15normal_iteratorINS9_10device_ptrIjEEEEPS5_m11less_div_10IjEEE10hipError_tT0_T1_T2_jT3_P12ihipStream_tbPNSt15iterator_traitsISJ_E10value_typeEPNSP_ISK_E10value_typeEPSL_NS1_7vsmem_tEENKUlT_SJ_SK_SL_E_clISE_PjSF_SF_EESI_SY_SJ_SK_SL_EUlSY_E_NS1_11comp_targetILNS1_3genE0ELNS1_11target_archE4294967295ELNS1_3gpuE0ELNS1_3repE0EEENS1_48merge_mergepath_partition_config_static_selectorELNS0_4arch9wavefront6targetE0EEEvSK_,"axG",@progbits,_ZN7rocprim17ROCPRIM_400000_NS6detail17trampoline_kernelINS0_14default_configENS1_38merge_sort_block_merge_config_selectorIjNS0_10empty_typeEEEZZNS1_27merge_sort_block_merge_implIS3_N6thrust23THRUST_200600_302600_NS6detail15normal_iteratorINS9_10device_ptrIjEEEEPS5_m11less_div_10IjEEE10hipError_tT0_T1_T2_jT3_P12ihipStream_tbPNSt15iterator_traitsISJ_E10value_typeEPNSP_ISK_E10value_typeEPSL_NS1_7vsmem_tEENKUlT_SJ_SK_SL_E_clISE_PjSF_SF_EESI_SY_SJ_SK_SL_EUlSY_E_NS1_11comp_targetILNS1_3genE0ELNS1_11target_archE4294967295ELNS1_3gpuE0ELNS1_3repE0EEENS1_48merge_mergepath_partition_config_static_selectorELNS0_4arch9wavefront6targetE0EEEvSK_,comdat
	.protected	_ZN7rocprim17ROCPRIM_400000_NS6detail17trampoline_kernelINS0_14default_configENS1_38merge_sort_block_merge_config_selectorIjNS0_10empty_typeEEEZZNS1_27merge_sort_block_merge_implIS3_N6thrust23THRUST_200600_302600_NS6detail15normal_iteratorINS9_10device_ptrIjEEEEPS5_m11less_div_10IjEEE10hipError_tT0_T1_T2_jT3_P12ihipStream_tbPNSt15iterator_traitsISJ_E10value_typeEPNSP_ISK_E10value_typeEPSL_NS1_7vsmem_tEENKUlT_SJ_SK_SL_E_clISE_PjSF_SF_EESI_SY_SJ_SK_SL_EUlSY_E_NS1_11comp_targetILNS1_3genE0ELNS1_11target_archE4294967295ELNS1_3gpuE0ELNS1_3repE0EEENS1_48merge_mergepath_partition_config_static_selectorELNS0_4arch9wavefront6targetE0EEEvSK_ ; -- Begin function _ZN7rocprim17ROCPRIM_400000_NS6detail17trampoline_kernelINS0_14default_configENS1_38merge_sort_block_merge_config_selectorIjNS0_10empty_typeEEEZZNS1_27merge_sort_block_merge_implIS3_N6thrust23THRUST_200600_302600_NS6detail15normal_iteratorINS9_10device_ptrIjEEEEPS5_m11less_div_10IjEEE10hipError_tT0_T1_T2_jT3_P12ihipStream_tbPNSt15iterator_traitsISJ_E10value_typeEPNSP_ISK_E10value_typeEPSL_NS1_7vsmem_tEENKUlT_SJ_SK_SL_E_clISE_PjSF_SF_EESI_SY_SJ_SK_SL_EUlSY_E_NS1_11comp_targetILNS1_3genE0ELNS1_11target_archE4294967295ELNS1_3gpuE0ELNS1_3repE0EEENS1_48merge_mergepath_partition_config_static_selectorELNS0_4arch9wavefront6targetE0EEEvSK_
	.globl	_ZN7rocprim17ROCPRIM_400000_NS6detail17trampoline_kernelINS0_14default_configENS1_38merge_sort_block_merge_config_selectorIjNS0_10empty_typeEEEZZNS1_27merge_sort_block_merge_implIS3_N6thrust23THRUST_200600_302600_NS6detail15normal_iteratorINS9_10device_ptrIjEEEEPS5_m11less_div_10IjEEE10hipError_tT0_T1_T2_jT3_P12ihipStream_tbPNSt15iterator_traitsISJ_E10value_typeEPNSP_ISK_E10value_typeEPSL_NS1_7vsmem_tEENKUlT_SJ_SK_SL_E_clISE_PjSF_SF_EESI_SY_SJ_SK_SL_EUlSY_E_NS1_11comp_targetILNS1_3genE0ELNS1_11target_archE4294967295ELNS1_3gpuE0ELNS1_3repE0EEENS1_48merge_mergepath_partition_config_static_selectorELNS0_4arch9wavefront6targetE0EEEvSK_
	.p2align	8
	.type	_ZN7rocprim17ROCPRIM_400000_NS6detail17trampoline_kernelINS0_14default_configENS1_38merge_sort_block_merge_config_selectorIjNS0_10empty_typeEEEZZNS1_27merge_sort_block_merge_implIS3_N6thrust23THRUST_200600_302600_NS6detail15normal_iteratorINS9_10device_ptrIjEEEEPS5_m11less_div_10IjEEE10hipError_tT0_T1_T2_jT3_P12ihipStream_tbPNSt15iterator_traitsISJ_E10value_typeEPNSP_ISK_E10value_typeEPSL_NS1_7vsmem_tEENKUlT_SJ_SK_SL_E_clISE_PjSF_SF_EESI_SY_SJ_SK_SL_EUlSY_E_NS1_11comp_targetILNS1_3genE0ELNS1_11target_archE4294967295ELNS1_3gpuE0ELNS1_3repE0EEENS1_48merge_mergepath_partition_config_static_selectorELNS0_4arch9wavefront6targetE0EEEvSK_,@function
_ZN7rocprim17ROCPRIM_400000_NS6detail17trampoline_kernelINS0_14default_configENS1_38merge_sort_block_merge_config_selectorIjNS0_10empty_typeEEEZZNS1_27merge_sort_block_merge_implIS3_N6thrust23THRUST_200600_302600_NS6detail15normal_iteratorINS9_10device_ptrIjEEEEPS5_m11less_div_10IjEEE10hipError_tT0_T1_T2_jT3_P12ihipStream_tbPNSt15iterator_traitsISJ_E10value_typeEPNSP_ISK_E10value_typeEPSL_NS1_7vsmem_tEENKUlT_SJ_SK_SL_E_clISE_PjSF_SF_EESI_SY_SJ_SK_SL_EUlSY_E_NS1_11comp_targetILNS1_3genE0ELNS1_11target_archE4294967295ELNS1_3gpuE0ELNS1_3repE0EEENS1_48merge_mergepath_partition_config_static_selectorELNS0_4arch9wavefront6targetE0EEEvSK_: ; @_ZN7rocprim17ROCPRIM_400000_NS6detail17trampoline_kernelINS0_14default_configENS1_38merge_sort_block_merge_config_selectorIjNS0_10empty_typeEEEZZNS1_27merge_sort_block_merge_implIS3_N6thrust23THRUST_200600_302600_NS6detail15normal_iteratorINS9_10device_ptrIjEEEEPS5_m11less_div_10IjEEE10hipError_tT0_T1_T2_jT3_P12ihipStream_tbPNSt15iterator_traitsISJ_E10value_typeEPNSP_ISK_E10value_typeEPSL_NS1_7vsmem_tEENKUlT_SJ_SK_SL_E_clISE_PjSF_SF_EESI_SY_SJ_SK_SL_EUlSY_E_NS1_11comp_targetILNS1_3genE0ELNS1_11target_archE4294967295ELNS1_3gpuE0ELNS1_3repE0EEENS1_48merge_mergepath_partition_config_static_selectorELNS0_4arch9wavefront6targetE0EEEvSK_
; %bb.0:
	.section	.rodata,"a",@progbits
	.p2align	6, 0x0
	.amdhsa_kernel _ZN7rocprim17ROCPRIM_400000_NS6detail17trampoline_kernelINS0_14default_configENS1_38merge_sort_block_merge_config_selectorIjNS0_10empty_typeEEEZZNS1_27merge_sort_block_merge_implIS3_N6thrust23THRUST_200600_302600_NS6detail15normal_iteratorINS9_10device_ptrIjEEEEPS5_m11less_div_10IjEEE10hipError_tT0_T1_T2_jT3_P12ihipStream_tbPNSt15iterator_traitsISJ_E10value_typeEPNSP_ISK_E10value_typeEPSL_NS1_7vsmem_tEENKUlT_SJ_SK_SL_E_clISE_PjSF_SF_EESI_SY_SJ_SK_SL_EUlSY_E_NS1_11comp_targetILNS1_3genE0ELNS1_11target_archE4294967295ELNS1_3gpuE0ELNS1_3repE0EEENS1_48merge_mergepath_partition_config_static_selectorELNS0_4arch9wavefront6targetE0EEEvSK_
		.amdhsa_group_segment_fixed_size 0
		.amdhsa_private_segment_fixed_size 0
		.amdhsa_kernarg_size 48
		.amdhsa_user_sgpr_count 6
		.amdhsa_user_sgpr_private_segment_buffer 1
		.amdhsa_user_sgpr_dispatch_ptr 0
		.amdhsa_user_sgpr_queue_ptr 0
		.amdhsa_user_sgpr_kernarg_segment_ptr 1
		.amdhsa_user_sgpr_dispatch_id 0
		.amdhsa_user_sgpr_flat_scratch_init 0
		.amdhsa_user_sgpr_private_segment_size 0
		.amdhsa_wavefront_size32 1
		.amdhsa_uses_dynamic_stack 0
		.amdhsa_system_sgpr_private_segment_wavefront_offset 0
		.amdhsa_system_sgpr_workgroup_id_x 1
		.amdhsa_system_sgpr_workgroup_id_y 0
		.amdhsa_system_sgpr_workgroup_id_z 0
		.amdhsa_system_sgpr_workgroup_info 0
		.amdhsa_system_vgpr_workitem_id 0
		.amdhsa_next_free_vgpr 1
		.amdhsa_next_free_sgpr 1
		.amdhsa_reserve_vcc 0
		.amdhsa_reserve_flat_scratch 0
		.amdhsa_float_round_mode_32 0
		.amdhsa_float_round_mode_16_64 0
		.amdhsa_float_denorm_mode_32 3
		.amdhsa_float_denorm_mode_16_64 3
		.amdhsa_dx10_clamp 1
		.amdhsa_ieee_mode 1
		.amdhsa_fp16_overflow 0
		.amdhsa_workgroup_processor_mode 1
		.amdhsa_memory_ordered 1
		.amdhsa_forward_progress 1
		.amdhsa_shared_vgpr_count 0
		.amdhsa_exception_fp_ieee_invalid_op 0
		.amdhsa_exception_fp_denorm_src 0
		.amdhsa_exception_fp_ieee_div_zero 0
		.amdhsa_exception_fp_ieee_overflow 0
		.amdhsa_exception_fp_ieee_underflow 0
		.amdhsa_exception_fp_ieee_inexact 0
		.amdhsa_exception_int_div_zero 0
	.end_amdhsa_kernel
	.section	.text._ZN7rocprim17ROCPRIM_400000_NS6detail17trampoline_kernelINS0_14default_configENS1_38merge_sort_block_merge_config_selectorIjNS0_10empty_typeEEEZZNS1_27merge_sort_block_merge_implIS3_N6thrust23THRUST_200600_302600_NS6detail15normal_iteratorINS9_10device_ptrIjEEEEPS5_m11less_div_10IjEEE10hipError_tT0_T1_T2_jT3_P12ihipStream_tbPNSt15iterator_traitsISJ_E10value_typeEPNSP_ISK_E10value_typeEPSL_NS1_7vsmem_tEENKUlT_SJ_SK_SL_E_clISE_PjSF_SF_EESI_SY_SJ_SK_SL_EUlSY_E_NS1_11comp_targetILNS1_3genE0ELNS1_11target_archE4294967295ELNS1_3gpuE0ELNS1_3repE0EEENS1_48merge_mergepath_partition_config_static_selectorELNS0_4arch9wavefront6targetE0EEEvSK_,"axG",@progbits,_ZN7rocprim17ROCPRIM_400000_NS6detail17trampoline_kernelINS0_14default_configENS1_38merge_sort_block_merge_config_selectorIjNS0_10empty_typeEEEZZNS1_27merge_sort_block_merge_implIS3_N6thrust23THRUST_200600_302600_NS6detail15normal_iteratorINS9_10device_ptrIjEEEEPS5_m11less_div_10IjEEE10hipError_tT0_T1_T2_jT3_P12ihipStream_tbPNSt15iterator_traitsISJ_E10value_typeEPNSP_ISK_E10value_typeEPSL_NS1_7vsmem_tEENKUlT_SJ_SK_SL_E_clISE_PjSF_SF_EESI_SY_SJ_SK_SL_EUlSY_E_NS1_11comp_targetILNS1_3genE0ELNS1_11target_archE4294967295ELNS1_3gpuE0ELNS1_3repE0EEENS1_48merge_mergepath_partition_config_static_selectorELNS0_4arch9wavefront6targetE0EEEvSK_,comdat
.Lfunc_end171:
	.size	_ZN7rocprim17ROCPRIM_400000_NS6detail17trampoline_kernelINS0_14default_configENS1_38merge_sort_block_merge_config_selectorIjNS0_10empty_typeEEEZZNS1_27merge_sort_block_merge_implIS3_N6thrust23THRUST_200600_302600_NS6detail15normal_iteratorINS9_10device_ptrIjEEEEPS5_m11less_div_10IjEEE10hipError_tT0_T1_T2_jT3_P12ihipStream_tbPNSt15iterator_traitsISJ_E10value_typeEPNSP_ISK_E10value_typeEPSL_NS1_7vsmem_tEENKUlT_SJ_SK_SL_E_clISE_PjSF_SF_EESI_SY_SJ_SK_SL_EUlSY_E_NS1_11comp_targetILNS1_3genE0ELNS1_11target_archE4294967295ELNS1_3gpuE0ELNS1_3repE0EEENS1_48merge_mergepath_partition_config_static_selectorELNS0_4arch9wavefront6targetE0EEEvSK_, .Lfunc_end171-_ZN7rocprim17ROCPRIM_400000_NS6detail17trampoline_kernelINS0_14default_configENS1_38merge_sort_block_merge_config_selectorIjNS0_10empty_typeEEEZZNS1_27merge_sort_block_merge_implIS3_N6thrust23THRUST_200600_302600_NS6detail15normal_iteratorINS9_10device_ptrIjEEEEPS5_m11less_div_10IjEEE10hipError_tT0_T1_T2_jT3_P12ihipStream_tbPNSt15iterator_traitsISJ_E10value_typeEPNSP_ISK_E10value_typeEPSL_NS1_7vsmem_tEENKUlT_SJ_SK_SL_E_clISE_PjSF_SF_EESI_SY_SJ_SK_SL_EUlSY_E_NS1_11comp_targetILNS1_3genE0ELNS1_11target_archE4294967295ELNS1_3gpuE0ELNS1_3repE0EEENS1_48merge_mergepath_partition_config_static_selectorELNS0_4arch9wavefront6targetE0EEEvSK_
                                        ; -- End function
	.set _ZN7rocprim17ROCPRIM_400000_NS6detail17trampoline_kernelINS0_14default_configENS1_38merge_sort_block_merge_config_selectorIjNS0_10empty_typeEEEZZNS1_27merge_sort_block_merge_implIS3_N6thrust23THRUST_200600_302600_NS6detail15normal_iteratorINS9_10device_ptrIjEEEEPS5_m11less_div_10IjEEE10hipError_tT0_T1_T2_jT3_P12ihipStream_tbPNSt15iterator_traitsISJ_E10value_typeEPNSP_ISK_E10value_typeEPSL_NS1_7vsmem_tEENKUlT_SJ_SK_SL_E_clISE_PjSF_SF_EESI_SY_SJ_SK_SL_EUlSY_E_NS1_11comp_targetILNS1_3genE0ELNS1_11target_archE4294967295ELNS1_3gpuE0ELNS1_3repE0EEENS1_48merge_mergepath_partition_config_static_selectorELNS0_4arch9wavefront6targetE0EEEvSK_.num_vgpr, 0
	.set _ZN7rocprim17ROCPRIM_400000_NS6detail17trampoline_kernelINS0_14default_configENS1_38merge_sort_block_merge_config_selectorIjNS0_10empty_typeEEEZZNS1_27merge_sort_block_merge_implIS3_N6thrust23THRUST_200600_302600_NS6detail15normal_iteratorINS9_10device_ptrIjEEEEPS5_m11less_div_10IjEEE10hipError_tT0_T1_T2_jT3_P12ihipStream_tbPNSt15iterator_traitsISJ_E10value_typeEPNSP_ISK_E10value_typeEPSL_NS1_7vsmem_tEENKUlT_SJ_SK_SL_E_clISE_PjSF_SF_EESI_SY_SJ_SK_SL_EUlSY_E_NS1_11comp_targetILNS1_3genE0ELNS1_11target_archE4294967295ELNS1_3gpuE0ELNS1_3repE0EEENS1_48merge_mergepath_partition_config_static_selectorELNS0_4arch9wavefront6targetE0EEEvSK_.num_agpr, 0
	.set _ZN7rocprim17ROCPRIM_400000_NS6detail17trampoline_kernelINS0_14default_configENS1_38merge_sort_block_merge_config_selectorIjNS0_10empty_typeEEEZZNS1_27merge_sort_block_merge_implIS3_N6thrust23THRUST_200600_302600_NS6detail15normal_iteratorINS9_10device_ptrIjEEEEPS5_m11less_div_10IjEEE10hipError_tT0_T1_T2_jT3_P12ihipStream_tbPNSt15iterator_traitsISJ_E10value_typeEPNSP_ISK_E10value_typeEPSL_NS1_7vsmem_tEENKUlT_SJ_SK_SL_E_clISE_PjSF_SF_EESI_SY_SJ_SK_SL_EUlSY_E_NS1_11comp_targetILNS1_3genE0ELNS1_11target_archE4294967295ELNS1_3gpuE0ELNS1_3repE0EEENS1_48merge_mergepath_partition_config_static_selectorELNS0_4arch9wavefront6targetE0EEEvSK_.numbered_sgpr, 0
	.set _ZN7rocprim17ROCPRIM_400000_NS6detail17trampoline_kernelINS0_14default_configENS1_38merge_sort_block_merge_config_selectorIjNS0_10empty_typeEEEZZNS1_27merge_sort_block_merge_implIS3_N6thrust23THRUST_200600_302600_NS6detail15normal_iteratorINS9_10device_ptrIjEEEEPS5_m11less_div_10IjEEE10hipError_tT0_T1_T2_jT3_P12ihipStream_tbPNSt15iterator_traitsISJ_E10value_typeEPNSP_ISK_E10value_typeEPSL_NS1_7vsmem_tEENKUlT_SJ_SK_SL_E_clISE_PjSF_SF_EESI_SY_SJ_SK_SL_EUlSY_E_NS1_11comp_targetILNS1_3genE0ELNS1_11target_archE4294967295ELNS1_3gpuE0ELNS1_3repE0EEENS1_48merge_mergepath_partition_config_static_selectorELNS0_4arch9wavefront6targetE0EEEvSK_.num_named_barrier, 0
	.set _ZN7rocprim17ROCPRIM_400000_NS6detail17trampoline_kernelINS0_14default_configENS1_38merge_sort_block_merge_config_selectorIjNS0_10empty_typeEEEZZNS1_27merge_sort_block_merge_implIS3_N6thrust23THRUST_200600_302600_NS6detail15normal_iteratorINS9_10device_ptrIjEEEEPS5_m11less_div_10IjEEE10hipError_tT0_T1_T2_jT3_P12ihipStream_tbPNSt15iterator_traitsISJ_E10value_typeEPNSP_ISK_E10value_typeEPSL_NS1_7vsmem_tEENKUlT_SJ_SK_SL_E_clISE_PjSF_SF_EESI_SY_SJ_SK_SL_EUlSY_E_NS1_11comp_targetILNS1_3genE0ELNS1_11target_archE4294967295ELNS1_3gpuE0ELNS1_3repE0EEENS1_48merge_mergepath_partition_config_static_selectorELNS0_4arch9wavefront6targetE0EEEvSK_.private_seg_size, 0
	.set _ZN7rocprim17ROCPRIM_400000_NS6detail17trampoline_kernelINS0_14default_configENS1_38merge_sort_block_merge_config_selectorIjNS0_10empty_typeEEEZZNS1_27merge_sort_block_merge_implIS3_N6thrust23THRUST_200600_302600_NS6detail15normal_iteratorINS9_10device_ptrIjEEEEPS5_m11less_div_10IjEEE10hipError_tT0_T1_T2_jT3_P12ihipStream_tbPNSt15iterator_traitsISJ_E10value_typeEPNSP_ISK_E10value_typeEPSL_NS1_7vsmem_tEENKUlT_SJ_SK_SL_E_clISE_PjSF_SF_EESI_SY_SJ_SK_SL_EUlSY_E_NS1_11comp_targetILNS1_3genE0ELNS1_11target_archE4294967295ELNS1_3gpuE0ELNS1_3repE0EEENS1_48merge_mergepath_partition_config_static_selectorELNS0_4arch9wavefront6targetE0EEEvSK_.uses_vcc, 0
	.set _ZN7rocprim17ROCPRIM_400000_NS6detail17trampoline_kernelINS0_14default_configENS1_38merge_sort_block_merge_config_selectorIjNS0_10empty_typeEEEZZNS1_27merge_sort_block_merge_implIS3_N6thrust23THRUST_200600_302600_NS6detail15normal_iteratorINS9_10device_ptrIjEEEEPS5_m11less_div_10IjEEE10hipError_tT0_T1_T2_jT3_P12ihipStream_tbPNSt15iterator_traitsISJ_E10value_typeEPNSP_ISK_E10value_typeEPSL_NS1_7vsmem_tEENKUlT_SJ_SK_SL_E_clISE_PjSF_SF_EESI_SY_SJ_SK_SL_EUlSY_E_NS1_11comp_targetILNS1_3genE0ELNS1_11target_archE4294967295ELNS1_3gpuE0ELNS1_3repE0EEENS1_48merge_mergepath_partition_config_static_selectorELNS0_4arch9wavefront6targetE0EEEvSK_.uses_flat_scratch, 0
	.set _ZN7rocprim17ROCPRIM_400000_NS6detail17trampoline_kernelINS0_14default_configENS1_38merge_sort_block_merge_config_selectorIjNS0_10empty_typeEEEZZNS1_27merge_sort_block_merge_implIS3_N6thrust23THRUST_200600_302600_NS6detail15normal_iteratorINS9_10device_ptrIjEEEEPS5_m11less_div_10IjEEE10hipError_tT0_T1_T2_jT3_P12ihipStream_tbPNSt15iterator_traitsISJ_E10value_typeEPNSP_ISK_E10value_typeEPSL_NS1_7vsmem_tEENKUlT_SJ_SK_SL_E_clISE_PjSF_SF_EESI_SY_SJ_SK_SL_EUlSY_E_NS1_11comp_targetILNS1_3genE0ELNS1_11target_archE4294967295ELNS1_3gpuE0ELNS1_3repE0EEENS1_48merge_mergepath_partition_config_static_selectorELNS0_4arch9wavefront6targetE0EEEvSK_.has_dyn_sized_stack, 0
	.set _ZN7rocprim17ROCPRIM_400000_NS6detail17trampoline_kernelINS0_14default_configENS1_38merge_sort_block_merge_config_selectorIjNS0_10empty_typeEEEZZNS1_27merge_sort_block_merge_implIS3_N6thrust23THRUST_200600_302600_NS6detail15normal_iteratorINS9_10device_ptrIjEEEEPS5_m11less_div_10IjEEE10hipError_tT0_T1_T2_jT3_P12ihipStream_tbPNSt15iterator_traitsISJ_E10value_typeEPNSP_ISK_E10value_typeEPSL_NS1_7vsmem_tEENKUlT_SJ_SK_SL_E_clISE_PjSF_SF_EESI_SY_SJ_SK_SL_EUlSY_E_NS1_11comp_targetILNS1_3genE0ELNS1_11target_archE4294967295ELNS1_3gpuE0ELNS1_3repE0EEENS1_48merge_mergepath_partition_config_static_selectorELNS0_4arch9wavefront6targetE0EEEvSK_.has_recursion, 0
	.set _ZN7rocprim17ROCPRIM_400000_NS6detail17trampoline_kernelINS0_14default_configENS1_38merge_sort_block_merge_config_selectorIjNS0_10empty_typeEEEZZNS1_27merge_sort_block_merge_implIS3_N6thrust23THRUST_200600_302600_NS6detail15normal_iteratorINS9_10device_ptrIjEEEEPS5_m11less_div_10IjEEE10hipError_tT0_T1_T2_jT3_P12ihipStream_tbPNSt15iterator_traitsISJ_E10value_typeEPNSP_ISK_E10value_typeEPSL_NS1_7vsmem_tEENKUlT_SJ_SK_SL_E_clISE_PjSF_SF_EESI_SY_SJ_SK_SL_EUlSY_E_NS1_11comp_targetILNS1_3genE0ELNS1_11target_archE4294967295ELNS1_3gpuE0ELNS1_3repE0EEENS1_48merge_mergepath_partition_config_static_selectorELNS0_4arch9wavefront6targetE0EEEvSK_.has_indirect_call, 0
	.section	.AMDGPU.csdata,"",@progbits
; Kernel info:
; codeLenInByte = 0
; TotalNumSgprs: 0
; NumVgprs: 0
; ScratchSize: 0
; MemoryBound: 0
; FloatMode: 240
; IeeeMode: 1
; LDSByteSize: 0 bytes/workgroup (compile time only)
; SGPRBlocks: 0
; VGPRBlocks: 0
; NumSGPRsForWavesPerEU: 1
; NumVGPRsForWavesPerEU: 1
; Occupancy: 16
; WaveLimiterHint : 0
; COMPUTE_PGM_RSRC2:SCRATCH_EN: 0
; COMPUTE_PGM_RSRC2:USER_SGPR: 6
; COMPUTE_PGM_RSRC2:TRAP_HANDLER: 0
; COMPUTE_PGM_RSRC2:TGID_X_EN: 1
; COMPUTE_PGM_RSRC2:TGID_Y_EN: 0
; COMPUTE_PGM_RSRC2:TGID_Z_EN: 0
; COMPUTE_PGM_RSRC2:TIDIG_COMP_CNT: 0
	.section	.text._ZN7rocprim17ROCPRIM_400000_NS6detail17trampoline_kernelINS0_14default_configENS1_38merge_sort_block_merge_config_selectorIjNS0_10empty_typeEEEZZNS1_27merge_sort_block_merge_implIS3_N6thrust23THRUST_200600_302600_NS6detail15normal_iteratorINS9_10device_ptrIjEEEEPS5_m11less_div_10IjEEE10hipError_tT0_T1_T2_jT3_P12ihipStream_tbPNSt15iterator_traitsISJ_E10value_typeEPNSP_ISK_E10value_typeEPSL_NS1_7vsmem_tEENKUlT_SJ_SK_SL_E_clISE_PjSF_SF_EESI_SY_SJ_SK_SL_EUlSY_E_NS1_11comp_targetILNS1_3genE10ELNS1_11target_archE1201ELNS1_3gpuE5ELNS1_3repE0EEENS1_48merge_mergepath_partition_config_static_selectorELNS0_4arch9wavefront6targetE0EEEvSK_,"axG",@progbits,_ZN7rocprim17ROCPRIM_400000_NS6detail17trampoline_kernelINS0_14default_configENS1_38merge_sort_block_merge_config_selectorIjNS0_10empty_typeEEEZZNS1_27merge_sort_block_merge_implIS3_N6thrust23THRUST_200600_302600_NS6detail15normal_iteratorINS9_10device_ptrIjEEEEPS5_m11less_div_10IjEEE10hipError_tT0_T1_T2_jT3_P12ihipStream_tbPNSt15iterator_traitsISJ_E10value_typeEPNSP_ISK_E10value_typeEPSL_NS1_7vsmem_tEENKUlT_SJ_SK_SL_E_clISE_PjSF_SF_EESI_SY_SJ_SK_SL_EUlSY_E_NS1_11comp_targetILNS1_3genE10ELNS1_11target_archE1201ELNS1_3gpuE5ELNS1_3repE0EEENS1_48merge_mergepath_partition_config_static_selectorELNS0_4arch9wavefront6targetE0EEEvSK_,comdat
	.protected	_ZN7rocprim17ROCPRIM_400000_NS6detail17trampoline_kernelINS0_14default_configENS1_38merge_sort_block_merge_config_selectorIjNS0_10empty_typeEEEZZNS1_27merge_sort_block_merge_implIS3_N6thrust23THRUST_200600_302600_NS6detail15normal_iteratorINS9_10device_ptrIjEEEEPS5_m11less_div_10IjEEE10hipError_tT0_T1_T2_jT3_P12ihipStream_tbPNSt15iterator_traitsISJ_E10value_typeEPNSP_ISK_E10value_typeEPSL_NS1_7vsmem_tEENKUlT_SJ_SK_SL_E_clISE_PjSF_SF_EESI_SY_SJ_SK_SL_EUlSY_E_NS1_11comp_targetILNS1_3genE10ELNS1_11target_archE1201ELNS1_3gpuE5ELNS1_3repE0EEENS1_48merge_mergepath_partition_config_static_selectorELNS0_4arch9wavefront6targetE0EEEvSK_ ; -- Begin function _ZN7rocprim17ROCPRIM_400000_NS6detail17trampoline_kernelINS0_14default_configENS1_38merge_sort_block_merge_config_selectorIjNS0_10empty_typeEEEZZNS1_27merge_sort_block_merge_implIS3_N6thrust23THRUST_200600_302600_NS6detail15normal_iteratorINS9_10device_ptrIjEEEEPS5_m11less_div_10IjEEE10hipError_tT0_T1_T2_jT3_P12ihipStream_tbPNSt15iterator_traitsISJ_E10value_typeEPNSP_ISK_E10value_typeEPSL_NS1_7vsmem_tEENKUlT_SJ_SK_SL_E_clISE_PjSF_SF_EESI_SY_SJ_SK_SL_EUlSY_E_NS1_11comp_targetILNS1_3genE10ELNS1_11target_archE1201ELNS1_3gpuE5ELNS1_3repE0EEENS1_48merge_mergepath_partition_config_static_selectorELNS0_4arch9wavefront6targetE0EEEvSK_
	.globl	_ZN7rocprim17ROCPRIM_400000_NS6detail17trampoline_kernelINS0_14default_configENS1_38merge_sort_block_merge_config_selectorIjNS0_10empty_typeEEEZZNS1_27merge_sort_block_merge_implIS3_N6thrust23THRUST_200600_302600_NS6detail15normal_iteratorINS9_10device_ptrIjEEEEPS5_m11less_div_10IjEEE10hipError_tT0_T1_T2_jT3_P12ihipStream_tbPNSt15iterator_traitsISJ_E10value_typeEPNSP_ISK_E10value_typeEPSL_NS1_7vsmem_tEENKUlT_SJ_SK_SL_E_clISE_PjSF_SF_EESI_SY_SJ_SK_SL_EUlSY_E_NS1_11comp_targetILNS1_3genE10ELNS1_11target_archE1201ELNS1_3gpuE5ELNS1_3repE0EEENS1_48merge_mergepath_partition_config_static_selectorELNS0_4arch9wavefront6targetE0EEEvSK_
	.p2align	8
	.type	_ZN7rocprim17ROCPRIM_400000_NS6detail17trampoline_kernelINS0_14default_configENS1_38merge_sort_block_merge_config_selectorIjNS0_10empty_typeEEEZZNS1_27merge_sort_block_merge_implIS3_N6thrust23THRUST_200600_302600_NS6detail15normal_iteratorINS9_10device_ptrIjEEEEPS5_m11less_div_10IjEEE10hipError_tT0_T1_T2_jT3_P12ihipStream_tbPNSt15iterator_traitsISJ_E10value_typeEPNSP_ISK_E10value_typeEPSL_NS1_7vsmem_tEENKUlT_SJ_SK_SL_E_clISE_PjSF_SF_EESI_SY_SJ_SK_SL_EUlSY_E_NS1_11comp_targetILNS1_3genE10ELNS1_11target_archE1201ELNS1_3gpuE5ELNS1_3repE0EEENS1_48merge_mergepath_partition_config_static_selectorELNS0_4arch9wavefront6targetE0EEEvSK_,@function
_ZN7rocprim17ROCPRIM_400000_NS6detail17trampoline_kernelINS0_14default_configENS1_38merge_sort_block_merge_config_selectorIjNS0_10empty_typeEEEZZNS1_27merge_sort_block_merge_implIS3_N6thrust23THRUST_200600_302600_NS6detail15normal_iteratorINS9_10device_ptrIjEEEEPS5_m11less_div_10IjEEE10hipError_tT0_T1_T2_jT3_P12ihipStream_tbPNSt15iterator_traitsISJ_E10value_typeEPNSP_ISK_E10value_typeEPSL_NS1_7vsmem_tEENKUlT_SJ_SK_SL_E_clISE_PjSF_SF_EESI_SY_SJ_SK_SL_EUlSY_E_NS1_11comp_targetILNS1_3genE10ELNS1_11target_archE1201ELNS1_3gpuE5ELNS1_3repE0EEENS1_48merge_mergepath_partition_config_static_selectorELNS0_4arch9wavefront6targetE0EEEvSK_: ; @_ZN7rocprim17ROCPRIM_400000_NS6detail17trampoline_kernelINS0_14default_configENS1_38merge_sort_block_merge_config_selectorIjNS0_10empty_typeEEEZZNS1_27merge_sort_block_merge_implIS3_N6thrust23THRUST_200600_302600_NS6detail15normal_iteratorINS9_10device_ptrIjEEEEPS5_m11less_div_10IjEEE10hipError_tT0_T1_T2_jT3_P12ihipStream_tbPNSt15iterator_traitsISJ_E10value_typeEPNSP_ISK_E10value_typeEPSL_NS1_7vsmem_tEENKUlT_SJ_SK_SL_E_clISE_PjSF_SF_EESI_SY_SJ_SK_SL_EUlSY_E_NS1_11comp_targetILNS1_3genE10ELNS1_11target_archE1201ELNS1_3gpuE5ELNS1_3repE0EEENS1_48merge_mergepath_partition_config_static_selectorELNS0_4arch9wavefront6targetE0EEEvSK_
; %bb.0:
	.section	.rodata,"a",@progbits
	.p2align	6, 0x0
	.amdhsa_kernel _ZN7rocprim17ROCPRIM_400000_NS6detail17trampoline_kernelINS0_14default_configENS1_38merge_sort_block_merge_config_selectorIjNS0_10empty_typeEEEZZNS1_27merge_sort_block_merge_implIS3_N6thrust23THRUST_200600_302600_NS6detail15normal_iteratorINS9_10device_ptrIjEEEEPS5_m11less_div_10IjEEE10hipError_tT0_T1_T2_jT3_P12ihipStream_tbPNSt15iterator_traitsISJ_E10value_typeEPNSP_ISK_E10value_typeEPSL_NS1_7vsmem_tEENKUlT_SJ_SK_SL_E_clISE_PjSF_SF_EESI_SY_SJ_SK_SL_EUlSY_E_NS1_11comp_targetILNS1_3genE10ELNS1_11target_archE1201ELNS1_3gpuE5ELNS1_3repE0EEENS1_48merge_mergepath_partition_config_static_selectorELNS0_4arch9wavefront6targetE0EEEvSK_
		.amdhsa_group_segment_fixed_size 0
		.amdhsa_private_segment_fixed_size 0
		.amdhsa_kernarg_size 48
		.amdhsa_user_sgpr_count 6
		.amdhsa_user_sgpr_private_segment_buffer 1
		.amdhsa_user_sgpr_dispatch_ptr 0
		.amdhsa_user_sgpr_queue_ptr 0
		.amdhsa_user_sgpr_kernarg_segment_ptr 1
		.amdhsa_user_sgpr_dispatch_id 0
		.amdhsa_user_sgpr_flat_scratch_init 0
		.amdhsa_user_sgpr_private_segment_size 0
		.amdhsa_wavefront_size32 1
		.amdhsa_uses_dynamic_stack 0
		.amdhsa_system_sgpr_private_segment_wavefront_offset 0
		.amdhsa_system_sgpr_workgroup_id_x 1
		.amdhsa_system_sgpr_workgroup_id_y 0
		.amdhsa_system_sgpr_workgroup_id_z 0
		.amdhsa_system_sgpr_workgroup_info 0
		.amdhsa_system_vgpr_workitem_id 0
		.amdhsa_next_free_vgpr 1
		.amdhsa_next_free_sgpr 1
		.amdhsa_reserve_vcc 0
		.amdhsa_reserve_flat_scratch 0
		.amdhsa_float_round_mode_32 0
		.amdhsa_float_round_mode_16_64 0
		.amdhsa_float_denorm_mode_32 3
		.amdhsa_float_denorm_mode_16_64 3
		.amdhsa_dx10_clamp 1
		.amdhsa_ieee_mode 1
		.amdhsa_fp16_overflow 0
		.amdhsa_workgroup_processor_mode 1
		.amdhsa_memory_ordered 1
		.amdhsa_forward_progress 1
		.amdhsa_shared_vgpr_count 0
		.amdhsa_exception_fp_ieee_invalid_op 0
		.amdhsa_exception_fp_denorm_src 0
		.amdhsa_exception_fp_ieee_div_zero 0
		.amdhsa_exception_fp_ieee_overflow 0
		.amdhsa_exception_fp_ieee_underflow 0
		.amdhsa_exception_fp_ieee_inexact 0
		.amdhsa_exception_int_div_zero 0
	.end_amdhsa_kernel
	.section	.text._ZN7rocprim17ROCPRIM_400000_NS6detail17trampoline_kernelINS0_14default_configENS1_38merge_sort_block_merge_config_selectorIjNS0_10empty_typeEEEZZNS1_27merge_sort_block_merge_implIS3_N6thrust23THRUST_200600_302600_NS6detail15normal_iteratorINS9_10device_ptrIjEEEEPS5_m11less_div_10IjEEE10hipError_tT0_T1_T2_jT3_P12ihipStream_tbPNSt15iterator_traitsISJ_E10value_typeEPNSP_ISK_E10value_typeEPSL_NS1_7vsmem_tEENKUlT_SJ_SK_SL_E_clISE_PjSF_SF_EESI_SY_SJ_SK_SL_EUlSY_E_NS1_11comp_targetILNS1_3genE10ELNS1_11target_archE1201ELNS1_3gpuE5ELNS1_3repE0EEENS1_48merge_mergepath_partition_config_static_selectorELNS0_4arch9wavefront6targetE0EEEvSK_,"axG",@progbits,_ZN7rocprim17ROCPRIM_400000_NS6detail17trampoline_kernelINS0_14default_configENS1_38merge_sort_block_merge_config_selectorIjNS0_10empty_typeEEEZZNS1_27merge_sort_block_merge_implIS3_N6thrust23THRUST_200600_302600_NS6detail15normal_iteratorINS9_10device_ptrIjEEEEPS5_m11less_div_10IjEEE10hipError_tT0_T1_T2_jT3_P12ihipStream_tbPNSt15iterator_traitsISJ_E10value_typeEPNSP_ISK_E10value_typeEPSL_NS1_7vsmem_tEENKUlT_SJ_SK_SL_E_clISE_PjSF_SF_EESI_SY_SJ_SK_SL_EUlSY_E_NS1_11comp_targetILNS1_3genE10ELNS1_11target_archE1201ELNS1_3gpuE5ELNS1_3repE0EEENS1_48merge_mergepath_partition_config_static_selectorELNS0_4arch9wavefront6targetE0EEEvSK_,comdat
.Lfunc_end172:
	.size	_ZN7rocprim17ROCPRIM_400000_NS6detail17trampoline_kernelINS0_14default_configENS1_38merge_sort_block_merge_config_selectorIjNS0_10empty_typeEEEZZNS1_27merge_sort_block_merge_implIS3_N6thrust23THRUST_200600_302600_NS6detail15normal_iteratorINS9_10device_ptrIjEEEEPS5_m11less_div_10IjEEE10hipError_tT0_T1_T2_jT3_P12ihipStream_tbPNSt15iterator_traitsISJ_E10value_typeEPNSP_ISK_E10value_typeEPSL_NS1_7vsmem_tEENKUlT_SJ_SK_SL_E_clISE_PjSF_SF_EESI_SY_SJ_SK_SL_EUlSY_E_NS1_11comp_targetILNS1_3genE10ELNS1_11target_archE1201ELNS1_3gpuE5ELNS1_3repE0EEENS1_48merge_mergepath_partition_config_static_selectorELNS0_4arch9wavefront6targetE0EEEvSK_, .Lfunc_end172-_ZN7rocprim17ROCPRIM_400000_NS6detail17trampoline_kernelINS0_14default_configENS1_38merge_sort_block_merge_config_selectorIjNS0_10empty_typeEEEZZNS1_27merge_sort_block_merge_implIS3_N6thrust23THRUST_200600_302600_NS6detail15normal_iteratorINS9_10device_ptrIjEEEEPS5_m11less_div_10IjEEE10hipError_tT0_T1_T2_jT3_P12ihipStream_tbPNSt15iterator_traitsISJ_E10value_typeEPNSP_ISK_E10value_typeEPSL_NS1_7vsmem_tEENKUlT_SJ_SK_SL_E_clISE_PjSF_SF_EESI_SY_SJ_SK_SL_EUlSY_E_NS1_11comp_targetILNS1_3genE10ELNS1_11target_archE1201ELNS1_3gpuE5ELNS1_3repE0EEENS1_48merge_mergepath_partition_config_static_selectorELNS0_4arch9wavefront6targetE0EEEvSK_
                                        ; -- End function
	.set _ZN7rocprim17ROCPRIM_400000_NS6detail17trampoline_kernelINS0_14default_configENS1_38merge_sort_block_merge_config_selectorIjNS0_10empty_typeEEEZZNS1_27merge_sort_block_merge_implIS3_N6thrust23THRUST_200600_302600_NS6detail15normal_iteratorINS9_10device_ptrIjEEEEPS5_m11less_div_10IjEEE10hipError_tT0_T1_T2_jT3_P12ihipStream_tbPNSt15iterator_traitsISJ_E10value_typeEPNSP_ISK_E10value_typeEPSL_NS1_7vsmem_tEENKUlT_SJ_SK_SL_E_clISE_PjSF_SF_EESI_SY_SJ_SK_SL_EUlSY_E_NS1_11comp_targetILNS1_3genE10ELNS1_11target_archE1201ELNS1_3gpuE5ELNS1_3repE0EEENS1_48merge_mergepath_partition_config_static_selectorELNS0_4arch9wavefront6targetE0EEEvSK_.num_vgpr, 0
	.set _ZN7rocprim17ROCPRIM_400000_NS6detail17trampoline_kernelINS0_14default_configENS1_38merge_sort_block_merge_config_selectorIjNS0_10empty_typeEEEZZNS1_27merge_sort_block_merge_implIS3_N6thrust23THRUST_200600_302600_NS6detail15normal_iteratorINS9_10device_ptrIjEEEEPS5_m11less_div_10IjEEE10hipError_tT0_T1_T2_jT3_P12ihipStream_tbPNSt15iterator_traitsISJ_E10value_typeEPNSP_ISK_E10value_typeEPSL_NS1_7vsmem_tEENKUlT_SJ_SK_SL_E_clISE_PjSF_SF_EESI_SY_SJ_SK_SL_EUlSY_E_NS1_11comp_targetILNS1_3genE10ELNS1_11target_archE1201ELNS1_3gpuE5ELNS1_3repE0EEENS1_48merge_mergepath_partition_config_static_selectorELNS0_4arch9wavefront6targetE0EEEvSK_.num_agpr, 0
	.set _ZN7rocprim17ROCPRIM_400000_NS6detail17trampoline_kernelINS0_14default_configENS1_38merge_sort_block_merge_config_selectorIjNS0_10empty_typeEEEZZNS1_27merge_sort_block_merge_implIS3_N6thrust23THRUST_200600_302600_NS6detail15normal_iteratorINS9_10device_ptrIjEEEEPS5_m11less_div_10IjEEE10hipError_tT0_T1_T2_jT3_P12ihipStream_tbPNSt15iterator_traitsISJ_E10value_typeEPNSP_ISK_E10value_typeEPSL_NS1_7vsmem_tEENKUlT_SJ_SK_SL_E_clISE_PjSF_SF_EESI_SY_SJ_SK_SL_EUlSY_E_NS1_11comp_targetILNS1_3genE10ELNS1_11target_archE1201ELNS1_3gpuE5ELNS1_3repE0EEENS1_48merge_mergepath_partition_config_static_selectorELNS0_4arch9wavefront6targetE0EEEvSK_.numbered_sgpr, 0
	.set _ZN7rocprim17ROCPRIM_400000_NS6detail17trampoline_kernelINS0_14default_configENS1_38merge_sort_block_merge_config_selectorIjNS0_10empty_typeEEEZZNS1_27merge_sort_block_merge_implIS3_N6thrust23THRUST_200600_302600_NS6detail15normal_iteratorINS9_10device_ptrIjEEEEPS5_m11less_div_10IjEEE10hipError_tT0_T1_T2_jT3_P12ihipStream_tbPNSt15iterator_traitsISJ_E10value_typeEPNSP_ISK_E10value_typeEPSL_NS1_7vsmem_tEENKUlT_SJ_SK_SL_E_clISE_PjSF_SF_EESI_SY_SJ_SK_SL_EUlSY_E_NS1_11comp_targetILNS1_3genE10ELNS1_11target_archE1201ELNS1_3gpuE5ELNS1_3repE0EEENS1_48merge_mergepath_partition_config_static_selectorELNS0_4arch9wavefront6targetE0EEEvSK_.num_named_barrier, 0
	.set _ZN7rocprim17ROCPRIM_400000_NS6detail17trampoline_kernelINS0_14default_configENS1_38merge_sort_block_merge_config_selectorIjNS0_10empty_typeEEEZZNS1_27merge_sort_block_merge_implIS3_N6thrust23THRUST_200600_302600_NS6detail15normal_iteratorINS9_10device_ptrIjEEEEPS5_m11less_div_10IjEEE10hipError_tT0_T1_T2_jT3_P12ihipStream_tbPNSt15iterator_traitsISJ_E10value_typeEPNSP_ISK_E10value_typeEPSL_NS1_7vsmem_tEENKUlT_SJ_SK_SL_E_clISE_PjSF_SF_EESI_SY_SJ_SK_SL_EUlSY_E_NS1_11comp_targetILNS1_3genE10ELNS1_11target_archE1201ELNS1_3gpuE5ELNS1_3repE0EEENS1_48merge_mergepath_partition_config_static_selectorELNS0_4arch9wavefront6targetE0EEEvSK_.private_seg_size, 0
	.set _ZN7rocprim17ROCPRIM_400000_NS6detail17trampoline_kernelINS0_14default_configENS1_38merge_sort_block_merge_config_selectorIjNS0_10empty_typeEEEZZNS1_27merge_sort_block_merge_implIS3_N6thrust23THRUST_200600_302600_NS6detail15normal_iteratorINS9_10device_ptrIjEEEEPS5_m11less_div_10IjEEE10hipError_tT0_T1_T2_jT3_P12ihipStream_tbPNSt15iterator_traitsISJ_E10value_typeEPNSP_ISK_E10value_typeEPSL_NS1_7vsmem_tEENKUlT_SJ_SK_SL_E_clISE_PjSF_SF_EESI_SY_SJ_SK_SL_EUlSY_E_NS1_11comp_targetILNS1_3genE10ELNS1_11target_archE1201ELNS1_3gpuE5ELNS1_3repE0EEENS1_48merge_mergepath_partition_config_static_selectorELNS0_4arch9wavefront6targetE0EEEvSK_.uses_vcc, 0
	.set _ZN7rocprim17ROCPRIM_400000_NS6detail17trampoline_kernelINS0_14default_configENS1_38merge_sort_block_merge_config_selectorIjNS0_10empty_typeEEEZZNS1_27merge_sort_block_merge_implIS3_N6thrust23THRUST_200600_302600_NS6detail15normal_iteratorINS9_10device_ptrIjEEEEPS5_m11less_div_10IjEEE10hipError_tT0_T1_T2_jT3_P12ihipStream_tbPNSt15iterator_traitsISJ_E10value_typeEPNSP_ISK_E10value_typeEPSL_NS1_7vsmem_tEENKUlT_SJ_SK_SL_E_clISE_PjSF_SF_EESI_SY_SJ_SK_SL_EUlSY_E_NS1_11comp_targetILNS1_3genE10ELNS1_11target_archE1201ELNS1_3gpuE5ELNS1_3repE0EEENS1_48merge_mergepath_partition_config_static_selectorELNS0_4arch9wavefront6targetE0EEEvSK_.uses_flat_scratch, 0
	.set _ZN7rocprim17ROCPRIM_400000_NS6detail17trampoline_kernelINS0_14default_configENS1_38merge_sort_block_merge_config_selectorIjNS0_10empty_typeEEEZZNS1_27merge_sort_block_merge_implIS3_N6thrust23THRUST_200600_302600_NS6detail15normal_iteratorINS9_10device_ptrIjEEEEPS5_m11less_div_10IjEEE10hipError_tT0_T1_T2_jT3_P12ihipStream_tbPNSt15iterator_traitsISJ_E10value_typeEPNSP_ISK_E10value_typeEPSL_NS1_7vsmem_tEENKUlT_SJ_SK_SL_E_clISE_PjSF_SF_EESI_SY_SJ_SK_SL_EUlSY_E_NS1_11comp_targetILNS1_3genE10ELNS1_11target_archE1201ELNS1_3gpuE5ELNS1_3repE0EEENS1_48merge_mergepath_partition_config_static_selectorELNS0_4arch9wavefront6targetE0EEEvSK_.has_dyn_sized_stack, 0
	.set _ZN7rocprim17ROCPRIM_400000_NS6detail17trampoline_kernelINS0_14default_configENS1_38merge_sort_block_merge_config_selectorIjNS0_10empty_typeEEEZZNS1_27merge_sort_block_merge_implIS3_N6thrust23THRUST_200600_302600_NS6detail15normal_iteratorINS9_10device_ptrIjEEEEPS5_m11less_div_10IjEEE10hipError_tT0_T1_T2_jT3_P12ihipStream_tbPNSt15iterator_traitsISJ_E10value_typeEPNSP_ISK_E10value_typeEPSL_NS1_7vsmem_tEENKUlT_SJ_SK_SL_E_clISE_PjSF_SF_EESI_SY_SJ_SK_SL_EUlSY_E_NS1_11comp_targetILNS1_3genE10ELNS1_11target_archE1201ELNS1_3gpuE5ELNS1_3repE0EEENS1_48merge_mergepath_partition_config_static_selectorELNS0_4arch9wavefront6targetE0EEEvSK_.has_recursion, 0
	.set _ZN7rocprim17ROCPRIM_400000_NS6detail17trampoline_kernelINS0_14default_configENS1_38merge_sort_block_merge_config_selectorIjNS0_10empty_typeEEEZZNS1_27merge_sort_block_merge_implIS3_N6thrust23THRUST_200600_302600_NS6detail15normal_iteratorINS9_10device_ptrIjEEEEPS5_m11less_div_10IjEEE10hipError_tT0_T1_T2_jT3_P12ihipStream_tbPNSt15iterator_traitsISJ_E10value_typeEPNSP_ISK_E10value_typeEPSL_NS1_7vsmem_tEENKUlT_SJ_SK_SL_E_clISE_PjSF_SF_EESI_SY_SJ_SK_SL_EUlSY_E_NS1_11comp_targetILNS1_3genE10ELNS1_11target_archE1201ELNS1_3gpuE5ELNS1_3repE0EEENS1_48merge_mergepath_partition_config_static_selectorELNS0_4arch9wavefront6targetE0EEEvSK_.has_indirect_call, 0
	.section	.AMDGPU.csdata,"",@progbits
; Kernel info:
; codeLenInByte = 0
; TotalNumSgprs: 0
; NumVgprs: 0
; ScratchSize: 0
; MemoryBound: 0
; FloatMode: 240
; IeeeMode: 1
; LDSByteSize: 0 bytes/workgroup (compile time only)
; SGPRBlocks: 0
; VGPRBlocks: 0
; NumSGPRsForWavesPerEU: 1
; NumVGPRsForWavesPerEU: 1
; Occupancy: 16
; WaveLimiterHint : 0
; COMPUTE_PGM_RSRC2:SCRATCH_EN: 0
; COMPUTE_PGM_RSRC2:USER_SGPR: 6
; COMPUTE_PGM_RSRC2:TRAP_HANDLER: 0
; COMPUTE_PGM_RSRC2:TGID_X_EN: 1
; COMPUTE_PGM_RSRC2:TGID_Y_EN: 0
; COMPUTE_PGM_RSRC2:TGID_Z_EN: 0
; COMPUTE_PGM_RSRC2:TIDIG_COMP_CNT: 0
	.section	.text._ZN7rocprim17ROCPRIM_400000_NS6detail17trampoline_kernelINS0_14default_configENS1_38merge_sort_block_merge_config_selectorIjNS0_10empty_typeEEEZZNS1_27merge_sort_block_merge_implIS3_N6thrust23THRUST_200600_302600_NS6detail15normal_iteratorINS9_10device_ptrIjEEEEPS5_m11less_div_10IjEEE10hipError_tT0_T1_T2_jT3_P12ihipStream_tbPNSt15iterator_traitsISJ_E10value_typeEPNSP_ISK_E10value_typeEPSL_NS1_7vsmem_tEENKUlT_SJ_SK_SL_E_clISE_PjSF_SF_EESI_SY_SJ_SK_SL_EUlSY_E_NS1_11comp_targetILNS1_3genE5ELNS1_11target_archE942ELNS1_3gpuE9ELNS1_3repE0EEENS1_48merge_mergepath_partition_config_static_selectorELNS0_4arch9wavefront6targetE0EEEvSK_,"axG",@progbits,_ZN7rocprim17ROCPRIM_400000_NS6detail17trampoline_kernelINS0_14default_configENS1_38merge_sort_block_merge_config_selectorIjNS0_10empty_typeEEEZZNS1_27merge_sort_block_merge_implIS3_N6thrust23THRUST_200600_302600_NS6detail15normal_iteratorINS9_10device_ptrIjEEEEPS5_m11less_div_10IjEEE10hipError_tT0_T1_T2_jT3_P12ihipStream_tbPNSt15iterator_traitsISJ_E10value_typeEPNSP_ISK_E10value_typeEPSL_NS1_7vsmem_tEENKUlT_SJ_SK_SL_E_clISE_PjSF_SF_EESI_SY_SJ_SK_SL_EUlSY_E_NS1_11comp_targetILNS1_3genE5ELNS1_11target_archE942ELNS1_3gpuE9ELNS1_3repE0EEENS1_48merge_mergepath_partition_config_static_selectorELNS0_4arch9wavefront6targetE0EEEvSK_,comdat
	.protected	_ZN7rocprim17ROCPRIM_400000_NS6detail17trampoline_kernelINS0_14default_configENS1_38merge_sort_block_merge_config_selectorIjNS0_10empty_typeEEEZZNS1_27merge_sort_block_merge_implIS3_N6thrust23THRUST_200600_302600_NS6detail15normal_iteratorINS9_10device_ptrIjEEEEPS5_m11less_div_10IjEEE10hipError_tT0_T1_T2_jT3_P12ihipStream_tbPNSt15iterator_traitsISJ_E10value_typeEPNSP_ISK_E10value_typeEPSL_NS1_7vsmem_tEENKUlT_SJ_SK_SL_E_clISE_PjSF_SF_EESI_SY_SJ_SK_SL_EUlSY_E_NS1_11comp_targetILNS1_3genE5ELNS1_11target_archE942ELNS1_3gpuE9ELNS1_3repE0EEENS1_48merge_mergepath_partition_config_static_selectorELNS0_4arch9wavefront6targetE0EEEvSK_ ; -- Begin function _ZN7rocprim17ROCPRIM_400000_NS6detail17trampoline_kernelINS0_14default_configENS1_38merge_sort_block_merge_config_selectorIjNS0_10empty_typeEEEZZNS1_27merge_sort_block_merge_implIS3_N6thrust23THRUST_200600_302600_NS6detail15normal_iteratorINS9_10device_ptrIjEEEEPS5_m11less_div_10IjEEE10hipError_tT0_T1_T2_jT3_P12ihipStream_tbPNSt15iterator_traitsISJ_E10value_typeEPNSP_ISK_E10value_typeEPSL_NS1_7vsmem_tEENKUlT_SJ_SK_SL_E_clISE_PjSF_SF_EESI_SY_SJ_SK_SL_EUlSY_E_NS1_11comp_targetILNS1_3genE5ELNS1_11target_archE942ELNS1_3gpuE9ELNS1_3repE0EEENS1_48merge_mergepath_partition_config_static_selectorELNS0_4arch9wavefront6targetE0EEEvSK_
	.globl	_ZN7rocprim17ROCPRIM_400000_NS6detail17trampoline_kernelINS0_14default_configENS1_38merge_sort_block_merge_config_selectorIjNS0_10empty_typeEEEZZNS1_27merge_sort_block_merge_implIS3_N6thrust23THRUST_200600_302600_NS6detail15normal_iteratorINS9_10device_ptrIjEEEEPS5_m11less_div_10IjEEE10hipError_tT0_T1_T2_jT3_P12ihipStream_tbPNSt15iterator_traitsISJ_E10value_typeEPNSP_ISK_E10value_typeEPSL_NS1_7vsmem_tEENKUlT_SJ_SK_SL_E_clISE_PjSF_SF_EESI_SY_SJ_SK_SL_EUlSY_E_NS1_11comp_targetILNS1_3genE5ELNS1_11target_archE942ELNS1_3gpuE9ELNS1_3repE0EEENS1_48merge_mergepath_partition_config_static_selectorELNS0_4arch9wavefront6targetE0EEEvSK_
	.p2align	8
	.type	_ZN7rocprim17ROCPRIM_400000_NS6detail17trampoline_kernelINS0_14default_configENS1_38merge_sort_block_merge_config_selectorIjNS0_10empty_typeEEEZZNS1_27merge_sort_block_merge_implIS3_N6thrust23THRUST_200600_302600_NS6detail15normal_iteratorINS9_10device_ptrIjEEEEPS5_m11less_div_10IjEEE10hipError_tT0_T1_T2_jT3_P12ihipStream_tbPNSt15iterator_traitsISJ_E10value_typeEPNSP_ISK_E10value_typeEPSL_NS1_7vsmem_tEENKUlT_SJ_SK_SL_E_clISE_PjSF_SF_EESI_SY_SJ_SK_SL_EUlSY_E_NS1_11comp_targetILNS1_3genE5ELNS1_11target_archE942ELNS1_3gpuE9ELNS1_3repE0EEENS1_48merge_mergepath_partition_config_static_selectorELNS0_4arch9wavefront6targetE0EEEvSK_,@function
_ZN7rocprim17ROCPRIM_400000_NS6detail17trampoline_kernelINS0_14default_configENS1_38merge_sort_block_merge_config_selectorIjNS0_10empty_typeEEEZZNS1_27merge_sort_block_merge_implIS3_N6thrust23THRUST_200600_302600_NS6detail15normal_iteratorINS9_10device_ptrIjEEEEPS5_m11less_div_10IjEEE10hipError_tT0_T1_T2_jT3_P12ihipStream_tbPNSt15iterator_traitsISJ_E10value_typeEPNSP_ISK_E10value_typeEPSL_NS1_7vsmem_tEENKUlT_SJ_SK_SL_E_clISE_PjSF_SF_EESI_SY_SJ_SK_SL_EUlSY_E_NS1_11comp_targetILNS1_3genE5ELNS1_11target_archE942ELNS1_3gpuE9ELNS1_3repE0EEENS1_48merge_mergepath_partition_config_static_selectorELNS0_4arch9wavefront6targetE0EEEvSK_: ; @_ZN7rocprim17ROCPRIM_400000_NS6detail17trampoline_kernelINS0_14default_configENS1_38merge_sort_block_merge_config_selectorIjNS0_10empty_typeEEEZZNS1_27merge_sort_block_merge_implIS3_N6thrust23THRUST_200600_302600_NS6detail15normal_iteratorINS9_10device_ptrIjEEEEPS5_m11less_div_10IjEEE10hipError_tT0_T1_T2_jT3_P12ihipStream_tbPNSt15iterator_traitsISJ_E10value_typeEPNSP_ISK_E10value_typeEPSL_NS1_7vsmem_tEENKUlT_SJ_SK_SL_E_clISE_PjSF_SF_EESI_SY_SJ_SK_SL_EUlSY_E_NS1_11comp_targetILNS1_3genE5ELNS1_11target_archE942ELNS1_3gpuE9ELNS1_3repE0EEENS1_48merge_mergepath_partition_config_static_selectorELNS0_4arch9wavefront6targetE0EEEvSK_
; %bb.0:
	.section	.rodata,"a",@progbits
	.p2align	6, 0x0
	.amdhsa_kernel _ZN7rocprim17ROCPRIM_400000_NS6detail17trampoline_kernelINS0_14default_configENS1_38merge_sort_block_merge_config_selectorIjNS0_10empty_typeEEEZZNS1_27merge_sort_block_merge_implIS3_N6thrust23THRUST_200600_302600_NS6detail15normal_iteratorINS9_10device_ptrIjEEEEPS5_m11less_div_10IjEEE10hipError_tT0_T1_T2_jT3_P12ihipStream_tbPNSt15iterator_traitsISJ_E10value_typeEPNSP_ISK_E10value_typeEPSL_NS1_7vsmem_tEENKUlT_SJ_SK_SL_E_clISE_PjSF_SF_EESI_SY_SJ_SK_SL_EUlSY_E_NS1_11comp_targetILNS1_3genE5ELNS1_11target_archE942ELNS1_3gpuE9ELNS1_3repE0EEENS1_48merge_mergepath_partition_config_static_selectorELNS0_4arch9wavefront6targetE0EEEvSK_
		.amdhsa_group_segment_fixed_size 0
		.amdhsa_private_segment_fixed_size 0
		.amdhsa_kernarg_size 48
		.amdhsa_user_sgpr_count 6
		.amdhsa_user_sgpr_private_segment_buffer 1
		.amdhsa_user_sgpr_dispatch_ptr 0
		.amdhsa_user_sgpr_queue_ptr 0
		.amdhsa_user_sgpr_kernarg_segment_ptr 1
		.amdhsa_user_sgpr_dispatch_id 0
		.amdhsa_user_sgpr_flat_scratch_init 0
		.amdhsa_user_sgpr_private_segment_size 0
		.amdhsa_wavefront_size32 1
		.amdhsa_uses_dynamic_stack 0
		.amdhsa_system_sgpr_private_segment_wavefront_offset 0
		.amdhsa_system_sgpr_workgroup_id_x 1
		.amdhsa_system_sgpr_workgroup_id_y 0
		.amdhsa_system_sgpr_workgroup_id_z 0
		.amdhsa_system_sgpr_workgroup_info 0
		.amdhsa_system_vgpr_workitem_id 0
		.amdhsa_next_free_vgpr 1
		.amdhsa_next_free_sgpr 1
		.amdhsa_reserve_vcc 0
		.amdhsa_reserve_flat_scratch 0
		.amdhsa_float_round_mode_32 0
		.amdhsa_float_round_mode_16_64 0
		.amdhsa_float_denorm_mode_32 3
		.amdhsa_float_denorm_mode_16_64 3
		.amdhsa_dx10_clamp 1
		.amdhsa_ieee_mode 1
		.amdhsa_fp16_overflow 0
		.amdhsa_workgroup_processor_mode 1
		.amdhsa_memory_ordered 1
		.amdhsa_forward_progress 1
		.amdhsa_shared_vgpr_count 0
		.amdhsa_exception_fp_ieee_invalid_op 0
		.amdhsa_exception_fp_denorm_src 0
		.amdhsa_exception_fp_ieee_div_zero 0
		.amdhsa_exception_fp_ieee_overflow 0
		.amdhsa_exception_fp_ieee_underflow 0
		.amdhsa_exception_fp_ieee_inexact 0
		.amdhsa_exception_int_div_zero 0
	.end_amdhsa_kernel
	.section	.text._ZN7rocprim17ROCPRIM_400000_NS6detail17trampoline_kernelINS0_14default_configENS1_38merge_sort_block_merge_config_selectorIjNS0_10empty_typeEEEZZNS1_27merge_sort_block_merge_implIS3_N6thrust23THRUST_200600_302600_NS6detail15normal_iteratorINS9_10device_ptrIjEEEEPS5_m11less_div_10IjEEE10hipError_tT0_T1_T2_jT3_P12ihipStream_tbPNSt15iterator_traitsISJ_E10value_typeEPNSP_ISK_E10value_typeEPSL_NS1_7vsmem_tEENKUlT_SJ_SK_SL_E_clISE_PjSF_SF_EESI_SY_SJ_SK_SL_EUlSY_E_NS1_11comp_targetILNS1_3genE5ELNS1_11target_archE942ELNS1_3gpuE9ELNS1_3repE0EEENS1_48merge_mergepath_partition_config_static_selectorELNS0_4arch9wavefront6targetE0EEEvSK_,"axG",@progbits,_ZN7rocprim17ROCPRIM_400000_NS6detail17trampoline_kernelINS0_14default_configENS1_38merge_sort_block_merge_config_selectorIjNS0_10empty_typeEEEZZNS1_27merge_sort_block_merge_implIS3_N6thrust23THRUST_200600_302600_NS6detail15normal_iteratorINS9_10device_ptrIjEEEEPS5_m11less_div_10IjEEE10hipError_tT0_T1_T2_jT3_P12ihipStream_tbPNSt15iterator_traitsISJ_E10value_typeEPNSP_ISK_E10value_typeEPSL_NS1_7vsmem_tEENKUlT_SJ_SK_SL_E_clISE_PjSF_SF_EESI_SY_SJ_SK_SL_EUlSY_E_NS1_11comp_targetILNS1_3genE5ELNS1_11target_archE942ELNS1_3gpuE9ELNS1_3repE0EEENS1_48merge_mergepath_partition_config_static_selectorELNS0_4arch9wavefront6targetE0EEEvSK_,comdat
.Lfunc_end173:
	.size	_ZN7rocprim17ROCPRIM_400000_NS6detail17trampoline_kernelINS0_14default_configENS1_38merge_sort_block_merge_config_selectorIjNS0_10empty_typeEEEZZNS1_27merge_sort_block_merge_implIS3_N6thrust23THRUST_200600_302600_NS6detail15normal_iteratorINS9_10device_ptrIjEEEEPS5_m11less_div_10IjEEE10hipError_tT0_T1_T2_jT3_P12ihipStream_tbPNSt15iterator_traitsISJ_E10value_typeEPNSP_ISK_E10value_typeEPSL_NS1_7vsmem_tEENKUlT_SJ_SK_SL_E_clISE_PjSF_SF_EESI_SY_SJ_SK_SL_EUlSY_E_NS1_11comp_targetILNS1_3genE5ELNS1_11target_archE942ELNS1_3gpuE9ELNS1_3repE0EEENS1_48merge_mergepath_partition_config_static_selectorELNS0_4arch9wavefront6targetE0EEEvSK_, .Lfunc_end173-_ZN7rocprim17ROCPRIM_400000_NS6detail17trampoline_kernelINS0_14default_configENS1_38merge_sort_block_merge_config_selectorIjNS0_10empty_typeEEEZZNS1_27merge_sort_block_merge_implIS3_N6thrust23THRUST_200600_302600_NS6detail15normal_iteratorINS9_10device_ptrIjEEEEPS5_m11less_div_10IjEEE10hipError_tT0_T1_T2_jT3_P12ihipStream_tbPNSt15iterator_traitsISJ_E10value_typeEPNSP_ISK_E10value_typeEPSL_NS1_7vsmem_tEENKUlT_SJ_SK_SL_E_clISE_PjSF_SF_EESI_SY_SJ_SK_SL_EUlSY_E_NS1_11comp_targetILNS1_3genE5ELNS1_11target_archE942ELNS1_3gpuE9ELNS1_3repE0EEENS1_48merge_mergepath_partition_config_static_selectorELNS0_4arch9wavefront6targetE0EEEvSK_
                                        ; -- End function
	.set _ZN7rocprim17ROCPRIM_400000_NS6detail17trampoline_kernelINS0_14default_configENS1_38merge_sort_block_merge_config_selectorIjNS0_10empty_typeEEEZZNS1_27merge_sort_block_merge_implIS3_N6thrust23THRUST_200600_302600_NS6detail15normal_iteratorINS9_10device_ptrIjEEEEPS5_m11less_div_10IjEEE10hipError_tT0_T1_T2_jT3_P12ihipStream_tbPNSt15iterator_traitsISJ_E10value_typeEPNSP_ISK_E10value_typeEPSL_NS1_7vsmem_tEENKUlT_SJ_SK_SL_E_clISE_PjSF_SF_EESI_SY_SJ_SK_SL_EUlSY_E_NS1_11comp_targetILNS1_3genE5ELNS1_11target_archE942ELNS1_3gpuE9ELNS1_3repE0EEENS1_48merge_mergepath_partition_config_static_selectorELNS0_4arch9wavefront6targetE0EEEvSK_.num_vgpr, 0
	.set _ZN7rocprim17ROCPRIM_400000_NS6detail17trampoline_kernelINS0_14default_configENS1_38merge_sort_block_merge_config_selectorIjNS0_10empty_typeEEEZZNS1_27merge_sort_block_merge_implIS3_N6thrust23THRUST_200600_302600_NS6detail15normal_iteratorINS9_10device_ptrIjEEEEPS5_m11less_div_10IjEEE10hipError_tT0_T1_T2_jT3_P12ihipStream_tbPNSt15iterator_traitsISJ_E10value_typeEPNSP_ISK_E10value_typeEPSL_NS1_7vsmem_tEENKUlT_SJ_SK_SL_E_clISE_PjSF_SF_EESI_SY_SJ_SK_SL_EUlSY_E_NS1_11comp_targetILNS1_3genE5ELNS1_11target_archE942ELNS1_3gpuE9ELNS1_3repE0EEENS1_48merge_mergepath_partition_config_static_selectorELNS0_4arch9wavefront6targetE0EEEvSK_.num_agpr, 0
	.set _ZN7rocprim17ROCPRIM_400000_NS6detail17trampoline_kernelINS0_14default_configENS1_38merge_sort_block_merge_config_selectorIjNS0_10empty_typeEEEZZNS1_27merge_sort_block_merge_implIS3_N6thrust23THRUST_200600_302600_NS6detail15normal_iteratorINS9_10device_ptrIjEEEEPS5_m11less_div_10IjEEE10hipError_tT0_T1_T2_jT3_P12ihipStream_tbPNSt15iterator_traitsISJ_E10value_typeEPNSP_ISK_E10value_typeEPSL_NS1_7vsmem_tEENKUlT_SJ_SK_SL_E_clISE_PjSF_SF_EESI_SY_SJ_SK_SL_EUlSY_E_NS1_11comp_targetILNS1_3genE5ELNS1_11target_archE942ELNS1_3gpuE9ELNS1_3repE0EEENS1_48merge_mergepath_partition_config_static_selectorELNS0_4arch9wavefront6targetE0EEEvSK_.numbered_sgpr, 0
	.set _ZN7rocprim17ROCPRIM_400000_NS6detail17trampoline_kernelINS0_14default_configENS1_38merge_sort_block_merge_config_selectorIjNS0_10empty_typeEEEZZNS1_27merge_sort_block_merge_implIS3_N6thrust23THRUST_200600_302600_NS6detail15normal_iteratorINS9_10device_ptrIjEEEEPS5_m11less_div_10IjEEE10hipError_tT0_T1_T2_jT3_P12ihipStream_tbPNSt15iterator_traitsISJ_E10value_typeEPNSP_ISK_E10value_typeEPSL_NS1_7vsmem_tEENKUlT_SJ_SK_SL_E_clISE_PjSF_SF_EESI_SY_SJ_SK_SL_EUlSY_E_NS1_11comp_targetILNS1_3genE5ELNS1_11target_archE942ELNS1_3gpuE9ELNS1_3repE0EEENS1_48merge_mergepath_partition_config_static_selectorELNS0_4arch9wavefront6targetE0EEEvSK_.num_named_barrier, 0
	.set _ZN7rocprim17ROCPRIM_400000_NS6detail17trampoline_kernelINS0_14default_configENS1_38merge_sort_block_merge_config_selectorIjNS0_10empty_typeEEEZZNS1_27merge_sort_block_merge_implIS3_N6thrust23THRUST_200600_302600_NS6detail15normal_iteratorINS9_10device_ptrIjEEEEPS5_m11less_div_10IjEEE10hipError_tT0_T1_T2_jT3_P12ihipStream_tbPNSt15iterator_traitsISJ_E10value_typeEPNSP_ISK_E10value_typeEPSL_NS1_7vsmem_tEENKUlT_SJ_SK_SL_E_clISE_PjSF_SF_EESI_SY_SJ_SK_SL_EUlSY_E_NS1_11comp_targetILNS1_3genE5ELNS1_11target_archE942ELNS1_3gpuE9ELNS1_3repE0EEENS1_48merge_mergepath_partition_config_static_selectorELNS0_4arch9wavefront6targetE0EEEvSK_.private_seg_size, 0
	.set _ZN7rocprim17ROCPRIM_400000_NS6detail17trampoline_kernelINS0_14default_configENS1_38merge_sort_block_merge_config_selectorIjNS0_10empty_typeEEEZZNS1_27merge_sort_block_merge_implIS3_N6thrust23THRUST_200600_302600_NS6detail15normal_iteratorINS9_10device_ptrIjEEEEPS5_m11less_div_10IjEEE10hipError_tT0_T1_T2_jT3_P12ihipStream_tbPNSt15iterator_traitsISJ_E10value_typeEPNSP_ISK_E10value_typeEPSL_NS1_7vsmem_tEENKUlT_SJ_SK_SL_E_clISE_PjSF_SF_EESI_SY_SJ_SK_SL_EUlSY_E_NS1_11comp_targetILNS1_3genE5ELNS1_11target_archE942ELNS1_3gpuE9ELNS1_3repE0EEENS1_48merge_mergepath_partition_config_static_selectorELNS0_4arch9wavefront6targetE0EEEvSK_.uses_vcc, 0
	.set _ZN7rocprim17ROCPRIM_400000_NS6detail17trampoline_kernelINS0_14default_configENS1_38merge_sort_block_merge_config_selectorIjNS0_10empty_typeEEEZZNS1_27merge_sort_block_merge_implIS3_N6thrust23THRUST_200600_302600_NS6detail15normal_iteratorINS9_10device_ptrIjEEEEPS5_m11less_div_10IjEEE10hipError_tT0_T1_T2_jT3_P12ihipStream_tbPNSt15iterator_traitsISJ_E10value_typeEPNSP_ISK_E10value_typeEPSL_NS1_7vsmem_tEENKUlT_SJ_SK_SL_E_clISE_PjSF_SF_EESI_SY_SJ_SK_SL_EUlSY_E_NS1_11comp_targetILNS1_3genE5ELNS1_11target_archE942ELNS1_3gpuE9ELNS1_3repE0EEENS1_48merge_mergepath_partition_config_static_selectorELNS0_4arch9wavefront6targetE0EEEvSK_.uses_flat_scratch, 0
	.set _ZN7rocprim17ROCPRIM_400000_NS6detail17trampoline_kernelINS0_14default_configENS1_38merge_sort_block_merge_config_selectorIjNS0_10empty_typeEEEZZNS1_27merge_sort_block_merge_implIS3_N6thrust23THRUST_200600_302600_NS6detail15normal_iteratorINS9_10device_ptrIjEEEEPS5_m11less_div_10IjEEE10hipError_tT0_T1_T2_jT3_P12ihipStream_tbPNSt15iterator_traitsISJ_E10value_typeEPNSP_ISK_E10value_typeEPSL_NS1_7vsmem_tEENKUlT_SJ_SK_SL_E_clISE_PjSF_SF_EESI_SY_SJ_SK_SL_EUlSY_E_NS1_11comp_targetILNS1_3genE5ELNS1_11target_archE942ELNS1_3gpuE9ELNS1_3repE0EEENS1_48merge_mergepath_partition_config_static_selectorELNS0_4arch9wavefront6targetE0EEEvSK_.has_dyn_sized_stack, 0
	.set _ZN7rocprim17ROCPRIM_400000_NS6detail17trampoline_kernelINS0_14default_configENS1_38merge_sort_block_merge_config_selectorIjNS0_10empty_typeEEEZZNS1_27merge_sort_block_merge_implIS3_N6thrust23THRUST_200600_302600_NS6detail15normal_iteratorINS9_10device_ptrIjEEEEPS5_m11less_div_10IjEEE10hipError_tT0_T1_T2_jT3_P12ihipStream_tbPNSt15iterator_traitsISJ_E10value_typeEPNSP_ISK_E10value_typeEPSL_NS1_7vsmem_tEENKUlT_SJ_SK_SL_E_clISE_PjSF_SF_EESI_SY_SJ_SK_SL_EUlSY_E_NS1_11comp_targetILNS1_3genE5ELNS1_11target_archE942ELNS1_3gpuE9ELNS1_3repE0EEENS1_48merge_mergepath_partition_config_static_selectorELNS0_4arch9wavefront6targetE0EEEvSK_.has_recursion, 0
	.set _ZN7rocprim17ROCPRIM_400000_NS6detail17trampoline_kernelINS0_14default_configENS1_38merge_sort_block_merge_config_selectorIjNS0_10empty_typeEEEZZNS1_27merge_sort_block_merge_implIS3_N6thrust23THRUST_200600_302600_NS6detail15normal_iteratorINS9_10device_ptrIjEEEEPS5_m11less_div_10IjEEE10hipError_tT0_T1_T2_jT3_P12ihipStream_tbPNSt15iterator_traitsISJ_E10value_typeEPNSP_ISK_E10value_typeEPSL_NS1_7vsmem_tEENKUlT_SJ_SK_SL_E_clISE_PjSF_SF_EESI_SY_SJ_SK_SL_EUlSY_E_NS1_11comp_targetILNS1_3genE5ELNS1_11target_archE942ELNS1_3gpuE9ELNS1_3repE0EEENS1_48merge_mergepath_partition_config_static_selectorELNS0_4arch9wavefront6targetE0EEEvSK_.has_indirect_call, 0
	.section	.AMDGPU.csdata,"",@progbits
; Kernel info:
; codeLenInByte = 0
; TotalNumSgprs: 0
; NumVgprs: 0
; ScratchSize: 0
; MemoryBound: 0
; FloatMode: 240
; IeeeMode: 1
; LDSByteSize: 0 bytes/workgroup (compile time only)
; SGPRBlocks: 0
; VGPRBlocks: 0
; NumSGPRsForWavesPerEU: 1
; NumVGPRsForWavesPerEU: 1
; Occupancy: 16
; WaveLimiterHint : 0
; COMPUTE_PGM_RSRC2:SCRATCH_EN: 0
; COMPUTE_PGM_RSRC2:USER_SGPR: 6
; COMPUTE_PGM_RSRC2:TRAP_HANDLER: 0
; COMPUTE_PGM_RSRC2:TGID_X_EN: 1
; COMPUTE_PGM_RSRC2:TGID_Y_EN: 0
; COMPUTE_PGM_RSRC2:TGID_Z_EN: 0
; COMPUTE_PGM_RSRC2:TIDIG_COMP_CNT: 0
	.section	.text._ZN7rocprim17ROCPRIM_400000_NS6detail17trampoline_kernelINS0_14default_configENS1_38merge_sort_block_merge_config_selectorIjNS0_10empty_typeEEEZZNS1_27merge_sort_block_merge_implIS3_N6thrust23THRUST_200600_302600_NS6detail15normal_iteratorINS9_10device_ptrIjEEEEPS5_m11less_div_10IjEEE10hipError_tT0_T1_T2_jT3_P12ihipStream_tbPNSt15iterator_traitsISJ_E10value_typeEPNSP_ISK_E10value_typeEPSL_NS1_7vsmem_tEENKUlT_SJ_SK_SL_E_clISE_PjSF_SF_EESI_SY_SJ_SK_SL_EUlSY_E_NS1_11comp_targetILNS1_3genE4ELNS1_11target_archE910ELNS1_3gpuE8ELNS1_3repE0EEENS1_48merge_mergepath_partition_config_static_selectorELNS0_4arch9wavefront6targetE0EEEvSK_,"axG",@progbits,_ZN7rocprim17ROCPRIM_400000_NS6detail17trampoline_kernelINS0_14default_configENS1_38merge_sort_block_merge_config_selectorIjNS0_10empty_typeEEEZZNS1_27merge_sort_block_merge_implIS3_N6thrust23THRUST_200600_302600_NS6detail15normal_iteratorINS9_10device_ptrIjEEEEPS5_m11less_div_10IjEEE10hipError_tT0_T1_T2_jT3_P12ihipStream_tbPNSt15iterator_traitsISJ_E10value_typeEPNSP_ISK_E10value_typeEPSL_NS1_7vsmem_tEENKUlT_SJ_SK_SL_E_clISE_PjSF_SF_EESI_SY_SJ_SK_SL_EUlSY_E_NS1_11comp_targetILNS1_3genE4ELNS1_11target_archE910ELNS1_3gpuE8ELNS1_3repE0EEENS1_48merge_mergepath_partition_config_static_selectorELNS0_4arch9wavefront6targetE0EEEvSK_,comdat
	.protected	_ZN7rocprim17ROCPRIM_400000_NS6detail17trampoline_kernelINS0_14default_configENS1_38merge_sort_block_merge_config_selectorIjNS0_10empty_typeEEEZZNS1_27merge_sort_block_merge_implIS3_N6thrust23THRUST_200600_302600_NS6detail15normal_iteratorINS9_10device_ptrIjEEEEPS5_m11less_div_10IjEEE10hipError_tT0_T1_T2_jT3_P12ihipStream_tbPNSt15iterator_traitsISJ_E10value_typeEPNSP_ISK_E10value_typeEPSL_NS1_7vsmem_tEENKUlT_SJ_SK_SL_E_clISE_PjSF_SF_EESI_SY_SJ_SK_SL_EUlSY_E_NS1_11comp_targetILNS1_3genE4ELNS1_11target_archE910ELNS1_3gpuE8ELNS1_3repE0EEENS1_48merge_mergepath_partition_config_static_selectorELNS0_4arch9wavefront6targetE0EEEvSK_ ; -- Begin function _ZN7rocprim17ROCPRIM_400000_NS6detail17trampoline_kernelINS0_14default_configENS1_38merge_sort_block_merge_config_selectorIjNS0_10empty_typeEEEZZNS1_27merge_sort_block_merge_implIS3_N6thrust23THRUST_200600_302600_NS6detail15normal_iteratorINS9_10device_ptrIjEEEEPS5_m11less_div_10IjEEE10hipError_tT0_T1_T2_jT3_P12ihipStream_tbPNSt15iterator_traitsISJ_E10value_typeEPNSP_ISK_E10value_typeEPSL_NS1_7vsmem_tEENKUlT_SJ_SK_SL_E_clISE_PjSF_SF_EESI_SY_SJ_SK_SL_EUlSY_E_NS1_11comp_targetILNS1_3genE4ELNS1_11target_archE910ELNS1_3gpuE8ELNS1_3repE0EEENS1_48merge_mergepath_partition_config_static_selectorELNS0_4arch9wavefront6targetE0EEEvSK_
	.globl	_ZN7rocprim17ROCPRIM_400000_NS6detail17trampoline_kernelINS0_14default_configENS1_38merge_sort_block_merge_config_selectorIjNS0_10empty_typeEEEZZNS1_27merge_sort_block_merge_implIS3_N6thrust23THRUST_200600_302600_NS6detail15normal_iteratorINS9_10device_ptrIjEEEEPS5_m11less_div_10IjEEE10hipError_tT0_T1_T2_jT3_P12ihipStream_tbPNSt15iterator_traitsISJ_E10value_typeEPNSP_ISK_E10value_typeEPSL_NS1_7vsmem_tEENKUlT_SJ_SK_SL_E_clISE_PjSF_SF_EESI_SY_SJ_SK_SL_EUlSY_E_NS1_11comp_targetILNS1_3genE4ELNS1_11target_archE910ELNS1_3gpuE8ELNS1_3repE0EEENS1_48merge_mergepath_partition_config_static_selectorELNS0_4arch9wavefront6targetE0EEEvSK_
	.p2align	8
	.type	_ZN7rocprim17ROCPRIM_400000_NS6detail17trampoline_kernelINS0_14default_configENS1_38merge_sort_block_merge_config_selectorIjNS0_10empty_typeEEEZZNS1_27merge_sort_block_merge_implIS3_N6thrust23THRUST_200600_302600_NS6detail15normal_iteratorINS9_10device_ptrIjEEEEPS5_m11less_div_10IjEEE10hipError_tT0_T1_T2_jT3_P12ihipStream_tbPNSt15iterator_traitsISJ_E10value_typeEPNSP_ISK_E10value_typeEPSL_NS1_7vsmem_tEENKUlT_SJ_SK_SL_E_clISE_PjSF_SF_EESI_SY_SJ_SK_SL_EUlSY_E_NS1_11comp_targetILNS1_3genE4ELNS1_11target_archE910ELNS1_3gpuE8ELNS1_3repE0EEENS1_48merge_mergepath_partition_config_static_selectorELNS0_4arch9wavefront6targetE0EEEvSK_,@function
_ZN7rocprim17ROCPRIM_400000_NS6detail17trampoline_kernelINS0_14default_configENS1_38merge_sort_block_merge_config_selectorIjNS0_10empty_typeEEEZZNS1_27merge_sort_block_merge_implIS3_N6thrust23THRUST_200600_302600_NS6detail15normal_iteratorINS9_10device_ptrIjEEEEPS5_m11less_div_10IjEEE10hipError_tT0_T1_T2_jT3_P12ihipStream_tbPNSt15iterator_traitsISJ_E10value_typeEPNSP_ISK_E10value_typeEPSL_NS1_7vsmem_tEENKUlT_SJ_SK_SL_E_clISE_PjSF_SF_EESI_SY_SJ_SK_SL_EUlSY_E_NS1_11comp_targetILNS1_3genE4ELNS1_11target_archE910ELNS1_3gpuE8ELNS1_3repE0EEENS1_48merge_mergepath_partition_config_static_selectorELNS0_4arch9wavefront6targetE0EEEvSK_: ; @_ZN7rocprim17ROCPRIM_400000_NS6detail17trampoline_kernelINS0_14default_configENS1_38merge_sort_block_merge_config_selectorIjNS0_10empty_typeEEEZZNS1_27merge_sort_block_merge_implIS3_N6thrust23THRUST_200600_302600_NS6detail15normal_iteratorINS9_10device_ptrIjEEEEPS5_m11less_div_10IjEEE10hipError_tT0_T1_T2_jT3_P12ihipStream_tbPNSt15iterator_traitsISJ_E10value_typeEPNSP_ISK_E10value_typeEPSL_NS1_7vsmem_tEENKUlT_SJ_SK_SL_E_clISE_PjSF_SF_EESI_SY_SJ_SK_SL_EUlSY_E_NS1_11comp_targetILNS1_3genE4ELNS1_11target_archE910ELNS1_3gpuE8ELNS1_3repE0EEENS1_48merge_mergepath_partition_config_static_selectorELNS0_4arch9wavefront6targetE0EEEvSK_
; %bb.0:
	.section	.rodata,"a",@progbits
	.p2align	6, 0x0
	.amdhsa_kernel _ZN7rocprim17ROCPRIM_400000_NS6detail17trampoline_kernelINS0_14default_configENS1_38merge_sort_block_merge_config_selectorIjNS0_10empty_typeEEEZZNS1_27merge_sort_block_merge_implIS3_N6thrust23THRUST_200600_302600_NS6detail15normal_iteratorINS9_10device_ptrIjEEEEPS5_m11less_div_10IjEEE10hipError_tT0_T1_T2_jT3_P12ihipStream_tbPNSt15iterator_traitsISJ_E10value_typeEPNSP_ISK_E10value_typeEPSL_NS1_7vsmem_tEENKUlT_SJ_SK_SL_E_clISE_PjSF_SF_EESI_SY_SJ_SK_SL_EUlSY_E_NS1_11comp_targetILNS1_3genE4ELNS1_11target_archE910ELNS1_3gpuE8ELNS1_3repE0EEENS1_48merge_mergepath_partition_config_static_selectorELNS0_4arch9wavefront6targetE0EEEvSK_
		.amdhsa_group_segment_fixed_size 0
		.amdhsa_private_segment_fixed_size 0
		.amdhsa_kernarg_size 48
		.amdhsa_user_sgpr_count 6
		.amdhsa_user_sgpr_private_segment_buffer 1
		.amdhsa_user_sgpr_dispatch_ptr 0
		.amdhsa_user_sgpr_queue_ptr 0
		.amdhsa_user_sgpr_kernarg_segment_ptr 1
		.amdhsa_user_sgpr_dispatch_id 0
		.amdhsa_user_sgpr_flat_scratch_init 0
		.amdhsa_user_sgpr_private_segment_size 0
		.amdhsa_wavefront_size32 1
		.amdhsa_uses_dynamic_stack 0
		.amdhsa_system_sgpr_private_segment_wavefront_offset 0
		.amdhsa_system_sgpr_workgroup_id_x 1
		.amdhsa_system_sgpr_workgroup_id_y 0
		.amdhsa_system_sgpr_workgroup_id_z 0
		.amdhsa_system_sgpr_workgroup_info 0
		.amdhsa_system_vgpr_workitem_id 0
		.amdhsa_next_free_vgpr 1
		.amdhsa_next_free_sgpr 1
		.amdhsa_reserve_vcc 0
		.amdhsa_reserve_flat_scratch 0
		.amdhsa_float_round_mode_32 0
		.amdhsa_float_round_mode_16_64 0
		.amdhsa_float_denorm_mode_32 3
		.amdhsa_float_denorm_mode_16_64 3
		.amdhsa_dx10_clamp 1
		.amdhsa_ieee_mode 1
		.amdhsa_fp16_overflow 0
		.amdhsa_workgroup_processor_mode 1
		.amdhsa_memory_ordered 1
		.amdhsa_forward_progress 1
		.amdhsa_shared_vgpr_count 0
		.amdhsa_exception_fp_ieee_invalid_op 0
		.amdhsa_exception_fp_denorm_src 0
		.amdhsa_exception_fp_ieee_div_zero 0
		.amdhsa_exception_fp_ieee_overflow 0
		.amdhsa_exception_fp_ieee_underflow 0
		.amdhsa_exception_fp_ieee_inexact 0
		.amdhsa_exception_int_div_zero 0
	.end_amdhsa_kernel
	.section	.text._ZN7rocprim17ROCPRIM_400000_NS6detail17trampoline_kernelINS0_14default_configENS1_38merge_sort_block_merge_config_selectorIjNS0_10empty_typeEEEZZNS1_27merge_sort_block_merge_implIS3_N6thrust23THRUST_200600_302600_NS6detail15normal_iteratorINS9_10device_ptrIjEEEEPS5_m11less_div_10IjEEE10hipError_tT0_T1_T2_jT3_P12ihipStream_tbPNSt15iterator_traitsISJ_E10value_typeEPNSP_ISK_E10value_typeEPSL_NS1_7vsmem_tEENKUlT_SJ_SK_SL_E_clISE_PjSF_SF_EESI_SY_SJ_SK_SL_EUlSY_E_NS1_11comp_targetILNS1_3genE4ELNS1_11target_archE910ELNS1_3gpuE8ELNS1_3repE0EEENS1_48merge_mergepath_partition_config_static_selectorELNS0_4arch9wavefront6targetE0EEEvSK_,"axG",@progbits,_ZN7rocprim17ROCPRIM_400000_NS6detail17trampoline_kernelINS0_14default_configENS1_38merge_sort_block_merge_config_selectorIjNS0_10empty_typeEEEZZNS1_27merge_sort_block_merge_implIS3_N6thrust23THRUST_200600_302600_NS6detail15normal_iteratorINS9_10device_ptrIjEEEEPS5_m11less_div_10IjEEE10hipError_tT0_T1_T2_jT3_P12ihipStream_tbPNSt15iterator_traitsISJ_E10value_typeEPNSP_ISK_E10value_typeEPSL_NS1_7vsmem_tEENKUlT_SJ_SK_SL_E_clISE_PjSF_SF_EESI_SY_SJ_SK_SL_EUlSY_E_NS1_11comp_targetILNS1_3genE4ELNS1_11target_archE910ELNS1_3gpuE8ELNS1_3repE0EEENS1_48merge_mergepath_partition_config_static_selectorELNS0_4arch9wavefront6targetE0EEEvSK_,comdat
.Lfunc_end174:
	.size	_ZN7rocprim17ROCPRIM_400000_NS6detail17trampoline_kernelINS0_14default_configENS1_38merge_sort_block_merge_config_selectorIjNS0_10empty_typeEEEZZNS1_27merge_sort_block_merge_implIS3_N6thrust23THRUST_200600_302600_NS6detail15normal_iteratorINS9_10device_ptrIjEEEEPS5_m11less_div_10IjEEE10hipError_tT0_T1_T2_jT3_P12ihipStream_tbPNSt15iterator_traitsISJ_E10value_typeEPNSP_ISK_E10value_typeEPSL_NS1_7vsmem_tEENKUlT_SJ_SK_SL_E_clISE_PjSF_SF_EESI_SY_SJ_SK_SL_EUlSY_E_NS1_11comp_targetILNS1_3genE4ELNS1_11target_archE910ELNS1_3gpuE8ELNS1_3repE0EEENS1_48merge_mergepath_partition_config_static_selectorELNS0_4arch9wavefront6targetE0EEEvSK_, .Lfunc_end174-_ZN7rocprim17ROCPRIM_400000_NS6detail17trampoline_kernelINS0_14default_configENS1_38merge_sort_block_merge_config_selectorIjNS0_10empty_typeEEEZZNS1_27merge_sort_block_merge_implIS3_N6thrust23THRUST_200600_302600_NS6detail15normal_iteratorINS9_10device_ptrIjEEEEPS5_m11less_div_10IjEEE10hipError_tT0_T1_T2_jT3_P12ihipStream_tbPNSt15iterator_traitsISJ_E10value_typeEPNSP_ISK_E10value_typeEPSL_NS1_7vsmem_tEENKUlT_SJ_SK_SL_E_clISE_PjSF_SF_EESI_SY_SJ_SK_SL_EUlSY_E_NS1_11comp_targetILNS1_3genE4ELNS1_11target_archE910ELNS1_3gpuE8ELNS1_3repE0EEENS1_48merge_mergepath_partition_config_static_selectorELNS0_4arch9wavefront6targetE0EEEvSK_
                                        ; -- End function
	.set _ZN7rocprim17ROCPRIM_400000_NS6detail17trampoline_kernelINS0_14default_configENS1_38merge_sort_block_merge_config_selectorIjNS0_10empty_typeEEEZZNS1_27merge_sort_block_merge_implIS3_N6thrust23THRUST_200600_302600_NS6detail15normal_iteratorINS9_10device_ptrIjEEEEPS5_m11less_div_10IjEEE10hipError_tT0_T1_T2_jT3_P12ihipStream_tbPNSt15iterator_traitsISJ_E10value_typeEPNSP_ISK_E10value_typeEPSL_NS1_7vsmem_tEENKUlT_SJ_SK_SL_E_clISE_PjSF_SF_EESI_SY_SJ_SK_SL_EUlSY_E_NS1_11comp_targetILNS1_3genE4ELNS1_11target_archE910ELNS1_3gpuE8ELNS1_3repE0EEENS1_48merge_mergepath_partition_config_static_selectorELNS0_4arch9wavefront6targetE0EEEvSK_.num_vgpr, 0
	.set _ZN7rocprim17ROCPRIM_400000_NS6detail17trampoline_kernelINS0_14default_configENS1_38merge_sort_block_merge_config_selectorIjNS0_10empty_typeEEEZZNS1_27merge_sort_block_merge_implIS3_N6thrust23THRUST_200600_302600_NS6detail15normal_iteratorINS9_10device_ptrIjEEEEPS5_m11less_div_10IjEEE10hipError_tT0_T1_T2_jT3_P12ihipStream_tbPNSt15iterator_traitsISJ_E10value_typeEPNSP_ISK_E10value_typeEPSL_NS1_7vsmem_tEENKUlT_SJ_SK_SL_E_clISE_PjSF_SF_EESI_SY_SJ_SK_SL_EUlSY_E_NS1_11comp_targetILNS1_3genE4ELNS1_11target_archE910ELNS1_3gpuE8ELNS1_3repE0EEENS1_48merge_mergepath_partition_config_static_selectorELNS0_4arch9wavefront6targetE0EEEvSK_.num_agpr, 0
	.set _ZN7rocprim17ROCPRIM_400000_NS6detail17trampoline_kernelINS0_14default_configENS1_38merge_sort_block_merge_config_selectorIjNS0_10empty_typeEEEZZNS1_27merge_sort_block_merge_implIS3_N6thrust23THRUST_200600_302600_NS6detail15normal_iteratorINS9_10device_ptrIjEEEEPS5_m11less_div_10IjEEE10hipError_tT0_T1_T2_jT3_P12ihipStream_tbPNSt15iterator_traitsISJ_E10value_typeEPNSP_ISK_E10value_typeEPSL_NS1_7vsmem_tEENKUlT_SJ_SK_SL_E_clISE_PjSF_SF_EESI_SY_SJ_SK_SL_EUlSY_E_NS1_11comp_targetILNS1_3genE4ELNS1_11target_archE910ELNS1_3gpuE8ELNS1_3repE0EEENS1_48merge_mergepath_partition_config_static_selectorELNS0_4arch9wavefront6targetE0EEEvSK_.numbered_sgpr, 0
	.set _ZN7rocprim17ROCPRIM_400000_NS6detail17trampoline_kernelINS0_14default_configENS1_38merge_sort_block_merge_config_selectorIjNS0_10empty_typeEEEZZNS1_27merge_sort_block_merge_implIS3_N6thrust23THRUST_200600_302600_NS6detail15normal_iteratorINS9_10device_ptrIjEEEEPS5_m11less_div_10IjEEE10hipError_tT0_T1_T2_jT3_P12ihipStream_tbPNSt15iterator_traitsISJ_E10value_typeEPNSP_ISK_E10value_typeEPSL_NS1_7vsmem_tEENKUlT_SJ_SK_SL_E_clISE_PjSF_SF_EESI_SY_SJ_SK_SL_EUlSY_E_NS1_11comp_targetILNS1_3genE4ELNS1_11target_archE910ELNS1_3gpuE8ELNS1_3repE0EEENS1_48merge_mergepath_partition_config_static_selectorELNS0_4arch9wavefront6targetE0EEEvSK_.num_named_barrier, 0
	.set _ZN7rocprim17ROCPRIM_400000_NS6detail17trampoline_kernelINS0_14default_configENS1_38merge_sort_block_merge_config_selectorIjNS0_10empty_typeEEEZZNS1_27merge_sort_block_merge_implIS3_N6thrust23THRUST_200600_302600_NS6detail15normal_iteratorINS9_10device_ptrIjEEEEPS5_m11less_div_10IjEEE10hipError_tT0_T1_T2_jT3_P12ihipStream_tbPNSt15iterator_traitsISJ_E10value_typeEPNSP_ISK_E10value_typeEPSL_NS1_7vsmem_tEENKUlT_SJ_SK_SL_E_clISE_PjSF_SF_EESI_SY_SJ_SK_SL_EUlSY_E_NS1_11comp_targetILNS1_3genE4ELNS1_11target_archE910ELNS1_3gpuE8ELNS1_3repE0EEENS1_48merge_mergepath_partition_config_static_selectorELNS0_4arch9wavefront6targetE0EEEvSK_.private_seg_size, 0
	.set _ZN7rocprim17ROCPRIM_400000_NS6detail17trampoline_kernelINS0_14default_configENS1_38merge_sort_block_merge_config_selectorIjNS0_10empty_typeEEEZZNS1_27merge_sort_block_merge_implIS3_N6thrust23THRUST_200600_302600_NS6detail15normal_iteratorINS9_10device_ptrIjEEEEPS5_m11less_div_10IjEEE10hipError_tT0_T1_T2_jT3_P12ihipStream_tbPNSt15iterator_traitsISJ_E10value_typeEPNSP_ISK_E10value_typeEPSL_NS1_7vsmem_tEENKUlT_SJ_SK_SL_E_clISE_PjSF_SF_EESI_SY_SJ_SK_SL_EUlSY_E_NS1_11comp_targetILNS1_3genE4ELNS1_11target_archE910ELNS1_3gpuE8ELNS1_3repE0EEENS1_48merge_mergepath_partition_config_static_selectorELNS0_4arch9wavefront6targetE0EEEvSK_.uses_vcc, 0
	.set _ZN7rocprim17ROCPRIM_400000_NS6detail17trampoline_kernelINS0_14default_configENS1_38merge_sort_block_merge_config_selectorIjNS0_10empty_typeEEEZZNS1_27merge_sort_block_merge_implIS3_N6thrust23THRUST_200600_302600_NS6detail15normal_iteratorINS9_10device_ptrIjEEEEPS5_m11less_div_10IjEEE10hipError_tT0_T1_T2_jT3_P12ihipStream_tbPNSt15iterator_traitsISJ_E10value_typeEPNSP_ISK_E10value_typeEPSL_NS1_7vsmem_tEENKUlT_SJ_SK_SL_E_clISE_PjSF_SF_EESI_SY_SJ_SK_SL_EUlSY_E_NS1_11comp_targetILNS1_3genE4ELNS1_11target_archE910ELNS1_3gpuE8ELNS1_3repE0EEENS1_48merge_mergepath_partition_config_static_selectorELNS0_4arch9wavefront6targetE0EEEvSK_.uses_flat_scratch, 0
	.set _ZN7rocprim17ROCPRIM_400000_NS6detail17trampoline_kernelINS0_14default_configENS1_38merge_sort_block_merge_config_selectorIjNS0_10empty_typeEEEZZNS1_27merge_sort_block_merge_implIS3_N6thrust23THRUST_200600_302600_NS6detail15normal_iteratorINS9_10device_ptrIjEEEEPS5_m11less_div_10IjEEE10hipError_tT0_T1_T2_jT3_P12ihipStream_tbPNSt15iterator_traitsISJ_E10value_typeEPNSP_ISK_E10value_typeEPSL_NS1_7vsmem_tEENKUlT_SJ_SK_SL_E_clISE_PjSF_SF_EESI_SY_SJ_SK_SL_EUlSY_E_NS1_11comp_targetILNS1_3genE4ELNS1_11target_archE910ELNS1_3gpuE8ELNS1_3repE0EEENS1_48merge_mergepath_partition_config_static_selectorELNS0_4arch9wavefront6targetE0EEEvSK_.has_dyn_sized_stack, 0
	.set _ZN7rocprim17ROCPRIM_400000_NS6detail17trampoline_kernelINS0_14default_configENS1_38merge_sort_block_merge_config_selectorIjNS0_10empty_typeEEEZZNS1_27merge_sort_block_merge_implIS3_N6thrust23THRUST_200600_302600_NS6detail15normal_iteratorINS9_10device_ptrIjEEEEPS5_m11less_div_10IjEEE10hipError_tT0_T1_T2_jT3_P12ihipStream_tbPNSt15iterator_traitsISJ_E10value_typeEPNSP_ISK_E10value_typeEPSL_NS1_7vsmem_tEENKUlT_SJ_SK_SL_E_clISE_PjSF_SF_EESI_SY_SJ_SK_SL_EUlSY_E_NS1_11comp_targetILNS1_3genE4ELNS1_11target_archE910ELNS1_3gpuE8ELNS1_3repE0EEENS1_48merge_mergepath_partition_config_static_selectorELNS0_4arch9wavefront6targetE0EEEvSK_.has_recursion, 0
	.set _ZN7rocprim17ROCPRIM_400000_NS6detail17trampoline_kernelINS0_14default_configENS1_38merge_sort_block_merge_config_selectorIjNS0_10empty_typeEEEZZNS1_27merge_sort_block_merge_implIS3_N6thrust23THRUST_200600_302600_NS6detail15normal_iteratorINS9_10device_ptrIjEEEEPS5_m11less_div_10IjEEE10hipError_tT0_T1_T2_jT3_P12ihipStream_tbPNSt15iterator_traitsISJ_E10value_typeEPNSP_ISK_E10value_typeEPSL_NS1_7vsmem_tEENKUlT_SJ_SK_SL_E_clISE_PjSF_SF_EESI_SY_SJ_SK_SL_EUlSY_E_NS1_11comp_targetILNS1_3genE4ELNS1_11target_archE910ELNS1_3gpuE8ELNS1_3repE0EEENS1_48merge_mergepath_partition_config_static_selectorELNS0_4arch9wavefront6targetE0EEEvSK_.has_indirect_call, 0
	.section	.AMDGPU.csdata,"",@progbits
; Kernel info:
; codeLenInByte = 0
; TotalNumSgprs: 0
; NumVgprs: 0
; ScratchSize: 0
; MemoryBound: 0
; FloatMode: 240
; IeeeMode: 1
; LDSByteSize: 0 bytes/workgroup (compile time only)
; SGPRBlocks: 0
; VGPRBlocks: 0
; NumSGPRsForWavesPerEU: 1
; NumVGPRsForWavesPerEU: 1
; Occupancy: 16
; WaveLimiterHint : 0
; COMPUTE_PGM_RSRC2:SCRATCH_EN: 0
; COMPUTE_PGM_RSRC2:USER_SGPR: 6
; COMPUTE_PGM_RSRC2:TRAP_HANDLER: 0
; COMPUTE_PGM_RSRC2:TGID_X_EN: 1
; COMPUTE_PGM_RSRC2:TGID_Y_EN: 0
; COMPUTE_PGM_RSRC2:TGID_Z_EN: 0
; COMPUTE_PGM_RSRC2:TIDIG_COMP_CNT: 0
	.section	.text._ZN7rocprim17ROCPRIM_400000_NS6detail17trampoline_kernelINS0_14default_configENS1_38merge_sort_block_merge_config_selectorIjNS0_10empty_typeEEEZZNS1_27merge_sort_block_merge_implIS3_N6thrust23THRUST_200600_302600_NS6detail15normal_iteratorINS9_10device_ptrIjEEEEPS5_m11less_div_10IjEEE10hipError_tT0_T1_T2_jT3_P12ihipStream_tbPNSt15iterator_traitsISJ_E10value_typeEPNSP_ISK_E10value_typeEPSL_NS1_7vsmem_tEENKUlT_SJ_SK_SL_E_clISE_PjSF_SF_EESI_SY_SJ_SK_SL_EUlSY_E_NS1_11comp_targetILNS1_3genE3ELNS1_11target_archE908ELNS1_3gpuE7ELNS1_3repE0EEENS1_48merge_mergepath_partition_config_static_selectorELNS0_4arch9wavefront6targetE0EEEvSK_,"axG",@progbits,_ZN7rocprim17ROCPRIM_400000_NS6detail17trampoline_kernelINS0_14default_configENS1_38merge_sort_block_merge_config_selectorIjNS0_10empty_typeEEEZZNS1_27merge_sort_block_merge_implIS3_N6thrust23THRUST_200600_302600_NS6detail15normal_iteratorINS9_10device_ptrIjEEEEPS5_m11less_div_10IjEEE10hipError_tT0_T1_T2_jT3_P12ihipStream_tbPNSt15iterator_traitsISJ_E10value_typeEPNSP_ISK_E10value_typeEPSL_NS1_7vsmem_tEENKUlT_SJ_SK_SL_E_clISE_PjSF_SF_EESI_SY_SJ_SK_SL_EUlSY_E_NS1_11comp_targetILNS1_3genE3ELNS1_11target_archE908ELNS1_3gpuE7ELNS1_3repE0EEENS1_48merge_mergepath_partition_config_static_selectorELNS0_4arch9wavefront6targetE0EEEvSK_,comdat
	.protected	_ZN7rocprim17ROCPRIM_400000_NS6detail17trampoline_kernelINS0_14default_configENS1_38merge_sort_block_merge_config_selectorIjNS0_10empty_typeEEEZZNS1_27merge_sort_block_merge_implIS3_N6thrust23THRUST_200600_302600_NS6detail15normal_iteratorINS9_10device_ptrIjEEEEPS5_m11less_div_10IjEEE10hipError_tT0_T1_T2_jT3_P12ihipStream_tbPNSt15iterator_traitsISJ_E10value_typeEPNSP_ISK_E10value_typeEPSL_NS1_7vsmem_tEENKUlT_SJ_SK_SL_E_clISE_PjSF_SF_EESI_SY_SJ_SK_SL_EUlSY_E_NS1_11comp_targetILNS1_3genE3ELNS1_11target_archE908ELNS1_3gpuE7ELNS1_3repE0EEENS1_48merge_mergepath_partition_config_static_selectorELNS0_4arch9wavefront6targetE0EEEvSK_ ; -- Begin function _ZN7rocprim17ROCPRIM_400000_NS6detail17trampoline_kernelINS0_14default_configENS1_38merge_sort_block_merge_config_selectorIjNS0_10empty_typeEEEZZNS1_27merge_sort_block_merge_implIS3_N6thrust23THRUST_200600_302600_NS6detail15normal_iteratorINS9_10device_ptrIjEEEEPS5_m11less_div_10IjEEE10hipError_tT0_T1_T2_jT3_P12ihipStream_tbPNSt15iterator_traitsISJ_E10value_typeEPNSP_ISK_E10value_typeEPSL_NS1_7vsmem_tEENKUlT_SJ_SK_SL_E_clISE_PjSF_SF_EESI_SY_SJ_SK_SL_EUlSY_E_NS1_11comp_targetILNS1_3genE3ELNS1_11target_archE908ELNS1_3gpuE7ELNS1_3repE0EEENS1_48merge_mergepath_partition_config_static_selectorELNS0_4arch9wavefront6targetE0EEEvSK_
	.globl	_ZN7rocprim17ROCPRIM_400000_NS6detail17trampoline_kernelINS0_14default_configENS1_38merge_sort_block_merge_config_selectorIjNS0_10empty_typeEEEZZNS1_27merge_sort_block_merge_implIS3_N6thrust23THRUST_200600_302600_NS6detail15normal_iteratorINS9_10device_ptrIjEEEEPS5_m11less_div_10IjEEE10hipError_tT0_T1_T2_jT3_P12ihipStream_tbPNSt15iterator_traitsISJ_E10value_typeEPNSP_ISK_E10value_typeEPSL_NS1_7vsmem_tEENKUlT_SJ_SK_SL_E_clISE_PjSF_SF_EESI_SY_SJ_SK_SL_EUlSY_E_NS1_11comp_targetILNS1_3genE3ELNS1_11target_archE908ELNS1_3gpuE7ELNS1_3repE0EEENS1_48merge_mergepath_partition_config_static_selectorELNS0_4arch9wavefront6targetE0EEEvSK_
	.p2align	8
	.type	_ZN7rocprim17ROCPRIM_400000_NS6detail17trampoline_kernelINS0_14default_configENS1_38merge_sort_block_merge_config_selectorIjNS0_10empty_typeEEEZZNS1_27merge_sort_block_merge_implIS3_N6thrust23THRUST_200600_302600_NS6detail15normal_iteratorINS9_10device_ptrIjEEEEPS5_m11less_div_10IjEEE10hipError_tT0_T1_T2_jT3_P12ihipStream_tbPNSt15iterator_traitsISJ_E10value_typeEPNSP_ISK_E10value_typeEPSL_NS1_7vsmem_tEENKUlT_SJ_SK_SL_E_clISE_PjSF_SF_EESI_SY_SJ_SK_SL_EUlSY_E_NS1_11comp_targetILNS1_3genE3ELNS1_11target_archE908ELNS1_3gpuE7ELNS1_3repE0EEENS1_48merge_mergepath_partition_config_static_selectorELNS0_4arch9wavefront6targetE0EEEvSK_,@function
_ZN7rocprim17ROCPRIM_400000_NS6detail17trampoline_kernelINS0_14default_configENS1_38merge_sort_block_merge_config_selectorIjNS0_10empty_typeEEEZZNS1_27merge_sort_block_merge_implIS3_N6thrust23THRUST_200600_302600_NS6detail15normal_iteratorINS9_10device_ptrIjEEEEPS5_m11less_div_10IjEEE10hipError_tT0_T1_T2_jT3_P12ihipStream_tbPNSt15iterator_traitsISJ_E10value_typeEPNSP_ISK_E10value_typeEPSL_NS1_7vsmem_tEENKUlT_SJ_SK_SL_E_clISE_PjSF_SF_EESI_SY_SJ_SK_SL_EUlSY_E_NS1_11comp_targetILNS1_3genE3ELNS1_11target_archE908ELNS1_3gpuE7ELNS1_3repE0EEENS1_48merge_mergepath_partition_config_static_selectorELNS0_4arch9wavefront6targetE0EEEvSK_: ; @_ZN7rocprim17ROCPRIM_400000_NS6detail17trampoline_kernelINS0_14default_configENS1_38merge_sort_block_merge_config_selectorIjNS0_10empty_typeEEEZZNS1_27merge_sort_block_merge_implIS3_N6thrust23THRUST_200600_302600_NS6detail15normal_iteratorINS9_10device_ptrIjEEEEPS5_m11less_div_10IjEEE10hipError_tT0_T1_T2_jT3_P12ihipStream_tbPNSt15iterator_traitsISJ_E10value_typeEPNSP_ISK_E10value_typeEPSL_NS1_7vsmem_tEENKUlT_SJ_SK_SL_E_clISE_PjSF_SF_EESI_SY_SJ_SK_SL_EUlSY_E_NS1_11comp_targetILNS1_3genE3ELNS1_11target_archE908ELNS1_3gpuE7ELNS1_3repE0EEENS1_48merge_mergepath_partition_config_static_selectorELNS0_4arch9wavefront6targetE0EEEvSK_
; %bb.0:
	.section	.rodata,"a",@progbits
	.p2align	6, 0x0
	.amdhsa_kernel _ZN7rocprim17ROCPRIM_400000_NS6detail17trampoline_kernelINS0_14default_configENS1_38merge_sort_block_merge_config_selectorIjNS0_10empty_typeEEEZZNS1_27merge_sort_block_merge_implIS3_N6thrust23THRUST_200600_302600_NS6detail15normal_iteratorINS9_10device_ptrIjEEEEPS5_m11less_div_10IjEEE10hipError_tT0_T1_T2_jT3_P12ihipStream_tbPNSt15iterator_traitsISJ_E10value_typeEPNSP_ISK_E10value_typeEPSL_NS1_7vsmem_tEENKUlT_SJ_SK_SL_E_clISE_PjSF_SF_EESI_SY_SJ_SK_SL_EUlSY_E_NS1_11comp_targetILNS1_3genE3ELNS1_11target_archE908ELNS1_3gpuE7ELNS1_3repE0EEENS1_48merge_mergepath_partition_config_static_selectorELNS0_4arch9wavefront6targetE0EEEvSK_
		.amdhsa_group_segment_fixed_size 0
		.amdhsa_private_segment_fixed_size 0
		.amdhsa_kernarg_size 48
		.amdhsa_user_sgpr_count 6
		.amdhsa_user_sgpr_private_segment_buffer 1
		.amdhsa_user_sgpr_dispatch_ptr 0
		.amdhsa_user_sgpr_queue_ptr 0
		.amdhsa_user_sgpr_kernarg_segment_ptr 1
		.amdhsa_user_sgpr_dispatch_id 0
		.amdhsa_user_sgpr_flat_scratch_init 0
		.amdhsa_user_sgpr_private_segment_size 0
		.amdhsa_wavefront_size32 1
		.amdhsa_uses_dynamic_stack 0
		.amdhsa_system_sgpr_private_segment_wavefront_offset 0
		.amdhsa_system_sgpr_workgroup_id_x 1
		.amdhsa_system_sgpr_workgroup_id_y 0
		.amdhsa_system_sgpr_workgroup_id_z 0
		.amdhsa_system_sgpr_workgroup_info 0
		.amdhsa_system_vgpr_workitem_id 0
		.amdhsa_next_free_vgpr 1
		.amdhsa_next_free_sgpr 1
		.amdhsa_reserve_vcc 0
		.amdhsa_reserve_flat_scratch 0
		.amdhsa_float_round_mode_32 0
		.amdhsa_float_round_mode_16_64 0
		.amdhsa_float_denorm_mode_32 3
		.amdhsa_float_denorm_mode_16_64 3
		.amdhsa_dx10_clamp 1
		.amdhsa_ieee_mode 1
		.amdhsa_fp16_overflow 0
		.amdhsa_workgroup_processor_mode 1
		.amdhsa_memory_ordered 1
		.amdhsa_forward_progress 1
		.amdhsa_shared_vgpr_count 0
		.amdhsa_exception_fp_ieee_invalid_op 0
		.amdhsa_exception_fp_denorm_src 0
		.amdhsa_exception_fp_ieee_div_zero 0
		.amdhsa_exception_fp_ieee_overflow 0
		.amdhsa_exception_fp_ieee_underflow 0
		.amdhsa_exception_fp_ieee_inexact 0
		.amdhsa_exception_int_div_zero 0
	.end_amdhsa_kernel
	.section	.text._ZN7rocprim17ROCPRIM_400000_NS6detail17trampoline_kernelINS0_14default_configENS1_38merge_sort_block_merge_config_selectorIjNS0_10empty_typeEEEZZNS1_27merge_sort_block_merge_implIS3_N6thrust23THRUST_200600_302600_NS6detail15normal_iteratorINS9_10device_ptrIjEEEEPS5_m11less_div_10IjEEE10hipError_tT0_T1_T2_jT3_P12ihipStream_tbPNSt15iterator_traitsISJ_E10value_typeEPNSP_ISK_E10value_typeEPSL_NS1_7vsmem_tEENKUlT_SJ_SK_SL_E_clISE_PjSF_SF_EESI_SY_SJ_SK_SL_EUlSY_E_NS1_11comp_targetILNS1_3genE3ELNS1_11target_archE908ELNS1_3gpuE7ELNS1_3repE0EEENS1_48merge_mergepath_partition_config_static_selectorELNS0_4arch9wavefront6targetE0EEEvSK_,"axG",@progbits,_ZN7rocprim17ROCPRIM_400000_NS6detail17trampoline_kernelINS0_14default_configENS1_38merge_sort_block_merge_config_selectorIjNS0_10empty_typeEEEZZNS1_27merge_sort_block_merge_implIS3_N6thrust23THRUST_200600_302600_NS6detail15normal_iteratorINS9_10device_ptrIjEEEEPS5_m11less_div_10IjEEE10hipError_tT0_T1_T2_jT3_P12ihipStream_tbPNSt15iterator_traitsISJ_E10value_typeEPNSP_ISK_E10value_typeEPSL_NS1_7vsmem_tEENKUlT_SJ_SK_SL_E_clISE_PjSF_SF_EESI_SY_SJ_SK_SL_EUlSY_E_NS1_11comp_targetILNS1_3genE3ELNS1_11target_archE908ELNS1_3gpuE7ELNS1_3repE0EEENS1_48merge_mergepath_partition_config_static_selectorELNS0_4arch9wavefront6targetE0EEEvSK_,comdat
.Lfunc_end175:
	.size	_ZN7rocprim17ROCPRIM_400000_NS6detail17trampoline_kernelINS0_14default_configENS1_38merge_sort_block_merge_config_selectorIjNS0_10empty_typeEEEZZNS1_27merge_sort_block_merge_implIS3_N6thrust23THRUST_200600_302600_NS6detail15normal_iteratorINS9_10device_ptrIjEEEEPS5_m11less_div_10IjEEE10hipError_tT0_T1_T2_jT3_P12ihipStream_tbPNSt15iterator_traitsISJ_E10value_typeEPNSP_ISK_E10value_typeEPSL_NS1_7vsmem_tEENKUlT_SJ_SK_SL_E_clISE_PjSF_SF_EESI_SY_SJ_SK_SL_EUlSY_E_NS1_11comp_targetILNS1_3genE3ELNS1_11target_archE908ELNS1_3gpuE7ELNS1_3repE0EEENS1_48merge_mergepath_partition_config_static_selectorELNS0_4arch9wavefront6targetE0EEEvSK_, .Lfunc_end175-_ZN7rocprim17ROCPRIM_400000_NS6detail17trampoline_kernelINS0_14default_configENS1_38merge_sort_block_merge_config_selectorIjNS0_10empty_typeEEEZZNS1_27merge_sort_block_merge_implIS3_N6thrust23THRUST_200600_302600_NS6detail15normal_iteratorINS9_10device_ptrIjEEEEPS5_m11less_div_10IjEEE10hipError_tT0_T1_T2_jT3_P12ihipStream_tbPNSt15iterator_traitsISJ_E10value_typeEPNSP_ISK_E10value_typeEPSL_NS1_7vsmem_tEENKUlT_SJ_SK_SL_E_clISE_PjSF_SF_EESI_SY_SJ_SK_SL_EUlSY_E_NS1_11comp_targetILNS1_3genE3ELNS1_11target_archE908ELNS1_3gpuE7ELNS1_3repE0EEENS1_48merge_mergepath_partition_config_static_selectorELNS0_4arch9wavefront6targetE0EEEvSK_
                                        ; -- End function
	.set _ZN7rocprim17ROCPRIM_400000_NS6detail17trampoline_kernelINS0_14default_configENS1_38merge_sort_block_merge_config_selectorIjNS0_10empty_typeEEEZZNS1_27merge_sort_block_merge_implIS3_N6thrust23THRUST_200600_302600_NS6detail15normal_iteratorINS9_10device_ptrIjEEEEPS5_m11less_div_10IjEEE10hipError_tT0_T1_T2_jT3_P12ihipStream_tbPNSt15iterator_traitsISJ_E10value_typeEPNSP_ISK_E10value_typeEPSL_NS1_7vsmem_tEENKUlT_SJ_SK_SL_E_clISE_PjSF_SF_EESI_SY_SJ_SK_SL_EUlSY_E_NS1_11comp_targetILNS1_3genE3ELNS1_11target_archE908ELNS1_3gpuE7ELNS1_3repE0EEENS1_48merge_mergepath_partition_config_static_selectorELNS0_4arch9wavefront6targetE0EEEvSK_.num_vgpr, 0
	.set _ZN7rocprim17ROCPRIM_400000_NS6detail17trampoline_kernelINS0_14default_configENS1_38merge_sort_block_merge_config_selectorIjNS0_10empty_typeEEEZZNS1_27merge_sort_block_merge_implIS3_N6thrust23THRUST_200600_302600_NS6detail15normal_iteratorINS9_10device_ptrIjEEEEPS5_m11less_div_10IjEEE10hipError_tT0_T1_T2_jT3_P12ihipStream_tbPNSt15iterator_traitsISJ_E10value_typeEPNSP_ISK_E10value_typeEPSL_NS1_7vsmem_tEENKUlT_SJ_SK_SL_E_clISE_PjSF_SF_EESI_SY_SJ_SK_SL_EUlSY_E_NS1_11comp_targetILNS1_3genE3ELNS1_11target_archE908ELNS1_3gpuE7ELNS1_3repE0EEENS1_48merge_mergepath_partition_config_static_selectorELNS0_4arch9wavefront6targetE0EEEvSK_.num_agpr, 0
	.set _ZN7rocprim17ROCPRIM_400000_NS6detail17trampoline_kernelINS0_14default_configENS1_38merge_sort_block_merge_config_selectorIjNS0_10empty_typeEEEZZNS1_27merge_sort_block_merge_implIS3_N6thrust23THRUST_200600_302600_NS6detail15normal_iteratorINS9_10device_ptrIjEEEEPS5_m11less_div_10IjEEE10hipError_tT0_T1_T2_jT3_P12ihipStream_tbPNSt15iterator_traitsISJ_E10value_typeEPNSP_ISK_E10value_typeEPSL_NS1_7vsmem_tEENKUlT_SJ_SK_SL_E_clISE_PjSF_SF_EESI_SY_SJ_SK_SL_EUlSY_E_NS1_11comp_targetILNS1_3genE3ELNS1_11target_archE908ELNS1_3gpuE7ELNS1_3repE0EEENS1_48merge_mergepath_partition_config_static_selectorELNS0_4arch9wavefront6targetE0EEEvSK_.numbered_sgpr, 0
	.set _ZN7rocprim17ROCPRIM_400000_NS6detail17trampoline_kernelINS0_14default_configENS1_38merge_sort_block_merge_config_selectorIjNS0_10empty_typeEEEZZNS1_27merge_sort_block_merge_implIS3_N6thrust23THRUST_200600_302600_NS6detail15normal_iteratorINS9_10device_ptrIjEEEEPS5_m11less_div_10IjEEE10hipError_tT0_T1_T2_jT3_P12ihipStream_tbPNSt15iterator_traitsISJ_E10value_typeEPNSP_ISK_E10value_typeEPSL_NS1_7vsmem_tEENKUlT_SJ_SK_SL_E_clISE_PjSF_SF_EESI_SY_SJ_SK_SL_EUlSY_E_NS1_11comp_targetILNS1_3genE3ELNS1_11target_archE908ELNS1_3gpuE7ELNS1_3repE0EEENS1_48merge_mergepath_partition_config_static_selectorELNS0_4arch9wavefront6targetE0EEEvSK_.num_named_barrier, 0
	.set _ZN7rocprim17ROCPRIM_400000_NS6detail17trampoline_kernelINS0_14default_configENS1_38merge_sort_block_merge_config_selectorIjNS0_10empty_typeEEEZZNS1_27merge_sort_block_merge_implIS3_N6thrust23THRUST_200600_302600_NS6detail15normal_iteratorINS9_10device_ptrIjEEEEPS5_m11less_div_10IjEEE10hipError_tT0_T1_T2_jT3_P12ihipStream_tbPNSt15iterator_traitsISJ_E10value_typeEPNSP_ISK_E10value_typeEPSL_NS1_7vsmem_tEENKUlT_SJ_SK_SL_E_clISE_PjSF_SF_EESI_SY_SJ_SK_SL_EUlSY_E_NS1_11comp_targetILNS1_3genE3ELNS1_11target_archE908ELNS1_3gpuE7ELNS1_3repE0EEENS1_48merge_mergepath_partition_config_static_selectorELNS0_4arch9wavefront6targetE0EEEvSK_.private_seg_size, 0
	.set _ZN7rocprim17ROCPRIM_400000_NS6detail17trampoline_kernelINS0_14default_configENS1_38merge_sort_block_merge_config_selectorIjNS0_10empty_typeEEEZZNS1_27merge_sort_block_merge_implIS3_N6thrust23THRUST_200600_302600_NS6detail15normal_iteratorINS9_10device_ptrIjEEEEPS5_m11less_div_10IjEEE10hipError_tT0_T1_T2_jT3_P12ihipStream_tbPNSt15iterator_traitsISJ_E10value_typeEPNSP_ISK_E10value_typeEPSL_NS1_7vsmem_tEENKUlT_SJ_SK_SL_E_clISE_PjSF_SF_EESI_SY_SJ_SK_SL_EUlSY_E_NS1_11comp_targetILNS1_3genE3ELNS1_11target_archE908ELNS1_3gpuE7ELNS1_3repE0EEENS1_48merge_mergepath_partition_config_static_selectorELNS0_4arch9wavefront6targetE0EEEvSK_.uses_vcc, 0
	.set _ZN7rocprim17ROCPRIM_400000_NS6detail17trampoline_kernelINS0_14default_configENS1_38merge_sort_block_merge_config_selectorIjNS0_10empty_typeEEEZZNS1_27merge_sort_block_merge_implIS3_N6thrust23THRUST_200600_302600_NS6detail15normal_iteratorINS9_10device_ptrIjEEEEPS5_m11less_div_10IjEEE10hipError_tT0_T1_T2_jT3_P12ihipStream_tbPNSt15iterator_traitsISJ_E10value_typeEPNSP_ISK_E10value_typeEPSL_NS1_7vsmem_tEENKUlT_SJ_SK_SL_E_clISE_PjSF_SF_EESI_SY_SJ_SK_SL_EUlSY_E_NS1_11comp_targetILNS1_3genE3ELNS1_11target_archE908ELNS1_3gpuE7ELNS1_3repE0EEENS1_48merge_mergepath_partition_config_static_selectorELNS0_4arch9wavefront6targetE0EEEvSK_.uses_flat_scratch, 0
	.set _ZN7rocprim17ROCPRIM_400000_NS6detail17trampoline_kernelINS0_14default_configENS1_38merge_sort_block_merge_config_selectorIjNS0_10empty_typeEEEZZNS1_27merge_sort_block_merge_implIS3_N6thrust23THRUST_200600_302600_NS6detail15normal_iteratorINS9_10device_ptrIjEEEEPS5_m11less_div_10IjEEE10hipError_tT0_T1_T2_jT3_P12ihipStream_tbPNSt15iterator_traitsISJ_E10value_typeEPNSP_ISK_E10value_typeEPSL_NS1_7vsmem_tEENKUlT_SJ_SK_SL_E_clISE_PjSF_SF_EESI_SY_SJ_SK_SL_EUlSY_E_NS1_11comp_targetILNS1_3genE3ELNS1_11target_archE908ELNS1_3gpuE7ELNS1_3repE0EEENS1_48merge_mergepath_partition_config_static_selectorELNS0_4arch9wavefront6targetE0EEEvSK_.has_dyn_sized_stack, 0
	.set _ZN7rocprim17ROCPRIM_400000_NS6detail17trampoline_kernelINS0_14default_configENS1_38merge_sort_block_merge_config_selectorIjNS0_10empty_typeEEEZZNS1_27merge_sort_block_merge_implIS3_N6thrust23THRUST_200600_302600_NS6detail15normal_iteratorINS9_10device_ptrIjEEEEPS5_m11less_div_10IjEEE10hipError_tT0_T1_T2_jT3_P12ihipStream_tbPNSt15iterator_traitsISJ_E10value_typeEPNSP_ISK_E10value_typeEPSL_NS1_7vsmem_tEENKUlT_SJ_SK_SL_E_clISE_PjSF_SF_EESI_SY_SJ_SK_SL_EUlSY_E_NS1_11comp_targetILNS1_3genE3ELNS1_11target_archE908ELNS1_3gpuE7ELNS1_3repE0EEENS1_48merge_mergepath_partition_config_static_selectorELNS0_4arch9wavefront6targetE0EEEvSK_.has_recursion, 0
	.set _ZN7rocprim17ROCPRIM_400000_NS6detail17trampoline_kernelINS0_14default_configENS1_38merge_sort_block_merge_config_selectorIjNS0_10empty_typeEEEZZNS1_27merge_sort_block_merge_implIS3_N6thrust23THRUST_200600_302600_NS6detail15normal_iteratorINS9_10device_ptrIjEEEEPS5_m11less_div_10IjEEE10hipError_tT0_T1_T2_jT3_P12ihipStream_tbPNSt15iterator_traitsISJ_E10value_typeEPNSP_ISK_E10value_typeEPSL_NS1_7vsmem_tEENKUlT_SJ_SK_SL_E_clISE_PjSF_SF_EESI_SY_SJ_SK_SL_EUlSY_E_NS1_11comp_targetILNS1_3genE3ELNS1_11target_archE908ELNS1_3gpuE7ELNS1_3repE0EEENS1_48merge_mergepath_partition_config_static_selectorELNS0_4arch9wavefront6targetE0EEEvSK_.has_indirect_call, 0
	.section	.AMDGPU.csdata,"",@progbits
; Kernel info:
; codeLenInByte = 0
; TotalNumSgprs: 0
; NumVgprs: 0
; ScratchSize: 0
; MemoryBound: 0
; FloatMode: 240
; IeeeMode: 1
; LDSByteSize: 0 bytes/workgroup (compile time only)
; SGPRBlocks: 0
; VGPRBlocks: 0
; NumSGPRsForWavesPerEU: 1
; NumVGPRsForWavesPerEU: 1
; Occupancy: 16
; WaveLimiterHint : 0
; COMPUTE_PGM_RSRC2:SCRATCH_EN: 0
; COMPUTE_PGM_RSRC2:USER_SGPR: 6
; COMPUTE_PGM_RSRC2:TRAP_HANDLER: 0
; COMPUTE_PGM_RSRC2:TGID_X_EN: 1
; COMPUTE_PGM_RSRC2:TGID_Y_EN: 0
; COMPUTE_PGM_RSRC2:TGID_Z_EN: 0
; COMPUTE_PGM_RSRC2:TIDIG_COMP_CNT: 0
	.section	.text._ZN7rocprim17ROCPRIM_400000_NS6detail17trampoline_kernelINS0_14default_configENS1_38merge_sort_block_merge_config_selectorIjNS0_10empty_typeEEEZZNS1_27merge_sort_block_merge_implIS3_N6thrust23THRUST_200600_302600_NS6detail15normal_iteratorINS9_10device_ptrIjEEEEPS5_m11less_div_10IjEEE10hipError_tT0_T1_T2_jT3_P12ihipStream_tbPNSt15iterator_traitsISJ_E10value_typeEPNSP_ISK_E10value_typeEPSL_NS1_7vsmem_tEENKUlT_SJ_SK_SL_E_clISE_PjSF_SF_EESI_SY_SJ_SK_SL_EUlSY_E_NS1_11comp_targetILNS1_3genE2ELNS1_11target_archE906ELNS1_3gpuE6ELNS1_3repE0EEENS1_48merge_mergepath_partition_config_static_selectorELNS0_4arch9wavefront6targetE0EEEvSK_,"axG",@progbits,_ZN7rocprim17ROCPRIM_400000_NS6detail17trampoline_kernelINS0_14default_configENS1_38merge_sort_block_merge_config_selectorIjNS0_10empty_typeEEEZZNS1_27merge_sort_block_merge_implIS3_N6thrust23THRUST_200600_302600_NS6detail15normal_iteratorINS9_10device_ptrIjEEEEPS5_m11less_div_10IjEEE10hipError_tT0_T1_T2_jT3_P12ihipStream_tbPNSt15iterator_traitsISJ_E10value_typeEPNSP_ISK_E10value_typeEPSL_NS1_7vsmem_tEENKUlT_SJ_SK_SL_E_clISE_PjSF_SF_EESI_SY_SJ_SK_SL_EUlSY_E_NS1_11comp_targetILNS1_3genE2ELNS1_11target_archE906ELNS1_3gpuE6ELNS1_3repE0EEENS1_48merge_mergepath_partition_config_static_selectorELNS0_4arch9wavefront6targetE0EEEvSK_,comdat
	.protected	_ZN7rocprim17ROCPRIM_400000_NS6detail17trampoline_kernelINS0_14default_configENS1_38merge_sort_block_merge_config_selectorIjNS0_10empty_typeEEEZZNS1_27merge_sort_block_merge_implIS3_N6thrust23THRUST_200600_302600_NS6detail15normal_iteratorINS9_10device_ptrIjEEEEPS5_m11less_div_10IjEEE10hipError_tT0_T1_T2_jT3_P12ihipStream_tbPNSt15iterator_traitsISJ_E10value_typeEPNSP_ISK_E10value_typeEPSL_NS1_7vsmem_tEENKUlT_SJ_SK_SL_E_clISE_PjSF_SF_EESI_SY_SJ_SK_SL_EUlSY_E_NS1_11comp_targetILNS1_3genE2ELNS1_11target_archE906ELNS1_3gpuE6ELNS1_3repE0EEENS1_48merge_mergepath_partition_config_static_selectorELNS0_4arch9wavefront6targetE0EEEvSK_ ; -- Begin function _ZN7rocprim17ROCPRIM_400000_NS6detail17trampoline_kernelINS0_14default_configENS1_38merge_sort_block_merge_config_selectorIjNS0_10empty_typeEEEZZNS1_27merge_sort_block_merge_implIS3_N6thrust23THRUST_200600_302600_NS6detail15normal_iteratorINS9_10device_ptrIjEEEEPS5_m11less_div_10IjEEE10hipError_tT0_T1_T2_jT3_P12ihipStream_tbPNSt15iterator_traitsISJ_E10value_typeEPNSP_ISK_E10value_typeEPSL_NS1_7vsmem_tEENKUlT_SJ_SK_SL_E_clISE_PjSF_SF_EESI_SY_SJ_SK_SL_EUlSY_E_NS1_11comp_targetILNS1_3genE2ELNS1_11target_archE906ELNS1_3gpuE6ELNS1_3repE0EEENS1_48merge_mergepath_partition_config_static_selectorELNS0_4arch9wavefront6targetE0EEEvSK_
	.globl	_ZN7rocprim17ROCPRIM_400000_NS6detail17trampoline_kernelINS0_14default_configENS1_38merge_sort_block_merge_config_selectorIjNS0_10empty_typeEEEZZNS1_27merge_sort_block_merge_implIS3_N6thrust23THRUST_200600_302600_NS6detail15normal_iteratorINS9_10device_ptrIjEEEEPS5_m11less_div_10IjEEE10hipError_tT0_T1_T2_jT3_P12ihipStream_tbPNSt15iterator_traitsISJ_E10value_typeEPNSP_ISK_E10value_typeEPSL_NS1_7vsmem_tEENKUlT_SJ_SK_SL_E_clISE_PjSF_SF_EESI_SY_SJ_SK_SL_EUlSY_E_NS1_11comp_targetILNS1_3genE2ELNS1_11target_archE906ELNS1_3gpuE6ELNS1_3repE0EEENS1_48merge_mergepath_partition_config_static_selectorELNS0_4arch9wavefront6targetE0EEEvSK_
	.p2align	8
	.type	_ZN7rocprim17ROCPRIM_400000_NS6detail17trampoline_kernelINS0_14default_configENS1_38merge_sort_block_merge_config_selectorIjNS0_10empty_typeEEEZZNS1_27merge_sort_block_merge_implIS3_N6thrust23THRUST_200600_302600_NS6detail15normal_iteratorINS9_10device_ptrIjEEEEPS5_m11less_div_10IjEEE10hipError_tT0_T1_T2_jT3_P12ihipStream_tbPNSt15iterator_traitsISJ_E10value_typeEPNSP_ISK_E10value_typeEPSL_NS1_7vsmem_tEENKUlT_SJ_SK_SL_E_clISE_PjSF_SF_EESI_SY_SJ_SK_SL_EUlSY_E_NS1_11comp_targetILNS1_3genE2ELNS1_11target_archE906ELNS1_3gpuE6ELNS1_3repE0EEENS1_48merge_mergepath_partition_config_static_selectorELNS0_4arch9wavefront6targetE0EEEvSK_,@function
_ZN7rocprim17ROCPRIM_400000_NS6detail17trampoline_kernelINS0_14default_configENS1_38merge_sort_block_merge_config_selectorIjNS0_10empty_typeEEEZZNS1_27merge_sort_block_merge_implIS3_N6thrust23THRUST_200600_302600_NS6detail15normal_iteratorINS9_10device_ptrIjEEEEPS5_m11less_div_10IjEEE10hipError_tT0_T1_T2_jT3_P12ihipStream_tbPNSt15iterator_traitsISJ_E10value_typeEPNSP_ISK_E10value_typeEPSL_NS1_7vsmem_tEENKUlT_SJ_SK_SL_E_clISE_PjSF_SF_EESI_SY_SJ_SK_SL_EUlSY_E_NS1_11comp_targetILNS1_3genE2ELNS1_11target_archE906ELNS1_3gpuE6ELNS1_3repE0EEENS1_48merge_mergepath_partition_config_static_selectorELNS0_4arch9wavefront6targetE0EEEvSK_: ; @_ZN7rocprim17ROCPRIM_400000_NS6detail17trampoline_kernelINS0_14default_configENS1_38merge_sort_block_merge_config_selectorIjNS0_10empty_typeEEEZZNS1_27merge_sort_block_merge_implIS3_N6thrust23THRUST_200600_302600_NS6detail15normal_iteratorINS9_10device_ptrIjEEEEPS5_m11less_div_10IjEEE10hipError_tT0_T1_T2_jT3_P12ihipStream_tbPNSt15iterator_traitsISJ_E10value_typeEPNSP_ISK_E10value_typeEPSL_NS1_7vsmem_tEENKUlT_SJ_SK_SL_E_clISE_PjSF_SF_EESI_SY_SJ_SK_SL_EUlSY_E_NS1_11comp_targetILNS1_3genE2ELNS1_11target_archE906ELNS1_3gpuE6ELNS1_3repE0EEENS1_48merge_mergepath_partition_config_static_selectorELNS0_4arch9wavefront6targetE0EEEvSK_
; %bb.0:
	.section	.rodata,"a",@progbits
	.p2align	6, 0x0
	.amdhsa_kernel _ZN7rocprim17ROCPRIM_400000_NS6detail17trampoline_kernelINS0_14default_configENS1_38merge_sort_block_merge_config_selectorIjNS0_10empty_typeEEEZZNS1_27merge_sort_block_merge_implIS3_N6thrust23THRUST_200600_302600_NS6detail15normal_iteratorINS9_10device_ptrIjEEEEPS5_m11less_div_10IjEEE10hipError_tT0_T1_T2_jT3_P12ihipStream_tbPNSt15iterator_traitsISJ_E10value_typeEPNSP_ISK_E10value_typeEPSL_NS1_7vsmem_tEENKUlT_SJ_SK_SL_E_clISE_PjSF_SF_EESI_SY_SJ_SK_SL_EUlSY_E_NS1_11comp_targetILNS1_3genE2ELNS1_11target_archE906ELNS1_3gpuE6ELNS1_3repE0EEENS1_48merge_mergepath_partition_config_static_selectorELNS0_4arch9wavefront6targetE0EEEvSK_
		.amdhsa_group_segment_fixed_size 0
		.amdhsa_private_segment_fixed_size 0
		.amdhsa_kernarg_size 48
		.amdhsa_user_sgpr_count 6
		.amdhsa_user_sgpr_private_segment_buffer 1
		.amdhsa_user_sgpr_dispatch_ptr 0
		.amdhsa_user_sgpr_queue_ptr 0
		.amdhsa_user_sgpr_kernarg_segment_ptr 1
		.amdhsa_user_sgpr_dispatch_id 0
		.amdhsa_user_sgpr_flat_scratch_init 0
		.amdhsa_user_sgpr_private_segment_size 0
		.amdhsa_wavefront_size32 1
		.amdhsa_uses_dynamic_stack 0
		.amdhsa_system_sgpr_private_segment_wavefront_offset 0
		.amdhsa_system_sgpr_workgroup_id_x 1
		.amdhsa_system_sgpr_workgroup_id_y 0
		.amdhsa_system_sgpr_workgroup_id_z 0
		.amdhsa_system_sgpr_workgroup_info 0
		.amdhsa_system_vgpr_workitem_id 0
		.amdhsa_next_free_vgpr 1
		.amdhsa_next_free_sgpr 1
		.amdhsa_reserve_vcc 0
		.amdhsa_reserve_flat_scratch 0
		.amdhsa_float_round_mode_32 0
		.amdhsa_float_round_mode_16_64 0
		.amdhsa_float_denorm_mode_32 3
		.amdhsa_float_denorm_mode_16_64 3
		.amdhsa_dx10_clamp 1
		.amdhsa_ieee_mode 1
		.amdhsa_fp16_overflow 0
		.amdhsa_workgroup_processor_mode 1
		.amdhsa_memory_ordered 1
		.amdhsa_forward_progress 1
		.amdhsa_shared_vgpr_count 0
		.amdhsa_exception_fp_ieee_invalid_op 0
		.amdhsa_exception_fp_denorm_src 0
		.amdhsa_exception_fp_ieee_div_zero 0
		.amdhsa_exception_fp_ieee_overflow 0
		.amdhsa_exception_fp_ieee_underflow 0
		.amdhsa_exception_fp_ieee_inexact 0
		.amdhsa_exception_int_div_zero 0
	.end_amdhsa_kernel
	.section	.text._ZN7rocprim17ROCPRIM_400000_NS6detail17trampoline_kernelINS0_14default_configENS1_38merge_sort_block_merge_config_selectorIjNS0_10empty_typeEEEZZNS1_27merge_sort_block_merge_implIS3_N6thrust23THRUST_200600_302600_NS6detail15normal_iteratorINS9_10device_ptrIjEEEEPS5_m11less_div_10IjEEE10hipError_tT0_T1_T2_jT3_P12ihipStream_tbPNSt15iterator_traitsISJ_E10value_typeEPNSP_ISK_E10value_typeEPSL_NS1_7vsmem_tEENKUlT_SJ_SK_SL_E_clISE_PjSF_SF_EESI_SY_SJ_SK_SL_EUlSY_E_NS1_11comp_targetILNS1_3genE2ELNS1_11target_archE906ELNS1_3gpuE6ELNS1_3repE0EEENS1_48merge_mergepath_partition_config_static_selectorELNS0_4arch9wavefront6targetE0EEEvSK_,"axG",@progbits,_ZN7rocprim17ROCPRIM_400000_NS6detail17trampoline_kernelINS0_14default_configENS1_38merge_sort_block_merge_config_selectorIjNS0_10empty_typeEEEZZNS1_27merge_sort_block_merge_implIS3_N6thrust23THRUST_200600_302600_NS6detail15normal_iteratorINS9_10device_ptrIjEEEEPS5_m11less_div_10IjEEE10hipError_tT0_T1_T2_jT3_P12ihipStream_tbPNSt15iterator_traitsISJ_E10value_typeEPNSP_ISK_E10value_typeEPSL_NS1_7vsmem_tEENKUlT_SJ_SK_SL_E_clISE_PjSF_SF_EESI_SY_SJ_SK_SL_EUlSY_E_NS1_11comp_targetILNS1_3genE2ELNS1_11target_archE906ELNS1_3gpuE6ELNS1_3repE0EEENS1_48merge_mergepath_partition_config_static_selectorELNS0_4arch9wavefront6targetE0EEEvSK_,comdat
.Lfunc_end176:
	.size	_ZN7rocprim17ROCPRIM_400000_NS6detail17trampoline_kernelINS0_14default_configENS1_38merge_sort_block_merge_config_selectorIjNS0_10empty_typeEEEZZNS1_27merge_sort_block_merge_implIS3_N6thrust23THRUST_200600_302600_NS6detail15normal_iteratorINS9_10device_ptrIjEEEEPS5_m11less_div_10IjEEE10hipError_tT0_T1_T2_jT3_P12ihipStream_tbPNSt15iterator_traitsISJ_E10value_typeEPNSP_ISK_E10value_typeEPSL_NS1_7vsmem_tEENKUlT_SJ_SK_SL_E_clISE_PjSF_SF_EESI_SY_SJ_SK_SL_EUlSY_E_NS1_11comp_targetILNS1_3genE2ELNS1_11target_archE906ELNS1_3gpuE6ELNS1_3repE0EEENS1_48merge_mergepath_partition_config_static_selectorELNS0_4arch9wavefront6targetE0EEEvSK_, .Lfunc_end176-_ZN7rocprim17ROCPRIM_400000_NS6detail17trampoline_kernelINS0_14default_configENS1_38merge_sort_block_merge_config_selectorIjNS0_10empty_typeEEEZZNS1_27merge_sort_block_merge_implIS3_N6thrust23THRUST_200600_302600_NS6detail15normal_iteratorINS9_10device_ptrIjEEEEPS5_m11less_div_10IjEEE10hipError_tT0_T1_T2_jT3_P12ihipStream_tbPNSt15iterator_traitsISJ_E10value_typeEPNSP_ISK_E10value_typeEPSL_NS1_7vsmem_tEENKUlT_SJ_SK_SL_E_clISE_PjSF_SF_EESI_SY_SJ_SK_SL_EUlSY_E_NS1_11comp_targetILNS1_3genE2ELNS1_11target_archE906ELNS1_3gpuE6ELNS1_3repE0EEENS1_48merge_mergepath_partition_config_static_selectorELNS0_4arch9wavefront6targetE0EEEvSK_
                                        ; -- End function
	.set _ZN7rocprim17ROCPRIM_400000_NS6detail17trampoline_kernelINS0_14default_configENS1_38merge_sort_block_merge_config_selectorIjNS0_10empty_typeEEEZZNS1_27merge_sort_block_merge_implIS3_N6thrust23THRUST_200600_302600_NS6detail15normal_iteratorINS9_10device_ptrIjEEEEPS5_m11less_div_10IjEEE10hipError_tT0_T1_T2_jT3_P12ihipStream_tbPNSt15iterator_traitsISJ_E10value_typeEPNSP_ISK_E10value_typeEPSL_NS1_7vsmem_tEENKUlT_SJ_SK_SL_E_clISE_PjSF_SF_EESI_SY_SJ_SK_SL_EUlSY_E_NS1_11comp_targetILNS1_3genE2ELNS1_11target_archE906ELNS1_3gpuE6ELNS1_3repE0EEENS1_48merge_mergepath_partition_config_static_selectorELNS0_4arch9wavefront6targetE0EEEvSK_.num_vgpr, 0
	.set _ZN7rocprim17ROCPRIM_400000_NS6detail17trampoline_kernelINS0_14default_configENS1_38merge_sort_block_merge_config_selectorIjNS0_10empty_typeEEEZZNS1_27merge_sort_block_merge_implIS3_N6thrust23THRUST_200600_302600_NS6detail15normal_iteratorINS9_10device_ptrIjEEEEPS5_m11less_div_10IjEEE10hipError_tT0_T1_T2_jT3_P12ihipStream_tbPNSt15iterator_traitsISJ_E10value_typeEPNSP_ISK_E10value_typeEPSL_NS1_7vsmem_tEENKUlT_SJ_SK_SL_E_clISE_PjSF_SF_EESI_SY_SJ_SK_SL_EUlSY_E_NS1_11comp_targetILNS1_3genE2ELNS1_11target_archE906ELNS1_3gpuE6ELNS1_3repE0EEENS1_48merge_mergepath_partition_config_static_selectorELNS0_4arch9wavefront6targetE0EEEvSK_.num_agpr, 0
	.set _ZN7rocprim17ROCPRIM_400000_NS6detail17trampoline_kernelINS0_14default_configENS1_38merge_sort_block_merge_config_selectorIjNS0_10empty_typeEEEZZNS1_27merge_sort_block_merge_implIS3_N6thrust23THRUST_200600_302600_NS6detail15normal_iteratorINS9_10device_ptrIjEEEEPS5_m11less_div_10IjEEE10hipError_tT0_T1_T2_jT3_P12ihipStream_tbPNSt15iterator_traitsISJ_E10value_typeEPNSP_ISK_E10value_typeEPSL_NS1_7vsmem_tEENKUlT_SJ_SK_SL_E_clISE_PjSF_SF_EESI_SY_SJ_SK_SL_EUlSY_E_NS1_11comp_targetILNS1_3genE2ELNS1_11target_archE906ELNS1_3gpuE6ELNS1_3repE0EEENS1_48merge_mergepath_partition_config_static_selectorELNS0_4arch9wavefront6targetE0EEEvSK_.numbered_sgpr, 0
	.set _ZN7rocprim17ROCPRIM_400000_NS6detail17trampoline_kernelINS0_14default_configENS1_38merge_sort_block_merge_config_selectorIjNS0_10empty_typeEEEZZNS1_27merge_sort_block_merge_implIS3_N6thrust23THRUST_200600_302600_NS6detail15normal_iteratorINS9_10device_ptrIjEEEEPS5_m11less_div_10IjEEE10hipError_tT0_T1_T2_jT3_P12ihipStream_tbPNSt15iterator_traitsISJ_E10value_typeEPNSP_ISK_E10value_typeEPSL_NS1_7vsmem_tEENKUlT_SJ_SK_SL_E_clISE_PjSF_SF_EESI_SY_SJ_SK_SL_EUlSY_E_NS1_11comp_targetILNS1_3genE2ELNS1_11target_archE906ELNS1_3gpuE6ELNS1_3repE0EEENS1_48merge_mergepath_partition_config_static_selectorELNS0_4arch9wavefront6targetE0EEEvSK_.num_named_barrier, 0
	.set _ZN7rocprim17ROCPRIM_400000_NS6detail17trampoline_kernelINS0_14default_configENS1_38merge_sort_block_merge_config_selectorIjNS0_10empty_typeEEEZZNS1_27merge_sort_block_merge_implIS3_N6thrust23THRUST_200600_302600_NS6detail15normal_iteratorINS9_10device_ptrIjEEEEPS5_m11less_div_10IjEEE10hipError_tT0_T1_T2_jT3_P12ihipStream_tbPNSt15iterator_traitsISJ_E10value_typeEPNSP_ISK_E10value_typeEPSL_NS1_7vsmem_tEENKUlT_SJ_SK_SL_E_clISE_PjSF_SF_EESI_SY_SJ_SK_SL_EUlSY_E_NS1_11comp_targetILNS1_3genE2ELNS1_11target_archE906ELNS1_3gpuE6ELNS1_3repE0EEENS1_48merge_mergepath_partition_config_static_selectorELNS0_4arch9wavefront6targetE0EEEvSK_.private_seg_size, 0
	.set _ZN7rocprim17ROCPRIM_400000_NS6detail17trampoline_kernelINS0_14default_configENS1_38merge_sort_block_merge_config_selectorIjNS0_10empty_typeEEEZZNS1_27merge_sort_block_merge_implIS3_N6thrust23THRUST_200600_302600_NS6detail15normal_iteratorINS9_10device_ptrIjEEEEPS5_m11less_div_10IjEEE10hipError_tT0_T1_T2_jT3_P12ihipStream_tbPNSt15iterator_traitsISJ_E10value_typeEPNSP_ISK_E10value_typeEPSL_NS1_7vsmem_tEENKUlT_SJ_SK_SL_E_clISE_PjSF_SF_EESI_SY_SJ_SK_SL_EUlSY_E_NS1_11comp_targetILNS1_3genE2ELNS1_11target_archE906ELNS1_3gpuE6ELNS1_3repE0EEENS1_48merge_mergepath_partition_config_static_selectorELNS0_4arch9wavefront6targetE0EEEvSK_.uses_vcc, 0
	.set _ZN7rocprim17ROCPRIM_400000_NS6detail17trampoline_kernelINS0_14default_configENS1_38merge_sort_block_merge_config_selectorIjNS0_10empty_typeEEEZZNS1_27merge_sort_block_merge_implIS3_N6thrust23THRUST_200600_302600_NS6detail15normal_iteratorINS9_10device_ptrIjEEEEPS5_m11less_div_10IjEEE10hipError_tT0_T1_T2_jT3_P12ihipStream_tbPNSt15iterator_traitsISJ_E10value_typeEPNSP_ISK_E10value_typeEPSL_NS1_7vsmem_tEENKUlT_SJ_SK_SL_E_clISE_PjSF_SF_EESI_SY_SJ_SK_SL_EUlSY_E_NS1_11comp_targetILNS1_3genE2ELNS1_11target_archE906ELNS1_3gpuE6ELNS1_3repE0EEENS1_48merge_mergepath_partition_config_static_selectorELNS0_4arch9wavefront6targetE0EEEvSK_.uses_flat_scratch, 0
	.set _ZN7rocprim17ROCPRIM_400000_NS6detail17trampoline_kernelINS0_14default_configENS1_38merge_sort_block_merge_config_selectorIjNS0_10empty_typeEEEZZNS1_27merge_sort_block_merge_implIS3_N6thrust23THRUST_200600_302600_NS6detail15normal_iteratorINS9_10device_ptrIjEEEEPS5_m11less_div_10IjEEE10hipError_tT0_T1_T2_jT3_P12ihipStream_tbPNSt15iterator_traitsISJ_E10value_typeEPNSP_ISK_E10value_typeEPSL_NS1_7vsmem_tEENKUlT_SJ_SK_SL_E_clISE_PjSF_SF_EESI_SY_SJ_SK_SL_EUlSY_E_NS1_11comp_targetILNS1_3genE2ELNS1_11target_archE906ELNS1_3gpuE6ELNS1_3repE0EEENS1_48merge_mergepath_partition_config_static_selectorELNS0_4arch9wavefront6targetE0EEEvSK_.has_dyn_sized_stack, 0
	.set _ZN7rocprim17ROCPRIM_400000_NS6detail17trampoline_kernelINS0_14default_configENS1_38merge_sort_block_merge_config_selectorIjNS0_10empty_typeEEEZZNS1_27merge_sort_block_merge_implIS3_N6thrust23THRUST_200600_302600_NS6detail15normal_iteratorINS9_10device_ptrIjEEEEPS5_m11less_div_10IjEEE10hipError_tT0_T1_T2_jT3_P12ihipStream_tbPNSt15iterator_traitsISJ_E10value_typeEPNSP_ISK_E10value_typeEPSL_NS1_7vsmem_tEENKUlT_SJ_SK_SL_E_clISE_PjSF_SF_EESI_SY_SJ_SK_SL_EUlSY_E_NS1_11comp_targetILNS1_3genE2ELNS1_11target_archE906ELNS1_3gpuE6ELNS1_3repE0EEENS1_48merge_mergepath_partition_config_static_selectorELNS0_4arch9wavefront6targetE0EEEvSK_.has_recursion, 0
	.set _ZN7rocprim17ROCPRIM_400000_NS6detail17trampoline_kernelINS0_14default_configENS1_38merge_sort_block_merge_config_selectorIjNS0_10empty_typeEEEZZNS1_27merge_sort_block_merge_implIS3_N6thrust23THRUST_200600_302600_NS6detail15normal_iteratorINS9_10device_ptrIjEEEEPS5_m11less_div_10IjEEE10hipError_tT0_T1_T2_jT3_P12ihipStream_tbPNSt15iterator_traitsISJ_E10value_typeEPNSP_ISK_E10value_typeEPSL_NS1_7vsmem_tEENKUlT_SJ_SK_SL_E_clISE_PjSF_SF_EESI_SY_SJ_SK_SL_EUlSY_E_NS1_11comp_targetILNS1_3genE2ELNS1_11target_archE906ELNS1_3gpuE6ELNS1_3repE0EEENS1_48merge_mergepath_partition_config_static_selectorELNS0_4arch9wavefront6targetE0EEEvSK_.has_indirect_call, 0
	.section	.AMDGPU.csdata,"",@progbits
; Kernel info:
; codeLenInByte = 0
; TotalNumSgprs: 0
; NumVgprs: 0
; ScratchSize: 0
; MemoryBound: 0
; FloatMode: 240
; IeeeMode: 1
; LDSByteSize: 0 bytes/workgroup (compile time only)
; SGPRBlocks: 0
; VGPRBlocks: 0
; NumSGPRsForWavesPerEU: 1
; NumVGPRsForWavesPerEU: 1
; Occupancy: 16
; WaveLimiterHint : 0
; COMPUTE_PGM_RSRC2:SCRATCH_EN: 0
; COMPUTE_PGM_RSRC2:USER_SGPR: 6
; COMPUTE_PGM_RSRC2:TRAP_HANDLER: 0
; COMPUTE_PGM_RSRC2:TGID_X_EN: 1
; COMPUTE_PGM_RSRC2:TGID_Y_EN: 0
; COMPUTE_PGM_RSRC2:TGID_Z_EN: 0
; COMPUTE_PGM_RSRC2:TIDIG_COMP_CNT: 0
	.section	.text._ZN7rocprim17ROCPRIM_400000_NS6detail17trampoline_kernelINS0_14default_configENS1_38merge_sort_block_merge_config_selectorIjNS0_10empty_typeEEEZZNS1_27merge_sort_block_merge_implIS3_N6thrust23THRUST_200600_302600_NS6detail15normal_iteratorINS9_10device_ptrIjEEEEPS5_m11less_div_10IjEEE10hipError_tT0_T1_T2_jT3_P12ihipStream_tbPNSt15iterator_traitsISJ_E10value_typeEPNSP_ISK_E10value_typeEPSL_NS1_7vsmem_tEENKUlT_SJ_SK_SL_E_clISE_PjSF_SF_EESI_SY_SJ_SK_SL_EUlSY_E_NS1_11comp_targetILNS1_3genE9ELNS1_11target_archE1100ELNS1_3gpuE3ELNS1_3repE0EEENS1_48merge_mergepath_partition_config_static_selectorELNS0_4arch9wavefront6targetE0EEEvSK_,"axG",@progbits,_ZN7rocprim17ROCPRIM_400000_NS6detail17trampoline_kernelINS0_14default_configENS1_38merge_sort_block_merge_config_selectorIjNS0_10empty_typeEEEZZNS1_27merge_sort_block_merge_implIS3_N6thrust23THRUST_200600_302600_NS6detail15normal_iteratorINS9_10device_ptrIjEEEEPS5_m11less_div_10IjEEE10hipError_tT0_T1_T2_jT3_P12ihipStream_tbPNSt15iterator_traitsISJ_E10value_typeEPNSP_ISK_E10value_typeEPSL_NS1_7vsmem_tEENKUlT_SJ_SK_SL_E_clISE_PjSF_SF_EESI_SY_SJ_SK_SL_EUlSY_E_NS1_11comp_targetILNS1_3genE9ELNS1_11target_archE1100ELNS1_3gpuE3ELNS1_3repE0EEENS1_48merge_mergepath_partition_config_static_selectorELNS0_4arch9wavefront6targetE0EEEvSK_,comdat
	.protected	_ZN7rocprim17ROCPRIM_400000_NS6detail17trampoline_kernelINS0_14default_configENS1_38merge_sort_block_merge_config_selectorIjNS0_10empty_typeEEEZZNS1_27merge_sort_block_merge_implIS3_N6thrust23THRUST_200600_302600_NS6detail15normal_iteratorINS9_10device_ptrIjEEEEPS5_m11less_div_10IjEEE10hipError_tT0_T1_T2_jT3_P12ihipStream_tbPNSt15iterator_traitsISJ_E10value_typeEPNSP_ISK_E10value_typeEPSL_NS1_7vsmem_tEENKUlT_SJ_SK_SL_E_clISE_PjSF_SF_EESI_SY_SJ_SK_SL_EUlSY_E_NS1_11comp_targetILNS1_3genE9ELNS1_11target_archE1100ELNS1_3gpuE3ELNS1_3repE0EEENS1_48merge_mergepath_partition_config_static_selectorELNS0_4arch9wavefront6targetE0EEEvSK_ ; -- Begin function _ZN7rocprim17ROCPRIM_400000_NS6detail17trampoline_kernelINS0_14default_configENS1_38merge_sort_block_merge_config_selectorIjNS0_10empty_typeEEEZZNS1_27merge_sort_block_merge_implIS3_N6thrust23THRUST_200600_302600_NS6detail15normal_iteratorINS9_10device_ptrIjEEEEPS5_m11less_div_10IjEEE10hipError_tT0_T1_T2_jT3_P12ihipStream_tbPNSt15iterator_traitsISJ_E10value_typeEPNSP_ISK_E10value_typeEPSL_NS1_7vsmem_tEENKUlT_SJ_SK_SL_E_clISE_PjSF_SF_EESI_SY_SJ_SK_SL_EUlSY_E_NS1_11comp_targetILNS1_3genE9ELNS1_11target_archE1100ELNS1_3gpuE3ELNS1_3repE0EEENS1_48merge_mergepath_partition_config_static_selectorELNS0_4arch9wavefront6targetE0EEEvSK_
	.globl	_ZN7rocprim17ROCPRIM_400000_NS6detail17trampoline_kernelINS0_14default_configENS1_38merge_sort_block_merge_config_selectorIjNS0_10empty_typeEEEZZNS1_27merge_sort_block_merge_implIS3_N6thrust23THRUST_200600_302600_NS6detail15normal_iteratorINS9_10device_ptrIjEEEEPS5_m11less_div_10IjEEE10hipError_tT0_T1_T2_jT3_P12ihipStream_tbPNSt15iterator_traitsISJ_E10value_typeEPNSP_ISK_E10value_typeEPSL_NS1_7vsmem_tEENKUlT_SJ_SK_SL_E_clISE_PjSF_SF_EESI_SY_SJ_SK_SL_EUlSY_E_NS1_11comp_targetILNS1_3genE9ELNS1_11target_archE1100ELNS1_3gpuE3ELNS1_3repE0EEENS1_48merge_mergepath_partition_config_static_selectorELNS0_4arch9wavefront6targetE0EEEvSK_
	.p2align	8
	.type	_ZN7rocprim17ROCPRIM_400000_NS6detail17trampoline_kernelINS0_14default_configENS1_38merge_sort_block_merge_config_selectorIjNS0_10empty_typeEEEZZNS1_27merge_sort_block_merge_implIS3_N6thrust23THRUST_200600_302600_NS6detail15normal_iteratorINS9_10device_ptrIjEEEEPS5_m11less_div_10IjEEE10hipError_tT0_T1_T2_jT3_P12ihipStream_tbPNSt15iterator_traitsISJ_E10value_typeEPNSP_ISK_E10value_typeEPSL_NS1_7vsmem_tEENKUlT_SJ_SK_SL_E_clISE_PjSF_SF_EESI_SY_SJ_SK_SL_EUlSY_E_NS1_11comp_targetILNS1_3genE9ELNS1_11target_archE1100ELNS1_3gpuE3ELNS1_3repE0EEENS1_48merge_mergepath_partition_config_static_selectorELNS0_4arch9wavefront6targetE0EEEvSK_,@function
_ZN7rocprim17ROCPRIM_400000_NS6detail17trampoline_kernelINS0_14default_configENS1_38merge_sort_block_merge_config_selectorIjNS0_10empty_typeEEEZZNS1_27merge_sort_block_merge_implIS3_N6thrust23THRUST_200600_302600_NS6detail15normal_iteratorINS9_10device_ptrIjEEEEPS5_m11less_div_10IjEEE10hipError_tT0_T1_T2_jT3_P12ihipStream_tbPNSt15iterator_traitsISJ_E10value_typeEPNSP_ISK_E10value_typeEPSL_NS1_7vsmem_tEENKUlT_SJ_SK_SL_E_clISE_PjSF_SF_EESI_SY_SJ_SK_SL_EUlSY_E_NS1_11comp_targetILNS1_3genE9ELNS1_11target_archE1100ELNS1_3gpuE3ELNS1_3repE0EEENS1_48merge_mergepath_partition_config_static_selectorELNS0_4arch9wavefront6targetE0EEEvSK_: ; @_ZN7rocprim17ROCPRIM_400000_NS6detail17trampoline_kernelINS0_14default_configENS1_38merge_sort_block_merge_config_selectorIjNS0_10empty_typeEEEZZNS1_27merge_sort_block_merge_implIS3_N6thrust23THRUST_200600_302600_NS6detail15normal_iteratorINS9_10device_ptrIjEEEEPS5_m11less_div_10IjEEE10hipError_tT0_T1_T2_jT3_P12ihipStream_tbPNSt15iterator_traitsISJ_E10value_typeEPNSP_ISK_E10value_typeEPSL_NS1_7vsmem_tEENKUlT_SJ_SK_SL_E_clISE_PjSF_SF_EESI_SY_SJ_SK_SL_EUlSY_E_NS1_11comp_targetILNS1_3genE9ELNS1_11target_archE1100ELNS1_3gpuE3ELNS1_3repE0EEENS1_48merge_mergepath_partition_config_static_selectorELNS0_4arch9wavefront6targetE0EEEvSK_
; %bb.0:
	.section	.rodata,"a",@progbits
	.p2align	6, 0x0
	.amdhsa_kernel _ZN7rocprim17ROCPRIM_400000_NS6detail17trampoline_kernelINS0_14default_configENS1_38merge_sort_block_merge_config_selectorIjNS0_10empty_typeEEEZZNS1_27merge_sort_block_merge_implIS3_N6thrust23THRUST_200600_302600_NS6detail15normal_iteratorINS9_10device_ptrIjEEEEPS5_m11less_div_10IjEEE10hipError_tT0_T1_T2_jT3_P12ihipStream_tbPNSt15iterator_traitsISJ_E10value_typeEPNSP_ISK_E10value_typeEPSL_NS1_7vsmem_tEENKUlT_SJ_SK_SL_E_clISE_PjSF_SF_EESI_SY_SJ_SK_SL_EUlSY_E_NS1_11comp_targetILNS1_3genE9ELNS1_11target_archE1100ELNS1_3gpuE3ELNS1_3repE0EEENS1_48merge_mergepath_partition_config_static_selectorELNS0_4arch9wavefront6targetE0EEEvSK_
		.amdhsa_group_segment_fixed_size 0
		.amdhsa_private_segment_fixed_size 0
		.amdhsa_kernarg_size 48
		.amdhsa_user_sgpr_count 6
		.amdhsa_user_sgpr_private_segment_buffer 1
		.amdhsa_user_sgpr_dispatch_ptr 0
		.amdhsa_user_sgpr_queue_ptr 0
		.amdhsa_user_sgpr_kernarg_segment_ptr 1
		.amdhsa_user_sgpr_dispatch_id 0
		.amdhsa_user_sgpr_flat_scratch_init 0
		.amdhsa_user_sgpr_private_segment_size 0
		.amdhsa_wavefront_size32 1
		.amdhsa_uses_dynamic_stack 0
		.amdhsa_system_sgpr_private_segment_wavefront_offset 0
		.amdhsa_system_sgpr_workgroup_id_x 1
		.amdhsa_system_sgpr_workgroup_id_y 0
		.amdhsa_system_sgpr_workgroup_id_z 0
		.amdhsa_system_sgpr_workgroup_info 0
		.amdhsa_system_vgpr_workitem_id 0
		.amdhsa_next_free_vgpr 1
		.amdhsa_next_free_sgpr 1
		.amdhsa_reserve_vcc 0
		.amdhsa_reserve_flat_scratch 0
		.amdhsa_float_round_mode_32 0
		.amdhsa_float_round_mode_16_64 0
		.amdhsa_float_denorm_mode_32 3
		.amdhsa_float_denorm_mode_16_64 3
		.amdhsa_dx10_clamp 1
		.amdhsa_ieee_mode 1
		.amdhsa_fp16_overflow 0
		.amdhsa_workgroup_processor_mode 1
		.amdhsa_memory_ordered 1
		.amdhsa_forward_progress 1
		.amdhsa_shared_vgpr_count 0
		.amdhsa_exception_fp_ieee_invalid_op 0
		.amdhsa_exception_fp_denorm_src 0
		.amdhsa_exception_fp_ieee_div_zero 0
		.amdhsa_exception_fp_ieee_overflow 0
		.amdhsa_exception_fp_ieee_underflow 0
		.amdhsa_exception_fp_ieee_inexact 0
		.amdhsa_exception_int_div_zero 0
	.end_amdhsa_kernel
	.section	.text._ZN7rocprim17ROCPRIM_400000_NS6detail17trampoline_kernelINS0_14default_configENS1_38merge_sort_block_merge_config_selectorIjNS0_10empty_typeEEEZZNS1_27merge_sort_block_merge_implIS3_N6thrust23THRUST_200600_302600_NS6detail15normal_iteratorINS9_10device_ptrIjEEEEPS5_m11less_div_10IjEEE10hipError_tT0_T1_T2_jT3_P12ihipStream_tbPNSt15iterator_traitsISJ_E10value_typeEPNSP_ISK_E10value_typeEPSL_NS1_7vsmem_tEENKUlT_SJ_SK_SL_E_clISE_PjSF_SF_EESI_SY_SJ_SK_SL_EUlSY_E_NS1_11comp_targetILNS1_3genE9ELNS1_11target_archE1100ELNS1_3gpuE3ELNS1_3repE0EEENS1_48merge_mergepath_partition_config_static_selectorELNS0_4arch9wavefront6targetE0EEEvSK_,"axG",@progbits,_ZN7rocprim17ROCPRIM_400000_NS6detail17trampoline_kernelINS0_14default_configENS1_38merge_sort_block_merge_config_selectorIjNS0_10empty_typeEEEZZNS1_27merge_sort_block_merge_implIS3_N6thrust23THRUST_200600_302600_NS6detail15normal_iteratorINS9_10device_ptrIjEEEEPS5_m11less_div_10IjEEE10hipError_tT0_T1_T2_jT3_P12ihipStream_tbPNSt15iterator_traitsISJ_E10value_typeEPNSP_ISK_E10value_typeEPSL_NS1_7vsmem_tEENKUlT_SJ_SK_SL_E_clISE_PjSF_SF_EESI_SY_SJ_SK_SL_EUlSY_E_NS1_11comp_targetILNS1_3genE9ELNS1_11target_archE1100ELNS1_3gpuE3ELNS1_3repE0EEENS1_48merge_mergepath_partition_config_static_selectorELNS0_4arch9wavefront6targetE0EEEvSK_,comdat
.Lfunc_end177:
	.size	_ZN7rocprim17ROCPRIM_400000_NS6detail17trampoline_kernelINS0_14default_configENS1_38merge_sort_block_merge_config_selectorIjNS0_10empty_typeEEEZZNS1_27merge_sort_block_merge_implIS3_N6thrust23THRUST_200600_302600_NS6detail15normal_iteratorINS9_10device_ptrIjEEEEPS5_m11less_div_10IjEEE10hipError_tT0_T1_T2_jT3_P12ihipStream_tbPNSt15iterator_traitsISJ_E10value_typeEPNSP_ISK_E10value_typeEPSL_NS1_7vsmem_tEENKUlT_SJ_SK_SL_E_clISE_PjSF_SF_EESI_SY_SJ_SK_SL_EUlSY_E_NS1_11comp_targetILNS1_3genE9ELNS1_11target_archE1100ELNS1_3gpuE3ELNS1_3repE0EEENS1_48merge_mergepath_partition_config_static_selectorELNS0_4arch9wavefront6targetE0EEEvSK_, .Lfunc_end177-_ZN7rocprim17ROCPRIM_400000_NS6detail17trampoline_kernelINS0_14default_configENS1_38merge_sort_block_merge_config_selectorIjNS0_10empty_typeEEEZZNS1_27merge_sort_block_merge_implIS3_N6thrust23THRUST_200600_302600_NS6detail15normal_iteratorINS9_10device_ptrIjEEEEPS5_m11less_div_10IjEEE10hipError_tT0_T1_T2_jT3_P12ihipStream_tbPNSt15iterator_traitsISJ_E10value_typeEPNSP_ISK_E10value_typeEPSL_NS1_7vsmem_tEENKUlT_SJ_SK_SL_E_clISE_PjSF_SF_EESI_SY_SJ_SK_SL_EUlSY_E_NS1_11comp_targetILNS1_3genE9ELNS1_11target_archE1100ELNS1_3gpuE3ELNS1_3repE0EEENS1_48merge_mergepath_partition_config_static_selectorELNS0_4arch9wavefront6targetE0EEEvSK_
                                        ; -- End function
	.set _ZN7rocprim17ROCPRIM_400000_NS6detail17trampoline_kernelINS0_14default_configENS1_38merge_sort_block_merge_config_selectorIjNS0_10empty_typeEEEZZNS1_27merge_sort_block_merge_implIS3_N6thrust23THRUST_200600_302600_NS6detail15normal_iteratorINS9_10device_ptrIjEEEEPS5_m11less_div_10IjEEE10hipError_tT0_T1_T2_jT3_P12ihipStream_tbPNSt15iterator_traitsISJ_E10value_typeEPNSP_ISK_E10value_typeEPSL_NS1_7vsmem_tEENKUlT_SJ_SK_SL_E_clISE_PjSF_SF_EESI_SY_SJ_SK_SL_EUlSY_E_NS1_11comp_targetILNS1_3genE9ELNS1_11target_archE1100ELNS1_3gpuE3ELNS1_3repE0EEENS1_48merge_mergepath_partition_config_static_selectorELNS0_4arch9wavefront6targetE0EEEvSK_.num_vgpr, 0
	.set _ZN7rocprim17ROCPRIM_400000_NS6detail17trampoline_kernelINS0_14default_configENS1_38merge_sort_block_merge_config_selectorIjNS0_10empty_typeEEEZZNS1_27merge_sort_block_merge_implIS3_N6thrust23THRUST_200600_302600_NS6detail15normal_iteratorINS9_10device_ptrIjEEEEPS5_m11less_div_10IjEEE10hipError_tT0_T1_T2_jT3_P12ihipStream_tbPNSt15iterator_traitsISJ_E10value_typeEPNSP_ISK_E10value_typeEPSL_NS1_7vsmem_tEENKUlT_SJ_SK_SL_E_clISE_PjSF_SF_EESI_SY_SJ_SK_SL_EUlSY_E_NS1_11comp_targetILNS1_3genE9ELNS1_11target_archE1100ELNS1_3gpuE3ELNS1_3repE0EEENS1_48merge_mergepath_partition_config_static_selectorELNS0_4arch9wavefront6targetE0EEEvSK_.num_agpr, 0
	.set _ZN7rocprim17ROCPRIM_400000_NS6detail17trampoline_kernelINS0_14default_configENS1_38merge_sort_block_merge_config_selectorIjNS0_10empty_typeEEEZZNS1_27merge_sort_block_merge_implIS3_N6thrust23THRUST_200600_302600_NS6detail15normal_iteratorINS9_10device_ptrIjEEEEPS5_m11less_div_10IjEEE10hipError_tT0_T1_T2_jT3_P12ihipStream_tbPNSt15iterator_traitsISJ_E10value_typeEPNSP_ISK_E10value_typeEPSL_NS1_7vsmem_tEENKUlT_SJ_SK_SL_E_clISE_PjSF_SF_EESI_SY_SJ_SK_SL_EUlSY_E_NS1_11comp_targetILNS1_3genE9ELNS1_11target_archE1100ELNS1_3gpuE3ELNS1_3repE0EEENS1_48merge_mergepath_partition_config_static_selectorELNS0_4arch9wavefront6targetE0EEEvSK_.numbered_sgpr, 0
	.set _ZN7rocprim17ROCPRIM_400000_NS6detail17trampoline_kernelINS0_14default_configENS1_38merge_sort_block_merge_config_selectorIjNS0_10empty_typeEEEZZNS1_27merge_sort_block_merge_implIS3_N6thrust23THRUST_200600_302600_NS6detail15normal_iteratorINS9_10device_ptrIjEEEEPS5_m11less_div_10IjEEE10hipError_tT0_T1_T2_jT3_P12ihipStream_tbPNSt15iterator_traitsISJ_E10value_typeEPNSP_ISK_E10value_typeEPSL_NS1_7vsmem_tEENKUlT_SJ_SK_SL_E_clISE_PjSF_SF_EESI_SY_SJ_SK_SL_EUlSY_E_NS1_11comp_targetILNS1_3genE9ELNS1_11target_archE1100ELNS1_3gpuE3ELNS1_3repE0EEENS1_48merge_mergepath_partition_config_static_selectorELNS0_4arch9wavefront6targetE0EEEvSK_.num_named_barrier, 0
	.set _ZN7rocprim17ROCPRIM_400000_NS6detail17trampoline_kernelINS0_14default_configENS1_38merge_sort_block_merge_config_selectorIjNS0_10empty_typeEEEZZNS1_27merge_sort_block_merge_implIS3_N6thrust23THRUST_200600_302600_NS6detail15normal_iteratorINS9_10device_ptrIjEEEEPS5_m11less_div_10IjEEE10hipError_tT0_T1_T2_jT3_P12ihipStream_tbPNSt15iterator_traitsISJ_E10value_typeEPNSP_ISK_E10value_typeEPSL_NS1_7vsmem_tEENKUlT_SJ_SK_SL_E_clISE_PjSF_SF_EESI_SY_SJ_SK_SL_EUlSY_E_NS1_11comp_targetILNS1_3genE9ELNS1_11target_archE1100ELNS1_3gpuE3ELNS1_3repE0EEENS1_48merge_mergepath_partition_config_static_selectorELNS0_4arch9wavefront6targetE0EEEvSK_.private_seg_size, 0
	.set _ZN7rocprim17ROCPRIM_400000_NS6detail17trampoline_kernelINS0_14default_configENS1_38merge_sort_block_merge_config_selectorIjNS0_10empty_typeEEEZZNS1_27merge_sort_block_merge_implIS3_N6thrust23THRUST_200600_302600_NS6detail15normal_iteratorINS9_10device_ptrIjEEEEPS5_m11less_div_10IjEEE10hipError_tT0_T1_T2_jT3_P12ihipStream_tbPNSt15iterator_traitsISJ_E10value_typeEPNSP_ISK_E10value_typeEPSL_NS1_7vsmem_tEENKUlT_SJ_SK_SL_E_clISE_PjSF_SF_EESI_SY_SJ_SK_SL_EUlSY_E_NS1_11comp_targetILNS1_3genE9ELNS1_11target_archE1100ELNS1_3gpuE3ELNS1_3repE0EEENS1_48merge_mergepath_partition_config_static_selectorELNS0_4arch9wavefront6targetE0EEEvSK_.uses_vcc, 0
	.set _ZN7rocprim17ROCPRIM_400000_NS6detail17trampoline_kernelINS0_14default_configENS1_38merge_sort_block_merge_config_selectorIjNS0_10empty_typeEEEZZNS1_27merge_sort_block_merge_implIS3_N6thrust23THRUST_200600_302600_NS6detail15normal_iteratorINS9_10device_ptrIjEEEEPS5_m11less_div_10IjEEE10hipError_tT0_T1_T2_jT3_P12ihipStream_tbPNSt15iterator_traitsISJ_E10value_typeEPNSP_ISK_E10value_typeEPSL_NS1_7vsmem_tEENKUlT_SJ_SK_SL_E_clISE_PjSF_SF_EESI_SY_SJ_SK_SL_EUlSY_E_NS1_11comp_targetILNS1_3genE9ELNS1_11target_archE1100ELNS1_3gpuE3ELNS1_3repE0EEENS1_48merge_mergepath_partition_config_static_selectorELNS0_4arch9wavefront6targetE0EEEvSK_.uses_flat_scratch, 0
	.set _ZN7rocprim17ROCPRIM_400000_NS6detail17trampoline_kernelINS0_14default_configENS1_38merge_sort_block_merge_config_selectorIjNS0_10empty_typeEEEZZNS1_27merge_sort_block_merge_implIS3_N6thrust23THRUST_200600_302600_NS6detail15normal_iteratorINS9_10device_ptrIjEEEEPS5_m11less_div_10IjEEE10hipError_tT0_T1_T2_jT3_P12ihipStream_tbPNSt15iterator_traitsISJ_E10value_typeEPNSP_ISK_E10value_typeEPSL_NS1_7vsmem_tEENKUlT_SJ_SK_SL_E_clISE_PjSF_SF_EESI_SY_SJ_SK_SL_EUlSY_E_NS1_11comp_targetILNS1_3genE9ELNS1_11target_archE1100ELNS1_3gpuE3ELNS1_3repE0EEENS1_48merge_mergepath_partition_config_static_selectorELNS0_4arch9wavefront6targetE0EEEvSK_.has_dyn_sized_stack, 0
	.set _ZN7rocprim17ROCPRIM_400000_NS6detail17trampoline_kernelINS0_14default_configENS1_38merge_sort_block_merge_config_selectorIjNS0_10empty_typeEEEZZNS1_27merge_sort_block_merge_implIS3_N6thrust23THRUST_200600_302600_NS6detail15normal_iteratorINS9_10device_ptrIjEEEEPS5_m11less_div_10IjEEE10hipError_tT0_T1_T2_jT3_P12ihipStream_tbPNSt15iterator_traitsISJ_E10value_typeEPNSP_ISK_E10value_typeEPSL_NS1_7vsmem_tEENKUlT_SJ_SK_SL_E_clISE_PjSF_SF_EESI_SY_SJ_SK_SL_EUlSY_E_NS1_11comp_targetILNS1_3genE9ELNS1_11target_archE1100ELNS1_3gpuE3ELNS1_3repE0EEENS1_48merge_mergepath_partition_config_static_selectorELNS0_4arch9wavefront6targetE0EEEvSK_.has_recursion, 0
	.set _ZN7rocprim17ROCPRIM_400000_NS6detail17trampoline_kernelINS0_14default_configENS1_38merge_sort_block_merge_config_selectorIjNS0_10empty_typeEEEZZNS1_27merge_sort_block_merge_implIS3_N6thrust23THRUST_200600_302600_NS6detail15normal_iteratorINS9_10device_ptrIjEEEEPS5_m11less_div_10IjEEE10hipError_tT0_T1_T2_jT3_P12ihipStream_tbPNSt15iterator_traitsISJ_E10value_typeEPNSP_ISK_E10value_typeEPSL_NS1_7vsmem_tEENKUlT_SJ_SK_SL_E_clISE_PjSF_SF_EESI_SY_SJ_SK_SL_EUlSY_E_NS1_11comp_targetILNS1_3genE9ELNS1_11target_archE1100ELNS1_3gpuE3ELNS1_3repE0EEENS1_48merge_mergepath_partition_config_static_selectorELNS0_4arch9wavefront6targetE0EEEvSK_.has_indirect_call, 0
	.section	.AMDGPU.csdata,"",@progbits
; Kernel info:
; codeLenInByte = 0
; TotalNumSgprs: 0
; NumVgprs: 0
; ScratchSize: 0
; MemoryBound: 0
; FloatMode: 240
; IeeeMode: 1
; LDSByteSize: 0 bytes/workgroup (compile time only)
; SGPRBlocks: 0
; VGPRBlocks: 0
; NumSGPRsForWavesPerEU: 1
; NumVGPRsForWavesPerEU: 1
; Occupancy: 16
; WaveLimiterHint : 0
; COMPUTE_PGM_RSRC2:SCRATCH_EN: 0
; COMPUTE_PGM_RSRC2:USER_SGPR: 6
; COMPUTE_PGM_RSRC2:TRAP_HANDLER: 0
; COMPUTE_PGM_RSRC2:TGID_X_EN: 1
; COMPUTE_PGM_RSRC2:TGID_Y_EN: 0
; COMPUTE_PGM_RSRC2:TGID_Z_EN: 0
; COMPUTE_PGM_RSRC2:TIDIG_COMP_CNT: 0
	.section	.text._ZN7rocprim17ROCPRIM_400000_NS6detail17trampoline_kernelINS0_14default_configENS1_38merge_sort_block_merge_config_selectorIjNS0_10empty_typeEEEZZNS1_27merge_sort_block_merge_implIS3_N6thrust23THRUST_200600_302600_NS6detail15normal_iteratorINS9_10device_ptrIjEEEEPS5_m11less_div_10IjEEE10hipError_tT0_T1_T2_jT3_P12ihipStream_tbPNSt15iterator_traitsISJ_E10value_typeEPNSP_ISK_E10value_typeEPSL_NS1_7vsmem_tEENKUlT_SJ_SK_SL_E_clISE_PjSF_SF_EESI_SY_SJ_SK_SL_EUlSY_E_NS1_11comp_targetILNS1_3genE8ELNS1_11target_archE1030ELNS1_3gpuE2ELNS1_3repE0EEENS1_48merge_mergepath_partition_config_static_selectorELNS0_4arch9wavefront6targetE0EEEvSK_,"axG",@progbits,_ZN7rocprim17ROCPRIM_400000_NS6detail17trampoline_kernelINS0_14default_configENS1_38merge_sort_block_merge_config_selectorIjNS0_10empty_typeEEEZZNS1_27merge_sort_block_merge_implIS3_N6thrust23THRUST_200600_302600_NS6detail15normal_iteratorINS9_10device_ptrIjEEEEPS5_m11less_div_10IjEEE10hipError_tT0_T1_T2_jT3_P12ihipStream_tbPNSt15iterator_traitsISJ_E10value_typeEPNSP_ISK_E10value_typeEPSL_NS1_7vsmem_tEENKUlT_SJ_SK_SL_E_clISE_PjSF_SF_EESI_SY_SJ_SK_SL_EUlSY_E_NS1_11comp_targetILNS1_3genE8ELNS1_11target_archE1030ELNS1_3gpuE2ELNS1_3repE0EEENS1_48merge_mergepath_partition_config_static_selectorELNS0_4arch9wavefront6targetE0EEEvSK_,comdat
	.protected	_ZN7rocprim17ROCPRIM_400000_NS6detail17trampoline_kernelINS0_14default_configENS1_38merge_sort_block_merge_config_selectorIjNS0_10empty_typeEEEZZNS1_27merge_sort_block_merge_implIS3_N6thrust23THRUST_200600_302600_NS6detail15normal_iteratorINS9_10device_ptrIjEEEEPS5_m11less_div_10IjEEE10hipError_tT0_T1_T2_jT3_P12ihipStream_tbPNSt15iterator_traitsISJ_E10value_typeEPNSP_ISK_E10value_typeEPSL_NS1_7vsmem_tEENKUlT_SJ_SK_SL_E_clISE_PjSF_SF_EESI_SY_SJ_SK_SL_EUlSY_E_NS1_11comp_targetILNS1_3genE8ELNS1_11target_archE1030ELNS1_3gpuE2ELNS1_3repE0EEENS1_48merge_mergepath_partition_config_static_selectorELNS0_4arch9wavefront6targetE0EEEvSK_ ; -- Begin function _ZN7rocprim17ROCPRIM_400000_NS6detail17trampoline_kernelINS0_14default_configENS1_38merge_sort_block_merge_config_selectorIjNS0_10empty_typeEEEZZNS1_27merge_sort_block_merge_implIS3_N6thrust23THRUST_200600_302600_NS6detail15normal_iteratorINS9_10device_ptrIjEEEEPS5_m11less_div_10IjEEE10hipError_tT0_T1_T2_jT3_P12ihipStream_tbPNSt15iterator_traitsISJ_E10value_typeEPNSP_ISK_E10value_typeEPSL_NS1_7vsmem_tEENKUlT_SJ_SK_SL_E_clISE_PjSF_SF_EESI_SY_SJ_SK_SL_EUlSY_E_NS1_11comp_targetILNS1_3genE8ELNS1_11target_archE1030ELNS1_3gpuE2ELNS1_3repE0EEENS1_48merge_mergepath_partition_config_static_selectorELNS0_4arch9wavefront6targetE0EEEvSK_
	.globl	_ZN7rocprim17ROCPRIM_400000_NS6detail17trampoline_kernelINS0_14default_configENS1_38merge_sort_block_merge_config_selectorIjNS0_10empty_typeEEEZZNS1_27merge_sort_block_merge_implIS3_N6thrust23THRUST_200600_302600_NS6detail15normal_iteratorINS9_10device_ptrIjEEEEPS5_m11less_div_10IjEEE10hipError_tT0_T1_T2_jT3_P12ihipStream_tbPNSt15iterator_traitsISJ_E10value_typeEPNSP_ISK_E10value_typeEPSL_NS1_7vsmem_tEENKUlT_SJ_SK_SL_E_clISE_PjSF_SF_EESI_SY_SJ_SK_SL_EUlSY_E_NS1_11comp_targetILNS1_3genE8ELNS1_11target_archE1030ELNS1_3gpuE2ELNS1_3repE0EEENS1_48merge_mergepath_partition_config_static_selectorELNS0_4arch9wavefront6targetE0EEEvSK_
	.p2align	8
	.type	_ZN7rocprim17ROCPRIM_400000_NS6detail17trampoline_kernelINS0_14default_configENS1_38merge_sort_block_merge_config_selectorIjNS0_10empty_typeEEEZZNS1_27merge_sort_block_merge_implIS3_N6thrust23THRUST_200600_302600_NS6detail15normal_iteratorINS9_10device_ptrIjEEEEPS5_m11less_div_10IjEEE10hipError_tT0_T1_T2_jT3_P12ihipStream_tbPNSt15iterator_traitsISJ_E10value_typeEPNSP_ISK_E10value_typeEPSL_NS1_7vsmem_tEENKUlT_SJ_SK_SL_E_clISE_PjSF_SF_EESI_SY_SJ_SK_SL_EUlSY_E_NS1_11comp_targetILNS1_3genE8ELNS1_11target_archE1030ELNS1_3gpuE2ELNS1_3repE0EEENS1_48merge_mergepath_partition_config_static_selectorELNS0_4arch9wavefront6targetE0EEEvSK_,@function
_ZN7rocprim17ROCPRIM_400000_NS6detail17trampoline_kernelINS0_14default_configENS1_38merge_sort_block_merge_config_selectorIjNS0_10empty_typeEEEZZNS1_27merge_sort_block_merge_implIS3_N6thrust23THRUST_200600_302600_NS6detail15normal_iteratorINS9_10device_ptrIjEEEEPS5_m11less_div_10IjEEE10hipError_tT0_T1_T2_jT3_P12ihipStream_tbPNSt15iterator_traitsISJ_E10value_typeEPNSP_ISK_E10value_typeEPSL_NS1_7vsmem_tEENKUlT_SJ_SK_SL_E_clISE_PjSF_SF_EESI_SY_SJ_SK_SL_EUlSY_E_NS1_11comp_targetILNS1_3genE8ELNS1_11target_archE1030ELNS1_3gpuE2ELNS1_3repE0EEENS1_48merge_mergepath_partition_config_static_selectorELNS0_4arch9wavefront6targetE0EEEvSK_: ; @_ZN7rocprim17ROCPRIM_400000_NS6detail17trampoline_kernelINS0_14default_configENS1_38merge_sort_block_merge_config_selectorIjNS0_10empty_typeEEEZZNS1_27merge_sort_block_merge_implIS3_N6thrust23THRUST_200600_302600_NS6detail15normal_iteratorINS9_10device_ptrIjEEEEPS5_m11less_div_10IjEEE10hipError_tT0_T1_T2_jT3_P12ihipStream_tbPNSt15iterator_traitsISJ_E10value_typeEPNSP_ISK_E10value_typeEPSL_NS1_7vsmem_tEENKUlT_SJ_SK_SL_E_clISE_PjSF_SF_EESI_SY_SJ_SK_SL_EUlSY_E_NS1_11comp_targetILNS1_3genE8ELNS1_11target_archE1030ELNS1_3gpuE2ELNS1_3repE0EEENS1_48merge_mergepath_partition_config_static_selectorELNS0_4arch9wavefront6targetE0EEEvSK_
; %bb.0:
	s_load_dword s0, s[4:5], 0x0
	v_lshl_or_b32 v0, s6, 7, v0
	s_waitcnt lgkmcnt(0)
	v_cmp_gt_u32_e32 vcc_lo, s0, v0
	s_and_saveexec_b32 s0, vcc_lo
	s_cbranch_execz .LBB178_6
; %bb.1:
	s_load_dwordx4 s[0:3], s[4:5], 0x8
	v_mov_b32_e32 v2, 0
	v_mov_b32_e32 v11, v2
	s_waitcnt lgkmcnt(0)
	s_lshr_b64 s[6:7], s[0:1], 9
	s_and_b32 s6, s6, -2
	s_sub_i32 s7, 0, s6
	s_add_i32 s6, s6, -1
	v_and_b32_e32 v1, s7, v0
	v_and_b32_e32 v10, s6, v0
	v_lshlrev_b64 v[4:5], 10, v[1:2]
	v_add_co_u32 v6, vcc_lo, v4, s0
	v_add_co_ci_u32_e64 v7, null, s1, v5, vcc_lo
	v_cmp_lt_u64_e32 vcc_lo, s[2:3], v[6:7]
	v_cndmask_b32_e64 v8, v6, s2, vcc_lo
	v_cndmask_b32_e64 v9, v7, s3, vcc_lo
	v_add_co_u32 v6, vcc_lo, v8, s0
	v_add_co_ci_u32_e64 v7, null, s1, v9, vcc_lo
	v_cmp_lt_u64_e32 vcc_lo, s[2:3], v[4:5]
	s_mov_b32 s1, 0
	v_cmp_lt_u64_e64 s0, s[2:3], v[6:7]
	v_cndmask_b32_e64 v2, v4, s2, vcc_lo
	v_cndmask_b32_e64 v3, v5, s3, vcc_lo
	v_lshlrev_b64 v[4:5], 10, v[10:11]
	v_cndmask_b32_e64 v12, v6, s2, s0
	v_cndmask_b32_e64 v1, v7, s3, s0
	s_load_dwordx2 s[2:3], s[4:5], 0x28
	v_sub_co_u32 v6, vcc_lo, v12, v2
	v_sub_co_ci_u32_e64 v7, null, v1, v3, vcc_lo
	v_cmp_lt_u64_e32 vcc_lo, v[6:7], v[4:5]
	v_cndmask_b32_e32 v11, v5, v7, vcc_lo
	v_cndmask_b32_e32 v10, v4, v6, vcc_lo
	v_sub_co_u32 v4, vcc_lo, v8, v12
	v_sub_co_ci_u32_e64 v1, null, v9, v1, vcc_lo
	v_add_co_u32 v4, vcc_lo, v10, v4
	v_add_co_ci_u32_e64 v5, null, v11, v1, vcc_lo
	v_sub_co_u32 v6, vcc_lo, v8, v2
	v_sub_co_ci_u32_e64 v7, null, v9, v3, vcc_lo
	v_cmp_gt_u64_e32 vcc_lo, v[4:5], v[10:11]
	v_cmp_lt_u64_e64 s0, v[10:11], v[6:7]
	v_cndmask_b32_e64 v5, v5, 0, vcc_lo
	v_cndmask_b32_e64 v4, v4, 0, vcc_lo
	v_cndmask_b32_e64 v7, v7, v11, s0
	v_cndmask_b32_e64 v6, v6, v10, s0
	s_mov_b32 s0, exec_lo
	v_cmpx_lt_u64_e64 v[4:5], v[6:7]
	s_cbranch_execz .LBB178_5
; %bb.2:
	s_load_dwordx2 s[4:5], s[4:5], 0x18
	v_lshlrev_b64 v[8:9], 2, v[8:9]
	v_lshlrev_b64 v[12:13], 2, v[2:3]
	;; [unrolled: 1-line block ×3, first 2 shown]
	s_waitcnt lgkmcnt(0)
	v_add_co_u32 v14, vcc_lo, s4, v8
	v_add_co_ci_u32_e64 v15, null, s5, v9, vcc_lo
	v_add_co_u32 v1, vcc_lo, s4, v12
	v_add_co_ci_u32_e64 v8, null, s5, v13, vcc_lo
	;; [unrolled: 2-line block ×3, first 2 shown]
	s_inst_prefetch 0x1
	.p2align	6
.LBB178_3:                              ; =>This Inner Loop Header: Depth=1
	v_add_co_u32 v11, vcc_lo, v6, v4
	v_add_co_ci_u32_e64 v12, null, v7, v5, vcc_lo
	v_lshrrev_b64 v[11:12], 1, v[11:12]
	v_lshlrev_b64 v[13:14], 2, v[11:12]
	v_xor_b32_e32 v15, -4, v13
	v_xor_b32_e32 v16, -1, v14
	v_add_co_u32 v13, vcc_lo, v1, v13
	v_add_co_ci_u32_e64 v14, null, v8, v14, vcc_lo
	v_add_co_u32 v15, vcc_lo, v9, v15
	v_add_co_ci_u32_e64 v16, null, v10, v16, vcc_lo
	v_add_co_u32 v17, vcc_lo, v11, 1
	flat_load_dword v13, v[13:14]
	flat_load_dword v14, v[15:16]
	s_waitcnt vmcnt(1) lgkmcnt(1)
	v_mul_hi_i32 v13, 0x66666667, v13
	s_waitcnt vmcnt(0) lgkmcnt(0)
	v_mul_hi_i32 v14, 0x66666667, v14
	v_lshrrev_b32_e32 v15, 31, v13
	v_ashrrev_i32_e32 v13, 2, v13
	v_lshrrev_b32_e32 v16, 31, v14
	v_ashrrev_i32_e32 v14, 2, v14
	v_add_nc_u32_e32 v13, v13, v15
	v_add_co_ci_u32_e64 v15, null, 0, v12, vcc_lo
	v_add_nc_u32_e32 v14, v14, v16
	v_cmp_lt_i32_e32 vcc_lo, v14, v13
	v_cndmask_b32_e32 v7, v7, v12, vcc_lo
	v_cndmask_b32_e32 v6, v6, v11, vcc_lo
	;; [unrolled: 1-line block ×4, first 2 shown]
	v_cmp_ge_u64_e32 vcc_lo, v[4:5], v[6:7]
	s_or_b32 s1, vcc_lo, s1
	s_andn2_b32 exec_lo, exec_lo, s1
	s_cbranch_execnz .LBB178_3
; %bb.4:
	s_inst_prefetch 0x2
	s_or_b32 exec_lo, exec_lo, s1
.LBB178_5:
	s_or_b32 exec_lo, exec_lo, s0
	v_mov_b32_e32 v1, 0
	v_add_co_u32 v2, vcc_lo, v4, v2
	v_add_co_ci_u32_e64 v3, null, v5, v3, vcc_lo
	v_lshlrev_b64 v[0:1], 3, v[0:1]
	s_waitcnt lgkmcnt(0)
	v_add_co_u32 v0, vcc_lo, s2, v0
	v_add_co_ci_u32_e64 v1, null, s3, v1, vcc_lo
	global_store_dwordx2 v[0:1], v[2:3], off
.LBB178_6:
	s_endpgm
	.section	.rodata,"a",@progbits
	.p2align	6, 0x0
	.amdhsa_kernel _ZN7rocprim17ROCPRIM_400000_NS6detail17trampoline_kernelINS0_14default_configENS1_38merge_sort_block_merge_config_selectorIjNS0_10empty_typeEEEZZNS1_27merge_sort_block_merge_implIS3_N6thrust23THRUST_200600_302600_NS6detail15normal_iteratorINS9_10device_ptrIjEEEEPS5_m11less_div_10IjEEE10hipError_tT0_T1_T2_jT3_P12ihipStream_tbPNSt15iterator_traitsISJ_E10value_typeEPNSP_ISK_E10value_typeEPSL_NS1_7vsmem_tEENKUlT_SJ_SK_SL_E_clISE_PjSF_SF_EESI_SY_SJ_SK_SL_EUlSY_E_NS1_11comp_targetILNS1_3genE8ELNS1_11target_archE1030ELNS1_3gpuE2ELNS1_3repE0EEENS1_48merge_mergepath_partition_config_static_selectorELNS0_4arch9wavefront6targetE0EEEvSK_
		.amdhsa_group_segment_fixed_size 0
		.amdhsa_private_segment_fixed_size 0
		.amdhsa_kernarg_size 48
		.amdhsa_user_sgpr_count 6
		.amdhsa_user_sgpr_private_segment_buffer 1
		.amdhsa_user_sgpr_dispatch_ptr 0
		.amdhsa_user_sgpr_queue_ptr 0
		.amdhsa_user_sgpr_kernarg_segment_ptr 1
		.amdhsa_user_sgpr_dispatch_id 0
		.amdhsa_user_sgpr_flat_scratch_init 0
		.amdhsa_user_sgpr_private_segment_size 0
		.amdhsa_wavefront_size32 1
		.amdhsa_uses_dynamic_stack 0
		.amdhsa_system_sgpr_private_segment_wavefront_offset 0
		.amdhsa_system_sgpr_workgroup_id_x 1
		.amdhsa_system_sgpr_workgroup_id_y 0
		.amdhsa_system_sgpr_workgroup_id_z 0
		.amdhsa_system_sgpr_workgroup_info 0
		.amdhsa_system_vgpr_workitem_id 0
		.amdhsa_next_free_vgpr 18
		.amdhsa_next_free_sgpr 8
		.amdhsa_reserve_vcc 1
		.amdhsa_reserve_flat_scratch 0
		.amdhsa_float_round_mode_32 0
		.amdhsa_float_round_mode_16_64 0
		.amdhsa_float_denorm_mode_32 3
		.amdhsa_float_denorm_mode_16_64 3
		.amdhsa_dx10_clamp 1
		.amdhsa_ieee_mode 1
		.amdhsa_fp16_overflow 0
		.amdhsa_workgroup_processor_mode 1
		.amdhsa_memory_ordered 1
		.amdhsa_forward_progress 1
		.amdhsa_shared_vgpr_count 0
		.amdhsa_exception_fp_ieee_invalid_op 0
		.amdhsa_exception_fp_denorm_src 0
		.amdhsa_exception_fp_ieee_div_zero 0
		.amdhsa_exception_fp_ieee_overflow 0
		.amdhsa_exception_fp_ieee_underflow 0
		.amdhsa_exception_fp_ieee_inexact 0
		.amdhsa_exception_int_div_zero 0
	.end_amdhsa_kernel
	.section	.text._ZN7rocprim17ROCPRIM_400000_NS6detail17trampoline_kernelINS0_14default_configENS1_38merge_sort_block_merge_config_selectorIjNS0_10empty_typeEEEZZNS1_27merge_sort_block_merge_implIS3_N6thrust23THRUST_200600_302600_NS6detail15normal_iteratorINS9_10device_ptrIjEEEEPS5_m11less_div_10IjEEE10hipError_tT0_T1_T2_jT3_P12ihipStream_tbPNSt15iterator_traitsISJ_E10value_typeEPNSP_ISK_E10value_typeEPSL_NS1_7vsmem_tEENKUlT_SJ_SK_SL_E_clISE_PjSF_SF_EESI_SY_SJ_SK_SL_EUlSY_E_NS1_11comp_targetILNS1_3genE8ELNS1_11target_archE1030ELNS1_3gpuE2ELNS1_3repE0EEENS1_48merge_mergepath_partition_config_static_selectorELNS0_4arch9wavefront6targetE0EEEvSK_,"axG",@progbits,_ZN7rocprim17ROCPRIM_400000_NS6detail17trampoline_kernelINS0_14default_configENS1_38merge_sort_block_merge_config_selectorIjNS0_10empty_typeEEEZZNS1_27merge_sort_block_merge_implIS3_N6thrust23THRUST_200600_302600_NS6detail15normal_iteratorINS9_10device_ptrIjEEEEPS5_m11less_div_10IjEEE10hipError_tT0_T1_T2_jT3_P12ihipStream_tbPNSt15iterator_traitsISJ_E10value_typeEPNSP_ISK_E10value_typeEPSL_NS1_7vsmem_tEENKUlT_SJ_SK_SL_E_clISE_PjSF_SF_EESI_SY_SJ_SK_SL_EUlSY_E_NS1_11comp_targetILNS1_3genE8ELNS1_11target_archE1030ELNS1_3gpuE2ELNS1_3repE0EEENS1_48merge_mergepath_partition_config_static_selectorELNS0_4arch9wavefront6targetE0EEEvSK_,comdat
.Lfunc_end178:
	.size	_ZN7rocprim17ROCPRIM_400000_NS6detail17trampoline_kernelINS0_14default_configENS1_38merge_sort_block_merge_config_selectorIjNS0_10empty_typeEEEZZNS1_27merge_sort_block_merge_implIS3_N6thrust23THRUST_200600_302600_NS6detail15normal_iteratorINS9_10device_ptrIjEEEEPS5_m11less_div_10IjEEE10hipError_tT0_T1_T2_jT3_P12ihipStream_tbPNSt15iterator_traitsISJ_E10value_typeEPNSP_ISK_E10value_typeEPSL_NS1_7vsmem_tEENKUlT_SJ_SK_SL_E_clISE_PjSF_SF_EESI_SY_SJ_SK_SL_EUlSY_E_NS1_11comp_targetILNS1_3genE8ELNS1_11target_archE1030ELNS1_3gpuE2ELNS1_3repE0EEENS1_48merge_mergepath_partition_config_static_selectorELNS0_4arch9wavefront6targetE0EEEvSK_, .Lfunc_end178-_ZN7rocprim17ROCPRIM_400000_NS6detail17trampoline_kernelINS0_14default_configENS1_38merge_sort_block_merge_config_selectorIjNS0_10empty_typeEEEZZNS1_27merge_sort_block_merge_implIS3_N6thrust23THRUST_200600_302600_NS6detail15normal_iteratorINS9_10device_ptrIjEEEEPS5_m11less_div_10IjEEE10hipError_tT0_T1_T2_jT3_P12ihipStream_tbPNSt15iterator_traitsISJ_E10value_typeEPNSP_ISK_E10value_typeEPSL_NS1_7vsmem_tEENKUlT_SJ_SK_SL_E_clISE_PjSF_SF_EESI_SY_SJ_SK_SL_EUlSY_E_NS1_11comp_targetILNS1_3genE8ELNS1_11target_archE1030ELNS1_3gpuE2ELNS1_3repE0EEENS1_48merge_mergepath_partition_config_static_selectorELNS0_4arch9wavefront6targetE0EEEvSK_
                                        ; -- End function
	.set _ZN7rocprim17ROCPRIM_400000_NS6detail17trampoline_kernelINS0_14default_configENS1_38merge_sort_block_merge_config_selectorIjNS0_10empty_typeEEEZZNS1_27merge_sort_block_merge_implIS3_N6thrust23THRUST_200600_302600_NS6detail15normal_iteratorINS9_10device_ptrIjEEEEPS5_m11less_div_10IjEEE10hipError_tT0_T1_T2_jT3_P12ihipStream_tbPNSt15iterator_traitsISJ_E10value_typeEPNSP_ISK_E10value_typeEPSL_NS1_7vsmem_tEENKUlT_SJ_SK_SL_E_clISE_PjSF_SF_EESI_SY_SJ_SK_SL_EUlSY_E_NS1_11comp_targetILNS1_3genE8ELNS1_11target_archE1030ELNS1_3gpuE2ELNS1_3repE0EEENS1_48merge_mergepath_partition_config_static_selectorELNS0_4arch9wavefront6targetE0EEEvSK_.num_vgpr, 18
	.set _ZN7rocprim17ROCPRIM_400000_NS6detail17trampoline_kernelINS0_14default_configENS1_38merge_sort_block_merge_config_selectorIjNS0_10empty_typeEEEZZNS1_27merge_sort_block_merge_implIS3_N6thrust23THRUST_200600_302600_NS6detail15normal_iteratorINS9_10device_ptrIjEEEEPS5_m11less_div_10IjEEE10hipError_tT0_T1_T2_jT3_P12ihipStream_tbPNSt15iterator_traitsISJ_E10value_typeEPNSP_ISK_E10value_typeEPSL_NS1_7vsmem_tEENKUlT_SJ_SK_SL_E_clISE_PjSF_SF_EESI_SY_SJ_SK_SL_EUlSY_E_NS1_11comp_targetILNS1_3genE8ELNS1_11target_archE1030ELNS1_3gpuE2ELNS1_3repE0EEENS1_48merge_mergepath_partition_config_static_selectorELNS0_4arch9wavefront6targetE0EEEvSK_.num_agpr, 0
	.set _ZN7rocprim17ROCPRIM_400000_NS6detail17trampoline_kernelINS0_14default_configENS1_38merge_sort_block_merge_config_selectorIjNS0_10empty_typeEEEZZNS1_27merge_sort_block_merge_implIS3_N6thrust23THRUST_200600_302600_NS6detail15normal_iteratorINS9_10device_ptrIjEEEEPS5_m11less_div_10IjEEE10hipError_tT0_T1_T2_jT3_P12ihipStream_tbPNSt15iterator_traitsISJ_E10value_typeEPNSP_ISK_E10value_typeEPSL_NS1_7vsmem_tEENKUlT_SJ_SK_SL_E_clISE_PjSF_SF_EESI_SY_SJ_SK_SL_EUlSY_E_NS1_11comp_targetILNS1_3genE8ELNS1_11target_archE1030ELNS1_3gpuE2ELNS1_3repE0EEENS1_48merge_mergepath_partition_config_static_selectorELNS0_4arch9wavefront6targetE0EEEvSK_.numbered_sgpr, 8
	.set _ZN7rocprim17ROCPRIM_400000_NS6detail17trampoline_kernelINS0_14default_configENS1_38merge_sort_block_merge_config_selectorIjNS0_10empty_typeEEEZZNS1_27merge_sort_block_merge_implIS3_N6thrust23THRUST_200600_302600_NS6detail15normal_iteratorINS9_10device_ptrIjEEEEPS5_m11less_div_10IjEEE10hipError_tT0_T1_T2_jT3_P12ihipStream_tbPNSt15iterator_traitsISJ_E10value_typeEPNSP_ISK_E10value_typeEPSL_NS1_7vsmem_tEENKUlT_SJ_SK_SL_E_clISE_PjSF_SF_EESI_SY_SJ_SK_SL_EUlSY_E_NS1_11comp_targetILNS1_3genE8ELNS1_11target_archE1030ELNS1_3gpuE2ELNS1_3repE0EEENS1_48merge_mergepath_partition_config_static_selectorELNS0_4arch9wavefront6targetE0EEEvSK_.num_named_barrier, 0
	.set _ZN7rocprim17ROCPRIM_400000_NS6detail17trampoline_kernelINS0_14default_configENS1_38merge_sort_block_merge_config_selectorIjNS0_10empty_typeEEEZZNS1_27merge_sort_block_merge_implIS3_N6thrust23THRUST_200600_302600_NS6detail15normal_iteratorINS9_10device_ptrIjEEEEPS5_m11less_div_10IjEEE10hipError_tT0_T1_T2_jT3_P12ihipStream_tbPNSt15iterator_traitsISJ_E10value_typeEPNSP_ISK_E10value_typeEPSL_NS1_7vsmem_tEENKUlT_SJ_SK_SL_E_clISE_PjSF_SF_EESI_SY_SJ_SK_SL_EUlSY_E_NS1_11comp_targetILNS1_3genE8ELNS1_11target_archE1030ELNS1_3gpuE2ELNS1_3repE0EEENS1_48merge_mergepath_partition_config_static_selectorELNS0_4arch9wavefront6targetE0EEEvSK_.private_seg_size, 0
	.set _ZN7rocprim17ROCPRIM_400000_NS6detail17trampoline_kernelINS0_14default_configENS1_38merge_sort_block_merge_config_selectorIjNS0_10empty_typeEEEZZNS1_27merge_sort_block_merge_implIS3_N6thrust23THRUST_200600_302600_NS6detail15normal_iteratorINS9_10device_ptrIjEEEEPS5_m11less_div_10IjEEE10hipError_tT0_T1_T2_jT3_P12ihipStream_tbPNSt15iterator_traitsISJ_E10value_typeEPNSP_ISK_E10value_typeEPSL_NS1_7vsmem_tEENKUlT_SJ_SK_SL_E_clISE_PjSF_SF_EESI_SY_SJ_SK_SL_EUlSY_E_NS1_11comp_targetILNS1_3genE8ELNS1_11target_archE1030ELNS1_3gpuE2ELNS1_3repE0EEENS1_48merge_mergepath_partition_config_static_selectorELNS0_4arch9wavefront6targetE0EEEvSK_.uses_vcc, 1
	.set _ZN7rocprim17ROCPRIM_400000_NS6detail17trampoline_kernelINS0_14default_configENS1_38merge_sort_block_merge_config_selectorIjNS0_10empty_typeEEEZZNS1_27merge_sort_block_merge_implIS3_N6thrust23THRUST_200600_302600_NS6detail15normal_iteratorINS9_10device_ptrIjEEEEPS5_m11less_div_10IjEEE10hipError_tT0_T1_T2_jT3_P12ihipStream_tbPNSt15iterator_traitsISJ_E10value_typeEPNSP_ISK_E10value_typeEPSL_NS1_7vsmem_tEENKUlT_SJ_SK_SL_E_clISE_PjSF_SF_EESI_SY_SJ_SK_SL_EUlSY_E_NS1_11comp_targetILNS1_3genE8ELNS1_11target_archE1030ELNS1_3gpuE2ELNS1_3repE0EEENS1_48merge_mergepath_partition_config_static_selectorELNS0_4arch9wavefront6targetE0EEEvSK_.uses_flat_scratch, 0
	.set _ZN7rocprim17ROCPRIM_400000_NS6detail17trampoline_kernelINS0_14default_configENS1_38merge_sort_block_merge_config_selectorIjNS0_10empty_typeEEEZZNS1_27merge_sort_block_merge_implIS3_N6thrust23THRUST_200600_302600_NS6detail15normal_iteratorINS9_10device_ptrIjEEEEPS5_m11less_div_10IjEEE10hipError_tT0_T1_T2_jT3_P12ihipStream_tbPNSt15iterator_traitsISJ_E10value_typeEPNSP_ISK_E10value_typeEPSL_NS1_7vsmem_tEENKUlT_SJ_SK_SL_E_clISE_PjSF_SF_EESI_SY_SJ_SK_SL_EUlSY_E_NS1_11comp_targetILNS1_3genE8ELNS1_11target_archE1030ELNS1_3gpuE2ELNS1_3repE0EEENS1_48merge_mergepath_partition_config_static_selectorELNS0_4arch9wavefront6targetE0EEEvSK_.has_dyn_sized_stack, 0
	.set _ZN7rocprim17ROCPRIM_400000_NS6detail17trampoline_kernelINS0_14default_configENS1_38merge_sort_block_merge_config_selectorIjNS0_10empty_typeEEEZZNS1_27merge_sort_block_merge_implIS3_N6thrust23THRUST_200600_302600_NS6detail15normal_iteratorINS9_10device_ptrIjEEEEPS5_m11less_div_10IjEEE10hipError_tT0_T1_T2_jT3_P12ihipStream_tbPNSt15iterator_traitsISJ_E10value_typeEPNSP_ISK_E10value_typeEPSL_NS1_7vsmem_tEENKUlT_SJ_SK_SL_E_clISE_PjSF_SF_EESI_SY_SJ_SK_SL_EUlSY_E_NS1_11comp_targetILNS1_3genE8ELNS1_11target_archE1030ELNS1_3gpuE2ELNS1_3repE0EEENS1_48merge_mergepath_partition_config_static_selectorELNS0_4arch9wavefront6targetE0EEEvSK_.has_recursion, 0
	.set _ZN7rocprim17ROCPRIM_400000_NS6detail17trampoline_kernelINS0_14default_configENS1_38merge_sort_block_merge_config_selectorIjNS0_10empty_typeEEEZZNS1_27merge_sort_block_merge_implIS3_N6thrust23THRUST_200600_302600_NS6detail15normal_iteratorINS9_10device_ptrIjEEEEPS5_m11less_div_10IjEEE10hipError_tT0_T1_T2_jT3_P12ihipStream_tbPNSt15iterator_traitsISJ_E10value_typeEPNSP_ISK_E10value_typeEPSL_NS1_7vsmem_tEENKUlT_SJ_SK_SL_E_clISE_PjSF_SF_EESI_SY_SJ_SK_SL_EUlSY_E_NS1_11comp_targetILNS1_3genE8ELNS1_11target_archE1030ELNS1_3gpuE2ELNS1_3repE0EEENS1_48merge_mergepath_partition_config_static_selectorELNS0_4arch9wavefront6targetE0EEEvSK_.has_indirect_call, 0
	.section	.AMDGPU.csdata,"",@progbits
; Kernel info:
; codeLenInByte = 716
; TotalNumSgprs: 10
; NumVgprs: 18
; ScratchSize: 0
; MemoryBound: 0
; FloatMode: 240
; IeeeMode: 1
; LDSByteSize: 0 bytes/workgroup (compile time only)
; SGPRBlocks: 0
; VGPRBlocks: 2
; NumSGPRsForWavesPerEU: 10
; NumVGPRsForWavesPerEU: 18
; Occupancy: 16
; WaveLimiterHint : 0
; COMPUTE_PGM_RSRC2:SCRATCH_EN: 0
; COMPUTE_PGM_RSRC2:USER_SGPR: 6
; COMPUTE_PGM_RSRC2:TRAP_HANDLER: 0
; COMPUTE_PGM_RSRC2:TGID_X_EN: 1
; COMPUTE_PGM_RSRC2:TGID_Y_EN: 0
; COMPUTE_PGM_RSRC2:TGID_Z_EN: 0
; COMPUTE_PGM_RSRC2:TIDIG_COMP_CNT: 0
	.section	.text._ZN7rocprim17ROCPRIM_400000_NS6detail17trampoline_kernelINS0_14default_configENS1_38merge_sort_block_merge_config_selectorIjNS0_10empty_typeEEEZZNS1_27merge_sort_block_merge_implIS3_N6thrust23THRUST_200600_302600_NS6detail15normal_iteratorINS9_10device_ptrIjEEEEPS5_m11less_div_10IjEEE10hipError_tT0_T1_T2_jT3_P12ihipStream_tbPNSt15iterator_traitsISJ_E10value_typeEPNSP_ISK_E10value_typeEPSL_NS1_7vsmem_tEENKUlT_SJ_SK_SL_E_clISE_PjSF_SF_EESI_SY_SJ_SK_SL_EUlSY_E0_NS1_11comp_targetILNS1_3genE0ELNS1_11target_archE4294967295ELNS1_3gpuE0ELNS1_3repE0EEENS1_38merge_mergepath_config_static_selectorELNS0_4arch9wavefront6targetE0EEEvSK_,"axG",@progbits,_ZN7rocprim17ROCPRIM_400000_NS6detail17trampoline_kernelINS0_14default_configENS1_38merge_sort_block_merge_config_selectorIjNS0_10empty_typeEEEZZNS1_27merge_sort_block_merge_implIS3_N6thrust23THRUST_200600_302600_NS6detail15normal_iteratorINS9_10device_ptrIjEEEEPS5_m11less_div_10IjEEE10hipError_tT0_T1_T2_jT3_P12ihipStream_tbPNSt15iterator_traitsISJ_E10value_typeEPNSP_ISK_E10value_typeEPSL_NS1_7vsmem_tEENKUlT_SJ_SK_SL_E_clISE_PjSF_SF_EESI_SY_SJ_SK_SL_EUlSY_E0_NS1_11comp_targetILNS1_3genE0ELNS1_11target_archE4294967295ELNS1_3gpuE0ELNS1_3repE0EEENS1_38merge_mergepath_config_static_selectorELNS0_4arch9wavefront6targetE0EEEvSK_,comdat
	.protected	_ZN7rocprim17ROCPRIM_400000_NS6detail17trampoline_kernelINS0_14default_configENS1_38merge_sort_block_merge_config_selectorIjNS0_10empty_typeEEEZZNS1_27merge_sort_block_merge_implIS3_N6thrust23THRUST_200600_302600_NS6detail15normal_iteratorINS9_10device_ptrIjEEEEPS5_m11less_div_10IjEEE10hipError_tT0_T1_T2_jT3_P12ihipStream_tbPNSt15iterator_traitsISJ_E10value_typeEPNSP_ISK_E10value_typeEPSL_NS1_7vsmem_tEENKUlT_SJ_SK_SL_E_clISE_PjSF_SF_EESI_SY_SJ_SK_SL_EUlSY_E0_NS1_11comp_targetILNS1_3genE0ELNS1_11target_archE4294967295ELNS1_3gpuE0ELNS1_3repE0EEENS1_38merge_mergepath_config_static_selectorELNS0_4arch9wavefront6targetE0EEEvSK_ ; -- Begin function _ZN7rocprim17ROCPRIM_400000_NS6detail17trampoline_kernelINS0_14default_configENS1_38merge_sort_block_merge_config_selectorIjNS0_10empty_typeEEEZZNS1_27merge_sort_block_merge_implIS3_N6thrust23THRUST_200600_302600_NS6detail15normal_iteratorINS9_10device_ptrIjEEEEPS5_m11less_div_10IjEEE10hipError_tT0_T1_T2_jT3_P12ihipStream_tbPNSt15iterator_traitsISJ_E10value_typeEPNSP_ISK_E10value_typeEPSL_NS1_7vsmem_tEENKUlT_SJ_SK_SL_E_clISE_PjSF_SF_EESI_SY_SJ_SK_SL_EUlSY_E0_NS1_11comp_targetILNS1_3genE0ELNS1_11target_archE4294967295ELNS1_3gpuE0ELNS1_3repE0EEENS1_38merge_mergepath_config_static_selectorELNS0_4arch9wavefront6targetE0EEEvSK_
	.globl	_ZN7rocprim17ROCPRIM_400000_NS6detail17trampoline_kernelINS0_14default_configENS1_38merge_sort_block_merge_config_selectorIjNS0_10empty_typeEEEZZNS1_27merge_sort_block_merge_implIS3_N6thrust23THRUST_200600_302600_NS6detail15normal_iteratorINS9_10device_ptrIjEEEEPS5_m11less_div_10IjEEE10hipError_tT0_T1_T2_jT3_P12ihipStream_tbPNSt15iterator_traitsISJ_E10value_typeEPNSP_ISK_E10value_typeEPSL_NS1_7vsmem_tEENKUlT_SJ_SK_SL_E_clISE_PjSF_SF_EESI_SY_SJ_SK_SL_EUlSY_E0_NS1_11comp_targetILNS1_3genE0ELNS1_11target_archE4294967295ELNS1_3gpuE0ELNS1_3repE0EEENS1_38merge_mergepath_config_static_selectorELNS0_4arch9wavefront6targetE0EEEvSK_
	.p2align	8
	.type	_ZN7rocprim17ROCPRIM_400000_NS6detail17trampoline_kernelINS0_14default_configENS1_38merge_sort_block_merge_config_selectorIjNS0_10empty_typeEEEZZNS1_27merge_sort_block_merge_implIS3_N6thrust23THRUST_200600_302600_NS6detail15normal_iteratorINS9_10device_ptrIjEEEEPS5_m11less_div_10IjEEE10hipError_tT0_T1_T2_jT3_P12ihipStream_tbPNSt15iterator_traitsISJ_E10value_typeEPNSP_ISK_E10value_typeEPSL_NS1_7vsmem_tEENKUlT_SJ_SK_SL_E_clISE_PjSF_SF_EESI_SY_SJ_SK_SL_EUlSY_E0_NS1_11comp_targetILNS1_3genE0ELNS1_11target_archE4294967295ELNS1_3gpuE0ELNS1_3repE0EEENS1_38merge_mergepath_config_static_selectorELNS0_4arch9wavefront6targetE0EEEvSK_,@function
_ZN7rocprim17ROCPRIM_400000_NS6detail17trampoline_kernelINS0_14default_configENS1_38merge_sort_block_merge_config_selectorIjNS0_10empty_typeEEEZZNS1_27merge_sort_block_merge_implIS3_N6thrust23THRUST_200600_302600_NS6detail15normal_iteratorINS9_10device_ptrIjEEEEPS5_m11less_div_10IjEEE10hipError_tT0_T1_T2_jT3_P12ihipStream_tbPNSt15iterator_traitsISJ_E10value_typeEPNSP_ISK_E10value_typeEPSL_NS1_7vsmem_tEENKUlT_SJ_SK_SL_E_clISE_PjSF_SF_EESI_SY_SJ_SK_SL_EUlSY_E0_NS1_11comp_targetILNS1_3genE0ELNS1_11target_archE4294967295ELNS1_3gpuE0ELNS1_3repE0EEENS1_38merge_mergepath_config_static_selectorELNS0_4arch9wavefront6targetE0EEEvSK_: ; @_ZN7rocprim17ROCPRIM_400000_NS6detail17trampoline_kernelINS0_14default_configENS1_38merge_sort_block_merge_config_selectorIjNS0_10empty_typeEEEZZNS1_27merge_sort_block_merge_implIS3_N6thrust23THRUST_200600_302600_NS6detail15normal_iteratorINS9_10device_ptrIjEEEEPS5_m11less_div_10IjEEE10hipError_tT0_T1_T2_jT3_P12ihipStream_tbPNSt15iterator_traitsISJ_E10value_typeEPNSP_ISK_E10value_typeEPSL_NS1_7vsmem_tEENKUlT_SJ_SK_SL_E_clISE_PjSF_SF_EESI_SY_SJ_SK_SL_EUlSY_E0_NS1_11comp_targetILNS1_3genE0ELNS1_11target_archE4294967295ELNS1_3gpuE0ELNS1_3repE0EEENS1_38merge_mergepath_config_static_selectorELNS0_4arch9wavefront6targetE0EEEvSK_
; %bb.0:
	.section	.rodata,"a",@progbits
	.p2align	6, 0x0
	.amdhsa_kernel _ZN7rocprim17ROCPRIM_400000_NS6detail17trampoline_kernelINS0_14default_configENS1_38merge_sort_block_merge_config_selectorIjNS0_10empty_typeEEEZZNS1_27merge_sort_block_merge_implIS3_N6thrust23THRUST_200600_302600_NS6detail15normal_iteratorINS9_10device_ptrIjEEEEPS5_m11less_div_10IjEEE10hipError_tT0_T1_T2_jT3_P12ihipStream_tbPNSt15iterator_traitsISJ_E10value_typeEPNSP_ISK_E10value_typeEPSL_NS1_7vsmem_tEENKUlT_SJ_SK_SL_E_clISE_PjSF_SF_EESI_SY_SJ_SK_SL_EUlSY_E0_NS1_11comp_targetILNS1_3genE0ELNS1_11target_archE4294967295ELNS1_3gpuE0ELNS1_3repE0EEENS1_38merge_mergepath_config_static_selectorELNS0_4arch9wavefront6targetE0EEEvSK_
		.amdhsa_group_segment_fixed_size 0
		.amdhsa_private_segment_fixed_size 0
		.amdhsa_kernarg_size 72
		.amdhsa_user_sgpr_count 6
		.amdhsa_user_sgpr_private_segment_buffer 1
		.amdhsa_user_sgpr_dispatch_ptr 0
		.amdhsa_user_sgpr_queue_ptr 0
		.amdhsa_user_sgpr_kernarg_segment_ptr 1
		.amdhsa_user_sgpr_dispatch_id 0
		.amdhsa_user_sgpr_flat_scratch_init 0
		.amdhsa_user_sgpr_private_segment_size 0
		.amdhsa_wavefront_size32 1
		.amdhsa_uses_dynamic_stack 0
		.amdhsa_system_sgpr_private_segment_wavefront_offset 0
		.amdhsa_system_sgpr_workgroup_id_x 1
		.amdhsa_system_sgpr_workgroup_id_y 0
		.amdhsa_system_sgpr_workgroup_id_z 0
		.amdhsa_system_sgpr_workgroup_info 0
		.amdhsa_system_vgpr_workitem_id 0
		.amdhsa_next_free_vgpr 1
		.amdhsa_next_free_sgpr 1
		.amdhsa_reserve_vcc 0
		.amdhsa_reserve_flat_scratch 0
		.amdhsa_float_round_mode_32 0
		.amdhsa_float_round_mode_16_64 0
		.amdhsa_float_denorm_mode_32 3
		.amdhsa_float_denorm_mode_16_64 3
		.amdhsa_dx10_clamp 1
		.amdhsa_ieee_mode 1
		.amdhsa_fp16_overflow 0
		.amdhsa_workgroup_processor_mode 1
		.amdhsa_memory_ordered 1
		.amdhsa_forward_progress 1
		.amdhsa_shared_vgpr_count 0
		.amdhsa_exception_fp_ieee_invalid_op 0
		.amdhsa_exception_fp_denorm_src 0
		.amdhsa_exception_fp_ieee_div_zero 0
		.amdhsa_exception_fp_ieee_overflow 0
		.amdhsa_exception_fp_ieee_underflow 0
		.amdhsa_exception_fp_ieee_inexact 0
		.amdhsa_exception_int_div_zero 0
	.end_amdhsa_kernel
	.section	.text._ZN7rocprim17ROCPRIM_400000_NS6detail17trampoline_kernelINS0_14default_configENS1_38merge_sort_block_merge_config_selectorIjNS0_10empty_typeEEEZZNS1_27merge_sort_block_merge_implIS3_N6thrust23THRUST_200600_302600_NS6detail15normal_iteratorINS9_10device_ptrIjEEEEPS5_m11less_div_10IjEEE10hipError_tT0_T1_T2_jT3_P12ihipStream_tbPNSt15iterator_traitsISJ_E10value_typeEPNSP_ISK_E10value_typeEPSL_NS1_7vsmem_tEENKUlT_SJ_SK_SL_E_clISE_PjSF_SF_EESI_SY_SJ_SK_SL_EUlSY_E0_NS1_11comp_targetILNS1_3genE0ELNS1_11target_archE4294967295ELNS1_3gpuE0ELNS1_3repE0EEENS1_38merge_mergepath_config_static_selectorELNS0_4arch9wavefront6targetE0EEEvSK_,"axG",@progbits,_ZN7rocprim17ROCPRIM_400000_NS6detail17trampoline_kernelINS0_14default_configENS1_38merge_sort_block_merge_config_selectorIjNS0_10empty_typeEEEZZNS1_27merge_sort_block_merge_implIS3_N6thrust23THRUST_200600_302600_NS6detail15normal_iteratorINS9_10device_ptrIjEEEEPS5_m11less_div_10IjEEE10hipError_tT0_T1_T2_jT3_P12ihipStream_tbPNSt15iterator_traitsISJ_E10value_typeEPNSP_ISK_E10value_typeEPSL_NS1_7vsmem_tEENKUlT_SJ_SK_SL_E_clISE_PjSF_SF_EESI_SY_SJ_SK_SL_EUlSY_E0_NS1_11comp_targetILNS1_3genE0ELNS1_11target_archE4294967295ELNS1_3gpuE0ELNS1_3repE0EEENS1_38merge_mergepath_config_static_selectorELNS0_4arch9wavefront6targetE0EEEvSK_,comdat
.Lfunc_end179:
	.size	_ZN7rocprim17ROCPRIM_400000_NS6detail17trampoline_kernelINS0_14default_configENS1_38merge_sort_block_merge_config_selectorIjNS0_10empty_typeEEEZZNS1_27merge_sort_block_merge_implIS3_N6thrust23THRUST_200600_302600_NS6detail15normal_iteratorINS9_10device_ptrIjEEEEPS5_m11less_div_10IjEEE10hipError_tT0_T1_T2_jT3_P12ihipStream_tbPNSt15iterator_traitsISJ_E10value_typeEPNSP_ISK_E10value_typeEPSL_NS1_7vsmem_tEENKUlT_SJ_SK_SL_E_clISE_PjSF_SF_EESI_SY_SJ_SK_SL_EUlSY_E0_NS1_11comp_targetILNS1_3genE0ELNS1_11target_archE4294967295ELNS1_3gpuE0ELNS1_3repE0EEENS1_38merge_mergepath_config_static_selectorELNS0_4arch9wavefront6targetE0EEEvSK_, .Lfunc_end179-_ZN7rocprim17ROCPRIM_400000_NS6detail17trampoline_kernelINS0_14default_configENS1_38merge_sort_block_merge_config_selectorIjNS0_10empty_typeEEEZZNS1_27merge_sort_block_merge_implIS3_N6thrust23THRUST_200600_302600_NS6detail15normal_iteratorINS9_10device_ptrIjEEEEPS5_m11less_div_10IjEEE10hipError_tT0_T1_T2_jT3_P12ihipStream_tbPNSt15iterator_traitsISJ_E10value_typeEPNSP_ISK_E10value_typeEPSL_NS1_7vsmem_tEENKUlT_SJ_SK_SL_E_clISE_PjSF_SF_EESI_SY_SJ_SK_SL_EUlSY_E0_NS1_11comp_targetILNS1_3genE0ELNS1_11target_archE4294967295ELNS1_3gpuE0ELNS1_3repE0EEENS1_38merge_mergepath_config_static_selectorELNS0_4arch9wavefront6targetE0EEEvSK_
                                        ; -- End function
	.set _ZN7rocprim17ROCPRIM_400000_NS6detail17trampoline_kernelINS0_14default_configENS1_38merge_sort_block_merge_config_selectorIjNS0_10empty_typeEEEZZNS1_27merge_sort_block_merge_implIS3_N6thrust23THRUST_200600_302600_NS6detail15normal_iteratorINS9_10device_ptrIjEEEEPS5_m11less_div_10IjEEE10hipError_tT0_T1_T2_jT3_P12ihipStream_tbPNSt15iterator_traitsISJ_E10value_typeEPNSP_ISK_E10value_typeEPSL_NS1_7vsmem_tEENKUlT_SJ_SK_SL_E_clISE_PjSF_SF_EESI_SY_SJ_SK_SL_EUlSY_E0_NS1_11comp_targetILNS1_3genE0ELNS1_11target_archE4294967295ELNS1_3gpuE0ELNS1_3repE0EEENS1_38merge_mergepath_config_static_selectorELNS0_4arch9wavefront6targetE0EEEvSK_.num_vgpr, 0
	.set _ZN7rocprim17ROCPRIM_400000_NS6detail17trampoline_kernelINS0_14default_configENS1_38merge_sort_block_merge_config_selectorIjNS0_10empty_typeEEEZZNS1_27merge_sort_block_merge_implIS3_N6thrust23THRUST_200600_302600_NS6detail15normal_iteratorINS9_10device_ptrIjEEEEPS5_m11less_div_10IjEEE10hipError_tT0_T1_T2_jT3_P12ihipStream_tbPNSt15iterator_traitsISJ_E10value_typeEPNSP_ISK_E10value_typeEPSL_NS1_7vsmem_tEENKUlT_SJ_SK_SL_E_clISE_PjSF_SF_EESI_SY_SJ_SK_SL_EUlSY_E0_NS1_11comp_targetILNS1_3genE0ELNS1_11target_archE4294967295ELNS1_3gpuE0ELNS1_3repE0EEENS1_38merge_mergepath_config_static_selectorELNS0_4arch9wavefront6targetE0EEEvSK_.num_agpr, 0
	.set _ZN7rocprim17ROCPRIM_400000_NS6detail17trampoline_kernelINS0_14default_configENS1_38merge_sort_block_merge_config_selectorIjNS0_10empty_typeEEEZZNS1_27merge_sort_block_merge_implIS3_N6thrust23THRUST_200600_302600_NS6detail15normal_iteratorINS9_10device_ptrIjEEEEPS5_m11less_div_10IjEEE10hipError_tT0_T1_T2_jT3_P12ihipStream_tbPNSt15iterator_traitsISJ_E10value_typeEPNSP_ISK_E10value_typeEPSL_NS1_7vsmem_tEENKUlT_SJ_SK_SL_E_clISE_PjSF_SF_EESI_SY_SJ_SK_SL_EUlSY_E0_NS1_11comp_targetILNS1_3genE0ELNS1_11target_archE4294967295ELNS1_3gpuE0ELNS1_3repE0EEENS1_38merge_mergepath_config_static_selectorELNS0_4arch9wavefront6targetE0EEEvSK_.numbered_sgpr, 0
	.set _ZN7rocprim17ROCPRIM_400000_NS6detail17trampoline_kernelINS0_14default_configENS1_38merge_sort_block_merge_config_selectorIjNS0_10empty_typeEEEZZNS1_27merge_sort_block_merge_implIS3_N6thrust23THRUST_200600_302600_NS6detail15normal_iteratorINS9_10device_ptrIjEEEEPS5_m11less_div_10IjEEE10hipError_tT0_T1_T2_jT3_P12ihipStream_tbPNSt15iterator_traitsISJ_E10value_typeEPNSP_ISK_E10value_typeEPSL_NS1_7vsmem_tEENKUlT_SJ_SK_SL_E_clISE_PjSF_SF_EESI_SY_SJ_SK_SL_EUlSY_E0_NS1_11comp_targetILNS1_3genE0ELNS1_11target_archE4294967295ELNS1_3gpuE0ELNS1_3repE0EEENS1_38merge_mergepath_config_static_selectorELNS0_4arch9wavefront6targetE0EEEvSK_.num_named_barrier, 0
	.set _ZN7rocprim17ROCPRIM_400000_NS6detail17trampoline_kernelINS0_14default_configENS1_38merge_sort_block_merge_config_selectorIjNS0_10empty_typeEEEZZNS1_27merge_sort_block_merge_implIS3_N6thrust23THRUST_200600_302600_NS6detail15normal_iteratorINS9_10device_ptrIjEEEEPS5_m11less_div_10IjEEE10hipError_tT0_T1_T2_jT3_P12ihipStream_tbPNSt15iterator_traitsISJ_E10value_typeEPNSP_ISK_E10value_typeEPSL_NS1_7vsmem_tEENKUlT_SJ_SK_SL_E_clISE_PjSF_SF_EESI_SY_SJ_SK_SL_EUlSY_E0_NS1_11comp_targetILNS1_3genE0ELNS1_11target_archE4294967295ELNS1_3gpuE0ELNS1_3repE0EEENS1_38merge_mergepath_config_static_selectorELNS0_4arch9wavefront6targetE0EEEvSK_.private_seg_size, 0
	.set _ZN7rocprim17ROCPRIM_400000_NS6detail17trampoline_kernelINS0_14default_configENS1_38merge_sort_block_merge_config_selectorIjNS0_10empty_typeEEEZZNS1_27merge_sort_block_merge_implIS3_N6thrust23THRUST_200600_302600_NS6detail15normal_iteratorINS9_10device_ptrIjEEEEPS5_m11less_div_10IjEEE10hipError_tT0_T1_T2_jT3_P12ihipStream_tbPNSt15iterator_traitsISJ_E10value_typeEPNSP_ISK_E10value_typeEPSL_NS1_7vsmem_tEENKUlT_SJ_SK_SL_E_clISE_PjSF_SF_EESI_SY_SJ_SK_SL_EUlSY_E0_NS1_11comp_targetILNS1_3genE0ELNS1_11target_archE4294967295ELNS1_3gpuE0ELNS1_3repE0EEENS1_38merge_mergepath_config_static_selectorELNS0_4arch9wavefront6targetE0EEEvSK_.uses_vcc, 0
	.set _ZN7rocprim17ROCPRIM_400000_NS6detail17trampoline_kernelINS0_14default_configENS1_38merge_sort_block_merge_config_selectorIjNS0_10empty_typeEEEZZNS1_27merge_sort_block_merge_implIS3_N6thrust23THRUST_200600_302600_NS6detail15normal_iteratorINS9_10device_ptrIjEEEEPS5_m11less_div_10IjEEE10hipError_tT0_T1_T2_jT3_P12ihipStream_tbPNSt15iterator_traitsISJ_E10value_typeEPNSP_ISK_E10value_typeEPSL_NS1_7vsmem_tEENKUlT_SJ_SK_SL_E_clISE_PjSF_SF_EESI_SY_SJ_SK_SL_EUlSY_E0_NS1_11comp_targetILNS1_3genE0ELNS1_11target_archE4294967295ELNS1_3gpuE0ELNS1_3repE0EEENS1_38merge_mergepath_config_static_selectorELNS0_4arch9wavefront6targetE0EEEvSK_.uses_flat_scratch, 0
	.set _ZN7rocprim17ROCPRIM_400000_NS6detail17trampoline_kernelINS0_14default_configENS1_38merge_sort_block_merge_config_selectorIjNS0_10empty_typeEEEZZNS1_27merge_sort_block_merge_implIS3_N6thrust23THRUST_200600_302600_NS6detail15normal_iteratorINS9_10device_ptrIjEEEEPS5_m11less_div_10IjEEE10hipError_tT0_T1_T2_jT3_P12ihipStream_tbPNSt15iterator_traitsISJ_E10value_typeEPNSP_ISK_E10value_typeEPSL_NS1_7vsmem_tEENKUlT_SJ_SK_SL_E_clISE_PjSF_SF_EESI_SY_SJ_SK_SL_EUlSY_E0_NS1_11comp_targetILNS1_3genE0ELNS1_11target_archE4294967295ELNS1_3gpuE0ELNS1_3repE0EEENS1_38merge_mergepath_config_static_selectorELNS0_4arch9wavefront6targetE0EEEvSK_.has_dyn_sized_stack, 0
	.set _ZN7rocprim17ROCPRIM_400000_NS6detail17trampoline_kernelINS0_14default_configENS1_38merge_sort_block_merge_config_selectorIjNS0_10empty_typeEEEZZNS1_27merge_sort_block_merge_implIS3_N6thrust23THRUST_200600_302600_NS6detail15normal_iteratorINS9_10device_ptrIjEEEEPS5_m11less_div_10IjEEE10hipError_tT0_T1_T2_jT3_P12ihipStream_tbPNSt15iterator_traitsISJ_E10value_typeEPNSP_ISK_E10value_typeEPSL_NS1_7vsmem_tEENKUlT_SJ_SK_SL_E_clISE_PjSF_SF_EESI_SY_SJ_SK_SL_EUlSY_E0_NS1_11comp_targetILNS1_3genE0ELNS1_11target_archE4294967295ELNS1_3gpuE0ELNS1_3repE0EEENS1_38merge_mergepath_config_static_selectorELNS0_4arch9wavefront6targetE0EEEvSK_.has_recursion, 0
	.set _ZN7rocprim17ROCPRIM_400000_NS6detail17trampoline_kernelINS0_14default_configENS1_38merge_sort_block_merge_config_selectorIjNS0_10empty_typeEEEZZNS1_27merge_sort_block_merge_implIS3_N6thrust23THRUST_200600_302600_NS6detail15normal_iteratorINS9_10device_ptrIjEEEEPS5_m11less_div_10IjEEE10hipError_tT0_T1_T2_jT3_P12ihipStream_tbPNSt15iterator_traitsISJ_E10value_typeEPNSP_ISK_E10value_typeEPSL_NS1_7vsmem_tEENKUlT_SJ_SK_SL_E_clISE_PjSF_SF_EESI_SY_SJ_SK_SL_EUlSY_E0_NS1_11comp_targetILNS1_3genE0ELNS1_11target_archE4294967295ELNS1_3gpuE0ELNS1_3repE0EEENS1_38merge_mergepath_config_static_selectorELNS0_4arch9wavefront6targetE0EEEvSK_.has_indirect_call, 0
	.section	.AMDGPU.csdata,"",@progbits
; Kernel info:
; codeLenInByte = 0
; TotalNumSgprs: 0
; NumVgprs: 0
; ScratchSize: 0
; MemoryBound: 0
; FloatMode: 240
; IeeeMode: 1
; LDSByteSize: 0 bytes/workgroup (compile time only)
; SGPRBlocks: 0
; VGPRBlocks: 0
; NumSGPRsForWavesPerEU: 1
; NumVGPRsForWavesPerEU: 1
; Occupancy: 16
; WaveLimiterHint : 0
; COMPUTE_PGM_RSRC2:SCRATCH_EN: 0
; COMPUTE_PGM_RSRC2:USER_SGPR: 6
; COMPUTE_PGM_RSRC2:TRAP_HANDLER: 0
; COMPUTE_PGM_RSRC2:TGID_X_EN: 1
; COMPUTE_PGM_RSRC2:TGID_Y_EN: 0
; COMPUTE_PGM_RSRC2:TGID_Z_EN: 0
; COMPUTE_PGM_RSRC2:TIDIG_COMP_CNT: 0
	.section	.text._ZN7rocprim17ROCPRIM_400000_NS6detail17trampoline_kernelINS0_14default_configENS1_38merge_sort_block_merge_config_selectorIjNS0_10empty_typeEEEZZNS1_27merge_sort_block_merge_implIS3_N6thrust23THRUST_200600_302600_NS6detail15normal_iteratorINS9_10device_ptrIjEEEEPS5_m11less_div_10IjEEE10hipError_tT0_T1_T2_jT3_P12ihipStream_tbPNSt15iterator_traitsISJ_E10value_typeEPNSP_ISK_E10value_typeEPSL_NS1_7vsmem_tEENKUlT_SJ_SK_SL_E_clISE_PjSF_SF_EESI_SY_SJ_SK_SL_EUlSY_E0_NS1_11comp_targetILNS1_3genE10ELNS1_11target_archE1201ELNS1_3gpuE5ELNS1_3repE0EEENS1_38merge_mergepath_config_static_selectorELNS0_4arch9wavefront6targetE0EEEvSK_,"axG",@progbits,_ZN7rocprim17ROCPRIM_400000_NS6detail17trampoline_kernelINS0_14default_configENS1_38merge_sort_block_merge_config_selectorIjNS0_10empty_typeEEEZZNS1_27merge_sort_block_merge_implIS3_N6thrust23THRUST_200600_302600_NS6detail15normal_iteratorINS9_10device_ptrIjEEEEPS5_m11less_div_10IjEEE10hipError_tT0_T1_T2_jT3_P12ihipStream_tbPNSt15iterator_traitsISJ_E10value_typeEPNSP_ISK_E10value_typeEPSL_NS1_7vsmem_tEENKUlT_SJ_SK_SL_E_clISE_PjSF_SF_EESI_SY_SJ_SK_SL_EUlSY_E0_NS1_11comp_targetILNS1_3genE10ELNS1_11target_archE1201ELNS1_3gpuE5ELNS1_3repE0EEENS1_38merge_mergepath_config_static_selectorELNS0_4arch9wavefront6targetE0EEEvSK_,comdat
	.protected	_ZN7rocprim17ROCPRIM_400000_NS6detail17trampoline_kernelINS0_14default_configENS1_38merge_sort_block_merge_config_selectorIjNS0_10empty_typeEEEZZNS1_27merge_sort_block_merge_implIS3_N6thrust23THRUST_200600_302600_NS6detail15normal_iteratorINS9_10device_ptrIjEEEEPS5_m11less_div_10IjEEE10hipError_tT0_T1_T2_jT3_P12ihipStream_tbPNSt15iterator_traitsISJ_E10value_typeEPNSP_ISK_E10value_typeEPSL_NS1_7vsmem_tEENKUlT_SJ_SK_SL_E_clISE_PjSF_SF_EESI_SY_SJ_SK_SL_EUlSY_E0_NS1_11comp_targetILNS1_3genE10ELNS1_11target_archE1201ELNS1_3gpuE5ELNS1_3repE0EEENS1_38merge_mergepath_config_static_selectorELNS0_4arch9wavefront6targetE0EEEvSK_ ; -- Begin function _ZN7rocprim17ROCPRIM_400000_NS6detail17trampoline_kernelINS0_14default_configENS1_38merge_sort_block_merge_config_selectorIjNS0_10empty_typeEEEZZNS1_27merge_sort_block_merge_implIS3_N6thrust23THRUST_200600_302600_NS6detail15normal_iteratorINS9_10device_ptrIjEEEEPS5_m11less_div_10IjEEE10hipError_tT0_T1_T2_jT3_P12ihipStream_tbPNSt15iterator_traitsISJ_E10value_typeEPNSP_ISK_E10value_typeEPSL_NS1_7vsmem_tEENKUlT_SJ_SK_SL_E_clISE_PjSF_SF_EESI_SY_SJ_SK_SL_EUlSY_E0_NS1_11comp_targetILNS1_3genE10ELNS1_11target_archE1201ELNS1_3gpuE5ELNS1_3repE0EEENS1_38merge_mergepath_config_static_selectorELNS0_4arch9wavefront6targetE0EEEvSK_
	.globl	_ZN7rocprim17ROCPRIM_400000_NS6detail17trampoline_kernelINS0_14default_configENS1_38merge_sort_block_merge_config_selectorIjNS0_10empty_typeEEEZZNS1_27merge_sort_block_merge_implIS3_N6thrust23THRUST_200600_302600_NS6detail15normal_iteratorINS9_10device_ptrIjEEEEPS5_m11less_div_10IjEEE10hipError_tT0_T1_T2_jT3_P12ihipStream_tbPNSt15iterator_traitsISJ_E10value_typeEPNSP_ISK_E10value_typeEPSL_NS1_7vsmem_tEENKUlT_SJ_SK_SL_E_clISE_PjSF_SF_EESI_SY_SJ_SK_SL_EUlSY_E0_NS1_11comp_targetILNS1_3genE10ELNS1_11target_archE1201ELNS1_3gpuE5ELNS1_3repE0EEENS1_38merge_mergepath_config_static_selectorELNS0_4arch9wavefront6targetE0EEEvSK_
	.p2align	8
	.type	_ZN7rocprim17ROCPRIM_400000_NS6detail17trampoline_kernelINS0_14default_configENS1_38merge_sort_block_merge_config_selectorIjNS0_10empty_typeEEEZZNS1_27merge_sort_block_merge_implIS3_N6thrust23THRUST_200600_302600_NS6detail15normal_iteratorINS9_10device_ptrIjEEEEPS5_m11less_div_10IjEEE10hipError_tT0_T1_T2_jT3_P12ihipStream_tbPNSt15iterator_traitsISJ_E10value_typeEPNSP_ISK_E10value_typeEPSL_NS1_7vsmem_tEENKUlT_SJ_SK_SL_E_clISE_PjSF_SF_EESI_SY_SJ_SK_SL_EUlSY_E0_NS1_11comp_targetILNS1_3genE10ELNS1_11target_archE1201ELNS1_3gpuE5ELNS1_3repE0EEENS1_38merge_mergepath_config_static_selectorELNS0_4arch9wavefront6targetE0EEEvSK_,@function
_ZN7rocprim17ROCPRIM_400000_NS6detail17trampoline_kernelINS0_14default_configENS1_38merge_sort_block_merge_config_selectorIjNS0_10empty_typeEEEZZNS1_27merge_sort_block_merge_implIS3_N6thrust23THRUST_200600_302600_NS6detail15normal_iteratorINS9_10device_ptrIjEEEEPS5_m11less_div_10IjEEE10hipError_tT0_T1_T2_jT3_P12ihipStream_tbPNSt15iterator_traitsISJ_E10value_typeEPNSP_ISK_E10value_typeEPSL_NS1_7vsmem_tEENKUlT_SJ_SK_SL_E_clISE_PjSF_SF_EESI_SY_SJ_SK_SL_EUlSY_E0_NS1_11comp_targetILNS1_3genE10ELNS1_11target_archE1201ELNS1_3gpuE5ELNS1_3repE0EEENS1_38merge_mergepath_config_static_selectorELNS0_4arch9wavefront6targetE0EEEvSK_: ; @_ZN7rocprim17ROCPRIM_400000_NS6detail17trampoline_kernelINS0_14default_configENS1_38merge_sort_block_merge_config_selectorIjNS0_10empty_typeEEEZZNS1_27merge_sort_block_merge_implIS3_N6thrust23THRUST_200600_302600_NS6detail15normal_iteratorINS9_10device_ptrIjEEEEPS5_m11less_div_10IjEEE10hipError_tT0_T1_T2_jT3_P12ihipStream_tbPNSt15iterator_traitsISJ_E10value_typeEPNSP_ISK_E10value_typeEPSL_NS1_7vsmem_tEENKUlT_SJ_SK_SL_E_clISE_PjSF_SF_EESI_SY_SJ_SK_SL_EUlSY_E0_NS1_11comp_targetILNS1_3genE10ELNS1_11target_archE1201ELNS1_3gpuE5ELNS1_3repE0EEENS1_38merge_mergepath_config_static_selectorELNS0_4arch9wavefront6targetE0EEEvSK_
; %bb.0:
	.section	.rodata,"a",@progbits
	.p2align	6, 0x0
	.amdhsa_kernel _ZN7rocprim17ROCPRIM_400000_NS6detail17trampoline_kernelINS0_14default_configENS1_38merge_sort_block_merge_config_selectorIjNS0_10empty_typeEEEZZNS1_27merge_sort_block_merge_implIS3_N6thrust23THRUST_200600_302600_NS6detail15normal_iteratorINS9_10device_ptrIjEEEEPS5_m11less_div_10IjEEE10hipError_tT0_T1_T2_jT3_P12ihipStream_tbPNSt15iterator_traitsISJ_E10value_typeEPNSP_ISK_E10value_typeEPSL_NS1_7vsmem_tEENKUlT_SJ_SK_SL_E_clISE_PjSF_SF_EESI_SY_SJ_SK_SL_EUlSY_E0_NS1_11comp_targetILNS1_3genE10ELNS1_11target_archE1201ELNS1_3gpuE5ELNS1_3repE0EEENS1_38merge_mergepath_config_static_selectorELNS0_4arch9wavefront6targetE0EEEvSK_
		.amdhsa_group_segment_fixed_size 0
		.amdhsa_private_segment_fixed_size 0
		.amdhsa_kernarg_size 72
		.amdhsa_user_sgpr_count 6
		.amdhsa_user_sgpr_private_segment_buffer 1
		.amdhsa_user_sgpr_dispatch_ptr 0
		.amdhsa_user_sgpr_queue_ptr 0
		.amdhsa_user_sgpr_kernarg_segment_ptr 1
		.amdhsa_user_sgpr_dispatch_id 0
		.amdhsa_user_sgpr_flat_scratch_init 0
		.amdhsa_user_sgpr_private_segment_size 0
		.amdhsa_wavefront_size32 1
		.amdhsa_uses_dynamic_stack 0
		.amdhsa_system_sgpr_private_segment_wavefront_offset 0
		.amdhsa_system_sgpr_workgroup_id_x 1
		.amdhsa_system_sgpr_workgroup_id_y 0
		.amdhsa_system_sgpr_workgroup_id_z 0
		.amdhsa_system_sgpr_workgroup_info 0
		.amdhsa_system_vgpr_workitem_id 0
		.amdhsa_next_free_vgpr 1
		.amdhsa_next_free_sgpr 1
		.amdhsa_reserve_vcc 0
		.amdhsa_reserve_flat_scratch 0
		.amdhsa_float_round_mode_32 0
		.amdhsa_float_round_mode_16_64 0
		.amdhsa_float_denorm_mode_32 3
		.amdhsa_float_denorm_mode_16_64 3
		.amdhsa_dx10_clamp 1
		.amdhsa_ieee_mode 1
		.amdhsa_fp16_overflow 0
		.amdhsa_workgroup_processor_mode 1
		.amdhsa_memory_ordered 1
		.amdhsa_forward_progress 1
		.amdhsa_shared_vgpr_count 0
		.amdhsa_exception_fp_ieee_invalid_op 0
		.amdhsa_exception_fp_denorm_src 0
		.amdhsa_exception_fp_ieee_div_zero 0
		.amdhsa_exception_fp_ieee_overflow 0
		.amdhsa_exception_fp_ieee_underflow 0
		.amdhsa_exception_fp_ieee_inexact 0
		.amdhsa_exception_int_div_zero 0
	.end_amdhsa_kernel
	.section	.text._ZN7rocprim17ROCPRIM_400000_NS6detail17trampoline_kernelINS0_14default_configENS1_38merge_sort_block_merge_config_selectorIjNS0_10empty_typeEEEZZNS1_27merge_sort_block_merge_implIS3_N6thrust23THRUST_200600_302600_NS6detail15normal_iteratorINS9_10device_ptrIjEEEEPS5_m11less_div_10IjEEE10hipError_tT0_T1_T2_jT3_P12ihipStream_tbPNSt15iterator_traitsISJ_E10value_typeEPNSP_ISK_E10value_typeEPSL_NS1_7vsmem_tEENKUlT_SJ_SK_SL_E_clISE_PjSF_SF_EESI_SY_SJ_SK_SL_EUlSY_E0_NS1_11comp_targetILNS1_3genE10ELNS1_11target_archE1201ELNS1_3gpuE5ELNS1_3repE0EEENS1_38merge_mergepath_config_static_selectorELNS0_4arch9wavefront6targetE0EEEvSK_,"axG",@progbits,_ZN7rocprim17ROCPRIM_400000_NS6detail17trampoline_kernelINS0_14default_configENS1_38merge_sort_block_merge_config_selectorIjNS0_10empty_typeEEEZZNS1_27merge_sort_block_merge_implIS3_N6thrust23THRUST_200600_302600_NS6detail15normal_iteratorINS9_10device_ptrIjEEEEPS5_m11less_div_10IjEEE10hipError_tT0_T1_T2_jT3_P12ihipStream_tbPNSt15iterator_traitsISJ_E10value_typeEPNSP_ISK_E10value_typeEPSL_NS1_7vsmem_tEENKUlT_SJ_SK_SL_E_clISE_PjSF_SF_EESI_SY_SJ_SK_SL_EUlSY_E0_NS1_11comp_targetILNS1_3genE10ELNS1_11target_archE1201ELNS1_3gpuE5ELNS1_3repE0EEENS1_38merge_mergepath_config_static_selectorELNS0_4arch9wavefront6targetE0EEEvSK_,comdat
.Lfunc_end180:
	.size	_ZN7rocprim17ROCPRIM_400000_NS6detail17trampoline_kernelINS0_14default_configENS1_38merge_sort_block_merge_config_selectorIjNS0_10empty_typeEEEZZNS1_27merge_sort_block_merge_implIS3_N6thrust23THRUST_200600_302600_NS6detail15normal_iteratorINS9_10device_ptrIjEEEEPS5_m11less_div_10IjEEE10hipError_tT0_T1_T2_jT3_P12ihipStream_tbPNSt15iterator_traitsISJ_E10value_typeEPNSP_ISK_E10value_typeEPSL_NS1_7vsmem_tEENKUlT_SJ_SK_SL_E_clISE_PjSF_SF_EESI_SY_SJ_SK_SL_EUlSY_E0_NS1_11comp_targetILNS1_3genE10ELNS1_11target_archE1201ELNS1_3gpuE5ELNS1_3repE0EEENS1_38merge_mergepath_config_static_selectorELNS0_4arch9wavefront6targetE0EEEvSK_, .Lfunc_end180-_ZN7rocprim17ROCPRIM_400000_NS6detail17trampoline_kernelINS0_14default_configENS1_38merge_sort_block_merge_config_selectorIjNS0_10empty_typeEEEZZNS1_27merge_sort_block_merge_implIS3_N6thrust23THRUST_200600_302600_NS6detail15normal_iteratorINS9_10device_ptrIjEEEEPS5_m11less_div_10IjEEE10hipError_tT0_T1_T2_jT3_P12ihipStream_tbPNSt15iterator_traitsISJ_E10value_typeEPNSP_ISK_E10value_typeEPSL_NS1_7vsmem_tEENKUlT_SJ_SK_SL_E_clISE_PjSF_SF_EESI_SY_SJ_SK_SL_EUlSY_E0_NS1_11comp_targetILNS1_3genE10ELNS1_11target_archE1201ELNS1_3gpuE5ELNS1_3repE0EEENS1_38merge_mergepath_config_static_selectorELNS0_4arch9wavefront6targetE0EEEvSK_
                                        ; -- End function
	.set _ZN7rocprim17ROCPRIM_400000_NS6detail17trampoline_kernelINS0_14default_configENS1_38merge_sort_block_merge_config_selectorIjNS0_10empty_typeEEEZZNS1_27merge_sort_block_merge_implIS3_N6thrust23THRUST_200600_302600_NS6detail15normal_iteratorINS9_10device_ptrIjEEEEPS5_m11less_div_10IjEEE10hipError_tT0_T1_T2_jT3_P12ihipStream_tbPNSt15iterator_traitsISJ_E10value_typeEPNSP_ISK_E10value_typeEPSL_NS1_7vsmem_tEENKUlT_SJ_SK_SL_E_clISE_PjSF_SF_EESI_SY_SJ_SK_SL_EUlSY_E0_NS1_11comp_targetILNS1_3genE10ELNS1_11target_archE1201ELNS1_3gpuE5ELNS1_3repE0EEENS1_38merge_mergepath_config_static_selectorELNS0_4arch9wavefront6targetE0EEEvSK_.num_vgpr, 0
	.set _ZN7rocprim17ROCPRIM_400000_NS6detail17trampoline_kernelINS0_14default_configENS1_38merge_sort_block_merge_config_selectorIjNS0_10empty_typeEEEZZNS1_27merge_sort_block_merge_implIS3_N6thrust23THRUST_200600_302600_NS6detail15normal_iteratorINS9_10device_ptrIjEEEEPS5_m11less_div_10IjEEE10hipError_tT0_T1_T2_jT3_P12ihipStream_tbPNSt15iterator_traitsISJ_E10value_typeEPNSP_ISK_E10value_typeEPSL_NS1_7vsmem_tEENKUlT_SJ_SK_SL_E_clISE_PjSF_SF_EESI_SY_SJ_SK_SL_EUlSY_E0_NS1_11comp_targetILNS1_3genE10ELNS1_11target_archE1201ELNS1_3gpuE5ELNS1_3repE0EEENS1_38merge_mergepath_config_static_selectorELNS0_4arch9wavefront6targetE0EEEvSK_.num_agpr, 0
	.set _ZN7rocprim17ROCPRIM_400000_NS6detail17trampoline_kernelINS0_14default_configENS1_38merge_sort_block_merge_config_selectorIjNS0_10empty_typeEEEZZNS1_27merge_sort_block_merge_implIS3_N6thrust23THRUST_200600_302600_NS6detail15normal_iteratorINS9_10device_ptrIjEEEEPS5_m11less_div_10IjEEE10hipError_tT0_T1_T2_jT3_P12ihipStream_tbPNSt15iterator_traitsISJ_E10value_typeEPNSP_ISK_E10value_typeEPSL_NS1_7vsmem_tEENKUlT_SJ_SK_SL_E_clISE_PjSF_SF_EESI_SY_SJ_SK_SL_EUlSY_E0_NS1_11comp_targetILNS1_3genE10ELNS1_11target_archE1201ELNS1_3gpuE5ELNS1_3repE0EEENS1_38merge_mergepath_config_static_selectorELNS0_4arch9wavefront6targetE0EEEvSK_.numbered_sgpr, 0
	.set _ZN7rocprim17ROCPRIM_400000_NS6detail17trampoline_kernelINS0_14default_configENS1_38merge_sort_block_merge_config_selectorIjNS0_10empty_typeEEEZZNS1_27merge_sort_block_merge_implIS3_N6thrust23THRUST_200600_302600_NS6detail15normal_iteratorINS9_10device_ptrIjEEEEPS5_m11less_div_10IjEEE10hipError_tT0_T1_T2_jT3_P12ihipStream_tbPNSt15iterator_traitsISJ_E10value_typeEPNSP_ISK_E10value_typeEPSL_NS1_7vsmem_tEENKUlT_SJ_SK_SL_E_clISE_PjSF_SF_EESI_SY_SJ_SK_SL_EUlSY_E0_NS1_11comp_targetILNS1_3genE10ELNS1_11target_archE1201ELNS1_3gpuE5ELNS1_3repE0EEENS1_38merge_mergepath_config_static_selectorELNS0_4arch9wavefront6targetE0EEEvSK_.num_named_barrier, 0
	.set _ZN7rocprim17ROCPRIM_400000_NS6detail17trampoline_kernelINS0_14default_configENS1_38merge_sort_block_merge_config_selectorIjNS0_10empty_typeEEEZZNS1_27merge_sort_block_merge_implIS3_N6thrust23THRUST_200600_302600_NS6detail15normal_iteratorINS9_10device_ptrIjEEEEPS5_m11less_div_10IjEEE10hipError_tT0_T1_T2_jT3_P12ihipStream_tbPNSt15iterator_traitsISJ_E10value_typeEPNSP_ISK_E10value_typeEPSL_NS1_7vsmem_tEENKUlT_SJ_SK_SL_E_clISE_PjSF_SF_EESI_SY_SJ_SK_SL_EUlSY_E0_NS1_11comp_targetILNS1_3genE10ELNS1_11target_archE1201ELNS1_3gpuE5ELNS1_3repE0EEENS1_38merge_mergepath_config_static_selectorELNS0_4arch9wavefront6targetE0EEEvSK_.private_seg_size, 0
	.set _ZN7rocprim17ROCPRIM_400000_NS6detail17trampoline_kernelINS0_14default_configENS1_38merge_sort_block_merge_config_selectorIjNS0_10empty_typeEEEZZNS1_27merge_sort_block_merge_implIS3_N6thrust23THRUST_200600_302600_NS6detail15normal_iteratorINS9_10device_ptrIjEEEEPS5_m11less_div_10IjEEE10hipError_tT0_T1_T2_jT3_P12ihipStream_tbPNSt15iterator_traitsISJ_E10value_typeEPNSP_ISK_E10value_typeEPSL_NS1_7vsmem_tEENKUlT_SJ_SK_SL_E_clISE_PjSF_SF_EESI_SY_SJ_SK_SL_EUlSY_E0_NS1_11comp_targetILNS1_3genE10ELNS1_11target_archE1201ELNS1_3gpuE5ELNS1_3repE0EEENS1_38merge_mergepath_config_static_selectorELNS0_4arch9wavefront6targetE0EEEvSK_.uses_vcc, 0
	.set _ZN7rocprim17ROCPRIM_400000_NS6detail17trampoline_kernelINS0_14default_configENS1_38merge_sort_block_merge_config_selectorIjNS0_10empty_typeEEEZZNS1_27merge_sort_block_merge_implIS3_N6thrust23THRUST_200600_302600_NS6detail15normal_iteratorINS9_10device_ptrIjEEEEPS5_m11less_div_10IjEEE10hipError_tT0_T1_T2_jT3_P12ihipStream_tbPNSt15iterator_traitsISJ_E10value_typeEPNSP_ISK_E10value_typeEPSL_NS1_7vsmem_tEENKUlT_SJ_SK_SL_E_clISE_PjSF_SF_EESI_SY_SJ_SK_SL_EUlSY_E0_NS1_11comp_targetILNS1_3genE10ELNS1_11target_archE1201ELNS1_3gpuE5ELNS1_3repE0EEENS1_38merge_mergepath_config_static_selectorELNS0_4arch9wavefront6targetE0EEEvSK_.uses_flat_scratch, 0
	.set _ZN7rocprim17ROCPRIM_400000_NS6detail17trampoline_kernelINS0_14default_configENS1_38merge_sort_block_merge_config_selectorIjNS0_10empty_typeEEEZZNS1_27merge_sort_block_merge_implIS3_N6thrust23THRUST_200600_302600_NS6detail15normal_iteratorINS9_10device_ptrIjEEEEPS5_m11less_div_10IjEEE10hipError_tT0_T1_T2_jT3_P12ihipStream_tbPNSt15iterator_traitsISJ_E10value_typeEPNSP_ISK_E10value_typeEPSL_NS1_7vsmem_tEENKUlT_SJ_SK_SL_E_clISE_PjSF_SF_EESI_SY_SJ_SK_SL_EUlSY_E0_NS1_11comp_targetILNS1_3genE10ELNS1_11target_archE1201ELNS1_3gpuE5ELNS1_3repE0EEENS1_38merge_mergepath_config_static_selectorELNS0_4arch9wavefront6targetE0EEEvSK_.has_dyn_sized_stack, 0
	.set _ZN7rocprim17ROCPRIM_400000_NS6detail17trampoline_kernelINS0_14default_configENS1_38merge_sort_block_merge_config_selectorIjNS0_10empty_typeEEEZZNS1_27merge_sort_block_merge_implIS3_N6thrust23THRUST_200600_302600_NS6detail15normal_iteratorINS9_10device_ptrIjEEEEPS5_m11less_div_10IjEEE10hipError_tT0_T1_T2_jT3_P12ihipStream_tbPNSt15iterator_traitsISJ_E10value_typeEPNSP_ISK_E10value_typeEPSL_NS1_7vsmem_tEENKUlT_SJ_SK_SL_E_clISE_PjSF_SF_EESI_SY_SJ_SK_SL_EUlSY_E0_NS1_11comp_targetILNS1_3genE10ELNS1_11target_archE1201ELNS1_3gpuE5ELNS1_3repE0EEENS1_38merge_mergepath_config_static_selectorELNS0_4arch9wavefront6targetE0EEEvSK_.has_recursion, 0
	.set _ZN7rocprim17ROCPRIM_400000_NS6detail17trampoline_kernelINS0_14default_configENS1_38merge_sort_block_merge_config_selectorIjNS0_10empty_typeEEEZZNS1_27merge_sort_block_merge_implIS3_N6thrust23THRUST_200600_302600_NS6detail15normal_iteratorINS9_10device_ptrIjEEEEPS5_m11less_div_10IjEEE10hipError_tT0_T1_T2_jT3_P12ihipStream_tbPNSt15iterator_traitsISJ_E10value_typeEPNSP_ISK_E10value_typeEPSL_NS1_7vsmem_tEENKUlT_SJ_SK_SL_E_clISE_PjSF_SF_EESI_SY_SJ_SK_SL_EUlSY_E0_NS1_11comp_targetILNS1_3genE10ELNS1_11target_archE1201ELNS1_3gpuE5ELNS1_3repE0EEENS1_38merge_mergepath_config_static_selectorELNS0_4arch9wavefront6targetE0EEEvSK_.has_indirect_call, 0
	.section	.AMDGPU.csdata,"",@progbits
; Kernel info:
; codeLenInByte = 0
; TotalNumSgprs: 0
; NumVgprs: 0
; ScratchSize: 0
; MemoryBound: 0
; FloatMode: 240
; IeeeMode: 1
; LDSByteSize: 0 bytes/workgroup (compile time only)
; SGPRBlocks: 0
; VGPRBlocks: 0
; NumSGPRsForWavesPerEU: 1
; NumVGPRsForWavesPerEU: 1
; Occupancy: 16
; WaveLimiterHint : 0
; COMPUTE_PGM_RSRC2:SCRATCH_EN: 0
; COMPUTE_PGM_RSRC2:USER_SGPR: 6
; COMPUTE_PGM_RSRC2:TRAP_HANDLER: 0
; COMPUTE_PGM_RSRC2:TGID_X_EN: 1
; COMPUTE_PGM_RSRC2:TGID_Y_EN: 0
; COMPUTE_PGM_RSRC2:TGID_Z_EN: 0
; COMPUTE_PGM_RSRC2:TIDIG_COMP_CNT: 0
	.section	.text._ZN7rocprim17ROCPRIM_400000_NS6detail17trampoline_kernelINS0_14default_configENS1_38merge_sort_block_merge_config_selectorIjNS0_10empty_typeEEEZZNS1_27merge_sort_block_merge_implIS3_N6thrust23THRUST_200600_302600_NS6detail15normal_iteratorINS9_10device_ptrIjEEEEPS5_m11less_div_10IjEEE10hipError_tT0_T1_T2_jT3_P12ihipStream_tbPNSt15iterator_traitsISJ_E10value_typeEPNSP_ISK_E10value_typeEPSL_NS1_7vsmem_tEENKUlT_SJ_SK_SL_E_clISE_PjSF_SF_EESI_SY_SJ_SK_SL_EUlSY_E0_NS1_11comp_targetILNS1_3genE5ELNS1_11target_archE942ELNS1_3gpuE9ELNS1_3repE0EEENS1_38merge_mergepath_config_static_selectorELNS0_4arch9wavefront6targetE0EEEvSK_,"axG",@progbits,_ZN7rocprim17ROCPRIM_400000_NS6detail17trampoline_kernelINS0_14default_configENS1_38merge_sort_block_merge_config_selectorIjNS0_10empty_typeEEEZZNS1_27merge_sort_block_merge_implIS3_N6thrust23THRUST_200600_302600_NS6detail15normal_iteratorINS9_10device_ptrIjEEEEPS5_m11less_div_10IjEEE10hipError_tT0_T1_T2_jT3_P12ihipStream_tbPNSt15iterator_traitsISJ_E10value_typeEPNSP_ISK_E10value_typeEPSL_NS1_7vsmem_tEENKUlT_SJ_SK_SL_E_clISE_PjSF_SF_EESI_SY_SJ_SK_SL_EUlSY_E0_NS1_11comp_targetILNS1_3genE5ELNS1_11target_archE942ELNS1_3gpuE9ELNS1_3repE0EEENS1_38merge_mergepath_config_static_selectorELNS0_4arch9wavefront6targetE0EEEvSK_,comdat
	.protected	_ZN7rocprim17ROCPRIM_400000_NS6detail17trampoline_kernelINS0_14default_configENS1_38merge_sort_block_merge_config_selectorIjNS0_10empty_typeEEEZZNS1_27merge_sort_block_merge_implIS3_N6thrust23THRUST_200600_302600_NS6detail15normal_iteratorINS9_10device_ptrIjEEEEPS5_m11less_div_10IjEEE10hipError_tT0_T1_T2_jT3_P12ihipStream_tbPNSt15iterator_traitsISJ_E10value_typeEPNSP_ISK_E10value_typeEPSL_NS1_7vsmem_tEENKUlT_SJ_SK_SL_E_clISE_PjSF_SF_EESI_SY_SJ_SK_SL_EUlSY_E0_NS1_11comp_targetILNS1_3genE5ELNS1_11target_archE942ELNS1_3gpuE9ELNS1_3repE0EEENS1_38merge_mergepath_config_static_selectorELNS0_4arch9wavefront6targetE0EEEvSK_ ; -- Begin function _ZN7rocprim17ROCPRIM_400000_NS6detail17trampoline_kernelINS0_14default_configENS1_38merge_sort_block_merge_config_selectorIjNS0_10empty_typeEEEZZNS1_27merge_sort_block_merge_implIS3_N6thrust23THRUST_200600_302600_NS6detail15normal_iteratorINS9_10device_ptrIjEEEEPS5_m11less_div_10IjEEE10hipError_tT0_T1_T2_jT3_P12ihipStream_tbPNSt15iterator_traitsISJ_E10value_typeEPNSP_ISK_E10value_typeEPSL_NS1_7vsmem_tEENKUlT_SJ_SK_SL_E_clISE_PjSF_SF_EESI_SY_SJ_SK_SL_EUlSY_E0_NS1_11comp_targetILNS1_3genE5ELNS1_11target_archE942ELNS1_3gpuE9ELNS1_3repE0EEENS1_38merge_mergepath_config_static_selectorELNS0_4arch9wavefront6targetE0EEEvSK_
	.globl	_ZN7rocprim17ROCPRIM_400000_NS6detail17trampoline_kernelINS0_14default_configENS1_38merge_sort_block_merge_config_selectorIjNS0_10empty_typeEEEZZNS1_27merge_sort_block_merge_implIS3_N6thrust23THRUST_200600_302600_NS6detail15normal_iteratorINS9_10device_ptrIjEEEEPS5_m11less_div_10IjEEE10hipError_tT0_T1_T2_jT3_P12ihipStream_tbPNSt15iterator_traitsISJ_E10value_typeEPNSP_ISK_E10value_typeEPSL_NS1_7vsmem_tEENKUlT_SJ_SK_SL_E_clISE_PjSF_SF_EESI_SY_SJ_SK_SL_EUlSY_E0_NS1_11comp_targetILNS1_3genE5ELNS1_11target_archE942ELNS1_3gpuE9ELNS1_3repE0EEENS1_38merge_mergepath_config_static_selectorELNS0_4arch9wavefront6targetE0EEEvSK_
	.p2align	8
	.type	_ZN7rocprim17ROCPRIM_400000_NS6detail17trampoline_kernelINS0_14default_configENS1_38merge_sort_block_merge_config_selectorIjNS0_10empty_typeEEEZZNS1_27merge_sort_block_merge_implIS3_N6thrust23THRUST_200600_302600_NS6detail15normal_iteratorINS9_10device_ptrIjEEEEPS5_m11less_div_10IjEEE10hipError_tT0_T1_T2_jT3_P12ihipStream_tbPNSt15iterator_traitsISJ_E10value_typeEPNSP_ISK_E10value_typeEPSL_NS1_7vsmem_tEENKUlT_SJ_SK_SL_E_clISE_PjSF_SF_EESI_SY_SJ_SK_SL_EUlSY_E0_NS1_11comp_targetILNS1_3genE5ELNS1_11target_archE942ELNS1_3gpuE9ELNS1_3repE0EEENS1_38merge_mergepath_config_static_selectorELNS0_4arch9wavefront6targetE0EEEvSK_,@function
_ZN7rocprim17ROCPRIM_400000_NS6detail17trampoline_kernelINS0_14default_configENS1_38merge_sort_block_merge_config_selectorIjNS0_10empty_typeEEEZZNS1_27merge_sort_block_merge_implIS3_N6thrust23THRUST_200600_302600_NS6detail15normal_iteratorINS9_10device_ptrIjEEEEPS5_m11less_div_10IjEEE10hipError_tT0_T1_T2_jT3_P12ihipStream_tbPNSt15iterator_traitsISJ_E10value_typeEPNSP_ISK_E10value_typeEPSL_NS1_7vsmem_tEENKUlT_SJ_SK_SL_E_clISE_PjSF_SF_EESI_SY_SJ_SK_SL_EUlSY_E0_NS1_11comp_targetILNS1_3genE5ELNS1_11target_archE942ELNS1_3gpuE9ELNS1_3repE0EEENS1_38merge_mergepath_config_static_selectorELNS0_4arch9wavefront6targetE0EEEvSK_: ; @_ZN7rocprim17ROCPRIM_400000_NS6detail17trampoline_kernelINS0_14default_configENS1_38merge_sort_block_merge_config_selectorIjNS0_10empty_typeEEEZZNS1_27merge_sort_block_merge_implIS3_N6thrust23THRUST_200600_302600_NS6detail15normal_iteratorINS9_10device_ptrIjEEEEPS5_m11less_div_10IjEEE10hipError_tT0_T1_T2_jT3_P12ihipStream_tbPNSt15iterator_traitsISJ_E10value_typeEPNSP_ISK_E10value_typeEPSL_NS1_7vsmem_tEENKUlT_SJ_SK_SL_E_clISE_PjSF_SF_EESI_SY_SJ_SK_SL_EUlSY_E0_NS1_11comp_targetILNS1_3genE5ELNS1_11target_archE942ELNS1_3gpuE9ELNS1_3repE0EEENS1_38merge_mergepath_config_static_selectorELNS0_4arch9wavefront6targetE0EEEvSK_
; %bb.0:
	.section	.rodata,"a",@progbits
	.p2align	6, 0x0
	.amdhsa_kernel _ZN7rocprim17ROCPRIM_400000_NS6detail17trampoline_kernelINS0_14default_configENS1_38merge_sort_block_merge_config_selectorIjNS0_10empty_typeEEEZZNS1_27merge_sort_block_merge_implIS3_N6thrust23THRUST_200600_302600_NS6detail15normal_iteratorINS9_10device_ptrIjEEEEPS5_m11less_div_10IjEEE10hipError_tT0_T1_T2_jT3_P12ihipStream_tbPNSt15iterator_traitsISJ_E10value_typeEPNSP_ISK_E10value_typeEPSL_NS1_7vsmem_tEENKUlT_SJ_SK_SL_E_clISE_PjSF_SF_EESI_SY_SJ_SK_SL_EUlSY_E0_NS1_11comp_targetILNS1_3genE5ELNS1_11target_archE942ELNS1_3gpuE9ELNS1_3repE0EEENS1_38merge_mergepath_config_static_selectorELNS0_4arch9wavefront6targetE0EEEvSK_
		.amdhsa_group_segment_fixed_size 0
		.amdhsa_private_segment_fixed_size 0
		.amdhsa_kernarg_size 72
		.amdhsa_user_sgpr_count 6
		.amdhsa_user_sgpr_private_segment_buffer 1
		.amdhsa_user_sgpr_dispatch_ptr 0
		.amdhsa_user_sgpr_queue_ptr 0
		.amdhsa_user_sgpr_kernarg_segment_ptr 1
		.amdhsa_user_sgpr_dispatch_id 0
		.amdhsa_user_sgpr_flat_scratch_init 0
		.amdhsa_user_sgpr_private_segment_size 0
		.amdhsa_wavefront_size32 1
		.amdhsa_uses_dynamic_stack 0
		.amdhsa_system_sgpr_private_segment_wavefront_offset 0
		.amdhsa_system_sgpr_workgroup_id_x 1
		.amdhsa_system_sgpr_workgroup_id_y 0
		.amdhsa_system_sgpr_workgroup_id_z 0
		.amdhsa_system_sgpr_workgroup_info 0
		.amdhsa_system_vgpr_workitem_id 0
		.amdhsa_next_free_vgpr 1
		.amdhsa_next_free_sgpr 1
		.amdhsa_reserve_vcc 0
		.amdhsa_reserve_flat_scratch 0
		.amdhsa_float_round_mode_32 0
		.amdhsa_float_round_mode_16_64 0
		.amdhsa_float_denorm_mode_32 3
		.amdhsa_float_denorm_mode_16_64 3
		.amdhsa_dx10_clamp 1
		.amdhsa_ieee_mode 1
		.amdhsa_fp16_overflow 0
		.amdhsa_workgroup_processor_mode 1
		.amdhsa_memory_ordered 1
		.amdhsa_forward_progress 1
		.amdhsa_shared_vgpr_count 0
		.amdhsa_exception_fp_ieee_invalid_op 0
		.amdhsa_exception_fp_denorm_src 0
		.amdhsa_exception_fp_ieee_div_zero 0
		.amdhsa_exception_fp_ieee_overflow 0
		.amdhsa_exception_fp_ieee_underflow 0
		.amdhsa_exception_fp_ieee_inexact 0
		.amdhsa_exception_int_div_zero 0
	.end_amdhsa_kernel
	.section	.text._ZN7rocprim17ROCPRIM_400000_NS6detail17trampoline_kernelINS0_14default_configENS1_38merge_sort_block_merge_config_selectorIjNS0_10empty_typeEEEZZNS1_27merge_sort_block_merge_implIS3_N6thrust23THRUST_200600_302600_NS6detail15normal_iteratorINS9_10device_ptrIjEEEEPS5_m11less_div_10IjEEE10hipError_tT0_T1_T2_jT3_P12ihipStream_tbPNSt15iterator_traitsISJ_E10value_typeEPNSP_ISK_E10value_typeEPSL_NS1_7vsmem_tEENKUlT_SJ_SK_SL_E_clISE_PjSF_SF_EESI_SY_SJ_SK_SL_EUlSY_E0_NS1_11comp_targetILNS1_3genE5ELNS1_11target_archE942ELNS1_3gpuE9ELNS1_3repE0EEENS1_38merge_mergepath_config_static_selectorELNS0_4arch9wavefront6targetE0EEEvSK_,"axG",@progbits,_ZN7rocprim17ROCPRIM_400000_NS6detail17trampoline_kernelINS0_14default_configENS1_38merge_sort_block_merge_config_selectorIjNS0_10empty_typeEEEZZNS1_27merge_sort_block_merge_implIS3_N6thrust23THRUST_200600_302600_NS6detail15normal_iteratorINS9_10device_ptrIjEEEEPS5_m11less_div_10IjEEE10hipError_tT0_T1_T2_jT3_P12ihipStream_tbPNSt15iterator_traitsISJ_E10value_typeEPNSP_ISK_E10value_typeEPSL_NS1_7vsmem_tEENKUlT_SJ_SK_SL_E_clISE_PjSF_SF_EESI_SY_SJ_SK_SL_EUlSY_E0_NS1_11comp_targetILNS1_3genE5ELNS1_11target_archE942ELNS1_3gpuE9ELNS1_3repE0EEENS1_38merge_mergepath_config_static_selectorELNS0_4arch9wavefront6targetE0EEEvSK_,comdat
.Lfunc_end181:
	.size	_ZN7rocprim17ROCPRIM_400000_NS6detail17trampoline_kernelINS0_14default_configENS1_38merge_sort_block_merge_config_selectorIjNS0_10empty_typeEEEZZNS1_27merge_sort_block_merge_implIS3_N6thrust23THRUST_200600_302600_NS6detail15normal_iteratorINS9_10device_ptrIjEEEEPS5_m11less_div_10IjEEE10hipError_tT0_T1_T2_jT3_P12ihipStream_tbPNSt15iterator_traitsISJ_E10value_typeEPNSP_ISK_E10value_typeEPSL_NS1_7vsmem_tEENKUlT_SJ_SK_SL_E_clISE_PjSF_SF_EESI_SY_SJ_SK_SL_EUlSY_E0_NS1_11comp_targetILNS1_3genE5ELNS1_11target_archE942ELNS1_3gpuE9ELNS1_3repE0EEENS1_38merge_mergepath_config_static_selectorELNS0_4arch9wavefront6targetE0EEEvSK_, .Lfunc_end181-_ZN7rocprim17ROCPRIM_400000_NS6detail17trampoline_kernelINS0_14default_configENS1_38merge_sort_block_merge_config_selectorIjNS0_10empty_typeEEEZZNS1_27merge_sort_block_merge_implIS3_N6thrust23THRUST_200600_302600_NS6detail15normal_iteratorINS9_10device_ptrIjEEEEPS5_m11less_div_10IjEEE10hipError_tT0_T1_T2_jT3_P12ihipStream_tbPNSt15iterator_traitsISJ_E10value_typeEPNSP_ISK_E10value_typeEPSL_NS1_7vsmem_tEENKUlT_SJ_SK_SL_E_clISE_PjSF_SF_EESI_SY_SJ_SK_SL_EUlSY_E0_NS1_11comp_targetILNS1_3genE5ELNS1_11target_archE942ELNS1_3gpuE9ELNS1_3repE0EEENS1_38merge_mergepath_config_static_selectorELNS0_4arch9wavefront6targetE0EEEvSK_
                                        ; -- End function
	.set _ZN7rocprim17ROCPRIM_400000_NS6detail17trampoline_kernelINS0_14default_configENS1_38merge_sort_block_merge_config_selectorIjNS0_10empty_typeEEEZZNS1_27merge_sort_block_merge_implIS3_N6thrust23THRUST_200600_302600_NS6detail15normal_iteratorINS9_10device_ptrIjEEEEPS5_m11less_div_10IjEEE10hipError_tT0_T1_T2_jT3_P12ihipStream_tbPNSt15iterator_traitsISJ_E10value_typeEPNSP_ISK_E10value_typeEPSL_NS1_7vsmem_tEENKUlT_SJ_SK_SL_E_clISE_PjSF_SF_EESI_SY_SJ_SK_SL_EUlSY_E0_NS1_11comp_targetILNS1_3genE5ELNS1_11target_archE942ELNS1_3gpuE9ELNS1_3repE0EEENS1_38merge_mergepath_config_static_selectorELNS0_4arch9wavefront6targetE0EEEvSK_.num_vgpr, 0
	.set _ZN7rocprim17ROCPRIM_400000_NS6detail17trampoline_kernelINS0_14default_configENS1_38merge_sort_block_merge_config_selectorIjNS0_10empty_typeEEEZZNS1_27merge_sort_block_merge_implIS3_N6thrust23THRUST_200600_302600_NS6detail15normal_iteratorINS9_10device_ptrIjEEEEPS5_m11less_div_10IjEEE10hipError_tT0_T1_T2_jT3_P12ihipStream_tbPNSt15iterator_traitsISJ_E10value_typeEPNSP_ISK_E10value_typeEPSL_NS1_7vsmem_tEENKUlT_SJ_SK_SL_E_clISE_PjSF_SF_EESI_SY_SJ_SK_SL_EUlSY_E0_NS1_11comp_targetILNS1_3genE5ELNS1_11target_archE942ELNS1_3gpuE9ELNS1_3repE0EEENS1_38merge_mergepath_config_static_selectorELNS0_4arch9wavefront6targetE0EEEvSK_.num_agpr, 0
	.set _ZN7rocprim17ROCPRIM_400000_NS6detail17trampoline_kernelINS0_14default_configENS1_38merge_sort_block_merge_config_selectorIjNS0_10empty_typeEEEZZNS1_27merge_sort_block_merge_implIS3_N6thrust23THRUST_200600_302600_NS6detail15normal_iteratorINS9_10device_ptrIjEEEEPS5_m11less_div_10IjEEE10hipError_tT0_T1_T2_jT3_P12ihipStream_tbPNSt15iterator_traitsISJ_E10value_typeEPNSP_ISK_E10value_typeEPSL_NS1_7vsmem_tEENKUlT_SJ_SK_SL_E_clISE_PjSF_SF_EESI_SY_SJ_SK_SL_EUlSY_E0_NS1_11comp_targetILNS1_3genE5ELNS1_11target_archE942ELNS1_3gpuE9ELNS1_3repE0EEENS1_38merge_mergepath_config_static_selectorELNS0_4arch9wavefront6targetE0EEEvSK_.numbered_sgpr, 0
	.set _ZN7rocprim17ROCPRIM_400000_NS6detail17trampoline_kernelINS0_14default_configENS1_38merge_sort_block_merge_config_selectorIjNS0_10empty_typeEEEZZNS1_27merge_sort_block_merge_implIS3_N6thrust23THRUST_200600_302600_NS6detail15normal_iteratorINS9_10device_ptrIjEEEEPS5_m11less_div_10IjEEE10hipError_tT0_T1_T2_jT3_P12ihipStream_tbPNSt15iterator_traitsISJ_E10value_typeEPNSP_ISK_E10value_typeEPSL_NS1_7vsmem_tEENKUlT_SJ_SK_SL_E_clISE_PjSF_SF_EESI_SY_SJ_SK_SL_EUlSY_E0_NS1_11comp_targetILNS1_3genE5ELNS1_11target_archE942ELNS1_3gpuE9ELNS1_3repE0EEENS1_38merge_mergepath_config_static_selectorELNS0_4arch9wavefront6targetE0EEEvSK_.num_named_barrier, 0
	.set _ZN7rocprim17ROCPRIM_400000_NS6detail17trampoline_kernelINS0_14default_configENS1_38merge_sort_block_merge_config_selectorIjNS0_10empty_typeEEEZZNS1_27merge_sort_block_merge_implIS3_N6thrust23THRUST_200600_302600_NS6detail15normal_iteratorINS9_10device_ptrIjEEEEPS5_m11less_div_10IjEEE10hipError_tT0_T1_T2_jT3_P12ihipStream_tbPNSt15iterator_traitsISJ_E10value_typeEPNSP_ISK_E10value_typeEPSL_NS1_7vsmem_tEENKUlT_SJ_SK_SL_E_clISE_PjSF_SF_EESI_SY_SJ_SK_SL_EUlSY_E0_NS1_11comp_targetILNS1_3genE5ELNS1_11target_archE942ELNS1_3gpuE9ELNS1_3repE0EEENS1_38merge_mergepath_config_static_selectorELNS0_4arch9wavefront6targetE0EEEvSK_.private_seg_size, 0
	.set _ZN7rocprim17ROCPRIM_400000_NS6detail17trampoline_kernelINS0_14default_configENS1_38merge_sort_block_merge_config_selectorIjNS0_10empty_typeEEEZZNS1_27merge_sort_block_merge_implIS3_N6thrust23THRUST_200600_302600_NS6detail15normal_iteratorINS9_10device_ptrIjEEEEPS5_m11less_div_10IjEEE10hipError_tT0_T1_T2_jT3_P12ihipStream_tbPNSt15iterator_traitsISJ_E10value_typeEPNSP_ISK_E10value_typeEPSL_NS1_7vsmem_tEENKUlT_SJ_SK_SL_E_clISE_PjSF_SF_EESI_SY_SJ_SK_SL_EUlSY_E0_NS1_11comp_targetILNS1_3genE5ELNS1_11target_archE942ELNS1_3gpuE9ELNS1_3repE0EEENS1_38merge_mergepath_config_static_selectorELNS0_4arch9wavefront6targetE0EEEvSK_.uses_vcc, 0
	.set _ZN7rocprim17ROCPRIM_400000_NS6detail17trampoline_kernelINS0_14default_configENS1_38merge_sort_block_merge_config_selectorIjNS0_10empty_typeEEEZZNS1_27merge_sort_block_merge_implIS3_N6thrust23THRUST_200600_302600_NS6detail15normal_iteratorINS9_10device_ptrIjEEEEPS5_m11less_div_10IjEEE10hipError_tT0_T1_T2_jT3_P12ihipStream_tbPNSt15iterator_traitsISJ_E10value_typeEPNSP_ISK_E10value_typeEPSL_NS1_7vsmem_tEENKUlT_SJ_SK_SL_E_clISE_PjSF_SF_EESI_SY_SJ_SK_SL_EUlSY_E0_NS1_11comp_targetILNS1_3genE5ELNS1_11target_archE942ELNS1_3gpuE9ELNS1_3repE0EEENS1_38merge_mergepath_config_static_selectorELNS0_4arch9wavefront6targetE0EEEvSK_.uses_flat_scratch, 0
	.set _ZN7rocprim17ROCPRIM_400000_NS6detail17trampoline_kernelINS0_14default_configENS1_38merge_sort_block_merge_config_selectorIjNS0_10empty_typeEEEZZNS1_27merge_sort_block_merge_implIS3_N6thrust23THRUST_200600_302600_NS6detail15normal_iteratorINS9_10device_ptrIjEEEEPS5_m11less_div_10IjEEE10hipError_tT0_T1_T2_jT3_P12ihipStream_tbPNSt15iterator_traitsISJ_E10value_typeEPNSP_ISK_E10value_typeEPSL_NS1_7vsmem_tEENKUlT_SJ_SK_SL_E_clISE_PjSF_SF_EESI_SY_SJ_SK_SL_EUlSY_E0_NS1_11comp_targetILNS1_3genE5ELNS1_11target_archE942ELNS1_3gpuE9ELNS1_3repE0EEENS1_38merge_mergepath_config_static_selectorELNS0_4arch9wavefront6targetE0EEEvSK_.has_dyn_sized_stack, 0
	.set _ZN7rocprim17ROCPRIM_400000_NS6detail17trampoline_kernelINS0_14default_configENS1_38merge_sort_block_merge_config_selectorIjNS0_10empty_typeEEEZZNS1_27merge_sort_block_merge_implIS3_N6thrust23THRUST_200600_302600_NS6detail15normal_iteratorINS9_10device_ptrIjEEEEPS5_m11less_div_10IjEEE10hipError_tT0_T1_T2_jT3_P12ihipStream_tbPNSt15iterator_traitsISJ_E10value_typeEPNSP_ISK_E10value_typeEPSL_NS1_7vsmem_tEENKUlT_SJ_SK_SL_E_clISE_PjSF_SF_EESI_SY_SJ_SK_SL_EUlSY_E0_NS1_11comp_targetILNS1_3genE5ELNS1_11target_archE942ELNS1_3gpuE9ELNS1_3repE0EEENS1_38merge_mergepath_config_static_selectorELNS0_4arch9wavefront6targetE0EEEvSK_.has_recursion, 0
	.set _ZN7rocprim17ROCPRIM_400000_NS6detail17trampoline_kernelINS0_14default_configENS1_38merge_sort_block_merge_config_selectorIjNS0_10empty_typeEEEZZNS1_27merge_sort_block_merge_implIS3_N6thrust23THRUST_200600_302600_NS6detail15normal_iteratorINS9_10device_ptrIjEEEEPS5_m11less_div_10IjEEE10hipError_tT0_T1_T2_jT3_P12ihipStream_tbPNSt15iterator_traitsISJ_E10value_typeEPNSP_ISK_E10value_typeEPSL_NS1_7vsmem_tEENKUlT_SJ_SK_SL_E_clISE_PjSF_SF_EESI_SY_SJ_SK_SL_EUlSY_E0_NS1_11comp_targetILNS1_3genE5ELNS1_11target_archE942ELNS1_3gpuE9ELNS1_3repE0EEENS1_38merge_mergepath_config_static_selectorELNS0_4arch9wavefront6targetE0EEEvSK_.has_indirect_call, 0
	.section	.AMDGPU.csdata,"",@progbits
; Kernel info:
; codeLenInByte = 0
; TotalNumSgprs: 0
; NumVgprs: 0
; ScratchSize: 0
; MemoryBound: 0
; FloatMode: 240
; IeeeMode: 1
; LDSByteSize: 0 bytes/workgroup (compile time only)
; SGPRBlocks: 0
; VGPRBlocks: 0
; NumSGPRsForWavesPerEU: 1
; NumVGPRsForWavesPerEU: 1
; Occupancy: 16
; WaveLimiterHint : 0
; COMPUTE_PGM_RSRC2:SCRATCH_EN: 0
; COMPUTE_PGM_RSRC2:USER_SGPR: 6
; COMPUTE_PGM_RSRC2:TRAP_HANDLER: 0
; COMPUTE_PGM_RSRC2:TGID_X_EN: 1
; COMPUTE_PGM_RSRC2:TGID_Y_EN: 0
; COMPUTE_PGM_RSRC2:TGID_Z_EN: 0
; COMPUTE_PGM_RSRC2:TIDIG_COMP_CNT: 0
	.section	.text._ZN7rocprim17ROCPRIM_400000_NS6detail17trampoline_kernelINS0_14default_configENS1_38merge_sort_block_merge_config_selectorIjNS0_10empty_typeEEEZZNS1_27merge_sort_block_merge_implIS3_N6thrust23THRUST_200600_302600_NS6detail15normal_iteratorINS9_10device_ptrIjEEEEPS5_m11less_div_10IjEEE10hipError_tT0_T1_T2_jT3_P12ihipStream_tbPNSt15iterator_traitsISJ_E10value_typeEPNSP_ISK_E10value_typeEPSL_NS1_7vsmem_tEENKUlT_SJ_SK_SL_E_clISE_PjSF_SF_EESI_SY_SJ_SK_SL_EUlSY_E0_NS1_11comp_targetILNS1_3genE4ELNS1_11target_archE910ELNS1_3gpuE8ELNS1_3repE0EEENS1_38merge_mergepath_config_static_selectorELNS0_4arch9wavefront6targetE0EEEvSK_,"axG",@progbits,_ZN7rocprim17ROCPRIM_400000_NS6detail17trampoline_kernelINS0_14default_configENS1_38merge_sort_block_merge_config_selectorIjNS0_10empty_typeEEEZZNS1_27merge_sort_block_merge_implIS3_N6thrust23THRUST_200600_302600_NS6detail15normal_iteratorINS9_10device_ptrIjEEEEPS5_m11less_div_10IjEEE10hipError_tT0_T1_T2_jT3_P12ihipStream_tbPNSt15iterator_traitsISJ_E10value_typeEPNSP_ISK_E10value_typeEPSL_NS1_7vsmem_tEENKUlT_SJ_SK_SL_E_clISE_PjSF_SF_EESI_SY_SJ_SK_SL_EUlSY_E0_NS1_11comp_targetILNS1_3genE4ELNS1_11target_archE910ELNS1_3gpuE8ELNS1_3repE0EEENS1_38merge_mergepath_config_static_selectorELNS0_4arch9wavefront6targetE0EEEvSK_,comdat
	.protected	_ZN7rocprim17ROCPRIM_400000_NS6detail17trampoline_kernelINS0_14default_configENS1_38merge_sort_block_merge_config_selectorIjNS0_10empty_typeEEEZZNS1_27merge_sort_block_merge_implIS3_N6thrust23THRUST_200600_302600_NS6detail15normal_iteratorINS9_10device_ptrIjEEEEPS5_m11less_div_10IjEEE10hipError_tT0_T1_T2_jT3_P12ihipStream_tbPNSt15iterator_traitsISJ_E10value_typeEPNSP_ISK_E10value_typeEPSL_NS1_7vsmem_tEENKUlT_SJ_SK_SL_E_clISE_PjSF_SF_EESI_SY_SJ_SK_SL_EUlSY_E0_NS1_11comp_targetILNS1_3genE4ELNS1_11target_archE910ELNS1_3gpuE8ELNS1_3repE0EEENS1_38merge_mergepath_config_static_selectorELNS0_4arch9wavefront6targetE0EEEvSK_ ; -- Begin function _ZN7rocprim17ROCPRIM_400000_NS6detail17trampoline_kernelINS0_14default_configENS1_38merge_sort_block_merge_config_selectorIjNS0_10empty_typeEEEZZNS1_27merge_sort_block_merge_implIS3_N6thrust23THRUST_200600_302600_NS6detail15normal_iteratorINS9_10device_ptrIjEEEEPS5_m11less_div_10IjEEE10hipError_tT0_T1_T2_jT3_P12ihipStream_tbPNSt15iterator_traitsISJ_E10value_typeEPNSP_ISK_E10value_typeEPSL_NS1_7vsmem_tEENKUlT_SJ_SK_SL_E_clISE_PjSF_SF_EESI_SY_SJ_SK_SL_EUlSY_E0_NS1_11comp_targetILNS1_3genE4ELNS1_11target_archE910ELNS1_3gpuE8ELNS1_3repE0EEENS1_38merge_mergepath_config_static_selectorELNS0_4arch9wavefront6targetE0EEEvSK_
	.globl	_ZN7rocprim17ROCPRIM_400000_NS6detail17trampoline_kernelINS0_14default_configENS1_38merge_sort_block_merge_config_selectorIjNS0_10empty_typeEEEZZNS1_27merge_sort_block_merge_implIS3_N6thrust23THRUST_200600_302600_NS6detail15normal_iteratorINS9_10device_ptrIjEEEEPS5_m11less_div_10IjEEE10hipError_tT0_T1_T2_jT3_P12ihipStream_tbPNSt15iterator_traitsISJ_E10value_typeEPNSP_ISK_E10value_typeEPSL_NS1_7vsmem_tEENKUlT_SJ_SK_SL_E_clISE_PjSF_SF_EESI_SY_SJ_SK_SL_EUlSY_E0_NS1_11comp_targetILNS1_3genE4ELNS1_11target_archE910ELNS1_3gpuE8ELNS1_3repE0EEENS1_38merge_mergepath_config_static_selectorELNS0_4arch9wavefront6targetE0EEEvSK_
	.p2align	8
	.type	_ZN7rocprim17ROCPRIM_400000_NS6detail17trampoline_kernelINS0_14default_configENS1_38merge_sort_block_merge_config_selectorIjNS0_10empty_typeEEEZZNS1_27merge_sort_block_merge_implIS3_N6thrust23THRUST_200600_302600_NS6detail15normal_iteratorINS9_10device_ptrIjEEEEPS5_m11less_div_10IjEEE10hipError_tT0_T1_T2_jT3_P12ihipStream_tbPNSt15iterator_traitsISJ_E10value_typeEPNSP_ISK_E10value_typeEPSL_NS1_7vsmem_tEENKUlT_SJ_SK_SL_E_clISE_PjSF_SF_EESI_SY_SJ_SK_SL_EUlSY_E0_NS1_11comp_targetILNS1_3genE4ELNS1_11target_archE910ELNS1_3gpuE8ELNS1_3repE0EEENS1_38merge_mergepath_config_static_selectorELNS0_4arch9wavefront6targetE0EEEvSK_,@function
_ZN7rocprim17ROCPRIM_400000_NS6detail17trampoline_kernelINS0_14default_configENS1_38merge_sort_block_merge_config_selectorIjNS0_10empty_typeEEEZZNS1_27merge_sort_block_merge_implIS3_N6thrust23THRUST_200600_302600_NS6detail15normal_iteratorINS9_10device_ptrIjEEEEPS5_m11less_div_10IjEEE10hipError_tT0_T1_T2_jT3_P12ihipStream_tbPNSt15iterator_traitsISJ_E10value_typeEPNSP_ISK_E10value_typeEPSL_NS1_7vsmem_tEENKUlT_SJ_SK_SL_E_clISE_PjSF_SF_EESI_SY_SJ_SK_SL_EUlSY_E0_NS1_11comp_targetILNS1_3genE4ELNS1_11target_archE910ELNS1_3gpuE8ELNS1_3repE0EEENS1_38merge_mergepath_config_static_selectorELNS0_4arch9wavefront6targetE0EEEvSK_: ; @_ZN7rocprim17ROCPRIM_400000_NS6detail17trampoline_kernelINS0_14default_configENS1_38merge_sort_block_merge_config_selectorIjNS0_10empty_typeEEEZZNS1_27merge_sort_block_merge_implIS3_N6thrust23THRUST_200600_302600_NS6detail15normal_iteratorINS9_10device_ptrIjEEEEPS5_m11less_div_10IjEEE10hipError_tT0_T1_T2_jT3_P12ihipStream_tbPNSt15iterator_traitsISJ_E10value_typeEPNSP_ISK_E10value_typeEPSL_NS1_7vsmem_tEENKUlT_SJ_SK_SL_E_clISE_PjSF_SF_EESI_SY_SJ_SK_SL_EUlSY_E0_NS1_11comp_targetILNS1_3genE4ELNS1_11target_archE910ELNS1_3gpuE8ELNS1_3repE0EEENS1_38merge_mergepath_config_static_selectorELNS0_4arch9wavefront6targetE0EEEvSK_
; %bb.0:
	.section	.rodata,"a",@progbits
	.p2align	6, 0x0
	.amdhsa_kernel _ZN7rocprim17ROCPRIM_400000_NS6detail17trampoline_kernelINS0_14default_configENS1_38merge_sort_block_merge_config_selectorIjNS0_10empty_typeEEEZZNS1_27merge_sort_block_merge_implIS3_N6thrust23THRUST_200600_302600_NS6detail15normal_iteratorINS9_10device_ptrIjEEEEPS5_m11less_div_10IjEEE10hipError_tT0_T1_T2_jT3_P12ihipStream_tbPNSt15iterator_traitsISJ_E10value_typeEPNSP_ISK_E10value_typeEPSL_NS1_7vsmem_tEENKUlT_SJ_SK_SL_E_clISE_PjSF_SF_EESI_SY_SJ_SK_SL_EUlSY_E0_NS1_11comp_targetILNS1_3genE4ELNS1_11target_archE910ELNS1_3gpuE8ELNS1_3repE0EEENS1_38merge_mergepath_config_static_selectorELNS0_4arch9wavefront6targetE0EEEvSK_
		.amdhsa_group_segment_fixed_size 0
		.amdhsa_private_segment_fixed_size 0
		.amdhsa_kernarg_size 72
		.amdhsa_user_sgpr_count 6
		.amdhsa_user_sgpr_private_segment_buffer 1
		.amdhsa_user_sgpr_dispatch_ptr 0
		.amdhsa_user_sgpr_queue_ptr 0
		.amdhsa_user_sgpr_kernarg_segment_ptr 1
		.amdhsa_user_sgpr_dispatch_id 0
		.amdhsa_user_sgpr_flat_scratch_init 0
		.amdhsa_user_sgpr_private_segment_size 0
		.amdhsa_wavefront_size32 1
		.amdhsa_uses_dynamic_stack 0
		.amdhsa_system_sgpr_private_segment_wavefront_offset 0
		.amdhsa_system_sgpr_workgroup_id_x 1
		.amdhsa_system_sgpr_workgroup_id_y 0
		.amdhsa_system_sgpr_workgroup_id_z 0
		.amdhsa_system_sgpr_workgroup_info 0
		.amdhsa_system_vgpr_workitem_id 0
		.amdhsa_next_free_vgpr 1
		.amdhsa_next_free_sgpr 1
		.amdhsa_reserve_vcc 0
		.amdhsa_reserve_flat_scratch 0
		.amdhsa_float_round_mode_32 0
		.amdhsa_float_round_mode_16_64 0
		.amdhsa_float_denorm_mode_32 3
		.amdhsa_float_denorm_mode_16_64 3
		.amdhsa_dx10_clamp 1
		.amdhsa_ieee_mode 1
		.amdhsa_fp16_overflow 0
		.amdhsa_workgroup_processor_mode 1
		.amdhsa_memory_ordered 1
		.amdhsa_forward_progress 1
		.amdhsa_shared_vgpr_count 0
		.amdhsa_exception_fp_ieee_invalid_op 0
		.amdhsa_exception_fp_denorm_src 0
		.amdhsa_exception_fp_ieee_div_zero 0
		.amdhsa_exception_fp_ieee_overflow 0
		.amdhsa_exception_fp_ieee_underflow 0
		.amdhsa_exception_fp_ieee_inexact 0
		.amdhsa_exception_int_div_zero 0
	.end_amdhsa_kernel
	.section	.text._ZN7rocprim17ROCPRIM_400000_NS6detail17trampoline_kernelINS0_14default_configENS1_38merge_sort_block_merge_config_selectorIjNS0_10empty_typeEEEZZNS1_27merge_sort_block_merge_implIS3_N6thrust23THRUST_200600_302600_NS6detail15normal_iteratorINS9_10device_ptrIjEEEEPS5_m11less_div_10IjEEE10hipError_tT0_T1_T2_jT3_P12ihipStream_tbPNSt15iterator_traitsISJ_E10value_typeEPNSP_ISK_E10value_typeEPSL_NS1_7vsmem_tEENKUlT_SJ_SK_SL_E_clISE_PjSF_SF_EESI_SY_SJ_SK_SL_EUlSY_E0_NS1_11comp_targetILNS1_3genE4ELNS1_11target_archE910ELNS1_3gpuE8ELNS1_3repE0EEENS1_38merge_mergepath_config_static_selectorELNS0_4arch9wavefront6targetE0EEEvSK_,"axG",@progbits,_ZN7rocprim17ROCPRIM_400000_NS6detail17trampoline_kernelINS0_14default_configENS1_38merge_sort_block_merge_config_selectorIjNS0_10empty_typeEEEZZNS1_27merge_sort_block_merge_implIS3_N6thrust23THRUST_200600_302600_NS6detail15normal_iteratorINS9_10device_ptrIjEEEEPS5_m11less_div_10IjEEE10hipError_tT0_T1_T2_jT3_P12ihipStream_tbPNSt15iterator_traitsISJ_E10value_typeEPNSP_ISK_E10value_typeEPSL_NS1_7vsmem_tEENKUlT_SJ_SK_SL_E_clISE_PjSF_SF_EESI_SY_SJ_SK_SL_EUlSY_E0_NS1_11comp_targetILNS1_3genE4ELNS1_11target_archE910ELNS1_3gpuE8ELNS1_3repE0EEENS1_38merge_mergepath_config_static_selectorELNS0_4arch9wavefront6targetE0EEEvSK_,comdat
.Lfunc_end182:
	.size	_ZN7rocprim17ROCPRIM_400000_NS6detail17trampoline_kernelINS0_14default_configENS1_38merge_sort_block_merge_config_selectorIjNS0_10empty_typeEEEZZNS1_27merge_sort_block_merge_implIS3_N6thrust23THRUST_200600_302600_NS6detail15normal_iteratorINS9_10device_ptrIjEEEEPS5_m11less_div_10IjEEE10hipError_tT0_T1_T2_jT3_P12ihipStream_tbPNSt15iterator_traitsISJ_E10value_typeEPNSP_ISK_E10value_typeEPSL_NS1_7vsmem_tEENKUlT_SJ_SK_SL_E_clISE_PjSF_SF_EESI_SY_SJ_SK_SL_EUlSY_E0_NS1_11comp_targetILNS1_3genE4ELNS1_11target_archE910ELNS1_3gpuE8ELNS1_3repE0EEENS1_38merge_mergepath_config_static_selectorELNS0_4arch9wavefront6targetE0EEEvSK_, .Lfunc_end182-_ZN7rocprim17ROCPRIM_400000_NS6detail17trampoline_kernelINS0_14default_configENS1_38merge_sort_block_merge_config_selectorIjNS0_10empty_typeEEEZZNS1_27merge_sort_block_merge_implIS3_N6thrust23THRUST_200600_302600_NS6detail15normal_iteratorINS9_10device_ptrIjEEEEPS5_m11less_div_10IjEEE10hipError_tT0_T1_T2_jT3_P12ihipStream_tbPNSt15iterator_traitsISJ_E10value_typeEPNSP_ISK_E10value_typeEPSL_NS1_7vsmem_tEENKUlT_SJ_SK_SL_E_clISE_PjSF_SF_EESI_SY_SJ_SK_SL_EUlSY_E0_NS1_11comp_targetILNS1_3genE4ELNS1_11target_archE910ELNS1_3gpuE8ELNS1_3repE0EEENS1_38merge_mergepath_config_static_selectorELNS0_4arch9wavefront6targetE0EEEvSK_
                                        ; -- End function
	.set _ZN7rocprim17ROCPRIM_400000_NS6detail17trampoline_kernelINS0_14default_configENS1_38merge_sort_block_merge_config_selectorIjNS0_10empty_typeEEEZZNS1_27merge_sort_block_merge_implIS3_N6thrust23THRUST_200600_302600_NS6detail15normal_iteratorINS9_10device_ptrIjEEEEPS5_m11less_div_10IjEEE10hipError_tT0_T1_T2_jT3_P12ihipStream_tbPNSt15iterator_traitsISJ_E10value_typeEPNSP_ISK_E10value_typeEPSL_NS1_7vsmem_tEENKUlT_SJ_SK_SL_E_clISE_PjSF_SF_EESI_SY_SJ_SK_SL_EUlSY_E0_NS1_11comp_targetILNS1_3genE4ELNS1_11target_archE910ELNS1_3gpuE8ELNS1_3repE0EEENS1_38merge_mergepath_config_static_selectorELNS0_4arch9wavefront6targetE0EEEvSK_.num_vgpr, 0
	.set _ZN7rocprim17ROCPRIM_400000_NS6detail17trampoline_kernelINS0_14default_configENS1_38merge_sort_block_merge_config_selectorIjNS0_10empty_typeEEEZZNS1_27merge_sort_block_merge_implIS3_N6thrust23THRUST_200600_302600_NS6detail15normal_iteratorINS9_10device_ptrIjEEEEPS5_m11less_div_10IjEEE10hipError_tT0_T1_T2_jT3_P12ihipStream_tbPNSt15iterator_traitsISJ_E10value_typeEPNSP_ISK_E10value_typeEPSL_NS1_7vsmem_tEENKUlT_SJ_SK_SL_E_clISE_PjSF_SF_EESI_SY_SJ_SK_SL_EUlSY_E0_NS1_11comp_targetILNS1_3genE4ELNS1_11target_archE910ELNS1_3gpuE8ELNS1_3repE0EEENS1_38merge_mergepath_config_static_selectorELNS0_4arch9wavefront6targetE0EEEvSK_.num_agpr, 0
	.set _ZN7rocprim17ROCPRIM_400000_NS6detail17trampoline_kernelINS0_14default_configENS1_38merge_sort_block_merge_config_selectorIjNS0_10empty_typeEEEZZNS1_27merge_sort_block_merge_implIS3_N6thrust23THRUST_200600_302600_NS6detail15normal_iteratorINS9_10device_ptrIjEEEEPS5_m11less_div_10IjEEE10hipError_tT0_T1_T2_jT3_P12ihipStream_tbPNSt15iterator_traitsISJ_E10value_typeEPNSP_ISK_E10value_typeEPSL_NS1_7vsmem_tEENKUlT_SJ_SK_SL_E_clISE_PjSF_SF_EESI_SY_SJ_SK_SL_EUlSY_E0_NS1_11comp_targetILNS1_3genE4ELNS1_11target_archE910ELNS1_3gpuE8ELNS1_3repE0EEENS1_38merge_mergepath_config_static_selectorELNS0_4arch9wavefront6targetE0EEEvSK_.numbered_sgpr, 0
	.set _ZN7rocprim17ROCPRIM_400000_NS6detail17trampoline_kernelINS0_14default_configENS1_38merge_sort_block_merge_config_selectorIjNS0_10empty_typeEEEZZNS1_27merge_sort_block_merge_implIS3_N6thrust23THRUST_200600_302600_NS6detail15normal_iteratorINS9_10device_ptrIjEEEEPS5_m11less_div_10IjEEE10hipError_tT0_T1_T2_jT3_P12ihipStream_tbPNSt15iterator_traitsISJ_E10value_typeEPNSP_ISK_E10value_typeEPSL_NS1_7vsmem_tEENKUlT_SJ_SK_SL_E_clISE_PjSF_SF_EESI_SY_SJ_SK_SL_EUlSY_E0_NS1_11comp_targetILNS1_3genE4ELNS1_11target_archE910ELNS1_3gpuE8ELNS1_3repE0EEENS1_38merge_mergepath_config_static_selectorELNS0_4arch9wavefront6targetE0EEEvSK_.num_named_barrier, 0
	.set _ZN7rocprim17ROCPRIM_400000_NS6detail17trampoline_kernelINS0_14default_configENS1_38merge_sort_block_merge_config_selectorIjNS0_10empty_typeEEEZZNS1_27merge_sort_block_merge_implIS3_N6thrust23THRUST_200600_302600_NS6detail15normal_iteratorINS9_10device_ptrIjEEEEPS5_m11less_div_10IjEEE10hipError_tT0_T1_T2_jT3_P12ihipStream_tbPNSt15iterator_traitsISJ_E10value_typeEPNSP_ISK_E10value_typeEPSL_NS1_7vsmem_tEENKUlT_SJ_SK_SL_E_clISE_PjSF_SF_EESI_SY_SJ_SK_SL_EUlSY_E0_NS1_11comp_targetILNS1_3genE4ELNS1_11target_archE910ELNS1_3gpuE8ELNS1_3repE0EEENS1_38merge_mergepath_config_static_selectorELNS0_4arch9wavefront6targetE0EEEvSK_.private_seg_size, 0
	.set _ZN7rocprim17ROCPRIM_400000_NS6detail17trampoline_kernelINS0_14default_configENS1_38merge_sort_block_merge_config_selectorIjNS0_10empty_typeEEEZZNS1_27merge_sort_block_merge_implIS3_N6thrust23THRUST_200600_302600_NS6detail15normal_iteratorINS9_10device_ptrIjEEEEPS5_m11less_div_10IjEEE10hipError_tT0_T1_T2_jT3_P12ihipStream_tbPNSt15iterator_traitsISJ_E10value_typeEPNSP_ISK_E10value_typeEPSL_NS1_7vsmem_tEENKUlT_SJ_SK_SL_E_clISE_PjSF_SF_EESI_SY_SJ_SK_SL_EUlSY_E0_NS1_11comp_targetILNS1_3genE4ELNS1_11target_archE910ELNS1_3gpuE8ELNS1_3repE0EEENS1_38merge_mergepath_config_static_selectorELNS0_4arch9wavefront6targetE0EEEvSK_.uses_vcc, 0
	.set _ZN7rocprim17ROCPRIM_400000_NS6detail17trampoline_kernelINS0_14default_configENS1_38merge_sort_block_merge_config_selectorIjNS0_10empty_typeEEEZZNS1_27merge_sort_block_merge_implIS3_N6thrust23THRUST_200600_302600_NS6detail15normal_iteratorINS9_10device_ptrIjEEEEPS5_m11less_div_10IjEEE10hipError_tT0_T1_T2_jT3_P12ihipStream_tbPNSt15iterator_traitsISJ_E10value_typeEPNSP_ISK_E10value_typeEPSL_NS1_7vsmem_tEENKUlT_SJ_SK_SL_E_clISE_PjSF_SF_EESI_SY_SJ_SK_SL_EUlSY_E0_NS1_11comp_targetILNS1_3genE4ELNS1_11target_archE910ELNS1_3gpuE8ELNS1_3repE0EEENS1_38merge_mergepath_config_static_selectorELNS0_4arch9wavefront6targetE0EEEvSK_.uses_flat_scratch, 0
	.set _ZN7rocprim17ROCPRIM_400000_NS6detail17trampoline_kernelINS0_14default_configENS1_38merge_sort_block_merge_config_selectorIjNS0_10empty_typeEEEZZNS1_27merge_sort_block_merge_implIS3_N6thrust23THRUST_200600_302600_NS6detail15normal_iteratorINS9_10device_ptrIjEEEEPS5_m11less_div_10IjEEE10hipError_tT0_T1_T2_jT3_P12ihipStream_tbPNSt15iterator_traitsISJ_E10value_typeEPNSP_ISK_E10value_typeEPSL_NS1_7vsmem_tEENKUlT_SJ_SK_SL_E_clISE_PjSF_SF_EESI_SY_SJ_SK_SL_EUlSY_E0_NS1_11comp_targetILNS1_3genE4ELNS1_11target_archE910ELNS1_3gpuE8ELNS1_3repE0EEENS1_38merge_mergepath_config_static_selectorELNS0_4arch9wavefront6targetE0EEEvSK_.has_dyn_sized_stack, 0
	.set _ZN7rocprim17ROCPRIM_400000_NS6detail17trampoline_kernelINS0_14default_configENS1_38merge_sort_block_merge_config_selectorIjNS0_10empty_typeEEEZZNS1_27merge_sort_block_merge_implIS3_N6thrust23THRUST_200600_302600_NS6detail15normal_iteratorINS9_10device_ptrIjEEEEPS5_m11less_div_10IjEEE10hipError_tT0_T1_T2_jT3_P12ihipStream_tbPNSt15iterator_traitsISJ_E10value_typeEPNSP_ISK_E10value_typeEPSL_NS1_7vsmem_tEENKUlT_SJ_SK_SL_E_clISE_PjSF_SF_EESI_SY_SJ_SK_SL_EUlSY_E0_NS1_11comp_targetILNS1_3genE4ELNS1_11target_archE910ELNS1_3gpuE8ELNS1_3repE0EEENS1_38merge_mergepath_config_static_selectorELNS0_4arch9wavefront6targetE0EEEvSK_.has_recursion, 0
	.set _ZN7rocprim17ROCPRIM_400000_NS6detail17trampoline_kernelINS0_14default_configENS1_38merge_sort_block_merge_config_selectorIjNS0_10empty_typeEEEZZNS1_27merge_sort_block_merge_implIS3_N6thrust23THRUST_200600_302600_NS6detail15normal_iteratorINS9_10device_ptrIjEEEEPS5_m11less_div_10IjEEE10hipError_tT0_T1_T2_jT3_P12ihipStream_tbPNSt15iterator_traitsISJ_E10value_typeEPNSP_ISK_E10value_typeEPSL_NS1_7vsmem_tEENKUlT_SJ_SK_SL_E_clISE_PjSF_SF_EESI_SY_SJ_SK_SL_EUlSY_E0_NS1_11comp_targetILNS1_3genE4ELNS1_11target_archE910ELNS1_3gpuE8ELNS1_3repE0EEENS1_38merge_mergepath_config_static_selectorELNS0_4arch9wavefront6targetE0EEEvSK_.has_indirect_call, 0
	.section	.AMDGPU.csdata,"",@progbits
; Kernel info:
; codeLenInByte = 0
; TotalNumSgprs: 0
; NumVgprs: 0
; ScratchSize: 0
; MemoryBound: 0
; FloatMode: 240
; IeeeMode: 1
; LDSByteSize: 0 bytes/workgroup (compile time only)
; SGPRBlocks: 0
; VGPRBlocks: 0
; NumSGPRsForWavesPerEU: 1
; NumVGPRsForWavesPerEU: 1
; Occupancy: 16
; WaveLimiterHint : 0
; COMPUTE_PGM_RSRC2:SCRATCH_EN: 0
; COMPUTE_PGM_RSRC2:USER_SGPR: 6
; COMPUTE_PGM_RSRC2:TRAP_HANDLER: 0
; COMPUTE_PGM_RSRC2:TGID_X_EN: 1
; COMPUTE_PGM_RSRC2:TGID_Y_EN: 0
; COMPUTE_PGM_RSRC2:TGID_Z_EN: 0
; COMPUTE_PGM_RSRC2:TIDIG_COMP_CNT: 0
	.section	.text._ZN7rocprim17ROCPRIM_400000_NS6detail17trampoline_kernelINS0_14default_configENS1_38merge_sort_block_merge_config_selectorIjNS0_10empty_typeEEEZZNS1_27merge_sort_block_merge_implIS3_N6thrust23THRUST_200600_302600_NS6detail15normal_iteratorINS9_10device_ptrIjEEEEPS5_m11less_div_10IjEEE10hipError_tT0_T1_T2_jT3_P12ihipStream_tbPNSt15iterator_traitsISJ_E10value_typeEPNSP_ISK_E10value_typeEPSL_NS1_7vsmem_tEENKUlT_SJ_SK_SL_E_clISE_PjSF_SF_EESI_SY_SJ_SK_SL_EUlSY_E0_NS1_11comp_targetILNS1_3genE3ELNS1_11target_archE908ELNS1_3gpuE7ELNS1_3repE0EEENS1_38merge_mergepath_config_static_selectorELNS0_4arch9wavefront6targetE0EEEvSK_,"axG",@progbits,_ZN7rocprim17ROCPRIM_400000_NS6detail17trampoline_kernelINS0_14default_configENS1_38merge_sort_block_merge_config_selectorIjNS0_10empty_typeEEEZZNS1_27merge_sort_block_merge_implIS3_N6thrust23THRUST_200600_302600_NS6detail15normal_iteratorINS9_10device_ptrIjEEEEPS5_m11less_div_10IjEEE10hipError_tT0_T1_T2_jT3_P12ihipStream_tbPNSt15iterator_traitsISJ_E10value_typeEPNSP_ISK_E10value_typeEPSL_NS1_7vsmem_tEENKUlT_SJ_SK_SL_E_clISE_PjSF_SF_EESI_SY_SJ_SK_SL_EUlSY_E0_NS1_11comp_targetILNS1_3genE3ELNS1_11target_archE908ELNS1_3gpuE7ELNS1_3repE0EEENS1_38merge_mergepath_config_static_selectorELNS0_4arch9wavefront6targetE0EEEvSK_,comdat
	.protected	_ZN7rocprim17ROCPRIM_400000_NS6detail17trampoline_kernelINS0_14default_configENS1_38merge_sort_block_merge_config_selectorIjNS0_10empty_typeEEEZZNS1_27merge_sort_block_merge_implIS3_N6thrust23THRUST_200600_302600_NS6detail15normal_iteratorINS9_10device_ptrIjEEEEPS5_m11less_div_10IjEEE10hipError_tT0_T1_T2_jT3_P12ihipStream_tbPNSt15iterator_traitsISJ_E10value_typeEPNSP_ISK_E10value_typeEPSL_NS1_7vsmem_tEENKUlT_SJ_SK_SL_E_clISE_PjSF_SF_EESI_SY_SJ_SK_SL_EUlSY_E0_NS1_11comp_targetILNS1_3genE3ELNS1_11target_archE908ELNS1_3gpuE7ELNS1_3repE0EEENS1_38merge_mergepath_config_static_selectorELNS0_4arch9wavefront6targetE0EEEvSK_ ; -- Begin function _ZN7rocprim17ROCPRIM_400000_NS6detail17trampoline_kernelINS0_14default_configENS1_38merge_sort_block_merge_config_selectorIjNS0_10empty_typeEEEZZNS1_27merge_sort_block_merge_implIS3_N6thrust23THRUST_200600_302600_NS6detail15normal_iteratorINS9_10device_ptrIjEEEEPS5_m11less_div_10IjEEE10hipError_tT0_T1_T2_jT3_P12ihipStream_tbPNSt15iterator_traitsISJ_E10value_typeEPNSP_ISK_E10value_typeEPSL_NS1_7vsmem_tEENKUlT_SJ_SK_SL_E_clISE_PjSF_SF_EESI_SY_SJ_SK_SL_EUlSY_E0_NS1_11comp_targetILNS1_3genE3ELNS1_11target_archE908ELNS1_3gpuE7ELNS1_3repE0EEENS1_38merge_mergepath_config_static_selectorELNS0_4arch9wavefront6targetE0EEEvSK_
	.globl	_ZN7rocprim17ROCPRIM_400000_NS6detail17trampoline_kernelINS0_14default_configENS1_38merge_sort_block_merge_config_selectorIjNS0_10empty_typeEEEZZNS1_27merge_sort_block_merge_implIS3_N6thrust23THRUST_200600_302600_NS6detail15normal_iteratorINS9_10device_ptrIjEEEEPS5_m11less_div_10IjEEE10hipError_tT0_T1_T2_jT3_P12ihipStream_tbPNSt15iterator_traitsISJ_E10value_typeEPNSP_ISK_E10value_typeEPSL_NS1_7vsmem_tEENKUlT_SJ_SK_SL_E_clISE_PjSF_SF_EESI_SY_SJ_SK_SL_EUlSY_E0_NS1_11comp_targetILNS1_3genE3ELNS1_11target_archE908ELNS1_3gpuE7ELNS1_3repE0EEENS1_38merge_mergepath_config_static_selectorELNS0_4arch9wavefront6targetE0EEEvSK_
	.p2align	8
	.type	_ZN7rocprim17ROCPRIM_400000_NS6detail17trampoline_kernelINS0_14default_configENS1_38merge_sort_block_merge_config_selectorIjNS0_10empty_typeEEEZZNS1_27merge_sort_block_merge_implIS3_N6thrust23THRUST_200600_302600_NS6detail15normal_iteratorINS9_10device_ptrIjEEEEPS5_m11less_div_10IjEEE10hipError_tT0_T1_T2_jT3_P12ihipStream_tbPNSt15iterator_traitsISJ_E10value_typeEPNSP_ISK_E10value_typeEPSL_NS1_7vsmem_tEENKUlT_SJ_SK_SL_E_clISE_PjSF_SF_EESI_SY_SJ_SK_SL_EUlSY_E0_NS1_11comp_targetILNS1_3genE3ELNS1_11target_archE908ELNS1_3gpuE7ELNS1_3repE0EEENS1_38merge_mergepath_config_static_selectorELNS0_4arch9wavefront6targetE0EEEvSK_,@function
_ZN7rocprim17ROCPRIM_400000_NS6detail17trampoline_kernelINS0_14default_configENS1_38merge_sort_block_merge_config_selectorIjNS0_10empty_typeEEEZZNS1_27merge_sort_block_merge_implIS3_N6thrust23THRUST_200600_302600_NS6detail15normal_iteratorINS9_10device_ptrIjEEEEPS5_m11less_div_10IjEEE10hipError_tT0_T1_T2_jT3_P12ihipStream_tbPNSt15iterator_traitsISJ_E10value_typeEPNSP_ISK_E10value_typeEPSL_NS1_7vsmem_tEENKUlT_SJ_SK_SL_E_clISE_PjSF_SF_EESI_SY_SJ_SK_SL_EUlSY_E0_NS1_11comp_targetILNS1_3genE3ELNS1_11target_archE908ELNS1_3gpuE7ELNS1_3repE0EEENS1_38merge_mergepath_config_static_selectorELNS0_4arch9wavefront6targetE0EEEvSK_: ; @_ZN7rocprim17ROCPRIM_400000_NS6detail17trampoline_kernelINS0_14default_configENS1_38merge_sort_block_merge_config_selectorIjNS0_10empty_typeEEEZZNS1_27merge_sort_block_merge_implIS3_N6thrust23THRUST_200600_302600_NS6detail15normal_iteratorINS9_10device_ptrIjEEEEPS5_m11less_div_10IjEEE10hipError_tT0_T1_T2_jT3_P12ihipStream_tbPNSt15iterator_traitsISJ_E10value_typeEPNSP_ISK_E10value_typeEPSL_NS1_7vsmem_tEENKUlT_SJ_SK_SL_E_clISE_PjSF_SF_EESI_SY_SJ_SK_SL_EUlSY_E0_NS1_11comp_targetILNS1_3genE3ELNS1_11target_archE908ELNS1_3gpuE7ELNS1_3repE0EEENS1_38merge_mergepath_config_static_selectorELNS0_4arch9wavefront6targetE0EEEvSK_
; %bb.0:
	.section	.rodata,"a",@progbits
	.p2align	6, 0x0
	.amdhsa_kernel _ZN7rocprim17ROCPRIM_400000_NS6detail17trampoline_kernelINS0_14default_configENS1_38merge_sort_block_merge_config_selectorIjNS0_10empty_typeEEEZZNS1_27merge_sort_block_merge_implIS3_N6thrust23THRUST_200600_302600_NS6detail15normal_iteratorINS9_10device_ptrIjEEEEPS5_m11less_div_10IjEEE10hipError_tT0_T1_T2_jT3_P12ihipStream_tbPNSt15iterator_traitsISJ_E10value_typeEPNSP_ISK_E10value_typeEPSL_NS1_7vsmem_tEENKUlT_SJ_SK_SL_E_clISE_PjSF_SF_EESI_SY_SJ_SK_SL_EUlSY_E0_NS1_11comp_targetILNS1_3genE3ELNS1_11target_archE908ELNS1_3gpuE7ELNS1_3repE0EEENS1_38merge_mergepath_config_static_selectorELNS0_4arch9wavefront6targetE0EEEvSK_
		.amdhsa_group_segment_fixed_size 0
		.amdhsa_private_segment_fixed_size 0
		.amdhsa_kernarg_size 72
		.amdhsa_user_sgpr_count 6
		.amdhsa_user_sgpr_private_segment_buffer 1
		.amdhsa_user_sgpr_dispatch_ptr 0
		.amdhsa_user_sgpr_queue_ptr 0
		.amdhsa_user_sgpr_kernarg_segment_ptr 1
		.amdhsa_user_sgpr_dispatch_id 0
		.amdhsa_user_sgpr_flat_scratch_init 0
		.amdhsa_user_sgpr_private_segment_size 0
		.amdhsa_wavefront_size32 1
		.amdhsa_uses_dynamic_stack 0
		.amdhsa_system_sgpr_private_segment_wavefront_offset 0
		.amdhsa_system_sgpr_workgroup_id_x 1
		.amdhsa_system_sgpr_workgroup_id_y 0
		.amdhsa_system_sgpr_workgroup_id_z 0
		.amdhsa_system_sgpr_workgroup_info 0
		.amdhsa_system_vgpr_workitem_id 0
		.amdhsa_next_free_vgpr 1
		.amdhsa_next_free_sgpr 1
		.amdhsa_reserve_vcc 0
		.amdhsa_reserve_flat_scratch 0
		.amdhsa_float_round_mode_32 0
		.amdhsa_float_round_mode_16_64 0
		.amdhsa_float_denorm_mode_32 3
		.amdhsa_float_denorm_mode_16_64 3
		.amdhsa_dx10_clamp 1
		.amdhsa_ieee_mode 1
		.amdhsa_fp16_overflow 0
		.amdhsa_workgroup_processor_mode 1
		.amdhsa_memory_ordered 1
		.amdhsa_forward_progress 1
		.amdhsa_shared_vgpr_count 0
		.amdhsa_exception_fp_ieee_invalid_op 0
		.amdhsa_exception_fp_denorm_src 0
		.amdhsa_exception_fp_ieee_div_zero 0
		.amdhsa_exception_fp_ieee_overflow 0
		.amdhsa_exception_fp_ieee_underflow 0
		.amdhsa_exception_fp_ieee_inexact 0
		.amdhsa_exception_int_div_zero 0
	.end_amdhsa_kernel
	.section	.text._ZN7rocprim17ROCPRIM_400000_NS6detail17trampoline_kernelINS0_14default_configENS1_38merge_sort_block_merge_config_selectorIjNS0_10empty_typeEEEZZNS1_27merge_sort_block_merge_implIS3_N6thrust23THRUST_200600_302600_NS6detail15normal_iteratorINS9_10device_ptrIjEEEEPS5_m11less_div_10IjEEE10hipError_tT0_T1_T2_jT3_P12ihipStream_tbPNSt15iterator_traitsISJ_E10value_typeEPNSP_ISK_E10value_typeEPSL_NS1_7vsmem_tEENKUlT_SJ_SK_SL_E_clISE_PjSF_SF_EESI_SY_SJ_SK_SL_EUlSY_E0_NS1_11comp_targetILNS1_3genE3ELNS1_11target_archE908ELNS1_3gpuE7ELNS1_3repE0EEENS1_38merge_mergepath_config_static_selectorELNS0_4arch9wavefront6targetE0EEEvSK_,"axG",@progbits,_ZN7rocprim17ROCPRIM_400000_NS6detail17trampoline_kernelINS0_14default_configENS1_38merge_sort_block_merge_config_selectorIjNS0_10empty_typeEEEZZNS1_27merge_sort_block_merge_implIS3_N6thrust23THRUST_200600_302600_NS6detail15normal_iteratorINS9_10device_ptrIjEEEEPS5_m11less_div_10IjEEE10hipError_tT0_T1_T2_jT3_P12ihipStream_tbPNSt15iterator_traitsISJ_E10value_typeEPNSP_ISK_E10value_typeEPSL_NS1_7vsmem_tEENKUlT_SJ_SK_SL_E_clISE_PjSF_SF_EESI_SY_SJ_SK_SL_EUlSY_E0_NS1_11comp_targetILNS1_3genE3ELNS1_11target_archE908ELNS1_3gpuE7ELNS1_3repE0EEENS1_38merge_mergepath_config_static_selectorELNS0_4arch9wavefront6targetE0EEEvSK_,comdat
.Lfunc_end183:
	.size	_ZN7rocprim17ROCPRIM_400000_NS6detail17trampoline_kernelINS0_14default_configENS1_38merge_sort_block_merge_config_selectorIjNS0_10empty_typeEEEZZNS1_27merge_sort_block_merge_implIS3_N6thrust23THRUST_200600_302600_NS6detail15normal_iteratorINS9_10device_ptrIjEEEEPS5_m11less_div_10IjEEE10hipError_tT0_T1_T2_jT3_P12ihipStream_tbPNSt15iterator_traitsISJ_E10value_typeEPNSP_ISK_E10value_typeEPSL_NS1_7vsmem_tEENKUlT_SJ_SK_SL_E_clISE_PjSF_SF_EESI_SY_SJ_SK_SL_EUlSY_E0_NS1_11comp_targetILNS1_3genE3ELNS1_11target_archE908ELNS1_3gpuE7ELNS1_3repE0EEENS1_38merge_mergepath_config_static_selectorELNS0_4arch9wavefront6targetE0EEEvSK_, .Lfunc_end183-_ZN7rocprim17ROCPRIM_400000_NS6detail17trampoline_kernelINS0_14default_configENS1_38merge_sort_block_merge_config_selectorIjNS0_10empty_typeEEEZZNS1_27merge_sort_block_merge_implIS3_N6thrust23THRUST_200600_302600_NS6detail15normal_iteratorINS9_10device_ptrIjEEEEPS5_m11less_div_10IjEEE10hipError_tT0_T1_T2_jT3_P12ihipStream_tbPNSt15iterator_traitsISJ_E10value_typeEPNSP_ISK_E10value_typeEPSL_NS1_7vsmem_tEENKUlT_SJ_SK_SL_E_clISE_PjSF_SF_EESI_SY_SJ_SK_SL_EUlSY_E0_NS1_11comp_targetILNS1_3genE3ELNS1_11target_archE908ELNS1_3gpuE7ELNS1_3repE0EEENS1_38merge_mergepath_config_static_selectorELNS0_4arch9wavefront6targetE0EEEvSK_
                                        ; -- End function
	.set _ZN7rocprim17ROCPRIM_400000_NS6detail17trampoline_kernelINS0_14default_configENS1_38merge_sort_block_merge_config_selectorIjNS0_10empty_typeEEEZZNS1_27merge_sort_block_merge_implIS3_N6thrust23THRUST_200600_302600_NS6detail15normal_iteratorINS9_10device_ptrIjEEEEPS5_m11less_div_10IjEEE10hipError_tT0_T1_T2_jT3_P12ihipStream_tbPNSt15iterator_traitsISJ_E10value_typeEPNSP_ISK_E10value_typeEPSL_NS1_7vsmem_tEENKUlT_SJ_SK_SL_E_clISE_PjSF_SF_EESI_SY_SJ_SK_SL_EUlSY_E0_NS1_11comp_targetILNS1_3genE3ELNS1_11target_archE908ELNS1_3gpuE7ELNS1_3repE0EEENS1_38merge_mergepath_config_static_selectorELNS0_4arch9wavefront6targetE0EEEvSK_.num_vgpr, 0
	.set _ZN7rocprim17ROCPRIM_400000_NS6detail17trampoline_kernelINS0_14default_configENS1_38merge_sort_block_merge_config_selectorIjNS0_10empty_typeEEEZZNS1_27merge_sort_block_merge_implIS3_N6thrust23THRUST_200600_302600_NS6detail15normal_iteratorINS9_10device_ptrIjEEEEPS5_m11less_div_10IjEEE10hipError_tT0_T1_T2_jT3_P12ihipStream_tbPNSt15iterator_traitsISJ_E10value_typeEPNSP_ISK_E10value_typeEPSL_NS1_7vsmem_tEENKUlT_SJ_SK_SL_E_clISE_PjSF_SF_EESI_SY_SJ_SK_SL_EUlSY_E0_NS1_11comp_targetILNS1_3genE3ELNS1_11target_archE908ELNS1_3gpuE7ELNS1_3repE0EEENS1_38merge_mergepath_config_static_selectorELNS0_4arch9wavefront6targetE0EEEvSK_.num_agpr, 0
	.set _ZN7rocprim17ROCPRIM_400000_NS6detail17trampoline_kernelINS0_14default_configENS1_38merge_sort_block_merge_config_selectorIjNS0_10empty_typeEEEZZNS1_27merge_sort_block_merge_implIS3_N6thrust23THRUST_200600_302600_NS6detail15normal_iteratorINS9_10device_ptrIjEEEEPS5_m11less_div_10IjEEE10hipError_tT0_T1_T2_jT3_P12ihipStream_tbPNSt15iterator_traitsISJ_E10value_typeEPNSP_ISK_E10value_typeEPSL_NS1_7vsmem_tEENKUlT_SJ_SK_SL_E_clISE_PjSF_SF_EESI_SY_SJ_SK_SL_EUlSY_E0_NS1_11comp_targetILNS1_3genE3ELNS1_11target_archE908ELNS1_3gpuE7ELNS1_3repE0EEENS1_38merge_mergepath_config_static_selectorELNS0_4arch9wavefront6targetE0EEEvSK_.numbered_sgpr, 0
	.set _ZN7rocprim17ROCPRIM_400000_NS6detail17trampoline_kernelINS0_14default_configENS1_38merge_sort_block_merge_config_selectorIjNS0_10empty_typeEEEZZNS1_27merge_sort_block_merge_implIS3_N6thrust23THRUST_200600_302600_NS6detail15normal_iteratorINS9_10device_ptrIjEEEEPS5_m11less_div_10IjEEE10hipError_tT0_T1_T2_jT3_P12ihipStream_tbPNSt15iterator_traitsISJ_E10value_typeEPNSP_ISK_E10value_typeEPSL_NS1_7vsmem_tEENKUlT_SJ_SK_SL_E_clISE_PjSF_SF_EESI_SY_SJ_SK_SL_EUlSY_E0_NS1_11comp_targetILNS1_3genE3ELNS1_11target_archE908ELNS1_3gpuE7ELNS1_3repE0EEENS1_38merge_mergepath_config_static_selectorELNS0_4arch9wavefront6targetE0EEEvSK_.num_named_barrier, 0
	.set _ZN7rocprim17ROCPRIM_400000_NS6detail17trampoline_kernelINS0_14default_configENS1_38merge_sort_block_merge_config_selectorIjNS0_10empty_typeEEEZZNS1_27merge_sort_block_merge_implIS3_N6thrust23THRUST_200600_302600_NS6detail15normal_iteratorINS9_10device_ptrIjEEEEPS5_m11less_div_10IjEEE10hipError_tT0_T1_T2_jT3_P12ihipStream_tbPNSt15iterator_traitsISJ_E10value_typeEPNSP_ISK_E10value_typeEPSL_NS1_7vsmem_tEENKUlT_SJ_SK_SL_E_clISE_PjSF_SF_EESI_SY_SJ_SK_SL_EUlSY_E0_NS1_11comp_targetILNS1_3genE3ELNS1_11target_archE908ELNS1_3gpuE7ELNS1_3repE0EEENS1_38merge_mergepath_config_static_selectorELNS0_4arch9wavefront6targetE0EEEvSK_.private_seg_size, 0
	.set _ZN7rocprim17ROCPRIM_400000_NS6detail17trampoline_kernelINS0_14default_configENS1_38merge_sort_block_merge_config_selectorIjNS0_10empty_typeEEEZZNS1_27merge_sort_block_merge_implIS3_N6thrust23THRUST_200600_302600_NS6detail15normal_iteratorINS9_10device_ptrIjEEEEPS5_m11less_div_10IjEEE10hipError_tT0_T1_T2_jT3_P12ihipStream_tbPNSt15iterator_traitsISJ_E10value_typeEPNSP_ISK_E10value_typeEPSL_NS1_7vsmem_tEENKUlT_SJ_SK_SL_E_clISE_PjSF_SF_EESI_SY_SJ_SK_SL_EUlSY_E0_NS1_11comp_targetILNS1_3genE3ELNS1_11target_archE908ELNS1_3gpuE7ELNS1_3repE0EEENS1_38merge_mergepath_config_static_selectorELNS0_4arch9wavefront6targetE0EEEvSK_.uses_vcc, 0
	.set _ZN7rocprim17ROCPRIM_400000_NS6detail17trampoline_kernelINS0_14default_configENS1_38merge_sort_block_merge_config_selectorIjNS0_10empty_typeEEEZZNS1_27merge_sort_block_merge_implIS3_N6thrust23THRUST_200600_302600_NS6detail15normal_iteratorINS9_10device_ptrIjEEEEPS5_m11less_div_10IjEEE10hipError_tT0_T1_T2_jT3_P12ihipStream_tbPNSt15iterator_traitsISJ_E10value_typeEPNSP_ISK_E10value_typeEPSL_NS1_7vsmem_tEENKUlT_SJ_SK_SL_E_clISE_PjSF_SF_EESI_SY_SJ_SK_SL_EUlSY_E0_NS1_11comp_targetILNS1_3genE3ELNS1_11target_archE908ELNS1_3gpuE7ELNS1_3repE0EEENS1_38merge_mergepath_config_static_selectorELNS0_4arch9wavefront6targetE0EEEvSK_.uses_flat_scratch, 0
	.set _ZN7rocprim17ROCPRIM_400000_NS6detail17trampoline_kernelINS0_14default_configENS1_38merge_sort_block_merge_config_selectorIjNS0_10empty_typeEEEZZNS1_27merge_sort_block_merge_implIS3_N6thrust23THRUST_200600_302600_NS6detail15normal_iteratorINS9_10device_ptrIjEEEEPS5_m11less_div_10IjEEE10hipError_tT0_T1_T2_jT3_P12ihipStream_tbPNSt15iterator_traitsISJ_E10value_typeEPNSP_ISK_E10value_typeEPSL_NS1_7vsmem_tEENKUlT_SJ_SK_SL_E_clISE_PjSF_SF_EESI_SY_SJ_SK_SL_EUlSY_E0_NS1_11comp_targetILNS1_3genE3ELNS1_11target_archE908ELNS1_3gpuE7ELNS1_3repE0EEENS1_38merge_mergepath_config_static_selectorELNS0_4arch9wavefront6targetE0EEEvSK_.has_dyn_sized_stack, 0
	.set _ZN7rocprim17ROCPRIM_400000_NS6detail17trampoline_kernelINS0_14default_configENS1_38merge_sort_block_merge_config_selectorIjNS0_10empty_typeEEEZZNS1_27merge_sort_block_merge_implIS3_N6thrust23THRUST_200600_302600_NS6detail15normal_iteratorINS9_10device_ptrIjEEEEPS5_m11less_div_10IjEEE10hipError_tT0_T1_T2_jT3_P12ihipStream_tbPNSt15iterator_traitsISJ_E10value_typeEPNSP_ISK_E10value_typeEPSL_NS1_7vsmem_tEENKUlT_SJ_SK_SL_E_clISE_PjSF_SF_EESI_SY_SJ_SK_SL_EUlSY_E0_NS1_11comp_targetILNS1_3genE3ELNS1_11target_archE908ELNS1_3gpuE7ELNS1_3repE0EEENS1_38merge_mergepath_config_static_selectorELNS0_4arch9wavefront6targetE0EEEvSK_.has_recursion, 0
	.set _ZN7rocprim17ROCPRIM_400000_NS6detail17trampoline_kernelINS0_14default_configENS1_38merge_sort_block_merge_config_selectorIjNS0_10empty_typeEEEZZNS1_27merge_sort_block_merge_implIS3_N6thrust23THRUST_200600_302600_NS6detail15normal_iteratorINS9_10device_ptrIjEEEEPS5_m11less_div_10IjEEE10hipError_tT0_T1_T2_jT3_P12ihipStream_tbPNSt15iterator_traitsISJ_E10value_typeEPNSP_ISK_E10value_typeEPSL_NS1_7vsmem_tEENKUlT_SJ_SK_SL_E_clISE_PjSF_SF_EESI_SY_SJ_SK_SL_EUlSY_E0_NS1_11comp_targetILNS1_3genE3ELNS1_11target_archE908ELNS1_3gpuE7ELNS1_3repE0EEENS1_38merge_mergepath_config_static_selectorELNS0_4arch9wavefront6targetE0EEEvSK_.has_indirect_call, 0
	.section	.AMDGPU.csdata,"",@progbits
; Kernel info:
; codeLenInByte = 0
; TotalNumSgprs: 0
; NumVgprs: 0
; ScratchSize: 0
; MemoryBound: 0
; FloatMode: 240
; IeeeMode: 1
; LDSByteSize: 0 bytes/workgroup (compile time only)
; SGPRBlocks: 0
; VGPRBlocks: 0
; NumSGPRsForWavesPerEU: 1
; NumVGPRsForWavesPerEU: 1
; Occupancy: 16
; WaveLimiterHint : 0
; COMPUTE_PGM_RSRC2:SCRATCH_EN: 0
; COMPUTE_PGM_RSRC2:USER_SGPR: 6
; COMPUTE_PGM_RSRC2:TRAP_HANDLER: 0
; COMPUTE_PGM_RSRC2:TGID_X_EN: 1
; COMPUTE_PGM_RSRC2:TGID_Y_EN: 0
; COMPUTE_PGM_RSRC2:TGID_Z_EN: 0
; COMPUTE_PGM_RSRC2:TIDIG_COMP_CNT: 0
	.section	.text._ZN7rocprim17ROCPRIM_400000_NS6detail17trampoline_kernelINS0_14default_configENS1_38merge_sort_block_merge_config_selectorIjNS0_10empty_typeEEEZZNS1_27merge_sort_block_merge_implIS3_N6thrust23THRUST_200600_302600_NS6detail15normal_iteratorINS9_10device_ptrIjEEEEPS5_m11less_div_10IjEEE10hipError_tT0_T1_T2_jT3_P12ihipStream_tbPNSt15iterator_traitsISJ_E10value_typeEPNSP_ISK_E10value_typeEPSL_NS1_7vsmem_tEENKUlT_SJ_SK_SL_E_clISE_PjSF_SF_EESI_SY_SJ_SK_SL_EUlSY_E0_NS1_11comp_targetILNS1_3genE2ELNS1_11target_archE906ELNS1_3gpuE6ELNS1_3repE0EEENS1_38merge_mergepath_config_static_selectorELNS0_4arch9wavefront6targetE0EEEvSK_,"axG",@progbits,_ZN7rocprim17ROCPRIM_400000_NS6detail17trampoline_kernelINS0_14default_configENS1_38merge_sort_block_merge_config_selectorIjNS0_10empty_typeEEEZZNS1_27merge_sort_block_merge_implIS3_N6thrust23THRUST_200600_302600_NS6detail15normal_iteratorINS9_10device_ptrIjEEEEPS5_m11less_div_10IjEEE10hipError_tT0_T1_T2_jT3_P12ihipStream_tbPNSt15iterator_traitsISJ_E10value_typeEPNSP_ISK_E10value_typeEPSL_NS1_7vsmem_tEENKUlT_SJ_SK_SL_E_clISE_PjSF_SF_EESI_SY_SJ_SK_SL_EUlSY_E0_NS1_11comp_targetILNS1_3genE2ELNS1_11target_archE906ELNS1_3gpuE6ELNS1_3repE0EEENS1_38merge_mergepath_config_static_selectorELNS0_4arch9wavefront6targetE0EEEvSK_,comdat
	.protected	_ZN7rocprim17ROCPRIM_400000_NS6detail17trampoline_kernelINS0_14default_configENS1_38merge_sort_block_merge_config_selectorIjNS0_10empty_typeEEEZZNS1_27merge_sort_block_merge_implIS3_N6thrust23THRUST_200600_302600_NS6detail15normal_iteratorINS9_10device_ptrIjEEEEPS5_m11less_div_10IjEEE10hipError_tT0_T1_T2_jT3_P12ihipStream_tbPNSt15iterator_traitsISJ_E10value_typeEPNSP_ISK_E10value_typeEPSL_NS1_7vsmem_tEENKUlT_SJ_SK_SL_E_clISE_PjSF_SF_EESI_SY_SJ_SK_SL_EUlSY_E0_NS1_11comp_targetILNS1_3genE2ELNS1_11target_archE906ELNS1_3gpuE6ELNS1_3repE0EEENS1_38merge_mergepath_config_static_selectorELNS0_4arch9wavefront6targetE0EEEvSK_ ; -- Begin function _ZN7rocprim17ROCPRIM_400000_NS6detail17trampoline_kernelINS0_14default_configENS1_38merge_sort_block_merge_config_selectorIjNS0_10empty_typeEEEZZNS1_27merge_sort_block_merge_implIS3_N6thrust23THRUST_200600_302600_NS6detail15normal_iteratorINS9_10device_ptrIjEEEEPS5_m11less_div_10IjEEE10hipError_tT0_T1_T2_jT3_P12ihipStream_tbPNSt15iterator_traitsISJ_E10value_typeEPNSP_ISK_E10value_typeEPSL_NS1_7vsmem_tEENKUlT_SJ_SK_SL_E_clISE_PjSF_SF_EESI_SY_SJ_SK_SL_EUlSY_E0_NS1_11comp_targetILNS1_3genE2ELNS1_11target_archE906ELNS1_3gpuE6ELNS1_3repE0EEENS1_38merge_mergepath_config_static_selectorELNS0_4arch9wavefront6targetE0EEEvSK_
	.globl	_ZN7rocprim17ROCPRIM_400000_NS6detail17trampoline_kernelINS0_14default_configENS1_38merge_sort_block_merge_config_selectorIjNS0_10empty_typeEEEZZNS1_27merge_sort_block_merge_implIS3_N6thrust23THRUST_200600_302600_NS6detail15normal_iteratorINS9_10device_ptrIjEEEEPS5_m11less_div_10IjEEE10hipError_tT0_T1_T2_jT3_P12ihipStream_tbPNSt15iterator_traitsISJ_E10value_typeEPNSP_ISK_E10value_typeEPSL_NS1_7vsmem_tEENKUlT_SJ_SK_SL_E_clISE_PjSF_SF_EESI_SY_SJ_SK_SL_EUlSY_E0_NS1_11comp_targetILNS1_3genE2ELNS1_11target_archE906ELNS1_3gpuE6ELNS1_3repE0EEENS1_38merge_mergepath_config_static_selectorELNS0_4arch9wavefront6targetE0EEEvSK_
	.p2align	8
	.type	_ZN7rocprim17ROCPRIM_400000_NS6detail17trampoline_kernelINS0_14default_configENS1_38merge_sort_block_merge_config_selectorIjNS0_10empty_typeEEEZZNS1_27merge_sort_block_merge_implIS3_N6thrust23THRUST_200600_302600_NS6detail15normal_iteratorINS9_10device_ptrIjEEEEPS5_m11less_div_10IjEEE10hipError_tT0_T1_T2_jT3_P12ihipStream_tbPNSt15iterator_traitsISJ_E10value_typeEPNSP_ISK_E10value_typeEPSL_NS1_7vsmem_tEENKUlT_SJ_SK_SL_E_clISE_PjSF_SF_EESI_SY_SJ_SK_SL_EUlSY_E0_NS1_11comp_targetILNS1_3genE2ELNS1_11target_archE906ELNS1_3gpuE6ELNS1_3repE0EEENS1_38merge_mergepath_config_static_selectorELNS0_4arch9wavefront6targetE0EEEvSK_,@function
_ZN7rocprim17ROCPRIM_400000_NS6detail17trampoline_kernelINS0_14default_configENS1_38merge_sort_block_merge_config_selectorIjNS0_10empty_typeEEEZZNS1_27merge_sort_block_merge_implIS3_N6thrust23THRUST_200600_302600_NS6detail15normal_iteratorINS9_10device_ptrIjEEEEPS5_m11less_div_10IjEEE10hipError_tT0_T1_T2_jT3_P12ihipStream_tbPNSt15iterator_traitsISJ_E10value_typeEPNSP_ISK_E10value_typeEPSL_NS1_7vsmem_tEENKUlT_SJ_SK_SL_E_clISE_PjSF_SF_EESI_SY_SJ_SK_SL_EUlSY_E0_NS1_11comp_targetILNS1_3genE2ELNS1_11target_archE906ELNS1_3gpuE6ELNS1_3repE0EEENS1_38merge_mergepath_config_static_selectorELNS0_4arch9wavefront6targetE0EEEvSK_: ; @_ZN7rocprim17ROCPRIM_400000_NS6detail17trampoline_kernelINS0_14default_configENS1_38merge_sort_block_merge_config_selectorIjNS0_10empty_typeEEEZZNS1_27merge_sort_block_merge_implIS3_N6thrust23THRUST_200600_302600_NS6detail15normal_iteratorINS9_10device_ptrIjEEEEPS5_m11less_div_10IjEEE10hipError_tT0_T1_T2_jT3_P12ihipStream_tbPNSt15iterator_traitsISJ_E10value_typeEPNSP_ISK_E10value_typeEPSL_NS1_7vsmem_tEENKUlT_SJ_SK_SL_E_clISE_PjSF_SF_EESI_SY_SJ_SK_SL_EUlSY_E0_NS1_11comp_targetILNS1_3genE2ELNS1_11target_archE906ELNS1_3gpuE6ELNS1_3repE0EEENS1_38merge_mergepath_config_static_selectorELNS0_4arch9wavefront6targetE0EEEvSK_
; %bb.0:
	.section	.rodata,"a",@progbits
	.p2align	6, 0x0
	.amdhsa_kernel _ZN7rocprim17ROCPRIM_400000_NS6detail17trampoline_kernelINS0_14default_configENS1_38merge_sort_block_merge_config_selectorIjNS0_10empty_typeEEEZZNS1_27merge_sort_block_merge_implIS3_N6thrust23THRUST_200600_302600_NS6detail15normal_iteratorINS9_10device_ptrIjEEEEPS5_m11less_div_10IjEEE10hipError_tT0_T1_T2_jT3_P12ihipStream_tbPNSt15iterator_traitsISJ_E10value_typeEPNSP_ISK_E10value_typeEPSL_NS1_7vsmem_tEENKUlT_SJ_SK_SL_E_clISE_PjSF_SF_EESI_SY_SJ_SK_SL_EUlSY_E0_NS1_11comp_targetILNS1_3genE2ELNS1_11target_archE906ELNS1_3gpuE6ELNS1_3repE0EEENS1_38merge_mergepath_config_static_selectorELNS0_4arch9wavefront6targetE0EEEvSK_
		.amdhsa_group_segment_fixed_size 0
		.amdhsa_private_segment_fixed_size 0
		.amdhsa_kernarg_size 72
		.amdhsa_user_sgpr_count 6
		.amdhsa_user_sgpr_private_segment_buffer 1
		.amdhsa_user_sgpr_dispatch_ptr 0
		.amdhsa_user_sgpr_queue_ptr 0
		.amdhsa_user_sgpr_kernarg_segment_ptr 1
		.amdhsa_user_sgpr_dispatch_id 0
		.amdhsa_user_sgpr_flat_scratch_init 0
		.amdhsa_user_sgpr_private_segment_size 0
		.amdhsa_wavefront_size32 1
		.amdhsa_uses_dynamic_stack 0
		.amdhsa_system_sgpr_private_segment_wavefront_offset 0
		.amdhsa_system_sgpr_workgroup_id_x 1
		.amdhsa_system_sgpr_workgroup_id_y 0
		.amdhsa_system_sgpr_workgroup_id_z 0
		.amdhsa_system_sgpr_workgroup_info 0
		.amdhsa_system_vgpr_workitem_id 0
		.amdhsa_next_free_vgpr 1
		.amdhsa_next_free_sgpr 1
		.amdhsa_reserve_vcc 0
		.amdhsa_reserve_flat_scratch 0
		.amdhsa_float_round_mode_32 0
		.amdhsa_float_round_mode_16_64 0
		.amdhsa_float_denorm_mode_32 3
		.amdhsa_float_denorm_mode_16_64 3
		.amdhsa_dx10_clamp 1
		.amdhsa_ieee_mode 1
		.amdhsa_fp16_overflow 0
		.amdhsa_workgroup_processor_mode 1
		.amdhsa_memory_ordered 1
		.amdhsa_forward_progress 1
		.amdhsa_shared_vgpr_count 0
		.amdhsa_exception_fp_ieee_invalid_op 0
		.amdhsa_exception_fp_denorm_src 0
		.amdhsa_exception_fp_ieee_div_zero 0
		.amdhsa_exception_fp_ieee_overflow 0
		.amdhsa_exception_fp_ieee_underflow 0
		.amdhsa_exception_fp_ieee_inexact 0
		.amdhsa_exception_int_div_zero 0
	.end_amdhsa_kernel
	.section	.text._ZN7rocprim17ROCPRIM_400000_NS6detail17trampoline_kernelINS0_14default_configENS1_38merge_sort_block_merge_config_selectorIjNS0_10empty_typeEEEZZNS1_27merge_sort_block_merge_implIS3_N6thrust23THRUST_200600_302600_NS6detail15normal_iteratorINS9_10device_ptrIjEEEEPS5_m11less_div_10IjEEE10hipError_tT0_T1_T2_jT3_P12ihipStream_tbPNSt15iterator_traitsISJ_E10value_typeEPNSP_ISK_E10value_typeEPSL_NS1_7vsmem_tEENKUlT_SJ_SK_SL_E_clISE_PjSF_SF_EESI_SY_SJ_SK_SL_EUlSY_E0_NS1_11comp_targetILNS1_3genE2ELNS1_11target_archE906ELNS1_3gpuE6ELNS1_3repE0EEENS1_38merge_mergepath_config_static_selectorELNS0_4arch9wavefront6targetE0EEEvSK_,"axG",@progbits,_ZN7rocprim17ROCPRIM_400000_NS6detail17trampoline_kernelINS0_14default_configENS1_38merge_sort_block_merge_config_selectorIjNS0_10empty_typeEEEZZNS1_27merge_sort_block_merge_implIS3_N6thrust23THRUST_200600_302600_NS6detail15normal_iteratorINS9_10device_ptrIjEEEEPS5_m11less_div_10IjEEE10hipError_tT0_T1_T2_jT3_P12ihipStream_tbPNSt15iterator_traitsISJ_E10value_typeEPNSP_ISK_E10value_typeEPSL_NS1_7vsmem_tEENKUlT_SJ_SK_SL_E_clISE_PjSF_SF_EESI_SY_SJ_SK_SL_EUlSY_E0_NS1_11comp_targetILNS1_3genE2ELNS1_11target_archE906ELNS1_3gpuE6ELNS1_3repE0EEENS1_38merge_mergepath_config_static_selectorELNS0_4arch9wavefront6targetE0EEEvSK_,comdat
.Lfunc_end184:
	.size	_ZN7rocprim17ROCPRIM_400000_NS6detail17trampoline_kernelINS0_14default_configENS1_38merge_sort_block_merge_config_selectorIjNS0_10empty_typeEEEZZNS1_27merge_sort_block_merge_implIS3_N6thrust23THRUST_200600_302600_NS6detail15normal_iteratorINS9_10device_ptrIjEEEEPS5_m11less_div_10IjEEE10hipError_tT0_T1_T2_jT3_P12ihipStream_tbPNSt15iterator_traitsISJ_E10value_typeEPNSP_ISK_E10value_typeEPSL_NS1_7vsmem_tEENKUlT_SJ_SK_SL_E_clISE_PjSF_SF_EESI_SY_SJ_SK_SL_EUlSY_E0_NS1_11comp_targetILNS1_3genE2ELNS1_11target_archE906ELNS1_3gpuE6ELNS1_3repE0EEENS1_38merge_mergepath_config_static_selectorELNS0_4arch9wavefront6targetE0EEEvSK_, .Lfunc_end184-_ZN7rocprim17ROCPRIM_400000_NS6detail17trampoline_kernelINS0_14default_configENS1_38merge_sort_block_merge_config_selectorIjNS0_10empty_typeEEEZZNS1_27merge_sort_block_merge_implIS3_N6thrust23THRUST_200600_302600_NS6detail15normal_iteratorINS9_10device_ptrIjEEEEPS5_m11less_div_10IjEEE10hipError_tT0_T1_T2_jT3_P12ihipStream_tbPNSt15iterator_traitsISJ_E10value_typeEPNSP_ISK_E10value_typeEPSL_NS1_7vsmem_tEENKUlT_SJ_SK_SL_E_clISE_PjSF_SF_EESI_SY_SJ_SK_SL_EUlSY_E0_NS1_11comp_targetILNS1_3genE2ELNS1_11target_archE906ELNS1_3gpuE6ELNS1_3repE0EEENS1_38merge_mergepath_config_static_selectorELNS0_4arch9wavefront6targetE0EEEvSK_
                                        ; -- End function
	.set _ZN7rocprim17ROCPRIM_400000_NS6detail17trampoline_kernelINS0_14default_configENS1_38merge_sort_block_merge_config_selectorIjNS0_10empty_typeEEEZZNS1_27merge_sort_block_merge_implIS3_N6thrust23THRUST_200600_302600_NS6detail15normal_iteratorINS9_10device_ptrIjEEEEPS5_m11less_div_10IjEEE10hipError_tT0_T1_T2_jT3_P12ihipStream_tbPNSt15iterator_traitsISJ_E10value_typeEPNSP_ISK_E10value_typeEPSL_NS1_7vsmem_tEENKUlT_SJ_SK_SL_E_clISE_PjSF_SF_EESI_SY_SJ_SK_SL_EUlSY_E0_NS1_11comp_targetILNS1_3genE2ELNS1_11target_archE906ELNS1_3gpuE6ELNS1_3repE0EEENS1_38merge_mergepath_config_static_selectorELNS0_4arch9wavefront6targetE0EEEvSK_.num_vgpr, 0
	.set _ZN7rocprim17ROCPRIM_400000_NS6detail17trampoline_kernelINS0_14default_configENS1_38merge_sort_block_merge_config_selectorIjNS0_10empty_typeEEEZZNS1_27merge_sort_block_merge_implIS3_N6thrust23THRUST_200600_302600_NS6detail15normal_iteratorINS9_10device_ptrIjEEEEPS5_m11less_div_10IjEEE10hipError_tT0_T1_T2_jT3_P12ihipStream_tbPNSt15iterator_traitsISJ_E10value_typeEPNSP_ISK_E10value_typeEPSL_NS1_7vsmem_tEENKUlT_SJ_SK_SL_E_clISE_PjSF_SF_EESI_SY_SJ_SK_SL_EUlSY_E0_NS1_11comp_targetILNS1_3genE2ELNS1_11target_archE906ELNS1_3gpuE6ELNS1_3repE0EEENS1_38merge_mergepath_config_static_selectorELNS0_4arch9wavefront6targetE0EEEvSK_.num_agpr, 0
	.set _ZN7rocprim17ROCPRIM_400000_NS6detail17trampoline_kernelINS0_14default_configENS1_38merge_sort_block_merge_config_selectorIjNS0_10empty_typeEEEZZNS1_27merge_sort_block_merge_implIS3_N6thrust23THRUST_200600_302600_NS6detail15normal_iteratorINS9_10device_ptrIjEEEEPS5_m11less_div_10IjEEE10hipError_tT0_T1_T2_jT3_P12ihipStream_tbPNSt15iterator_traitsISJ_E10value_typeEPNSP_ISK_E10value_typeEPSL_NS1_7vsmem_tEENKUlT_SJ_SK_SL_E_clISE_PjSF_SF_EESI_SY_SJ_SK_SL_EUlSY_E0_NS1_11comp_targetILNS1_3genE2ELNS1_11target_archE906ELNS1_3gpuE6ELNS1_3repE0EEENS1_38merge_mergepath_config_static_selectorELNS0_4arch9wavefront6targetE0EEEvSK_.numbered_sgpr, 0
	.set _ZN7rocprim17ROCPRIM_400000_NS6detail17trampoline_kernelINS0_14default_configENS1_38merge_sort_block_merge_config_selectorIjNS0_10empty_typeEEEZZNS1_27merge_sort_block_merge_implIS3_N6thrust23THRUST_200600_302600_NS6detail15normal_iteratorINS9_10device_ptrIjEEEEPS5_m11less_div_10IjEEE10hipError_tT0_T1_T2_jT3_P12ihipStream_tbPNSt15iterator_traitsISJ_E10value_typeEPNSP_ISK_E10value_typeEPSL_NS1_7vsmem_tEENKUlT_SJ_SK_SL_E_clISE_PjSF_SF_EESI_SY_SJ_SK_SL_EUlSY_E0_NS1_11comp_targetILNS1_3genE2ELNS1_11target_archE906ELNS1_3gpuE6ELNS1_3repE0EEENS1_38merge_mergepath_config_static_selectorELNS0_4arch9wavefront6targetE0EEEvSK_.num_named_barrier, 0
	.set _ZN7rocprim17ROCPRIM_400000_NS6detail17trampoline_kernelINS0_14default_configENS1_38merge_sort_block_merge_config_selectorIjNS0_10empty_typeEEEZZNS1_27merge_sort_block_merge_implIS3_N6thrust23THRUST_200600_302600_NS6detail15normal_iteratorINS9_10device_ptrIjEEEEPS5_m11less_div_10IjEEE10hipError_tT0_T1_T2_jT3_P12ihipStream_tbPNSt15iterator_traitsISJ_E10value_typeEPNSP_ISK_E10value_typeEPSL_NS1_7vsmem_tEENKUlT_SJ_SK_SL_E_clISE_PjSF_SF_EESI_SY_SJ_SK_SL_EUlSY_E0_NS1_11comp_targetILNS1_3genE2ELNS1_11target_archE906ELNS1_3gpuE6ELNS1_3repE0EEENS1_38merge_mergepath_config_static_selectorELNS0_4arch9wavefront6targetE0EEEvSK_.private_seg_size, 0
	.set _ZN7rocprim17ROCPRIM_400000_NS6detail17trampoline_kernelINS0_14default_configENS1_38merge_sort_block_merge_config_selectorIjNS0_10empty_typeEEEZZNS1_27merge_sort_block_merge_implIS3_N6thrust23THRUST_200600_302600_NS6detail15normal_iteratorINS9_10device_ptrIjEEEEPS5_m11less_div_10IjEEE10hipError_tT0_T1_T2_jT3_P12ihipStream_tbPNSt15iterator_traitsISJ_E10value_typeEPNSP_ISK_E10value_typeEPSL_NS1_7vsmem_tEENKUlT_SJ_SK_SL_E_clISE_PjSF_SF_EESI_SY_SJ_SK_SL_EUlSY_E0_NS1_11comp_targetILNS1_3genE2ELNS1_11target_archE906ELNS1_3gpuE6ELNS1_3repE0EEENS1_38merge_mergepath_config_static_selectorELNS0_4arch9wavefront6targetE0EEEvSK_.uses_vcc, 0
	.set _ZN7rocprim17ROCPRIM_400000_NS6detail17trampoline_kernelINS0_14default_configENS1_38merge_sort_block_merge_config_selectorIjNS0_10empty_typeEEEZZNS1_27merge_sort_block_merge_implIS3_N6thrust23THRUST_200600_302600_NS6detail15normal_iteratorINS9_10device_ptrIjEEEEPS5_m11less_div_10IjEEE10hipError_tT0_T1_T2_jT3_P12ihipStream_tbPNSt15iterator_traitsISJ_E10value_typeEPNSP_ISK_E10value_typeEPSL_NS1_7vsmem_tEENKUlT_SJ_SK_SL_E_clISE_PjSF_SF_EESI_SY_SJ_SK_SL_EUlSY_E0_NS1_11comp_targetILNS1_3genE2ELNS1_11target_archE906ELNS1_3gpuE6ELNS1_3repE0EEENS1_38merge_mergepath_config_static_selectorELNS0_4arch9wavefront6targetE0EEEvSK_.uses_flat_scratch, 0
	.set _ZN7rocprim17ROCPRIM_400000_NS6detail17trampoline_kernelINS0_14default_configENS1_38merge_sort_block_merge_config_selectorIjNS0_10empty_typeEEEZZNS1_27merge_sort_block_merge_implIS3_N6thrust23THRUST_200600_302600_NS6detail15normal_iteratorINS9_10device_ptrIjEEEEPS5_m11less_div_10IjEEE10hipError_tT0_T1_T2_jT3_P12ihipStream_tbPNSt15iterator_traitsISJ_E10value_typeEPNSP_ISK_E10value_typeEPSL_NS1_7vsmem_tEENKUlT_SJ_SK_SL_E_clISE_PjSF_SF_EESI_SY_SJ_SK_SL_EUlSY_E0_NS1_11comp_targetILNS1_3genE2ELNS1_11target_archE906ELNS1_3gpuE6ELNS1_3repE0EEENS1_38merge_mergepath_config_static_selectorELNS0_4arch9wavefront6targetE0EEEvSK_.has_dyn_sized_stack, 0
	.set _ZN7rocprim17ROCPRIM_400000_NS6detail17trampoline_kernelINS0_14default_configENS1_38merge_sort_block_merge_config_selectorIjNS0_10empty_typeEEEZZNS1_27merge_sort_block_merge_implIS3_N6thrust23THRUST_200600_302600_NS6detail15normal_iteratorINS9_10device_ptrIjEEEEPS5_m11less_div_10IjEEE10hipError_tT0_T1_T2_jT3_P12ihipStream_tbPNSt15iterator_traitsISJ_E10value_typeEPNSP_ISK_E10value_typeEPSL_NS1_7vsmem_tEENKUlT_SJ_SK_SL_E_clISE_PjSF_SF_EESI_SY_SJ_SK_SL_EUlSY_E0_NS1_11comp_targetILNS1_3genE2ELNS1_11target_archE906ELNS1_3gpuE6ELNS1_3repE0EEENS1_38merge_mergepath_config_static_selectorELNS0_4arch9wavefront6targetE0EEEvSK_.has_recursion, 0
	.set _ZN7rocprim17ROCPRIM_400000_NS6detail17trampoline_kernelINS0_14default_configENS1_38merge_sort_block_merge_config_selectorIjNS0_10empty_typeEEEZZNS1_27merge_sort_block_merge_implIS3_N6thrust23THRUST_200600_302600_NS6detail15normal_iteratorINS9_10device_ptrIjEEEEPS5_m11less_div_10IjEEE10hipError_tT0_T1_T2_jT3_P12ihipStream_tbPNSt15iterator_traitsISJ_E10value_typeEPNSP_ISK_E10value_typeEPSL_NS1_7vsmem_tEENKUlT_SJ_SK_SL_E_clISE_PjSF_SF_EESI_SY_SJ_SK_SL_EUlSY_E0_NS1_11comp_targetILNS1_3genE2ELNS1_11target_archE906ELNS1_3gpuE6ELNS1_3repE0EEENS1_38merge_mergepath_config_static_selectorELNS0_4arch9wavefront6targetE0EEEvSK_.has_indirect_call, 0
	.section	.AMDGPU.csdata,"",@progbits
; Kernel info:
; codeLenInByte = 0
; TotalNumSgprs: 0
; NumVgprs: 0
; ScratchSize: 0
; MemoryBound: 0
; FloatMode: 240
; IeeeMode: 1
; LDSByteSize: 0 bytes/workgroup (compile time only)
; SGPRBlocks: 0
; VGPRBlocks: 0
; NumSGPRsForWavesPerEU: 1
; NumVGPRsForWavesPerEU: 1
; Occupancy: 16
; WaveLimiterHint : 0
; COMPUTE_PGM_RSRC2:SCRATCH_EN: 0
; COMPUTE_PGM_RSRC2:USER_SGPR: 6
; COMPUTE_PGM_RSRC2:TRAP_HANDLER: 0
; COMPUTE_PGM_RSRC2:TGID_X_EN: 1
; COMPUTE_PGM_RSRC2:TGID_Y_EN: 0
; COMPUTE_PGM_RSRC2:TGID_Z_EN: 0
; COMPUTE_PGM_RSRC2:TIDIG_COMP_CNT: 0
	.section	.text._ZN7rocprim17ROCPRIM_400000_NS6detail17trampoline_kernelINS0_14default_configENS1_38merge_sort_block_merge_config_selectorIjNS0_10empty_typeEEEZZNS1_27merge_sort_block_merge_implIS3_N6thrust23THRUST_200600_302600_NS6detail15normal_iteratorINS9_10device_ptrIjEEEEPS5_m11less_div_10IjEEE10hipError_tT0_T1_T2_jT3_P12ihipStream_tbPNSt15iterator_traitsISJ_E10value_typeEPNSP_ISK_E10value_typeEPSL_NS1_7vsmem_tEENKUlT_SJ_SK_SL_E_clISE_PjSF_SF_EESI_SY_SJ_SK_SL_EUlSY_E0_NS1_11comp_targetILNS1_3genE9ELNS1_11target_archE1100ELNS1_3gpuE3ELNS1_3repE0EEENS1_38merge_mergepath_config_static_selectorELNS0_4arch9wavefront6targetE0EEEvSK_,"axG",@progbits,_ZN7rocprim17ROCPRIM_400000_NS6detail17trampoline_kernelINS0_14default_configENS1_38merge_sort_block_merge_config_selectorIjNS0_10empty_typeEEEZZNS1_27merge_sort_block_merge_implIS3_N6thrust23THRUST_200600_302600_NS6detail15normal_iteratorINS9_10device_ptrIjEEEEPS5_m11less_div_10IjEEE10hipError_tT0_T1_T2_jT3_P12ihipStream_tbPNSt15iterator_traitsISJ_E10value_typeEPNSP_ISK_E10value_typeEPSL_NS1_7vsmem_tEENKUlT_SJ_SK_SL_E_clISE_PjSF_SF_EESI_SY_SJ_SK_SL_EUlSY_E0_NS1_11comp_targetILNS1_3genE9ELNS1_11target_archE1100ELNS1_3gpuE3ELNS1_3repE0EEENS1_38merge_mergepath_config_static_selectorELNS0_4arch9wavefront6targetE0EEEvSK_,comdat
	.protected	_ZN7rocprim17ROCPRIM_400000_NS6detail17trampoline_kernelINS0_14default_configENS1_38merge_sort_block_merge_config_selectorIjNS0_10empty_typeEEEZZNS1_27merge_sort_block_merge_implIS3_N6thrust23THRUST_200600_302600_NS6detail15normal_iteratorINS9_10device_ptrIjEEEEPS5_m11less_div_10IjEEE10hipError_tT0_T1_T2_jT3_P12ihipStream_tbPNSt15iterator_traitsISJ_E10value_typeEPNSP_ISK_E10value_typeEPSL_NS1_7vsmem_tEENKUlT_SJ_SK_SL_E_clISE_PjSF_SF_EESI_SY_SJ_SK_SL_EUlSY_E0_NS1_11comp_targetILNS1_3genE9ELNS1_11target_archE1100ELNS1_3gpuE3ELNS1_3repE0EEENS1_38merge_mergepath_config_static_selectorELNS0_4arch9wavefront6targetE0EEEvSK_ ; -- Begin function _ZN7rocprim17ROCPRIM_400000_NS6detail17trampoline_kernelINS0_14default_configENS1_38merge_sort_block_merge_config_selectorIjNS0_10empty_typeEEEZZNS1_27merge_sort_block_merge_implIS3_N6thrust23THRUST_200600_302600_NS6detail15normal_iteratorINS9_10device_ptrIjEEEEPS5_m11less_div_10IjEEE10hipError_tT0_T1_T2_jT3_P12ihipStream_tbPNSt15iterator_traitsISJ_E10value_typeEPNSP_ISK_E10value_typeEPSL_NS1_7vsmem_tEENKUlT_SJ_SK_SL_E_clISE_PjSF_SF_EESI_SY_SJ_SK_SL_EUlSY_E0_NS1_11comp_targetILNS1_3genE9ELNS1_11target_archE1100ELNS1_3gpuE3ELNS1_3repE0EEENS1_38merge_mergepath_config_static_selectorELNS0_4arch9wavefront6targetE0EEEvSK_
	.globl	_ZN7rocprim17ROCPRIM_400000_NS6detail17trampoline_kernelINS0_14default_configENS1_38merge_sort_block_merge_config_selectorIjNS0_10empty_typeEEEZZNS1_27merge_sort_block_merge_implIS3_N6thrust23THRUST_200600_302600_NS6detail15normal_iteratorINS9_10device_ptrIjEEEEPS5_m11less_div_10IjEEE10hipError_tT0_T1_T2_jT3_P12ihipStream_tbPNSt15iterator_traitsISJ_E10value_typeEPNSP_ISK_E10value_typeEPSL_NS1_7vsmem_tEENKUlT_SJ_SK_SL_E_clISE_PjSF_SF_EESI_SY_SJ_SK_SL_EUlSY_E0_NS1_11comp_targetILNS1_3genE9ELNS1_11target_archE1100ELNS1_3gpuE3ELNS1_3repE0EEENS1_38merge_mergepath_config_static_selectorELNS0_4arch9wavefront6targetE0EEEvSK_
	.p2align	8
	.type	_ZN7rocprim17ROCPRIM_400000_NS6detail17trampoline_kernelINS0_14default_configENS1_38merge_sort_block_merge_config_selectorIjNS0_10empty_typeEEEZZNS1_27merge_sort_block_merge_implIS3_N6thrust23THRUST_200600_302600_NS6detail15normal_iteratorINS9_10device_ptrIjEEEEPS5_m11less_div_10IjEEE10hipError_tT0_T1_T2_jT3_P12ihipStream_tbPNSt15iterator_traitsISJ_E10value_typeEPNSP_ISK_E10value_typeEPSL_NS1_7vsmem_tEENKUlT_SJ_SK_SL_E_clISE_PjSF_SF_EESI_SY_SJ_SK_SL_EUlSY_E0_NS1_11comp_targetILNS1_3genE9ELNS1_11target_archE1100ELNS1_3gpuE3ELNS1_3repE0EEENS1_38merge_mergepath_config_static_selectorELNS0_4arch9wavefront6targetE0EEEvSK_,@function
_ZN7rocprim17ROCPRIM_400000_NS6detail17trampoline_kernelINS0_14default_configENS1_38merge_sort_block_merge_config_selectorIjNS0_10empty_typeEEEZZNS1_27merge_sort_block_merge_implIS3_N6thrust23THRUST_200600_302600_NS6detail15normal_iteratorINS9_10device_ptrIjEEEEPS5_m11less_div_10IjEEE10hipError_tT0_T1_T2_jT3_P12ihipStream_tbPNSt15iterator_traitsISJ_E10value_typeEPNSP_ISK_E10value_typeEPSL_NS1_7vsmem_tEENKUlT_SJ_SK_SL_E_clISE_PjSF_SF_EESI_SY_SJ_SK_SL_EUlSY_E0_NS1_11comp_targetILNS1_3genE9ELNS1_11target_archE1100ELNS1_3gpuE3ELNS1_3repE0EEENS1_38merge_mergepath_config_static_selectorELNS0_4arch9wavefront6targetE0EEEvSK_: ; @_ZN7rocprim17ROCPRIM_400000_NS6detail17trampoline_kernelINS0_14default_configENS1_38merge_sort_block_merge_config_selectorIjNS0_10empty_typeEEEZZNS1_27merge_sort_block_merge_implIS3_N6thrust23THRUST_200600_302600_NS6detail15normal_iteratorINS9_10device_ptrIjEEEEPS5_m11less_div_10IjEEE10hipError_tT0_T1_T2_jT3_P12ihipStream_tbPNSt15iterator_traitsISJ_E10value_typeEPNSP_ISK_E10value_typeEPSL_NS1_7vsmem_tEENKUlT_SJ_SK_SL_E_clISE_PjSF_SF_EESI_SY_SJ_SK_SL_EUlSY_E0_NS1_11comp_targetILNS1_3genE9ELNS1_11target_archE1100ELNS1_3gpuE3ELNS1_3repE0EEENS1_38merge_mergepath_config_static_selectorELNS0_4arch9wavefront6targetE0EEEvSK_
; %bb.0:
	.section	.rodata,"a",@progbits
	.p2align	6, 0x0
	.amdhsa_kernel _ZN7rocprim17ROCPRIM_400000_NS6detail17trampoline_kernelINS0_14default_configENS1_38merge_sort_block_merge_config_selectorIjNS0_10empty_typeEEEZZNS1_27merge_sort_block_merge_implIS3_N6thrust23THRUST_200600_302600_NS6detail15normal_iteratorINS9_10device_ptrIjEEEEPS5_m11less_div_10IjEEE10hipError_tT0_T1_T2_jT3_P12ihipStream_tbPNSt15iterator_traitsISJ_E10value_typeEPNSP_ISK_E10value_typeEPSL_NS1_7vsmem_tEENKUlT_SJ_SK_SL_E_clISE_PjSF_SF_EESI_SY_SJ_SK_SL_EUlSY_E0_NS1_11comp_targetILNS1_3genE9ELNS1_11target_archE1100ELNS1_3gpuE3ELNS1_3repE0EEENS1_38merge_mergepath_config_static_selectorELNS0_4arch9wavefront6targetE0EEEvSK_
		.amdhsa_group_segment_fixed_size 0
		.amdhsa_private_segment_fixed_size 0
		.amdhsa_kernarg_size 72
		.amdhsa_user_sgpr_count 6
		.amdhsa_user_sgpr_private_segment_buffer 1
		.amdhsa_user_sgpr_dispatch_ptr 0
		.amdhsa_user_sgpr_queue_ptr 0
		.amdhsa_user_sgpr_kernarg_segment_ptr 1
		.amdhsa_user_sgpr_dispatch_id 0
		.amdhsa_user_sgpr_flat_scratch_init 0
		.amdhsa_user_sgpr_private_segment_size 0
		.amdhsa_wavefront_size32 1
		.amdhsa_uses_dynamic_stack 0
		.amdhsa_system_sgpr_private_segment_wavefront_offset 0
		.amdhsa_system_sgpr_workgroup_id_x 1
		.amdhsa_system_sgpr_workgroup_id_y 0
		.amdhsa_system_sgpr_workgroup_id_z 0
		.amdhsa_system_sgpr_workgroup_info 0
		.amdhsa_system_vgpr_workitem_id 0
		.amdhsa_next_free_vgpr 1
		.amdhsa_next_free_sgpr 1
		.amdhsa_reserve_vcc 0
		.amdhsa_reserve_flat_scratch 0
		.amdhsa_float_round_mode_32 0
		.amdhsa_float_round_mode_16_64 0
		.amdhsa_float_denorm_mode_32 3
		.amdhsa_float_denorm_mode_16_64 3
		.amdhsa_dx10_clamp 1
		.amdhsa_ieee_mode 1
		.amdhsa_fp16_overflow 0
		.amdhsa_workgroup_processor_mode 1
		.amdhsa_memory_ordered 1
		.amdhsa_forward_progress 1
		.amdhsa_shared_vgpr_count 0
		.amdhsa_exception_fp_ieee_invalid_op 0
		.amdhsa_exception_fp_denorm_src 0
		.amdhsa_exception_fp_ieee_div_zero 0
		.amdhsa_exception_fp_ieee_overflow 0
		.amdhsa_exception_fp_ieee_underflow 0
		.amdhsa_exception_fp_ieee_inexact 0
		.amdhsa_exception_int_div_zero 0
	.end_amdhsa_kernel
	.section	.text._ZN7rocprim17ROCPRIM_400000_NS6detail17trampoline_kernelINS0_14default_configENS1_38merge_sort_block_merge_config_selectorIjNS0_10empty_typeEEEZZNS1_27merge_sort_block_merge_implIS3_N6thrust23THRUST_200600_302600_NS6detail15normal_iteratorINS9_10device_ptrIjEEEEPS5_m11less_div_10IjEEE10hipError_tT0_T1_T2_jT3_P12ihipStream_tbPNSt15iterator_traitsISJ_E10value_typeEPNSP_ISK_E10value_typeEPSL_NS1_7vsmem_tEENKUlT_SJ_SK_SL_E_clISE_PjSF_SF_EESI_SY_SJ_SK_SL_EUlSY_E0_NS1_11comp_targetILNS1_3genE9ELNS1_11target_archE1100ELNS1_3gpuE3ELNS1_3repE0EEENS1_38merge_mergepath_config_static_selectorELNS0_4arch9wavefront6targetE0EEEvSK_,"axG",@progbits,_ZN7rocprim17ROCPRIM_400000_NS6detail17trampoline_kernelINS0_14default_configENS1_38merge_sort_block_merge_config_selectorIjNS0_10empty_typeEEEZZNS1_27merge_sort_block_merge_implIS3_N6thrust23THRUST_200600_302600_NS6detail15normal_iteratorINS9_10device_ptrIjEEEEPS5_m11less_div_10IjEEE10hipError_tT0_T1_T2_jT3_P12ihipStream_tbPNSt15iterator_traitsISJ_E10value_typeEPNSP_ISK_E10value_typeEPSL_NS1_7vsmem_tEENKUlT_SJ_SK_SL_E_clISE_PjSF_SF_EESI_SY_SJ_SK_SL_EUlSY_E0_NS1_11comp_targetILNS1_3genE9ELNS1_11target_archE1100ELNS1_3gpuE3ELNS1_3repE0EEENS1_38merge_mergepath_config_static_selectorELNS0_4arch9wavefront6targetE0EEEvSK_,comdat
.Lfunc_end185:
	.size	_ZN7rocprim17ROCPRIM_400000_NS6detail17trampoline_kernelINS0_14default_configENS1_38merge_sort_block_merge_config_selectorIjNS0_10empty_typeEEEZZNS1_27merge_sort_block_merge_implIS3_N6thrust23THRUST_200600_302600_NS6detail15normal_iteratorINS9_10device_ptrIjEEEEPS5_m11less_div_10IjEEE10hipError_tT0_T1_T2_jT3_P12ihipStream_tbPNSt15iterator_traitsISJ_E10value_typeEPNSP_ISK_E10value_typeEPSL_NS1_7vsmem_tEENKUlT_SJ_SK_SL_E_clISE_PjSF_SF_EESI_SY_SJ_SK_SL_EUlSY_E0_NS1_11comp_targetILNS1_3genE9ELNS1_11target_archE1100ELNS1_3gpuE3ELNS1_3repE0EEENS1_38merge_mergepath_config_static_selectorELNS0_4arch9wavefront6targetE0EEEvSK_, .Lfunc_end185-_ZN7rocprim17ROCPRIM_400000_NS6detail17trampoline_kernelINS0_14default_configENS1_38merge_sort_block_merge_config_selectorIjNS0_10empty_typeEEEZZNS1_27merge_sort_block_merge_implIS3_N6thrust23THRUST_200600_302600_NS6detail15normal_iteratorINS9_10device_ptrIjEEEEPS5_m11less_div_10IjEEE10hipError_tT0_T1_T2_jT3_P12ihipStream_tbPNSt15iterator_traitsISJ_E10value_typeEPNSP_ISK_E10value_typeEPSL_NS1_7vsmem_tEENKUlT_SJ_SK_SL_E_clISE_PjSF_SF_EESI_SY_SJ_SK_SL_EUlSY_E0_NS1_11comp_targetILNS1_3genE9ELNS1_11target_archE1100ELNS1_3gpuE3ELNS1_3repE0EEENS1_38merge_mergepath_config_static_selectorELNS0_4arch9wavefront6targetE0EEEvSK_
                                        ; -- End function
	.set _ZN7rocprim17ROCPRIM_400000_NS6detail17trampoline_kernelINS0_14default_configENS1_38merge_sort_block_merge_config_selectorIjNS0_10empty_typeEEEZZNS1_27merge_sort_block_merge_implIS3_N6thrust23THRUST_200600_302600_NS6detail15normal_iteratorINS9_10device_ptrIjEEEEPS5_m11less_div_10IjEEE10hipError_tT0_T1_T2_jT3_P12ihipStream_tbPNSt15iterator_traitsISJ_E10value_typeEPNSP_ISK_E10value_typeEPSL_NS1_7vsmem_tEENKUlT_SJ_SK_SL_E_clISE_PjSF_SF_EESI_SY_SJ_SK_SL_EUlSY_E0_NS1_11comp_targetILNS1_3genE9ELNS1_11target_archE1100ELNS1_3gpuE3ELNS1_3repE0EEENS1_38merge_mergepath_config_static_selectorELNS0_4arch9wavefront6targetE0EEEvSK_.num_vgpr, 0
	.set _ZN7rocprim17ROCPRIM_400000_NS6detail17trampoline_kernelINS0_14default_configENS1_38merge_sort_block_merge_config_selectorIjNS0_10empty_typeEEEZZNS1_27merge_sort_block_merge_implIS3_N6thrust23THRUST_200600_302600_NS6detail15normal_iteratorINS9_10device_ptrIjEEEEPS5_m11less_div_10IjEEE10hipError_tT0_T1_T2_jT3_P12ihipStream_tbPNSt15iterator_traitsISJ_E10value_typeEPNSP_ISK_E10value_typeEPSL_NS1_7vsmem_tEENKUlT_SJ_SK_SL_E_clISE_PjSF_SF_EESI_SY_SJ_SK_SL_EUlSY_E0_NS1_11comp_targetILNS1_3genE9ELNS1_11target_archE1100ELNS1_3gpuE3ELNS1_3repE0EEENS1_38merge_mergepath_config_static_selectorELNS0_4arch9wavefront6targetE0EEEvSK_.num_agpr, 0
	.set _ZN7rocprim17ROCPRIM_400000_NS6detail17trampoline_kernelINS0_14default_configENS1_38merge_sort_block_merge_config_selectorIjNS0_10empty_typeEEEZZNS1_27merge_sort_block_merge_implIS3_N6thrust23THRUST_200600_302600_NS6detail15normal_iteratorINS9_10device_ptrIjEEEEPS5_m11less_div_10IjEEE10hipError_tT0_T1_T2_jT3_P12ihipStream_tbPNSt15iterator_traitsISJ_E10value_typeEPNSP_ISK_E10value_typeEPSL_NS1_7vsmem_tEENKUlT_SJ_SK_SL_E_clISE_PjSF_SF_EESI_SY_SJ_SK_SL_EUlSY_E0_NS1_11comp_targetILNS1_3genE9ELNS1_11target_archE1100ELNS1_3gpuE3ELNS1_3repE0EEENS1_38merge_mergepath_config_static_selectorELNS0_4arch9wavefront6targetE0EEEvSK_.numbered_sgpr, 0
	.set _ZN7rocprim17ROCPRIM_400000_NS6detail17trampoline_kernelINS0_14default_configENS1_38merge_sort_block_merge_config_selectorIjNS0_10empty_typeEEEZZNS1_27merge_sort_block_merge_implIS3_N6thrust23THRUST_200600_302600_NS6detail15normal_iteratorINS9_10device_ptrIjEEEEPS5_m11less_div_10IjEEE10hipError_tT0_T1_T2_jT3_P12ihipStream_tbPNSt15iterator_traitsISJ_E10value_typeEPNSP_ISK_E10value_typeEPSL_NS1_7vsmem_tEENKUlT_SJ_SK_SL_E_clISE_PjSF_SF_EESI_SY_SJ_SK_SL_EUlSY_E0_NS1_11comp_targetILNS1_3genE9ELNS1_11target_archE1100ELNS1_3gpuE3ELNS1_3repE0EEENS1_38merge_mergepath_config_static_selectorELNS0_4arch9wavefront6targetE0EEEvSK_.num_named_barrier, 0
	.set _ZN7rocprim17ROCPRIM_400000_NS6detail17trampoline_kernelINS0_14default_configENS1_38merge_sort_block_merge_config_selectorIjNS0_10empty_typeEEEZZNS1_27merge_sort_block_merge_implIS3_N6thrust23THRUST_200600_302600_NS6detail15normal_iteratorINS9_10device_ptrIjEEEEPS5_m11less_div_10IjEEE10hipError_tT0_T1_T2_jT3_P12ihipStream_tbPNSt15iterator_traitsISJ_E10value_typeEPNSP_ISK_E10value_typeEPSL_NS1_7vsmem_tEENKUlT_SJ_SK_SL_E_clISE_PjSF_SF_EESI_SY_SJ_SK_SL_EUlSY_E0_NS1_11comp_targetILNS1_3genE9ELNS1_11target_archE1100ELNS1_3gpuE3ELNS1_3repE0EEENS1_38merge_mergepath_config_static_selectorELNS0_4arch9wavefront6targetE0EEEvSK_.private_seg_size, 0
	.set _ZN7rocprim17ROCPRIM_400000_NS6detail17trampoline_kernelINS0_14default_configENS1_38merge_sort_block_merge_config_selectorIjNS0_10empty_typeEEEZZNS1_27merge_sort_block_merge_implIS3_N6thrust23THRUST_200600_302600_NS6detail15normal_iteratorINS9_10device_ptrIjEEEEPS5_m11less_div_10IjEEE10hipError_tT0_T1_T2_jT3_P12ihipStream_tbPNSt15iterator_traitsISJ_E10value_typeEPNSP_ISK_E10value_typeEPSL_NS1_7vsmem_tEENKUlT_SJ_SK_SL_E_clISE_PjSF_SF_EESI_SY_SJ_SK_SL_EUlSY_E0_NS1_11comp_targetILNS1_3genE9ELNS1_11target_archE1100ELNS1_3gpuE3ELNS1_3repE0EEENS1_38merge_mergepath_config_static_selectorELNS0_4arch9wavefront6targetE0EEEvSK_.uses_vcc, 0
	.set _ZN7rocprim17ROCPRIM_400000_NS6detail17trampoline_kernelINS0_14default_configENS1_38merge_sort_block_merge_config_selectorIjNS0_10empty_typeEEEZZNS1_27merge_sort_block_merge_implIS3_N6thrust23THRUST_200600_302600_NS6detail15normal_iteratorINS9_10device_ptrIjEEEEPS5_m11less_div_10IjEEE10hipError_tT0_T1_T2_jT3_P12ihipStream_tbPNSt15iterator_traitsISJ_E10value_typeEPNSP_ISK_E10value_typeEPSL_NS1_7vsmem_tEENKUlT_SJ_SK_SL_E_clISE_PjSF_SF_EESI_SY_SJ_SK_SL_EUlSY_E0_NS1_11comp_targetILNS1_3genE9ELNS1_11target_archE1100ELNS1_3gpuE3ELNS1_3repE0EEENS1_38merge_mergepath_config_static_selectorELNS0_4arch9wavefront6targetE0EEEvSK_.uses_flat_scratch, 0
	.set _ZN7rocprim17ROCPRIM_400000_NS6detail17trampoline_kernelINS0_14default_configENS1_38merge_sort_block_merge_config_selectorIjNS0_10empty_typeEEEZZNS1_27merge_sort_block_merge_implIS3_N6thrust23THRUST_200600_302600_NS6detail15normal_iteratorINS9_10device_ptrIjEEEEPS5_m11less_div_10IjEEE10hipError_tT0_T1_T2_jT3_P12ihipStream_tbPNSt15iterator_traitsISJ_E10value_typeEPNSP_ISK_E10value_typeEPSL_NS1_7vsmem_tEENKUlT_SJ_SK_SL_E_clISE_PjSF_SF_EESI_SY_SJ_SK_SL_EUlSY_E0_NS1_11comp_targetILNS1_3genE9ELNS1_11target_archE1100ELNS1_3gpuE3ELNS1_3repE0EEENS1_38merge_mergepath_config_static_selectorELNS0_4arch9wavefront6targetE0EEEvSK_.has_dyn_sized_stack, 0
	.set _ZN7rocprim17ROCPRIM_400000_NS6detail17trampoline_kernelINS0_14default_configENS1_38merge_sort_block_merge_config_selectorIjNS0_10empty_typeEEEZZNS1_27merge_sort_block_merge_implIS3_N6thrust23THRUST_200600_302600_NS6detail15normal_iteratorINS9_10device_ptrIjEEEEPS5_m11less_div_10IjEEE10hipError_tT0_T1_T2_jT3_P12ihipStream_tbPNSt15iterator_traitsISJ_E10value_typeEPNSP_ISK_E10value_typeEPSL_NS1_7vsmem_tEENKUlT_SJ_SK_SL_E_clISE_PjSF_SF_EESI_SY_SJ_SK_SL_EUlSY_E0_NS1_11comp_targetILNS1_3genE9ELNS1_11target_archE1100ELNS1_3gpuE3ELNS1_3repE0EEENS1_38merge_mergepath_config_static_selectorELNS0_4arch9wavefront6targetE0EEEvSK_.has_recursion, 0
	.set _ZN7rocprim17ROCPRIM_400000_NS6detail17trampoline_kernelINS0_14default_configENS1_38merge_sort_block_merge_config_selectorIjNS0_10empty_typeEEEZZNS1_27merge_sort_block_merge_implIS3_N6thrust23THRUST_200600_302600_NS6detail15normal_iteratorINS9_10device_ptrIjEEEEPS5_m11less_div_10IjEEE10hipError_tT0_T1_T2_jT3_P12ihipStream_tbPNSt15iterator_traitsISJ_E10value_typeEPNSP_ISK_E10value_typeEPSL_NS1_7vsmem_tEENKUlT_SJ_SK_SL_E_clISE_PjSF_SF_EESI_SY_SJ_SK_SL_EUlSY_E0_NS1_11comp_targetILNS1_3genE9ELNS1_11target_archE1100ELNS1_3gpuE3ELNS1_3repE0EEENS1_38merge_mergepath_config_static_selectorELNS0_4arch9wavefront6targetE0EEEvSK_.has_indirect_call, 0
	.section	.AMDGPU.csdata,"",@progbits
; Kernel info:
; codeLenInByte = 0
; TotalNumSgprs: 0
; NumVgprs: 0
; ScratchSize: 0
; MemoryBound: 0
; FloatMode: 240
; IeeeMode: 1
; LDSByteSize: 0 bytes/workgroup (compile time only)
; SGPRBlocks: 0
; VGPRBlocks: 0
; NumSGPRsForWavesPerEU: 1
; NumVGPRsForWavesPerEU: 1
; Occupancy: 16
; WaveLimiterHint : 0
; COMPUTE_PGM_RSRC2:SCRATCH_EN: 0
; COMPUTE_PGM_RSRC2:USER_SGPR: 6
; COMPUTE_PGM_RSRC2:TRAP_HANDLER: 0
; COMPUTE_PGM_RSRC2:TGID_X_EN: 1
; COMPUTE_PGM_RSRC2:TGID_Y_EN: 0
; COMPUTE_PGM_RSRC2:TGID_Z_EN: 0
; COMPUTE_PGM_RSRC2:TIDIG_COMP_CNT: 0
	.section	.text._ZN7rocprim17ROCPRIM_400000_NS6detail17trampoline_kernelINS0_14default_configENS1_38merge_sort_block_merge_config_selectorIjNS0_10empty_typeEEEZZNS1_27merge_sort_block_merge_implIS3_N6thrust23THRUST_200600_302600_NS6detail15normal_iteratorINS9_10device_ptrIjEEEEPS5_m11less_div_10IjEEE10hipError_tT0_T1_T2_jT3_P12ihipStream_tbPNSt15iterator_traitsISJ_E10value_typeEPNSP_ISK_E10value_typeEPSL_NS1_7vsmem_tEENKUlT_SJ_SK_SL_E_clISE_PjSF_SF_EESI_SY_SJ_SK_SL_EUlSY_E0_NS1_11comp_targetILNS1_3genE8ELNS1_11target_archE1030ELNS1_3gpuE2ELNS1_3repE0EEENS1_38merge_mergepath_config_static_selectorELNS0_4arch9wavefront6targetE0EEEvSK_,"axG",@progbits,_ZN7rocprim17ROCPRIM_400000_NS6detail17trampoline_kernelINS0_14default_configENS1_38merge_sort_block_merge_config_selectorIjNS0_10empty_typeEEEZZNS1_27merge_sort_block_merge_implIS3_N6thrust23THRUST_200600_302600_NS6detail15normal_iteratorINS9_10device_ptrIjEEEEPS5_m11less_div_10IjEEE10hipError_tT0_T1_T2_jT3_P12ihipStream_tbPNSt15iterator_traitsISJ_E10value_typeEPNSP_ISK_E10value_typeEPSL_NS1_7vsmem_tEENKUlT_SJ_SK_SL_E_clISE_PjSF_SF_EESI_SY_SJ_SK_SL_EUlSY_E0_NS1_11comp_targetILNS1_3genE8ELNS1_11target_archE1030ELNS1_3gpuE2ELNS1_3repE0EEENS1_38merge_mergepath_config_static_selectorELNS0_4arch9wavefront6targetE0EEEvSK_,comdat
	.protected	_ZN7rocprim17ROCPRIM_400000_NS6detail17trampoline_kernelINS0_14default_configENS1_38merge_sort_block_merge_config_selectorIjNS0_10empty_typeEEEZZNS1_27merge_sort_block_merge_implIS3_N6thrust23THRUST_200600_302600_NS6detail15normal_iteratorINS9_10device_ptrIjEEEEPS5_m11less_div_10IjEEE10hipError_tT0_T1_T2_jT3_P12ihipStream_tbPNSt15iterator_traitsISJ_E10value_typeEPNSP_ISK_E10value_typeEPSL_NS1_7vsmem_tEENKUlT_SJ_SK_SL_E_clISE_PjSF_SF_EESI_SY_SJ_SK_SL_EUlSY_E0_NS1_11comp_targetILNS1_3genE8ELNS1_11target_archE1030ELNS1_3gpuE2ELNS1_3repE0EEENS1_38merge_mergepath_config_static_selectorELNS0_4arch9wavefront6targetE0EEEvSK_ ; -- Begin function _ZN7rocprim17ROCPRIM_400000_NS6detail17trampoline_kernelINS0_14default_configENS1_38merge_sort_block_merge_config_selectorIjNS0_10empty_typeEEEZZNS1_27merge_sort_block_merge_implIS3_N6thrust23THRUST_200600_302600_NS6detail15normal_iteratorINS9_10device_ptrIjEEEEPS5_m11less_div_10IjEEE10hipError_tT0_T1_T2_jT3_P12ihipStream_tbPNSt15iterator_traitsISJ_E10value_typeEPNSP_ISK_E10value_typeEPSL_NS1_7vsmem_tEENKUlT_SJ_SK_SL_E_clISE_PjSF_SF_EESI_SY_SJ_SK_SL_EUlSY_E0_NS1_11comp_targetILNS1_3genE8ELNS1_11target_archE1030ELNS1_3gpuE2ELNS1_3repE0EEENS1_38merge_mergepath_config_static_selectorELNS0_4arch9wavefront6targetE0EEEvSK_
	.globl	_ZN7rocprim17ROCPRIM_400000_NS6detail17trampoline_kernelINS0_14default_configENS1_38merge_sort_block_merge_config_selectorIjNS0_10empty_typeEEEZZNS1_27merge_sort_block_merge_implIS3_N6thrust23THRUST_200600_302600_NS6detail15normal_iteratorINS9_10device_ptrIjEEEEPS5_m11less_div_10IjEEE10hipError_tT0_T1_T2_jT3_P12ihipStream_tbPNSt15iterator_traitsISJ_E10value_typeEPNSP_ISK_E10value_typeEPSL_NS1_7vsmem_tEENKUlT_SJ_SK_SL_E_clISE_PjSF_SF_EESI_SY_SJ_SK_SL_EUlSY_E0_NS1_11comp_targetILNS1_3genE8ELNS1_11target_archE1030ELNS1_3gpuE2ELNS1_3repE0EEENS1_38merge_mergepath_config_static_selectorELNS0_4arch9wavefront6targetE0EEEvSK_
	.p2align	8
	.type	_ZN7rocprim17ROCPRIM_400000_NS6detail17trampoline_kernelINS0_14default_configENS1_38merge_sort_block_merge_config_selectorIjNS0_10empty_typeEEEZZNS1_27merge_sort_block_merge_implIS3_N6thrust23THRUST_200600_302600_NS6detail15normal_iteratorINS9_10device_ptrIjEEEEPS5_m11less_div_10IjEEE10hipError_tT0_T1_T2_jT3_P12ihipStream_tbPNSt15iterator_traitsISJ_E10value_typeEPNSP_ISK_E10value_typeEPSL_NS1_7vsmem_tEENKUlT_SJ_SK_SL_E_clISE_PjSF_SF_EESI_SY_SJ_SK_SL_EUlSY_E0_NS1_11comp_targetILNS1_3genE8ELNS1_11target_archE1030ELNS1_3gpuE2ELNS1_3repE0EEENS1_38merge_mergepath_config_static_selectorELNS0_4arch9wavefront6targetE0EEEvSK_,@function
_ZN7rocprim17ROCPRIM_400000_NS6detail17trampoline_kernelINS0_14default_configENS1_38merge_sort_block_merge_config_selectorIjNS0_10empty_typeEEEZZNS1_27merge_sort_block_merge_implIS3_N6thrust23THRUST_200600_302600_NS6detail15normal_iteratorINS9_10device_ptrIjEEEEPS5_m11less_div_10IjEEE10hipError_tT0_T1_T2_jT3_P12ihipStream_tbPNSt15iterator_traitsISJ_E10value_typeEPNSP_ISK_E10value_typeEPSL_NS1_7vsmem_tEENKUlT_SJ_SK_SL_E_clISE_PjSF_SF_EESI_SY_SJ_SK_SL_EUlSY_E0_NS1_11comp_targetILNS1_3genE8ELNS1_11target_archE1030ELNS1_3gpuE2ELNS1_3repE0EEENS1_38merge_mergepath_config_static_selectorELNS0_4arch9wavefront6targetE0EEEvSK_: ; @_ZN7rocprim17ROCPRIM_400000_NS6detail17trampoline_kernelINS0_14default_configENS1_38merge_sort_block_merge_config_selectorIjNS0_10empty_typeEEEZZNS1_27merge_sort_block_merge_implIS3_N6thrust23THRUST_200600_302600_NS6detail15normal_iteratorINS9_10device_ptrIjEEEEPS5_m11less_div_10IjEEE10hipError_tT0_T1_T2_jT3_P12ihipStream_tbPNSt15iterator_traitsISJ_E10value_typeEPNSP_ISK_E10value_typeEPSL_NS1_7vsmem_tEENKUlT_SJ_SK_SL_E_clISE_PjSF_SF_EESI_SY_SJ_SK_SL_EUlSY_E0_NS1_11comp_targetILNS1_3genE8ELNS1_11target_archE1030ELNS1_3gpuE2ELNS1_3repE0EEENS1_38merge_mergepath_config_static_selectorELNS0_4arch9wavefront6targetE0EEEvSK_
; %bb.0:
	s_clause 0x1
	s_load_dwordx2 s[22:23], s[4:5], 0x48
	s_load_dword s0, s[4:5], 0x38
	s_add_u32 s20, s4, 0x48
	s_addc_u32 s21, s5, 0
	s_waitcnt lgkmcnt(0)
	s_mul_i32 s1, s23, s8
	s_add_i32 s1, s1, s7
	s_mul_i32 s1, s1, s22
	s_add_i32 s18, s1, s6
	s_cmp_ge_u32 s18, s0
	s_cbranch_scc1 .LBB186_35
; %bb.1:
	s_clause 0x1
	s_load_dwordx2 s[0:1], s[4:5], 0x40
	s_load_dwordx4 s[8:11], s[4:5], 0x28
	s_mov_b32 s19, 0
	s_lshl_b64 s[2:3], s[18:19], 3
	s_waitcnt lgkmcnt(0)
	s_add_u32 s0, s0, s2
	s_addc_u32 s1, s1, s3
	s_lshl_b64 s[16:17], s[18:19], 10
	s_load_dwordx4 s[12:15], s[0:1], 0x0
	s_lshr_b64 s[0:1], s[10:11], 9
	s_mov_b32 s1, s19
	s_and_b32 s0, s0, -2
	s_sub_i32 s30, 0, s0
	s_and_b32 s0, s18, s30
	s_lshl_b64 s[24:25], s[0:1], 10
	s_sub_u32 s7, s16, s24
	s_subb_u32 s23, s17, s25
	s_lshl_b64 s[26:27], s[0:1], 11
	s_load_dwordx4 s[0:3], s[4:5], 0x8
	s_add_u32 s4, s26, s10
	s_addc_u32 s26, s27, s11
	s_add_u32 s5, s4, s7
	s_addc_u32 s7, s26, s23
	s_waitcnt lgkmcnt(0)
	s_sub_u32 s23, s5, s14
	s_subb_u32 s15, s7, s15
	s_add_u32 s28, s23, 0x400
	s_addc_u32 s29, s15, 0
	v_cmp_lt_u64_e64 s15, s[8:9], s[28:29]
	s_and_b32 s15, s15, exec_lo
	s_cselect_b32 s23, s8, s28
	s_or_b32 s15, s18, s30
	s_cmp_lg_u32 s15, -1
	s_mov_b32 s15, -1
	s_cbranch_scc1 .LBB186_3
; %bb.2:
	s_sub_u32 s24, s4, s24
	s_subb_u32 s25, s26, s25
	v_cmp_lt_u64_e64 s4, s[8:9], s[24:25]
	s_and_b32 s4, s4, exec_lo
	s_cselect_b32 s14, s8, s24
	s_add_u32 s10, s24, s10
	s_addc_u32 s11, s25, s11
	v_cmp_lt_u64_e64 s4, s[8:9], s[10:11]
	s_and_b32 s4, s4, exec_lo
	s_cselect_b32 s23, s8, s10
.LBB186_3:
	s_lshr_b64 s[24:25], s[8:9], 10
	v_mov_b32_e32 v2, 0
	s_cmp_lg_u64 s[24:25], s[18:19]
                                        ; implicit-def: $vgpr5
	s_cselect_b32 s4, -1, 0
	s_sub_u32 s10, s5, s12
	s_subb_u32 s11, s7, s13
	global_load_dword v1, v2, s[20:21] offset:14
	v_cmp_lt_u64_e64 s5, s[8:9], s[10:11]
	s_and_b32 s5, s5, exec_lo
	s_cselect_b32 s26, s8, s10
	s_cselect_b32 s27, s9, s11
	s_lshl_b64 s[10:11], s[12:13], 2
	s_sub_i32 s5, s14, s12
	s_sub_i32 s7, s23, s26
	s_add_u32 s10, s0, s10
	s_addc_u32 s11, s1, s11
	s_lshl_b64 s[12:13], s[26:27], 2
	s_add_u32 s9, s0, s12
	s_addc_u32 s1, s1, s13
	s_cmp_lt_u32 s6, s22
	s_cselect_b32 s0, 12, 18
	s_add_u32 s12, s20, s0
	s_addc_u32 s13, s21, 0
	s_cmp_eq_u64 s[24:25], s[18:19]
	global_load_ushort v3, v2, s[12:13]
	s_waitcnt vmcnt(1)
	v_lshrrev_b32_e32 v4, 16, v1
	v_and_b32_e32 v1, 0xffff, v1
	v_mul_lo_u32 v1, v1, v4
                                        ; implicit-def: $vgpr4
	s_waitcnt vmcnt(0)
	v_mul_lo_u32 v7, v1, v3
	v_lshlrev_b32_e32 v3, 2, v0
                                        ; implicit-def: $vgpr1
	v_add_nc_u32_e32 v6, v7, v0
	s_cbranch_scc0 .LBB186_25
; %bb.4:
	s_andn2_b32 vcc_lo, exec_lo, s15
	s_cbranch_vccz .LBB186_26
.LBB186_5:
	v_mov_b32_e32 v2, 0
	s_and_saveexec_b32 s6, s19
	s_cbranch_execz .LBB186_7
.LBB186_6:
	v_mov_b32_e32 v7, 0
	v_mov_b32_e32 v2, v7
	v_lshlrev_b64 v[8:9], 2, v[1:2]
	v_add_co_u32 v8, vcc_lo, s10, v8
	v_add_co_ci_u32_e64 v9, null, s11, v9, vcc_lo
	v_sub_co_u32 v6, vcc_lo, v1, s5
	v_lshlrev_b64 v[1:2], 2, v[6:7]
	v_add_co_u32 v1, s0, s9, v1
	v_add_co_ci_u32_e64 v2, null, s1, v2, s0
	v_cndmask_b32_e32 v1, v1, v8, vcc_lo
	v_cndmask_b32_e32 v2, v2, v9, vcc_lo
	global_load_dword v2, v[1:2], off
.LBB186_7:
	s_or_b32 exec_lo, exec_lo, s6
	v_lshlrev_b32_e32 v1, 1, v0
	s_mov_b32 s0, exec_lo
	s_waitcnt vmcnt(0)
	ds_write2st64_b32 v3, v5, v2 offset1:8
	s_waitcnt lgkmcnt(0)
	s_barrier
	v_min_u32_e32 v7, v4, v1
	buffer_gl0_inv
	v_sub_nc_u32_e64 v6, v7, s7 clamp
	v_min_u32_e32 v8, s5, v7
	v_cmpx_lt_u32_e64 v6, v8
	s_cbranch_execz .LBB186_11
; %bb.8:
	v_lshlrev_b32_e32 v9, 2, v7
	s_mov_b32 s1, 0
	v_lshl_add_u32 v9, s5, 2, v9
	.p2align	6
.LBB186_9:                              ; =>This Inner Loop Header: Depth=1
	v_add_nc_u32_e32 v10, v8, v6
	v_lshrrev_b32_e32 v10, 1, v10
	v_not_b32_e32 v11, v10
	v_lshlrev_b32_e32 v12, 2, v10
	v_lshl_add_u32 v11, v11, 2, v9
	ds_read_b32 v12, v12
	ds_read_b32 v11, v11
	s_waitcnt lgkmcnt(1)
	v_mul_hi_i32 v12, 0x66666667, v12
	s_waitcnt lgkmcnt(0)
	v_mul_hi_i32 v11, 0x66666667, v11
	v_lshrrev_b32_e32 v13, 31, v12
	v_ashrrev_i32_e32 v12, 2, v12
	v_lshrrev_b32_e32 v14, 31, v11
	v_ashrrev_i32_e32 v11, 2, v11
	v_add_nc_u32_e32 v12, v12, v13
	v_add_nc_u32_e32 v13, 1, v10
	;; [unrolled: 1-line block ×3, first 2 shown]
	v_cmp_lt_i32_e32 vcc_lo, v11, v12
	v_cndmask_b32_e32 v8, v8, v10, vcc_lo
	v_cndmask_b32_e32 v6, v13, v6, vcc_lo
	v_cmp_ge_u32_e32 vcc_lo, v6, v8
	s_or_b32 s1, vcc_lo, s1
	s_andn2_b32 exec_lo, exec_lo, s1
	s_cbranch_execnz .LBB186_9
; %bb.10:
	s_or_b32 exec_lo, exec_lo, s1
.LBB186_11:
	s_or_b32 exec_lo, exec_lo, s0
	v_sub_nc_u32_e32 v7, v7, v6
	v_cmp_ge_u32_e32 vcc_lo, s5, v6
	v_add_nc_u32_e32 v8, s5, v7
	v_cmp_le_u32_e64 s0, v8, v4
	s_or_b32 s0, vcc_lo, s0
	s_and_saveexec_b32 s1, s0
	s_cbranch_execz .LBB186_23
; %bb.12:
	s_mov_b32 s6, exec_lo
	v_cmp_le_u32_e32 vcc_lo, s5, v6
                                        ; implicit-def: $vgpr5
	v_cmpx_gt_u32_e64 s5, v6
; %bb.13:
	v_lshlrev_b32_e32 v2, 2, v6
	ds_read_b32 v5, v2
; %bb.14:
	s_or_b32 exec_lo, exec_lo, s6
	v_cmp_ge_u32_e64 s6, v8, v4
	s_mov_b32 s7, exec_lo
                                        ; implicit-def: $vgpr7
	v_cmpx_lt_u32_e64 v8, v4
; %bb.15:
	v_lshlrev_b32_e32 v2, 2, v8
	ds_read_b32 v7, v2
; %bb.16:
	s_or_b32 exec_lo, exec_lo, s7
	s_nor_b32 s7, vcc_lo, s6
	s_and_saveexec_b32 s0, s7
	s_cbranch_execz .LBB186_18
; %bb.17:
	s_waitcnt lgkmcnt(0)
	v_mul_hi_i32 v2, 0x66666667, v7
	v_mul_hi_i32 v9, 0x66666667, v5
	s_andn2_b32 s6, s6, exec_lo
	v_lshrrev_b32_e32 v10, 31, v2
	v_ashrrev_i32_e32 v2, 2, v2
	v_lshrrev_b32_e32 v11, 31, v9
	v_ashrrev_i32_e32 v9, 2, v9
	v_add_nc_u32_e32 v2, v2, v10
	v_add_nc_u32_e32 v9, v9, v11
	v_cmp_ge_i32_e32 vcc_lo, v2, v9
	s_and_b32 s7, vcc_lo, exec_lo
	s_or_b32 s6, s6, s7
.LBB186_18:
	s_or_b32 exec_lo, exec_lo, s0
	v_cndmask_b32_e64 v2, v8, v6, s6
	v_cndmask_b32_e64 v10, v4, s5, s6
	s_mov_b32 s0, exec_lo
	v_add_nc_u32_e32 v9, 1, v2
	v_add_nc_u32_e32 v2, -1, v10
	v_cndmask_b32_e64 v8, v9, v8, s6
	v_min_u32_e32 v2, v9, v2
	v_lshlrev_b32_e32 v2, 2, v2
	ds_read_b32 v10, v2
	s_waitcnt lgkmcnt(0)
	v_cndmask_b32_e64 v2, v5, v10, s6
	v_cmpx_lt_u32_e64 v8, v4
	s_cbranch_execz .LBB186_22
; %bb.19:
	v_cndmask_b32_e64 v6, v6, v9, s6
	v_cndmask_b32_e64 v4, v10, v7, s6
	v_cmp_gt_u32_e32 vcc_lo, s5, v6
	s_and_saveexec_b32 s5, vcc_lo
	s_cbranch_execz .LBB186_21
; %bb.20:
	v_mul_hi_i32 v6, 0x66666667, v4
	v_mul_hi_i32 v8, 0x66666667, v2
	v_lshrrev_b32_e32 v9, 31, v6
	v_ashrrev_i32_e32 v6, 2, v6
	v_lshrrev_b32_e32 v10, 31, v8
	v_ashrrev_i32_e32 v8, 2, v8
	v_add_nc_u32_e32 v6, v6, v9
	v_add_nc_u32_e32 v8, v8, v10
	v_cmp_lt_i32_e32 vcc_lo, v6, v8
	v_cndmask_b32_e32 v4, v2, v4, vcc_lo
.LBB186_21:
	s_or_b32 exec_lo, exec_lo, s5
	v_mov_b32_e32 v2, v4
.LBB186_22:
	s_or_b32 exec_lo, exec_lo, s0
	v_cndmask_b32_e64 v5, v7, v5, s6
.LBB186_23:
	s_or_b32 exec_lo, exec_lo, s1
	v_lshrrev_b32_e32 v6, 2, v0
	v_or_b32_e32 v4, 0x200, v0
	v_lshrrev_b32_e32 v7, 3, v0
	s_lshl_b64 s[0:1], s[16:17], 2
	v_and_b32_e32 v6, 0x7c, v6
	v_lshrrev_b32_e32 v8, 3, v4
	s_add_u32 s0, s2, s0
	s_barrier
	buffer_gl0_inv
	v_lshl_add_u32 v1, v1, 2, v6
	v_and_b32_e32 v6, 60, v7
	v_and_b32_e32 v7, 0x7c, v8
	s_barrier
	buffer_gl0_inv
	s_addc_u32 s1, s3, s1
	ds_write2_b32 v1, v5, v2 offset1:1
	v_add_co_u32 v1, s0, s0, v3
	v_add_nc_u32_e32 v5, v6, v3
	v_add_nc_u32_e32 v6, v7, v3
	v_add_co_ci_u32_e64 v2, null, s1, 0, s0
	s_and_b32 vcc_lo, exec_lo, s4
	s_waitcnt lgkmcnt(0)
	s_cbranch_vccz .LBB186_29
; %bb.24:
	s_barrier
	buffer_gl0_inv
	ds_read_b32 v7, v5
	ds_read_b32 v3, v6 offset:2048
	s_mov_b32 s0, -1
	s_waitcnt lgkmcnt(1)
	global_store_dword v[1:2], v7, off
	s_cbranch_execz .LBB186_30
	s_branch .LBB186_33
.LBB186_25:
	v_sub_co_u32 v1, vcc_lo, v0, s5
	v_add_co_u32 v4, s0, s10, v3
	v_add_co_ci_u32_e64 v5, null, s11, 0, s0
	v_lshlrev_b64 v[1:2], 2, v[1:2]
	s_mov_b32 s19, -1
	v_add_co_u32 v1, s0, s9, v1
	v_add_co_ci_u32_e64 v2, null, s1, v2, s0
	s_add_i32 s0, s5, s7
	v_cndmask_b32_e32 v1, v1, v4, vcc_lo
	v_mov_b32_e32 v4, s0
	v_cndmask_b32_e32 v2, v2, v5, vcc_lo
	global_load_dword v5, v[1:2], off
	v_add_nc_u32_e32 v1, v7, v0
	s_cbranch_execnz .LBB186_5
.LBB186_26:
	s_waitcnt vmcnt(0)
	v_mov_b32_e32 v5, 0
	s_add_i32 s6, s5, s7
	s_mov_b32 s12, exec_lo
	v_cmpx_gt_u32_e64 s6, v0
	s_cbranch_execz .LBB186_28
; %bb.27:
	v_sub_co_u32 v1, vcc_lo, v0, s5
	v_mov_b32_e32 v2, 0
	v_add_co_u32 v4, s0, s10, v3
	v_add_co_ci_u32_e64 v5, null, s11, 0, s0
	v_lshlrev_b64 v[1:2], 2, v[1:2]
	v_add_co_u32 v1, s0, s9, v1
	v_add_co_ci_u32_e64 v2, null, s1, v2, s0
	v_cndmask_b32_e32 v1, v1, v4, vcc_lo
	v_cndmask_b32_e32 v2, v2, v5, vcc_lo
	global_load_dword v5, v[1:2], off
.LBB186_28:
	s_or_b32 exec_lo, exec_lo, s12
	v_cmp_gt_u32_e64 s19, s6, v6
	v_mov_b32_e32 v4, s6
	v_mov_b32_e32 v1, v6
	v_mov_b32_e32 v2, 0
	s_and_saveexec_b32 s6, s19
	s_cbranch_execnz .LBB186_6
	s_branch .LBB186_7
.LBB186_29:
	s_mov_b32 s0, 0
                                        ; implicit-def: $vgpr3
.LBB186_30:
	s_barrier
	s_waitcnt lgkmcnt(0)
	s_waitcnt_vscnt null, 0x0
	buffer_gl0_inv
	ds_read_b32 v3, v6 offset:2048
	s_sub_i32 s0, s8, s16
	s_mov_b32 s1, exec_lo
	v_cmpx_gt_u32_e64 s0, v0
	s_cbranch_execz .LBB186_32
; %bb.31:
	ds_read_b32 v0, v5
	s_waitcnt lgkmcnt(0)
	global_store_dword v[1:2], v0, off
.LBB186_32:
	s_or_b32 exec_lo, exec_lo, s1
	v_cmp_gt_u32_e64 s0, s0, v4
.LBB186_33:
	s_and_saveexec_b32 s1, s0
	s_cbranch_execz .LBB186_35
; %bb.34:
	v_add_co_u32 v0, vcc_lo, 0x800, v1
	v_add_co_ci_u32_e64 v1, null, 0, v2, vcc_lo
	s_waitcnt lgkmcnt(0)
	global_store_dword v[0:1], v3, off
.LBB186_35:
	s_endpgm
	.section	.rodata,"a",@progbits
	.p2align	6, 0x0
	.amdhsa_kernel _ZN7rocprim17ROCPRIM_400000_NS6detail17trampoline_kernelINS0_14default_configENS1_38merge_sort_block_merge_config_selectorIjNS0_10empty_typeEEEZZNS1_27merge_sort_block_merge_implIS3_N6thrust23THRUST_200600_302600_NS6detail15normal_iteratorINS9_10device_ptrIjEEEEPS5_m11less_div_10IjEEE10hipError_tT0_T1_T2_jT3_P12ihipStream_tbPNSt15iterator_traitsISJ_E10value_typeEPNSP_ISK_E10value_typeEPSL_NS1_7vsmem_tEENKUlT_SJ_SK_SL_E_clISE_PjSF_SF_EESI_SY_SJ_SK_SL_EUlSY_E0_NS1_11comp_targetILNS1_3genE8ELNS1_11target_archE1030ELNS1_3gpuE2ELNS1_3repE0EEENS1_38merge_mergepath_config_static_selectorELNS0_4arch9wavefront6targetE0EEEvSK_
		.amdhsa_group_segment_fixed_size 4224
		.amdhsa_private_segment_fixed_size 0
		.amdhsa_kernarg_size 328
		.amdhsa_user_sgpr_count 6
		.amdhsa_user_sgpr_private_segment_buffer 1
		.amdhsa_user_sgpr_dispatch_ptr 0
		.amdhsa_user_sgpr_queue_ptr 0
		.amdhsa_user_sgpr_kernarg_segment_ptr 1
		.amdhsa_user_sgpr_dispatch_id 0
		.amdhsa_user_sgpr_flat_scratch_init 0
		.amdhsa_user_sgpr_private_segment_size 0
		.amdhsa_wavefront_size32 1
		.amdhsa_uses_dynamic_stack 0
		.amdhsa_system_sgpr_private_segment_wavefront_offset 0
		.amdhsa_system_sgpr_workgroup_id_x 1
		.amdhsa_system_sgpr_workgroup_id_y 1
		.amdhsa_system_sgpr_workgroup_id_z 1
		.amdhsa_system_sgpr_workgroup_info 0
		.amdhsa_system_vgpr_workitem_id 0
		.amdhsa_next_free_vgpr 15
		.amdhsa_next_free_sgpr 31
		.amdhsa_reserve_vcc 1
		.amdhsa_reserve_flat_scratch 0
		.amdhsa_float_round_mode_32 0
		.amdhsa_float_round_mode_16_64 0
		.amdhsa_float_denorm_mode_32 3
		.amdhsa_float_denorm_mode_16_64 3
		.amdhsa_dx10_clamp 1
		.amdhsa_ieee_mode 1
		.amdhsa_fp16_overflow 0
		.amdhsa_workgroup_processor_mode 1
		.amdhsa_memory_ordered 1
		.amdhsa_forward_progress 1
		.amdhsa_shared_vgpr_count 0
		.amdhsa_exception_fp_ieee_invalid_op 0
		.amdhsa_exception_fp_denorm_src 0
		.amdhsa_exception_fp_ieee_div_zero 0
		.amdhsa_exception_fp_ieee_overflow 0
		.amdhsa_exception_fp_ieee_underflow 0
		.amdhsa_exception_fp_ieee_inexact 0
		.amdhsa_exception_int_div_zero 0
	.end_amdhsa_kernel
	.section	.text._ZN7rocprim17ROCPRIM_400000_NS6detail17trampoline_kernelINS0_14default_configENS1_38merge_sort_block_merge_config_selectorIjNS0_10empty_typeEEEZZNS1_27merge_sort_block_merge_implIS3_N6thrust23THRUST_200600_302600_NS6detail15normal_iteratorINS9_10device_ptrIjEEEEPS5_m11less_div_10IjEEE10hipError_tT0_T1_T2_jT3_P12ihipStream_tbPNSt15iterator_traitsISJ_E10value_typeEPNSP_ISK_E10value_typeEPSL_NS1_7vsmem_tEENKUlT_SJ_SK_SL_E_clISE_PjSF_SF_EESI_SY_SJ_SK_SL_EUlSY_E0_NS1_11comp_targetILNS1_3genE8ELNS1_11target_archE1030ELNS1_3gpuE2ELNS1_3repE0EEENS1_38merge_mergepath_config_static_selectorELNS0_4arch9wavefront6targetE0EEEvSK_,"axG",@progbits,_ZN7rocprim17ROCPRIM_400000_NS6detail17trampoline_kernelINS0_14default_configENS1_38merge_sort_block_merge_config_selectorIjNS0_10empty_typeEEEZZNS1_27merge_sort_block_merge_implIS3_N6thrust23THRUST_200600_302600_NS6detail15normal_iteratorINS9_10device_ptrIjEEEEPS5_m11less_div_10IjEEE10hipError_tT0_T1_T2_jT3_P12ihipStream_tbPNSt15iterator_traitsISJ_E10value_typeEPNSP_ISK_E10value_typeEPSL_NS1_7vsmem_tEENKUlT_SJ_SK_SL_E_clISE_PjSF_SF_EESI_SY_SJ_SK_SL_EUlSY_E0_NS1_11comp_targetILNS1_3genE8ELNS1_11target_archE1030ELNS1_3gpuE2ELNS1_3repE0EEENS1_38merge_mergepath_config_static_selectorELNS0_4arch9wavefront6targetE0EEEvSK_,comdat
.Lfunc_end186:
	.size	_ZN7rocprim17ROCPRIM_400000_NS6detail17trampoline_kernelINS0_14default_configENS1_38merge_sort_block_merge_config_selectorIjNS0_10empty_typeEEEZZNS1_27merge_sort_block_merge_implIS3_N6thrust23THRUST_200600_302600_NS6detail15normal_iteratorINS9_10device_ptrIjEEEEPS5_m11less_div_10IjEEE10hipError_tT0_T1_T2_jT3_P12ihipStream_tbPNSt15iterator_traitsISJ_E10value_typeEPNSP_ISK_E10value_typeEPSL_NS1_7vsmem_tEENKUlT_SJ_SK_SL_E_clISE_PjSF_SF_EESI_SY_SJ_SK_SL_EUlSY_E0_NS1_11comp_targetILNS1_3genE8ELNS1_11target_archE1030ELNS1_3gpuE2ELNS1_3repE0EEENS1_38merge_mergepath_config_static_selectorELNS0_4arch9wavefront6targetE0EEEvSK_, .Lfunc_end186-_ZN7rocprim17ROCPRIM_400000_NS6detail17trampoline_kernelINS0_14default_configENS1_38merge_sort_block_merge_config_selectorIjNS0_10empty_typeEEEZZNS1_27merge_sort_block_merge_implIS3_N6thrust23THRUST_200600_302600_NS6detail15normal_iteratorINS9_10device_ptrIjEEEEPS5_m11less_div_10IjEEE10hipError_tT0_T1_T2_jT3_P12ihipStream_tbPNSt15iterator_traitsISJ_E10value_typeEPNSP_ISK_E10value_typeEPSL_NS1_7vsmem_tEENKUlT_SJ_SK_SL_E_clISE_PjSF_SF_EESI_SY_SJ_SK_SL_EUlSY_E0_NS1_11comp_targetILNS1_3genE8ELNS1_11target_archE1030ELNS1_3gpuE2ELNS1_3repE0EEENS1_38merge_mergepath_config_static_selectorELNS0_4arch9wavefront6targetE0EEEvSK_
                                        ; -- End function
	.set _ZN7rocprim17ROCPRIM_400000_NS6detail17trampoline_kernelINS0_14default_configENS1_38merge_sort_block_merge_config_selectorIjNS0_10empty_typeEEEZZNS1_27merge_sort_block_merge_implIS3_N6thrust23THRUST_200600_302600_NS6detail15normal_iteratorINS9_10device_ptrIjEEEEPS5_m11less_div_10IjEEE10hipError_tT0_T1_T2_jT3_P12ihipStream_tbPNSt15iterator_traitsISJ_E10value_typeEPNSP_ISK_E10value_typeEPSL_NS1_7vsmem_tEENKUlT_SJ_SK_SL_E_clISE_PjSF_SF_EESI_SY_SJ_SK_SL_EUlSY_E0_NS1_11comp_targetILNS1_3genE8ELNS1_11target_archE1030ELNS1_3gpuE2ELNS1_3repE0EEENS1_38merge_mergepath_config_static_selectorELNS0_4arch9wavefront6targetE0EEEvSK_.num_vgpr, 15
	.set _ZN7rocprim17ROCPRIM_400000_NS6detail17trampoline_kernelINS0_14default_configENS1_38merge_sort_block_merge_config_selectorIjNS0_10empty_typeEEEZZNS1_27merge_sort_block_merge_implIS3_N6thrust23THRUST_200600_302600_NS6detail15normal_iteratorINS9_10device_ptrIjEEEEPS5_m11less_div_10IjEEE10hipError_tT0_T1_T2_jT3_P12ihipStream_tbPNSt15iterator_traitsISJ_E10value_typeEPNSP_ISK_E10value_typeEPSL_NS1_7vsmem_tEENKUlT_SJ_SK_SL_E_clISE_PjSF_SF_EESI_SY_SJ_SK_SL_EUlSY_E0_NS1_11comp_targetILNS1_3genE8ELNS1_11target_archE1030ELNS1_3gpuE2ELNS1_3repE0EEENS1_38merge_mergepath_config_static_selectorELNS0_4arch9wavefront6targetE0EEEvSK_.num_agpr, 0
	.set _ZN7rocprim17ROCPRIM_400000_NS6detail17trampoline_kernelINS0_14default_configENS1_38merge_sort_block_merge_config_selectorIjNS0_10empty_typeEEEZZNS1_27merge_sort_block_merge_implIS3_N6thrust23THRUST_200600_302600_NS6detail15normal_iteratorINS9_10device_ptrIjEEEEPS5_m11less_div_10IjEEE10hipError_tT0_T1_T2_jT3_P12ihipStream_tbPNSt15iterator_traitsISJ_E10value_typeEPNSP_ISK_E10value_typeEPSL_NS1_7vsmem_tEENKUlT_SJ_SK_SL_E_clISE_PjSF_SF_EESI_SY_SJ_SK_SL_EUlSY_E0_NS1_11comp_targetILNS1_3genE8ELNS1_11target_archE1030ELNS1_3gpuE2ELNS1_3repE0EEENS1_38merge_mergepath_config_static_selectorELNS0_4arch9wavefront6targetE0EEEvSK_.numbered_sgpr, 31
	.set _ZN7rocprim17ROCPRIM_400000_NS6detail17trampoline_kernelINS0_14default_configENS1_38merge_sort_block_merge_config_selectorIjNS0_10empty_typeEEEZZNS1_27merge_sort_block_merge_implIS3_N6thrust23THRUST_200600_302600_NS6detail15normal_iteratorINS9_10device_ptrIjEEEEPS5_m11less_div_10IjEEE10hipError_tT0_T1_T2_jT3_P12ihipStream_tbPNSt15iterator_traitsISJ_E10value_typeEPNSP_ISK_E10value_typeEPSL_NS1_7vsmem_tEENKUlT_SJ_SK_SL_E_clISE_PjSF_SF_EESI_SY_SJ_SK_SL_EUlSY_E0_NS1_11comp_targetILNS1_3genE8ELNS1_11target_archE1030ELNS1_3gpuE2ELNS1_3repE0EEENS1_38merge_mergepath_config_static_selectorELNS0_4arch9wavefront6targetE0EEEvSK_.num_named_barrier, 0
	.set _ZN7rocprim17ROCPRIM_400000_NS6detail17trampoline_kernelINS0_14default_configENS1_38merge_sort_block_merge_config_selectorIjNS0_10empty_typeEEEZZNS1_27merge_sort_block_merge_implIS3_N6thrust23THRUST_200600_302600_NS6detail15normal_iteratorINS9_10device_ptrIjEEEEPS5_m11less_div_10IjEEE10hipError_tT0_T1_T2_jT3_P12ihipStream_tbPNSt15iterator_traitsISJ_E10value_typeEPNSP_ISK_E10value_typeEPSL_NS1_7vsmem_tEENKUlT_SJ_SK_SL_E_clISE_PjSF_SF_EESI_SY_SJ_SK_SL_EUlSY_E0_NS1_11comp_targetILNS1_3genE8ELNS1_11target_archE1030ELNS1_3gpuE2ELNS1_3repE0EEENS1_38merge_mergepath_config_static_selectorELNS0_4arch9wavefront6targetE0EEEvSK_.private_seg_size, 0
	.set _ZN7rocprim17ROCPRIM_400000_NS6detail17trampoline_kernelINS0_14default_configENS1_38merge_sort_block_merge_config_selectorIjNS0_10empty_typeEEEZZNS1_27merge_sort_block_merge_implIS3_N6thrust23THRUST_200600_302600_NS6detail15normal_iteratorINS9_10device_ptrIjEEEEPS5_m11less_div_10IjEEE10hipError_tT0_T1_T2_jT3_P12ihipStream_tbPNSt15iterator_traitsISJ_E10value_typeEPNSP_ISK_E10value_typeEPSL_NS1_7vsmem_tEENKUlT_SJ_SK_SL_E_clISE_PjSF_SF_EESI_SY_SJ_SK_SL_EUlSY_E0_NS1_11comp_targetILNS1_3genE8ELNS1_11target_archE1030ELNS1_3gpuE2ELNS1_3repE0EEENS1_38merge_mergepath_config_static_selectorELNS0_4arch9wavefront6targetE0EEEvSK_.uses_vcc, 1
	.set _ZN7rocprim17ROCPRIM_400000_NS6detail17trampoline_kernelINS0_14default_configENS1_38merge_sort_block_merge_config_selectorIjNS0_10empty_typeEEEZZNS1_27merge_sort_block_merge_implIS3_N6thrust23THRUST_200600_302600_NS6detail15normal_iteratorINS9_10device_ptrIjEEEEPS5_m11less_div_10IjEEE10hipError_tT0_T1_T2_jT3_P12ihipStream_tbPNSt15iterator_traitsISJ_E10value_typeEPNSP_ISK_E10value_typeEPSL_NS1_7vsmem_tEENKUlT_SJ_SK_SL_E_clISE_PjSF_SF_EESI_SY_SJ_SK_SL_EUlSY_E0_NS1_11comp_targetILNS1_3genE8ELNS1_11target_archE1030ELNS1_3gpuE2ELNS1_3repE0EEENS1_38merge_mergepath_config_static_selectorELNS0_4arch9wavefront6targetE0EEEvSK_.uses_flat_scratch, 0
	.set _ZN7rocprim17ROCPRIM_400000_NS6detail17trampoline_kernelINS0_14default_configENS1_38merge_sort_block_merge_config_selectorIjNS0_10empty_typeEEEZZNS1_27merge_sort_block_merge_implIS3_N6thrust23THRUST_200600_302600_NS6detail15normal_iteratorINS9_10device_ptrIjEEEEPS5_m11less_div_10IjEEE10hipError_tT0_T1_T2_jT3_P12ihipStream_tbPNSt15iterator_traitsISJ_E10value_typeEPNSP_ISK_E10value_typeEPSL_NS1_7vsmem_tEENKUlT_SJ_SK_SL_E_clISE_PjSF_SF_EESI_SY_SJ_SK_SL_EUlSY_E0_NS1_11comp_targetILNS1_3genE8ELNS1_11target_archE1030ELNS1_3gpuE2ELNS1_3repE0EEENS1_38merge_mergepath_config_static_selectorELNS0_4arch9wavefront6targetE0EEEvSK_.has_dyn_sized_stack, 0
	.set _ZN7rocprim17ROCPRIM_400000_NS6detail17trampoline_kernelINS0_14default_configENS1_38merge_sort_block_merge_config_selectorIjNS0_10empty_typeEEEZZNS1_27merge_sort_block_merge_implIS3_N6thrust23THRUST_200600_302600_NS6detail15normal_iteratorINS9_10device_ptrIjEEEEPS5_m11less_div_10IjEEE10hipError_tT0_T1_T2_jT3_P12ihipStream_tbPNSt15iterator_traitsISJ_E10value_typeEPNSP_ISK_E10value_typeEPSL_NS1_7vsmem_tEENKUlT_SJ_SK_SL_E_clISE_PjSF_SF_EESI_SY_SJ_SK_SL_EUlSY_E0_NS1_11comp_targetILNS1_3genE8ELNS1_11target_archE1030ELNS1_3gpuE2ELNS1_3repE0EEENS1_38merge_mergepath_config_static_selectorELNS0_4arch9wavefront6targetE0EEEvSK_.has_recursion, 0
	.set _ZN7rocprim17ROCPRIM_400000_NS6detail17trampoline_kernelINS0_14default_configENS1_38merge_sort_block_merge_config_selectorIjNS0_10empty_typeEEEZZNS1_27merge_sort_block_merge_implIS3_N6thrust23THRUST_200600_302600_NS6detail15normal_iteratorINS9_10device_ptrIjEEEEPS5_m11less_div_10IjEEE10hipError_tT0_T1_T2_jT3_P12ihipStream_tbPNSt15iterator_traitsISJ_E10value_typeEPNSP_ISK_E10value_typeEPSL_NS1_7vsmem_tEENKUlT_SJ_SK_SL_E_clISE_PjSF_SF_EESI_SY_SJ_SK_SL_EUlSY_E0_NS1_11comp_targetILNS1_3genE8ELNS1_11target_archE1030ELNS1_3gpuE2ELNS1_3repE0EEENS1_38merge_mergepath_config_static_selectorELNS0_4arch9wavefront6targetE0EEEvSK_.has_indirect_call, 0
	.section	.AMDGPU.csdata,"",@progbits
; Kernel info:
; codeLenInByte = 1668
; TotalNumSgprs: 33
; NumVgprs: 15
; ScratchSize: 0
; MemoryBound: 0
; FloatMode: 240
; IeeeMode: 1
; LDSByteSize: 4224 bytes/workgroup (compile time only)
; SGPRBlocks: 0
; VGPRBlocks: 1
; NumSGPRsForWavesPerEU: 33
; NumVGPRsForWavesPerEU: 15
; Occupancy: 16
; WaveLimiterHint : 1
; COMPUTE_PGM_RSRC2:SCRATCH_EN: 0
; COMPUTE_PGM_RSRC2:USER_SGPR: 6
; COMPUTE_PGM_RSRC2:TRAP_HANDLER: 0
; COMPUTE_PGM_RSRC2:TGID_X_EN: 1
; COMPUTE_PGM_RSRC2:TGID_Y_EN: 1
; COMPUTE_PGM_RSRC2:TGID_Z_EN: 1
; COMPUTE_PGM_RSRC2:TIDIG_COMP_CNT: 0
	.section	.text._ZN7rocprim17ROCPRIM_400000_NS6detail17trampoline_kernelINS0_14default_configENS1_38merge_sort_block_merge_config_selectorIjNS0_10empty_typeEEEZZNS1_27merge_sort_block_merge_implIS3_N6thrust23THRUST_200600_302600_NS6detail15normal_iteratorINS9_10device_ptrIjEEEEPS5_m11less_div_10IjEEE10hipError_tT0_T1_T2_jT3_P12ihipStream_tbPNSt15iterator_traitsISJ_E10value_typeEPNSP_ISK_E10value_typeEPSL_NS1_7vsmem_tEENKUlT_SJ_SK_SL_E_clISE_PjSF_SF_EESI_SY_SJ_SK_SL_EUlSY_E1_NS1_11comp_targetILNS1_3genE0ELNS1_11target_archE4294967295ELNS1_3gpuE0ELNS1_3repE0EEENS1_36merge_oddeven_config_static_selectorELNS0_4arch9wavefront6targetE0EEEvSK_,"axG",@progbits,_ZN7rocprim17ROCPRIM_400000_NS6detail17trampoline_kernelINS0_14default_configENS1_38merge_sort_block_merge_config_selectorIjNS0_10empty_typeEEEZZNS1_27merge_sort_block_merge_implIS3_N6thrust23THRUST_200600_302600_NS6detail15normal_iteratorINS9_10device_ptrIjEEEEPS5_m11less_div_10IjEEE10hipError_tT0_T1_T2_jT3_P12ihipStream_tbPNSt15iterator_traitsISJ_E10value_typeEPNSP_ISK_E10value_typeEPSL_NS1_7vsmem_tEENKUlT_SJ_SK_SL_E_clISE_PjSF_SF_EESI_SY_SJ_SK_SL_EUlSY_E1_NS1_11comp_targetILNS1_3genE0ELNS1_11target_archE4294967295ELNS1_3gpuE0ELNS1_3repE0EEENS1_36merge_oddeven_config_static_selectorELNS0_4arch9wavefront6targetE0EEEvSK_,comdat
	.protected	_ZN7rocprim17ROCPRIM_400000_NS6detail17trampoline_kernelINS0_14default_configENS1_38merge_sort_block_merge_config_selectorIjNS0_10empty_typeEEEZZNS1_27merge_sort_block_merge_implIS3_N6thrust23THRUST_200600_302600_NS6detail15normal_iteratorINS9_10device_ptrIjEEEEPS5_m11less_div_10IjEEE10hipError_tT0_T1_T2_jT3_P12ihipStream_tbPNSt15iterator_traitsISJ_E10value_typeEPNSP_ISK_E10value_typeEPSL_NS1_7vsmem_tEENKUlT_SJ_SK_SL_E_clISE_PjSF_SF_EESI_SY_SJ_SK_SL_EUlSY_E1_NS1_11comp_targetILNS1_3genE0ELNS1_11target_archE4294967295ELNS1_3gpuE0ELNS1_3repE0EEENS1_36merge_oddeven_config_static_selectorELNS0_4arch9wavefront6targetE0EEEvSK_ ; -- Begin function _ZN7rocprim17ROCPRIM_400000_NS6detail17trampoline_kernelINS0_14default_configENS1_38merge_sort_block_merge_config_selectorIjNS0_10empty_typeEEEZZNS1_27merge_sort_block_merge_implIS3_N6thrust23THRUST_200600_302600_NS6detail15normal_iteratorINS9_10device_ptrIjEEEEPS5_m11less_div_10IjEEE10hipError_tT0_T1_T2_jT3_P12ihipStream_tbPNSt15iterator_traitsISJ_E10value_typeEPNSP_ISK_E10value_typeEPSL_NS1_7vsmem_tEENKUlT_SJ_SK_SL_E_clISE_PjSF_SF_EESI_SY_SJ_SK_SL_EUlSY_E1_NS1_11comp_targetILNS1_3genE0ELNS1_11target_archE4294967295ELNS1_3gpuE0ELNS1_3repE0EEENS1_36merge_oddeven_config_static_selectorELNS0_4arch9wavefront6targetE0EEEvSK_
	.globl	_ZN7rocprim17ROCPRIM_400000_NS6detail17trampoline_kernelINS0_14default_configENS1_38merge_sort_block_merge_config_selectorIjNS0_10empty_typeEEEZZNS1_27merge_sort_block_merge_implIS3_N6thrust23THRUST_200600_302600_NS6detail15normal_iteratorINS9_10device_ptrIjEEEEPS5_m11less_div_10IjEEE10hipError_tT0_T1_T2_jT3_P12ihipStream_tbPNSt15iterator_traitsISJ_E10value_typeEPNSP_ISK_E10value_typeEPSL_NS1_7vsmem_tEENKUlT_SJ_SK_SL_E_clISE_PjSF_SF_EESI_SY_SJ_SK_SL_EUlSY_E1_NS1_11comp_targetILNS1_3genE0ELNS1_11target_archE4294967295ELNS1_3gpuE0ELNS1_3repE0EEENS1_36merge_oddeven_config_static_selectorELNS0_4arch9wavefront6targetE0EEEvSK_
	.p2align	8
	.type	_ZN7rocprim17ROCPRIM_400000_NS6detail17trampoline_kernelINS0_14default_configENS1_38merge_sort_block_merge_config_selectorIjNS0_10empty_typeEEEZZNS1_27merge_sort_block_merge_implIS3_N6thrust23THRUST_200600_302600_NS6detail15normal_iteratorINS9_10device_ptrIjEEEEPS5_m11less_div_10IjEEE10hipError_tT0_T1_T2_jT3_P12ihipStream_tbPNSt15iterator_traitsISJ_E10value_typeEPNSP_ISK_E10value_typeEPSL_NS1_7vsmem_tEENKUlT_SJ_SK_SL_E_clISE_PjSF_SF_EESI_SY_SJ_SK_SL_EUlSY_E1_NS1_11comp_targetILNS1_3genE0ELNS1_11target_archE4294967295ELNS1_3gpuE0ELNS1_3repE0EEENS1_36merge_oddeven_config_static_selectorELNS0_4arch9wavefront6targetE0EEEvSK_,@function
_ZN7rocprim17ROCPRIM_400000_NS6detail17trampoline_kernelINS0_14default_configENS1_38merge_sort_block_merge_config_selectorIjNS0_10empty_typeEEEZZNS1_27merge_sort_block_merge_implIS3_N6thrust23THRUST_200600_302600_NS6detail15normal_iteratorINS9_10device_ptrIjEEEEPS5_m11less_div_10IjEEE10hipError_tT0_T1_T2_jT3_P12ihipStream_tbPNSt15iterator_traitsISJ_E10value_typeEPNSP_ISK_E10value_typeEPSL_NS1_7vsmem_tEENKUlT_SJ_SK_SL_E_clISE_PjSF_SF_EESI_SY_SJ_SK_SL_EUlSY_E1_NS1_11comp_targetILNS1_3genE0ELNS1_11target_archE4294967295ELNS1_3gpuE0ELNS1_3repE0EEENS1_36merge_oddeven_config_static_selectorELNS0_4arch9wavefront6targetE0EEEvSK_: ; @_ZN7rocprim17ROCPRIM_400000_NS6detail17trampoline_kernelINS0_14default_configENS1_38merge_sort_block_merge_config_selectorIjNS0_10empty_typeEEEZZNS1_27merge_sort_block_merge_implIS3_N6thrust23THRUST_200600_302600_NS6detail15normal_iteratorINS9_10device_ptrIjEEEEPS5_m11less_div_10IjEEE10hipError_tT0_T1_T2_jT3_P12ihipStream_tbPNSt15iterator_traitsISJ_E10value_typeEPNSP_ISK_E10value_typeEPSL_NS1_7vsmem_tEENKUlT_SJ_SK_SL_E_clISE_PjSF_SF_EESI_SY_SJ_SK_SL_EUlSY_E1_NS1_11comp_targetILNS1_3genE0ELNS1_11target_archE4294967295ELNS1_3gpuE0ELNS1_3repE0EEENS1_36merge_oddeven_config_static_selectorELNS0_4arch9wavefront6targetE0EEEvSK_
; %bb.0:
	.section	.rodata,"a",@progbits
	.p2align	6, 0x0
	.amdhsa_kernel _ZN7rocprim17ROCPRIM_400000_NS6detail17trampoline_kernelINS0_14default_configENS1_38merge_sort_block_merge_config_selectorIjNS0_10empty_typeEEEZZNS1_27merge_sort_block_merge_implIS3_N6thrust23THRUST_200600_302600_NS6detail15normal_iteratorINS9_10device_ptrIjEEEEPS5_m11less_div_10IjEEE10hipError_tT0_T1_T2_jT3_P12ihipStream_tbPNSt15iterator_traitsISJ_E10value_typeEPNSP_ISK_E10value_typeEPSL_NS1_7vsmem_tEENKUlT_SJ_SK_SL_E_clISE_PjSF_SF_EESI_SY_SJ_SK_SL_EUlSY_E1_NS1_11comp_targetILNS1_3genE0ELNS1_11target_archE4294967295ELNS1_3gpuE0ELNS1_3repE0EEENS1_36merge_oddeven_config_static_selectorELNS0_4arch9wavefront6targetE0EEEvSK_
		.amdhsa_group_segment_fixed_size 0
		.amdhsa_private_segment_fixed_size 0
		.amdhsa_kernarg_size 56
		.amdhsa_user_sgpr_count 6
		.amdhsa_user_sgpr_private_segment_buffer 1
		.amdhsa_user_sgpr_dispatch_ptr 0
		.amdhsa_user_sgpr_queue_ptr 0
		.amdhsa_user_sgpr_kernarg_segment_ptr 1
		.amdhsa_user_sgpr_dispatch_id 0
		.amdhsa_user_sgpr_flat_scratch_init 0
		.amdhsa_user_sgpr_private_segment_size 0
		.amdhsa_wavefront_size32 1
		.amdhsa_uses_dynamic_stack 0
		.amdhsa_system_sgpr_private_segment_wavefront_offset 0
		.amdhsa_system_sgpr_workgroup_id_x 1
		.amdhsa_system_sgpr_workgroup_id_y 0
		.amdhsa_system_sgpr_workgroup_id_z 0
		.amdhsa_system_sgpr_workgroup_info 0
		.amdhsa_system_vgpr_workitem_id 0
		.amdhsa_next_free_vgpr 1
		.amdhsa_next_free_sgpr 1
		.amdhsa_reserve_vcc 0
		.amdhsa_reserve_flat_scratch 0
		.amdhsa_float_round_mode_32 0
		.amdhsa_float_round_mode_16_64 0
		.amdhsa_float_denorm_mode_32 3
		.amdhsa_float_denorm_mode_16_64 3
		.amdhsa_dx10_clamp 1
		.amdhsa_ieee_mode 1
		.amdhsa_fp16_overflow 0
		.amdhsa_workgroup_processor_mode 1
		.amdhsa_memory_ordered 1
		.amdhsa_forward_progress 1
		.amdhsa_shared_vgpr_count 0
		.amdhsa_exception_fp_ieee_invalid_op 0
		.amdhsa_exception_fp_denorm_src 0
		.amdhsa_exception_fp_ieee_div_zero 0
		.amdhsa_exception_fp_ieee_overflow 0
		.amdhsa_exception_fp_ieee_underflow 0
		.amdhsa_exception_fp_ieee_inexact 0
		.amdhsa_exception_int_div_zero 0
	.end_amdhsa_kernel
	.section	.text._ZN7rocprim17ROCPRIM_400000_NS6detail17trampoline_kernelINS0_14default_configENS1_38merge_sort_block_merge_config_selectorIjNS0_10empty_typeEEEZZNS1_27merge_sort_block_merge_implIS3_N6thrust23THRUST_200600_302600_NS6detail15normal_iteratorINS9_10device_ptrIjEEEEPS5_m11less_div_10IjEEE10hipError_tT0_T1_T2_jT3_P12ihipStream_tbPNSt15iterator_traitsISJ_E10value_typeEPNSP_ISK_E10value_typeEPSL_NS1_7vsmem_tEENKUlT_SJ_SK_SL_E_clISE_PjSF_SF_EESI_SY_SJ_SK_SL_EUlSY_E1_NS1_11comp_targetILNS1_3genE0ELNS1_11target_archE4294967295ELNS1_3gpuE0ELNS1_3repE0EEENS1_36merge_oddeven_config_static_selectorELNS0_4arch9wavefront6targetE0EEEvSK_,"axG",@progbits,_ZN7rocprim17ROCPRIM_400000_NS6detail17trampoline_kernelINS0_14default_configENS1_38merge_sort_block_merge_config_selectorIjNS0_10empty_typeEEEZZNS1_27merge_sort_block_merge_implIS3_N6thrust23THRUST_200600_302600_NS6detail15normal_iteratorINS9_10device_ptrIjEEEEPS5_m11less_div_10IjEEE10hipError_tT0_T1_T2_jT3_P12ihipStream_tbPNSt15iterator_traitsISJ_E10value_typeEPNSP_ISK_E10value_typeEPSL_NS1_7vsmem_tEENKUlT_SJ_SK_SL_E_clISE_PjSF_SF_EESI_SY_SJ_SK_SL_EUlSY_E1_NS1_11comp_targetILNS1_3genE0ELNS1_11target_archE4294967295ELNS1_3gpuE0ELNS1_3repE0EEENS1_36merge_oddeven_config_static_selectorELNS0_4arch9wavefront6targetE0EEEvSK_,comdat
.Lfunc_end187:
	.size	_ZN7rocprim17ROCPRIM_400000_NS6detail17trampoline_kernelINS0_14default_configENS1_38merge_sort_block_merge_config_selectorIjNS0_10empty_typeEEEZZNS1_27merge_sort_block_merge_implIS3_N6thrust23THRUST_200600_302600_NS6detail15normal_iteratorINS9_10device_ptrIjEEEEPS5_m11less_div_10IjEEE10hipError_tT0_T1_T2_jT3_P12ihipStream_tbPNSt15iterator_traitsISJ_E10value_typeEPNSP_ISK_E10value_typeEPSL_NS1_7vsmem_tEENKUlT_SJ_SK_SL_E_clISE_PjSF_SF_EESI_SY_SJ_SK_SL_EUlSY_E1_NS1_11comp_targetILNS1_3genE0ELNS1_11target_archE4294967295ELNS1_3gpuE0ELNS1_3repE0EEENS1_36merge_oddeven_config_static_selectorELNS0_4arch9wavefront6targetE0EEEvSK_, .Lfunc_end187-_ZN7rocprim17ROCPRIM_400000_NS6detail17trampoline_kernelINS0_14default_configENS1_38merge_sort_block_merge_config_selectorIjNS0_10empty_typeEEEZZNS1_27merge_sort_block_merge_implIS3_N6thrust23THRUST_200600_302600_NS6detail15normal_iteratorINS9_10device_ptrIjEEEEPS5_m11less_div_10IjEEE10hipError_tT0_T1_T2_jT3_P12ihipStream_tbPNSt15iterator_traitsISJ_E10value_typeEPNSP_ISK_E10value_typeEPSL_NS1_7vsmem_tEENKUlT_SJ_SK_SL_E_clISE_PjSF_SF_EESI_SY_SJ_SK_SL_EUlSY_E1_NS1_11comp_targetILNS1_3genE0ELNS1_11target_archE4294967295ELNS1_3gpuE0ELNS1_3repE0EEENS1_36merge_oddeven_config_static_selectorELNS0_4arch9wavefront6targetE0EEEvSK_
                                        ; -- End function
	.set _ZN7rocprim17ROCPRIM_400000_NS6detail17trampoline_kernelINS0_14default_configENS1_38merge_sort_block_merge_config_selectorIjNS0_10empty_typeEEEZZNS1_27merge_sort_block_merge_implIS3_N6thrust23THRUST_200600_302600_NS6detail15normal_iteratorINS9_10device_ptrIjEEEEPS5_m11less_div_10IjEEE10hipError_tT0_T1_T2_jT3_P12ihipStream_tbPNSt15iterator_traitsISJ_E10value_typeEPNSP_ISK_E10value_typeEPSL_NS1_7vsmem_tEENKUlT_SJ_SK_SL_E_clISE_PjSF_SF_EESI_SY_SJ_SK_SL_EUlSY_E1_NS1_11comp_targetILNS1_3genE0ELNS1_11target_archE4294967295ELNS1_3gpuE0ELNS1_3repE0EEENS1_36merge_oddeven_config_static_selectorELNS0_4arch9wavefront6targetE0EEEvSK_.num_vgpr, 0
	.set _ZN7rocprim17ROCPRIM_400000_NS6detail17trampoline_kernelINS0_14default_configENS1_38merge_sort_block_merge_config_selectorIjNS0_10empty_typeEEEZZNS1_27merge_sort_block_merge_implIS3_N6thrust23THRUST_200600_302600_NS6detail15normal_iteratorINS9_10device_ptrIjEEEEPS5_m11less_div_10IjEEE10hipError_tT0_T1_T2_jT3_P12ihipStream_tbPNSt15iterator_traitsISJ_E10value_typeEPNSP_ISK_E10value_typeEPSL_NS1_7vsmem_tEENKUlT_SJ_SK_SL_E_clISE_PjSF_SF_EESI_SY_SJ_SK_SL_EUlSY_E1_NS1_11comp_targetILNS1_3genE0ELNS1_11target_archE4294967295ELNS1_3gpuE0ELNS1_3repE0EEENS1_36merge_oddeven_config_static_selectorELNS0_4arch9wavefront6targetE0EEEvSK_.num_agpr, 0
	.set _ZN7rocprim17ROCPRIM_400000_NS6detail17trampoline_kernelINS0_14default_configENS1_38merge_sort_block_merge_config_selectorIjNS0_10empty_typeEEEZZNS1_27merge_sort_block_merge_implIS3_N6thrust23THRUST_200600_302600_NS6detail15normal_iteratorINS9_10device_ptrIjEEEEPS5_m11less_div_10IjEEE10hipError_tT0_T1_T2_jT3_P12ihipStream_tbPNSt15iterator_traitsISJ_E10value_typeEPNSP_ISK_E10value_typeEPSL_NS1_7vsmem_tEENKUlT_SJ_SK_SL_E_clISE_PjSF_SF_EESI_SY_SJ_SK_SL_EUlSY_E1_NS1_11comp_targetILNS1_3genE0ELNS1_11target_archE4294967295ELNS1_3gpuE0ELNS1_3repE0EEENS1_36merge_oddeven_config_static_selectorELNS0_4arch9wavefront6targetE0EEEvSK_.numbered_sgpr, 0
	.set _ZN7rocprim17ROCPRIM_400000_NS6detail17trampoline_kernelINS0_14default_configENS1_38merge_sort_block_merge_config_selectorIjNS0_10empty_typeEEEZZNS1_27merge_sort_block_merge_implIS3_N6thrust23THRUST_200600_302600_NS6detail15normal_iteratorINS9_10device_ptrIjEEEEPS5_m11less_div_10IjEEE10hipError_tT0_T1_T2_jT3_P12ihipStream_tbPNSt15iterator_traitsISJ_E10value_typeEPNSP_ISK_E10value_typeEPSL_NS1_7vsmem_tEENKUlT_SJ_SK_SL_E_clISE_PjSF_SF_EESI_SY_SJ_SK_SL_EUlSY_E1_NS1_11comp_targetILNS1_3genE0ELNS1_11target_archE4294967295ELNS1_3gpuE0ELNS1_3repE0EEENS1_36merge_oddeven_config_static_selectorELNS0_4arch9wavefront6targetE0EEEvSK_.num_named_barrier, 0
	.set _ZN7rocprim17ROCPRIM_400000_NS6detail17trampoline_kernelINS0_14default_configENS1_38merge_sort_block_merge_config_selectorIjNS0_10empty_typeEEEZZNS1_27merge_sort_block_merge_implIS3_N6thrust23THRUST_200600_302600_NS6detail15normal_iteratorINS9_10device_ptrIjEEEEPS5_m11less_div_10IjEEE10hipError_tT0_T1_T2_jT3_P12ihipStream_tbPNSt15iterator_traitsISJ_E10value_typeEPNSP_ISK_E10value_typeEPSL_NS1_7vsmem_tEENKUlT_SJ_SK_SL_E_clISE_PjSF_SF_EESI_SY_SJ_SK_SL_EUlSY_E1_NS1_11comp_targetILNS1_3genE0ELNS1_11target_archE4294967295ELNS1_3gpuE0ELNS1_3repE0EEENS1_36merge_oddeven_config_static_selectorELNS0_4arch9wavefront6targetE0EEEvSK_.private_seg_size, 0
	.set _ZN7rocprim17ROCPRIM_400000_NS6detail17trampoline_kernelINS0_14default_configENS1_38merge_sort_block_merge_config_selectorIjNS0_10empty_typeEEEZZNS1_27merge_sort_block_merge_implIS3_N6thrust23THRUST_200600_302600_NS6detail15normal_iteratorINS9_10device_ptrIjEEEEPS5_m11less_div_10IjEEE10hipError_tT0_T1_T2_jT3_P12ihipStream_tbPNSt15iterator_traitsISJ_E10value_typeEPNSP_ISK_E10value_typeEPSL_NS1_7vsmem_tEENKUlT_SJ_SK_SL_E_clISE_PjSF_SF_EESI_SY_SJ_SK_SL_EUlSY_E1_NS1_11comp_targetILNS1_3genE0ELNS1_11target_archE4294967295ELNS1_3gpuE0ELNS1_3repE0EEENS1_36merge_oddeven_config_static_selectorELNS0_4arch9wavefront6targetE0EEEvSK_.uses_vcc, 0
	.set _ZN7rocprim17ROCPRIM_400000_NS6detail17trampoline_kernelINS0_14default_configENS1_38merge_sort_block_merge_config_selectorIjNS0_10empty_typeEEEZZNS1_27merge_sort_block_merge_implIS3_N6thrust23THRUST_200600_302600_NS6detail15normal_iteratorINS9_10device_ptrIjEEEEPS5_m11less_div_10IjEEE10hipError_tT0_T1_T2_jT3_P12ihipStream_tbPNSt15iterator_traitsISJ_E10value_typeEPNSP_ISK_E10value_typeEPSL_NS1_7vsmem_tEENKUlT_SJ_SK_SL_E_clISE_PjSF_SF_EESI_SY_SJ_SK_SL_EUlSY_E1_NS1_11comp_targetILNS1_3genE0ELNS1_11target_archE4294967295ELNS1_3gpuE0ELNS1_3repE0EEENS1_36merge_oddeven_config_static_selectorELNS0_4arch9wavefront6targetE0EEEvSK_.uses_flat_scratch, 0
	.set _ZN7rocprim17ROCPRIM_400000_NS6detail17trampoline_kernelINS0_14default_configENS1_38merge_sort_block_merge_config_selectorIjNS0_10empty_typeEEEZZNS1_27merge_sort_block_merge_implIS3_N6thrust23THRUST_200600_302600_NS6detail15normal_iteratorINS9_10device_ptrIjEEEEPS5_m11less_div_10IjEEE10hipError_tT0_T1_T2_jT3_P12ihipStream_tbPNSt15iterator_traitsISJ_E10value_typeEPNSP_ISK_E10value_typeEPSL_NS1_7vsmem_tEENKUlT_SJ_SK_SL_E_clISE_PjSF_SF_EESI_SY_SJ_SK_SL_EUlSY_E1_NS1_11comp_targetILNS1_3genE0ELNS1_11target_archE4294967295ELNS1_3gpuE0ELNS1_3repE0EEENS1_36merge_oddeven_config_static_selectorELNS0_4arch9wavefront6targetE0EEEvSK_.has_dyn_sized_stack, 0
	.set _ZN7rocprim17ROCPRIM_400000_NS6detail17trampoline_kernelINS0_14default_configENS1_38merge_sort_block_merge_config_selectorIjNS0_10empty_typeEEEZZNS1_27merge_sort_block_merge_implIS3_N6thrust23THRUST_200600_302600_NS6detail15normal_iteratorINS9_10device_ptrIjEEEEPS5_m11less_div_10IjEEE10hipError_tT0_T1_T2_jT3_P12ihipStream_tbPNSt15iterator_traitsISJ_E10value_typeEPNSP_ISK_E10value_typeEPSL_NS1_7vsmem_tEENKUlT_SJ_SK_SL_E_clISE_PjSF_SF_EESI_SY_SJ_SK_SL_EUlSY_E1_NS1_11comp_targetILNS1_3genE0ELNS1_11target_archE4294967295ELNS1_3gpuE0ELNS1_3repE0EEENS1_36merge_oddeven_config_static_selectorELNS0_4arch9wavefront6targetE0EEEvSK_.has_recursion, 0
	.set _ZN7rocprim17ROCPRIM_400000_NS6detail17trampoline_kernelINS0_14default_configENS1_38merge_sort_block_merge_config_selectorIjNS0_10empty_typeEEEZZNS1_27merge_sort_block_merge_implIS3_N6thrust23THRUST_200600_302600_NS6detail15normal_iteratorINS9_10device_ptrIjEEEEPS5_m11less_div_10IjEEE10hipError_tT0_T1_T2_jT3_P12ihipStream_tbPNSt15iterator_traitsISJ_E10value_typeEPNSP_ISK_E10value_typeEPSL_NS1_7vsmem_tEENKUlT_SJ_SK_SL_E_clISE_PjSF_SF_EESI_SY_SJ_SK_SL_EUlSY_E1_NS1_11comp_targetILNS1_3genE0ELNS1_11target_archE4294967295ELNS1_3gpuE0ELNS1_3repE0EEENS1_36merge_oddeven_config_static_selectorELNS0_4arch9wavefront6targetE0EEEvSK_.has_indirect_call, 0
	.section	.AMDGPU.csdata,"",@progbits
; Kernel info:
; codeLenInByte = 0
; TotalNumSgprs: 0
; NumVgprs: 0
; ScratchSize: 0
; MemoryBound: 0
; FloatMode: 240
; IeeeMode: 1
; LDSByteSize: 0 bytes/workgroup (compile time only)
; SGPRBlocks: 0
; VGPRBlocks: 0
; NumSGPRsForWavesPerEU: 1
; NumVGPRsForWavesPerEU: 1
; Occupancy: 16
; WaveLimiterHint : 0
; COMPUTE_PGM_RSRC2:SCRATCH_EN: 0
; COMPUTE_PGM_RSRC2:USER_SGPR: 6
; COMPUTE_PGM_RSRC2:TRAP_HANDLER: 0
; COMPUTE_PGM_RSRC2:TGID_X_EN: 1
; COMPUTE_PGM_RSRC2:TGID_Y_EN: 0
; COMPUTE_PGM_RSRC2:TGID_Z_EN: 0
; COMPUTE_PGM_RSRC2:TIDIG_COMP_CNT: 0
	.section	.text._ZN7rocprim17ROCPRIM_400000_NS6detail17trampoline_kernelINS0_14default_configENS1_38merge_sort_block_merge_config_selectorIjNS0_10empty_typeEEEZZNS1_27merge_sort_block_merge_implIS3_N6thrust23THRUST_200600_302600_NS6detail15normal_iteratorINS9_10device_ptrIjEEEEPS5_m11less_div_10IjEEE10hipError_tT0_T1_T2_jT3_P12ihipStream_tbPNSt15iterator_traitsISJ_E10value_typeEPNSP_ISK_E10value_typeEPSL_NS1_7vsmem_tEENKUlT_SJ_SK_SL_E_clISE_PjSF_SF_EESI_SY_SJ_SK_SL_EUlSY_E1_NS1_11comp_targetILNS1_3genE10ELNS1_11target_archE1201ELNS1_3gpuE5ELNS1_3repE0EEENS1_36merge_oddeven_config_static_selectorELNS0_4arch9wavefront6targetE0EEEvSK_,"axG",@progbits,_ZN7rocprim17ROCPRIM_400000_NS6detail17trampoline_kernelINS0_14default_configENS1_38merge_sort_block_merge_config_selectorIjNS0_10empty_typeEEEZZNS1_27merge_sort_block_merge_implIS3_N6thrust23THRUST_200600_302600_NS6detail15normal_iteratorINS9_10device_ptrIjEEEEPS5_m11less_div_10IjEEE10hipError_tT0_T1_T2_jT3_P12ihipStream_tbPNSt15iterator_traitsISJ_E10value_typeEPNSP_ISK_E10value_typeEPSL_NS1_7vsmem_tEENKUlT_SJ_SK_SL_E_clISE_PjSF_SF_EESI_SY_SJ_SK_SL_EUlSY_E1_NS1_11comp_targetILNS1_3genE10ELNS1_11target_archE1201ELNS1_3gpuE5ELNS1_3repE0EEENS1_36merge_oddeven_config_static_selectorELNS0_4arch9wavefront6targetE0EEEvSK_,comdat
	.protected	_ZN7rocprim17ROCPRIM_400000_NS6detail17trampoline_kernelINS0_14default_configENS1_38merge_sort_block_merge_config_selectorIjNS0_10empty_typeEEEZZNS1_27merge_sort_block_merge_implIS3_N6thrust23THRUST_200600_302600_NS6detail15normal_iteratorINS9_10device_ptrIjEEEEPS5_m11less_div_10IjEEE10hipError_tT0_T1_T2_jT3_P12ihipStream_tbPNSt15iterator_traitsISJ_E10value_typeEPNSP_ISK_E10value_typeEPSL_NS1_7vsmem_tEENKUlT_SJ_SK_SL_E_clISE_PjSF_SF_EESI_SY_SJ_SK_SL_EUlSY_E1_NS1_11comp_targetILNS1_3genE10ELNS1_11target_archE1201ELNS1_3gpuE5ELNS1_3repE0EEENS1_36merge_oddeven_config_static_selectorELNS0_4arch9wavefront6targetE0EEEvSK_ ; -- Begin function _ZN7rocprim17ROCPRIM_400000_NS6detail17trampoline_kernelINS0_14default_configENS1_38merge_sort_block_merge_config_selectorIjNS0_10empty_typeEEEZZNS1_27merge_sort_block_merge_implIS3_N6thrust23THRUST_200600_302600_NS6detail15normal_iteratorINS9_10device_ptrIjEEEEPS5_m11less_div_10IjEEE10hipError_tT0_T1_T2_jT3_P12ihipStream_tbPNSt15iterator_traitsISJ_E10value_typeEPNSP_ISK_E10value_typeEPSL_NS1_7vsmem_tEENKUlT_SJ_SK_SL_E_clISE_PjSF_SF_EESI_SY_SJ_SK_SL_EUlSY_E1_NS1_11comp_targetILNS1_3genE10ELNS1_11target_archE1201ELNS1_3gpuE5ELNS1_3repE0EEENS1_36merge_oddeven_config_static_selectorELNS0_4arch9wavefront6targetE0EEEvSK_
	.globl	_ZN7rocprim17ROCPRIM_400000_NS6detail17trampoline_kernelINS0_14default_configENS1_38merge_sort_block_merge_config_selectorIjNS0_10empty_typeEEEZZNS1_27merge_sort_block_merge_implIS3_N6thrust23THRUST_200600_302600_NS6detail15normal_iteratorINS9_10device_ptrIjEEEEPS5_m11less_div_10IjEEE10hipError_tT0_T1_T2_jT3_P12ihipStream_tbPNSt15iterator_traitsISJ_E10value_typeEPNSP_ISK_E10value_typeEPSL_NS1_7vsmem_tEENKUlT_SJ_SK_SL_E_clISE_PjSF_SF_EESI_SY_SJ_SK_SL_EUlSY_E1_NS1_11comp_targetILNS1_3genE10ELNS1_11target_archE1201ELNS1_3gpuE5ELNS1_3repE0EEENS1_36merge_oddeven_config_static_selectorELNS0_4arch9wavefront6targetE0EEEvSK_
	.p2align	8
	.type	_ZN7rocprim17ROCPRIM_400000_NS6detail17trampoline_kernelINS0_14default_configENS1_38merge_sort_block_merge_config_selectorIjNS0_10empty_typeEEEZZNS1_27merge_sort_block_merge_implIS3_N6thrust23THRUST_200600_302600_NS6detail15normal_iteratorINS9_10device_ptrIjEEEEPS5_m11less_div_10IjEEE10hipError_tT0_T1_T2_jT3_P12ihipStream_tbPNSt15iterator_traitsISJ_E10value_typeEPNSP_ISK_E10value_typeEPSL_NS1_7vsmem_tEENKUlT_SJ_SK_SL_E_clISE_PjSF_SF_EESI_SY_SJ_SK_SL_EUlSY_E1_NS1_11comp_targetILNS1_3genE10ELNS1_11target_archE1201ELNS1_3gpuE5ELNS1_3repE0EEENS1_36merge_oddeven_config_static_selectorELNS0_4arch9wavefront6targetE0EEEvSK_,@function
_ZN7rocprim17ROCPRIM_400000_NS6detail17trampoline_kernelINS0_14default_configENS1_38merge_sort_block_merge_config_selectorIjNS0_10empty_typeEEEZZNS1_27merge_sort_block_merge_implIS3_N6thrust23THRUST_200600_302600_NS6detail15normal_iteratorINS9_10device_ptrIjEEEEPS5_m11less_div_10IjEEE10hipError_tT0_T1_T2_jT3_P12ihipStream_tbPNSt15iterator_traitsISJ_E10value_typeEPNSP_ISK_E10value_typeEPSL_NS1_7vsmem_tEENKUlT_SJ_SK_SL_E_clISE_PjSF_SF_EESI_SY_SJ_SK_SL_EUlSY_E1_NS1_11comp_targetILNS1_3genE10ELNS1_11target_archE1201ELNS1_3gpuE5ELNS1_3repE0EEENS1_36merge_oddeven_config_static_selectorELNS0_4arch9wavefront6targetE0EEEvSK_: ; @_ZN7rocprim17ROCPRIM_400000_NS6detail17trampoline_kernelINS0_14default_configENS1_38merge_sort_block_merge_config_selectorIjNS0_10empty_typeEEEZZNS1_27merge_sort_block_merge_implIS3_N6thrust23THRUST_200600_302600_NS6detail15normal_iteratorINS9_10device_ptrIjEEEEPS5_m11less_div_10IjEEE10hipError_tT0_T1_T2_jT3_P12ihipStream_tbPNSt15iterator_traitsISJ_E10value_typeEPNSP_ISK_E10value_typeEPSL_NS1_7vsmem_tEENKUlT_SJ_SK_SL_E_clISE_PjSF_SF_EESI_SY_SJ_SK_SL_EUlSY_E1_NS1_11comp_targetILNS1_3genE10ELNS1_11target_archE1201ELNS1_3gpuE5ELNS1_3repE0EEENS1_36merge_oddeven_config_static_selectorELNS0_4arch9wavefront6targetE0EEEvSK_
; %bb.0:
	.section	.rodata,"a",@progbits
	.p2align	6, 0x0
	.amdhsa_kernel _ZN7rocprim17ROCPRIM_400000_NS6detail17trampoline_kernelINS0_14default_configENS1_38merge_sort_block_merge_config_selectorIjNS0_10empty_typeEEEZZNS1_27merge_sort_block_merge_implIS3_N6thrust23THRUST_200600_302600_NS6detail15normal_iteratorINS9_10device_ptrIjEEEEPS5_m11less_div_10IjEEE10hipError_tT0_T1_T2_jT3_P12ihipStream_tbPNSt15iterator_traitsISJ_E10value_typeEPNSP_ISK_E10value_typeEPSL_NS1_7vsmem_tEENKUlT_SJ_SK_SL_E_clISE_PjSF_SF_EESI_SY_SJ_SK_SL_EUlSY_E1_NS1_11comp_targetILNS1_3genE10ELNS1_11target_archE1201ELNS1_3gpuE5ELNS1_3repE0EEENS1_36merge_oddeven_config_static_selectorELNS0_4arch9wavefront6targetE0EEEvSK_
		.amdhsa_group_segment_fixed_size 0
		.amdhsa_private_segment_fixed_size 0
		.amdhsa_kernarg_size 56
		.amdhsa_user_sgpr_count 6
		.amdhsa_user_sgpr_private_segment_buffer 1
		.amdhsa_user_sgpr_dispatch_ptr 0
		.amdhsa_user_sgpr_queue_ptr 0
		.amdhsa_user_sgpr_kernarg_segment_ptr 1
		.amdhsa_user_sgpr_dispatch_id 0
		.amdhsa_user_sgpr_flat_scratch_init 0
		.amdhsa_user_sgpr_private_segment_size 0
		.amdhsa_wavefront_size32 1
		.amdhsa_uses_dynamic_stack 0
		.amdhsa_system_sgpr_private_segment_wavefront_offset 0
		.amdhsa_system_sgpr_workgroup_id_x 1
		.amdhsa_system_sgpr_workgroup_id_y 0
		.amdhsa_system_sgpr_workgroup_id_z 0
		.amdhsa_system_sgpr_workgroup_info 0
		.amdhsa_system_vgpr_workitem_id 0
		.amdhsa_next_free_vgpr 1
		.amdhsa_next_free_sgpr 1
		.amdhsa_reserve_vcc 0
		.amdhsa_reserve_flat_scratch 0
		.amdhsa_float_round_mode_32 0
		.amdhsa_float_round_mode_16_64 0
		.amdhsa_float_denorm_mode_32 3
		.amdhsa_float_denorm_mode_16_64 3
		.amdhsa_dx10_clamp 1
		.amdhsa_ieee_mode 1
		.amdhsa_fp16_overflow 0
		.amdhsa_workgroup_processor_mode 1
		.amdhsa_memory_ordered 1
		.amdhsa_forward_progress 1
		.amdhsa_shared_vgpr_count 0
		.amdhsa_exception_fp_ieee_invalid_op 0
		.amdhsa_exception_fp_denorm_src 0
		.amdhsa_exception_fp_ieee_div_zero 0
		.amdhsa_exception_fp_ieee_overflow 0
		.amdhsa_exception_fp_ieee_underflow 0
		.amdhsa_exception_fp_ieee_inexact 0
		.amdhsa_exception_int_div_zero 0
	.end_amdhsa_kernel
	.section	.text._ZN7rocprim17ROCPRIM_400000_NS6detail17trampoline_kernelINS0_14default_configENS1_38merge_sort_block_merge_config_selectorIjNS0_10empty_typeEEEZZNS1_27merge_sort_block_merge_implIS3_N6thrust23THRUST_200600_302600_NS6detail15normal_iteratorINS9_10device_ptrIjEEEEPS5_m11less_div_10IjEEE10hipError_tT0_T1_T2_jT3_P12ihipStream_tbPNSt15iterator_traitsISJ_E10value_typeEPNSP_ISK_E10value_typeEPSL_NS1_7vsmem_tEENKUlT_SJ_SK_SL_E_clISE_PjSF_SF_EESI_SY_SJ_SK_SL_EUlSY_E1_NS1_11comp_targetILNS1_3genE10ELNS1_11target_archE1201ELNS1_3gpuE5ELNS1_3repE0EEENS1_36merge_oddeven_config_static_selectorELNS0_4arch9wavefront6targetE0EEEvSK_,"axG",@progbits,_ZN7rocprim17ROCPRIM_400000_NS6detail17trampoline_kernelINS0_14default_configENS1_38merge_sort_block_merge_config_selectorIjNS0_10empty_typeEEEZZNS1_27merge_sort_block_merge_implIS3_N6thrust23THRUST_200600_302600_NS6detail15normal_iteratorINS9_10device_ptrIjEEEEPS5_m11less_div_10IjEEE10hipError_tT0_T1_T2_jT3_P12ihipStream_tbPNSt15iterator_traitsISJ_E10value_typeEPNSP_ISK_E10value_typeEPSL_NS1_7vsmem_tEENKUlT_SJ_SK_SL_E_clISE_PjSF_SF_EESI_SY_SJ_SK_SL_EUlSY_E1_NS1_11comp_targetILNS1_3genE10ELNS1_11target_archE1201ELNS1_3gpuE5ELNS1_3repE0EEENS1_36merge_oddeven_config_static_selectorELNS0_4arch9wavefront6targetE0EEEvSK_,comdat
.Lfunc_end188:
	.size	_ZN7rocprim17ROCPRIM_400000_NS6detail17trampoline_kernelINS0_14default_configENS1_38merge_sort_block_merge_config_selectorIjNS0_10empty_typeEEEZZNS1_27merge_sort_block_merge_implIS3_N6thrust23THRUST_200600_302600_NS6detail15normal_iteratorINS9_10device_ptrIjEEEEPS5_m11less_div_10IjEEE10hipError_tT0_T1_T2_jT3_P12ihipStream_tbPNSt15iterator_traitsISJ_E10value_typeEPNSP_ISK_E10value_typeEPSL_NS1_7vsmem_tEENKUlT_SJ_SK_SL_E_clISE_PjSF_SF_EESI_SY_SJ_SK_SL_EUlSY_E1_NS1_11comp_targetILNS1_3genE10ELNS1_11target_archE1201ELNS1_3gpuE5ELNS1_3repE0EEENS1_36merge_oddeven_config_static_selectorELNS0_4arch9wavefront6targetE0EEEvSK_, .Lfunc_end188-_ZN7rocprim17ROCPRIM_400000_NS6detail17trampoline_kernelINS0_14default_configENS1_38merge_sort_block_merge_config_selectorIjNS0_10empty_typeEEEZZNS1_27merge_sort_block_merge_implIS3_N6thrust23THRUST_200600_302600_NS6detail15normal_iteratorINS9_10device_ptrIjEEEEPS5_m11less_div_10IjEEE10hipError_tT0_T1_T2_jT3_P12ihipStream_tbPNSt15iterator_traitsISJ_E10value_typeEPNSP_ISK_E10value_typeEPSL_NS1_7vsmem_tEENKUlT_SJ_SK_SL_E_clISE_PjSF_SF_EESI_SY_SJ_SK_SL_EUlSY_E1_NS1_11comp_targetILNS1_3genE10ELNS1_11target_archE1201ELNS1_3gpuE5ELNS1_3repE0EEENS1_36merge_oddeven_config_static_selectorELNS0_4arch9wavefront6targetE0EEEvSK_
                                        ; -- End function
	.set _ZN7rocprim17ROCPRIM_400000_NS6detail17trampoline_kernelINS0_14default_configENS1_38merge_sort_block_merge_config_selectorIjNS0_10empty_typeEEEZZNS1_27merge_sort_block_merge_implIS3_N6thrust23THRUST_200600_302600_NS6detail15normal_iteratorINS9_10device_ptrIjEEEEPS5_m11less_div_10IjEEE10hipError_tT0_T1_T2_jT3_P12ihipStream_tbPNSt15iterator_traitsISJ_E10value_typeEPNSP_ISK_E10value_typeEPSL_NS1_7vsmem_tEENKUlT_SJ_SK_SL_E_clISE_PjSF_SF_EESI_SY_SJ_SK_SL_EUlSY_E1_NS1_11comp_targetILNS1_3genE10ELNS1_11target_archE1201ELNS1_3gpuE5ELNS1_3repE0EEENS1_36merge_oddeven_config_static_selectorELNS0_4arch9wavefront6targetE0EEEvSK_.num_vgpr, 0
	.set _ZN7rocprim17ROCPRIM_400000_NS6detail17trampoline_kernelINS0_14default_configENS1_38merge_sort_block_merge_config_selectorIjNS0_10empty_typeEEEZZNS1_27merge_sort_block_merge_implIS3_N6thrust23THRUST_200600_302600_NS6detail15normal_iteratorINS9_10device_ptrIjEEEEPS5_m11less_div_10IjEEE10hipError_tT0_T1_T2_jT3_P12ihipStream_tbPNSt15iterator_traitsISJ_E10value_typeEPNSP_ISK_E10value_typeEPSL_NS1_7vsmem_tEENKUlT_SJ_SK_SL_E_clISE_PjSF_SF_EESI_SY_SJ_SK_SL_EUlSY_E1_NS1_11comp_targetILNS1_3genE10ELNS1_11target_archE1201ELNS1_3gpuE5ELNS1_3repE0EEENS1_36merge_oddeven_config_static_selectorELNS0_4arch9wavefront6targetE0EEEvSK_.num_agpr, 0
	.set _ZN7rocprim17ROCPRIM_400000_NS6detail17trampoline_kernelINS0_14default_configENS1_38merge_sort_block_merge_config_selectorIjNS0_10empty_typeEEEZZNS1_27merge_sort_block_merge_implIS3_N6thrust23THRUST_200600_302600_NS6detail15normal_iteratorINS9_10device_ptrIjEEEEPS5_m11less_div_10IjEEE10hipError_tT0_T1_T2_jT3_P12ihipStream_tbPNSt15iterator_traitsISJ_E10value_typeEPNSP_ISK_E10value_typeEPSL_NS1_7vsmem_tEENKUlT_SJ_SK_SL_E_clISE_PjSF_SF_EESI_SY_SJ_SK_SL_EUlSY_E1_NS1_11comp_targetILNS1_3genE10ELNS1_11target_archE1201ELNS1_3gpuE5ELNS1_3repE0EEENS1_36merge_oddeven_config_static_selectorELNS0_4arch9wavefront6targetE0EEEvSK_.numbered_sgpr, 0
	.set _ZN7rocprim17ROCPRIM_400000_NS6detail17trampoline_kernelINS0_14default_configENS1_38merge_sort_block_merge_config_selectorIjNS0_10empty_typeEEEZZNS1_27merge_sort_block_merge_implIS3_N6thrust23THRUST_200600_302600_NS6detail15normal_iteratorINS9_10device_ptrIjEEEEPS5_m11less_div_10IjEEE10hipError_tT0_T1_T2_jT3_P12ihipStream_tbPNSt15iterator_traitsISJ_E10value_typeEPNSP_ISK_E10value_typeEPSL_NS1_7vsmem_tEENKUlT_SJ_SK_SL_E_clISE_PjSF_SF_EESI_SY_SJ_SK_SL_EUlSY_E1_NS1_11comp_targetILNS1_3genE10ELNS1_11target_archE1201ELNS1_3gpuE5ELNS1_3repE0EEENS1_36merge_oddeven_config_static_selectorELNS0_4arch9wavefront6targetE0EEEvSK_.num_named_barrier, 0
	.set _ZN7rocprim17ROCPRIM_400000_NS6detail17trampoline_kernelINS0_14default_configENS1_38merge_sort_block_merge_config_selectorIjNS0_10empty_typeEEEZZNS1_27merge_sort_block_merge_implIS3_N6thrust23THRUST_200600_302600_NS6detail15normal_iteratorINS9_10device_ptrIjEEEEPS5_m11less_div_10IjEEE10hipError_tT0_T1_T2_jT3_P12ihipStream_tbPNSt15iterator_traitsISJ_E10value_typeEPNSP_ISK_E10value_typeEPSL_NS1_7vsmem_tEENKUlT_SJ_SK_SL_E_clISE_PjSF_SF_EESI_SY_SJ_SK_SL_EUlSY_E1_NS1_11comp_targetILNS1_3genE10ELNS1_11target_archE1201ELNS1_3gpuE5ELNS1_3repE0EEENS1_36merge_oddeven_config_static_selectorELNS0_4arch9wavefront6targetE0EEEvSK_.private_seg_size, 0
	.set _ZN7rocprim17ROCPRIM_400000_NS6detail17trampoline_kernelINS0_14default_configENS1_38merge_sort_block_merge_config_selectorIjNS0_10empty_typeEEEZZNS1_27merge_sort_block_merge_implIS3_N6thrust23THRUST_200600_302600_NS6detail15normal_iteratorINS9_10device_ptrIjEEEEPS5_m11less_div_10IjEEE10hipError_tT0_T1_T2_jT3_P12ihipStream_tbPNSt15iterator_traitsISJ_E10value_typeEPNSP_ISK_E10value_typeEPSL_NS1_7vsmem_tEENKUlT_SJ_SK_SL_E_clISE_PjSF_SF_EESI_SY_SJ_SK_SL_EUlSY_E1_NS1_11comp_targetILNS1_3genE10ELNS1_11target_archE1201ELNS1_3gpuE5ELNS1_3repE0EEENS1_36merge_oddeven_config_static_selectorELNS0_4arch9wavefront6targetE0EEEvSK_.uses_vcc, 0
	.set _ZN7rocprim17ROCPRIM_400000_NS6detail17trampoline_kernelINS0_14default_configENS1_38merge_sort_block_merge_config_selectorIjNS0_10empty_typeEEEZZNS1_27merge_sort_block_merge_implIS3_N6thrust23THRUST_200600_302600_NS6detail15normal_iteratorINS9_10device_ptrIjEEEEPS5_m11less_div_10IjEEE10hipError_tT0_T1_T2_jT3_P12ihipStream_tbPNSt15iterator_traitsISJ_E10value_typeEPNSP_ISK_E10value_typeEPSL_NS1_7vsmem_tEENKUlT_SJ_SK_SL_E_clISE_PjSF_SF_EESI_SY_SJ_SK_SL_EUlSY_E1_NS1_11comp_targetILNS1_3genE10ELNS1_11target_archE1201ELNS1_3gpuE5ELNS1_3repE0EEENS1_36merge_oddeven_config_static_selectorELNS0_4arch9wavefront6targetE0EEEvSK_.uses_flat_scratch, 0
	.set _ZN7rocprim17ROCPRIM_400000_NS6detail17trampoline_kernelINS0_14default_configENS1_38merge_sort_block_merge_config_selectorIjNS0_10empty_typeEEEZZNS1_27merge_sort_block_merge_implIS3_N6thrust23THRUST_200600_302600_NS6detail15normal_iteratorINS9_10device_ptrIjEEEEPS5_m11less_div_10IjEEE10hipError_tT0_T1_T2_jT3_P12ihipStream_tbPNSt15iterator_traitsISJ_E10value_typeEPNSP_ISK_E10value_typeEPSL_NS1_7vsmem_tEENKUlT_SJ_SK_SL_E_clISE_PjSF_SF_EESI_SY_SJ_SK_SL_EUlSY_E1_NS1_11comp_targetILNS1_3genE10ELNS1_11target_archE1201ELNS1_3gpuE5ELNS1_3repE0EEENS1_36merge_oddeven_config_static_selectorELNS0_4arch9wavefront6targetE0EEEvSK_.has_dyn_sized_stack, 0
	.set _ZN7rocprim17ROCPRIM_400000_NS6detail17trampoline_kernelINS0_14default_configENS1_38merge_sort_block_merge_config_selectorIjNS0_10empty_typeEEEZZNS1_27merge_sort_block_merge_implIS3_N6thrust23THRUST_200600_302600_NS6detail15normal_iteratorINS9_10device_ptrIjEEEEPS5_m11less_div_10IjEEE10hipError_tT0_T1_T2_jT3_P12ihipStream_tbPNSt15iterator_traitsISJ_E10value_typeEPNSP_ISK_E10value_typeEPSL_NS1_7vsmem_tEENKUlT_SJ_SK_SL_E_clISE_PjSF_SF_EESI_SY_SJ_SK_SL_EUlSY_E1_NS1_11comp_targetILNS1_3genE10ELNS1_11target_archE1201ELNS1_3gpuE5ELNS1_3repE0EEENS1_36merge_oddeven_config_static_selectorELNS0_4arch9wavefront6targetE0EEEvSK_.has_recursion, 0
	.set _ZN7rocprim17ROCPRIM_400000_NS6detail17trampoline_kernelINS0_14default_configENS1_38merge_sort_block_merge_config_selectorIjNS0_10empty_typeEEEZZNS1_27merge_sort_block_merge_implIS3_N6thrust23THRUST_200600_302600_NS6detail15normal_iteratorINS9_10device_ptrIjEEEEPS5_m11less_div_10IjEEE10hipError_tT0_T1_T2_jT3_P12ihipStream_tbPNSt15iterator_traitsISJ_E10value_typeEPNSP_ISK_E10value_typeEPSL_NS1_7vsmem_tEENKUlT_SJ_SK_SL_E_clISE_PjSF_SF_EESI_SY_SJ_SK_SL_EUlSY_E1_NS1_11comp_targetILNS1_3genE10ELNS1_11target_archE1201ELNS1_3gpuE5ELNS1_3repE0EEENS1_36merge_oddeven_config_static_selectorELNS0_4arch9wavefront6targetE0EEEvSK_.has_indirect_call, 0
	.section	.AMDGPU.csdata,"",@progbits
; Kernel info:
; codeLenInByte = 0
; TotalNumSgprs: 0
; NumVgprs: 0
; ScratchSize: 0
; MemoryBound: 0
; FloatMode: 240
; IeeeMode: 1
; LDSByteSize: 0 bytes/workgroup (compile time only)
; SGPRBlocks: 0
; VGPRBlocks: 0
; NumSGPRsForWavesPerEU: 1
; NumVGPRsForWavesPerEU: 1
; Occupancy: 16
; WaveLimiterHint : 0
; COMPUTE_PGM_RSRC2:SCRATCH_EN: 0
; COMPUTE_PGM_RSRC2:USER_SGPR: 6
; COMPUTE_PGM_RSRC2:TRAP_HANDLER: 0
; COMPUTE_PGM_RSRC2:TGID_X_EN: 1
; COMPUTE_PGM_RSRC2:TGID_Y_EN: 0
; COMPUTE_PGM_RSRC2:TGID_Z_EN: 0
; COMPUTE_PGM_RSRC2:TIDIG_COMP_CNT: 0
	.section	.text._ZN7rocprim17ROCPRIM_400000_NS6detail17trampoline_kernelINS0_14default_configENS1_38merge_sort_block_merge_config_selectorIjNS0_10empty_typeEEEZZNS1_27merge_sort_block_merge_implIS3_N6thrust23THRUST_200600_302600_NS6detail15normal_iteratorINS9_10device_ptrIjEEEEPS5_m11less_div_10IjEEE10hipError_tT0_T1_T2_jT3_P12ihipStream_tbPNSt15iterator_traitsISJ_E10value_typeEPNSP_ISK_E10value_typeEPSL_NS1_7vsmem_tEENKUlT_SJ_SK_SL_E_clISE_PjSF_SF_EESI_SY_SJ_SK_SL_EUlSY_E1_NS1_11comp_targetILNS1_3genE5ELNS1_11target_archE942ELNS1_3gpuE9ELNS1_3repE0EEENS1_36merge_oddeven_config_static_selectorELNS0_4arch9wavefront6targetE0EEEvSK_,"axG",@progbits,_ZN7rocprim17ROCPRIM_400000_NS6detail17trampoline_kernelINS0_14default_configENS1_38merge_sort_block_merge_config_selectorIjNS0_10empty_typeEEEZZNS1_27merge_sort_block_merge_implIS3_N6thrust23THRUST_200600_302600_NS6detail15normal_iteratorINS9_10device_ptrIjEEEEPS5_m11less_div_10IjEEE10hipError_tT0_T1_T2_jT3_P12ihipStream_tbPNSt15iterator_traitsISJ_E10value_typeEPNSP_ISK_E10value_typeEPSL_NS1_7vsmem_tEENKUlT_SJ_SK_SL_E_clISE_PjSF_SF_EESI_SY_SJ_SK_SL_EUlSY_E1_NS1_11comp_targetILNS1_3genE5ELNS1_11target_archE942ELNS1_3gpuE9ELNS1_3repE0EEENS1_36merge_oddeven_config_static_selectorELNS0_4arch9wavefront6targetE0EEEvSK_,comdat
	.protected	_ZN7rocprim17ROCPRIM_400000_NS6detail17trampoline_kernelINS0_14default_configENS1_38merge_sort_block_merge_config_selectorIjNS0_10empty_typeEEEZZNS1_27merge_sort_block_merge_implIS3_N6thrust23THRUST_200600_302600_NS6detail15normal_iteratorINS9_10device_ptrIjEEEEPS5_m11less_div_10IjEEE10hipError_tT0_T1_T2_jT3_P12ihipStream_tbPNSt15iterator_traitsISJ_E10value_typeEPNSP_ISK_E10value_typeEPSL_NS1_7vsmem_tEENKUlT_SJ_SK_SL_E_clISE_PjSF_SF_EESI_SY_SJ_SK_SL_EUlSY_E1_NS1_11comp_targetILNS1_3genE5ELNS1_11target_archE942ELNS1_3gpuE9ELNS1_3repE0EEENS1_36merge_oddeven_config_static_selectorELNS0_4arch9wavefront6targetE0EEEvSK_ ; -- Begin function _ZN7rocprim17ROCPRIM_400000_NS6detail17trampoline_kernelINS0_14default_configENS1_38merge_sort_block_merge_config_selectorIjNS0_10empty_typeEEEZZNS1_27merge_sort_block_merge_implIS3_N6thrust23THRUST_200600_302600_NS6detail15normal_iteratorINS9_10device_ptrIjEEEEPS5_m11less_div_10IjEEE10hipError_tT0_T1_T2_jT3_P12ihipStream_tbPNSt15iterator_traitsISJ_E10value_typeEPNSP_ISK_E10value_typeEPSL_NS1_7vsmem_tEENKUlT_SJ_SK_SL_E_clISE_PjSF_SF_EESI_SY_SJ_SK_SL_EUlSY_E1_NS1_11comp_targetILNS1_3genE5ELNS1_11target_archE942ELNS1_3gpuE9ELNS1_3repE0EEENS1_36merge_oddeven_config_static_selectorELNS0_4arch9wavefront6targetE0EEEvSK_
	.globl	_ZN7rocprim17ROCPRIM_400000_NS6detail17trampoline_kernelINS0_14default_configENS1_38merge_sort_block_merge_config_selectorIjNS0_10empty_typeEEEZZNS1_27merge_sort_block_merge_implIS3_N6thrust23THRUST_200600_302600_NS6detail15normal_iteratorINS9_10device_ptrIjEEEEPS5_m11less_div_10IjEEE10hipError_tT0_T1_T2_jT3_P12ihipStream_tbPNSt15iterator_traitsISJ_E10value_typeEPNSP_ISK_E10value_typeEPSL_NS1_7vsmem_tEENKUlT_SJ_SK_SL_E_clISE_PjSF_SF_EESI_SY_SJ_SK_SL_EUlSY_E1_NS1_11comp_targetILNS1_3genE5ELNS1_11target_archE942ELNS1_3gpuE9ELNS1_3repE0EEENS1_36merge_oddeven_config_static_selectorELNS0_4arch9wavefront6targetE0EEEvSK_
	.p2align	8
	.type	_ZN7rocprim17ROCPRIM_400000_NS6detail17trampoline_kernelINS0_14default_configENS1_38merge_sort_block_merge_config_selectorIjNS0_10empty_typeEEEZZNS1_27merge_sort_block_merge_implIS3_N6thrust23THRUST_200600_302600_NS6detail15normal_iteratorINS9_10device_ptrIjEEEEPS5_m11less_div_10IjEEE10hipError_tT0_T1_T2_jT3_P12ihipStream_tbPNSt15iterator_traitsISJ_E10value_typeEPNSP_ISK_E10value_typeEPSL_NS1_7vsmem_tEENKUlT_SJ_SK_SL_E_clISE_PjSF_SF_EESI_SY_SJ_SK_SL_EUlSY_E1_NS1_11comp_targetILNS1_3genE5ELNS1_11target_archE942ELNS1_3gpuE9ELNS1_3repE0EEENS1_36merge_oddeven_config_static_selectorELNS0_4arch9wavefront6targetE0EEEvSK_,@function
_ZN7rocprim17ROCPRIM_400000_NS6detail17trampoline_kernelINS0_14default_configENS1_38merge_sort_block_merge_config_selectorIjNS0_10empty_typeEEEZZNS1_27merge_sort_block_merge_implIS3_N6thrust23THRUST_200600_302600_NS6detail15normal_iteratorINS9_10device_ptrIjEEEEPS5_m11less_div_10IjEEE10hipError_tT0_T1_T2_jT3_P12ihipStream_tbPNSt15iterator_traitsISJ_E10value_typeEPNSP_ISK_E10value_typeEPSL_NS1_7vsmem_tEENKUlT_SJ_SK_SL_E_clISE_PjSF_SF_EESI_SY_SJ_SK_SL_EUlSY_E1_NS1_11comp_targetILNS1_3genE5ELNS1_11target_archE942ELNS1_3gpuE9ELNS1_3repE0EEENS1_36merge_oddeven_config_static_selectorELNS0_4arch9wavefront6targetE0EEEvSK_: ; @_ZN7rocprim17ROCPRIM_400000_NS6detail17trampoline_kernelINS0_14default_configENS1_38merge_sort_block_merge_config_selectorIjNS0_10empty_typeEEEZZNS1_27merge_sort_block_merge_implIS3_N6thrust23THRUST_200600_302600_NS6detail15normal_iteratorINS9_10device_ptrIjEEEEPS5_m11less_div_10IjEEE10hipError_tT0_T1_T2_jT3_P12ihipStream_tbPNSt15iterator_traitsISJ_E10value_typeEPNSP_ISK_E10value_typeEPSL_NS1_7vsmem_tEENKUlT_SJ_SK_SL_E_clISE_PjSF_SF_EESI_SY_SJ_SK_SL_EUlSY_E1_NS1_11comp_targetILNS1_3genE5ELNS1_11target_archE942ELNS1_3gpuE9ELNS1_3repE0EEENS1_36merge_oddeven_config_static_selectorELNS0_4arch9wavefront6targetE0EEEvSK_
; %bb.0:
	.section	.rodata,"a",@progbits
	.p2align	6, 0x0
	.amdhsa_kernel _ZN7rocprim17ROCPRIM_400000_NS6detail17trampoline_kernelINS0_14default_configENS1_38merge_sort_block_merge_config_selectorIjNS0_10empty_typeEEEZZNS1_27merge_sort_block_merge_implIS3_N6thrust23THRUST_200600_302600_NS6detail15normal_iteratorINS9_10device_ptrIjEEEEPS5_m11less_div_10IjEEE10hipError_tT0_T1_T2_jT3_P12ihipStream_tbPNSt15iterator_traitsISJ_E10value_typeEPNSP_ISK_E10value_typeEPSL_NS1_7vsmem_tEENKUlT_SJ_SK_SL_E_clISE_PjSF_SF_EESI_SY_SJ_SK_SL_EUlSY_E1_NS1_11comp_targetILNS1_3genE5ELNS1_11target_archE942ELNS1_3gpuE9ELNS1_3repE0EEENS1_36merge_oddeven_config_static_selectorELNS0_4arch9wavefront6targetE0EEEvSK_
		.amdhsa_group_segment_fixed_size 0
		.amdhsa_private_segment_fixed_size 0
		.amdhsa_kernarg_size 56
		.amdhsa_user_sgpr_count 6
		.amdhsa_user_sgpr_private_segment_buffer 1
		.amdhsa_user_sgpr_dispatch_ptr 0
		.amdhsa_user_sgpr_queue_ptr 0
		.amdhsa_user_sgpr_kernarg_segment_ptr 1
		.amdhsa_user_sgpr_dispatch_id 0
		.amdhsa_user_sgpr_flat_scratch_init 0
		.amdhsa_user_sgpr_private_segment_size 0
		.amdhsa_wavefront_size32 1
		.amdhsa_uses_dynamic_stack 0
		.amdhsa_system_sgpr_private_segment_wavefront_offset 0
		.amdhsa_system_sgpr_workgroup_id_x 1
		.amdhsa_system_sgpr_workgroup_id_y 0
		.amdhsa_system_sgpr_workgroup_id_z 0
		.amdhsa_system_sgpr_workgroup_info 0
		.amdhsa_system_vgpr_workitem_id 0
		.amdhsa_next_free_vgpr 1
		.amdhsa_next_free_sgpr 1
		.amdhsa_reserve_vcc 0
		.amdhsa_reserve_flat_scratch 0
		.amdhsa_float_round_mode_32 0
		.amdhsa_float_round_mode_16_64 0
		.amdhsa_float_denorm_mode_32 3
		.amdhsa_float_denorm_mode_16_64 3
		.amdhsa_dx10_clamp 1
		.amdhsa_ieee_mode 1
		.amdhsa_fp16_overflow 0
		.amdhsa_workgroup_processor_mode 1
		.amdhsa_memory_ordered 1
		.amdhsa_forward_progress 1
		.amdhsa_shared_vgpr_count 0
		.amdhsa_exception_fp_ieee_invalid_op 0
		.amdhsa_exception_fp_denorm_src 0
		.amdhsa_exception_fp_ieee_div_zero 0
		.amdhsa_exception_fp_ieee_overflow 0
		.amdhsa_exception_fp_ieee_underflow 0
		.amdhsa_exception_fp_ieee_inexact 0
		.amdhsa_exception_int_div_zero 0
	.end_amdhsa_kernel
	.section	.text._ZN7rocprim17ROCPRIM_400000_NS6detail17trampoline_kernelINS0_14default_configENS1_38merge_sort_block_merge_config_selectorIjNS0_10empty_typeEEEZZNS1_27merge_sort_block_merge_implIS3_N6thrust23THRUST_200600_302600_NS6detail15normal_iteratorINS9_10device_ptrIjEEEEPS5_m11less_div_10IjEEE10hipError_tT0_T1_T2_jT3_P12ihipStream_tbPNSt15iterator_traitsISJ_E10value_typeEPNSP_ISK_E10value_typeEPSL_NS1_7vsmem_tEENKUlT_SJ_SK_SL_E_clISE_PjSF_SF_EESI_SY_SJ_SK_SL_EUlSY_E1_NS1_11comp_targetILNS1_3genE5ELNS1_11target_archE942ELNS1_3gpuE9ELNS1_3repE0EEENS1_36merge_oddeven_config_static_selectorELNS0_4arch9wavefront6targetE0EEEvSK_,"axG",@progbits,_ZN7rocprim17ROCPRIM_400000_NS6detail17trampoline_kernelINS0_14default_configENS1_38merge_sort_block_merge_config_selectorIjNS0_10empty_typeEEEZZNS1_27merge_sort_block_merge_implIS3_N6thrust23THRUST_200600_302600_NS6detail15normal_iteratorINS9_10device_ptrIjEEEEPS5_m11less_div_10IjEEE10hipError_tT0_T1_T2_jT3_P12ihipStream_tbPNSt15iterator_traitsISJ_E10value_typeEPNSP_ISK_E10value_typeEPSL_NS1_7vsmem_tEENKUlT_SJ_SK_SL_E_clISE_PjSF_SF_EESI_SY_SJ_SK_SL_EUlSY_E1_NS1_11comp_targetILNS1_3genE5ELNS1_11target_archE942ELNS1_3gpuE9ELNS1_3repE0EEENS1_36merge_oddeven_config_static_selectorELNS0_4arch9wavefront6targetE0EEEvSK_,comdat
.Lfunc_end189:
	.size	_ZN7rocprim17ROCPRIM_400000_NS6detail17trampoline_kernelINS0_14default_configENS1_38merge_sort_block_merge_config_selectorIjNS0_10empty_typeEEEZZNS1_27merge_sort_block_merge_implIS3_N6thrust23THRUST_200600_302600_NS6detail15normal_iteratorINS9_10device_ptrIjEEEEPS5_m11less_div_10IjEEE10hipError_tT0_T1_T2_jT3_P12ihipStream_tbPNSt15iterator_traitsISJ_E10value_typeEPNSP_ISK_E10value_typeEPSL_NS1_7vsmem_tEENKUlT_SJ_SK_SL_E_clISE_PjSF_SF_EESI_SY_SJ_SK_SL_EUlSY_E1_NS1_11comp_targetILNS1_3genE5ELNS1_11target_archE942ELNS1_3gpuE9ELNS1_3repE0EEENS1_36merge_oddeven_config_static_selectorELNS0_4arch9wavefront6targetE0EEEvSK_, .Lfunc_end189-_ZN7rocprim17ROCPRIM_400000_NS6detail17trampoline_kernelINS0_14default_configENS1_38merge_sort_block_merge_config_selectorIjNS0_10empty_typeEEEZZNS1_27merge_sort_block_merge_implIS3_N6thrust23THRUST_200600_302600_NS6detail15normal_iteratorINS9_10device_ptrIjEEEEPS5_m11less_div_10IjEEE10hipError_tT0_T1_T2_jT3_P12ihipStream_tbPNSt15iterator_traitsISJ_E10value_typeEPNSP_ISK_E10value_typeEPSL_NS1_7vsmem_tEENKUlT_SJ_SK_SL_E_clISE_PjSF_SF_EESI_SY_SJ_SK_SL_EUlSY_E1_NS1_11comp_targetILNS1_3genE5ELNS1_11target_archE942ELNS1_3gpuE9ELNS1_3repE0EEENS1_36merge_oddeven_config_static_selectorELNS0_4arch9wavefront6targetE0EEEvSK_
                                        ; -- End function
	.set _ZN7rocprim17ROCPRIM_400000_NS6detail17trampoline_kernelINS0_14default_configENS1_38merge_sort_block_merge_config_selectorIjNS0_10empty_typeEEEZZNS1_27merge_sort_block_merge_implIS3_N6thrust23THRUST_200600_302600_NS6detail15normal_iteratorINS9_10device_ptrIjEEEEPS5_m11less_div_10IjEEE10hipError_tT0_T1_T2_jT3_P12ihipStream_tbPNSt15iterator_traitsISJ_E10value_typeEPNSP_ISK_E10value_typeEPSL_NS1_7vsmem_tEENKUlT_SJ_SK_SL_E_clISE_PjSF_SF_EESI_SY_SJ_SK_SL_EUlSY_E1_NS1_11comp_targetILNS1_3genE5ELNS1_11target_archE942ELNS1_3gpuE9ELNS1_3repE0EEENS1_36merge_oddeven_config_static_selectorELNS0_4arch9wavefront6targetE0EEEvSK_.num_vgpr, 0
	.set _ZN7rocprim17ROCPRIM_400000_NS6detail17trampoline_kernelINS0_14default_configENS1_38merge_sort_block_merge_config_selectorIjNS0_10empty_typeEEEZZNS1_27merge_sort_block_merge_implIS3_N6thrust23THRUST_200600_302600_NS6detail15normal_iteratorINS9_10device_ptrIjEEEEPS5_m11less_div_10IjEEE10hipError_tT0_T1_T2_jT3_P12ihipStream_tbPNSt15iterator_traitsISJ_E10value_typeEPNSP_ISK_E10value_typeEPSL_NS1_7vsmem_tEENKUlT_SJ_SK_SL_E_clISE_PjSF_SF_EESI_SY_SJ_SK_SL_EUlSY_E1_NS1_11comp_targetILNS1_3genE5ELNS1_11target_archE942ELNS1_3gpuE9ELNS1_3repE0EEENS1_36merge_oddeven_config_static_selectorELNS0_4arch9wavefront6targetE0EEEvSK_.num_agpr, 0
	.set _ZN7rocprim17ROCPRIM_400000_NS6detail17trampoline_kernelINS0_14default_configENS1_38merge_sort_block_merge_config_selectorIjNS0_10empty_typeEEEZZNS1_27merge_sort_block_merge_implIS3_N6thrust23THRUST_200600_302600_NS6detail15normal_iteratorINS9_10device_ptrIjEEEEPS5_m11less_div_10IjEEE10hipError_tT0_T1_T2_jT3_P12ihipStream_tbPNSt15iterator_traitsISJ_E10value_typeEPNSP_ISK_E10value_typeEPSL_NS1_7vsmem_tEENKUlT_SJ_SK_SL_E_clISE_PjSF_SF_EESI_SY_SJ_SK_SL_EUlSY_E1_NS1_11comp_targetILNS1_3genE5ELNS1_11target_archE942ELNS1_3gpuE9ELNS1_3repE0EEENS1_36merge_oddeven_config_static_selectorELNS0_4arch9wavefront6targetE0EEEvSK_.numbered_sgpr, 0
	.set _ZN7rocprim17ROCPRIM_400000_NS6detail17trampoline_kernelINS0_14default_configENS1_38merge_sort_block_merge_config_selectorIjNS0_10empty_typeEEEZZNS1_27merge_sort_block_merge_implIS3_N6thrust23THRUST_200600_302600_NS6detail15normal_iteratorINS9_10device_ptrIjEEEEPS5_m11less_div_10IjEEE10hipError_tT0_T1_T2_jT3_P12ihipStream_tbPNSt15iterator_traitsISJ_E10value_typeEPNSP_ISK_E10value_typeEPSL_NS1_7vsmem_tEENKUlT_SJ_SK_SL_E_clISE_PjSF_SF_EESI_SY_SJ_SK_SL_EUlSY_E1_NS1_11comp_targetILNS1_3genE5ELNS1_11target_archE942ELNS1_3gpuE9ELNS1_3repE0EEENS1_36merge_oddeven_config_static_selectorELNS0_4arch9wavefront6targetE0EEEvSK_.num_named_barrier, 0
	.set _ZN7rocprim17ROCPRIM_400000_NS6detail17trampoline_kernelINS0_14default_configENS1_38merge_sort_block_merge_config_selectorIjNS0_10empty_typeEEEZZNS1_27merge_sort_block_merge_implIS3_N6thrust23THRUST_200600_302600_NS6detail15normal_iteratorINS9_10device_ptrIjEEEEPS5_m11less_div_10IjEEE10hipError_tT0_T1_T2_jT3_P12ihipStream_tbPNSt15iterator_traitsISJ_E10value_typeEPNSP_ISK_E10value_typeEPSL_NS1_7vsmem_tEENKUlT_SJ_SK_SL_E_clISE_PjSF_SF_EESI_SY_SJ_SK_SL_EUlSY_E1_NS1_11comp_targetILNS1_3genE5ELNS1_11target_archE942ELNS1_3gpuE9ELNS1_3repE0EEENS1_36merge_oddeven_config_static_selectorELNS0_4arch9wavefront6targetE0EEEvSK_.private_seg_size, 0
	.set _ZN7rocprim17ROCPRIM_400000_NS6detail17trampoline_kernelINS0_14default_configENS1_38merge_sort_block_merge_config_selectorIjNS0_10empty_typeEEEZZNS1_27merge_sort_block_merge_implIS3_N6thrust23THRUST_200600_302600_NS6detail15normal_iteratorINS9_10device_ptrIjEEEEPS5_m11less_div_10IjEEE10hipError_tT0_T1_T2_jT3_P12ihipStream_tbPNSt15iterator_traitsISJ_E10value_typeEPNSP_ISK_E10value_typeEPSL_NS1_7vsmem_tEENKUlT_SJ_SK_SL_E_clISE_PjSF_SF_EESI_SY_SJ_SK_SL_EUlSY_E1_NS1_11comp_targetILNS1_3genE5ELNS1_11target_archE942ELNS1_3gpuE9ELNS1_3repE0EEENS1_36merge_oddeven_config_static_selectorELNS0_4arch9wavefront6targetE0EEEvSK_.uses_vcc, 0
	.set _ZN7rocprim17ROCPRIM_400000_NS6detail17trampoline_kernelINS0_14default_configENS1_38merge_sort_block_merge_config_selectorIjNS0_10empty_typeEEEZZNS1_27merge_sort_block_merge_implIS3_N6thrust23THRUST_200600_302600_NS6detail15normal_iteratorINS9_10device_ptrIjEEEEPS5_m11less_div_10IjEEE10hipError_tT0_T1_T2_jT3_P12ihipStream_tbPNSt15iterator_traitsISJ_E10value_typeEPNSP_ISK_E10value_typeEPSL_NS1_7vsmem_tEENKUlT_SJ_SK_SL_E_clISE_PjSF_SF_EESI_SY_SJ_SK_SL_EUlSY_E1_NS1_11comp_targetILNS1_3genE5ELNS1_11target_archE942ELNS1_3gpuE9ELNS1_3repE0EEENS1_36merge_oddeven_config_static_selectorELNS0_4arch9wavefront6targetE0EEEvSK_.uses_flat_scratch, 0
	.set _ZN7rocprim17ROCPRIM_400000_NS6detail17trampoline_kernelINS0_14default_configENS1_38merge_sort_block_merge_config_selectorIjNS0_10empty_typeEEEZZNS1_27merge_sort_block_merge_implIS3_N6thrust23THRUST_200600_302600_NS6detail15normal_iteratorINS9_10device_ptrIjEEEEPS5_m11less_div_10IjEEE10hipError_tT0_T1_T2_jT3_P12ihipStream_tbPNSt15iterator_traitsISJ_E10value_typeEPNSP_ISK_E10value_typeEPSL_NS1_7vsmem_tEENKUlT_SJ_SK_SL_E_clISE_PjSF_SF_EESI_SY_SJ_SK_SL_EUlSY_E1_NS1_11comp_targetILNS1_3genE5ELNS1_11target_archE942ELNS1_3gpuE9ELNS1_3repE0EEENS1_36merge_oddeven_config_static_selectorELNS0_4arch9wavefront6targetE0EEEvSK_.has_dyn_sized_stack, 0
	.set _ZN7rocprim17ROCPRIM_400000_NS6detail17trampoline_kernelINS0_14default_configENS1_38merge_sort_block_merge_config_selectorIjNS0_10empty_typeEEEZZNS1_27merge_sort_block_merge_implIS3_N6thrust23THRUST_200600_302600_NS6detail15normal_iteratorINS9_10device_ptrIjEEEEPS5_m11less_div_10IjEEE10hipError_tT0_T1_T2_jT3_P12ihipStream_tbPNSt15iterator_traitsISJ_E10value_typeEPNSP_ISK_E10value_typeEPSL_NS1_7vsmem_tEENKUlT_SJ_SK_SL_E_clISE_PjSF_SF_EESI_SY_SJ_SK_SL_EUlSY_E1_NS1_11comp_targetILNS1_3genE5ELNS1_11target_archE942ELNS1_3gpuE9ELNS1_3repE0EEENS1_36merge_oddeven_config_static_selectorELNS0_4arch9wavefront6targetE0EEEvSK_.has_recursion, 0
	.set _ZN7rocprim17ROCPRIM_400000_NS6detail17trampoline_kernelINS0_14default_configENS1_38merge_sort_block_merge_config_selectorIjNS0_10empty_typeEEEZZNS1_27merge_sort_block_merge_implIS3_N6thrust23THRUST_200600_302600_NS6detail15normal_iteratorINS9_10device_ptrIjEEEEPS5_m11less_div_10IjEEE10hipError_tT0_T1_T2_jT3_P12ihipStream_tbPNSt15iterator_traitsISJ_E10value_typeEPNSP_ISK_E10value_typeEPSL_NS1_7vsmem_tEENKUlT_SJ_SK_SL_E_clISE_PjSF_SF_EESI_SY_SJ_SK_SL_EUlSY_E1_NS1_11comp_targetILNS1_3genE5ELNS1_11target_archE942ELNS1_3gpuE9ELNS1_3repE0EEENS1_36merge_oddeven_config_static_selectorELNS0_4arch9wavefront6targetE0EEEvSK_.has_indirect_call, 0
	.section	.AMDGPU.csdata,"",@progbits
; Kernel info:
; codeLenInByte = 0
; TotalNumSgprs: 0
; NumVgprs: 0
; ScratchSize: 0
; MemoryBound: 0
; FloatMode: 240
; IeeeMode: 1
; LDSByteSize: 0 bytes/workgroup (compile time only)
; SGPRBlocks: 0
; VGPRBlocks: 0
; NumSGPRsForWavesPerEU: 1
; NumVGPRsForWavesPerEU: 1
; Occupancy: 16
; WaveLimiterHint : 0
; COMPUTE_PGM_RSRC2:SCRATCH_EN: 0
; COMPUTE_PGM_RSRC2:USER_SGPR: 6
; COMPUTE_PGM_RSRC2:TRAP_HANDLER: 0
; COMPUTE_PGM_RSRC2:TGID_X_EN: 1
; COMPUTE_PGM_RSRC2:TGID_Y_EN: 0
; COMPUTE_PGM_RSRC2:TGID_Z_EN: 0
; COMPUTE_PGM_RSRC2:TIDIG_COMP_CNT: 0
	.section	.text._ZN7rocprim17ROCPRIM_400000_NS6detail17trampoline_kernelINS0_14default_configENS1_38merge_sort_block_merge_config_selectorIjNS0_10empty_typeEEEZZNS1_27merge_sort_block_merge_implIS3_N6thrust23THRUST_200600_302600_NS6detail15normal_iteratorINS9_10device_ptrIjEEEEPS5_m11less_div_10IjEEE10hipError_tT0_T1_T2_jT3_P12ihipStream_tbPNSt15iterator_traitsISJ_E10value_typeEPNSP_ISK_E10value_typeEPSL_NS1_7vsmem_tEENKUlT_SJ_SK_SL_E_clISE_PjSF_SF_EESI_SY_SJ_SK_SL_EUlSY_E1_NS1_11comp_targetILNS1_3genE4ELNS1_11target_archE910ELNS1_3gpuE8ELNS1_3repE0EEENS1_36merge_oddeven_config_static_selectorELNS0_4arch9wavefront6targetE0EEEvSK_,"axG",@progbits,_ZN7rocprim17ROCPRIM_400000_NS6detail17trampoline_kernelINS0_14default_configENS1_38merge_sort_block_merge_config_selectorIjNS0_10empty_typeEEEZZNS1_27merge_sort_block_merge_implIS3_N6thrust23THRUST_200600_302600_NS6detail15normal_iteratorINS9_10device_ptrIjEEEEPS5_m11less_div_10IjEEE10hipError_tT0_T1_T2_jT3_P12ihipStream_tbPNSt15iterator_traitsISJ_E10value_typeEPNSP_ISK_E10value_typeEPSL_NS1_7vsmem_tEENKUlT_SJ_SK_SL_E_clISE_PjSF_SF_EESI_SY_SJ_SK_SL_EUlSY_E1_NS1_11comp_targetILNS1_3genE4ELNS1_11target_archE910ELNS1_3gpuE8ELNS1_3repE0EEENS1_36merge_oddeven_config_static_selectorELNS0_4arch9wavefront6targetE0EEEvSK_,comdat
	.protected	_ZN7rocprim17ROCPRIM_400000_NS6detail17trampoline_kernelINS0_14default_configENS1_38merge_sort_block_merge_config_selectorIjNS0_10empty_typeEEEZZNS1_27merge_sort_block_merge_implIS3_N6thrust23THRUST_200600_302600_NS6detail15normal_iteratorINS9_10device_ptrIjEEEEPS5_m11less_div_10IjEEE10hipError_tT0_T1_T2_jT3_P12ihipStream_tbPNSt15iterator_traitsISJ_E10value_typeEPNSP_ISK_E10value_typeEPSL_NS1_7vsmem_tEENKUlT_SJ_SK_SL_E_clISE_PjSF_SF_EESI_SY_SJ_SK_SL_EUlSY_E1_NS1_11comp_targetILNS1_3genE4ELNS1_11target_archE910ELNS1_3gpuE8ELNS1_3repE0EEENS1_36merge_oddeven_config_static_selectorELNS0_4arch9wavefront6targetE0EEEvSK_ ; -- Begin function _ZN7rocprim17ROCPRIM_400000_NS6detail17trampoline_kernelINS0_14default_configENS1_38merge_sort_block_merge_config_selectorIjNS0_10empty_typeEEEZZNS1_27merge_sort_block_merge_implIS3_N6thrust23THRUST_200600_302600_NS6detail15normal_iteratorINS9_10device_ptrIjEEEEPS5_m11less_div_10IjEEE10hipError_tT0_T1_T2_jT3_P12ihipStream_tbPNSt15iterator_traitsISJ_E10value_typeEPNSP_ISK_E10value_typeEPSL_NS1_7vsmem_tEENKUlT_SJ_SK_SL_E_clISE_PjSF_SF_EESI_SY_SJ_SK_SL_EUlSY_E1_NS1_11comp_targetILNS1_3genE4ELNS1_11target_archE910ELNS1_3gpuE8ELNS1_3repE0EEENS1_36merge_oddeven_config_static_selectorELNS0_4arch9wavefront6targetE0EEEvSK_
	.globl	_ZN7rocprim17ROCPRIM_400000_NS6detail17trampoline_kernelINS0_14default_configENS1_38merge_sort_block_merge_config_selectorIjNS0_10empty_typeEEEZZNS1_27merge_sort_block_merge_implIS3_N6thrust23THRUST_200600_302600_NS6detail15normal_iteratorINS9_10device_ptrIjEEEEPS5_m11less_div_10IjEEE10hipError_tT0_T1_T2_jT3_P12ihipStream_tbPNSt15iterator_traitsISJ_E10value_typeEPNSP_ISK_E10value_typeEPSL_NS1_7vsmem_tEENKUlT_SJ_SK_SL_E_clISE_PjSF_SF_EESI_SY_SJ_SK_SL_EUlSY_E1_NS1_11comp_targetILNS1_3genE4ELNS1_11target_archE910ELNS1_3gpuE8ELNS1_3repE0EEENS1_36merge_oddeven_config_static_selectorELNS0_4arch9wavefront6targetE0EEEvSK_
	.p2align	8
	.type	_ZN7rocprim17ROCPRIM_400000_NS6detail17trampoline_kernelINS0_14default_configENS1_38merge_sort_block_merge_config_selectorIjNS0_10empty_typeEEEZZNS1_27merge_sort_block_merge_implIS3_N6thrust23THRUST_200600_302600_NS6detail15normal_iteratorINS9_10device_ptrIjEEEEPS5_m11less_div_10IjEEE10hipError_tT0_T1_T2_jT3_P12ihipStream_tbPNSt15iterator_traitsISJ_E10value_typeEPNSP_ISK_E10value_typeEPSL_NS1_7vsmem_tEENKUlT_SJ_SK_SL_E_clISE_PjSF_SF_EESI_SY_SJ_SK_SL_EUlSY_E1_NS1_11comp_targetILNS1_3genE4ELNS1_11target_archE910ELNS1_3gpuE8ELNS1_3repE0EEENS1_36merge_oddeven_config_static_selectorELNS0_4arch9wavefront6targetE0EEEvSK_,@function
_ZN7rocprim17ROCPRIM_400000_NS6detail17trampoline_kernelINS0_14default_configENS1_38merge_sort_block_merge_config_selectorIjNS0_10empty_typeEEEZZNS1_27merge_sort_block_merge_implIS3_N6thrust23THRUST_200600_302600_NS6detail15normal_iteratorINS9_10device_ptrIjEEEEPS5_m11less_div_10IjEEE10hipError_tT0_T1_T2_jT3_P12ihipStream_tbPNSt15iterator_traitsISJ_E10value_typeEPNSP_ISK_E10value_typeEPSL_NS1_7vsmem_tEENKUlT_SJ_SK_SL_E_clISE_PjSF_SF_EESI_SY_SJ_SK_SL_EUlSY_E1_NS1_11comp_targetILNS1_3genE4ELNS1_11target_archE910ELNS1_3gpuE8ELNS1_3repE0EEENS1_36merge_oddeven_config_static_selectorELNS0_4arch9wavefront6targetE0EEEvSK_: ; @_ZN7rocprim17ROCPRIM_400000_NS6detail17trampoline_kernelINS0_14default_configENS1_38merge_sort_block_merge_config_selectorIjNS0_10empty_typeEEEZZNS1_27merge_sort_block_merge_implIS3_N6thrust23THRUST_200600_302600_NS6detail15normal_iteratorINS9_10device_ptrIjEEEEPS5_m11less_div_10IjEEE10hipError_tT0_T1_T2_jT3_P12ihipStream_tbPNSt15iterator_traitsISJ_E10value_typeEPNSP_ISK_E10value_typeEPSL_NS1_7vsmem_tEENKUlT_SJ_SK_SL_E_clISE_PjSF_SF_EESI_SY_SJ_SK_SL_EUlSY_E1_NS1_11comp_targetILNS1_3genE4ELNS1_11target_archE910ELNS1_3gpuE8ELNS1_3repE0EEENS1_36merge_oddeven_config_static_selectorELNS0_4arch9wavefront6targetE0EEEvSK_
; %bb.0:
	.section	.rodata,"a",@progbits
	.p2align	6, 0x0
	.amdhsa_kernel _ZN7rocprim17ROCPRIM_400000_NS6detail17trampoline_kernelINS0_14default_configENS1_38merge_sort_block_merge_config_selectorIjNS0_10empty_typeEEEZZNS1_27merge_sort_block_merge_implIS3_N6thrust23THRUST_200600_302600_NS6detail15normal_iteratorINS9_10device_ptrIjEEEEPS5_m11less_div_10IjEEE10hipError_tT0_T1_T2_jT3_P12ihipStream_tbPNSt15iterator_traitsISJ_E10value_typeEPNSP_ISK_E10value_typeEPSL_NS1_7vsmem_tEENKUlT_SJ_SK_SL_E_clISE_PjSF_SF_EESI_SY_SJ_SK_SL_EUlSY_E1_NS1_11comp_targetILNS1_3genE4ELNS1_11target_archE910ELNS1_3gpuE8ELNS1_3repE0EEENS1_36merge_oddeven_config_static_selectorELNS0_4arch9wavefront6targetE0EEEvSK_
		.amdhsa_group_segment_fixed_size 0
		.amdhsa_private_segment_fixed_size 0
		.amdhsa_kernarg_size 56
		.amdhsa_user_sgpr_count 6
		.amdhsa_user_sgpr_private_segment_buffer 1
		.amdhsa_user_sgpr_dispatch_ptr 0
		.amdhsa_user_sgpr_queue_ptr 0
		.amdhsa_user_sgpr_kernarg_segment_ptr 1
		.amdhsa_user_sgpr_dispatch_id 0
		.amdhsa_user_sgpr_flat_scratch_init 0
		.amdhsa_user_sgpr_private_segment_size 0
		.amdhsa_wavefront_size32 1
		.amdhsa_uses_dynamic_stack 0
		.amdhsa_system_sgpr_private_segment_wavefront_offset 0
		.amdhsa_system_sgpr_workgroup_id_x 1
		.amdhsa_system_sgpr_workgroup_id_y 0
		.amdhsa_system_sgpr_workgroup_id_z 0
		.amdhsa_system_sgpr_workgroup_info 0
		.amdhsa_system_vgpr_workitem_id 0
		.amdhsa_next_free_vgpr 1
		.amdhsa_next_free_sgpr 1
		.amdhsa_reserve_vcc 0
		.amdhsa_reserve_flat_scratch 0
		.amdhsa_float_round_mode_32 0
		.amdhsa_float_round_mode_16_64 0
		.amdhsa_float_denorm_mode_32 3
		.amdhsa_float_denorm_mode_16_64 3
		.amdhsa_dx10_clamp 1
		.amdhsa_ieee_mode 1
		.amdhsa_fp16_overflow 0
		.amdhsa_workgroup_processor_mode 1
		.amdhsa_memory_ordered 1
		.amdhsa_forward_progress 1
		.amdhsa_shared_vgpr_count 0
		.amdhsa_exception_fp_ieee_invalid_op 0
		.amdhsa_exception_fp_denorm_src 0
		.amdhsa_exception_fp_ieee_div_zero 0
		.amdhsa_exception_fp_ieee_overflow 0
		.amdhsa_exception_fp_ieee_underflow 0
		.amdhsa_exception_fp_ieee_inexact 0
		.amdhsa_exception_int_div_zero 0
	.end_amdhsa_kernel
	.section	.text._ZN7rocprim17ROCPRIM_400000_NS6detail17trampoline_kernelINS0_14default_configENS1_38merge_sort_block_merge_config_selectorIjNS0_10empty_typeEEEZZNS1_27merge_sort_block_merge_implIS3_N6thrust23THRUST_200600_302600_NS6detail15normal_iteratorINS9_10device_ptrIjEEEEPS5_m11less_div_10IjEEE10hipError_tT0_T1_T2_jT3_P12ihipStream_tbPNSt15iterator_traitsISJ_E10value_typeEPNSP_ISK_E10value_typeEPSL_NS1_7vsmem_tEENKUlT_SJ_SK_SL_E_clISE_PjSF_SF_EESI_SY_SJ_SK_SL_EUlSY_E1_NS1_11comp_targetILNS1_3genE4ELNS1_11target_archE910ELNS1_3gpuE8ELNS1_3repE0EEENS1_36merge_oddeven_config_static_selectorELNS0_4arch9wavefront6targetE0EEEvSK_,"axG",@progbits,_ZN7rocprim17ROCPRIM_400000_NS6detail17trampoline_kernelINS0_14default_configENS1_38merge_sort_block_merge_config_selectorIjNS0_10empty_typeEEEZZNS1_27merge_sort_block_merge_implIS3_N6thrust23THRUST_200600_302600_NS6detail15normal_iteratorINS9_10device_ptrIjEEEEPS5_m11less_div_10IjEEE10hipError_tT0_T1_T2_jT3_P12ihipStream_tbPNSt15iterator_traitsISJ_E10value_typeEPNSP_ISK_E10value_typeEPSL_NS1_7vsmem_tEENKUlT_SJ_SK_SL_E_clISE_PjSF_SF_EESI_SY_SJ_SK_SL_EUlSY_E1_NS1_11comp_targetILNS1_3genE4ELNS1_11target_archE910ELNS1_3gpuE8ELNS1_3repE0EEENS1_36merge_oddeven_config_static_selectorELNS0_4arch9wavefront6targetE0EEEvSK_,comdat
.Lfunc_end190:
	.size	_ZN7rocprim17ROCPRIM_400000_NS6detail17trampoline_kernelINS0_14default_configENS1_38merge_sort_block_merge_config_selectorIjNS0_10empty_typeEEEZZNS1_27merge_sort_block_merge_implIS3_N6thrust23THRUST_200600_302600_NS6detail15normal_iteratorINS9_10device_ptrIjEEEEPS5_m11less_div_10IjEEE10hipError_tT0_T1_T2_jT3_P12ihipStream_tbPNSt15iterator_traitsISJ_E10value_typeEPNSP_ISK_E10value_typeEPSL_NS1_7vsmem_tEENKUlT_SJ_SK_SL_E_clISE_PjSF_SF_EESI_SY_SJ_SK_SL_EUlSY_E1_NS1_11comp_targetILNS1_3genE4ELNS1_11target_archE910ELNS1_3gpuE8ELNS1_3repE0EEENS1_36merge_oddeven_config_static_selectorELNS0_4arch9wavefront6targetE0EEEvSK_, .Lfunc_end190-_ZN7rocprim17ROCPRIM_400000_NS6detail17trampoline_kernelINS0_14default_configENS1_38merge_sort_block_merge_config_selectorIjNS0_10empty_typeEEEZZNS1_27merge_sort_block_merge_implIS3_N6thrust23THRUST_200600_302600_NS6detail15normal_iteratorINS9_10device_ptrIjEEEEPS5_m11less_div_10IjEEE10hipError_tT0_T1_T2_jT3_P12ihipStream_tbPNSt15iterator_traitsISJ_E10value_typeEPNSP_ISK_E10value_typeEPSL_NS1_7vsmem_tEENKUlT_SJ_SK_SL_E_clISE_PjSF_SF_EESI_SY_SJ_SK_SL_EUlSY_E1_NS1_11comp_targetILNS1_3genE4ELNS1_11target_archE910ELNS1_3gpuE8ELNS1_3repE0EEENS1_36merge_oddeven_config_static_selectorELNS0_4arch9wavefront6targetE0EEEvSK_
                                        ; -- End function
	.set _ZN7rocprim17ROCPRIM_400000_NS6detail17trampoline_kernelINS0_14default_configENS1_38merge_sort_block_merge_config_selectorIjNS0_10empty_typeEEEZZNS1_27merge_sort_block_merge_implIS3_N6thrust23THRUST_200600_302600_NS6detail15normal_iteratorINS9_10device_ptrIjEEEEPS5_m11less_div_10IjEEE10hipError_tT0_T1_T2_jT3_P12ihipStream_tbPNSt15iterator_traitsISJ_E10value_typeEPNSP_ISK_E10value_typeEPSL_NS1_7vsmem_tEENKUlT_SJ_SK_SL_E_clISE_PjSF_SF_EESI_SY_SJ_SK_SL_EUlSY_E1_NS1_11comp_targetILNS1_3genE4ELNS1_11target_archE910ELNS1_3gpuE8ELNS1_3repE0EEENS1_36merge_oddeven_config_static_selectorELNS0_4arch9wavefront6targetE0EEEvSK_.num_vgpr, 0
	.set _ZN7rocprim17ROCPRIM_400000_NS6detail17trampoline_kernelINS0_14default_configENS1_38merge_sort_block_merge_config_selectorIjNS0_10empty_typeEEEZZNS1_27merge_sort_block_merge_implIS3_N6thrust23THRUST_200600_302600_NS6detail15normal_iteratorINS9_10device_ptrIjEEEEPS5_m11less_div_10IjEEE10hipError_tT0_T1_T2_jT3_P12ihipStream_tbPNSt15iterator_traitsISJ_E10value_typeEPNSP_ISK_E10value_typeEPSL_NS1_7vsmem_tEENKUlT_SJ_SK_SL_E_clISE_PjSF_SF_EESI_SY_SJ_SK_SL_EUlSY_E1_NS1_11comp_targetILNS1_3genE4ELNS1_11target_archE910ELNS1_3gpuE8ELNS1_3repE0EEENS1_36merge_oddeven_config_static_selectorELNS0_4arch9wavefront6targetE0EEEvSK_.num_agpr, 0
	.set _ZN7rocprim17ROCPRIM_400000_NS6detail17trampoline_kernelINS0_14default_configENS1_38merge_sort_block_merge_config_selectorIjNS0_10empty_typeEEEZZNS1_27merge_sort_block_merge_implIS3_N6thrust23THRUST_200600_302600_NS6detail15normal_iteratorINS9_10device_ptrIjEEEEPS5_m11less_div_10IjEEE10hipError_tT0_T1_T2_jT3_P12ihipStream_tbPNSt15iterator_traitsISJ_E10value_typeEPNSP_ISK_E10value_typeEPSL_NS1_7vsmem_tEENKUlT_SJ_SK_SL_E_clISE_PjSF_SF_EESI_SY_SJ_SK_SL_EUlSY_E1_NS1_11comp_targetILNS1_3genE4ELNS1_11target_archE910ELNS1_3gpuE8ELNS1_3repE0EEENS1_36merge_oddeven_config_static_selectorELNS0_4arch9wavefront6targetE0EEEvSK_.numbered_sgpr, 0
	.set _ZN7rocprim17ROCPRIM_400000_NS6detail17trampoline_kernelINS0_14default_configENS1_38merge_sort_block_merge_config_selectorIjNS0_10empty_typeEEEZZNS1_27merge_sort_block_merge_implIS3_N6thrust23THRUST_200600_302600_NS6detail15normal_iteratorINS9_10device_ptrIjEEEEPS5_m11less_div_10IjEEE10hipError_tT0_T1_T2_jT3_P12ihipStream_tbPNSt15iterator_traitsISJ_E10value_typeEPNSP_ISK_E10value_typeEPSL_NS1_7vsmem_tEENKUlT_SJ_SK_SL_E_clISE_PjSF_SF_EESI_SY_SJ_SK_SL_EUlSY_E1_NS1_11comp_targetILNS1_3genE4ELNS1_11target_archE910ELNS1_3gpuE8ELNS1_3repE0EEENS1_36merge_oddeven_config_static_selectorELNS0_4arch9wavefront6targetE0EEEvSK_.num_named_barrier, 0
	.set _ZN7rocprim17ROCPRIM_400000_NS6detail17trampoline_kernelINS0_14default_configENS1_38merge_sort_block_merge_config_selectorIjNS0_10empty_typeEEEZZNS1_27merge_sort_block_merge_implIS3_N6thrust23THRUST_200600_302600_NS6detail15normal_iteratorINS9_10device_ptrIjEEEEPS5_m11less_div_10IjEEE10hipError_tT0_T1_T2_jT3_P12ihipStream_tbPNSt15iterator_traitsISJ_E10value_typeEPNSP_ISK_E10value_typeEPSL_NS1_7vsmem_tEENKUlT_SJ_SK_SL_E_clISE_PjSF_SF_EESI_SY_SJ_SK_SL_EUlSY_E1_NS1_11comp_targetILNS1_3genE4ELNS1_11target_archE910ELNS1_3gpuE8ELNS1_3repE0EEENS1_36merge_oddeven_config_static_selectorELNS0_4arch9wavefront6targetE0EEEvSK_.private_seg_size, 0
	.set _ZN7rocprim17ROCPRIM_400000_NS6detail17trampoline_kernelINS0_14default_configENS1_38merge_sort_block_merge_config_selectorIjNS0_10empty_typeEEEZZNS1_27merge_sort_block_merge_implIS3_N6thrust23THRUST_200600_302600_NS6detail15normal_iteratorINS9_10device_ptrIjEEEEPS5_m11less_div_10IjEEE10hipError_tT0_T1_T2_jT3_P12ihipStream_tbPNSt15iterator_traitsISJ_E10value_typeEPNSP_ISK_E10value_typeEPSL_NS1_7vsmem_tEENKUlT_SJ_SK_SL_E_clISE_PjSF_SF_EESI_SY_SJ_SK_SL_EUlSY_E1_NS1_11comp_targetILNS1_3genE4ELNS1_11target_archE910ELNS1_3gpuE8ELNS1_3repE0EEENS1_36merge_oddeven_config_static_selectorELNS0_4arch9wavefront6targetE0EEEvSK_.uses_vcc, 0
	.set _ZN7rocprim17ROCPRIM_400000_NS6detail17trampoline_kernelINS0_14default_configENS1_38merge_sort_block_merge_config_selectorIjNS0_10empty_typeEEEZZNS1_27merge_sort_block_merge_implIS3_N6thrust23THRUST_200600_302600_NS6detail15normal_iteratorINS9_10device_ptrIjEEEEPS5_m11less_div_10IjEEE10hipError_tT0_T1_T2_jT3_P12ihipStream_tbPNSt15iterator_traitsISJ_E10value_typeEPNSP_ISK_E10value_typeEPSL_NS1_7vsmem_tEENKUlT_SJ_SK_SL_E_clISE_PjSF_SF_EESI_SY_SJ_SK_SL_EUlSY_E1_NS1_11comp_targetILNS1_3genE4ELNS1_11target_archE910ELNS1_3gpuE8ELNS1_3repE0EEENS1_36merge_oddeven_config_static_selectorELNS0_4arch9wavefront6targetE0EEEvSK_.uses_flat_scratch, 0
	.set _ZN7rocprim17ROCPRIM_400000_NS6detail17trampoline_kernelINS0_14default_configENS1_38merge_sort_block_merge_config_selectorIjNS0_10empty_typeEEEZZNS1_27merge_sort_block_merge_implIS3_N6thrust23THRUST_200600_302600_NS6detail15normal_iteratorINS9_10device_ptrIjEEEEPS5_m11less_div_10IjEEE10hipError_tT0_T1_T2_jT3_P12ihipStream_tbPNSt15iterator_traitsISJ_E10value_typeEPNSP_ISK_E10value_typeEPSL_NS1_7vsmem_tEENKUlT_SJ_SK_SL_E_clISE_PjSF_SF_EESI_SY_SJ_SK_SL_EUlSY_E1_NS1_11comp_targetILNS1_3genE4ELNS1_11target_archE910ELNS1_3gpuE8ELNS1_3repE0EEENS1_36merge_oddeven_config_static_selectorELNS0_4arch9wavefront6targetE0EEEvSK_.has_dyn_sized_stack, 0
	.set _ZN7rocprim17ROCPRIM_400000_NS6detail17trampoline_kernelINS0_14default_configENS1_38merge_sort_block_merge_config_selectorIjNS0_10empty_typeEEEZZNS1_27merge_sort_block_merge_implIS3_N6thrust23THRUST_200600_302600_NS6detail15normal_iteratorINS9_10device_ptrIjEEEEPS5_m11less_div_10IjEEE10hipError_tT0_T1_T2_jT3_P12ihipStream_tbPNSt15iterator_traitsISJ_E10value_typeEPNSP_ISK_E10value_typeEPSL_NS1_7vsmem_tEENKUlT_SJ_SK_SL_E_clISE_PjSF_SF_EESI_SY_SJ_SK_SL_EUlSY_E1_NS1_11comp_targetILNS1_3genE4ELNS1_11target_archE910ELNS1_3gpuE8ELNS1_3repE0EEENS1_36merge_oddeven_config_static_selectorELNS0_4arch9wavefront6targetE0EEEvSK_.has_recursion, 0
	.set _ZN7rocprim17ROCPRIM_400000_NS6detail17trampoline_kernelINS0_14default_configENS1_38merge_sort_block_merge_config_selectorIjNS0_10empty_typeEEEZZNS1_27merge_sort_block_merge_implIS3_N6thrust23THRUST_200600_302600_NS6detail15normal_iteratorINS9_10device_ptrIjEEEEPS5_m11less_div_10IjEEE10hipError_tT0_T1_T2_jT3_P12ihipStream_tbPNSt15iterator_traitsISJ_E10value_typeEPNSP_ISK_E10value_typeEPSL_NS1_7vsmem_tEENKUlT_SJ_SK_SL_E_clISE_PjSF_SF_EESI_SY_SJ_SK_SL_EUlSY_E1_NS1_11comp_targetILNS1_3genE4ELNS1_11target_archE910ELNS1_3gpuE8ELNS1_3repE0EEENS1_36merge_oddeven_config_static_selectorELNS0_4arch9wavefront6targetE0EEEvSK_.has_indirect_call, 0
	.section	.AMDGPU.csdata,"",@progbits
; Kernel info:
; codeLenInByte = 0
; TotalNumSgprs: 0
; NumVgprs: 0
; ScratchSize: 0
; MemoryBound: 0
; FloatMode: 240
; IeeeMode: 1
; LDSByteSize: 0 bytes/workgroup (compile time only)
; SGPRBlocks: 0
; VGPRBlocks: 0
; NumSGPRsForWavesPerEU: 1
; NumVGPRsForWavesPerEU: 1
; Occupancy: 16
; WaveLimiterHint : 0
; COMPUTE_PGM_RSRC2:SCRATCH_EN: 0
; COMPUTE_PGM_RSRC2:USER_SGPR: 6
; COMPUTE_PGM_RSRC2:TRAP_HANDLER: 0
; COMPUTE_PGM_RSRC2:TGID_X_EN: 1
; COMPUTE_PGM_RSRC2:TGID_Y_EN: 0
; COMPUTE_PGM_RSRC2:TGID_Z_EN: 0
; COMPUTE_PGM_RSRC2:TIDIG_COMP_CNT: 0
	.section	.text._ZN7rocprim17ROCPRIM_400000_NS6detail17trampoline_kernelINS0_14default_configENS1_38merge_sort_block_merge_config_selectorIjNS0_10empty_typeEEEZZNS1_27merge_sort_block_merge_implIS3_N6thrust23THRUST_200600_302600_NS6detail15normal_iteratorINS9_10device_ptrIjEEEEPS5_m11less_div_10IjEEE10hipError_tT0_T1_T2_jT3_P12ihipStream_tbPNSt15iterator_traitsISJ_E10value_typeEPNSP_ISK_E10value_typeEPSL_NS1_7vsmem_tEENKUlT_SJ_SK_SL_E_clISE_PjSF_SF_EESI_SY_SJ_SK_SL_EUlSY_E1_NS1_11comp_targetILNS1_3genE3ELNS1_11target_archE908ELNS1_3gpuE7ELNS1_3repE0EEENS1_36merge_oddeven_config_static_selectorELNS0_4arch9wavefront6targetE0EEEvSK_,"axG",@progbits,_ZN7rocprim17ROCPRIM_400000_NS6detail17trampoline_kernelINS0_14default_configENS1_38merge_sort_block_merge_config_selectorIjNS0_10empty_typeEEEZZNS1_27merge_sort_block_merge_implIS3_N6thrust23THRUST_200600_302600_NS6detail15normal_iteratorINS9_10device_ptrIjEEEEPS5_m11less_div_10IjEEE10hipError_tT0_T1_T2_jT3_P12ihipStream_tbPNSt15iterator_traitsISJ_E10value_typeEPNSP_ISK_E10value_typeEPSL_NS1_7vsmem_tEENKUlT_SJ_SK_SL_E_clISE_PjSF_SF_EESI_SY_SJ_SK_SL_EUlSY_E1_NS1_11comp_targetILNS1_3genE3ELNS1_11target_archE908ELNS1_3gpuE7ELNS1_3repE0EEENS1_36merge_oddeven_config_static_selectorELNS0_4arch9wavefront6targetE0EEEvSK_,comdat
	.protected	_ZN7rocprim17ROCPRIM_400000_NS6detail17trampoline_kernelINS0_14default_configENS1_38merge_sort_block_merge_config_selectorIjNS0_10empty_typeEEEZZNS1_27merge_sort_block_merge_implIS3_N6thrust23THRUST_200600_302600_NS6detail15normal_iteratorINS9_10device_ptrIjEEEEPS5_m11less_div_10IjEEE10hipError_tT0_T1_T2_jT3_P12ihipStream_tbPNSt15iterator_traitsISJ_E10value_typeEPNSP_ISK_E10value_typeEPSL_NS1_7vsmem_tEENKUlT_SJ_SK_SL_E_clISE_PjSF_SF_EESI_SY_SJ_SK_SL_EUlSY_E1_NS1_11comp_targetILNS1_3genE3ELNS1_11target_archE908ELNS1_3gpuE7ELNS1_3repE0EEENS1_36merge_oddeven_config_static_selectorELNS0_4arch9wavefront6targetE0EEEvSK_ ; -- Begin function _ZN7rocprim17ROCPRIM_400000_NS6detail17trampoline_kernelINS0_14default_configENS1_38merge_sort_block_merge_config_selectorIjNS0_10empty_typeEEEZZNS1_27merge_sort_block_merge_implIS3_N6thrust23THRUST_200600_302600_NS6detail15normal_iteratorINS9_10device_ptrIjEEEEPS5_m11less_div_10IjEEE10hipError_tT0_T1_T2_jT3_P12ihipStream_tbPNSt15iterator_traitsISJ_E10value_typeEPNSP_ISK_E10value_typeEPSL_NS1_7vsmem_tEENKUlT_SJ_SK_SL_E_clISE_PjSF_SF_EESI_SY_SJ_SK_SL_EUlSY_E1_NS1_11comp_targetILNS1_3genE3ELNS1_11target_archE908ELNS1_3gpuE7ELNS1_3repE0EEENS1_36merge_oddeven_config_static_selectorELNS0_4arch9wavefront6targetE0EEEvSK_
	.globl	_ZN7rocprim17ROCPRIM_400000_NS6detail17trampoline_kernelINS0_14default_configENS1_38merge_sort_block_merge_config_selectorIjNS0_10empty_typeEEEZZNS1_27merge_sort_block_merge_implIS3_N6thrust23THRUST_200600_302600_NS6detail15normal_iteratorINS9_10device_ptrIjEEEEPS5_m11less_div_10IjEEE10hipError_tT0_T1_T2_jT3_P12ihipStream_tbPNSt15iterator_traitsISJ_E10value_typeEPNSP_ISK_E10value_typeEPSL_NS1_7vsmem_tEENKUlT_SJ_SK_SL_E_clISE_PjSF_SF_EESI_SY_SJ_SK_SL_EUlSY_E1_NS1_11comp_targetILNS1_3genE3ELNS1_11target_archE908ELNS1_3gpuE7ELNS1_3repE0EEENS1_36merge_oddeven_config_static_selectorELNS0_4arch9wavefront6targetE0EEEvSK_
	.p2align	8
	.type	_ZN7rocprim17ROCPRIM_400000_NS6detail17trampoline_kernelINS0_14default_configENS1_38merge_sort_block_merge_config_selectorIjNS0_10empty_typeEEEZZNS1_27merge_sort_block_merge_implIS3_N6thrust23THRUST_200600_302600_NS6detail15normal_iteratorINS9_10device_ptrIjEEEEPS5_m11less_div_10IjEEE10hipError_tT0_T1_T2_jT3_P12ihipStream_tbPNSt15iterator_traitsISJ_E10value_typeEPNSP_ISK_E10value_typeEPSL_NS1_7vsmem_tEENKUlT_SJ_SK_SL_E_clISE_PjSF_SF_EESI_SY_SJ_SK_SL_EUlSY_E1_NS1_11comp_targetILNS1_3genE3ELNS1_11target_archE908ELNS1_3gpuE7ELNS1_3repE0EEENS1_36merge_oddeven_config_static_selectorELNS0_4arch9wavefront6targetE0EEEvSK_,@function
_ZN7rocprim17ROCPRIM_400000_NS6detail17trampoline_kernelINS0_14default_configENS1_38merge_sort_block_merge_config_selectorIjNS0_10empty_typeEEEZZNS1_27merge_sort_block_merge_implIS3_N6thrust23THRUST_200600_302600_NS6detail15normal_iteratorINS9_10device_ptrIjEEEEPS5_m11less_div_10IjEEE10hipError_tT0_T1_T2_jT3_P12ihipStream_tbPNSt15iterator_traitsISJ_E10value_typeEPNSP_ISK_E10value_typeEPSL_NS1_7vsmem_tEENKUlT_SJ_SK_SL_E_clISE_PjSF_SF_EESI_SY_SJ_SK_SL_EUlSY_E1_NS1_11comp_targetILNS1_3genE3ELNS1_11target_archE908ELNS1_3gpuE7ELNS1_3repE0EEENS1_36merge_oddeven_config_static_selectorELNS0_4arch9wavefront6targetE0EEEvSK_: ; @_ZN7rocprim17ROCPRIM_400000_NS6detail17trampoline_kernelINS0_14default_configENS1_38merge_sort_block_merge_config_selectorIjNS0_10empty_typeEEEZZNS1_27merge_sort_block_merge_implIS3_N6thrust23THRUST_200600_302600_NS6detail15normal_iteratorINS9_10device_ptrIjEEEEPS5_m11less_div_10IjEEE10hipError_tT0_T1_T2_jT3_P12ihipStream_tbPNSt15iterator_traitsISJ_E10value_typeEPNSP_ISK_E10value_typeEPSL_NS1_7vsmem_tEENKUlT_SJ_SK_SL_E_clISE_PjSF_SF_EESI_SY_SJ_SK_SL_EUlSY_E1_NS1_11comp_targetILNS1_3genE3ELNS1_11target_archE908ELNS1_3gpuE7ELNS1_3repE0EEENS1_36merge_oddeven_config_static_selectorELNS0_4arch9wavefront6targetE0EEEvSK_
; %bb.0:
	.section	.rodata,"a",@progbits
	.p2align	6, 0x0
	.amdhsa_kernel _ZN7rocprim17ROCPRIM_400000_NS6detail17trampoline_kernelINS0_14default_configENS1_38merge_sort_block_merge_config_selectorIjNS0_10empty_typeEEEZZNS1_27merge_sort_block_merge_implIS3_N6thrust23THRUST_200600_302600_NS6detail15normal_iteratorINS9_10device_ptrIjEEEEPS5_m11less_div_10IjEEE10hipError_tT0_T1_T2_jT3_P12ihipStream_tbPNSt15iterator_traitsISJ_E10value_typeEPNSP_ISK_E10value_typeEPSL_NS1_7vsmem_tEENKUlT_SJ_SK_SL_E_clISE_PjSF_SF_EESI_SY_SJ_SK_SL_EUlSY_E1_NS1_11comp_targetILNS1_3genE3ELNS1_11target_archE908ELNS1_3gpuE7ELNS1_3repE0EEENS1_36merge_oddeven_config_static_selectorELNS0_4arch9wavefront6targetE0EEEvSK_
		.amdhsa_group_segment_fixed_size 0
		.amdhsa_private_segment_fixed_size 0
		.amdhsa_kernarg_size 56
		.amdhsa_user_sgpr_count 6
		.amdhsa_user_sgpr_private_segment_buffer 1
		.amdhsa_user_sgpr_dispatch_ptr 0
		.amdhsa_user_sgpr_queue_ptr 0
		.amdhsa_user_sgpr_kernarg_segment_ptr 1
		.amdhsa_user_sgpr_dispatch_id 0
		.amdhsa_user_sgpr_flat_scratch_init 0
		.amdhsa_user_sgpr_private_segment_size 0
		.amdhsa_wavefront_size32 1
		.amdhsa_uses_dynamic_stack 0
		.amdhsa_system_sgpr_private_segment_wavefront_offset 0
		.amdhsa_system_sgpr_workgroup_id_x 1
		.amdhsa_system_sgpr_workgroup_id_y 0
		.amdhsa_system_sgpr_workgroup_id_z 0
		.amdhsa_system_sgpr_workgroup_info 0
		.amdhsa_system_vgpr_workitem_id 0
		.amdhsa_next_free_vgpr 1
		.amdhsa_next_free_sgpr 1
		.amdhsa_reserve_vcc 0
		.amdhsa_reserve_flat_scratch 0
		.amdhsa_float_round_mode_32 0
		.amdhsa_float_round_mode_16_64 0
		.amdhsa_float_denorm_mode_32 3
		.amdhsa_float_denorm_mode_16_64 3
		.amdhsa_dx10_clamp 1
		.amdhsa_ieee_mode 1
		.amdhsa_fp16_overflow 0
		.amdhsa_workgroup_processor_mode 1
		.amdhsa_memory_ordered 1
		.amdhsa_forward_progress 1
		.amdhsa_shared_vgpr_count 0
		.amdhsa_exception_fp_ieee_invalid_op 0
		.amdhsa_exception_fp_denorm_src 0
		.amdhsa_exception_fp_ieee_div_zero 0
		.amdhsa_exception_fp_ieee_overflow 0
		.amdhsa_exception_fp_ieee_underflow 0
		.amdhsa_exception_fp_ieee_inexact 0
		.amdhsa_exception_int_div_zero 0
	.end_amdhsa_kernel
	.section	.text._ZN7rocprim17ROCPRIM_400000_NS6detail17trampoline_kernelINS0_14default_configENS1_38merge_sort_block_merge_config_selectorIjNS0_10empty_typeEEEZZNS1_27merge_sort_block_merge_implIS3_N6thrust23THRUST_200600_302600_NS6detail15normal_iteratorINS9_10device_ptrIjEEEEPS5_m11less_div_10IjEEE10hipError_tT0_T1_T2_jT3_P12ihipStream_tbPNSt15iterator_traitsISJ_E10value_typeEPNSP_ISK_E10value_typeEPSL_NS1_7vsmem_tEENKUlT_SJ_SK_SL_E_clISE_PjSF_SF_EESI_SY_SJ_SK_SL_EUlSY_E1_NS1_11comp_targetILNS1_3genE3ELNS1_11target_archE908ELNS1_3gpuE7ELNS1_3repE0EEENS1_36merge_oddeven_config_static_selectorELNS0_4arch9wavefront6targetE0EEEvSK_,"axG",@progbits,_ZN7rocprim17ROCPRIM_400000_NS6detail17trampoline_kernelINS0_14default_configENS1_38merge_sort_block_merge_config_selectorIjNS0_10empty_typeEEEZZNS1_27merge_sort_block_merge_implIS3_N6thrust23THRUST_200600_302600_NS6detail15normal_iteratorINS9_10device_ptrIjEEEEPS5_m11less_div_10IjEEE10hipError_tT0_T1_T2_jT3_P12ihipStream_tbPNSt15iterator_traitsISJ_E10value_typeEPNSP_ISK_E10value_typeEPSL_NS1_7vsmem_tEENKUlT_SJ_SK_SL_E_clISE_PjSF_SF_EESI_SY_SJ_SK_SL_EUlSY_E1_NS1_11comp_targetILNS1_3genE3ELNS1_11target_archE908ELNS1_3gpuE7ELNS1_3repE0EEENS1_36merge_oddeven_config_static_selectorELNS0_4arch9wavefront6targetE0EEEvSK_,comdat
.Lfunc_end191:
	.size	_ZN7rocprim17ROCPRIM_400000_NS6detail17trampoline_kernelINS0_14default_configENS1_38merge_sort_block_merge_config_selectorIjNS0_10empty_typeEEEZZNS1_27merge_sort_block_merge_implIS3_N6thrust23THRUST_200600_302600_NS6detail15normal_iteratorINS9_10device_ptrIjEEEEPS5_m11less_div_10IjEEE10hipError_tT0_T1_T2_jT3_P12ihipStream_tbPNSt15iterator_traitsISJ_E10value_typeEPNSP_ISK_E10value_typeEPSL_NS1_7vsmem_tEENKUlT_SJ_SK_SL_E_clISE_PjSF_SF_EESI_SY_SJ_SK_SL_EUlSY_E1_NS1_11comp_targetILNS1_3genE3ELNS1_11target_archE908ELNS1_3gpuE7ELNS1_3repE0EEENS1_36merge_oddeven_config_static_selectorELNS0_4arch9wavefront6targetE0EEEvSK_, .Lfunc_end191-_ZN7rocprim17ROCPRIM_400000_NS6detail17trampoline_kernelINS0_14default_configENS1_38merge_sort_block_merge_config_selectorIjNS0_10empty_typeEEEZZNS1_27merge_sort_block_merge_implIS3_N6thrust23THRUST_200600_302600_NS6detail15normal_iteratorINS9_10device_ptrIjEEEEPS5_m11less_div_10IjEEE10hipError_tT0_T1_T2_jT3_P12ihipStream_tbPNSt15iterator_traitsISJ_E10value_typeEPNSP_ISK_E10value_typeEPSL_NS1_7vsmem_tEENKUlT_SJ_SK_SL_E_clISE_PjSF_SF_EESI_SY_SJ_SK_SL_EUlSY_E1_NS1_11comp_targetILNS1_3genE3ELNS1_11target_archE908ELNS1_3gpuE7ELNS1_3repE0EEENS1_36merge_oddeven_config_static_selectorELNS0_4arch9wavefront6targetE0EEEvSK_
                                        ; -- End function
	.set _ZN7rocprim17ROCPRIM_400000_NS6detail17trampoline_kernelINS0_14default_configENS1_38merge_sort_block_merge_config_selectorIjNS0_10empty_typeEEEZZNS1_27merge_sort_block_merge_implIS3_N6thrust23THRUST_200600_302600_NS6detail15normal_iteratorINS9_10device_ptrIjEEEEPS5_m11less_div_10IjEEE10hipError_tT0_T1_T2_jT3_P12ihipStream_tbPNSt15iterator_traitsISJ_E10value_typeEPNSP_ISK_E10value_typeEPSL_NS1_7vsmem_tEENKUlT_SJ_SK_SL_E_clISE_PjSF_SF_EESI_SY_SJ_SK_SL_EUlSY_E1_NS1_11comp_targetILNS1_3genE3ELNS1_11target_archE908ELNS1_3gpuE7ELNS1_3repE0EEENS1_36merge_oddeven_config_static_selectorELNS0_4arch9wavefront6targetE0EEEvSK_.num_vgpr, 0
	.set _ZN7rocprim17ROCPRIM_400000_NS6detail17trampoline_kernelINS0_14default_configENS1_38merge_sort_block_merge_config_selectorIjNS0_10empty_typeEEEZZNS1_27merge_sort_block_merge_implIS3_N6thrust23THRUST_200600_302600_NS6detail15normal_iteratorINS9_10device_ptrIjEEEEPS5_m11less_div_10IjEEE10hipError_tT0_T1_T2_jT3_P12ihipStream_tbPNSt15iterator_traitsISJ_E10value_typeEPNSP_ISK_E10value_typeEPSL_NS1_7vsmem_tEENKUlT_SJ_SK_SL_E_clISE_PjSF_SF_EESI_SY_SJ_SK_SL_EUlSY_E1_NS1_11comp_targetILNS1_3genE3ELNS1_11target_archE908ELNS1_3gpuE7ELNS1_3repE0EEENS1_36merge_oddeven_config_static_selectorELNS0_4arch9wavefront6targetE0EEEvSK_.num_agpr, 0
	.set _ZN7rocprim17ROCPRIM_400000_NS6detail17trampoline_kernelINS0_14default_configENS1_38merge_sort_block_merge_config_selectorIjNS0_10empty_typeEEEZZNS1_27merge_sort_block_merge_implIS3_N6thrust23THRUST_200600_302600_NS6detail15normal_iteratorINS9_10device_ptrIjEEEEPS5_m11less_div_10IjEEE10hipError_tT0_T1_T2_jT3_P12ihipStream_tbPNSt15iterator_traitsISJ_E10value_typeEPNSP_ISK_E10value_typeEPSL_NS1_7vsmem_tEENKUlT_SJ_SK_SL_E_clISE_PjSF_SF_EESI_SY_SJ_SK_SL_EUlSY_E1_NS1_11comp_targetILNS1_3genE3ELNS1_11target_archE908ELNS1_3gpuE7ELNS1_3repE0EEENS1_36merge_oddeven_config_static_selectorELNS0_4arch9wavefront6targetE0EEEvSK_.numbered_sgpr, 0
	.set _ZN7rocprim17ROCPRIM_400000_NS6detail17trampoline_kernelINS0_14default_configENS1_38merge_sort_block_merge_config_selectorIjNS0_10empty_typeEEEZZNS1_27merge_sort_block_merge_implIS3_N6thrust23THRUST_200600_302600_NS6detail15normal_iteratorINS9_10device_ptrIjEEEEPS5_m11less_div_10IjEEE10hipError_tT0_T1_T2_jT3_P12ihipStream_tbPNSt15iterator_traitsISJ_E10value_typeEPNSP_ISK_E10value_typeEPSL_NS1_7vsmem_tEENKUlT_SJ_SK_SL_E_clISE_PjSF_SF_EESI_SY_SJ_SK_SL_EUlSY_E1_NS1_11comp_targetILNS1_3genE3ELNS1_11target_archE908ELNS1_3gpuE7ELNS1_3repE0EEENS1_36merge_oddeven_config_static_selectorELNS0_4arch9wavefront6targetE0EEEvSK_.num_named_barrier, 0
	.set _ZN7rocprim17ROCPRIM_400000_NS6detail17trampoline_kernelINS0_14default_configENS1_38merge_sort_block_merge_config_selectorIjNS0_10empty_typeEEEZZNS1_27merge_sort_block_merge_implIS3_N6thrust23THRUST_200600_302600_NS6detail15normal_iteratorINS9_10device_ptrIjEEEEPS5_m11less_div_10IjEEE10hipError_tT0_T1_T2_jT3_P12ihipStream_tbPNSt15iterator_traitsISJ_E10value_typeEPNSP_ISK_E10value_typeEPSL_NS1_7vsmem_tEENKUlT_SJ_SK_SL_E_clISE_PjSF_SF_EESI_SY_SJ_SK_SL_EUlSY_E1_NS1_11comp_targetILNS1_3genE3ELNS1_11target_archE908ELNS1_3gpuE7ELNS1_3repE0EEENS1_36merge_oddeven_config_static_selectorELNS0_4arch9wavefront6targetE0EEEvSK_.private_seg_size, 0
	.set _ZN7rocprim17ROCPRIM_400000_NS6detail17trampoline_kernelINS0_14default_configENS1_38merge_sort_block_merge_config_selectorIjNS0_10empty_typeEEEZZNS1_27merge_sort_block_merge_implIS3_N6thrust23THRUST_200600_302600_NS6detail15normal_iteratorINS9_10device_ptrIjEEEEPS5_m11less_div_10IjEEE10hipError_tT0_T1_T2_jT3_P12ihipStream_tbPNSt15iterator_traitsISJ_E10value_typeEPNSP_ISK_E10value_typeEPSL_NS1_7vsmem_tEENKUlT_SJ_SK_SL_E_clISE_PjSF_SF_EESI_SY_SJ_SK_SL_EUlSY_E1_NS1_11comp_targetILNS1_3genE3ELNS1_11target_archE908ELNS1_3gpuE7ELNS1_3repE0EEENS1_36merge_oddeven_config_static_selectorELNS0_4arch9wavefront6targetE0EEEvSK_.uses_vcc, 0
	.set _ZN7rocprim17ROCPRIM_400000_NS6detail17trampoline_kernelINS0_14default_configENS1_38merge_sort_block_merge_config_selectorIjNS0_10empty_typeEEEZZNS1_27merge_sort_block_merge_implIS3_N6thrust23THRUST_200600_302600_NS6detail15normal_iteratorINS9_10device_ptrIjEEEEPS5_m11less_div_10IjEEE10hipError_tT0_T1_T2_jT3_P12ihipStream_tbPNSt15iterator_traitsISJ_E10value_typeEPNSP_ISK_E10value_typeEPSL_NS1_7vsmem_tEENKUlT_SJ_SK_SL_E_clISE_PjSF_SF_EESI_SY_SJ_SK_SL_EUlSY_E1_NS1_11comp_targetILNS1_3genE3ELNS1_11target_archE908ELNS1_3gpuE7ELNS1_3repE0EEENS1_36merge_oddeven_config_static_selectorELNS0_4arch9wavefront6targetE0EEEvSK_.uses_flat_scratch, 0
	.set _ZN7rocprim17ROCPRIM_400000_NS6detail17trampoline_kernelINS0_14default_configENS1_38merge_sort_block_merge_config_selectorIjNS0_10empty_typeEEEZZNS1_27merge_sort_block_merge_implIS3_N6thrust23THRUST_200600_302600_NS6detail15normal_iteratorINS9_10device_ptrIjEEEEPS5_m11less_div_10IjEEE10hipError_tT0_T1_T2_jT3_P12ihipStream_tbPNSt15iterator_traitsISJ_E10value_typeEPNSP_ISK_E10value_typeEPSL_NS1_7vsmem_tEENKUlT_SJ_SK_SL_E_clISE_PjSF_SF_EESI_SY_SJ_SK_SL_EUlSY_E1_NS1_11comp_targetILNS1_3genE3ELNS1_11target_archE908ELNS1_3gpuE7ELNS1_3repE0EEENS1_36merge_oddeven_config_static_selectorELNS0_4arch9wavefront6targetE0EEEvSK_.has_dyn_sized_stack, 0
	.set _ZN7rocprim17ROCPRIM_400000_NS6detail17trampoline_kernelINS0_14default_configENS1_38merge_sort_block_merge_config_selectorIjNS0_10empty_typeEEEZZNS1_27merge_sort_block_merge_implIS3_N6thrust23THRUST_200600_302600_NS6detail15normal_iteratorINS9_10device_ptrIjEEEEPS5_m11less_div_10IjEEE10hipError_tT0_T1_T2_jT3_P12ihipStream_tbPNSt15iterator_traitsISJ_E10value_typeEPNSP_ISK_E10value_typeEPSL_NS1_7vsmem_tEENKUlT_SJ_SK_SL_E_clISE_PjSF_SF_EESI_SY_SJ_SK_SL_EUlSY_E1_NS1_11comp_targetILNS1_3genE3ELNS1_11target_archE908ELNS1_3gpuE7ELNS1_3repE0EEENS1_36merge_oddeven_config_static_selectorELNS0_4arch9wavefront6targetE0EEEvSK_.has_recursion, 0
	.set _ZN7rocprim17ROCPRIM_400000_NS6detail17trampoline_kernelINS0_14default_configENS1_38merge_sort_block_merge_config_selectorIjNS0_10empty_typeEEEZZNS1_27merge_sort_block_merge_implIS3_N6thrust23THRUST_200600_302600_NS6detail15normal_iteratorINS9_10device_ptrIjEEEEPS5_m11less_div_10IjEEE10hipError_tT0_T1_T2_jT3_P12ihipStream_tbPNSt15iterator_traitsISJ_E10value_typeEPNSP_ISK_E10value_typeEPSL_NS1_7vsmem_tEENKUlT_SJ_SK_SL_E_clISE_PjSF_SF_EESI_SY_SJ_SK_SL_EUlSY_E1_NS1_11comp_targetILNS1_3genE3ELNS1_11target_archE908ELNS1_3gpuE7ELNS1_3repE0EEENS1_36merge_oddeven_config_static_selectorELNS0_4arch9wavefront6targetE0EEEvSK_.has_indirect_call, 0
	.section	.AMDGPU.csdata,"",@progbits
; Kernel info:
; codeLenInByte = 0
; TotalNumSgprs: 0
; NumVgprs: 0
; ScratchSize: 0
; MemoryBound: 0
; FloatMode: 240
; IeeeMode: 1
; LDSByteSize: 0 bytes/workgroup (compile time only)
; SGPRBlocks: 0
; VGPRBlocks: 0
; NumSGPRsForWavesPerEU: 1
; NumVGPRsForWavesPerEU: 1
; Occupancy: 16
; WaveLimiterHint : 0
; COMPUTE_PGM_RSRC2:SCRATCH_EN: 0
; COMPUTE_PGM_RSRC2:USER_SGPR: 6
; COMPUTE_PGM_RSRC2:TRAP_HANDLER: 0
; COMPUTE_PGM_RSRC2:TGID_X_EN: 1
; COMPUTE_PGM_RSRC2:TGID_Y_EN: 0
; COMPUTE_PGM_RSRC2:TGID_Z_EN: 0
; COMPUTE_PGM_RSRC2:TIDIG_COMP_CNT: 0
	.section	.text._ZN7rocprim17ROCPRIM_400000_NS6detail17trampoline_kernelINS0_14default_configENS1_38merge_sort_block_merge_config_selectorIjNS0_10empty_typeEEEZZNS1_27merge_sort_block_merge_implIS3_N6thrust23THRUST_200600_302600_NS6detail15normal_iteratorINS9_10device_ptrIjEEEEPS5_m11less_div_10IjEEE10hipError_tT0_T1_T2_jT3_P12ihipStream_tbPNSt15iterator_traitsISJ_E10value_typeEPNSP_ISK_E10value_typeEPSL_NS1_7vsmem_tEENKUlT_SJ_SK_SL_E_clISE_PjSF_SF_EESI_SY_SJ_SK_SL_EUlSY_E1_NS1_11comp_targetILNS1_3genE2ELNS1_11target_archE906ELNS1_3gpuE6ELNS1_3repE0EEENS1_36merge_oddeven_config_static_selectorELNS0_4arch9wavefront6targetE0EEEvSK_,"axG",@progbits,_ZN7rocprim17ROCPRIM_400000_NS6detail17trampoline_kernelINS0_14default_configENS1_38merge_sort_block_merge_config_selectorIjNS0_10empty_typeEEEZZNS1_27merge_sort_block_merge_implIS3_N6thrust23THRUST_200600_302600_NS6detail15normal_iteratorINS9_10device_ptrIjEEEEPS5_m11less_div_10IjEEE10hipError_tT0_T1_T2_jT3_P12ihipStream_tbPNSt15iterator_traitsISJ_E10value_typeEPNSP_ISK_E10value_typeEPSL_NS1_7vsmem_tEENKUlT_SJ_SK_SL_E_clISE_PjSF_SF_EESI_SY_SJ_SK_SL_EUlSY_E1_NS1_11comp_targetILNS1_3genE2ELNS1_11target_archE906ELNS1_3gpuE6ELNS1_3repE0EEENS1_36merge_oddeven_config_static_selectorELNS0_4arch9wavefront6targetE0EEEvSK_,comdat
	.protected	_ZN7rocprim17ROCPRIM_400000_NS6detail17trampoline_kernelINS0_14default_configENS1_38merge_sort_block_merge_config_selectorIjNS0_10empty_typeEEEZZNS1_27merge_sort_block_merge_implIS3_N6thrust23THRUST_200600_302600_NS6detail15normal_iteratorINS9_10device_ptrIjEEEEPS5_m11less_div_10IjEEE10hipError_tT0_T1_T2_jT3_P12ihipStream_tbPNSt15iterator_traitsISJ_E10value_typeEPNSP_ISK_E10value_typeEPSL_NS1_7vsmem_tEENKUlT_SJ_SK_SL_E_clISE_PjSF_SF_EESI_SY_SJ_SK_SL_EUlSY_E1_NS1_11comp_targetILNS1_3genE2ELNS1_11target_archE906ELNS1_3gpuE6ELNS1_3repE0EEENS1_36merge_oddeven_config_static_selectorELNS0_4arch9wavefront6targetE0EEEvSK_ ; -- Begin function _ZN7rocprim17ROCPRIM_400000_NS6detail17trampoline_kernelINS0_14default_configENS1_38merge_sort_block_merge_config_selectorIjNS0_10empty_typeEEEZZNS1_27merge_sort_block_merge_implIS3_N6thrust23THRUST_200600_302600_NS6detail15normal_iteratorINS9_10device_ptrIjEEEEPS5_m11less_div_10IjEEE10hipError_tT0_T1_T2_jT3_P12ihipStream_tbPNSt15iterator_traitsISJ_E10value_typeEPNSP_ISK_E10value_typeEPSL_NS1_7vsmem_tEENKUlT_SJ_SK_SL_E_clISE_PjSF_SF_EESI_SY_SJ_SK_SL_EUlSY_E1_NS1_11comp_targetILNS1_3genE2ELNS1_11target_archE906ELNS1_3gpuE6ELNS1_3repE0EEENS1_36merge_oddeven_config_static_selectorELNS0_4arch9wavefront6targetE0EEEvSK_
	.globl	_ZN7rocprim17ROCPRIM_400000_NS6detail17trampoline_kernelINS0_14default_configENS1_38merge_sort_block_merge_config_selectorIjNS0_10empty_typeEEEZZNS1_27merge_sort_block_merge_implIS3_N6thrust23THRUST_200600_302600_NS6detail15normal_iteratorINS9_10device_ptrIjEEEEPS5_m11less_div_10IjEEE10hipError_tT0_T1_T2_jT3_P12ihipStream_tbPNSt15iterator_traitsISJ_E10value_typeEPNSP_ISK_E10value_typeEPSL_NS1_7vsmem_tEENKUlT_SJ_SK_SL_E_clISE_PjSF_SF_EESI_SY_SJ_SK_SL_EUlSY_E1_NS1_11comp_targetILNS1_3genE2ELNS1_11target_archE906ELNS1_3gpuE6ELNS1_3repE0EEENS1_36merge_oddeven_config_static_selectorELNS0_4arch9wavefront6targetE0EEEvSK_
	.p2align	8
	.type	_ZN7rocprim17ROCPRIM_400000_NS6detail17trampoline_kernelINS0_14default_configENS1_38merge_sort_block_merge_config_selectorIjNS0_10empty_typeEEEZZNS1_27merge_sort_block_merge_implIS3_N6thrust23THRUST_200600_302600_NS6detail15normal_iteratorINS9_10device_ptrIjEEEEPS5_m11less_div_10IjEEE10hipError_tT0_T1_T2_jT3_P12ihipStream_tbPNSt15iterator_traitsISJ_E10value_typeEPNSP_ISK_E10value_typeEPSL_NS1_7vsmem_tEENKUlT_SJ_SK_SL_E_clISE_PjSF_SF_EESI_SY_SJ_SK_SL_EUlSY_E1_NS1_11comp_targetILNS1_3genE2ELNS1_11target_archE906ELNS1_3gpuE6ELNS1_3repE0EEENS1_36merge_oddeven_config_static_selectorELNS0_4arch9wavefront6targetE0EEEvSK_,@function
_ZN7rocprim17ROCPRIM_400000_NS6detail17trampoline_kernelINS0_14default_configENS1_38merge_sort_block_merge_config_selectorIjNS0_10empty_typeEEEZZNS1_27merge_sort_block_merge_implIS3_N6thrust23THRUST_200600_302600_NS6detail15normal_iteratorINS9_10device_ptrIjEEEEPS5_m11less_div_10IjEEE10hipError_tT0_T1_T2_jT3_P12ihipStream_tbPNSt15iterator_traitsISJ_E10value_typeEPNSP_ISK_E10value_typeEPSL_NS1_7vsmem_tEENKUlT_SJ_SK_SL_E_clISE_PjSF_SF_EESI_SY_SJ_SK_SL_EUlSY_E1_NS1_11comp_targetILNS1_3genE2ELNS1_11target_archE906ELNS1_3gpuE6ELNS1_3repE0EEENS1_36merge_oddeven_config_static_selectorELNS0_4arch9wavefront6targetE0EEEvSK_: ; @_ZN7rocprim17ROCPRIM_400000_NS6detail17trampoline_kernelINS0_14default_configENS1_38merge_sort_block_merge_config_selectorIjNS0_10empty_typeEEEZZNS1_27merge_sort_block_merge_implIS3_N6thrust23THRUST_200600_302600_NS6detail15normal_iteratorINS9_10device_ptrIjEEEEPS5_m11less_div_10IjEEE10hipError_tT0_T1_T2_jT3_P12ihipStream_tbPNSt15iterator_traitsISJ_E10value_typeEPNSP_ISK_E10value_typeEPSL_NS1_7vsmem_tEENKUlT_SJ_SK_SL_E_clISE_PjSF_SF_EESI_SY_SJ_SK_SL_EUlSY_E1_NS1_11comp_targetILNS1_3genE2ELNS1_11target_archE906ELNS1_3gpuE6ELNS1_3repE0EEENS1_36merge_oddeven_config_static_selectorELNS0_4arch9wavefront6targetE0EEEvSK_
; %bb.0:
	.section	.rodata,"a",@progbits
	.p2align	6, 0x0
	.amdhsa_kernel _ZN7rocprim17ROCPRIM_400000_NS6detail17trampoline_kernelINS0_14default_configENS1_38merge_sort_block_merge_config_selectorIjNS0_10empty_typeEEEZZNS1_27merge_sort_block_merge_implIS3_N6thrust23THRUST_200600_302600_NS6detail15normal_iteratorINS9_10device_ptrIjEEEEPS5_m11less_div_10IjEEE10hipError_tT0_T1_T2_jT3_P12ihipStream_tbPNSt15iterator_traitsISJ_E10value_typeEPNSP_ISK_E10value_typeEPSL_NS1_7vsmem_tEENKUlT_SJ_SK_SL_E_clISE_PjSF_SF_EESI_SY_SJ_SK_SL_EUlSY_E1_NS1_11comp_targetILNS1_3genE2ELNS1_11target_archE906ELNS1_3gpuE6ELNS1_3repE0EEENS1_36merge_oddeven_config_static_selectorELNS0_4arch9wavefront6targetE0EEEvSK_
		.amdhsa_group_segment_fixed_size 0
		.amdhsa_private_segment_fixed_size 0
		.amdhsa_kernarg_size 56
		.amdhsa_user_sgpr_count 6
		.amdhsa_user_sgpr_private_segment_buffer 1
		.amdhsa_user_sgpr_dispatch_ptr 0
		.amdhsa_user_sgpr_queue_ptr 0
		.amdhsa_user_sgpr_kernarg_segment_ptr 1
		.amdhsa_user_sgpr_dispatch_id 0
		.amdhsa_user_sgpr_flat_scratch_init 0
		.amdhsa_user_sgpr_private_segment_size 0
		.amdhsa_wavefront_size32 1
		.amdhsa_uses_dynamic_stack 0
		.amdhsa_system_sgpr_private_segment_wavefront_offset 0
		.amdhsa_system_sgpr_workgroup_id_x 1
		.amdhsa_system_sgpr_workgroup_id_y 0
		.amdhsa_system_sgpr_workgroup_id_z 0
		.amdhsa_system_sgpr_workgroup_info 0
		.amdhsa_system_vgpr_workitem_id 0
		.amdhsa_next_free_vgpr 1
		.amdhsa_next_free_sgpr 1
		.amdhsa_reserve_vcc 0
		.amdhsa_reserve_flat_scratch 0
		.amdhsa_float_round_mode_32 0
		.amdhsa_float_round_mode_16_64 0
		.amdhsa_float_denorm_mode_32 3
		.amdhsa_float_denorm_mode_16_64 3
		.amdhsa_dx10_clamp 1
		.amdhsa_ieee_mode 1
		.amdhsa_fp16_overflow 0
		.amdhsa_workgroup_processor_mode 1
		.amdhsa_memory_ordered 1
		.amdhsa_forward_progress 1
		.amdhsa_shared_vgpr_count 0
		.amdhsa_exception_fp_ieee_invalid_op 0
		.amdhsa_exception_fp_denorm_src 0
		.amdhsa_exception_fp_ieee_div_zero 0
		.amdhsa_exception_fp_ieee_overflow 0
		.amdhsa_exception_fp_ieee_underflow 0
		.amdhsa_exception_fp_ieee_inexact 0
		.amdhsa_exception_int_div_zero 0
	.end_amdhsa_kernel
	.section	.text._ZN7rocprim17ROCPRIM_400000_NS6detail17trampoline_kernelINS0_14default_configENS1_38merge_sort_block_merge_config_selectorIjNS0_10empty_typeEEEZZNS1_27merge_sort_block_merge_implIS3_N6thrust23THRUST_200600_302600_NS6detail15normal_iteratorINS9_10device_ptrIjEEEEPS5_m11less_div_10IjEEE10hipError_tT0_T1_T2_jT3_P12ihipStream_tbPNSt15iterator_traitsISJ_E10value_typeEPNSP_ISK_E10value_typeEPSL_NS1_7vsmem_tEENKUlT_SJ_SK_SL_E_clISE_PjSF_SF_EESI_SY_SJ_SK_SL_EUlSY_E1_NS1_11comp_targetILNS1_3genE2ELNS1_11target_archE906ELNS1_3gpuE6ELNS1_3repE0EEENS1_36merge_oddeven_config_static_selectorELNS0_4arch9wavefront6targetE0EEEvSK_,"axG",@progbits,_ZN7rocprim17ROCPRIM_400000_NS6detail17trampoline_kernelINS0_14default_configENS1_38merge_sort_block_merge_config_selectorIjNS0_10empty_typeEEEZZNS1_27merge_sort_block_merge_implIS3_N6thrust23THRUST_200600_302600_NS6detail15normal_iteratorINS9_10device_ptrIjEEEEPS5_m11less_div_10IjEEE10hipError_tT0_T1_T2_jT3_P12ihipStream_tbPNSt15iterator_traitsISJ_E10value_typeEPNSP_ISK_E10value_typeEPSL_NS1_7vsmem_tEENKUlT_SJ_SK_SL_E_clISE_PjSF_SF_EESI_SY_SJ_SK_SL_EUlSY_E1_NS1_11comp_targetILNS1_3genE2ELNS1_11target_archE906ELNS1_3gpuE6ELNS1_3repE0EEENS1_36merge_oddeven_config_static_selectorELNS0_4arch9wavefront6targetE0EEEvSK_,comdat
.Lfunc_end192:
	.size	_ZN7rocprim17ROCPRIM_400000_NS6detail17trampoline_kernelINS0_14default_configENS1_38merge_sort_block_merge_config_selectorIjNS0_10empty_typeEEEZZNS1_27merge_sort_block_merge_implIS3_N6thrust23THRUST_200600_302600_NS6detail15normal_iteratorINS9_10device_ptrIjEEEEPS5_m11less_div_10IjEEE10hipError_tT0_T1_T2_jT3_P12ihipStream_tbPNSt15iterator_traitsISJ_E10value_typeEPNSP_ISK_E10value_typeEPSL_NS1_7vsmem_tEENKUlT_SJ_SK_SL_E_clISE_PjSF_SF_EESI_SY_SJ_SK_SL_EUlSY_E1_NS1_11comp_targetILNS1_3genE2ELNS1_11target_archE906ELNS1_3gpuE6ELNS1_3repE0EEENS1_36merge_oddeven_config_static_selectorELNS0_4arch9wavefront6targetE0EEEvSK_, .Lfunc_end192-_ZN7rocprim17ROCPRIM_400000_NS6detail17trampoline_kernelINS0_14default_configENS1_38merge_sort_block_merge_config_selectorIjNS0_10empty_typeEEEZZNS1_27merge_sort_block_merge_implIS3_N6thrust23THRUST_200600_302600_NS6detail15normal_iteratorINS9_10device_ptrIjEEEEPS5_m11less_div_10IjEEE10hipError_tT0_T1_T2_jT3_P12ihipStream_tbPNSt15iterator_traitsISJ_E10value_typeEPNSP_ISK_E10value_typeEPSL_NS1_7vsmem_tEENKUlT_SJ_SK_SL_E_clISE_PjSF_SF_EESI_SY_SJ_SK_SL_EUlSY_E1_NS1_11comp_targetILNS1_3genE2ELNS1_11target_archE906ELNS1_3gpuE6ELNS1_3repE0EEENS1_36merge_oddeven_config_static_selectorELNS0_4arch9wavefront6targetE0EEEvSK_
                                        ; -- End function
	.set _ZN7rocprim17ROCPRIM_400000_NS6detail17trampoline_kernelINS0_14default_configENS1_38merge_sort_block_merge_config_selectorIjNS0_10empty_typeEEEZZNS1_27merge_sort_block_merge_implIS3_N6thrust23THRUST_200600_302600_NS6detail15normal_iteratorINS9_10device_ptrIjEEEEPS5_m11less_div_10IjEEE10hipError_tT0_T1_T2_jT3_P12ihipStream_tbPNSt15iterator_traitsISJ_E10value_typeEPNSP_ISK_E10value_typeEPSL_NS1_7vsmem_tEENKUlT_SJ_SK_SL_E_clISE_PjSF_SF_EESI_SY_SJ_SK_SL_EUlSY_E1_NS1_11comp_targetILNS1_3genE2ELNS1_11target_archE906ELNS1_3gpuE6ELNS1_3repE0EEENS1_36merge_oddeven_config_static_selectorELNS0_4arch9wavefront6targetE0EEEvSK_.num_vgpr, 0
	.set _ZN7rocprim17ROCPRIM_400000_NS6detail17trampoline_kernelINS0_14default_configENS1_38merge_sort_block_merge_config_selectorIjNS0_10empty_typeEEEZZNS1_27merge_sort_block_merge_implIS3_N6thrust23THRUST_200600_302600_NS6detail15normal_iteratorINS9_10device_ptrIjEEEEPS5_m11less_div_10IjEEE10hipError_tT0_T1_T2_jT3_P12ihipStream_tbPNSt15iterator_traitsISJ_E10value_typeEPNSP_ISK_E10value_typeEPSL_NS1_7vsmem_tEENKUlT_SJ_SK_SL_E_clISE_PjSF_SF_EESI_SY_SJ_SK_SL_EUlSY_E1_NS1_11comp_targetILNS1_3genE2ELNS1_11target_archE906ELNS1_3gpuE6ELNS1_3repE0EEENS1_36merge_oddeven_config_static_selectorELNS0_4arch9wavefront6targetE0EEEvSK_.num_agpr, 0
	.set _ZN7rocprim17ROCPRIM_400000_NS6detail17trampoline_kernelINS0_14default_configENS1_38merge_sort_block_merge_config_selectorIjNS0_10empty_typeEEEZZNS1_27merge_sort_block_merge_implIS3_N6thrust23THRUST_200600_302600_NS6detail15normal_iteratorINS9_10device_ptrIjEEEEPS5_m11less_div_10IjEEE10hipError_tT0_T1_T2_jT3_P12ihipStream_tbPNSt15iterator_traitsISJ_E10value_typeEPNSP_ISK_E10value_typeEPSL_NS1_7vsmem_tEENKUlT_SJ_SK_SL_E_clISE_PjSF_SF_EESI_SY_SJ_SK_SL_EUlSY_E1_NS1_11comp_targetILNS1_3genE2ELNS1_11target_archE906ELNS1_3gpuE6ELNS1_3repE0EEENS1_36merge_oddeven_config_static_selectorELNS0_4arch9wavefront6targetE0EEEvSK_.numbered_sgpr, 0
	.set _ZN7rocprim17ROCPRIM_400000_NS6detail17trampoline_kernelINS0_14default_configENS1_38merge_sort_block_merge_config_selectorIjNS0_10empty_typeEEEZZNS1_27merge_sort_block_merge_implIS3_N6thrust23THRUST_200600_302600_NS6detail15normal_iteratorINS9_10device_ptrIjEEEEPS5_m11less_div_10IjEEE10hipError_tT0_T1_T2_jT3_P12ihipStream_tbPNSt15iterator_traitsISJ_E10value_typeEPNSP_ISK_E10value_typeEPSL_NS1_7vsmem_tEENKUlT_SJ_SK_SL_E_clISE_PjSF_SF_EESI_SY_SJ_SK_SL_EUlSY_E1_NS1_11comp_targetILNS1_3genE2ELNS1_11target_archE906ELNS1_3gpuE6ELNS1_3repE0EEENS1_36merge_oddeven_config_static_selectorELNS0_4arch9wavefront6targetE0EEEvSK_.num_named_barrier, 0
	.set _ZN7rocprim17ROCPRIM_400000_NS6detail17trampoline_kernelINS0_14default_configENS1_38merge_sort_block_merge_config_selectorIjNS0_10empty_typeEEEZZNS1_27merge_sort_block_merge_implIS3_N6thrust23THRUST_200600_302600_NS6detail15normal_iteratorINS9_10device_ptrIjEEEEPS5_m11less_div_10IjEEE10hipError_tT0_T1_T2_jT3_P12ihipStream_tbPNSt15iterator_traitsISJ_E10value_typeEPNSP_ISK_E10value_typeEPSL_NS1_7vsmem_tEENKUlT_SJ_SK_SL_E_clISE_PjSF_SF_EESI_SY_SJ_SK_SL_EUlSY_E1_NS1_11comp_targetILNS1_3genE2ELNS1_11target_archE906ELNS1_3gpuE6ELNS1_3repE0EEENS1_36merge_oddeven_config_static_selectorELNS0_4arch9wavefront6targetE0EEEvSK_.private_seg_size, 0
	.set _ZN7rocprim17ROCPRIM_400000_NS6detail17trampoline_kernelINS0_14default_configENS1_38merge_sort_block_merge_config_selectorIjNS0_10empty_typeEEEZZNS1_27merge_sort_block_merge_implIS3_N6thrust23THRUST_200600_302600_NS6detail15normal_iteratorINS9_10device_ptrIjEEEEPS5_m11less_div_10IjEEE10hipError_tT0_T1_T2_jT3_P12ihipStream_tbPNSt15iterator_traitsISJ_E10value_typeEPNSP_ISK_E10value_typeEPSL_NS1_7vsmem_tEENKUlT_SJ_SK_SL_E_clISE_PjSF_SF_EESI_SY_SJ_SK_SL_EUlSY_E1_NS1_11comp_targetILNS1_3genE2ELNS1_11target_archE906ELNS1_3gpuE6ELNS1_3repE0EEENS1_36merge_oddeven_config_static_selectorELNS0_4arch9wavefront6targetE0EEEvSK_.uses_vcc, 0
	.set _ZN7rocprim17ROCPRIM_400000_NS6detail17trampoline_kernelINS0_14default_configENS1_38merge_sort_block_merge_config_selectorIjNS0_10empty_typeEEEZZNS1_27merge_sort_block_merge_implIS3_N6thrust23THRUST_200600_302600_NS6detail15normal_iteratorINS9_10device_ptrIjEEEEPS5_m11less_div_10IjEEE10hipError_tT0_T1_T2_jT3_P12ihipStream_tbPNSt15iterator_traitsISJ_E10value_typeEPNSP_ISK_E10value_typeEPSL_NS1_7vsmem_tEENKUlT_SJ_SK_SL_E_clISE_PjSF_SF_EESI_SY_SJ_SK_SL_EUlSY_E1_NS1_11comp_targetILNS1_3genE2ELNS1_11target_archE906ELNS1_3gpuE6ELNS1_3repE0EEENS1_36merge_oddeven_config_static_selectorELNS0_4arch9wavefront6targetE0EEEvSK_.uses_flat_scratch, 0
	.set _ZN7rocprim17ROCPRIM_400000_NS6detail17trampoline_kernelINS0_14default_configENS1_38merge_sort_block_merge_config_selectorIjNS0_10empty_typeEEEZZNS1_27merge_sort_block_merge_implIS3_N6thrust23THRUST_200600_302600_NS6detail15normal_iteratorINS9_10device_ptrIjEEEEPS5_m11less_div_10IjEEE10hipError_tT0_T1_T2_jT3_P12ihipStream_tbPNSt15iterator_traitsISJ_E10value_typeEPNSP_ISK_E10value_typeEPSL_NS1_7vsmem_tEENKUlT_SJ_SK_SL_E_clISE_PjSF_SF_EESI_SY_SJ_SK_SL_EUlSY_E1_NS1_11comp_targetILNS1_3genE2ELNS1_11target_archE906ELNS1_3gpuE6ELNS1_3repE0EEENS1_36merge_oddeven_config_static_selectorELNS0_4arch9wavefront6targetE0EEEvSK_.has_dyn_sized_stack, 0
	.set _ZN7rocprim17ROCPRIM_400000_NS6detail17trampoline_kernelINS0_14default_configENS1_38merge_sort_block_merge_config_selectorIjNS0_10empty_typeEEEZZNS1_27merge_sort_block_merge_implIS3_N6thrust23THRUST_200600_302600_NS6detail15normal_iteratorINS9_10device_ptrIjEEEEPS5_m11less_div_10IjEEE10hipError_tT0_T1_T2_jT3_P12ihipStream_tbPNSt15iterator_traitsISJ_E10value_typeEPNSP_ISK_E10value_typeEPSL_NS1_7vsmem_tEENKUlT_SJ_SK_SL_E_clISE_PjSF_SF_EESI_SY_SJ_SK_SL_EUlSY_E1_NS1_11comp_targetILNS1_3genE2ELNS1_11target_archE906ELNS1_3gpuE6ELNS1_3repE0EEENS1_36merge_oddeven_config_static_selectorELNS0_4arch9wavefront6targetE0EEEvSK_.has_recursion, 0
	.set _ZN7rocprim17ROCPRIM_400000_NS6detail17trampoline_kernelINS0_14default_configENS1_38merge_sort_block_merge_config_selectorIjNS0_10empty_typeEEEZZNS1_27merge_sort_block_merge_implIS3_N6thrust23THRUST_200600_302600_NS6detail15normal_iteratorINS9_10device_ptrIjEEEEPS5_m11less_div_10IjEEE10hipError_tT0_T1_T2_jT3_P12ihipStream_tbPNSt15iterator_traitsISJ_E10value_typeEPNSP_ISK_E10value_typeEPSL_NS1_7vsmem_tEENKUlT_SJ_SK_SL_E_clISE_PjSF_SF_EESI_SY_SJ_SK_SL_EUlSY_E1_NS1_11comp_targetILNS1_3genE2ELNS1_11target_archE906ELNS1_3gpuE6ELNS1_3repE0EEENS1_36merge_oddeven_config_static_selectorELNS0_4arch9wavefront6targetE0EEEvSK_.has_indirect_call, 0
	.section	.AMDGPU.csdata,"",@progbits
; Kernel info:
; codeLenInByte = 0
; TotalNumSgprs: 0
; NumVgprs: 0
; ScratchSize: 0
; MemoryBound: 0
; FloatMode: 240
; IeeeMode: 1
; LDSByteSize: 0 bytes/workgroup (compile time only)
; SGPRBlocks: 0
; VGPRBlocks: 0
; NumSGPRsForWavesPerEU: 1
; NumVGPRsForWavesPerEU: 1
; Occupancy: 16
; WaveLimiterHint : 0
; COMPUTE_PGM_RSRC2:SCRATCH_EN: 0
; COMPUTE_PGM_RSRC2:USER_SGPR: 6
; COMPUTE_PGM_RSRC2:TRAP_HANDLER: 0
; COMPUTE_PGM_RSRC2:TGID_X_EN: 1
; COMPUTE_PGM_RSRC2:TGID_Y_EN: 0
; COMPUTE_PGM_RSRC2:TGID_Z_EN: 0
; COMPUTE_PGM_RSRC2:TIDIG_COMP_CNT: 0
	.section	.text._ZN7rocprim17ROCPRIM_400000_NS6detail17trampoline_kernelINS0_14default_configENS1_38merge_sort_block_merge_config_selectorIjNS0_10empty_typeEEEZZNS1_27merge_sort_block_merge_implIS3_N6thrust23THRUST_200600_302600_NS6detail15normal_iteratorINS9_10device_ptrIjEEEEPS5_m11less_div_10IjEEE10hipError_tT0_T1_T2_jT3_P12ihipStream_tbPNSt15iterator_traitsISJ_E10value_typeEPNSP_ISK_E10value_typeEPSL_NS1_7vsmem_tEENKUlT_SJ_SK_SL_E_clISE_PjSF_SF_EESI_SY_SJ_SK_SL_EUlSY_E1_NS1_11comp_targetILNS1_3genE9ELNS1_11target_archE1100ELNS1_3gpuE3ELNS1_3repE0EEENS1_36merge_oddeven_config_static_selectorELNS0_4arch9wavefront6targetE0EEEvSK_,"axG",@progbits,_ZN7rocprim17ROCPRIM_400000_NS6detail17trampoline_kernelINS0_14default_configENS1_38merge_sort_block_merge_config_selectorIjNS0_10empty_typeEEEZZNS1_27merge_sort_block_merge_implIS3_N6thrust23THRUST_200600_302600_NS6detail15normal_iteratorINS9_10device_ptrIjEEEEPS5_m11less_div_10IjEEE10hipError_tT0_T1_T2_jT3_P12ihipStream_tbPNSt15iterator_traitsISJ_E10value_typeEPNSP_ISK_E10value_typeEPSL_NS1_7vsmem_tEENKUlT_SJ_SK_SL_E_clISE_PjSF_SF_EESI_SY_SJ_SK_SL_EUlSY_E1_NS1_11comp_targetILNS1_3genE9ELNS1_11target_archE1100ELNS1_3gpuE3ELNS1_3repE0EEENS1_36merge_oddeven_config_static_selectorELNS0_4arch9wavefront6targetE0EEEvSK_,comdat
	.protected	_ZN7rocprim17ROCPRIM_400000_NS6detail17trampoline_kernelINS0_14default_configENS1_38merge_sort_block_merge_config_selectorIjNS0_10empty_typeEEEZZNS1_27merge_sort_block_merge_implIS3_N6thrust23THRUST_200600_302600_NS6detail15normal_iteratorINS9_10device_ptrIjEEEEPS5_m11less_div_10IjEEE10hipError_tT0_T1_T2_jT3_P12ihipStream_tbPNSt15iterator_traitsISJ_E10value_typeEPNSP_ISK_E10value_typeEPSL_NS1_7vsmem_tEENKUlT_SJ_SK_SL_E_clISE_PjSF_SF_EESI_SY_SJ_SK_SL_EUlSY_E1_NS1_11comp_targetILNS1_3genE9ELNS1_11target_archE1100ELNS1_3gpuE3ELNS1_3repE0EEENS1_36merge_oddeven_config_static_selectorELNS0_4arch9wavefront6targetE0EEEvSK_ ; -- Begin function _ZN7rocprim17ROCPRIM_400000_NS6detail17trampoline_kernelINS0_14default_configENS1_38merge_sort_block_merge_config_selectorIjNS0_10empty_typeEEEZZNS1_27merge_sort_block_merge_implIS3_N6thrust23THRUST_200600_302600_NS6detail15normal_iteratorINS9_10device_ptrIjEEEEPS5_m11less_div_10IjEEE10hipError_tT0_T1_T2_jT3_P12ihipStream_tbPNSt15iterator_traitsISJ_E10value_typeEPNSP_ISK_E10value_typeEPSL_NS1_7vsmem_tEENKUlT_SJ_SK_SL_E_clISE_PjSF_SF_EESI_SY_SJ_SK_SL_EUlSY_E1_NS1_11comp_targetILNS1_3genE9ELNS1_11target_archE1100ELNS1_3gpuE3ELNS1_3repE0EEENS1_36merge_oddeven_config_static_selectorELNS0_4arch9wavefront6targetE0EEEvSK_
	.globl	_ZN7rocprim17ROCPRIM_400000_NS6detail17trampoline_kernelINS0_14default_configENS1_38merge_sort_block_merge_config_selectorIjNS0_10empty_typeEEEZZNS1_27merge_sort_block_merge_implIS3_N6thrust23THRUST_200600_302600_NS6detail15normal_iteratorINS9_10device_ptrIjEEEEPS5_m11less_div_10IjEEE10hipError_tT0_T1_T2_jT3_P12ihipStream_tbPNSt15iterator_traitsISJ_E10value_typeEPNSP_ISK_E10value_typeEPSL_NS1_7vsmem_tEENKUlT_SJ_SK_SL_E_clISE_PjSF_SF_EESI_SY_SJ_SK_SL_EUlSY_E1_NS1_11comp_targetILNS1_3genE9ELNS1_11target_archE1100ELNS1_3gpuE3ELNS1_3repE0EEENS1_36merge_oddeven_config_static_selectorELNS0_4arch9wavefront6targetE0EEEvSK_
	.p2align	8
	.type	_ZN7rocprim17ROCPRIM_400000_NS6detail17trampoline_kernelINS0_14default_configENS1_38merge_sort_block_merge_config_selectorIjNS0_10empty_typeEEEZZNS1_27merge_sort_block_merge_implIS3_N6thrust23THRUST_200600_302600_NS6detail15normal_iteratorINS9_10device_ptrIjEEEEPS5_m11less_div_10IjEEE10hipError_tT0_T1_T2_jT3_P12ihipStream_tbPNSt15iterator_traitsISJ_E10value_typeEPNSP_ISK_E10value_typeEPSL_NS1_7vsmem_tEENKUlT_SJ_SK_SL_E_clISE_PjSF_SF_EESI_SY_SJ_SK_SL_EUlSY_E1_NS1_11comp_targetILNS1_3genE9ELNS1_11target_archE1100ELNS1_3gpuE3ELNS1_3repE0EEENS1_36merge_oddeven_config_static_selectorELNS0_4arch9wavefront6targetE0EEEvSK_,@function
_ZN7rocprim17ROCPRIM_400000_NS6detail17trampoline_kernelINS0_14default_configENS1_38merge_sort_block_merge_config_selectorIjNS0_10empty_typeEEEZZNS1_27merge_sort_block_merge_implIS3_N6thrust23THRUST_200600_302600_NS6detail15normal_iteratorINS9_10device_ptrIjEEEEPS5_m11less_div_10IjEEE10hipError_tT0_T1_T2_jT3_P12ihipStream_tbPNSt15iterator_traitsISJ_E10value_typeEPNSP_ISK_E10value_typeEPSL_NS1_7vsmem_tEENKUlT_SJ_SK_SL_E_clISE_PjSF_SF_EESI_SY_SJ_SK_SL_EUlSY_E1_NS1_11comp_targetILNS1_3genE9ELNS1_11target_archE1100ELNS1_3gpuE3ELNS1_3repE0EEENS1_36merge_oddeven_config_static_selectorELNS0_4arch9wavefront6targetE0EEEvSK_: ; @_ZN7rocprim17ROCPRIM_400000_NS6detail17trampoline_kernelINS0_14default_configENS1_38merge_sort_block_merge_config_selectorIjNS0_10empty_typeEEEZZNS1_27merge_sort_block_merge_implIS3_N6thrust23THRUST_200600_302600_NS6detail15normal_iteratorINS9_10device_ptrIjEEEEPS5_m11less_div_10IjEEE10hipError_tT0_T1_T2_jT3_P12ihipStream_tbPNSt15iterator_traitsISJ_E10value_typeEPNSP_ISK_E10value_typeEPSL_NS1_7vsmem_tEENKUlT_SJ_SK_SL_E_clISE_PjSF_SF_EESI_SY_SJ_SK_SL_EUlSY_E1_NS1_11comp_targetILNS1_3genE9ELNS1_11target_archE1100ELNS1_3gpuE3ELNS1_3repE0EEENS1_36merge_oddeven_config_static_selectorELNS0_4arch9wavefront6targetE0EEEvSK_
; %bb.0:
	.section	.rodata,"a",@progbits
	.p2align	6, 0x0
	.amdhsa_kernel _ZN7rocprim17ROCPRIM_400000_NS6detail17trampoline_kernelINS0_14default_configENS1_38merge_sort_block_merge_config_selectorIjNS0_10empty_typeEEEZZNS1_27merge_sort_block_merge_implIS3_N6thrust23THRUST_200600_302600_NS6detail15normal_iteratorINS9_10device_ptrIjEEEEPS5_m11less_div_10IjEEE10hipError_tT0_T1_T2_jT3_P12ihipStream_tbPNSt15iterator_traitsISJ_E10value_typeEPNSP_ISK_E10value_typeEPSL_NS1_7vsmem_tEENKUlT_SJ_SK_SL_E_clISE_PjSF_SF_EESI_SY_SJ_SK_SL_EUlSY_E1_NS1_11comp_targetILNS1_3genE9ELNS1_11target_archE1100ELNS1_3gpuE3ELNS1_3repE0EEENS1_36merge_oddeven_config_static_selectorELNS0_4arch9wavefront6targetE0EEEvSK_
		.amdhsa_group_segment_fixed_size 0
		.amdhsa_private_segment_fixed_size 0
		.amdhsa_kernarg_size 56
		.amdhsa_user_sgpr_count 6
		.amdhsa_user_sgpr_private_segment_buffer 1
		.amdhsa_user_sgpr_dispatch_ptr 0
		.amdhsa_user_sgpr_queue_ptr 0
		.amdhsa_user_sgpr_kernarg_segment_ptr 1
		.amdhsa_user_sgpr_dispatch_id 0
		.amdhsa_user_sgpr_flat_scratch_init 0
		.amdhsa_user_sgpr_private_segment_size 0
		.amdhsa_wavefront_size32 1
		.amdhsa_uses_dynamic_stack 0
		.amdhsa_system_sgpr_private_segment_wavefront_offset 0
		.amdhsa_system_sgpr_workgroup_id_x 1
		.amdhsa_system_sgpr_workgroup_id_y 0
		.amdhsa_system_sgpr_workgroup_id_z 0
		.amdhsa_system_sgpr_workgroup_info 0
		.amdhsa_system_vgpr_workitem_id 0
		.amdhsa_next_free_vgpr 1
		.amdhsa_next_free_sgpr 1
		.amdhsa_reserve_vcc 0
		.amdhsa_reserve_flat_scratch 0
		.amdhsa_float_round_mode_32 0
		.amdhsa_float_round_mode_16_64 0
		.amdhsa_float_denorm_mode_32 3
		.amdhsa_float_denorm_mode_16_64 3
		.amdhsa_dx10_clamp 1
		.amdhsa_ieee_mode 1
		.amdhsa_fp16_overflow 0
		.amdhsa_workgroup_processor_mode 1
		.amdhsa_memory_ordered 1
		.amdhsa_forward_progress 1
		.amdhsa_shared_vgpr_count 0
		.amdhsa_exception_fp_ieee_invalid_op 0
		.amdhsa_exception_fp_denorm_src 0
		.amdhsa_exception_fp_ieee_div_zero 0
		.amdhsa_exception_fp_ieee_overflow 0
		.amdhsa_exception_fp_ieee_underflow 0
		.amdhsa_exception_fp_ieee_inexact 0
		.amdhsa_exception_int_div_zero 0
	.end_amdhsa_kernel
	.section	.text._ZN7rocprim17ROCPRIM_400000_NS6detail17trampoline_kernelINS0_14default_configENS1_38merge_sort_block_merge_config_selectorIjNS0_10empty_typeEEEZZNS1_27merge_sort_block_merge_implIS3_N6thrust23THRUST_200600_302600_NS6detail15normal_iteratorINS9_10device_ptrIjEEEEPS5_m11less_div_10IjEEE10hipError_tT0_T1_T2_jT3_P12ihipStream_tbPNSt15iterator_traitsISJ_E10value_typeEPNSP_ISK_E10value_typeEPSL_NS1_7vsmem_tEENKUlT_SJ_SK_SL_E_clISE_PjSF_SF_EESI_SY_SJ_SK_SL_EUlSY_E1_NS1_11comp_targetILNS1_3genE9ELNS1_11target_archE1100ELNS1_3gpuE3ELNS1_3repE0EEENS1_36merge_oddeven_config_static_selectorELNS0_4arch9wavefront6targetE0EEEvSK_,"axG",@progbits,_ZN7rocprim17ROCPRIM_400000_NS6detail17trampoline_kernelINS0_14default_configENS1_38merge_sort_block_merge_config_selectorIjNS0_10empty_typeEEEZZNS1_27merge_sort_block_merge_implIS3_N6thrust23THRUST_200600_302600_NS6detail15normal_iteratorINS9_10device_ptrIjEEEEPS5_m11less_div_10IjEEE10hipError_tT0_T1_T2_jT3_P12ihipStream_tbPNSt15iterator_traitsISJ_E10value_typeEPNSP_ISK_E10value_typeEPSL_NS1_7vsmem_tEENKUlT_SJ_SK_SL_E_clISE_PjSF_SF_EESI_SY_SJ_SK_SL_EUlSY_E1_NS1_11comp_targetILNS1_3genE9ELNS1_11target_archE1100ELNS1_3gpuE3ELNS1_3repE0EEENS1_36merge_oddeven_config_static_selectorELNS0_4arch9wavefront6targetE0EEEvSK_,comdat
.Lfunc_end193:
	.size	_ZN7rocprim17ROCPRIM_400000_NS6detail17trampoline_kernelINS0_14default_configENS1_38merge_sort_block_merge_config_selectorIjNS0_10empty_typeEEEZZNS1_27merge_sort_block_merge_implIS3_N6thrust23THRUST_200600_302600_NS6detail15normal_iteratorINS9_10device_ptrIjEEEEPS5_m11less_div_10IjEEE10hipError_tT0_T1_T2_jT3_P12ihipStream_tbPNSt15iterator_traitsISJ_E10value_typeEPNSP_ISK_E10value_typeEPSL_NS1_7vsmem_tEENKUlT_SJ_SK_SL_E_clISE_PjSF_SF_EESI_SY_SJ_SK_SL_EUlSY_E1_NS1_11comp_targetILNS1_3genE9ELNS1_11target_archE1100ELNS1_3gpuE3ELNS1_3repE0EEENS1_36merge_oddeven_config_static_selectorELNS0_4arch9wavefront6targetE0EEEvSK_, .Lfunc_end193-_ZN7rocprim17ROCPRIM_400000_NS6detail17trampoline_kernelINS0_14default_configENS1_38merge_sort_block_merge_config_selectorIjNS0_10empty_typeEEEZZNS1_27merge_sort_block_merge_implIS3_N6thrust23THRUST_200600_302600_NS6detail15normal_iteratorINS9_10device_ptrIjEEEEPS5_m11less_div_10IjEEE10hipError_tT0_T1_T2_jT3_P12ihipStream_tbPNSt15iterator_traitsISJ_E10value_typeEPNSP_ISK_E10value_typeEPSL_NS1_7vsmem_tEENKUlT_SJ_SK_SL_E_clISE_PjSF_SF_EESI_SY_SJ_SK_SL_EUlSY_E1_NS1_11comp_targetILNS1_3genE9ELNS1_11target_archE1100ELNS1_3gpuE3ELNS1_3repE0EEENS1_36merge_oddeven_config_static_selectorELNS0_4arch9wavefront6targetE0EEEvSK_
                                        ; -- End function
	.set _ZN7rocprim17ROCPRIM_400000_NS6detail17trampoline_kernelINS0_14default_configENS1_38merge_sort_block_merge_config_selectorIjNS0_10empty_typeEEEZZNS1_27merge_sort_block_merge_implIS3_N6thrust23THRUST_200600_302600_NS6detail15normal_iteratorINS9_10device_ptrIjEEEEPS5_m11less_div_10IjEEE10hipError_tT0_T1_T2_jT3_P12ihipStream_tbPNSt15iterator_traitsISJ_E10value_typeEPNSP_ISK_E10value_typeEPSL_NS1_7vsmem_tEENKUlT_SJ_SK_SL_E_clISE_PjSF_SF_EESI_SY_SJ_SK_SL_EUlSY_E1_NS1_11comp_targetILNS1_3genE9ELNS1_11target_archE1100ELNS1_3gpuE3ELNS1_3repE0EEENS1_36merge_oddeven_config_static_selectorELNS0_4arch9wavefront6targetE0EEEvSK_.num_vgpr, 0
	.set _ZN7rocprim17ROCPRIM_400000_NS6detail17trampoline_kernelINS0_14default_configENS1_38merge_sort_block_merge_config_selectorIjNS0_10empty_typeEEEZZNS1_27merge_sort_block_merge_implIS3_N6thrust23THRUST_200600_302600_NS6detail15normal_iteratorINS9_10device_ptrIjEEEEPS5_m11less_div_10IjEEE10hipError_tT0_T1_T2_jT3_P12ihipStream_tbPNSt15iterator_traitsISJ_E10value_typeEPNSP_ISK_E10value_typeEPSL_NS1_7vsmem_tEENKUlT_SJ_SK_SL_E_clISE_PjSF_SF_EESI_SY_SJ_SK_SL_EUlSY_E1_NS1_11comp_targetILNS1_3genE9ELNS1_11target_archE1100ELNS1_3gpuE3ELNS1_3repE0EEENS1_36merge_oddeven_config_static_selectorELNS0_4arch9wavefront6targetE0EEEvSK_.num_agpr, 0
	.set _ZN7rocprim17ROCPRIM_400000_NS6detail17trampoline_kernelINS0_14default_configENS1_38merge_sort_block_merge_config_selectorIjNS0_10empty_typeEEEZZNS1_27merge_sort_block_merge_implIS3_N6thrust23THRUST_200600_302600_NS6detail15normal_iteratorINS9_10device_ptrIjEEEEPS5_m11less_div_10IjEEE10hipError_tT0_T1_T2_jT3_P12ihipStream_tbPNSt15iterator_traitsISJ_E10value_typeEPNSP_ISK_E10value_typeEPSL_NS1_7vsmem_tEENKUlT_SJ_SK_SL_E_clISE_PjSF_SF_EESI_SY_SJ_SK_SL_EUlSY_E1_NS1_11comp_targetILNS1_3genE9ELNS1_11target_archE1100ELNS1_3gpuE3ELNS1_3repE0EEENS1_36merge_oddeven_config_static_selectorELNS0_4arch9wavefront6targetE0EEEvSK_.numbered_sgpr, 0
	.set _ZN7rocprim17ROCPRIM_400000_NS6detail17trampoline_kernelINS0_14default_configENS1_38merge_sort_block_merge_config_selectorIjNS0_10empty_typeEEEZZNS1_27merge_sort_block_merge_implIS3_N6thrust23THRUST_200600_302600_NS6detail15normal_iteratorINS9_10device_ptrIjEEEEPS5_m11less_div_10IjEEE10hipError_tT0_T1_T2_jT3_P12ihipStream_tbPNSt15iterator_traitsISJ_E10value_typeEPNSP_ISK_E10value_typeEPSL_NS1_7vsmem_tEENKUlT_SJ_SK_SL_E_clISE_PjSF_SF_EESI_SY_SJ_SK_SL_EUlSY_E1_NS1_11comp_targetILNS1_3genE9ELNS1_11target_archE1100ELNS1_3gpuE3ELNS1_3repE0EEENS1_36merge_oddeven_config_static_selectorELNS0_4arch9wavefront6targetE0EEEvSK_.num_named_barrier, 0
	.set _ZN7rocprim17ROCPRIM_400000_NS6detail17trampoline_kernelINS0_14default_configENS1_38merge_sort_block_merge_config_selectorIjNS0_10empty_typeEEEZZNS1_27merge_sort_block_merge_implIS3_N6thrust23THRUST_200600_302600_NS6detail15normal_iteratorINS9_10device_ptrIjEEEEPS5_m11less_div_10IjEEE10hipError_tT0_T1_T2_jT3_P12ihipStream_tbPNSt15iterator_traitsISJ_E10value_typeEPNSP_ISK_E10value_typeEPSL_NS1_7vsmem_tEENKUlT_SJ_SK_SL_E_clISE_PjSF_SF_EESI_SY_SJ_SK_SL_EUlSY_E1_NS1_11comp_targetILNS1_3genE9ELNS1_11target_archE1100ELNS1_3gpuE3ELNS1_3repE0EEENS1_36merge_oddeven_config_static_selectorELNS0_4arch9wavefront6targetE0EEEvSK_.private_seg_size, 0
	.set _ZN7rocprim17ROCPRIM_400000_NS6detail17trampoline_kernelINS0_14default_configENS1_38merge_sort_block_merge_config_selectorIjNS0_10empty_typeEEEZZNS1_27merge_sort_block_merge_implIS3_N6thrust23THRUST_200600_302600_NS6detail15normal_iteratorINS9_10device_ptrIjEEEEPS5_m11less_div_10IjEEE10hipError_tT0_T1_T2_jT3_P12ihipStream_tbPNSt15iterator_traitsISJ_E10value_typeEPNSP_ISK_E10value_typeEPSL_NS1_7vsmem_tEENKUlT_SJ_SK_SL_E_clISE_PjSF_SF_EESI_SY_SJ_SK_SL_EUlSY_E1_NS1_11comp_targetILNS1_3genE9ELNS1_11target_archE1100ELNS1_3gpuE3ELNS1_3repE0EEENS1_36merge_oddeven_config_static_selectorELNS0_4arch9wavefront6targetE0EEEvSK_.uses_vcc, 0
	.set _ZN7rocprim17ROCPRIM_400000_NS6detail17trampoline_kernelINS0_14default_configENS1_38merge_sort_block_merge_config_selectorIjNS0_10empty_typeEEEZZNS1_27merge_sort_block_merge_implIS3_N6thrust23THRUST_200600_302600_NS6detail15normal_iteratorINS9_10device_ptrIjEEEEPS5_m11less_div_10IjEEE10hipError_tT0_T1_T2_jT3_P12ihipStream_tbPNSt15iterator_traitsISJ_E10value_typeEPNSP_ISK_E10value_typeEPSL_NS1_7vsmem_tEENKUlT_SJ_SK_SL_E_clISE_PjSF_SF_EESI_SY_SJ_SK_SL_EUlSY_E1_NS1_11comp_targetILNS1_3genE9ELNS1_11target_archE1100ELNS1_3gpuE3ELNS1_3repE0EEENS1_36merge_oddeven_config_static_selectorELNS0_4arch9wavefront6targetE0EEEvSK_.uses_flat_scratch, 0
	.set _ZN7rocprim17ROCPRIM_400000_NS6detail17trampoline_kernelINS0_14default_configENS1_38merge_sort_block_merge_config_selectorIjNS0_10empty_typeEEEZZNS1_27merge_sort_block_merge_implIS3_N6thrust23THRUST_200600_302600_NS6detail15normal_iteratorINS9_10device_ptrIjEEEEPS5_m11less_div_10IjEEE10hipError_tT0_T1_T2_jT3_P12ihipStream_tbPNSt15iterator_traitsISJ_E10value_typeEPNSP_ISK_E10value_typeEPSL_NS1_7vsmem_tEENKUlT_SJ_SK_SL_E_clISE_PjSF_SF_EESI_SY_SJ_SK_SL_EUlSY_E1_NS1_11comp_targetILNS1_3genE9ELNS1_11target_archE1100ELNS1_3gpuE3ELNS1_3repE0EEENS1_36merge_oddeven_config_static_selectorELNS0_4arch9wavefront6targetE0EEEvSK_.has_dyn_sized_stack, 0
	.set _ZN7rocprim17ROCPRIM_400000_NS6detail17trampoline_kernelINS0_14default_configENS1_38merge_sort_block_merge_config_selectorIjNS0_10empty_typeEEEZZNS1_27merge_sort_block_merge_implIS3_N6thrust23THRUST_200600_302600_NS6detail15normal_iteratorINS9_10device_ptrIjEEEEPS5_m11less_div_10IjEEE10hipError_tT0_T1_T2_jT3_P12ihipStream_tbPNSt15iterator_traitsISJ_E10value_typeEPNSP_ISK_E10value_typeEPSL_NS1_7vsmem_tEENKUlT_SJ_SK_SL_E_clISE_PjSF_SF_EESI_SY_SJ_SK_SL_EUlSY_E1_NS1_11comp_targetILNS1_3genE9ELNS1_11target_archE1100ELNS1_3gpuE3ELNS1_3repE0EEENS1_36merge_oddeven_config_static_selectorELNS0_4arch9wavefront6targetE0EEEvSK_.has_recursion, 0
	.set _ZN7rocprim17ROCPRIM_400000_NS6detail17trampoline_kernelINS0_14default_configENS1_38merge_sort_block_merge_config_selectorIjNS0_10empty_typeEEEZZNS1_27merge_sort_block_merge_implIS3_N6thrust23THRUST_200600_302600_NS6detail15normal_iteratorINS9_10device_ptrIjEEEEPS5_m11less_div_10IjEEE10hipError_tT0_T1_T2_jT3_P12ihipStream_tbPNSt15iterator_traitsISJ_E10value_typeEPNSP_ISK_E10value_typeEPSL_NS1_7vsmem_tEENKUlT_SJ_SK_SL_E_clISE_PjSF_SF_EESI_SY_SJ_SK_SL_EUlSY_E1_NS1_11comp_targetILNS1_3genE9ELNS1_11target_archE1100ELNS1_3gpuE3ELNS1_3repE0EEENS1_36merge_oddeven_config_static_selectorELNS0_4arch9wavefront6targetE0EEEvSK_.has_indirect_call, 0
	.section	.AMDGPU.csdata,"",@progbits
; Kernel info:
; codeLenInByte = 0
; TotalNumSgprs: 0
; NumVgprs: 0
; ScratchSize: 0
; MemoryBound: 0
; FloatMode: 240
; IeeeMode: 1
; LDSByteSize: 0 bytes/workgroup (compile time only)
; SGPRBlocks: 0
; VGPRBlocks: 0
; NumSGPRsForWavesPerEU: 1
; NumVGPRsForWavesPerEU: 1
; Occupancy: 16
; WaveLimiterHint : 0
; COMPUTE_PGM_RSRC2:SCRATCH_EN: 0
; COMPUTE_PGM_RSRC2:USER_SGPR: 6
; COMPUTE_PGM_RSRC2:TRAP_HANDLER: 0
; COMPUTE_PGM_RSRC2:TGID_X_EN: 1
; COMPUTE_PGM_RSRC2:TGID_Y_EN: 0
; COMPUTE_PGM_RSRC2:TGID_Z_EN: 0
; COMPUTE_PGM_RSRC2:TIDIG_COMP_CNT: 0
	.section	.text._ZN7rocprim17ROCPRIM_400000_NS6detail17trampoline_kernelINS0_14default_configENS1_38merge_sort_block_merge_config_selectorIjNS0_10empty_typeEEEZZNS1_27merge_sort_block_merge_implIS3_N6thrust23THRUST_200600_302600_NS6detail15normal_iteratorINS9_10device_ptrIjEEEEPS5_m11less_div_10IjEEE10hipError_tT0_T1_T2_jT3_P12ihipStream_tbPNSt15iterator_traitsISJ_E10value_typeEPNSP_ISK_E10value_typeEPSL_NS1_7vsmem_tEENKUlT_SJ_SK_SL_E_clISE_PjSF_SF_EESI_SY_SJ_SK_SL_EUlSY_E1_NS1_11comp_targetILNS1_3genE8ELNS1_11target_archE1030ELNS1_3gpuE2ELNS1_3repE0EEENS1_36merge_oddeven_config_static_selectorELNS0_4arch9wavefront6targetE0EEEvSK_,"axG",@progbits,_ZN7rocprim17ROCPRIM_400000_NS6detail17trampoline_kernelINS0_14default_configENS1_38merge_sort_block_merge_config_selectorIjNS0_10empty_typeEEEZZNS1_27merge_sort_block_merge_implIS3_N6thrust23THRUST_200600_302600_NS6detail15normal_iteratorINS9_10device_ptrIjEEEEPS5_m11less_div_10IjEEE10hipError_tT0_T1_T2_jT3_P12ihipStream_tbPNSt15iterator_traitsISJ_E10value_typeEPNSP_ISK_E10value_typeEPSL_NS1_7vsmem_tEENKUlT_SJ_SK_SL_E_clISE_PjSF_SF_EESI_SY_SJ_SK_SL_EUlSY_E1_NS1_11comp_targetILNS1_3genE8ELNS1_11target_archE1030ELNS1_3gpuE2ELNS1_3repE0EEENS1_36merge_oddeven_config_static_selectorELNS0_4arch9wavefront6targetE0EEEvSK_,comdat
	.protected	_ZN7rocprim17ROCPRIM_400000_NS6detail17trampoline_kernelINS0_14default_configENS1_38merge_sort_block_merge_config_selectorIjNS0_10empty_typeEEEZZNS1_27merge_sort_block_merge_implIS3_N6thrust23THRUST_200600_302600_NS6detail15normal_iteratorINS9_10device_ptrIjEEEEPS5_m11less_div_10IjEEE10hipError_tT0_T1_T2_jT3_P12ihipStream_tbPNSt15iterator_traitsISJ_E10value_typeEPNSP_ISK_E10value_typeEPSL_NS1_7vsmem_tEENKUlT_SJ_SK_SL_E_clISE_PjSF_SF_EESI_SY_SJ_SK_SL_EUlSY_E1_NS1_11comp_targetILNS1_3genE8ELNS1_11target_archE1030ELNS1_3gpuE2ELNS1_3repE0EEENS1_36merge_oddeven_config_static_selectorELNS0_4arch9wavefront6targetE0EEEvSK_ ; -- Begin function _ZN7rocprim17ROCPRIM_400000_NS6detail17trampoline_kernelINS0_14default_configENS1_38merge_sort_block_merge_config_selectorIjNS0_10empty_typeEEEZZNS1_27merge_sort_block_merge_implIS3_N6thrust23THRUST_200600_302600_NS6detail15normal_iteratorINS9_10device_ptrIjEEEEPS5_m11less_div_10IjEEE10hipError_tT0_T1_T2_jT3_P12ihipStream_tbPNSt15iterator_traitsISJ_E10value_typeEPNSP_ISK_E10value_typeEPSL_NS1_7vsmem_tEENKUlT_SJ_SK_SL_E_clISE_PjSF_SF_EESI_SY_SJ_SK_SL_EUlSY_E1_NS1_11comp_targetILNS1_3genE8ELNS1_11target_archE1030ELNS1_3gpuE2ELNS1_3repE0EEENS1_36merge_oddeven_config_static_selectorELNS0_4arch9wavefront6targetE0EEEvSK_
	.globl	_ZN7rocprim17ROCPRIM_400000_NS6detail17trampoline_kernelINS0_14default_configENS1_38merge_sort_block_merge_config_selectorIjNS0_10empty_typeEEEZZNS1_27merge_sort_block_merge_implIS3_N6thrust23THRUST_200600_302600_NS6detail15normal_iteratorINS9_10device_ptrIjEEEEPS5_m11less_div_10IjEEE10hipError_tT0_T1_T2_jT3_P12ihipStream_tbPNSt15iterator_traitsISJ_E10value_typeEPNSP_ISK_E10value_typeEPSL_NS1_7vsmem_tEENKUlT_SJ_SK_SL_E_clISE_PjSF_SF_EESI_SY_SJ_SK_SL_EUlSY_E1_NS1_11comp_targetILNS1_3genE8ELNS1_11target_archE1030ELNS1_3gpuE2ELNS1_3repE0EEENS1_36merge_oddeven_config_static_selectorELNS0_4arch9wavefront6targetE0EEEvSK_
	.p2align	8
	.type	_ZN7rocprim17ROCPRIM_400000_NS6detail17trampoline_kernelINS0_14default_configENS1_38merge_sort_block_merge_config_selectorIjNS0_10empty_typeEEEZZNS1_27merge_sort_block_merge_implIS3_N6thrust23THRUST_200600_302600_NS6detail15normal_iteratorINS9_10device_ptrIjEEEEPS5_m11less_div_10IjEEE10hipError_tT0_T1_T2_jT3_P12ihipStream_tbPNSt15iterator_traitsISJ_E10value_typeEPNSP_ISK_E10value_typeEPSL_NS1_7vsmem_tEENKUlT_SJ_SK_SL_E_clISE_PjSF_SF_EESI_SY_SJ_SK_SL_EUlSY_E1_NS1_11comp_targetILNS1_3genE8ELNS1_11target_archE1030ELNS1_3gpuE2ELNS1_3repE0EEENS1_36merge_oddeven_config_static_selectorELNS0_4arch9wavefront6targetE0EEEvSK_,@function
_ZN7rocprim17ROCPRIM_400000_NS6detail17trampoline_kernelINS0_14default_configENS1_38merge_sort_block_merge_config_selectorIjNS0_10empty_typeEEEZZNS1_27merge_sort_block_merge_implIS3_N6thrust23THRUST_200600_302600_NS6detail15normal_iteratorINS9_10device_ptrIjEEEEPS5_m11less_div_10IjEEE10hipError_tT0_T1_T2_jT3_P12ihipStream_tbPNSt15iterator_traitsISJ_E10value_typeEPNSP_ISK_E10value_typeEPSL_NS1_7vsmem_tEENKUlT_SJ_SK_SL_E_clISE_PjSF_SF_EESI_SY_SJ_SK_SL_EUlSY_E1_NS1_11comp_targetILNS1_3genE8ELNS1_11target_archE1030ELNS1_3gpuE2ELNS1_3repE0EEENS1_36merge_oddeven_config_static_selectorELNS0_4arch9wavefront6targetE0EEEvSK_: ; @_ZN7rocprim17ROCPRIM_400000_NS6detail17trampoline_kernelINS0_14default_configENS1_38merge_sort_block_merge_config_selectorIjNS0_10empty_typeEEEZZNS1_27merge_sort_block_merge_implIS3_N6thrust23THRUST_200600_302600_NS6detail15normal_iteratorINS9_10device_ptrIjEEEEPS5_m11less_div_10IjEEE10hipError_tT0_T1_T2_jT3_P12ihipStream_tbPNSt15iterator_traitsISJ_E10value_typeEPNSP_ISK_E10value_typeEPSL_NS1_7vsmem_tEENKUlT_SJ_SK_SL_E_clISE_PjSF_SF_EESI_SY_SJ_SK_SL_EUlSY_E1_NS1_11comp_targetILNS1_3genE8ELNS1_11target_archE1030ELNS1_3gpuE2ELNS1_3repE0EEENS1_36merge_oddeven_config_static_selectorELNS0_4arch9wavefront6targetE0EEEvSK_
; %bb.0:
	s_load_dword s7, s[4:5], 0x20
	s_waitcnt lgkmcnt(0)
	s_lshr_b32 s0, s7, 8
	s_cmp_lg_u32 s6, s0
	s_cselect_b32 s13, -1, 0
	s_cmp_eq_u32 s6, s0
	s_cselect_b32 s12, -1, 0
	s_lshl_b32 s2, s6, 8
	s_sub_i32 s0, s7, s2
	v_cmp_gt_u32_e64 s1, s0, v0
	s_or_b32 s0, s13, s1
	s_and_saveexec_b32 s3, s0
	s_cbranch_execz .LBB194_20
; %bb.1:
	s_load_dwordx4 s[8:11], s[4:5], 0x0
	s_mov_b32 s3, 0
	v_lshlrev_b32_e32 v1, 2, v0
	s_lshl_b64 s[14:15], s[2:3], 2
	s_load_dword s5, s[4:5], 0x28
	v_add_nc_u32_e32 v0, s2, v0
	s_waitcnt lgkmcnt(0)
	s_add_u32 s14, s8, s14
	s_addc_u32 s15, s9, s15
	global_load_dword v2, v1, s[14:15]
	s_lshr_b32 s0, s5, 8
	s_sub_i32 s4, 0, s0
	s_and_b32 s4, s6, s4
	s_and_b32 s0, s4, s0
	s_lshl_b32 s6, s4, 8
	s_sub_i32 s4, 0, s5
	s_cmp_eq_u32 s0, 0
	s_cselect_b32 s0, -1, 0
	s_and_b32 s14, s0, exec_lo
	s_cselect_b32 s4, s5, s4
	s_add_i32 s4, s4, s6
	s_cmp_lt_u32 s4, s7
	s_cbranch_scc1 .LBB194_3
; %bb.2:
	v_cmp_gt_u32_e32 vcc_lo, s7, v0
	s_or_b32 s3, vcc_lo, s13
	s_and_b32 s3, s3, exec_lo
	s_cbranch_execz .LBB194_4
	s_branch .LBB194_18
.LBB194_3:
.LBB194_4:
	s_waitcnt vmcnt(0)
	v_mul_hi_i32 v1, 0x66666667, v2
	s_min_u32 s2, s4, s7
	s_and_b32 vcc_lo, exec_lo, s12
	s_add_i32 s13, s6, s2
	s_min_u32 s6, s6, s2
	v_subrev_nc_u32_e32 v0, s13, v0
	s_add_i32 s5, s2, s5
	s_min_u32 s5, s5, s7
	v_lshrrev_b32_e32 v4, 31, v1
	v_ashrrev_i32_e32 v1, 2, v1
	v_add_nc_u32_e32 v3, s6, v0
	v_add_nc_u32_e32 v4, v1, v4
	s_cbranch_vccz .LBB194_12
; %bb.5:
                                        ; implicit-def: $vgpr0
	s_and_saveexec_b32 s6, s1
	s_cbranch_execz .LBB194_11
; %bb.6:
	v_mov_b32_e32 v5, s2
	s_cmp_ge_u32 s4, s5
	s_cbranch_scc1 .LBB194_10
; %bb.7:
	v_mov_b32_e32 v6, s5
	v_mov_b32_e32 v5, s2
	v_mov_b32_e32 v1, 0
	s_mov_b32 s1, 0
	s_inst_prefetch 0x1
	.p2align	6
.LBB194_8:                              ; =>This Inner Loop Header: Depth=1
	v_add_nc_u32_e32 v0, v5, v6
	v_lshrrev_b32_e32 v0, 1, v0
	v_lshlrev_b64 v[7:8], 2, v[0:1]
	v_add_co_u32 v7, vcc_lo, s8, v7
	v_add_co_ci_u32_e64 v8, null, s9, v8, vcc_lo
	global_load_dword v7, v[7:8], off
	s_waitcnt vmcnt(0)
	v_mul_hi_i32 v7, 0x66666667, v7
	v_lshrrev_b32_e32 v8, 31, v7
	v_ashrrev_i32_e32 v7, 2, v7
	v_add_nc_u32_e32 v7, v7, v8
	v_cmp_lt_i32_e32 vcc_lo, v7, v4
	v_cndmask_b32_e64 v8, 0, 1, vcc_lo
	v_cmp_ge_i32_e32 vcc_lo, v4, v7
	v_cndmask_b32_e64 v7, 0, 1, vcc_lo
	v_cndmask_b32_e64 v7, v7, v8, s0
	v_add_nc_u32_e32 v8, 1, v0
	v_and_b32_e32 v7, 1, v7
	v_cmp_eq_u32_e32 vcc_lo, 1, v7
	v_cndmask_b32_e32 v6, v0, v6, vcc_lo
	v_cndmask_b32_e32 v5, v5, v8, vcc_lo
	v_cmp_ge_u32_e32 vcc_lo, v5, v6
	s_or_b32 s1, vcc_lo, s1
	s_andn2_b32 exec_lo, exec_lo, s1
	s_cbranch_execnz .LBB194_8
; %bb.9:
	s_inst_prefetch 0x2
	s_or_b32 exec_lo, exec_lo, s1
.LBB194_10:
	v_add_nc_u32_e32 v0, v5, v3
	s_or_b32 s3, s3, exec_lo
.LBB194_11:
	s_or_b32 exec_lo, exec_lo, s6
	s_branch .LBB194_18
.LBB194_12:
                                        ; implicit-def: $vgpr0
	s_cbranch_execz .LBB194_18
; %bb.13:
	v_mov_b32_e32 v5, s2
	s_cmp_ge_u32 s4, s5
	s_cbranch_scc1 .LBB194_17
; %bb.14:
	v_mov_b32_e32 v6, s5
	v_mov_b32_e32 v5, s2
	;; [unrolled: 1-line block ×3, first 2 shown]
	s_mov_b32 s1, 0
	s_inst_prefetch 0x1
	.p2align	6
.LBB194_15:                             ; =>This Inner Loop Header: Depth=1
	v_add_nc_u32_e32 v0, v5, v6
	v_lshrrev_b32_e32 v0, 1, v0
	v_lshlrev_b64 v[7:8], 2, v[0:1]
	v_add_co_u32 v7, vcc_lo, s8, v7
	v_add_co_ci_u32_e64 v8, null, s9, v8, vcc_lo
	global_load_dword v7, v[7:8], off
	s_waitcnt vmcnt(0)
	v_mul_hi_i32 v7, 0x66666667, v7
	v_lshrrev_b32_e32 v8, 31, v7
	v_ashrrev_i32_e32 v7, 2, v7
	v_add_nc_u32_e32 v7, v7, v8
	v_cmp_lt_i32_e32 vcc_lo, v7, v4
	v_cndmask_b32_e64 v8, 0, 1, vcc_lo
	v_cmp_ge_i32_e32 vcc_lo, v4, v7
	v_cndmask_b32_e64 v7, 0, 1, vcc_lo
	v_cndmask_b32_e64 v7, v7, v8, s0
	v_add_nc_u32_e32 v8, 1, v0
	v_and_b32_e32 v7, 1, v7
	v_cmp_eq_u32_e32 vcc_lo, 1, v7
	v_cndmask_b32_e32 v6, v0, v6, vcc_lo
	v_cndmask_b32_e32 v5, v5, v8, vcc_lo
	v_cmp_ge_u32_e32 vcc_lo, v5, v6
	s_or_b32 s1, vcc_lo, s1
	s_andn2_b32 exec_lo, exec_lo, s1
	s_cbranch_execnz .LBB194_15
; %bb.16:
	s_inst_prefetch 0x2
	s_or_b32 exec_lo, exec_lo, s1
.LBB194_17:
	v_add_nc_u32_e32 v0, v5, v3
	s_mov_b32 s3, -1
.LBB194_18:
	s_and_b32 exec_lo, exec_lo, s3
	s_cbranch_execz .LBB194_20
; %bb.19:
	v_mov_b32_e32 v1, 0
	v_lshlrev_b64 v[0:1], 2, v[0:1]
	v_add_co_u32 v0, vcc_lo, s10, v0
	v_add_co_ci_u32_e64 v1, null, s11, v1, vcc_lo
	s_waitcnt vmcnt(0)
	global_store_dword v[0:1], v2, off
.LBB194_20:
	s_endpgm
	.section	.rodata,"a",@progbits
	.p2align	6, 0x0
	.amdhsa_kernel _ZN7rocprim17ROCPRIM_400000_NS6detail17trampoline_kernelINS0_14default_configENS1_38merge_sort_block_merge_config_selectorIjNS0_10empty_typeEEEZZNS1_27merge_sort_block_merge_implIS3_N6thrust23THRUST_200600_302600_NS6detail15normal_iteratorINS9_10device_ptrIjEEEEPS5_m11less_div_10IjEEE10hipError_tT0_T1_T2_jT3_P12ihipStream_tbPNSt15iterator_traitsISJ_E10value_typeEPNSP_ISK_E10value_typeEPSL_NS1_7vsmem_tEENKUlT_SJ_SK_SL_E_clISE_PjSF_SF_EESI_SY_SJ_SK_SL_EUlSY_E1_NS1_11comp_targetILNS1_3genE8ELNS1_11target_archE1030ELNS1_3gpuE2ELNS1_3repE0EEENS1_36merge_oddeven_config_static_selectorELNS0_4arch9wavefront6targetE0EEEvSK_
		.amdhsa_group_segment_fixed_size 0
		.amdhsa_private_segment_fixed_size 0
		.amdhsa_kernarg_size 56
		.amdhsa_user_sgpr_count 6
		.amdhsa_user_sgpr_private_segment_buffer 1
		.amdhsa_user_sgpr_dispatch_ptr 0
		.amdhsa_user_sgpr_queue_ptr 0
		.amdhsa_user_sgpr_kernarg_segment_ptr 1
		.amdhsa_user_sgpr_dispatch_id 0
		.amdhsa_user_sgpr_flat_scratch_init 0
		.amdhsa_user_sgpr_private_segment_size 0
		.amdhsa_wavefront_size32 1
		.amdhsa_uses_dynamic_stack 0
		.amdhsa_system_sgpr_private_segment_wavefront_offset 0
		.amdhsa_system_sgpr_workgroup_id_x 1
		.amdhsa_system_sgpr_workgroup_id_y 0
		.amdhsa_system_sgpr_workgroup_id_z 0
		.amdhsa_system_sgpr_workgroup_info 0
		.amdhsa_system_vgpr_workitem_id 0
		.amdhsa_next_free_vgpr 9
		.amdhsa_next_free_sgpr 16
		.amdhsa_reserve_vcc 1
		.amdhsa_reserve_flat_scratch 0
		.amdhsa_float_round_mode_32 0
		.amdhsa_float_round_mode_16_64 0
		.amdhsa_float_denorm_mode_32 3
		.amdhsa_float_denorm_mode_16_64 3
		.amdhsa_dx10_clamp 1
		.amdhsa_ieee_mode 1
		.amdhsa_fp16_overflow 0
		.amdhsa_workgroup_processor_mode 1
		.amdhsa_memory_ordered 1
		.amdhsa_forward_progress 1
		.amdhsa_shared_vgpr_count 0
		.amdhsa_exception_fp_ieee_invalid_op 0
		.amdhsa_exception_fp_denorm_src 0
		.amdhsa_exception_fp_ieee_div_zero 0
		.amdhsa_exception_fp_ieee_overflow 0
		.amdhsa_exception_fp_ieee_underflow 0
		.amdhsa_exception_fp_ieee_inexact 0
		.amdhsa_exception_int_div_zero 0
	.end_amdhsa_kernel
	.section	.text._ZN7rocprim17ROCPRIM_400000_NS6detail17trampoline_kernelINS0_14default_configENS1_38merge_sort_block_merge_config_selectorIjNS0_10empty_typeEEEZZNS1_27merge_sort_block_merge_implIS3_N6thrust23THRUST_200600_302600_NS6detail15normal_iteratorINS9_10device_ptrIjEEEEPS5_m11less_div_10IjEEE10hipError_tT0_T1_T2_jT3_P12ihipStream_tbPNSt15iterator_traitsISJ_E10value_typeEPNSP_ISK_E10value_typeEPSL_NS1_7vsmem_tEENKUlT_SJ_SK_SL_E_clISE_PjSF_SF_EESI_SY_SJ_SK_SL_EUlSY_E1_NS1_11comp_targetILNS1_3genE8ELNS1_11target_archE1030ELNS1_3gpuE2ELNS1_3repE0EEENS1_36merge_oddeven_config_static_selectorELNS0_4arch9wavefront6targetE0EEEvSK_,"axG",@progbits,_ZN7rocprim17ROCPRIM_400000_NS6detail17trampoline_kernelINS0_14default_configENS1_38merge_sort_block_merge_config_selectorIjNS0_10empty_typeEEEZZNS1_27merge_sort_block_merge_implIS3_N6thrust23THRUST_200600_302600_NS6detail15normal_iteratorINS9_10device_ptrIjEEEEPS5_m11less_div_10IjEEE10hipError_tT0_T1_T2_jT3_P12ihipStream_tbPNSt15iterator_traitsISJ_E10value_typeEPNSP_ISK_E10value_typeEPSL_NS1_7vsmem_tEENKUlT_SJ_SK_SL_E_clISE_PjSF_SF_EESI_SY_SJ_SK_SL_EUlSY_E1_NS1_11comp_targetILNS1_3genE8ELNS1_11target_archE1030ELNS1_3gpuE2ELNS1_3repE0EEENS1_36merge_oddeven_config_static_selectorELNS0_4arch9wavefront6targetE0EEEvSK_,comdat
.Lfunc_end194:
	.size	_ZN7rocprim17ROCPRIM_400000_NS6detail17trampoline_kernelINS0_14default_configENS1_38merge_sort_block_merge_config_selectorIjNS0_10empty_typeEEEZZNS1_27merge_sort_block_merge_implIS3_N6thrust23THRUST_200600_302600_NS6detail15normal_iteratorINS9_10device_ptrIjEEEEPS5_m11less_div_10IjEEE10hipError_tT0_T1_T2_jT3_P12ihipStream_tbPNSt15iterator_traitsISJ_E10value_typeEPNSP_ISK_E10value_typeEPSL_NS1_7vsmem_tEENKUlT_SJ_SK_SL_E_clISE_PjSF_SF_EESI_SY_SJ_SK_SL_EUlSY_E1_NS1_11comp_targetILNS1_3genE8ELNS1_11target_archE1030ELNS1_3gpuE2ELNS1_3repE0EEENS1_36merge_oddeven_config_static_selectorELNS0_4arch9wavefront6targetE0EEEvSK_, .Lfunc_end194-_ZN7rocprim17ROCPRIM_400000_NS6detail17trampoline_kernelINS0_14default_configENS1_38merge_sort_block_merge_config_selectorIjNS0_10empty_typeEEEZZNS1_27merge_sort_block_merge_implIS3_N6thrust23THRUST_200600_302600_NS6detail15normal_iteratorINS9_10device_ptrIjEEEEPS5_m11less_div_10IjEEE10hipError_tT0_T1_T2_jT3_P12ihipStream_tbPNSt15iterator_traitsISJ_E10value_typeEPNSP_ISK_E10value_typeEPSL_NS1_7vsmem_tEENKUlT_SJ_SK_SL_E_clISE_PjSF_SF_EESI_SY_SJ_SK_SL_EUlSY_E1_NS1_11comp_targetILNS1_3genE8ELNS1_11target_archE1030ELNS1_3gpuE2ELNS1_3repE0EEENS1_36merge_oddeven_config_static_selectorELNS0_4arch9wavefront6targetE0EEEvSK_
                                        ; -- End function
	.set _ZN7rocprim17ROCPRIM_400000_NS6detail17trampoline_kernelINS0_14default_configENS1_38merge_sort_block_merge_config_selectorIjNS0_10empty_typeEEEZZNS1_27merge_sort_block_merge_implIS3_N6thrust23THRUST_200600_302600_NS6detail15normal_iteratorINS9_10device_ptrIjEEEEPS5_m11less_div_10IjEEE10hipError_tT0_T1_T2_jT3_P12ihipStream_tbPNSt15iterator_traitsISJ_E10value_typeEPNSP_ISK_E10value_typeEPSL_NS1_7vsmem_tEENKUlT_SJ_SK_SL_E_clISE_PjSF_SF_EESI_SY_SJ_SK_SL_EUlSY_E1_NS1_11comp_targetILNS1_3genE8ELNS1_11target_archE1030ELNS1_3gpuE2ELNS1_3repE0EEENS1_36merge_oddeven_config_static_selectorELNS0_4arch9wavefront6targetE0EEEvSK_.num_vgpr, 9
	.set _ZN7rocprim17ROCPRIM_400000_NS6detail17trampoline_kernelINS0_14default_configENS1_38merge_sort_block_merge_config_selectorIjNS0_10empty_typeEEEZZNS1_27merge_sort_block_merge_implIS3_N6thrust23THRUST_200600_302600_NS6detail15normal_iteratorINS9_10device_ptrIjEEEEPS5_m11less_div_10IjEEE10hipError_tT0_T1_T2_jT3_P12ihipStream_tbPNSt15iterator_traitsISJ_E10value_typeEPNSP_ISK_E10value_typeEPSL_NS1_7vsmem_tEENKUlT_SJ_SK_SL_E_clISE_PjSF_SF_EESI_SY_SJ_SK_SL_EUlSY_E1_NS1_11comp_targetILNS1_3genE8ELNS1_11target_archE1030ELNS1_3gpuE2ELNS1_3repE0EEENS1_36merge_oddeven_config_static_selectorELNS0_4arch9wavefront6targetE0EEEvSK_.num_agpr, 0
	.set _ZN7rocprim17ROCPRIM_400000_NS6detail17trampoline_kernelINS0_14default_configENS1_38merge_sort_block_merge_config_selectorIjNS0_10empty_typeEEEZZNS1_27merge_sort_block_merge_implIS3_N6thrust23THRUST_200600_302600_NS6detail15normal_iteratorINS9_10device_ptrIjEEEEPS5_m11less_div_10IjEEE10hipError_tT0_T1_T2_jT3_P12ihipStream_tbPNSt15iterator_traitsISJ_E10value_typeEPNSP_ISK_E10value_typeEPSL_NS1_7vsmem_tEENKUlT_SJ_SK_SL_E_clISE_PjSF_SF_EESI_SY_SJ_SK_SL_EUlSY_E1_NS1_11comp_targetILNS1_3genE8ELNS1_11target_archE1030ELNS1_3gpuE2ELNS1_3repE0EEENS1_36merge_oddeven_config_static_selectorELNS0_4arch9wavefront6targetE0EEEvSK_.numbered_sgpr, 16
	.set _ZN7rocprim17ROCPRIM_400000_NS6detail17trampoline_kernelINS0_14default_configENS1_38merge_sort_block_merge_config_selectorIjNS0_10empty_typeEEEZZNS1_27merge_sort_block_merge_implIS3_N6thrust23THRUST_200600_302600_NS6detail15normal_iteratorINS9_10device_ptrIjEEEEPS5_m11less_div_10IjEEE10hipError_tT0_T1_T2_jT3_P12ihipStream_tbPNSt15iterator_traitsISJ_E10value_typeEPNSP_ISK_E10value_typeEPSL_NS1_7vsmem_tEENKUlT_SJ_SK_SL_E_clISE_PjSF_SF_EESI_SY_SJ_SK_SL_EUlSY_E1_NS1_11comp_targetILNS1_3genE8ELNS1_11target_archE1030ELNS1_3gpuE2ELNS1_3repE0EEENS1_36merge_oddeven_config_static_selectorELNS0_4arch9wavefront6targetE0EEEvSK_.num_named_barrier, 0
	.set _ZN7rocprim17ROCPRIM_400000_NS6detail17trampoline_kernelINS0_14default_configENS1_38merge_sort_block_merge_config_selectorIjNS0_10empty_typeEEEZZNS1_27merge_sort_block_merge_implIS3_N6thrust23THRUST_200600_302600_NS6detail15normal_iteratorINS9_10device_ptrIjEEEEPS5_m11less_div_10IjEEE10hipError_tT0_T1_T2_jT3_P12ihipStream_tbPNSt15iterator_traitsISJ_E10value_typeEPNSP_ISK_E10value_typeEPSL_NS1_7vsmem_tEENKUlT_SJ_SK_SL_E_clISE_PjSF_SF_EESI_SY_SJ_SK_SL_EUlSY_E1_NS1_11comp_targetILNS1_3genE8ELNS1_11target_archE1030ELNS1_3gpuE2ELNS1_3repE0EEENS1_36merge_oddeven_config_static_selectorELNS0_4arch9wavefront6targetE0EEEvSK_.private_seg_size, 0
	.set _ZN7rocprim17ROCPRIM_400000_NS6detail17trampoline_kernelINS0_14default_configENS1_38merge_sort_block_merge_config_selectorIjNS0_10empty_typeEEEZZNS1_27merge_sort_block_merge_implIS3_N6thrust23THRUST_200600_302600_NS6detail15normal_iteratorINS9_10device_ptrIjEEEEPS5_m11less_div_10IjEEE10hipError_tT0_T1_T2_jT3_P12ihipStream_tbPNSt15iterator_traitsISJ_E10value_typeEPNSP_ISK_E10value_typeEPSL_NS1_7vsmem_tEENKUlT_SJ_SK_SL_E_clISE_PjSF_SF_EESI_SY_SJ_SK_SL_EUlSY_E1_NS1_11comp_targetILNS1_3genE8ELNS1_11target_archE1030ELNS1_3gpuE2ELNS1_3repE0EEENS1_36merge_oddeven_config_static_selectorELNS0_4arch9wavefront6targetE0EEEvSK_.uses_vcc, 1
	.set _ZN7rocprim17ROCPRIM_400000_NS6detail17trampoline_kernelINS0_14default_configENS1_38merge_sort_block_merge_config_selectorIjNS0_10empty_typeEEEZZNS1_27merge_sort_block_merge_implIS3_N6thrust23THRUST_200600_302600_NS6detail15normal_iteratorINS9_10device_ptrIjEEEEPS5_m11less_div_10IjEEE10hipError_tT0_T1_T2_jT3_P12ihipStream_tbPNSt15iterator_traitsISJ_E10value_typeEPNSP_ISK_E10value_typeEPSL_NS1_7vsmem_tEENKUlT_SJ_SK_SL_E_clISE_PjSF_SF_EESI_SY_SJ_SK_SL_EUlSY_E1_NS1_11comp_targetILNS1_3genE8ELNS1_11target_archE1030ELNS1_3gpuE2ELNS1_3repE0EEENS1_36merge_oddeven_config_static_selectorELNS0_4arch9wavefront6targetE0EEEvSK_.uses_flat_scratch, 0
	.set _ZN7rocprim17ROCPRIM_400000_NS6detail17trampoline_kernelINS0_14default_configENS1_38merge_sort_block_merge_config_selectorIjNS0_10empty_typeEEEZZNS1_27merge_sort_block_merge_implIS3_N6thrust23THRUST_200600_302600_NS6detail15normal_iteratorINS9_10device_ptrIjEEEEPS5_m11less_div_10IjEEE10hipError_tT0_T1_T2_jT3_P12ihipStream_tbPNSt15iterator_traitsISJ_E10value_typeEPNSP_ISK_E10value_typeEPSL_NS1_7vsmem_tEENKUlT_SJ_SK_SL_E_clISE_PjSF_SF_EESI_SY_SJ_SK_SL_EUlSY_E1_NS1_11comp_targetILNS1_3genE8ELNS1_11target_archE1030ELNS1_3gpuE2ELNS1_3repE0EEENS1_36merge_oddeven_config_static_selectorELNS0_4arch9wavefront6targetE0EEEvSK_.has_dyn_sized_stack, 0
	.set _ZN7rocprim17ROCPRIM_400000_NS6detail17trampoline_kernelINS0_14default_configENS1_38merge_sort_block_merge_config_selectorIjNS0_10empty_typeEEEZZNS1_27merge_sort_block_merge_implIS3_N6thrust23THRUST_200600_302600_NS6detail15normal_iteratorINS9_10device_ptrIjEEEEPS5_m11less_div_10IjEEE10hipError_tT0_T1_T2_jT3_P12ihipStream_tbPNSt15iterator_traitsISJ_E10value_typeEPNSP_ISK_E10value_typeEPSL_NS1_7vsmem_tEENKUlT_SJ_SK_SL_E_clISE_PjSF_SF_EESI_SY_SJ_SK_SL_EUlSY_E1_NS1_11comp_targetILNS1_3genE8ELNS1_11target_archE1030ELNS1_3gpuE2ELNS1_3repE0EEENS1_36merge_oddeven_config_static_selectorELNS0_4arch9wavefront6targetE0EEEvSK_.has_recursion, 0
	.set _ZN7rocprim17ROCPRIM_400000_NS6detail17trampoline_kernelINS0_14default_configENS1_38merge_sort_block_merge_config_selectorIjNS0_10empty_typeEEEZZNS1_27merge_sort_block_merge_implIS3_N6thrust23THRUST_200600_302600_NS6detail15normal_iteratorINS9_10device_ptrIjEEEEPS5_m11less_div_10IjEEE10hipError_tT0_T1_T2_jT3_P12ihipStream_tbPNSt15iterator_traitsISJ_E10value_typeEPNSP_ISK_E10value_typeEPSL_NS1_7vsmem_tEENKUlT_SJ_SK_SL_E_clISE_PjSF_SF_EESI_SY_SJ_SK_SL_EUlSY_E1_NS1_11comp_targetILNS1_3genE8ELNS1_11target_archE1030ELNS1_3gpuE2ELNS1_3repE0EEENS1_36merge_oddeven_config_static_selectorELNS0_4arch9wavefront6targetE0EEEvSK_.has_indirect_call, 0
	.section	.AMDGPU.csdata,"",@progbits
; Kernel info:
; codeLenInByte = 780
; TotalNumSgprs: 18
; NumVgprs: 9
; ScratchSize: 0
; MemoryBound: 0
; FloatMode: 240
; IeeeMode: 1
; LDSByteSize: 0 bytes/workgroup (compile time only)
; SGPRBlocks: 0
; VGPRBlocks: 1
; NumSGPRsForWavesPerEU: 18
; NumVGPRsForWavesPerEU: 9
; Occupancy: 16
; WaveLimiterHint : 0
; COMPUTE_PGM_RSRC2:SCRATCH_EN: 0
; COMPUTE_PGM_RSRC2:USER_SGPR: 6
; COMPUTE_PGM_RSRC2:TRAP_HANDLER: 0
; COMPUTE_PGM_RSRC2:TGID_X_EN: 1
; COMPUTE_PGM_RSRC2:TGID_Y_EN: 0
; COMPUTE_PGM_RSRC2:TGID_Z_EN: 0
; COMPUTE_PGM_RSRC2:TIDIG_COMP_CNT: 0
	.section	.text._ZN7rocprim17ROCPRIM_400000_NS6detail17trampoline_kernelINS0_14default_configENS1_25transform_config_selectorIjLb0EEEZNS1_14transform_implILb0ES3_S5_PjN6thrust23THRUST_200600_302600_NS6detail15normal_iteratorINS9_10device_ptrIjEEEENS0_8identityIjEEEE10hipError_tT2_T3_mT4_P12ihipStream_tbEUlT_E_NS1_11comp_targetILNS1_3genE0ELNS1_11target_archE4294967295ELNS1_3gpuE0ELNS1_3repE0EEENS1_30default_config_static_selectorELNS0_4arch9wavefront6targetE0EEEvT1_,"axG",@progbits,_ZN7rocprim17ROCPRIM_400000_NS6detail17trampoline_kernelINS0_14default_configENS1_25transform_config_selectorIjLb0EEEZNS1_14transform_implILb0ES3_S5_PjN6thrust23THRUST_200600_302600_NS6detail15normal_iteratorINS9_10device_ptrIjEEEENS0_8identityIjEEEE10hipError_tT2_T3_mT4_P12ihipStream_tbEUlT_E_NS1_11comp_targetILNS1_3genE0ELNS1_11target_archE4294967295ELNS1_3gpuE0ELNS1_3repE0EEENS1_30default_config_static_selectorELNS0_4arch9wavefront6targetE0EEEvT1_,comdat
	.protected	_ZN7rocprim17ROCPRIM_400000_NS6detail17trampoline_kernelINS0_14default_configENS1_25transform_config_selectorIjLb0EEEZNS1_14transform_implILb0ES3_S5_PjN6thrust23THRUST_200600_302600_NS6detail15normal_iteratorINS9_10device_ptrIjEEEENS0_8identityIjEEEE10hipError_tT2_T3_mT4_P12ihipStream_tbEUlT_E_NS1_11comp_targetILNS1_3genE0ELNS1_11target_archE4294967295ELNS1_3gpuE0ELNS1_3repE0EEENS1_30default_config_static_selectorELNS0_4arch9wavefront6targetE0EEEvT1_ ; -- Begin function _ZN7rocprim17ROCPRIM_400000_NS6detail17trampoline_kernelINS0_14default_configENS1_25transform_config_selectorIjLb0EEEZNS1_14transform_implILb0ES3_S5_PjN6thrust23THRUST_200600_302600_NS6detail15normal_iteratorINS9_10device_ptrIjEEEENS0_8identityIjEEEE10hipError_tT2_T3_mT4_P12ihipStream_tbEUlT_E_NS1_11comp_targetILNS1_3genE0ELNS1_11target_archE4294967295ELNS1_3gpuE0ELNS1_3repE0EEENS1_30default_config_static_selectorELNS0_4arch9wavefront6targetE0EEEvT1_
	.globl	_ZN7rocprim17ROCPRIM_400000_NS6detail17trampoline_kernelINS0_14default_configENS1_25transform_config_selectorIjLb0EEEZNS1_14transform_implILb0ES3_S5_PjN6thrust23THRUST_200600_302600_NS6detail15normal_iteratorINS9_10device_ptrIjEEEENS0_8identityIjEEEE10hipError_tT2_T3_mT4_P12ihipStream_tbEUlT_E_NS1_11comp_targetILNS1_3genE0ELNS1_11target_archE4294967295ELNS1_3gpuE0ELNS1_3repE0EEENS1_30default_config_static_selectorELNS0_4arch9wavefront6targetE0EEEvT1_
	.p2align	8
	.type	_ZN7rocprim17ROCPRIM_400000_NS6detail17trampoline_kernelINS0_14default_configENS1_25transform_config_selectorIjLb0EEEZNS1_14transform_implILb0ES3_S5_PjN6thrust23THRUST_200600_302600_NS6detail15normal_iteratorINS9_10device_ptrIjEEEENS0_8identityIjEEEE10hipError_tT2_T3_mT4_P12ihipStream_tbEUlT_E_NS1_11comp_targetILNS1_3genE0ELNS1_11target_archE4294967295ELNS1_3gpuE0ELNS1_3repE0EEENS1_30default_config_static_selectorELNS0_4arch9wavefront6targetE0EEEvT1_,@function
_ZN7rocprim17ROCPRIM_400000_NS6detail17trampoline_kernelINS0_14default_configENS1_25transform_config_selectorIjLb0EEEZNS1_14transform_implILb0ES3_S5_PjN6thrust23THRUST_200600_302600_NS6detail15normal_iteratorINS9_10device_ptrIjEEEENS0_8identityIjEEEE10hipError_tT2_T3_mT4_P12ihipStream_tbEUlT_E_NS1_11comp_targetILNS1_3genE0ELNS1_11target_archE4294967295ELNS1_3gpuE0ELNS1_3repE0EEENS1_30default_config_static_selectorELNS0_4arch9wavefront6targetE0EEEvT1_: ; @_ZN7rocprim17ROCPRIM_400000_NS6detail17trampoline_kernelINS0_14default_configENS1_25transform_config_selectorIjLb0EEEZNS1_14transform_implILb0ES3_S5_PjN6thrust23THRUST_200600_302600_NS6detail15normal_iteratorINS9_10device_ptrIjEEEENS0_8identityIjEEEE10hipError_tT2_T3_mT4_P12ihipStream_tbEUlT_E_NS1_11comp_targetILNS1_3genE0ELNS1_11target_archE4294967295ELNS1_3gpuE0ELNS1_3repE0EEENS1_30default_config_static_selectorELNS0_4arch9wavefront6targetE0EEEvT1_
; %bb.0:
	.section	.rodata,"a",@progbits
	.p2align	6, 0x0
	.amdhsa_kernel _ZN7rocprim17ROCPRIM_400000_NS6detail17trampoline_kernelINS0_14default_configENS1_25transform_config_selectorIjLb0EEEZNS1_14transform_implILb0ES3_S5_PjN6thrust23THRUST_200600_302600_NS6detail15normal_iteratorINS9_10device_ptrIjEEEENS0_8identityIjEEEE10hipError_tT2_T3_mT4_P12ihipStream_tbEUlT_E_NS1_11comp_targetILNS1_3genE0ELNS1_11target_archE4294967295ELNS1_3gpuE0ELNS1_3repE0EEENS1_30default_config_static_selectorELNS0_4arch9wavefront6targetE0EEEvT1_
		.amdhsa_group_segment_fixed_size 0
		.amdhsa_private_segment_fixed_size 0
		.amdhsa_kernarg_size 40
		.amdhsa_user_sgpr_count 6
		.amdhsa_user_sgpr_private_segment_buffer 1
		.amdhsa_user_sgpr_dispatch_ptr 0
		.amdhsa_user_sgpr_queue_ptr 0
		.amdhsa_user_sgpr_kernarg_segment_ptr 1
		.amdhsa_user_sgpr_dispatch_id 0
		.amdhsa_user_sgpr_flat_scratch_init 0
		.amdhsa_user_sgpr_private_segment_size 0
		.amdhsa_wavefront_size32 1
		.amdhsa_uses_dynamic_stack 0
		.amdhsa_system_sgpr_private_segment_wavefront_offset 0
		.amdhsa_system_sgpr_workgroup_id_x 1
		.amdhsa_system_sgpr_workgroup_id_y 0
		.amdhsa_system_sgpr_workgroup_id_z 0
		.amdhsa_system_sgpr_workgroup_info 0
		.amdhsa_system_vgpr_workitem_id 0
		.amdhsa_next_free_vgpr 1
		.amdhsa_next_free_sgpr 1
		.amdhsa_reserve_vcc 0
		.amdhsa_reserve_flat_scratch 0
		.amdhsa_float_round_mode_32 0
		.amdhsa_float_round_mode_16_64 0
		.amdhsa_float_denorm_mode_32 3
		.amdhsa_float_denorm_mode_16_64 3
		.amdhsa_dx10_clamp 1
		.amdhsa_ieee_mode 1
		.amdhsa_fp16_overflow 0
		.amdhsa_workgroup_processor_mode 1
		.amdhsa_memory_ordered 1
		.amdhsa_forward_progress 1
		.amdhsa_shared_vgpr_count 0
		.amdhsa_exception_fp_ieee_invalid_op 0
		.amdhsa_exception_fp_denorm_src 0
		.amdhsa_exception_fp_ieee_div_zero 0
		.amdhsa_exception_fp_ieee_overflow 0
		.amdhsa_exception_fp_ieee_underflow 0
		.amdhsa_exception_fp_ieee_inexact 0
		.amdhsa_exception_int_div_zero 0
	.end_amdhsa_kernel
	.section	.text._ZN7rocprim17ROCPRIM_400000_NS6detail17trampoline_kernelINS0_14default_configENS1_25transform_config_selectorIjLb0EEEZNS1_14transform_implILb0ES3_S5_PjN6thrust23THRUST_200600_302600_NS6detail15normal_iteratorINS9_10device_ptrIjEEEENS0_8identityIjEEEE10hipError_tT2_T3_mT4_P12ihipStream_tbEUlT_E_NS1_11comp_targetILNS1_3genE0ELNS1_11target_archE4294967295ELNS1_3gpuE0ELNS1_3repE0EEENS1_30default_config_static_selectorELNS0_4arch9wavefront6targetE0EEEvT1_,"axG",@progbits,_ZN7rocprim17ROCPRIM_400000_NS6detail17trampoline_kernelINS0_14default_configENS1_25transform_config_selectorIjLb0EEEZNS1_14transform_implILb0ES3_S5_PjN6thrust23THRUST_200600_302600_NS6detail15normal_iteratorINS9_10device_ptrIjEEEENS0_8identityIjEEEE10hipError_tT2_T3_mT4_P12ihipStream_tbEUlT_E_NS1_11comp_targetILNS1_3genE0ELNS1_11target_archE4294967295ELNS1_3gpuE0ELNS1_3repE0EEENS1_30default_config_static_selectorELNS0_4arch9wavefront6targetE0EEEvT1_,comdat
.Lfunc_end195:
	.size	_ZN7rocprim17ROCPRIM_400000_NS6detail17trampoline_kernelINS0_14default_configENS1_25transform_config_selectorIjLb0EEEZNS1_14transform_implILb0ES3_S5_PjN6thrust23THRUST_200600_302600_NS6detail15normal_iteratorINS9_10device_ptrIjEEEENS0_8identityIjEEEE10hipError_tT2_T3_mT4_P12ihipStream_tbEUlT_E_NS1_11comp_targetILNS1_3genE0ELNS1_11target_archE4294967295ELNS1_3gpuE0ELNS1_3repE0EEENS1_30default_config_static_selectorELNS0_4arch9wavefront6targetE0EEEvT1_, .Lfunc_end195-_ZN7rocprim17ROCPRIM_400000_NS6detail17trampoline_kernelINS0_14default_configENS1_25transform_config_selectorIjLb0EEEZNS1_14transform_implILb0ES3_S5_PjN6thrust23THRUST_200600_302600_NS6detail15normal_iteratorINS9_10device_ptrIjEEEENS0_8identityIjEEEE10hipError_tT2_T3_mT4_P12ihipStream_tbEUlT_E_NS1_11comp_targetILNS1_3genE0ELNS1_11target_archE4294967295ELNS1_3gpuE0ELNS1_3repE0EEENS1_30default_config_static_selectorELNS0_4arch9wavefront6targetE0EEEvT1_
                                        ; -- End function
	.set _ZN7rocprim17ROCPRIM_400000_NS6detail17trampoline_kernelINS0_14default_configENS1_25transform_config_selectorIjLb0EEEZNS1_14transform_implILb0ES3_S5_PjN6thrust23THRUST_200600_302600_NS6detail15normal_iteratorINS9_10device_ptrIjEEEENS0_8identityIjEEEE10hipError_tT2_T3_mT4_P12ihipStream_tbEUlT_E_NS1_11comp_targetILNS1_3genE0ELNS1_11target_archE4294967295ELNS1_3gpuE0ELNS1_3repE0EEENS1_30default_config_static_selectorELNS0_4arch9wavefront6targetE0EEEvT1_.num_vgpr, 0
	.set _ZN7rocprim17ROCPRIM_400000_NS6detail17trampoline_kernelINS0_14default_configENS1_25transform_config_selectorIjLb0EEEZNS1_14transform_implILb0ES3_S5_PjN6thrust23THRUST_200600_302600_NS6detail15normal_iteratorINS9_10device_ptrIjEEEENS0_8identityIjEEEE10hipError_tT2_T3_mT4_P12ihipStream_tbEUlT_E_NS1_11comp_targetILNS1_3genE0ELNS1_11target_archE4294967295ELNS1_3gpuE0ELNS1_3repE0EEENS1_30default_config_static_selectorELNS0_4arch9wavefront6targetE0EEEvT1_.num_agpr, 0
	.set _ZN7rocprim17ROCPRIM_400000_NS6detail17trampoline_kernelINS0_14default_configENS1_25transform_config_selectorIjLb0EEEZNS1_14transform_implILb0ES3_S5_PjN6thrust23THRUST_200600_302600_NS6detail15normal_iteratorINS9_10device_ptrIjEEEENS0_8identityIjEEEE10hipError_tT2_T3_mT4_P12ihipStream_tbEUlT_E_NS1_11comp_targetILNS1_3genE0ELNS1_11target_archE4294967295ELNS1_3gpuE0ELNS1_3repE0EEENS1_30default_config_static_selectorELNS0_4arch9wavefront6targetE0EEEvT1_.numbered_sgpr, 0
	.set _ZN7rocprim17ROCPRIM_400000_NS6detail17trampoline_kernelINS0_14default_configENS1_25transform_config_selectorIjLb0EEEZNS1_14transform_implILb0ES3_S5_PjN6thrust23THRUST_200600_302600_NS6detail15normal_iteratorINS9_10device_ptrIjEEEENS0_8identityIjEEEE10hipError_tT2_T3_mT4_P12ihipStream_tbEUlT_E_NS1_11comp_targetILNS1_3genE0ELNS1_11target_archE4294967295ELNS1_3gpuE0ELNS1_3repE0EEENS1_30default_config_static_selectorELNS0_4arch9wavefront6targetE0EEEvT1_.num_named_barrier, 0
	.set _ZN7rocprim17ROCPRIM_400000_NS6detail17trampoline_kernelINS0_14default_configENS1_25transform_config_selectorIjLb0EEEZNS1_14transform_implILb0ES3_S5_PjN6thrust23THRUST_200600_302600_NS6detail15normal_iteratorINS9_10device_ptrIjEEEENS0_8identityIjEEEE10hipError_tT2_T3_mT4_P12ihipStream_tbEUlT_E_NS1_11comp_targetILNS1_3genE0ELNS1_11target_archE4294967295ELNS1_3gpuE0ELNS1_3repE0EEENS1_30default_config_static_selectorELNS0_4arch9wavefront6targetE0EEEvT1_.private_seg_size, 0
	.set _ZN7rocprim17ROCPRIM_400000_NS6detail17trampoline_kernelINS0_14default_configENS1_25transform_config_selectorIjLb0EEEZNS1_14transform_implILb0ES3_S5_PjN6thrust23THRUST_200600_302600_NS6detail15normal_iteratorINS9_10device_ptrIjEEEENS0_8identityIjEEEE10hipError_tT2_T3_mT4_P12ihipStream_tbEUlT_E_NS1_11comp_targetILNS1_3genE0ELNS1_11target_archE4294967295ELNS1_3gpuE0ELNS1_3repE0EEENS1_30default_config_static_selectorELNS0_4arch9wavefront6targetE0EEEvT1_.uses_vcc, 0
	.set _ZN7rocprim17ROCPRIM_400000_NS6detail17trampoline_kernelINS0_14default_configENS1_25transform_config_selectorIjLb0EEEZNS1_14transform_implILb0ES3_S5_PjN6thrust23THRUST_200600_302600_NS6detail15normal_iteratorINS9_10device_ptrIjEEEENS0_8identityIjEEEE10hipError_tT2_T3_mT4_P12ihipStream_tbEUlT_E_NS1_11comp_targetILNS1_3genE0ELNS1_11target_archE4294967295ELNS1_3gpuE0ELNS1_3repE0EEENS1_30default_config_static_selectorELNS0_4arch9wavefront6targetE0EEEvT1_.uses_flat_scratch, 0
	.set _ZN7rocprim17ROCPRIM_400000_NS6detail17trampoline_kernelINS0_14default_configENS1_25transform_config_selectorIjLb0EEEZNS1_14transform_implILb0ES3_S5_PjN6thrust23THRUST_200600_302600_NS6detail15normal_iteratorINS9_10device_ptrIjEEEENS0_8identityIjEEEE10hipError_tT2_T3_mT4_P12ihipStream_tbEUlT_E_NS1_11comp_targetILNS1_3genE0ELNS1_11target_archE4294967295ELNS1_3gpuE0ELNS1_3repE0EEENS1_30default_config_static_selectorELNS0_4arch9wavefront6targetE0EEEvT1_.has_dyn_sized_stack, 0
	.set _ZN7rocprim17ROCPRIM_400000_NS6detail17trampoline_kernelINS0_14default_configENS1_25transform_config_selectorIjLb0EEEZNS1_14transform_implILb0ES3_S5_PjN6thrust23THRUST_200600_302600_NS6detail15normal_iteratorINS9_10device_ptrIjEEEENS0_8identityIjEEEE10hipError_tT2_T3_mT4_P12ihipStream_tbEUlT_E_NS1_11comp_targetILNS1_3genE0ELNS1_11target_archE4294967295ELNS1_3gpuE0ELNS1_3repE0EEENS1_30default_config_static_selectorELNS0_4arch9wavefront6targetE0EEEvT1_.has_recursion, 0
	.set _ZN7rocprim17ROCPRIM_400000_NS6detail17trampoline_kernelINS0_14default_configENS1_25transform_config_selectorIjLb0EEEZNS1_14transform_implILb0ES3_S5_PjN6thrust23THRUST_200600_302600_NS6detail15normal_iteratorINS9_10device_ptrIjEEEENS0_8identityIjEEEE10hipError_tT2_T3_mT4_P12ihipStream_tbEUlT_E_NS1_11comp_targetILNS1_3genE0ELNS1_11target_archE4294967295ELNS1_3gpuE0ELNS1_3repE0EEENS1_30default_config_static_selectorELNS0_4arch9wavefront6targetE0EEEvT1_.has_indirect_call, 0
	.section	.AMDGPU.csdata,"",@progbits
; Kernel info:
; codeLenInByte = 0
; TotalNumSgprs: 0
; NumVgprs: 0
; ScratchSize: 0
; MemoryBound: 0
; FloatMode: 240
; IeeeMode: 1
; LDSByteSize: 0 bytes/workgroup (compile time only)
; SGPRBlocks: 0
; VGPRBlocks: 0
; NumSGPRsForWavesPerEU: 1
; NumVGPRsForWavesPerEU: 1
; Occupancy: 16
; WaveLimiterHint : 0
; COMPUTE_PGM_RSRC2:SCRATCH_EN: 0
; COMPUTE_PGM_RSRC2:USER_SGPR: 6
; COMPUTE_PGM_RSRC2:TRAP_HANDLER: 0
; COMPUTE_PGM_RSRC2:TGID_X_EN: 1
; COMPUTE_PGM_RSRC2:TGID_Y_EN: 0
; COMPUTE_PGM_RSRC2:TGID_Z_EN: 0
; COMPUTE_PGM_RSRC2:TIDIG_COMP_CNT: 0
	.section	.text._ZN7rocprim17ROCPRIM_400000_NS6detail17trampoline_kernelINS0_14default_configENS1_25transform_config_selectorIjLb0EEEZNS1_14transform_implILb0ES3_S5_PjN6thrust23THRUST_200600_302600_NS6detail15normal_iteratorINS9_10device_ptrIjEEEENS0_8identityIjEEEE10hipError_tT2_T3_mT4_P12ihipStream_tbEUlT_E_NS1_11comp_targetILNS1_3genE5ELNS1_11target_archE942ELNS1_3gpuE9ELNS1_3repE0EEENS1_30default_config_static_selectorELNS0_4arch9wavefront6targetE0EEEvT1_,"axG",@progbits,_ZN7rocprim17ROCPRIM_400000_NS6detail17trampoline_kernelINS0_14default_configENS1_25transform_config_selectorIjLb0EEEZNS1_14transform_implILb0ES3_S5_PjN6thrust23THRUST_200600_302600_NS6detail15normal_iteratorINS9_10device_ptrIjEEEENS0_8identityIjEEEE10hipError_tT2_T3_mT4_P12ihipStream_tbEUlT_E_NS1_11comp_targetILNS1_3genE5ELNS1_11target_archE942ELNS1_3gpuE9ELNS1_3repE0EEENS1_30default_config_static_selectorELNS0_4arch9wavefront6targetE0EEEvT1_,comdat
	.protected	_ZN7rocprim17ROCPRIM_400000_NS6detail17trampoline_kernelINS0_14default_configENS1_25transform_config_selectorIjLb0EEEZNS1_14transform_implILb0ES3_S5_PjN6thrust23THRUST_200600_302600_NS6detail15normal_iteratorINS9_10device_ptrIjEEEENS0_8identityIjEEEE10hipError_tT2_T3_mT4_P12ihipStream_tbEUlT_E_NS1_11comp_targetILNS1_3genE5ELNS1_11target_archE942ELNS1_3gpuE9ELNS1_3repE0EEENS1_30default_config_static_selectorELNS0_4arch9wavefront6targetE0EEEvT1_ ; -- Begin function _ZN7rocprim17ROCPRIM_400000_NS6detail17trampoline_kernelINS0_14default_configENS1_25transform_config_selectorIjLb0EEEZNS1_14transform_implILb0ES3_S5_PjN6thrust23THRUST_200600_302600_NS6detail15normal_iteratorINS9_10device_ptrIjEEEENS0_8identityIjEEEE10hipError_tT2_T3_mT4_P12ihipStream_tbEUlT_E_NS1_11comp_targetILNS1_3genE5ELNS1_11target_archE942ELNS1_3gpuE9ELNS1_3repE0EEENS1_30default_config_static_selectorELNS0_4arch9wavefront6targetE0EEEvT1_
	.globl	_ZN7rocprim17ROCPRIM_400000_NS6detail17trampoline_kernelINS0_14default_configENS1_25transform_config_selectorIjLb0EEEZNS1_14transform_implILb0ES3_S5_PjN6thrust23THRUST_200600_302600_NS6detail15normal_iteratorINS9_10device_ptrIjEEEENS0_8identityIjEEEE10hipError_tT2_T3_mT4_P12ihipStream_tbEUlT_E_NS1_11comp_targetILNS1_3genE5ELNS1_11target_archE942ELNS1_3gpuE9ELNS1_3repE0EEENS1_30default_config_static_selectorELNS0_4arch9wavefront6targetE0EEEvT1_
	.p2align	8
	.type	_ZN7rocprim17ROCPRIM_400000_NS6detail17trampoline_kernelINS0_14default_configENS1_25transform_config_selectorIjLb0EEEZNS1_14transform_implILb0ES3_S5_PjN6thrust23THRUST_200600_302600_NS6detail15normal_iteratorINS9_10device_ptrIjEEEENS0_8identityIjEEEE10hipError_tT2_T3_mT4_P12ihipStream_tbEUlT_E_NS1_11comp_targetILNS1_3genE5ELNS1_11target_archE942ELNS1_3gpuE9ELNS1_3repE0EEENS1_30default_config_static_selectorELNS0_4arch9wavefront6targetE0EEEvT1_,@function
_ZN7rocprim17ROCPRIM_400000_NS6detail17trampoline_kernelINS0_14default_configENS1_25transform_config_selectorIjLb0EEEZNS1_14transform_implILb0ES3_S5_PjN6thrust23THRUST_200600_302600_NS6detail15normal_iteratorINS9_10device_ptrIjEEEENS0_8identityIjEEEE10hipError_tT2_T3_mT4_P12ihipStream_tbEUlT_E_NS1_11comp_targetILNS1_3genE5ELNS1_11target_archE942ELNS1_3gpuE9ELNS1_3repE0EEENS1_30default_config_static_selectorELNS0_4arch9wavefront6targetE0EEEvT1_: ; @_ZN7rocprim17ROCPRIM_400000_NS6detail17trampoline_kernelINS0_14default_configENS1_25transform_config_selectorIjLb0EEEZNS1_14transform_implILb0ES3_S5_PjN6thrust23THRUST_200600_302600_NS6detail15normal_iteratorINS9_10device_ptrIjEEEENS0_8identityIjEEEE10hipError_tT2_T3_mT4_P12ihipStream_tbEUlT_E_NS1_11comp_targetILNS1_3genE5ELNS1_11target_archE942ELNS1_3gpuE9ELNS1_3repE0EEENS1_30default_config_static_selectorELNS0_4arch9wavefront6targetE0EEEvT1_
; %bb.0:
	.section	.rodata,"a",@progbits
	.p2align	6, 0x0
	.amdhsa_kernel _ZN7rocprim17ROCPRIM_400000_NS6detail17trampoline_kernelINS0_14default_configENS1_25transform_config_selectorIjLb0EEEZNS1_14transform_implILb0ES3_S5_PjN6thrust23THRUST_200600_302600_NS6detail15normal_iteratorINS9_10device_ptrIjEEEENS0_8identityIjEEEE10hipError_tT2_T3_mT4_P12ihipStream_tbEUlT_E_NS1_11comp_targetILNS1_3genE5ELNS1_11target_archE942ELNS1_3gpuE9ELNS1_3repE0EEENS1_30default_config_static_selectorELNS0_4arch9wavefront6targetE0EEEvT1_
		.amdhsa_group_segment_fixed_size 0
		.amdhsa_private_segment_fixed_size 0
		.amdhsa_kernarg_size 40
		.amdhsa_user_sgpr_count 6
		.amdhsa_user_sgpr_private_segment_buffer 1
		.amdhsa_user_sgpr_dispatch_ptr 0
		.amdhsa_user_sgpr_queue_ptr 0
		.amdhsa_user_sgpr_kernarg_segment_ptr 1
		.amdhsa_user_sgpr_dispatch_id 0
		.amdhsa_user_sgpr_flat_scratch_init 0
		.amdhsa_user_sgpr_private_segment_size 0
		.amdhsa_wavefront_size32 1
		.amdhsa_uses_dynamic_stack 0
		.amdhsa_system_sgpr_private_segment_wavefront_offset 0
		.amdhsa_system_sgpr_workgroup_id_x 1
		.amdhsa_system_sgpr_workgroup_id_y 0
		.amdhsa_system_sgpr_workgroup_id_z 0
		.amdhsa_system_sgpr_workgroup_info 0
		.amdhsa_system_vgpr_workitem_id 0
		.amdhsa_next_free_vgpr 1
		.amdhsa_next_free_sgpr 1
		.amdhsa_reserve_vcc 0
		.amdhsa_reserve_flat_scratch 0
		.amdhsa_float_round_mode_32 0
		.amdhsa_float_round_mode_16_64 0
		.amdhsa_float_denorm_mode_32 3
		.amdhsa_float_denorm_mode_16_64 3
		.amdhsa_dx10_clamp 1
		.amdhsa_ieee_mode 1
		.amdhsa_fp16_overflow 0
		.amdhsa_workgroup_processor_mode 1
		.amdhsa_memory_ordered 1
		.amdhsa_forward_progress 1
		.amdhsa_shared_vgpr_count 0
		.amdhsa_exception_fp_ieee_invalid_op 0
		.amdhsa_exception_fp_denorm_src 0
		.amdhsa_exception_fp_ieee_div_zero 0
		.amdhsa_exception_fp_ieee_overflow 0
		.amdhsa_exception_fp_ieee_underflow 0
		.amdhsa_exception_fp_ieee_inexact 0
		.amdhsa_exception_int_div_zero 0
	.end_amdhsa_kernel
	.section	.text._ZN7rocprim17ROCPRIM_400000_NS6detail17trampoline_kernelINS0_14default_configENS1_25transform_config_selectorIjLb0EEEZNS1_14transform_implILb0ES3_S5_PjN6thrust23THRUST_200600_302600_NS6detail15normal_iteratorINS9_10device_ptrIjEEEENS0_8identityIjEEEE10hipError_tT2_T3_mT4_P12ihipStream_tbEUlT_E_NS1_11comp_targetILNS1_3genE5ELNS1_11target_archE942ELNS1_3gpuE9ELNS1_3repE0EEENS1_30default_config_static_selectorELNS0_4arch9wavefront6targetE0EEEvT1_,"axG",@progbits,_ZN7rocprim17ROCPRIM_400000_NS6detail17trampoline_kernelINS0_14default_configENS1_25transform_config_selectorIjLb0EEEZNS1_14transform_implILb0ES3_S5_PjN6thrust23THRUST_200600_302600_NS6detail15normal_iteratorINS9_10device_ptrIjEEEENS0_8identityIjEEEE10hipError_tT2_T3_mT4_P12ihipStream_tbEUlT_E_NS1_11comp_targetILNS1_3genE5ELNS1_11target_archE942ELNS1_3gpuE9ELNS1_3repE0EEENS1_30default_config_static_selectorELNS0_4arch9wavefront6targetE0EEEvT1_,comdat
.Lfunc_end196:
	.size	_ZN7rocprim17ROCPRIM_400000_NS6detail17trampoline_kernelINS0_14default_configENS1_25transform_config_selectorIjLb0EEEZNS1_14transform_implILb0ES3_S5_PjN6thrust23THRUST_200600_302600_NS6detail15normal_iteratorINS9_10device_ptrIjEEEENS0_8identityIjEEEE10hipError_tT2_T3_mT4_P12ihipStream_tbEUlT_E_NS1_11comp_targetILNS1_3genE5ELNS1_11target_archE942ELNS1_3gpuE9ELNS1_3repE0EEENS1_30default_config_static_selectorELNS0_4arch9wavefront6targetE0EEEvT1_, .Lfunc_end196-_ZN7rocprim17ROCPRIM_400000_NS6detail17trampoline_kernelINS0_14default_configENS1_25transform_config_selectorIjLb0EEEZNS1_14transform_implILb0ES3_S5_PjN6thrust23THRUST_200600_302600_NS6detail15normal_iteratorINS9_10device_ptrIjEEEENS0_8identityIjEEEE10hipError_tT2_T3_mT4_P12ihipStream_tbEUlT_E_NS1_11comp_targetILNS1_3genE5ELNS1_11target_archE942ELNS1_3gpuE9ELNS1_3repE0EEENS1_30default_config_static_selectorELNS0_4arch9wavefront6targetE0EEEvT1_
                                        ; -- End function
	.set _ZN7rocprim17ROCPRIM_400000_NS6detail17trampoline_kernelINS0_14default_configENS1_25transform_config_selectorIjLb0EEEZNS1_14transform_implILb0ES3_S5_PjN6thrust23THRUST_200600_302600_NS6detail15normal_iteratorINS9_10device_ptrIjEEEENS0_8identityIjEEEE10hipError_tT2_T3_mT4_P12ihipStream_tbEUlT_E_NS1_11comp_targetILNS1_3genE5ELNS1_11target_archE942ELNS1_3gpuE9ELNS1_3repE0EEENS1_30default_config_static_selectorELNS0_4arch9wavefront6targetE0EEEvT1_.num_vgpr, 0
	.set _ZN7rocprim17ROCPRIM_400000_NS6detail17trampoline_kernelINS0_14default_configENS1_25transform_config_selectorIjLb0EEEZNS1_14transform_implILb0ES3_S5_PjN6thrust23THRUST_200600_302600_NS6detail15normal_iteratorINS9_10device_ptrIjEEEENS0_8identityIjEEEE10hipError_tT2_T3_mT4_P12ihipStream_tbEUlT_E_NS1_11comp_targetILNS1_3genE5ELNS1_11target_archE942ELNS1_3gpuE9ELNS1_3repE0EEENS1_30default_config_static_selectorELNS0_4arch9wavefront6targetE0EEEvT1_.num_agpr, 0
	.set _ZN7rocprim17ROCPRIM_400000_NS6detail17trampoline_kernelINS0_14default_configENS1_25transform_config_selectorIjLb0EEEZNS1_14transform_implILb0ES3_S5_PjN6thrust23THRUST_200600_302600_NS6detail15normal_iteratorINS9_10device_ptrIjEEEENS0_8identityIjEEEE10hipError_tT2_T3_mT4_P12ihipStream_tbEUlT_E_NS1_11comp_targetILNS1_3genE5ELNS1_11target_archE942ELNS1_3gpuE9ELNS1_3repE0EEENS1_30default_config_static_selectorELNS0_4arch9wavefront6targetE0EEEvT1_.numbered_sgpr, 0
	.set _ZN7rocprim17ROCPRIM_400000_NS6detail17trampoline_kernelINS0_14default_configENS1_25transform_config_selectorIjLb0EEEZNS1_14transform_implILb0ES3_S5_PjN6thrust23THRUST_200600_302600_NS6detail15normal_iteratorINS9_10device_ptrIjEEEENS0_8identityIjEEEE10hipError_tT2_T3_mT4_P12ihipStream_tbEUlT_E_NS1_11comp_targetILNS1_3genE5ELNS1_11target_archE942ELNS1_3gpuE9ELNS1_3repE0EEENS1_30default_config_static_selectorELNS0_4arch9wavefront6targetE0EEEvT1_.num_named_barrier, 0
	.set _ZN7rocprim17ROCPRIM_400000_NS6detail17trampoline_kernelINS0_14default_configENS1_25transform_config_selectorIjLb0EEEZNS1_14transform_implILb0ES3_S5_PjN6thrust23THRUST_200600_302600_NS6detail15normal_iteratorINS9_10device_ptrIjEEEENS0_8identityIjEEEE10hipError_tT2_T3_mT4_P12ihipStream_tbEUlT_E_NS1_11comp_targetILNS1_3genE5ELNS1_11target_archE942ELNS1_3gpuE9ELNS1_3repE0EEENS1_30default_config_static_selectorELNS0_4arch9wavefront6targetE0EEEvT1_.private_seg_size, 0
	.set _ZN7rocprim17ROCPRIM_400000_NS6detail17trampoline_kernelINS0_14default_configENS1_25transform_config_selectorIjLb0EEEZNS1_14transform_implILb0ES3_S5_PjN6thrust23THRUST_200600_302600_NS6detail15normal_iteratorINS9_10device_ptrIjEEEENS0_8identityIjEEEE10hipError_tT2_T3_mT4_P12ihipStream_tbEUlT_E_NS1_11comp_targetILNS1_3genE5ELNS1_11target_archE942ELNS1_3gpuE9ELNS1_3repE0EEENS1_30default_config_static_selectorELNS0_4arch9wavefront6targetE0EEEvT1_.uses_vcc, 0
	.set _ZN7rocprim17ROCPRIM_400000_NS6detail17trampoline_kernelINS0_14default_configENS1_25transform_config_selectorIjLb0EEEZNS1_14transform_implILb0ES3_S5_PjN6thrust23THRUST_200600_302600_NS6detail15normal_iteratorINS9_10device_ptrIjEEEENS0_8identityIjEEEE10hipError_tT2_T3_mT4_P12ihipStream_tbEUlT_E_NS1_11comp_targetILNS1_3genE5ELNS1_11target_archE942ELNS1_3gpuE9ELNS1_3repE0EEENS1_30default_config_static_selectorELNS0_4arch9wavefront6targetE0EEEvT1_.uses_flat_scratch, 0
	.set _ZN7rocprim17ROCPRIM_400000_NS6detail17trampoline_kernelINS0_14default_configENS1_25transform_config_selectorIjLb0EEEZNS1_14transform_implILb0ES3_S5_PjN6thrust23THRUST_200600_302600_NS6detail15normal_iteratorINS9_10device_ptrIjEEEENS0_8identityIjEEEE10hipError_tT2_T3_mT4_P12ihipStream_tbEUlT_E_NS1_11comp_targetILNS1_3genE5ELNS1_11target_archE942ELNS1_3gpuE9ELNS1_3repE0EEENS1_30default_config_static_selectorELNS0_4arch9wavefront6targetE0EEEvT1_.has_dyn_sized_stack, 0
	.set _ZN7rocprim17ROCPRIM_400000_NS6detail17trampoline_kernelINS0_14default_configENS1_25transform_config_selectorIjLb0EEEZNS1_14transform_implILb0ES3_S5_PjN6thrust23THRUST_200600_302600_NS6detail15normal_iteratorINS9_10device_ptrIjEEEENS0_8identityIjEEEE10hipError_tT2_T3_mT4_P12ihipStream_tbEUlT_E_NS1_11comp_targetILNS1_3genE5ELNS1_11target_archE942ELNS1_3gpuE9ELNS1_3repE0EEENS1_30default_config_static_selectorELNS0_4arch9wavefront6targetE0EEEvT1_.has_recursion, 0
	.set _ZN7rocprim17ROCPRIM_400000_NS6detail17trampoline_kernelINS0_14default_configENS1_25transform_config_selectorIjLb0EEEZNS1_14transform_implILb0ES3_S5_PjN6thrust23THRUST_200600_302600_NS6detail15normal_iteratorINS9_10device_ptrIjEEEENS0_8identityIjEEEE10hipError_tT2_T3_mT4_P12ihipStream_tbEUlT_E_NS1_11comp_targetILNS1_3genE5ELNS1_11target_archE942ELNS1_3gpuE9ELNS1_3repE0EEENS1_30default_config_static_selectorELNS0_4arch9wavefront6targetE0EEEvT1_.has_indirect_call, 0
	.section	.AMDGPU.csdata,"",@progbits
; Kernel info:
; codeLenInByte = 0
; TotalNumSgprs: 0
; NumVgprs: 0
; ScratchSize: 0
; MemoryBound: 0
; FloatMode: 240
; IeeeMode: 1
; LDSByteSize: 0 bytes/workgroup (compile time only)
; SGPRBlocks: 0
; VGPRBlocks: 0
; NumSGPRsForWavesPerEU: 1
; NumVGPRsForWavesPerEU: 1
; Occupancy: 16
; WaveLimiterHint : 0
; COMPUTE_PGM_RSRC2:SCRATCH_EN: 0
; COMPUTE_PGM_RSRC2:USER_SGPR: 6
; COMPUTE_PGM_RSRC2:TRAP_HANDLER: 0
; COMPUTE_PGM_RSRC2:TGID_X_EN: 1
; COMPUTE_PGM_RSRC2:TGID_Y_EN: 0
; COMPUTE_PGM_RSRC2:TGID_Z_EN: 0
; COMPUTE_PGM_RSRC2:TIDIG_COMP_CNT: 0
	.section	.text._ZN7rocprim17ROCPRIM_400000_NS6detail17trampoline_kernelINS0_14default_configENS1_25transform_config_selectorIjLb0EEEZNS1_14transform_implILb0ES3_S5_PjN6thrust23THRUST_200600_302600_NS6detail15normal_iteratorINS9_10device_ptrIjEEEENS0_8identityIjEEEE10hipError_tT2_T3_mT4_P12ihipStream_tbEUlT_E_NS1_11comp_targetILNS1_3genE4ELNS1_11target_archE910ELNS1_3gpuE8ELNS1_3repE0EEENS1_30default_config_static_selectorELNS0_4arch9wavefront6targetE0EEEvT1_,"axG",@progbits,_ZN7rocprim17ROCPRIM_400000_NS6detail17trampoline_kernelINS0_14default_configENS1_25transform_config_selectorIjLb0EEEZNS1_14transform_implILb0ES3_S5_PjN6thrust23THRUST_200600_302600_NS6detail15normal_iteratorINS9_10device_ptrIjEEEENS0_8identityIjEEEE10hipError_tT2_T3_mT4_P12ihipStream_tbEUlT_E_NS1_11comp_targetILNS1_3genE4ELNS1_11target_archE910ELNS1_3gpuE8ELNS1_3repE0EEENS1_30default_config_static_selectorELNS0_4arch9wavefront6targetE0EEEvT1_,comdat
	.protected	_ZN7rocprim17ROCPRIM_400000_NS6detail17trampoline_kernelINS0_14default_configENS1_25transform_config_selectorIjLb0EEEZNS1_14transform_implILb0ES3_S5_PjN6thrust23THRUST_200600_302600_NS6detail15normal_iteratorINS9_10device_ptrIjEEEENS0_8identityIjEEEE10hipError_tT2_T3_mT4_P12ihipStream_tbEUlT_E_NS1_11comp_targetILNS1_3genE4ELNS1_11target_archE910ELNS1_3gpuE8ELNS1_3repE0EEENS1_30default_config_static_selectorELNS0_4arch9wavefront6targetE0EEEvT1_ ; -- Begin function _ZN7rocprim17ROCPRIM_400000_NS6detail17trampoline_kernelINS0_14default_configENS1_25transform_config_selectorIjLb0EEEZNS1_14transform_implILb0ES3_S5_PjN6thrust23THRUST_200600_302600_NS6detail15normal_iteratorINS9_10device_ptrIjEEEENS0_8identityIjEEEE10hipError_tT2_T3_mT4_P12ihipStream_tbEUlT_E_NS1_11comp_targetILNS1_3genE4ELNS1_11target_archE910ELNS1_3gpuE8ELNS1_3repE0EEENS1_30default_config_static_selectorELNS0_4arch9wavefront6targetE0EEEvT1_
	.globl	_ZN7rocprim17ROCPRIM_400000_NS6detail17trampoline_kernelINS0_14default_configENS1_25transform_config_selectorIjLb0EEEZNS1_14transform_implILb0ES3_S5_PjN6thrust23THRUST_200600_302600_NS6detail15normal_iteratorINS9_10device_ptrIjEEEENS0_8identityIjEEEE10hipError_tT2_T3_mT4_P12ihipStream_tbEUlT_E_NS1_11comp_targetILNS1_3genE4ELNS1_11target_archE910ELNS1_3gpuE8ELNS1_3repE0EEENS1_30default_config_static_selectorELNS0_4arch9wavefront6targetE0EEEvT1_
	.p2align	8
	.type	_ZN7rocprim17ROCPRIM_400000_NS6detail17trampoline_kernelINS0_14default_configENS1_25transform_config_selectorIjLb0EEEZNS1_14transform_implILb0ES3_S5_PjN6thrust23THRUST_200600_302600_NS6detail15normal_iteratorINS9_10device_ptrIjEEEENS0_8identityIjEEEE10hipError_tT2_T3_mT4_P12ihipStream_tbEUlT_E_NS1_11comp_targetILNS1_3genE4ELNS1_11target_archE910ELNS1_3gpuE8ELNS1_3repE0EEENS1_30default_config_static_selectorELNS0_4arch9wavefront6targetE0EEEvT1_,@function
_ZN7rocprim17ROCPRIM_400000_NS6detail17trampoline_kernelINS0_14default_configENS1_25transform_config_selectorIjLb0EEEZNS1_14transform_implILb0ES3_S5_PjN6thrust23THRUST_200600_302600_NS6detail15normal_iteratorINS9_10device_ptrIjEEEENS0_8identityIjEEEE10hipError_tT2_T3_mT4_P12ihipStream_tbEUlT_E_NS1_11comp_targetILNS1_3genE4ELNS1_11target_archE910ELNS1_3gpuE8ELNS1_3repE0EEENS1_30default_config_static_selectorELNS0_4arch9wavefront6targetE0EEEvT1_: ; @_ZN7rocprim17ROCPRIM_400000_NS6detail17trampoline_kernelINS0_14default_configENS1_25transform_config_selectorIjLb0EEEZNS1_14transform_implILb0ES3_S5_PjN6thrust23THRUST_200600_302600_NS6detail15normal_iteratorINS9_10device_ptrIjEEEENS0_8identityIjEEEE10hipError_tT2_T3_mT4_P12ihipStream_tbEUlT_E_NS1_11comp_targetILNS1_3genE4ELNS1_11target_archE910ELNS1_3gpuE8ELNS1_3repE0EEENS1_30default_config_static_selectorELNS0_4arch9wavefront6targetE0EEEvT1_
; %bb.0:
	.section	.rodata,"a",@progbits
	.p2align	6, 0x0
	.amdhsa_kernel _ZN7rocprim17ROCPRIM_400000_NS6detail17trampoline_kernelINS0_14default_configENS1_25transform_config_selectorIjLb0EEEZNS1_14transform_implILb0ES3_S5_PjN6thrust23THRUST_200600_302600_NS6detail15normal_iteratorINS9_10device_ptrIjEEEENS0_8identityIjEEEE10hipError_tT2_T3_mT4_P12ihipStream_tbEUlT_E_NS1_11comp_targetILNS1_3genE4ELNS1_11target_archE910ELNS1_3gpuE8ELNS1_3repE0EEENS1_30default_config_static_selectorELNS0_4arch9wavefront6targetE0EEEvT1_
		.amdhsa_group_segment_fixed_size 0
		.amdhsa_private_segment_fixed_size 0
		.amdhsa_kernarg_size 40
		.amdhsa_user_sgpr_count 6
		.amdhsa_user_sgpr_private_segment_buffer 1
		.amdhsa_user_sgpr_dispatch_ptr 0
		.amdhsa_user_sgpr_queue_ptr 0
		.amdhsa_user_sgpr_kernarg_segment_ptr 1
		.amdhsa_user_sgpr_dispatch_id 0
		.amdhsa_user_sgpr_flat_scratch_init 0
		.amdhsa_user_sgpr_private_segment_size 0
		.amdhsa_wavefront_size32 1
		.amdhsa_uses_dynamic_stack 0
		.amdhsa_system_sgpr_private_segment_wavefront_offset 0
		.amdhsa_system_sgpr_workgroup_id_x 1
		.amdhsa_system_sgpr_workgroup_id_y 0
		.amdhsa_system_sgpr_workgroup_id_z 0
		.amdhsa_system_sgpr_workgroup_info 0
		.amdhsa_system_vgpr_workitem_id 0
		.amdhsa_next_free_vgpr 1
		.amdhsa_next_free_sgpr 1
		.amdhsa_reserve_vcc 0
		.amdhsa_reserve_flat_scratch 0
		.amdhsa_float_round_mode_32 0
		.amdhsa_float_round_mode_16_64 0
		.amdhsa_float_denorm_mode_32 3
		.amdhsa_float_denorm_mode_16_64 3
		.amdhsa_dx10_clamp 1
		.amdhsa_ieee_mode 1
		.amdhsa_fp16_overflow 0
		.amdhsa_workgroup_processor_mode 1
		.amdhsa_memory_ordered 1
		.amdhsa_forward_progress 1
		.amdhsa_shared_vgpr_count 0
		.amdhsa_exception_fp_ieee_invalid_op 0
		.amdhsa_exception_fp_denorm_src 0
		.amdhsa_exception_fp_ieee_div_zero 0
		.amdhsa_exception_fp_ieee_overflow 0
		.amdhsa_exception_fp_ieee_underflow 0
		.amdhsa_exception_fp_ieee_inexact 0
		.amdhsa_exception_int_div_zero 0
	.end_amdhsa_kernel
	.section	.text._ZN7rocprim17ROCPRIM_400000_NS6detail17trampoline_kernelINS0_14default_configENS1_25transform_config_selectorIjLb0EEEZNS1_14transform_implILb0ES3_S5_PjN6thrust23THRUST_200600_302600_NS6detail15normal_iteratorINS9_10device_ptrIjEEEENS0_8identityIjEEEE10hipError_tT2_T3_mT4_P12ihipStream_tbEUlT_E_NS1_11comp_targetILNS1_3genE4ELNS1_11target_archE910ELNS1_3gpuE8ELNS1_3repE0EEENS1_30default_config_static_selectorELNS0_4arch9wavefront6targetE0EEEvT1_,"axG",@progbits,_ZN7rocprim17ROCPRIM_400000_NS6detail17trampoline_kernelINS0_14default_configENS1_25transform_config_selectorIjLb0EEEZNS1_14transform_implILb0ES3_S5_PjN6thrust23THRUST_200600_302600_NS6detail15normal_iteratorINS9_10device_ptrIjEEEENS0_8identityIjEEEE10hipError_tT2_T3_mT4_P12ihipStream_tbEUlT_E_NS1_11comp_targetILNS1_3genE4ELNS1_11target_archE910ELNS1_3gpuE8ELNS1_3repE0EEENS1_30default_config_static_selectorELNS0_4arch9wavefront6targetE0EEEvT1_,comdat
.Lfunc_end197:
	.size	_ZN7rocprim17ROCPRIM_400000_NS6detail17trampoline_kernelINS0_14default_configENS1_25transform_config_selectorIjLb0EEEZNS1_14transform_implILb0ES3_S5_PjN6thrust23THRUST_200600_302600_NS6detail15normal_iteratorINS9_10device_ptrIjEEEENS0_8identityIjEEEE10hipError_tT2_T3_mT4_P12ihipStream_tbEUlT_E_NS1_11comp_targetILNS1_3genE4ELNS1_11target_archE910ELNS1_3gpuE8ELNS1_3repE0EEENS1_30default_config_static_selectorELNS0_4arch9wavefront6targetE0EEEvT1_, .Lfunc_end197-_ZN7rocprim17ROCPRIM_400000_NS6detail17trampoline_kernelINS0_14default_configENS1_25transform_config_selectorIjLb0EEEZNS1_14transform_implILb0ES3_S5_PjN6thrust23THRUST_200600_302600_NS6detail15normal_iteratorINS9_10device_ptrIjEEEENS0_8identityIjEEEE10hipError_tT2_T3_mT4_P12ihipStream_tbEUlT_E_NS1_11comp_targetILNS1_3genE4ELNS1_11target_archE910ELNS1_3gpuE8ELNS1_3repE0EEENS1_30default_config_static_selectorELNS0_4arch9wavefront6targetE0EEEvT1_
                                        ; -- End function
	.set _ZN7rocprim17ROCPRIM_400000_NS6detail17trampoline_kernelINS0_14default_configENS1_25transform_config_selectorIjLb0EEEZNS1_14transform_implILb0ES3_S5_PjN6thrust23THRUST_200600_302600_NS6detail15normal_iteratorINS9_10device_ptrIjEEEENS0_8identityIjEEEE10hipError_tT2_T3_mT4_P12ihipStream_tbEUlT_E_NS1_11comp_targetILNS1_3genE4ELNS1_11target_archE910ELNS1_3gpuE8ELNS1_3repE0EEENS1_30default_config_static_selectorELNS0_4arch9wavefront6targetE0EEEvT1_.num_vgpr, 0
	.set _ZN7rocprim17ROCPRIM_400000_NS6detail17trampoline_kernelINS0_14default_configENS1_25transform_config_selectorIjLb0EEEZNS1_14transform_implILb0ES3_S5_PjN6thrust23THRUST_200600_302600_NS6detail15normal_iteratorINS9_10device_ptrIjEEEENS0_8identityIjEEEE10hipError_tT2_T3_mT4_P12ihipStream_tbEUlT_E_NS1_11comp_targetILNS1_3genE4ELNS1_11target_archE910ELNS1_3gpuE8ELNS1_3repE0EEENS1_30default_config_static_selectorELNS0_4arch9wavefront6targetE0EEEvT1_.num_agpr, 0
	.set _ZN7rocprim17ROCPRIM_400000_NS6detail17trampoline_kernelINS0_14default_configENS1_25transform_config_selectorIjLb0EEEZNS1_14transform_implILb0ES3_S5_PjN6thrust23THRUST_200600_302600_NS6detail15normal_iteratorINS9_10device_ptrIjEEEENS0_8identityIjEEEE10hipError_tT2_T3_mT4_P12ihipStream_tbEUlT_E_NS1_11comp_targetILNS1_3genE4ELNS1_11target_archE910ELNS1_3gpuE8ELNS1_3repE0EEENS1_30default_config_static_selectorELNS0_4arch9wavefront6targetE0EEEvT1_.numbered_sgpr, 0
	.set _ZN7rocprim17ROCPRIM_400000_NS6detail17trampoline_kernelINS0_14default_configENS1_25transform_config_selectorIjLb0EEEZNS1_14transform_implILb0ES3_S5_PjN6thrust23THRUST_200600_302600_NS6detail15normal_iteratorINS9_10device_ptrIjEEEENS0_8identityIjEEEE10hipError_tT2_T3_mT4_P12ihipStream_tbEUlT_E_NS1_11comp_targetILNS1_3genE4ELNS1_11target_archE910ELNS1_3gpuE8ELNS1_3repE0EEENS1_30default_config_static_selectorELNS0_4arch9wavefront6targetE0EEEvT1_.num_named_barrier, 0
	.set _ZN7rocprim17ROCPRIM_400000_NS6detail17trampoline_kernelINS0_14default_configENS1_25transform_config_selectorIjLb0EEEZNS1_14transform_implILb0ES3_S5_PjN6thrust23THRUST_200600_302600_NS6detail15normal_iteratorINS9_10device_ptrIjEEEENS0_8identityIjEEEE10hipError_tT2_T3_mT4_P12ihipStream_tbEUlT_E_NS1_11comp_targetILNS1_3genE4ELNS1_11target_archE910ELNS1_3gpuE8ELNS1_3repE0EEENS1_30default_config_static_selectorELNS0_4arch9wavefront6targetE0EEEvT1_.private_seg_size, 0
	.set _ZN7rocprim17ROCPRIM_400000_NS6detail17trampoline_kernelINS0_14default_configENS1_25transform_config_selectorIjLb0EEEZNS1_14transform_implILb0ES3_S5_PjN6thrust23THRUST_200600_302600_NS6detail15normal_iteratorINS9_10device_ptrIjEEEENS0_8identityIjEEEE10hipError_tT2_T3_mT4_P12ihipStream_tbEUlT_E_NS1_11comp_targetILNS1_3genE4ELNS1_11target_archE910ELNS1_3gpuE8ELNS1_3repE0EEENS1_30default_config_static_selectorELNS0_4arch9wavefront6targetE0EEEvT1_.uses_vcc, 0
	.set _ZN7rocprim17ROCPRIM_400000_NS6detail17trampoline_kernelINS0_14default_configENS1_25transform_config_selectorIjLb0EEEZNS1_14transform_implILb0ES3_S5_PjN6thrust23THRUST_200600_302600_NS6detail15normal_iteratorINS9_10device_ptrIjEEEENS0_8identityIjEEEE10hipError_tT2_T3_mT4_P12ihipStream_tbEUlT_E_NS1_11comp_targetILNS1_3genE4ELNS1_11target_archE910ELNS1_3gpuE8ELNS1_3repE0EEENS1_30default_config_static_selectorELNS0_4arch9wavefront6targetE0EEEvT1_.uses_flat_scratch, 0
	.set _ZN7rocprim17ROCPRIM_400000_NS6detail17trampoline_kernelINS0_14default_configENS1_25transform_config_selectorIjLb0EEEZNS1_14transform_implILb0ES3_S5_PjN6thrust23THRUST_200600_302600_NS6detail15normal_iteratorINS9_10device_ptrIjEEEENS0_8identityIjEEEE10hipError_tT2_T3_mT4_P12ihipStream_tbEUlT_E_NS1_11comp_targetILNS1_3genE4ELNS1_11target_archE910ELNS1_3gpuE8ELNS1_3repE0EEENS1_30default_config_static_selectorELNS0_4arch9wavefront6targetE0EEEvT1_.has_dyn_sized_stack, 0
	.set _ZN7rocprim17ROCPRIM_400000_NS6detail17trampoline_kernelINS0_14default_configENS1_25transform_config_selectorIjLb0EEEZNS1_14transform_implILb0ES3_S5_PjN6thrust23THRUST_200600_302600_NS6detail15normal_iteratorINS9_10device_ptrIjEEEENS0_8identityIjEEEE10hipError_tT2_T3_mT4_P12ihipStream_tbEUlT_E_NS1_11comp_targetILNS1_3genE4ELNS1_11target_archE910ELNS1_3gpuE8ELNS1_3repE0EEENS1_30default_config_static_selectorELNS0_4arch9wavefront6targetE0EEEvT1_.has_recursion, 0
	.set _ZN7rocprim17ROCPRIM_400000_NS6detail17trampoline_kernelINS0_14default_configENS1_25transform_config_selectorIjLb0EEEZNS1_14transform_implILb0ES3_S5_PjN6thrust23THRUST_200600_302600_NS6detail15normal_iteratorINS9_10device_ptrIjEEEENS0_8identityIjEEEE10hipError_tT2_T3_mT4_P12ihipStream_tbEUlT_E_NS1_11comp_targetILNS1_3genE4ELNS1_11target_archE910ELNS1_3gpuE8ELNS1_3repE0EEENS1_30default_config_static_selectorELNS0_4arch9wavefront6targetE0EEEvT1_.has_indirect_call, 0
	.section	.AMDGPU.csdata,"",@progbits
; Kernel info:
; codeLenInByte = 0
; TotalNumSgprs: 0
; NumVgprs: 0
; ScratchSize: 0
; MemoryBound: 0
; FloatMode: 240
; IeeeMode: 1
; LDSByteSize: 0 bytes/workgroup (compile time only)
; SGPRBlocks: 0
; VGPRBlocks: 0
; NumSGPRsForWavesPerEU: 1
; NumVGPRsForWavesPerEU: 1
; Occupancy: 16
; WaveLimiterHint : 0
; COMPUTE_PGM_RSRC2:SCRATCH_EN: 0
; COMPUTE_PGM_RSRC2:USER_SGPR: 6
; COMPUTE_PGM_RSRC2:TRAP_HANDLER: 0
; COMPUTE_PGM_RSRC2:TGID_X_EN: 1
; COMPUTE_PGM_RSRC2:TGID_Y_EN: 0
; COMPUTE_PGM_RSRC2:TGID_Z_EN: 0
; COMPUTE_PGM_RSRC2:TIDIG_COMP_CNT: 0
	.section	.text._ZN7rocprim17ROCPRIM_400000_NS6detail17trampoline_kernelINS0_14default_configENS1_25transform_config_selectorIjLb0EEEZNS1_14transform_implILb0ES3_S5_PjN6thrust23THRUST_200600_302600_NS6detail15normal_iteratorINS9_10device_ptrIjEEEENS0_8identityIjEEEE10hipError_tT2_T3_mT4_P12ihipStream_tbEUlT_E_NS1_11comp_targetILNS1_3genE3ELNS1_11target_archE908ELNS1_3gpuE7ELNS1_3repE0EEENS1_30default_config_static_selectorELNS0_4arch9wavefront6targetE0EEEvT1_,"axG",@progbits,_ZN7rocprim17ROCPRIM_400000_NS6detail17trampoline_kernelINS0_14default_configENS1_25transform_config_selectorIjLb0EEEZNS1_14transform_implILb0ES3_S5_PjN6thrust23THRUST_200600_302600_NS6detail15normal_iteratorINS9_10device_ptrIjEEEENS0_8identityIjEEEE10hipError_tT2_T3_mT4_P12ihipStream_tbEUlT_E_NS1_11comp_targetILNS1_3genE3ELNS1_11target_archE908ELNS1_3gpuE7ELNS1_3repE0EEENS1_30default_config_static_selectorELNS0_4arch9wavefront6targetE0EEEvT1_,comdat
	.protected	_ZN7rocprim17ROCPRIM_400000_NS6detail17trampoline_kernelINS0_14default_configENS1_25transform_config_selectorIjLb0EEEZNS1_14transform_implILb0ES3_S5_PjN6thrust23THRUST_200600_302600_NS6detail15normal_iteratorINS9_10device_ptrIjEEEENS0_8identityIjEEEE10hipError_tT2_T3_mT4_P12ihipStream_tbEUlT_E_NS1_11comp_targetILNS1_3genE3ELNS1_11target_archE908ELNS1_3gpuE7ELNS1_3repE0EEENS1_30default_config_static_selectorELNS0_4arch9wavefront6targetE0EEEvT1_ ; -- Begin function _ZN7rocprim17ROCPRIM_400000_NS6detail17trampoline_kernelINS0_14default_configENS1_25transform_config_selectorIjLb0EEEZNS1_14transform_implILb0ES3_S5_PjN6thrust23THRUST_200600_302600_NS6detail15normal_iteratorINS9_10device_ptrIjEEEENS0_8identityIjEEEE10hipError_tT2_T3_mT4_P12ihipStream_tbEUlT_E_NS1_11comp_targetILNS1_3genE3ELNS1_11target_archE908ELNS1_3gpuE7ELNS1_3repE0EEENS1_30default_config_static_selectorELNS0_4arch9wavefront6targetE0EEEvT1_
	.globl	_ZN7rocprim17ROCPRIM_400000_NS6detail17trampoline_kernelINS0_14default_configENS1_25transform_config_selectorIjLb0EEEZNS1_14transform_implILb0ES3_S5_PjN6thrust23THRUST_200600_302600_NS6detail15normal_iteratorINS9_10device_ptrIjEEEENS0_8identityIjEEEE10hipError_tT2_T3_mT4_P12ihipStream_tbEUlT_E_NS1_11comp_targetILNS1_3genE3ELNS1_11target_archE908ELNS1_3gpuE7ELNS1_3repE0EEENS1_30default_config_static_selectorELNS0_4arch9wavefront6targetE0EEEvT1_
	.p2align	8
	.type	_ZN7rocprim17ROCPRIM_400000_NS6detail17trampoline_kernelINS0_14default_configENS1_25transform_config_selectorIjLb0EEEZNS1_14transform_implILb0ES3_S5_PjN6thrust23THRUST_200600_302600_NS6detail15normal_iteratorINS9_10device_ptrIjEEEENS0_8identityIjEEEE10hipError_tT2_T3_mT4_P12ihipStream_tbEUlT_E_NS1_11comp_targetILNS1_3genE3ELNS1_11target_archE908ELNS1_3gpuE7ELNS1_3repE0EEENS1_30default_config_static_selectorELNS0_4arch9wavefront6targetE0EEEvT1_,@function
_ZN7rocprim17ROCPRIM_400000_NS6detail17trampoline_kernelINS0_14default_configENS1_25transform_config_selectorIjLb0EEEZNS1_14transform_implILb0ES3_S5_PjN6thrust23THRUST_200600_302600_NS6detail15normal_iteratorINS9_10device_ptrIjEEEENS0_8identityIjEEEE10hipError_tT2_T3_mT4_P12ihipStream_tbEUlT_E_NS1_11comp_targetILNS1_3genE3ELNS1_11target_archE908ELNS1_3gpuE7ELNS1_3repE0EEENS1_30default_config_static_selectorELNS0_4arch9wavefront6targetE0EEEvT1_: ; @_ZN7rocprim17ROCPRIM_400000_NS6detail17trampoline_kernelINS0_14default_configENS1_25transform_config_selectorIjLb0EEEZNS1_14transform_implILb0ES3_S5_PjN6thrust23THRUST_200600_302600_NS6detail15normal_iteratorINS9_10device_ptrIjEEEENS0_8identityIjEEEE10hipError_tT2_T3_mT4_P12ihipStream_tbEUlT_E_NS1_11comp_targetILNS1_3genE3ELNS1_11target_archE908ELNS1_3gpuE7ELNS1_3repE0EEENS1_30default_config_static_selectorELNS0_4arch9wavefront6targetE0EEEvT1_
; %bb.0:
	.section	.rodata,"a",@progbits
	.p2align	6, 0x0
	.amdhsa_kernel _ZN7rocprim17ROCPRIM_400000_NS6detail17trampoline_kernelINS0_14default_configENS1_25transform_config_selectorIjLb0EEEZNS1_14transform_implILb0ES3_S5_PjN6thrust23THRUST_200600_302600_NS6detail15normal_iteratorINS9_10device_ptrIjEEEENS0_8identityIjEEEE10hipError_tT2_T3_mT4_P12ihipStream_tbEUlT_E_NS1_11comp_targetILNS1_3genE3ELNS1_11target_archE908ELNS1_3gpuE7ELNS1_3repE0EEENS1_30default_config_static_selectorELNS0_4arch9wavefront6targetE0EEEvT1_
		.amdhsa_group_segment_fixed_size 0
		.amdhsa_private_segment_fixed_size 0
		.amdhsa_kernarg_size 40
		.amdhsa_user_sgpr_count 6
		.amdhsa_user_sgpr_private_segment_buffer 1
		.amdhsa_user_sgpr_dispatch_ptr 0
		.amdhsa_user_sgpr_queue_ptr 0
		.amdhsa_user_sgpr_kernarg_segment_ptr 1
		.amdhsa_user_sgpr_dispatch_id 0
		.amdhsa_user_sgpr_flat_scratch_init 0
		.amdhsa_user_sgpr_private_segment_size 0
		.amdhsa_wavefront_size32 1
		.amdhsa_uses_dynamic_stack 0
		.amdhsa_system_sgpr_private_segment_wavefront_offset 0
		.amdhsa_system_sgpr_workgroup_id_x 1
		.amdhsa_system_sgpr_workgroup_id_y 0
		.amdhsa_system_sgpr_workgroup_id_z 0
		.amdhsa_system_sgpr_workgroup_info 0
		.amdhsa_system_vgpr_workitem_id 0
		.amdhsa_next_free_vgpr 1
		.amdhsa_next_free_sgpr 1
		.amdhsa_reserve_vcc 0
		.amdhsa_reserve_flat_scratch 0
		.amdhsa_float_round_mode_32 0
		.amdhsa_float_round_mode_16_64 0
		.amdhsa_float_denorm_mode_32 3
		.amdhsa_float_denorm_mode_16_64 3
		.amdhsa_dx10_clamp 1
		.amdhsa_ieee_mode 1
		.amdhsa_fp16_overflow 0
		.amdhsa_workgroup_processor_mode 1
		.amdhsa_memory_ordered 1
		.amdhsa_forward_progress 1
		.amdhsa_shared_vgpr_count 0
		.amdhsa_exception_fp_ieee_invalid_op 0
		.amdhsa_exception_fp_denorm_src 0
		.amdhsa_exception_fp_ieee_div_zero 0
		.amdhsa_exception_fp_ieee_overflow 0
		.amdhsa_exception_fp_ieee_underflow 0
		.amdhsa_exception_fp_ieee_inexact 0
		.amdhsa_exception_int_div_zero 0
	.end_amdhsa_kernel
	.section	.text._ZN7rocprim17ROCPRIM_400000_NS6detail17trampoline_kernelINS0_14default_configENS1_25transform_config_selectorIjLb0EEEZNS1_14transform_implILb0ES3_S5_PjN6thrust23THRUST_200600_302600_NS6detail15normal_iteratorINS9_10device_ptrIjEEEENS0_8identityIjEEEE10hipError_tT2_T3_mT4_P12ihipStream_tbEUlT_E_NS1_11comp_targetILNS1_3genE3ELNS1_11target_archE908ELNS1_3gpuE7ELNS1_3repE0EEENS1_30default_config_static_selectorELNS0_4arch9wavefront6targetE0EEEvT1_,"axG",@progbits,_ZN7rocprim17ROCPRIM_400000_NS6detail17trampoline_kernelINS0_14default_configENS1_25transform_config_selectorIjLb0EEEZNS1_14transform_implILb0ES3_S5_PjN6thrust23THRUST_200600_302600_NS6detail15normal_iteratorINS9_10device_ptrIjEEEENS0_8identityIjEEEE10hipError_tT2_T3_mT4_P12ihipStream_tbEUlT_E_NS1_11comp_targetILNS1_3genE3ELNS1_11target_archE908ELNS1_3gpuE7ELNS1_3repE0EEENS1_30default_config_static_selectorELNS0_4arch9wavefront6targetE0EEEvT1_,comdat
.Lfunc_end198:
	.size	_ZN7rocprim17ROCPRIM_400000_NS6detail17trampoline_kernelINS0_14default_configENS1_25transform_config_selectorIjLb0EEEZNS1_14transform_implILb0ES3_S5_PjN6thrust23THRUST_200600_302600_NS6detail15normal_iteratorINS9_10device_ptrIjEEEENS0_8identityIjEEEE10hipError_tT2_T3_mT4_P12ihipStream_tbEUlT_E_NS1_11comp_targetILNS1_3genE3ELNS1_11target_archE908ELNS1_3gpuE7ELNS1_3repE0EEENS1_30default_config_static_selectorELNS0_4arch9wavefront6targetE0EEEvT1_, .Lfunc_end198-_ZN7rocprim17ROCPRIM_400000_NS6detail17trampoline_kernelINS0_14default_configENS1_25transform_config_selectorIjLb0EEEZNS1_14transform_implILb0ES3_S5_PjN6thrust23THRUST_200600_302600_NS6detail15normal_iteratorINS9_10device_ptrIjEEEENS0_8identityIjEEEE10hipError_tT2_T3_mT4_P12ihipStream_tbEUlT_E_NS1_11comp_targetILNS1_3genE3ELNS1_11target_archE908ELNS1_3gpuE7ELNS1_3repE0EEENS1_30default_config_static_selectorELNS0_4arch9wavefront6targetE0EEEvT1_
                                        ; -- End function
	.set _ZN7rocprim17ROCPRIM_400000_NS6detail17trampoline_kernelINS0_14default_configENS1_25transform_config_selectorIjLb0EEEZNS1_14transform_implILb0ES3_S5_PjN6thrust23THRUST_200600_302600_NS6detail15normal_iteratorINS9_10device_ptrIjEEEENS0_8identityIjEEEE10hipError_tT2_T3_mT4_P12ihipStream_tbEUlT_E_NS1_11comp_targetILNS1_3genE3ELNS1_11target_archE908ELNS1_3gpuE7ELNS1_3repE0EEENS1_30default_config_static_selectorELNS0_4arch9wavefront6targetE0EEEvT1_.num_vgpr, 0
	.set _ZN7rocprim17ROCPRIM_400000_NS6detail17trampoline_kernelINS0_14default_configENS1_25transform_config_selectorIjLb0EEEZNS1_14transform_implILb0ES3_S5_PjN6thrust23THRUST_200600_302600_NS6detail15normal_iteratorINS9_10device_ptrIjEEEENS0_8identityIjEEEE10hipError_tT2_T3_mT4_P12ihipStream_tbEUlT_E_NS1_11comp_targetILNS1_3genE3ELNS1_11target_archE908ELNS1_3gpuE7ELNS1_3repE0EEENS1_30default_config_static_selectorELNS0_4arch9wavefront6targetE0EEEvT1_.num_agpr, 0
	.set _ZN7rocprim17ROCPRIM_400000_NS6detail17trampoline_kernelINS0_14default_configENS1_25transform_config_selectorIjLb0EEEZNS1_14transform_implILb0ES3_S5_PjN6thrust23THRUST_200600_302600_NS6detail15normal_iteratorINS9_10device_ptrIjEEEENS0_8identityIjEEEE10hipError_tT2_T3_mT4_P12ihipStream_tbEUlT_E_NS1_11comp_targetILNS1_3genE3ELNS1_11target_archE908ELNS1_3gpuE7ELNS1_3repE0EEENS1_30default_config_static_selectorELNS0_4arch9wavefront6targetE0EEEvT1_.numbered_sgpr, 0
	.set _ZN7rocprim17ROCPRIM_400000_NS6detail17trampoline_kernelINS0_14default_configENS1_25transform_config_selectorIjLb0EEEZNS1_14transform_implILb0ES3_S5_PjN6thrust23THRUST_200600_302600_NS6detail15normal_iteratorINS9_10device_ptrIjEEEENS0_8identityIjEEEE10hipError_tT2_T3_mT4_P12ihipStream_tbEUlT_E_NS1_11comp_targetILNS1_3genE3ELNS1_11target_archE908ELNS1_3gpuE7ELNS1_3repE0EEENS1_30default_config_static_selectorELNS0_4arch9wavefront6targetE0EEEvT1_.num_named_barrier, 0
	.set _ZN7rocprim17ROCPRIM_400000_NS6detail17trampoline_kernelINS0_14default_configENS1_25transform_config_selectorIjLb0EEEZNS1_14transform_implILb0ES3_S5_PjN6thrust23THRUST_200600_302600_NS6detail15normal_iteratorINS9_10device_ptrIjEEEENS0_8identityIjEEEE10hipError_tT2_T3_mT4_P12ihipStream_tbEUlT_E_NS1_11comp_targetILNS1_3genE3ELNS1_11target_archE908ELNS1_3gpuE7ELNS1_3repE0EEENS1_30default_config_static_selectorELNS0_4arch9wavefront6targetE0EEEvT1_.private_seg_size, 0
	.set _ZN7rocprim17ROCPRIM_400000_NS6detail17trampoline_kernelINS0_14default_configENS1_25transform_config_selectorIjLb0EEEZNS1_14transform_implILb0ES3_S5_PjN6thrust23THRUST_200600_302600_NS6detail15normal_iteratorINS9_10device_ptrIjEEEENS0_8identityIjEEEE10hipError_tT2_T3_mT4_P12ihipStream_tbEUlT_E_NS1_11comp_targetILNS1_3genE3ELNS1_11target_archE908ELNS1_3gpuE7ELNS1_3repE0EEENS1_30default_config_static_selectorELNS0_4arch9wavefront6targetE0EEEvT1_.uses_vcc, 0
	.set _ZN7rocprim17ROCPRIM_400000_NS6detail17trampoline_kernelINS0_14default_configENS1_25transform_config_selectorIjLb0EEEZNS1_14transform_implILb0ES3_S5_PjN6thrust23THRUST_200600_302600_NS6detail15normal_iteratorINS9_10device_ptrIjEEEENS0_8identityIjEEEE10hipError_tT2_T3_mT4_P12ihipStream_tbEUlT_E_NS1_11comp_targetILNS1_3genE3ELNS1_11target_archE908ELNS1_3gpuE7ELNS1_3repE0EEENS1_30default_config_static_selectorELNS0_4arch9wavefront6targetE0EEEvT1_.uses_flat_scratch, 0
	.set _ZN7rocprim17ROCPRIM_400000_NS6detail17trampoline_kernelINS0_14default_configENS1_25transform_config_selectorIjLb0EEEZNS1_14transform_implILb0ES3_S5_PjN6thrust23THRUST_200600_302600_NS6detail15normal_iteratorINS9_10device_ptrIjEEEENS0_8identityIjEEEE10hipError_tT2_T3_mT4_P12ihipStream_tbEUlT_E_NS1_11comp_targetILNS1_3genE3ELNS1_11target_archE908ELNS1_3gpuE7ELNS1_3repE0EEENS1_30default_config_static_selectorELNS0_4arch9wavefront6targetE0EEEvT1_.has_dyn_sized_stack, 0
	.set _ZN7rocprim17ROCPRIM_400000_NS6detail17trampoline_kernelINS0_14default_configENS1_25transform_config_selectorIjLb0EEEZNS1_14transform_implILb0ES3_S5_PjN6thrust23THRUST_200600_302600_NS6detail15normal_iteratorINS9_10device_ptrIjEEEENS0_8identityIjEEEE10hipError_tT2_T3_mT4_P12ihipStream_tbEUlT_E_NS1_11comp_targetILNS1_3genE3ELNS1_11target_archE908ELNS1_3gpuE7ELNS1_3repE0EEENS1_30default_config_static_selectorELNS0_4arch9wavefront6targetE0EEEvT1_.has_recursion, 0
	.set _ZN7rocprim17ROCPRIM_400000_NS6detail17trampoline_kernelINS0_14default_configENS1_25transform_config_selectorIjLb0EEEZNS1_14transform_implILb0ES3_S5_PjN6thrust23THRUST_200600_302600_NS6detail15normal_iteratorINS9_10device_ptrIjEEEENS0_8identityIjEEEE10hipError_tT2_T3_mT4_P12ihipStream_tbEUlT_E_NS1_11comp_targetILNS1_3genE3ELNS1_11target_archE908ELNS1_3gpuE7ELNS1_3repE0EEENS1_30default_config_static_selectorELNS0_4arch9wavefront6targetE0EEEvT1_.has_indirect_call, 0
	.section	.AMDGPU.csdata,"",@progbits
; Kernel info:
; codeLenInByte = 0
; TotalNumSgprs: 0
; NumVgprs: 0
; ScratchSize: 0
; MemoryBound: 0
; FloatMode: 240
; IeeeMode: 1
; LDSByteSize: 0 bytes/workgroup (compile time only)
; SGPRBlocks: 0
; VGPRBlocks: 0
; NumSGPRsForWavesPerEU: 1
; NumVGPRsForWavesPerEU: 1
; Occupancy: 16
; WaveLimiterHint : 0
; COMPUTE_PGM_RSRC2:SCRATCH_EN: 0
; COMPUTE_PGM_RSRC2:USER_SGPR: 6
; COMPUTE_PGM_RSRC2:TRAP_HANDLER: 0
; COMPUTE_PGM_RSRC2:TGID_X_EN: 1
; COMPUTE_PGM_RSRC2:TGID_Y_EN: 0
; COMPUTE_PGM_RSRC2:TGID_Z_EN: 0
; COMPUTE_PGM_RSRC2:TIDIG_COMP_CNT: 0
	.section	.text._ZN7rocprim17ROCPRIM_400000_NS6detail17trampoline_kernelINS0_14default_configENS1_25transform_config_selectorIjLb0EEEZNS1_14transform_implILb0ES3_S5_PjN6thrust23THRUST_200600_302600_NS6detail15normal_iteratorINS9_10device_ptrIjEEEENS0_8identityIjEEEE10hipError_tT2_T3_mT4_P12ihipStream_tbEUlT_E_NS1_11comp_targetILNS1_3genE2ELNS1_11target_archE906ELNS1_3gpuE6ELNS1_3repE0EEENS1_30default_config_static_selectorELNS0_4arch9wavefront6targetE0EEEvT1_,"axG",@progbits,_ZN7rocprim17ROCPRIM_400000_NS6detail17trampoline_kernelINS0_14default_configENS1_25transform_config_selectorIjLb0EEEZNS1_14transform_implILb0ES3_S5_PjN6thrust23THRUST_200600_302600_NS6detail15normal_iteratorINS9_10device_ptrIjEEEENS0_8identityIjEEEE10hipError_tT2_T3_mT4_P12ihipStream_tbEUlT_E_NS1_11comp_targetILNS1_3genE2ELNS1_11target_archE906ELNS1_3gpuE6ELNS1_3repE0EEENS1_30default_config_static_selectorELNS0_4arch9wavefront6targetE0EEEvT1_,comdat
	.protected	_ZN7rocprim17ROCPRIM_400000_NS6detail17trampoline_kernelINS0_14default_configENS1_25transform_config_selectorIjLb0EEEZNS1_14transform_implILb0ES3_S5_PjN6thrust23THRUST_200600_302600_NS6detail15normal_iteratorINS9_10device_ptrIjEEEENS0_8identityIjEEEE10hipError_tT2_T3_mT4_P12ihipStream_tbEUlT_E_NS1_11comp_targetILNS1_3genE2ELNS1_11target_archE906ELNS1_3gpuE6ELNS1_3repE0EEENS1_30default_config_static_selectorELNS0_4arch9wavefront6targetE0EEEvT1_ ; -- Begin function _ZN7rocprim17ROCPRIM_400000_NS6detail17trampoline_kernelINS0_14default_configENS1_25transform_config_selectorIjLb0EEEZNS1_14transform_implILb0ES3_S5_PjN6thrust23THRUST_200600_302600_NS6detail15normal_iteratorINS9_10device_ptrIjEEEENS0_8identityIjEEEE10hipError_tT2_T3_mT4_P12ihipStream_tbEUlT_E_NS1_11comp_targetILNS1_3genE2ELNS1_11target_archE906ELNS1_3gpuE6ELNS1_3repE0EEENS1_30default_config_static_selectorELNS0_4arch9wavefront6targetE0EEEvT1_
	.globl	_ZN7rocprim17ROCPRIM_400000_NS6detail17trampoline_kernelINS0_14default_configENS1_25transform_config_selectorIjLb0EEEZNS1_14transform_implILb0ES3_S5_PjN6thrust23THRUST_200600_302600_NS6detail15normal_iteratorINS9_10device_ptrIjEEEENS0_8identityIjEEEE10hipError_tT2_T3_mT4_P12ihipStream_tbEUlT_E_NS1_11comp_targetILNS1_3genE2ELNS1_11target_archE906ELNS1_3gpuE6ELNS1_3repE0EEENS1_30default_config_static_selectorELNS0_4arch9wavefront6targetE0EEEvT1_
	.p2align	8
	.type	_ZN7rocprim17ROCPRIM_400000_NS6detail17trampoline_kernelINS0_14default_configENS1_25transform_config_selectorIjLb0EEEZNS1_14transform_implILb0ES3_S5_PjN6thrust23THRUST_200600_302600_NS6detail15normal_iteratorINS9_10device_ptrIjEEEENS0_8identityIjEEEE10hipError_tT2_T3_mT4_P12ihipStream_tbEUlT_E_NS1_11comp_targetILNS1_3genE2ELNS1_11target_archE906ELNS1_3gpuE6ELNS1_3repE0EEENS1_30default_config_static_selectorELNS0_4arch9wavefront6targetE0EEEvT1_,@function
_ZN7rocprim17ROCPRIM_400000_NS6detail17trampoline_kernelINS0_14default_configENS1_25transform_config_selectorIjLb0EEEZNS1_14transform_implILb0ES3_S5_PjN6thrust23THRUST_200600_302600_NS6detail15normal_iteratorINS9_10device_ptrIjEEEENS0_8identityIjEEEE10hipError_tT2_T3_mT4_P12ihipStream_tbEUlT_E_NS1_11comp_targetILNS1_3genE2ELNS1_11target_archE906ELNS1_3gpuE6ELNS1_3repE0EEENS1_30default_config_static_selectorELNS0_4arch9wavefront6targetE0EEEvT1_: ; @_ZN7rocprim17ROCPRIM_400000_NS6detail17trampoline_kernelINS0_14default_configENS1_25transform_config_selectorIjLb0EEEZNS1_14transform_implILb0ES3_S5_PjN6thrust23THRUST_200600_302600_NS6detail15normal_iteratorINS9_10device_ptrIjEEEENS0_8identityIjEEEE10hipError_tT2_T3_mT4_P12ihipStream_tbEUlT_E_NS1_11comp_targetILNS1_3genE2ELNS1_11target_archE906ELNS1_3gpuE6ELNS1_3repE0EEENS1_30default_config_static_selectorELNS0_4arch9wavefront6targetE0EEEvT1_
; %bb.0:
	.section	.rodata,"a",@progbits
	.p2align	6, 0x0
	.amdhsa_kernel _ZN7rocprim17ROCPRIM_400000_NS6detail17trampoline_kernelINS0_14default_configENS1_25transform_config_selectorIjLb0EEEZNS1_14transform_implILb0ES3_S5_PjN6thrust23THRUST_200600_302600_NS6detail15normal_iteratorINS9_10device_ptrIjEEEENS0_8identityIjEEEE10hipError_tT2_T3_mT4_P12ihipStream_tbEUlT_E_NS1_11comp_targetILNS1_3genE2ELNS1_11target_archE906ELNS1_3gpuE6ELNS1_3repE0EEENS1_30default_config_static_selectorELNS0_4arch9wavefront6targetE0EEEvT1_
		.amdhsa_group_segment_fixed_size 0
		.amdhsa_private_segment_fixed_size 0
		.amdhsa_kernarg_size 40
		.amdhsa_user_sgpr_count 6
		.amdhsa_user_sgpr_private_segment_buffer 1
		.amdhsa_user_sgpr_dispatch_ptr 0
		.amdhsa_user_sgpr_queue_ptr 0
		.amdhsa_user_sgpr_kernarg_segment_ptr 1
		.amdhsa_user_sgpr_dispatch_id 0
		.amdhsa_user_sgpr_flat_scratch_init 0
		.amdhsa_user_sgpr_private_segment_size 0
		.amdhsa_wavefront_size32 1
		.amdhsa_uses_dynamic_stack 0
		.amdhsa_system_sgpr_private_segment_wavefront_offset 0
		.amdhsa_system_sgpr_workgroup_id_x 1
		.amdhsa_system_sgpr_workgroup_id_y 0
		.amdhsa_system_sgpr_workgroup_id_z 0
		.amdhsa_system_sgpr_workgroup_info 0
		.amdhsa_system_vgpr_workitem_id 0
		.amdhsa_next_free_vgpr 1
		.amdhsa_next_free_sgpr 1
		.amdhsa_reserve_vcc 0
		.amdhsa_reserve_flat_scratch 0
		.amdhsa_float_round_mode_32 0
		.amdhsa_float_round_mode_16_64 0
		.amdhsa_float_denorm_mode_32 3
		.amdhsa_float_denorm_mode_16_64 3
		.amdhsa_dx10_clamp 1
		.amdhsa_ieee_mode 1
		.amdhsa_fp16_overflow 0
		.amdhsa_workgroup_processor_mode 1
		.amdhsa_memory_ordered 1
		.amdhsa_forward_progress 1
		.amdhsa_shared_vgpr_count 0
		.amdhsa_exception_fp_ieee_invalid_op 0
		.amdhsa_exception_fp_denorm_src 0
		.amdhsa_exception_fp_ieee_div_zero 0
		.amdhsa_exception_fp_ieee_overflow 0
		.amdhsa_exception_fp_ieee_underflow 0
		.amdhsa_exception_fp_ieee_inexact 0
		.amdhsa_exception_int_div_zero 0
	.end_amdhsa_kernel
	.section	.text._ZN7rocprim17ROCPRIM_400000_NS6detail17trampoline_kernelINS0_14default_configENS1_25transform_config_selectorIjLb0EEEZNS1_14transform_implILb0ES3_S5_PjN6thrust23THRUST_200600_302600_NS6detail15normal_iteratorINS9_10device_ptrIjEEEENS0_8identityIjEEEE10hipError_tT2_T3_mT4_P12ihipStream_tbEUlT_E_NS1_11comp_targetILNS1_3genE2ELNS1_11target_archE906ELNS1_3gpuE6ELNS1_3repE0EEENS1_30default_config_static_selectorELNS0_4arch9wavefront6targetE0EEEvT1_,"axG",@progbits,_ZN7rocprim17ROCPRIM_400000_NS6detail17trampoline_kernelINS0_14default_configENS1_25transform_config_selectorIjLb0EEEZNS1_14transform_implILb0ES3_S5_PjN6thrust23THRUST_200600_302600_NS6detail15normal_iteratorINS9_10device_ptrIjEEEENS0_8identityIjEEEE10hipError_tT2_T3_mT4_P12ihipStream_tbEUlT_E_NS1_11comp_targetILNS1_3genE2ELNS1_11target_archE906ELNS1_3gpuE6ELNS1_3repE0EEENS1_30default_config_static_selectorELNS0_4arch9wavefront6targetE0EEEvT1_,comdat
.Lfunc_end199:
	.size	_ZN7rocprim17ROCPRIM_400000_NS6detail17trampoline_kernelINS0_14default_configENS1_25transform_config_selectorIjLb0EEEZNS1_14transform_implILb0ES3_S5_PjN6thrust23THRUST_200600_302600_NS6detail15normal_iteratorINS9_10device_ptrIjEEEENS0_8identityIjEEEE10hipError_tT2_T3_mT4_P12ihipStream_tbEUlT_E_NS1_11comp_targetILNS1_3genE2ELNS1_11target_archE906ELNS1_3gpuE6ELNS1_3repE0EEENS1_30default_config_static_selectorELNS0_4arch9wavefront6targetE0EEEvT1_, .Lfunc_end199-_ZN7rocprim17ROCPRIM_400000_NS6detail17trampoline_kernelINS0_14default_configENS1_25transform_config_selectorIjLb0EEEZNS1_14transform_implILb0ES3_S5_PjN6thrust23THRUST_200600_302600_NS6detail15normal_iteratorINS9_10device_ptrIjEEEENS0_8identityIjEEEE10hipError_tT2_T3_mT4_P12ihipStream_tbEUlT_E_NS1_11comp_targetILNS1_3genE2ELNS1_11target_archE906ELNS1_3gpuE6ELNS1_3repE0EEENS1_30default_config_static_selectorELNS0_4arch9wavefront6targetE0EEEvT1_
                                        ; -- End function
	.set _ZN7rocprim17ROCPRIM_400000_NS6detail17trampoline_kernelINS0_14default_configENS1_25transform_config_selectorIjLb0EEEZNS1_14transform_implILb0ES3_S5_PjN6thrust23THRUST_200600_302600_NS6detail15normal_iteratorINS9_10device_ptrIjEEEENS0_8identityIjEEEE10hipError_tT2_T3_mT4_P12ihipStream_tbEUlT_E_NS1_11comp_targetILNS1_3genE2ELNS1_11target_archE906ELNS1_3gpuE6ELNS1_3repE0EEENS1_30default_config_static_selectorELNS0_4arch9wavefront6targetE0EEEvT1_.num_vgpr, 0
	.set _ZN7rocprim17ROCPRIM_400000_NS6detail17trampoline_kernelINS0_14default_configENS1_25transform_config_selectorIjLb0EEEZNS1_14transform_implILb0ES3_S5_PjN6thrust23THRUST_200600_302600_NS6detail15normal_iteratorINS9_10device_ptrIjEEEENS0_8identityIjEEEE10hipError_tT2_T3_mT4_P12ihipStream_tbEUlT_E_NS1_11comp_targetILNS1_3genE2ELNS1_11target_archE906ELNS1_3gpuE6ELNS1_3repE0EEENS1_30default_config_static_selectorELNS0_4arch9wavefront6targetE0EEEvT1_.num_agpr, 0
	.set _ZN7rocprim17ROCPRIM_400000_NS6detail17trampoline_kernelINS0_14default_configENS1_25transform_config_selectorIjLb0EEEZNS1_14transform_implILb0ES3_S5_PjN6thrust23THRUST_200600_302600_NS6detail15normal_iteratorINS9_10device_ptrIjEEEENS0_8identityIjEEEE10hipError_tT2_T3_mT4_P12ihipStream_tbEUlT_E_NS1_11comp_targetILNS1_3genE2ELNS1_11target_archE906ELNS1_3gpuE6ELNS1_3repE0EEENS1_30default_config_static_selectorELNS0_4arch9wavefront6targetE0EEEvT1_.numbered_sgpr, 0
	.set _ZN7rocprim17ROCPRIM_400000_NS6detail17trampoline_kernelINS0_14default_configENS1_25transform_config_selectorIjLb0EEEZNS1_14transform_implILb0ES3_S5_PjN6thrust23THRUST_200600_302600_NS6detail15normal_iteratorINS9_10device_ptrIjEEEENS0_8identityIjEEEE10hipError_tT2_T3_mT4_P12ihipStream_tbEUlT_E_NS1_11comp_targetILNS1_3genE2ELNS1_11target_archE906ELNS1_3gpuE6ELNS1_3repE0EEENS1_30default_config_static_selectorELNS0_4arch9wavefront6targetE0EEEvT1_.num_named_barrier, 0
	.set _ZN7rocprim17ROCPRIM_400000_NS6detail17trampoline_kernelINS0_14default_configENS1_25transform_config_selectorIjLb0EEEZNS1_14transform_implILb0ES3_S5_PjN6thrust23THRUST_200600_302600_NS6detail15normal_iteratorINS9_10device_ptrIjEEEENS0_8identityIjEEEE10hipError_tT2_T3_mT4_P12ihipStream_tbEUlT_E_NS1_11comp_targetILNS1_3genE2ELNS1_11target_archE906ELNS1_3gpuE6ELNS1_3repE0EEENS1_30default_config_static_selectorELNS0_4arch9wavefront6targetE0EEEvT1_.private_seg_size, 0
	.set _ZN7rocprim17ROCPRIM_400000_NS6detail17trampoline_kernelINS0_14default_configENS1_25transform_config_selectorIjLb0EEEZNS1_14transform_implILb0ES3_S5_PjN6thrust23THRUST_200600_302600_NS6detail15normal_iteratorINS9_10device_ptrIjEEEENS0_8identityIjEEEE10hipError_tT2_T3_mT4_P12ihipStream_tbEUlT_E_NS1_11comp_targetILNS1_3genE2ELNS1_11target_archE906ELNS1_3gpuE6ELNS1_3repE0EEENS1_30default_config_static_selectorELNS0_4arch9wavefront6targetE0EEEvT1_.uses_vcc, 0
	.set _ZN7rocprim17ROCPRIM_400000_NS6detail17trampoline_kernelINS0_14default_configENS1_25transform_config_selectorIjLb0EEEZNS1_14transform_implILb0ES3_S5_PjN6thrust23THRUST_200600_302600_NS6detail15normal_iteratorINS9_10device_ptrIjEEEENS0_8identityIjEEEE10hipError_tT2_T3_mT4_P12ihipStream_tbEUlT_E_NS1_11comp_targetILNS1_3genE2ELNS1_11target_archE906ELNS1_3gpuE6ELNS1_3repE0EEENS1_30default_config_static_selectorELNS0_4arch9wavefront6targetE0EEEvT1_.uses_flat_scratch, 0
	.set _ZN7rocprim17ROCPRIM_400000_NS6detail17trampoline_kernelINS0_14default_configENS1_25transform_config_selectorIjLb0EEEZNS1_14transform_implILb0ES3_S5_PjN6thrust23THRUST_200600_302600_NS6detail15normal_iteratorINS9_10device_ptrIjEEEENS0_8identityIjEEEE10hipError_tT2_T3_mT4_P12ihipStream_tbEUlT_E_NS1_11comp_targetILNS1_3genE2ELNS1_11target_archE906ELNS1_3gpuE6ELNS1_3repE0EEENS1_30default_config_static_selectorELNS0_4arch9wavefront6targetE0EEEvT1_.has_dyn_sized_stack, 0
	.set _ZN7rocprim17ROCPRIM_400000_NS6detail17trampoline_kernelINS0_14default_configENS1_25transform_config_selectorIjLb0EEEZNS1_14transform_implILb0ES3_S5_PjN6thrust23THRUST_200600_302600_NS6detail15normal_iteratorINS9_10device_ptrIjEEEENS0_8identityIjEEEE10hipError_tT2_T3_mT4_P12ihipStream_tbEUlT_E_NS1_11comp_targetILNS1_3genE2ELNS1_11target_archE906ELNS1_3gpuE6ELNS1_3repE0EEENS1_30default_config_static_selectorELNS0_4arch9wavefront6targetE0EEEvT1_.has_recursion, 0
	.set _ZN7rocprim17ROCPRIM_400000_NS6detail17trampoline_kernelINS0_14default_configENS1_25transform_config_selectorIjLb0EEEZNS1_14transform_implILb0ES3_S5_PjN6thrust23THRUST_200600_302600_NS6detail15normal_iteratorINS9_10device_ptrIjEEEENS0_8identityIjEEEE10hipError_tT2_T3_mT4_P12ihipStream_tbEUlT_E_NS1_11comp_targetILNS1_3genE2ELNS1_11target_archE906ELNS1_3gpuE6ELNS1_3repE0EEENS1_30default_config_static_selectorELNS0_4arch9wavefront6targetE0EEEvT1_.has_indirect_call, 0
	.section	.AMDGPU.csdata,"",@progbits
; Kernel info:
; codeLenInByte = 0
; TotalNumSgprs: 0
; NumVgprs: 0
; ScratchSize: 0
; MemoryBound: 0
; FloatMode: 240
; IeeeMode: 1
; LDSByteSize: 0 bytes/workgroup (compile time only)
; SGPRBlocks: 0
; VGPRBlocks: 0
; NumSGPRsForWavesPerEU: 1
; NumVGPRsForWavesPerEU: 1
; Occupancy: 16
; WaveLimiterHint : 0
; COMPUTE_PGM_RSRC2:SCRATCH_EN: 0
; COMPUTE_PGM_RSRC2:USER_SGPR: 6
; COMPUTE_PGM_RSRC2:TRAP_HANDLER: 0
; COMPUTE_PGM_RSRC2:TGID_X_EN: 1
; COMPUTE_PGM_RSRC2:TGID_Y_EN: 0
; COMPUTE_PGM_RSRC2:TGID_Z_EN: 0
; COMPUTE_PGM_RSRC2:TIDIG_COMP_CNT: 0
	.section	.text._ZN7rocprim17ROCPRIM_400000_NS6detail17trampoline_kernelINS0_14default_configENS1_25transform_config_selectorIjLb0EEEZNS1_14transform_implILb0ES3_S5_PjN6thrust23THRUST_200600_302600_NS6detail15normal_iteratorINS9_10device_ptrIjEEEENS0_8identityIjEEEE10hipError_tT2_T3_mT4_P12ihipStream_tbEUlT_E_NS1_11comp_targetILNS1_3genE10ELNS1_11target_archE1201ELNS1_3gpuE5ELNS1_3repE0EEENS1_30default_config_static_selectorELNS0_4arch9wavefront6targetE0EEEvT1_,"axG",@progbits,_ZN7rocprim17ROCPRIM_400000_NS6detail17trampoline_kernelINS0_14default_configENS1_25transform_config_selectorIjLb0EEEZNS1_14transform_implILb0ES3_S5_PjN6thrust23THRUST_200600_302600_NS6detail15normal_iteratorINS9_10device_ptrIjEEEENS0_8identityIjEEEE10hipError_tT2_T3_mT4_P12ihipStream_tbEUlT_E_NS1_11comp_targetILNS1_3genE10ELNS1_11target_archE1201ELNS1_3gpuE5ELNS1_3repE0EEENS1_30default_config_static_selectorELNS0_4arch9wavefront6targetE0EEEvT1_,comdat
	.protected	_ZN7rocprim17ROCPRIM_400000_NS6detail17trampoline_kernelINS0_14default_configENS1_25transform_config_selectorIjLb0EEEZNS1_14transform_implILb0ES3_S5_PjN6thrust23THRUST_200600_302600_NS6detail15normal_iteratorINS9_10device_ptrIjEEEENS0_8identityIjEEEE10hipError_tT2_T3_mT4_P12ihipStream_tbEUlT_E_NS1_11comp_targetILNS1_3genE10ELNS1_11target_archE1201ELNS1_3gpuE5ELNS1_3repE0EEENS1_30default_config_static_selectorELNS0_4arch9wavefront6targetE0EEEvT1_ ; -- Begin function _ZN7rocprim17ROCPRIM_400000_NS6detail17trampoline_kernelINS0_14default_configENS1_25transform_config_selectorIjLb0EEEZNS1_14transform_implILb0ES3_S5_PjN6thrust23THRUST_200600_302600_NS6detail15normal_iteratorINS9_10device_ptrIjEEEENS0_8identityIjEEEE10hipError_tT2_T3_mT4_P12ihipStream_tbEUlT_E_NS1_11comp_targetILNS1_3genE10ELNS1_11target_archE1201ELNS1_3gpuE5ELNS1_3repE0EEENS1_30default_config_static_selectorELNS0_4arch9wavefront6targetE0EEEvT1_
	.globl	_ZN7rocprim17ROCPRIM_400000_NS6detail17trampoline_kernelINS0_14default_configENS1_25transform_config_selectorIjLb0EEEZNS1_14transform_implILb0ES3_S5_PjN6thrust23THRUST_200600_302600_NS6detail15normal_iteratorINS9_10device_ptrIjEEEENS0_8identityIjEEEE10hipError_tT2_T3_mT4_P12ihipStream_tbEUlT_E_NS1_11comp_targetILNS1_3genE10ELNS1_11target_archE1201ELNS1_3gpuE5ELNS1_3repE0EEENS1_30default_config_static_selectorELNS0_4arch9wavefront6targetE0EEEvT1_
	.p2align	8
	.type	_ZN7rocprim17ROCPRIM_400000_NS6detail17trampoline_kernelINS0_14default_configENS1_25transform_config_selectorIjLb0EEEZNS1_14transform_implILb0ES3_S5_PjN6thrust23THRUST_200600_302600_NS6detail15normal_iteratorINS9_10device_ptrIjEEEENS0_8identityIjEEEE10hipError_tT2_T3_mT4_P12ihipStream_tbEUlT_E_NS1_11comp_targetILNS1_3genE10ELNS1_11target_archE1201ELNS1_3gpuE5ELNS1_3repE0EEENS1_30default_config_static_selectorELNS0_4arch9wavefront6targetE0EEEvT1_,@function
_ZN7rocprim17ROCPRIM_400000_NS6detail17trampoline_kernelINS0_14default_configENS1_25transform_config_selectorIjLb0EEEZNS1_14transform_implILb0ES3_S5_PjN6thrust23THRUST_200600_302600_NS6detail15normal_iteratorINS9_10device_ptrIjEEEENS0_8identityIjEEEE10hipError_tT2_T3_mT4_P12ihipStream_tbEUlT_E_NS1_11comp_targetILNS1_3genE10ELNS1_11target_archE1201ELNS1_3gpuE5ELNS1_3repE0EEENS1_30default_config_static_selectorELNS0_4arch9wavefront6targetE0EEEvT1_: ; @_ZN7rocprim17ROCPRIM_400000_NS6detail17trampoline_kernelINS0_14default_configENS1_25transform_config_selectorIjLb0EEEZNS1_14transform_implILb0ES3_S5_PjN6thrust23THRUST_200600_302600_NS6detail15normal_iteratorINS9_10device_ptrIjEEEENS0_8identityIjEEEE10hipError_tT2_T3_mT4_P12ihipStream_tbEUlT_E_NS1_11comp_targetILNS1_3genE10ELNS1_11target_archE1201ELNS1_3gpuE5ELNS1_3repE0EEENS1_30default_config_static_selectorELNS0_4arch9wavefront6targetE0EEEvT1_
; %bb.0:
	.section	.rodata,"a",@progbits
	.p2align	6, 0x0
	.amdhsa_kernel _ZN7rocprim17ROCPRIM_400000_NS6detail17trampoline_kernelINS0_14default_configENS1_25transform_config_selectorIjLb0EEEZNS1_14transform_implILb0ES3_S5_PjN6thrust23THRUST_200600_302600_NS6detail15normal_iteratorINS9_10device_ptrIjEEEENS0_8identityIjEEEE10hipError_tT2_T3_mT4_P12ihipStream_tbEUlT_E_NS1_11comp_targetILNS1_3genE10ELNS1_11target_archE1201ELNS1_3gpuE5ELNS1_3repE0EEENS1_30default_config_static_selectorELNS0_4arch9wavefront6targetE0EEEvT1_
		.amdhsa_group_segment_fixed_size 0
		.amdhsa_private_segment_fixed_size 0
		.amdhsa_kernarg_size 40
		.amdhsa_user_sgpr_count 6
		.amdhsa_user_sgpr_private_segment_buffer 1
		.amdhsa_user_sgpr_dispatch_ptr 0
		.amdhsa_user_sgpr_queue_ptr 0
		.amdhsa_user_sgpr_kernarg_segment_ptr 1
		.amdhsa_user_sgpr_dispatch_id 0
		.amdhsa_user_sgpr_flat_scratch_init 0
		.amdhsa_user_sgpr_private_segment_size 0
		.amdhsa_wavefront_size32 1
		.amdhsa_uses_dynamic_stack 0
		.amdhsa_system_sgpr_private_segment_wavefront_offset 0
		.amdhsa_system_sgpr_workgroup_id_x 1
		.amdhsa_system_sgpr_workgroup_id_y 0
		.amdhsa_system_sgpr_workgroup_id_z 0
		.amdhsa_system_sgpr_workgroup_info 0
		.amdhsa_system_vgpr_workitem_id 0
		.amdhsa_next_free_vgpr 1
		.amdhsa_next_free_sgpr 1
		.amdhsa_reserve_vcc 0
		.amdhsa_reserve_flat_scratch 0
		.amdhsa_float_round_mode_32 0
		.amdhsa_float_round_mode_16_64 0
		.amdhsa_float_denorm_mode_32 3
		.amdhsa_float_denorm_mode_16_64 3
		.amdhsa_dx10_clamp 1
		.amdhsa_ieee_mode 1
		.amdhsa_fp16_overflow 0
		.amdhsa_workgroup_processor_mode 1
		.amdhsa_memory_ordered 1
		.amdhsa_forward_progress 1
		.amdhsa_shared_vgpr_count 0
		.amdhsa_exception_fp_ieee_invalid_op 0
		.amdhsa_exception_fp_denorm_src 0
		.amdhsa_exception_fp_ieee_div_zero 0
		.amdhsa_exception_fp_ieee_overflow 0
		.amdhsa_exception_fp_ieee_underflow 0
		.amdhsa_exception_fp_ieee_inexact 0
		.amdhsa_exception_int_div_zero 0
	.end_amdhsa_kernel
	.section	.text._ZN7rocprim17ROCPRIM_400000_NS6detail17trampoline_kernelINS0_14default_configENS1_25transform_config_selectorIjLb0EEEZNS1_14transform_implILb0ES3_S5_PjN6thrust23THRUST_200600_302600_NS6detail15normal_iteratorINS9_10device_ptrIjEEEENS0_8identityIjEEEE10hipError_tT2_T3_mT4_P12ihipStream_tbEUlT_E_NS1_11comp_targetILNS1_3genE10ELNS1_11target_archE1201ELNS1_3gpuE5ELNS1_3repE0EEENS1_30default_config_static_selectorELNS0_4arch9wavefront6targetE0EEEvT1_,"axG",@progbits,_ZN7rocprim17ROCPRIM_400000_NS6detail17trampoline_kernelINS0_14default_configENS1_25transform_config_selectorIjLb0EEEZNS1_14transform_implILb0ES3_S5_PjN6thrust23THRUST_200600_302600_NS6detail15normal_iteratorINS9_10device_ptrIjEEEENS0_8identityIjEEEE10hipError_tT2_T3_mT4_P12ihipStream_tbEUlT_E_NS1_11comp_targetILNS1_3genE10ELNS1_11target_archE1201ELNS1_3gpuE5ELNS1_3repE0EEENS1_30default_config_static_selectorELNS0_4arch9wavefront6targetE0EEEvT1_,comdat
.Lfunc_end200:
	.size	_ZN7rocprim17ROCPRIM_400000_NS6detail17trampoline_kernelINS0_14default_configENS1_25transform_config_selectorIjLb0EEEZNS1_14transform_implILb0ES3_S5_PjN6thrust23THRUST_200600_302600_NS6detail15normal_iteratorINS9_10device_ptrIjEEEENS0_8identityIjEEEE10hipError_tT2_T3_mT4_P12ihipStream_tbEUlT_E_NS1_11comp_targetILNS1_3genE10ELNS1_11target_archE1201ELNS1_3gpuE5ELNS1_3repE0EEENS1_30default_config_static_selectorELNS0_4arch9wavefront6targetE0EEEvT1_, .Lfunc_end200-_ZN7rocprim17ROCPRIM_400000_NS6detail17trampoline_kernelINS0_14default_configENS1_25transform_config_selectorIjLb0EEEZNS1_14transform_implILb0ES3_S5_PjN6thrust23THRUST_200600_302600_NS6detail15normal_iteratorINS9_10device_ptrIjEEEENS0_8identityIjEEEE10hipError_tT2_T3_mT4_P12ihipStream_tbEUlT_E_NS1_11comp_targetILNS1_3genE10ELNS1_11target_archE1201ELNS1_3gpuE5ELNS1_3repE0EEENS1_30default_config_static_selectorELNS0_4arch9wavefront6targetE0EEEvT1_
                                        ; -- End function
	.set _ZN7rocprim17ROCPRIM_400000_NS6detail17trampoline_kernelINS0_14default_configENS1_25transform_config_selectorIjLb0EEEZNS1_14transform_implILb0ES3_S5_PjN6thrust23THRUST_200600_302600_NS6detail15normal_iteratorINS9_10device_ptrIjEEEENS0_8identityIjEEEE10hipError_tT2_T3_mT4_P12ihipStream_tbEUlT_E_NS1_11comp_targetILNS1_3genE10ELNS1_11target_archE1201ELNS1_3gpuE5ELNS1_3repE0EEENS1_30default_config_static_selectorELNS0_4arch9wavefront6targetE0EEEvT1_.num_vgpr, 0
	.set _ZN7rocprim17ROCPRIM_400000_NS6detail17trampoline_kernelINS0_14default_configENS1_25transform_config_selectorIjLb0EEEZNS1_14transform_implILb0ES3_S5_PjN6thrust23THRUST_200600_302600_NS6detail15normal_iteratorINS9_10device_ptrIjEEEENS0_8identityIjEEEE10hipError_tT2_T3_mT4_P12ihipStream_tbEUlT_E_NS1_11comp_targetILNS1_3genE10ELNS1_11target_archE1201ELNS1_3gpuE5ELNS1_3repE0EEENS1_30default_config_static_selectorELNS0_4arch9wavefront6targetE0EEEvT1_.num_agpr, 0
	.set _ZN7rocprim17ROCPRIM_400000_NS6detail17trampoline_kernelINS0_14default_configENS1_25transform_config_selectorIjLb0EEEZNS1_14transform_implILb0ES3_S5_PjN6thrust23THRUST_200600_302600_NS6detail15normal_iteratorINS9_10device_ptrIjEEEENS0_8identityIjEEEE10hipError_tT2_T3_mT4_P12ihipStream_tbEUlT_E_NS1_11comp_targetILNS1_3genE10ELNS1_11target_archE1201ELNS1_3gpuE5ELNS1_3repE0EEENS1_30default_config_static_selectorELNS0_4arch9wavefront6targetE0EEEvT1_.numbered_sgpr, 0
	.set _ZN7rocprim17ROCPRIM_400000_NS6detail17trampoline_kernelINS0_14default_configENS1_25transform_config_selectorIjLb0EEEZNS1_14transform_implILb0ES3_S5_PjN6thrust23THRUST_200600_302600_NS6detail15normal_iteratorINS9_10device_ptrIjEEEENS0_8identityIjEEEE10hipError_tT2_T3_mT4_P12ihipStream_tbEUlT_E_NS1_11comp_targetILNS1_3genE10ELNS1_11target_archE1201ELNS1_3gpuE5ELNS1_3repE0EEENS1_30default_config_static_selectorELNS0_4arch9wavefront6targetE0EEEvT1_.num_named_barrier, 0
	.set _ZN7rocprim17ROCPRIM_400000_NS6detail17trampoline_kernelINS0_14default_configENS1_25transform_config_selectorIjLb0EEEZNS1_14transform_implILb0ES3_S5_PjN6thrust23THRUST_200600_302600_NS6detail15normal_iteratorINS9_10device_ptrIjEEEENS0_8identityIjEEEE10hipError_tT2_T3_mT4_P12ihipStream_tbEUlT_E_NS1_11comp_targetILNS1_3genE10ELNS1_11target_archE1201ELNS1_3gpuE5ELNS1_3repE0EEENS1_30default_config_static_selectorELNS0_4arch9wavefront6targetE0EEEvT1_.private_seg_size, 0
	.set _ZN7rocprim17ROCPRIM_400000_NS6detail17trampoline_kernelINS0_14default_configENS1_25transform_config_selectorIjLb0EEEZNS1_14transform_implILb0ES3_S5_PjN6thrust23THRUST_200600_302600_NS6detail15normal_iteratorINS9_10device_ptrIjEEEENS0_8identityIjEEEE10hipError_tT2_T3_mT4_P12ihipStream_tbEUlT_E_NS1_11comp_targetILNS1_3genE10ELNS1_11target_archE1201ELNS1_3gpuE5ELNS1_3repE0EEENS1_30default_config_static_selectorELNS0_4arch9wavefront6targetE0EEEvT1_.uses_vcc, 0
	.set _ZN7rocprim17ROCPRIM_400000_NS6detail17trampoline_kernelINS0_14default_configENS1_25transform_config_selectorIjLb0EEEZNS1_14transform_implILb0ES3_S5_PjN6thrust23THRUST_200600_302600_NS6detail15normal_iteratorINS9_10device_ptrIjEEEENS0_8identityIjEEEE10hipError_tT2_T3_mT4_P12ihipStream_tbEUlT_E_NS1_11comp_targetILNS1_3genE10ELNS1_11target_archE1201ELNS1_3gpuE5ELNS1_3repE0EEENS1_30default_config_static_selectorELNS0_4arch9wavefront6targetE0EEEvT1_.uses_flat_scratch, 0
	.set _ZN7rocprim17ROCPRIM_400000_NS6detail17trampoline_kernelINS0_14default_configENS1_25transform_config_selectorIjLb0EEEZNS1_14transform_implILb0ES3_S5_PjN6thrust23THRUST_200600_302600_NS6detail15normal_iteratorINS9_10device_ptrIjEEEENS0_8identityIjEEEE10hipError_tT2_T3_mT4_P12ihipStream_tbEUlT_E_NS1_11comp_targetILNS1_3genE10ELNS1_11target_archE1201ELNS1_3gpuE5ELNS1_3repE0EEENS1_30default_config_static_selectorELNS0_4arch9wavefront6targetE0EEEvT1_.has_dyn_sized_stack, 0
	.set _ZN7rocprim17ROCPRIM_400000_NS6detail17trampoline_kernelINS0_14default_configENS1_25transform_config_selectorIjLb0EEEZNS1_14transform_implILb0ES3_S5_PjN6thrust23THRUST_200600_302600_NS6detail15normal_iteratorINS9_10device_ptrIjEEEENS0_8identityIjEEEE10hipError_tT2_T3_mT4_P12ihipStream_tbEUlT_E_NS1_11comp_targetILNS1_3genE10ELNS1_11target_archE1201ELNS1_3gpuE5ELNS1_3repE0EEENS1_30default_config_static_selectorELNS0_4arch9wavefront6targetE0EEEvT1_.has_recursion, 0
	.set _ZN7rocprim17ROCPRIM_400000_NS6detail17trampoline_kernelINS0_14default_configENS1_25transform_config_selectorIjLb0EEEZNS1_14transform_implILb0ES3_S5_PjN6thrust23THRUST_200600_302600_NS6detail15normal_iteratorINS9_10device_ptrIjEEEENS0_8identityIjEEEE10hipError_tT2_T3_mT4_P12ihipStream_tbEUlT_E_NS1_11comp_targetILNS1_3genE10ELNS1_11target_archE1201ELNS1_3gpuE5ELNS1_3repE0EEENS1_30default_config_static_selectorELNS0_4arch9wavefront6targetE0EEEvT1_.has_indirect_call, 0
	.section	.AMDGPU.csdata,"",@progbits
; Kernel info:
; codeLenInByte = 0
; TotalNumSgprs: 0
; NumVgprs: 0
; ScratchSize: 0
; MemoryBound: 0
; FloatMode: 240
; IeeeMode: 1
; LDSByteSize: 0 bytes/workgroup (compile time only)
; SGPRBlocks: 0
; VGPRBlocks: 0
; NumSGPRsForWavesPerEU: 1
; NumVGPRsForWavesPerEU: 1
; Occupancy: 16
; WaveLimiterHint : 0
; COMPUTE_PGM_RSRC2:SCRATCH_EN: 0
; COMPUTE_PGM_RSRC2:USER_SGPR: 6
; COMPUTE_PGM_RSRC2:TRAP_HANDLER: 0
; COMPUTE_PGM_RSRC2:TGID_X_EN: 1
; COMPUTE_PGM_RSRC2:TGID_Y_EN: 0
; COMPUTE_PGM_RSRC2:TGID_Z_EN: 0
; COMPUTE_PGM_RSRC2:TIDIG_COMP_CNT: 0
	.section	.text._ZN7rocprim17ROCPRIM_400000_NS6detail17trampoline_kernelINS0_14default_configENS1_25transform_config_selectorIjLb0EEEZNS1_14transform_implILb0ES3_S5_PjN6thrust23THRUST_200600_302600_NS6detail15normal_iteratorINS9_10device_ptrIjEEEENS0_8identityIjEEEE10hipError_tT2_T3_mT4_P12ihipStream_tbEUlT_E_NS1_11comp_targetILNS1_3genE10ELNS1_11target_archE1200ELNS1_3gpuE4ELNS1_3repE0EEENS1_30default_config_static_selectorELNS0_4arch9wavefront6targetE0EEEvT1_,"axG",@progbits,_ZN7rocprim17ROCPRIM_400000_NS6detail17trampoline_kernelINS0_14default_configENS1_25transform_config_selectorIjLb0EEEZNS1_14transform_implILb0ES3_S5_PjN6thrust23THRUST_200600_302600_NS6detail15normal_iteratorINS9_10device_ptrIjEEEENS0_8identityIjEEEE10hipError_tT2_T3_mT4_P12ihipStream_tbEUlT_E_NS1_11comp_targetILNS1_3genE10ELNS1_11target_archE1200ELNS1_3gpuE4ELNS1_3repE0EEENS1_30default_config_static_selectorELNS0_4arch9wavefront6targetE0EEEvT1_,comdat
	.protected	_ZN7rocprim17ROCPRIM_400000_NS6detail17trampoline_kernelINS0_14default_configENS1_25transform_config_selectorIjLb0EEEZNS1_14transform_implILb0ES3_S5_PjN6thrust23THRUST_200600_302600_NS6detail15normal_iteratorINS9_10device_ptrIjEEEENS0_8identityIjEEEE10hipError_tT2_T3_mT4_P12ihipStream_tbEUlT_E_NS1_11comp_targetILNS1_3genE10ELNS1_11target_archE1200ELNS1_3gpuE4ELNS1_3repE0EEENS1_30default_config_static_selectorELNS0_4arch9wavefront6targetE0EEEvT1_ ; -- Begin function _ZN7rocprim17ROCPRIM_400000_NS6detail17trampoline_kernelINS0_14default_configENS1_25transform_config_selectorIjLb0EEEZNS1_14transform_implILb0ES3_S5_PjN6thrust23THRUST_200600_302600_NS6detail15normal_iteratorINS9_10device_ptrIjEEEENS0_8identityIjEEEE10hipError_tT2_T3_mT4_P12ihipStream_tbEUlT_E_NS1_11comp_targetILNS1_3genE10ELNS1_11target_archE1200ELNS1_3gpuE4ELNS1_3repE0EEENS1_30default_config_static_selectorELNS0_4arch9wavefront6targetE0EEEvT1_
	.globl	_ZN7rocprim17ROCPRIM_400000_NS6detail17trampoline_kernelINS0_14default_configENS1_25transform_config_selectorIjLb0EEEZNS1_14transform_implILb0ES3_S5_PjN6thrust23THRUST_200600_302600_NS6detail15normal_iteratorINS9_10device_ptrIjEEEENS0_8identityIjEEEE10hipError_tT2_T3_mT4_P12ihipStream_tbEUlT_E_NS1_11comp_targetILNS1_3genE10ELNS1_11target_archE1200ELNS1_3gpuE4ELNS1_3repE0EEENS1_30default_config_static_selectorELNS0_4arch9wavefront6targetE0EEEvT1_
	.p2align	8
	.type	_ZN7rocprim17ROCPRIM_400000_NS6detail17trampoline_kernelINS0_14default_configENS1_25transform_config_selectorIjLb0EEEZNS1_14transform_implILb0ES3_S5_PjN6thrust23THRUST_200600_302600_NS6detail15normal_iteratorINS9_10device_ptrIjEEEENS0_8identityIjEEEE10hipError_tT2_T3_mT4_P12ihipStream_tbEUlT_E_NS1_11comp_targetILNS1_3genE10ELNS1_11target_archE1200ELNS1_3gpuE4ELNS1_3repE0EEENS1_30default_config_static_selectorELNS0_4arch9wavefront6targetE0EEEvT1_,@function
_ZN7rocprim17ROCPRIM_400000_NS6detail17trampoline_kernelINS0_14default_configENS1_25transform_config_selectorIjLb0EEEZNS1_14transform_implILb0ES3_S5_PjN6thrust23THRUST_200600_302600_NS6detail15normal_iteratorINS9_10device_ptrIjEEEENS0_8identityIjEEEE10hipError_tT2_T3_mT4_P12ihipStream_tbEUlT_E_NS1_11comp_targetILNS1_3genE10ELNS1_11target_archE1200ELNS1_3gpuE4ELNS1_3repE0EEENS1_30default_config_static_selectorELNS0_4arch9wavefront6targetE0EEEvT1_: ; @_ZN7rocprim17ROCPRIM_400000_NS6detail17trampoline_kernelINS0_14default_configENS1_25transform_config_selectorIjLb0EEEZNS1_14transform_implILb0ES3_S5_PjN6thrust23THRUST_200600_302600_NS6detail15normal_iteratorINS9_10device_ptrIjEEEENS0_8identityIjEEEE10hipError_tT2_T3_mT4_P12ihipStream_tbEUlT_E_NS1_11comp_targetILNS1_3genE10ELNS1_11target_archE1200ELNS1_3gpuE4ELNS1_3repE0EEENS1_30default_config_static_selectorELNS0_4arch9wavefront6targetE0EEEvT1_
; %bb.0:
	.section	.rodata,"a",@progbits
	.p2align	6, 0x0
	.amdhsa_kernel _ZN7rocprim17ROCPRIM_400000_NS6detail17trampoline_kernelINS0_14default_configENS1_25transform_config_selectorIjLb0EEEZNS1_14transform_implILb0ES3_S5_PjN6thrust23THRUST_200600_302600_NS6detail15normal_iteratorINS9_10device_ptrIjEEEENS0_8identityIjEEEE10hipError_tT2_T3_mT4_P12ihipStream_tbEUlT_E_NS1_11comp_targetILNS1_3genE10ELNS1_11target_archE1200ELNS1_3gpuE4ELNS1_3repE0EEENS1_30default_config_static_selectorELNS0_4arch9wavefront6targetE0EEEvT1_
		.amdhsa_group_segment_fixed_size 0
		.amdhsa_private_segment_fixed_size 0
		.amdhsa_kernarg_size 40
		.amdhsa_user_sgpr_count 6
		.amdhsa_user_sgpr_private_segment_buffer 1
		.amdhsa_user_sgpr_dispatch_ptr 0
		.amdhsa_user_sgpr_queue_ptr 0
		.amdhsa_user_sgpr_kernarg_segment_ptr 1
		.amdhsa_user_sgpr_dispatch_id 0
		.amdhsa_user_sgpr_flat_scratch_init 0
		.amdhsa_user_sgpr_private_segment_size 0
		.amdhsa_wavefront_size32 1
		.amdhsa_uses_dynamic_stack 0
		.amdhsa_system_sgpr_private_segment_wavefront_offset 0
		.amdhsa_system_sgpr_workgroup_id_x 1
		.amdhsa_system_sgpr_workgroup_id_y 0
		.amdhsa_system_sgpr_workgroup_id_z 0
		.amdhsa_system_sgpr_workgroup_info 0
		.amdhsa_system_vgpr_workitem_id 0
		.amdhsa_next_free_vgpr 1
		.amdhsa_next_free_sgpr 1
		.amdhsa_reserve_vcc 0
		.amdhsa_reserve_flat_scratch 0
		.amdhsa_float_round_mode_32 0
		.amdhsa_float_round_mode_16_64 0
		.amdhsa_float_denorm_mode_32 3
		.amdhsa_float_denorm_mode_16_64 3
		.amdhsa_dx10_clamp 1
		.amdhsa_ieee_mode 1
		.amdhsa_fp16_overflow 0
		.amdhsa_workgroup_processor_mode 1
		.amdhsa_memory_ordered 1
		.amdhsa_forward_progress 1
		.amdhsa_shared_vgpr_count 0
		.amdhsa_exception_fp_ieee_invalid_op 0
		.amdhsa_exception_fp_denorm_src 0
		.amdhsa_exception_fp_ieee_div_zero 0
		.amdhsa_exception_fp_ieee_overflow 0
		.amdhsa_exception_fp_ieee_underflow 0
		.amdhsa_exception_fp_ieee_inexact 0
		.amdhsa_exception_int_div_zero 0
	.end_amdhsa_kernel
	.section	.text._ZN7rocprim17ROCPRIM_400000_NS6detail17trampoline_kernelINS0_14default_configENS1_25transform_config_selectorIjLb0EEEZNS1_14transform_implILb0ES3_S5_PjN6thrust23THRUST_200600_302600_NS6detail15normal_iteratorINS9_10device_ptrIjEEEENS0_8identityIjEEEE10hipError_tT2_T3_mT4_P12ihipStream_tbEUlT_E_NS1_11comp_targetILNS1_3genE10ELNS1_11target_archE1200ELNS1_3gpuE4ELNS1_3repE0EEENS1_30default_config_static_selectorELNS0_4arch9wavefront6targetE0EEEvT1_,"axG",@progbits,_ZN7rocprim17ROCPRIM_400000_NS6detail17trampoline_kernelINS0_14default_configENS1_25transform_config_selectorIjLb0EEEZNS1_14transform_implILb0ES3_S5_PjN6thrust23THRUST_200600_302600_NS6detail15normal_iteratorINS9_10device_ptrIjEEEENS0_8identityIjEEEE10hipError_tT2_T3_mT4_P12ihipStream_tbEUlT_E_NS1_11comp_targetILNS1_3genE10ELNS1_11target_archE1200ELNS1_3gpuE4ELNS1_3repE0EEENS1_30default_config_static_selectorELNS0_4arch9wavefront6targetE0EEEvT1_,comdat
.Lfunc_end201:
	.size	_ZN7rocprim17ROCPRIM_400000_NS6detail17trampoline_kernelINS0_14default_configENS1_25transform_config_selectorIjLb0EEEZNS1_14transform_implILb0ES3_S5_PjN6thrust23THRUST_200600_302600_NS6detail15normal_iteratorINS9_10device_ptrIjEEEENS0_8identityIjEEEE10hipError_tT2_T3_mT4_P12ihipStream_tbEUlT_E_NS1_11comp_targetILNS1_3genE10ELNS1_11target_archE1200ELNS1_3gpuE4ELNS1_3repE0EEENS1_30default_config_static_selectorELNS0_4arch9wavefront6targetE0EEEvT1_, .Lfunc_end201-_ZN7rocprim17ROCPRIM_400000_NS6detail17trampoline_kernelINS0_14default_configENS1_25transform_config_selectorIjLb0EEEZNS1_14transform_implILb0ES3_S5_PjN6thrust23THRUST_200600_302600_NS6detail15normal_iteratorINS9_10device_ptrIjEEEENS0_8identityIjEEEE10hipError_tT2_T3_mT4_P12ihipStream_tbEUlT_E_NS1_11comp_targetILNS1_3genE10ELNS1_11target_archE1200ELNS1_3gpuE4ELNS1_3repE0EEENS1_30default_config_static_selectorELNS0_4arch9wavefront6targetE0EEEvT1_
                                        ; -- End function
	.set _ZN7rocprim17ROCPRIM_400000_NS6detail17trampoline_kernelINS0_14default_configENS1_25transform_config_selectorIjLb0EEEZNS1_14transform_implILb0ES3_S5_PjN6thrust23THRUST_200600_302600_NS6detail15normal_iteratorINS9_10device_ptrIjEEEENS0_8identityIjEEEE10hipError_tT2_T3_mT4_P12ihipStream_tbEUlT_E_NS1_11comp_targetILNS1_3genE10ELNS1_11target_archE1200ELNS1_3gpuE4ELNS1_3repE0EEENS1_30default_config_static_selectorELNS0_4arch9wavefront6targetE0EEEvT1_.num_vgpr, 0
	.set _ZN7rocprim17ROCPRIM_400000_NS6detail17trampoline_kernelINS0_14default_configENS1_25transform_config_selectorIjLb0EEEZNS1_14transform_implILb0ES3_S5_PjN6thrust23THRUST_200600_302600_NS6detail15normal_iteratorINS9_10device_ptrIjEEEENS0_8identityIjEEEE10hipError_tT2_T3_mT4_P12ihipStream_tbEUlT_E_NS1_11comp_targetILNS1_3genE10ELNS1_11target_archE1200ELNS1_3gpuE4ELNS1_3repE0EEENS1_30default_config_static_selectorELNS0_4arch9wavefront6targetE0EEEvT1_.num_agpr, 0
	.set _ZN7rocprim17ROCPRIM_400000_NS6detail17trampoline_kernelINS0_14default_configENS1_25transform_config_selectorIjLb0EEEZNS1_14transform_implILb0ES3_S5_PjN6thrust23THRUST_200600_302600_NS6detail15normal_iteratorINS9_10device_ptrIjEEEENS0_8identityIjEEEE10hipError_tT2_T3_mT4_P12ihipStream_tbEUlT_E_NS1_11comp_targetILNS1_3genE10ELNS1_11target_archE1200ELNS1_3gpuE4ELNS1_3repE0EEENS1_30default_config_static_selectorELNS0_4arch9wavefront6targetE0EEEvT1_.numbered_sgpr, 0
	.set _ZN7rocprim17ROCPRIM_400000_NS6detail17trampoline_kernelINS0_14default_configENS1_25transform_config_selectorIjLb0EEEZNS1_14transform_implILb0ES3_S5_PjN6thrust23THRUST_200600_302600_NS6detail15normal_iteratorINS9_10device_ptrIjEEEENS0_8identityIjEEEE10hipError_tT2_T3_mT4_P12ihipStream_tbEUlT_E_NS1_11comp_targetILNS1_3genE10ELNS1_11target_archE1200ELNS1_3gpuE4ELNS1_3repE0EEENS1_30default_config_static_selectorELNS0_4arch9wavefront6targetE0EEEvT1_.num_named_barrier, 0
	.set _ZN7rocprim17ROCPRIM_400000_NS6detail17trampoline_kernelINS0_14default_configENS1_25transform_config_selectorIjLb0EEEZNS1_14transform_implILb0ES3_S5_PjN6thrust23THRUST_200600_302600_NS6detail15normal_iteratorINS9_10device_ptrIjEEEENS0_8identityIjEEEE10hipError_tT2_T3_mT4_P12ihipStream_tbEUlT_E_NS1_11comp_targetILNS1_3genE10ELNS1_11target_archE1200ELNS1_3gpuE4ELNS1_3repE0EEENS1_30default_config_static_selectorELNS0_4arch9wavefront6targetE0EEEvT1_.private_seg_size, 0
	.set _ZN7rocprim17ROCPRIM_400000_NS6detail17trampoline_kernelINS0_14default_configENS1_25transform_config_selectorIjLb0EEEZNS1_14transform_implILb0ES3_S5_PjN6thrust23THRUST_200600_302600_NS6detail15normal_iteratorINS9_10device_ptrIjEEEENS0_8identityIjEEEE10hipError_tT2_T3_mT4_P12ihipStream_tbEUlT_E_NS1_11comp_targetILNS1_3genE10ELNS1_11target_archE1200ELNS1_3gpuE4ELNS1_3repE0EEENS1_30default_config_static_selectorELNS0_4arch9wavefront6targetE0EEEvT1_.uses_vcc, 0
	.set _ZN7rocprim17ROCPRIM_400000_NS6detail17trampoline_kernelINS0_14default_configENS1_25transform_config_selectorIjLb0EEEZNS1_14transform_implILb0ES3_S5_PjN6thrust23THRUST_200600_302600_NS6detail15normal_iteratorINS9_10device_ptrIjEEEENS0_8identityIjEEEE10hipError_tT2_T3_mT4_P12ihipStream_tbEUlT_E_NS1_11comp_targetILNS1_3genE10ELNS1_11target_archE1200ELNS1_3gpuE4ELNS1_3repE0EEENS1_30default_config_static_selectorELNS0_4arch9wavefront6targetE0EEEvT1_.uses_flat_scratch, 0
	.set _ZN7rocprim17ROCPRIM_400000_NS6detail17trampoline_kernelINS0_14default_configENS1_25transform_config_selectorIjLb0EEEZNS1_14transform_implILb0ES3_S5_PjN6thrust23THRUST_200600_302600_NS6detail15normal_iteratorINS9_10device_ptrIjEEEENS0_8identityIjEEEE10hipError_tT2_T3_mT4_P12ihipStream_tbEUlT_E_NS1_11comp_targetILNS1_3genE10ELNS1_11target_archE1200ELNS1_3gpuE4ELNS1_3repE0EEENS1_30default_config_static_selectorELNS0_4arch9wavefront6targetE0EEEvT1_.has_dyn_sized_stack, 0
	.set _ZN7rocprim17ROCPRIM_400000_NS6detail17trampoline_kernelINS0_14default_configENS1_25transform_config_selectorIjLb0EEEZNS1_14transform_implILb0ES3_S5_PjN6thrust23THRUST_200600_302600_NS6detail15normal_iteratorINS9_10device_ptrIjEEEENS0_8identityIjEEEE10hipError_tT2_T3_mT4_P12ihipStream_tbEUlT_E_NS1_11comp_targetILNS1_3genE10ELNS1_11target_archE1200ELNS1_3gpuE4ELNS1_3repE0EEENS1_30default_config_static_selectorELNS0_4arch9wavefront6targetE0EEEvT1_.has_recursion, 0
	.set _ZN7rocprim17ROCPRIM_400000_NS6detail17trampoline_kernelINS0_14default_configENS1_25transform_config_selectorIjLb0EEEZNS1_14transform_implILb0ES3_S5_PjN6thrust23THRUST_200600_302600_NS6detail15normal_iteratorINS9_10device_ptrIjEEEENS0_8identityIjEEEE10hipError_tT2_T3_mT4_P12ihipStream_tbEUlT_E_NS1_11comp_targetILNS1_3genE10ELNS1_11target_archE1200ELNS1_3gpuE4ELNS1_3repE0EEENS1_30default_config_static_selectorELNS0_4arch9wavefront6targetE0EEEvT1_.has_indirect_call, 0
	.section	.AMDGPU.csdata,"",@progbits
; Kernel info:
; codeLenInByte = 0
; TotalNumSgprs: 0
; NumVgprs: 0
; ScratchSize: 0
; MemoryBound: 0
; FloatMode: 240
; IeeeMode: 1
; LDSByteSize: 0 bytes/workgroup (compile time only)
; SGPRBlocks: 0
; VGPRBlocks: 0
; NumSGPRsForWavesPerEU: 1
; NumVGPRsForWavesPerEU: 1
; Occupancy: 16
; WaveLimiterHint : 0
; COMPUTE_PGM_RSRC2:SCRATCH_EN: 0
; COMPUTE_PGM_RSRC2:USER_SGPR: 6
; COMPUTE_PGM_RSRC2:TRAP_HANDLER: 0
; COMPUTE_PGM_RSRC2:TGID_X_EN: 1
; COMPUTE_PGM_RSRC2:TGID_Y_EN: 0
; COMPUTE_PGM_RSRC2:TGID_Z_EN: 0
; COMPUTE_PGM_RSRC2:TIDIG_COMP_CNT: 0
	.section	.text._ZN7rocprim17ROCPRIM_400000_NS6detail17trampoline_kernelINS0_14default_configENS1_25transform_config_selectorIjLb0EEEZNS1_14transform_implILb0ES3_S5_PjN6thrust23THRUST_200600_302600_NS6detail15normal_iteratorINS9_10device_ptrIjEEEENS0_8identityIjEEEE10hipError_tT2_T3_mT4_P12ihipStream_tbEUlT_E_NS1_11comp_targetILNS1_3genE9ELNS1_11target_archE1100ELNS1_3gpuE3ELNS1_3repE0EEENS1_30default_config_static_selectorELNS0_4arch9wavefront6targetE0EEEvT1_,"axG",@progbits,_ZN7rocprim17ROCPRIM_400000_NS6detail17trampoline_kernelINS0_14default_configENS1_25transform_config_selectorIjLb0EEEZNS1_14transform_implILb0ES3_S5_PjN6thrust23THRUST_200600_302600_NS6detail15normal_iteratorINS9_10device_ptrIjEEEENS0_8identityIjEEEE10hipError_tT2_T3_mT4_P12ihipStream_tbEUlT_E_NS1_11comp_targetILNS1_3genE9ELNS1_11target_archE1100ELNS1_3gpuE3ELNS1_3repE0EEENS1_30default_config_static_selectorELNS0_4arch9wavefront6targetE0EEEvT1_,comdat
	.protected	_ZN7rocprim17ROCPRIM_400000_NS6detail17trampoline_kernelINS0_14default_configENS1_25transform_config_selectorIjLb0EEEZNS1_14transform_implILb0ES3_S5_PjN6thrust23THRUST_200600_302600_NS6detail15normal_iteratorINS9_10device_ptrIjEEEENS0_8identityIjEEEE10hipError_tT2_T3_mT4_P12ihipStream_tbEUlT_E_NS1_11comp_targetILNS1_3genE9ELNS1_11target_archE1100ELNS1_3gpuE3ELNS1_3repE0EEENS1_30default_config_static_selectorELNS0_4arch9wavefront6targetE0EEEvT1_ ; -- Begin function _ZN7rocprim17ROCPRIM_400000_NS6detail17trampoline_kernelINS0_14default_configENS1_25transform_config_selectorIjLb0EEEZNS1_14transform_implILb0ES3_S5_PjN6thrust23THRUST_200600_302600_NS6detail15normal_iteratorINS9_10device_ptrIjEEEENS0_8identityIjEEEE10hipError_tT2_T3_mT4_P12ihipStream_tbEUlT_E_NS1_11comp_targetILNS1_3genE9ELNS1_11target_archE1100ELNS1_3gpuE3ELNS1_3repE0EEENS1_30default_config_static_selectorELNS0_4arch9wavefront6targetE0EEEvT1_
	.globl	_ZN7rocprim17ROCPRIM_400000_NS6detail17trampoline_kernelINS0_14default_configENS1_25transform_config_selectorIjLb0EEEZNS1_14transform_implILb0ES3_S5_PjN6thrust23THRUST_200600_302600_NS6detail15normal_iteratorINS9_10device_ptrIjEEEENS0_8identityIjEEEE10hipError_tT2_T3_mT4_P12ihipStream_tbEUlT_E_NS1_11comp_targetILNS1_3genE9ELNS1_11target_archE1100ELNS1_3gpuE3ELNS1_3repE0EEENS1_30default_config_static_selectorELNS0_4arch9wavefront6targetE0EEEvT1_
	.p2align	8
	.type	_ZN7rocprim17ROCPRIM_400000_NS6detail17trampoline_kernelINS0_14default_configENS1_25transform_config_selectorIjLb0EEEZNS1_14transform_implILb0ES3_S5_PjN6thrust23THRUST_200600_302600_NS6detail15normal_iteratorINS9_10device_ptrIjEEEENS0_8identityIjEEEE10hipError_tT2_T3_mT4_P12ihipStream_tbEUlT_E_NS1_11comp_targetILNS1_3genE9ELNS1_11target_archE1100ELNS1_3gpuE3ELNS1_3repE0EEENS1_30default_config_static_selectorELNS0_4arch9wavefront6targetE0EEEvT1_,@function
_ZN7rocprim17ROCPRIM_400000_NS6detail17trampoline_kernelINS0_14default_configENS1_25transform_config_selectorIjLb0EEEZNS1_14transform_implILb0ES3_S5_PjN6thrust23THRUST_200600_302600_NS6detail15normal_iteratorINS9_10device_ptrIjEEEENS0_8identityIjEEEE10hipError_tT2_T3_mT4_P12ihipStream_tbEUlT_E_NS1_11comp_targetILNS1_3genE9ELNS1_11target_archE1100ELNS1_3gpuE3ELNS1_3repE0EEENS1_30default_config_static_selectorELNS0_4arch9wavefront6targetE0EEEvT1_: ; @_ZN7rocprim17ROCPRIM_400000_NS6detail17trampoline_kernelINS0_14default_configENS1_25transform_config_selectorIjLb0EEEZNS1_14transform_implILb0ES3_S5_PjN6thrust23THRUST_200600_302600_NS6detail15normal_iteratorINS9_10device_ptrIjEEEENS0_8identityIjEEEE10hipError_tT2_T3_mT4_P12ihipStream_tbEUlT_E_NS1_11comp_targetILNS1_3genE9ELNS1_11target_archE1100ELNS1_3gpuE3ELNS1_3repE0EEENS1_30default_config_static_selectorELNS0_4arch9wavefront6targetE0EEEvT1_
; %bb.0:
	.section	.rodata,"a",@progbits
	.p2align	6, 0x0
	.amdhsa_kernel _ZN7rocprim17ROCPRIM_400000_NS6detail17trampoline_kernelINS0_14default_configENS1_25transform_config_selectorIjLb0EEEZNS1_14transform_implILb0ES3_S5_PjN6thrust23THRUST_200600_302600_NS6detail15normal_iteratorINS9_10device_ptrIjEEEENS0_8identityIjEEEE10hipError_tT2_T3_mT4_P12ihipStream_tbEUlT_E_NS1_11comp_targetILNS1_3genE9ELNS1_11target_archE1100ELNS1_3gpuE3ELNS1_3repE0EEENS1_30default_config_static_selectorELNS0_4arch9wavefront6targetE0EEEvT1_
		.amdhsa_group_segment_fixed_size 0
		.amdhsa_private_segment_fixed_size 0
		.amdhsa_kernarg_size 40
		.amdhsa_user_sgpr_count 6
		.amdhsa_user_sgpr_private_segment_buffer 1
		.amdhsa_user_sgpr_dispatch_ptr 0
		.amdhsa_user_sgpr_queue_ptr 0
		.amdhsa_user_sgpr_kernarg_segment_ptr 1
		.amdhsa_user_sgpr_dispatch_id 0
		.amdhsa_user_sgpr_flat_scratch_init 0
		.amdhsa_user_sgpr_private_segment_size 0
		.amdhsa_wavefront_size32 1
		.amdhsa_uses_dynamic_stack 0
		.amdhsa_system_sgpr_private_segment_wavefront_offset 0
		.amdhsa_system_sgpr_workgroup_id_x 1
		.amdhsa_system_sgpr_workgroup_id_y 0
		.amdhsa_system_sgpr_workgroup_id_z 0
		.amdhsa_system_sgpr_workgroup_info 0
		.amdhsa_system_vgpr_workitem_id 0
		.amdhsa_next_free_vgpr 1
		.amdhsa_next_free_sgpr 1
		.amdhsa_reserve_vcc 0
		.amdhsa_reserve_flat_scratch 0
		.amdhsa_float_round_mode_32 0
		.amdhsa_float_round_mode_16_64 0
		.amdhsa_float_denorm_mode_32 3
		.amdhsa_float_denorm_mode_16_64 3
		.amdhsa_dx10_clamp 1
		.amdhsa_ieee_mode 1
		.amdhsa_fp16_overflow 0
		.amdhsa_workgroup_processor_mode 1
		.amdhsa_memory_ordered 1
		.amdhsa_forward_progress 1
		.amdhsa_shared_vgpr_count 0
		.amdhsa_exception_fp_ieee_invalid_op 0
		.amdhsa_exception_fp_denorm_src 0
		.amdhsa_exception_fp_ieee_div_zero 0
		.amdhsa_exception_fp_ieee_overflow 0
		.amdhsa_exception_fp_ieee_underflow 0
		.amdhsa_exception_fp_ieee_inexact 0
		.amdhsa_exception_int_div_zero 0
	.end_amdhsa_kernel
	.section	.text._ZN7rocprim17ROCPRIM_400000_NS6detail17trampoline_kernelINS0_14default_configENS1_25transform_config_selectorIjLb0EEEZNS1_14transform_implILb0ES3_S5_PjN6thrust23THRUST_200600_302600_NS6detail15normal_iteratorINS9_10device_ptrIjEEEENS0_8identityIjEEEE10hipError_tT2_T3_mT4_P12ihipStream_tbEUlT_E_NS1_11comp_targetILNS1_3genE9ELNS1_11target_archE1100ELNS1_3gpuE3ELNS1_3repE0EEENS1_30default_config_static_selectorELNS0_4arch9wavefront6targetE0EEEvT1_,"axG",@progbits,_ZN7rocprim17ROCPRIM_400000_NS6detail17trampoline_kernelINS0_14default_configENS1_25transform_config_selectorIjLb0EEEZNS1_14transform_implILb0ES3_S5_PjN6thrust23THRUST_200600_302600_NS6detail15normal_iteratorINS9_10device_ptrIjEEEENS0_8identityIjEEEE10hipError_tT2_T3_mT4_P12ihipStream_tbEUlT_E_NS1_11comp_targetILNS1_3genE9ELNS1_11target_archE1100ELNS1_3gpuE3ELNS1_3repE0EEENS1_30default_config_static_selectorELNS0_4arch9wavefront6targetE0EEEvT1_,comdat
.Lfunc_end202:
	.size	_ZN7rocprim17ROCPRIM_400000_NS6detail17trampoline_kernelINS0_14default_configENS1_25transform_config_selectorIjLb0EEEZNS1_14transform_implILb0ES3_S5_PjN6thrust23THRUST_200600_302600_NS6detail15normal_iteratorINS9_10device_ptrIjEEEENS0_8identityIjEEEE10hipError_tT2_T3_mT4_P12ihipStream_tbEUlT_E_NS1_11comp_targetILNS1_3genE9ELNS1_11target_archE1100ELNS1_3gpuE3ELNS1_3repE0EEENS1_30default_config_static_selectorELNS0_4arch9wavefront6targetE0EEEvT1_, .Lfunc_end202-_ZN7rocprim17ROCPRIM_400000_NS6detail17trampoline_kernelINS0_14default_configENS1_25transform_config_selectorIjLb0EEEZNS1_14transform_implILb0ES3_S5_PjN6thrust23THRUST_200600_302600_NS6detail15normal_iteratorINS9_10device_ptrIjEEEENS0_8identityIjEEEE10hipError_tT2_T3_mT4_P12ihipStream_tbEUlT_E_NS1_11comp_targetILNS1_3genE9ELNS1_11target_archE1100ELNS1_3gpuE3ELNS1_3repE0EEENS1_30default_config_static_selectorELNS0_4arch9wavefront6targetE0EEEvT1_
                                        ; -- End function
	.set _ZN7rocprim17ROCPRIM_400000_NS6detail17trampoline_kernelINS0_14default_configENS1_25transform_config_selectorIjLb0EEEZNS1_14transform_implILb0ES3_S5_PjN6thrust23THRUST_200600_302600_NS6detail15normal_iteratorINS9_10device_ptrIjEEEENS0_8identityIjEEEE10hipError_tT2_T3_mT4_P12ihipStream_tbEUlT_E_NS1_11comp_targetILNS1_3genE9ELNS1_11target_archE1100ELNS1_3gpuE3ELNS1_3repE0EEENS1_30default_config_static_selectorELNS0_4arch9wavefront6targetE0EEEvT1_.num_vgpr, 0
	.set _ZN7rocprim17ROCPRIM_400000_NS6detail17trampoline_kernelINS0_14default_configENS1_25transform_config_selectorIjLb0EEEZNS1_14transform_implILb0ES3_S5_PjN6thrust23THRUST_200600_302600_NS6detail15normal_iteratorINS9_10device_ptrIjEEEENS0_8identityIjEEEE10hipError_tT2_T3_mT4_P12ihipStream_tbEUlT_E_NS1_11comp_targetILNS1_3genE9ELNS1_11target_archE1100ELNS1_3gpuE3ELNS1_3repE0EEENS1_30default_config_static_selectorELNS0_4arch9wavefront6targetE0EEEvT1_.num_agpr, 0
	.set _ZN7rocprim17ROCPRIM_400000_NS6detail17trampoline_kernelINS0_14default_configENS1_25transform_config_selectorIjLb0EEEZNS1_14transform_implILb0ES3_S5_PjN6thrust23THRUST_200600_302600_NS6detail15normal_iteratorINS9_10device_ptrIjEEEENS0_8identityIjEEEE10hipError_tT2_T3_mT4_P12ihipStream_tbEUlT_E_NS1_11comp_targetILNS1_3genE9ELNS1_11target_archE1100ELNS1_3gpuE3ELNS1_3repE0EEENS1_30default_config_static_selectorELNS0_4arch9wavefront6targetE0EEEvT1_.numbered_sgpr, 0
	.set _ZN7rocprim17ROCPRIM_400000_NS6detail17trampoline_kernelINS0_14default_configENS1_25transform_config_selectorIjLb0EEEZNS1_14transform_implILb0ES3_S5_PjN6thrust23THRUST_200600_302600_NS6detail15normal_iteratorINS9_10device_ptrIjEEEENS0_8identityIjEEEE10hipError_tT2_T3_mT4_P12ihipStream_tbEUlT_E_NS1_11comp_targetILNS1_3genE9ELNS1_11target_archE1100ELNS1_3gpuE3ELNS1_3repE0EEENS1_30default_config_static_selectorELNS0_4arch9wavefront6targetE0EEEvT1_.num_named_barrier, 0
	.set _ZN7rocprim17ROCPRIM_400000_NS6detail17trampoline_kernelINS0_14default_configENS1_25transform_config_selectorIjLb0EEEZNS1_14transform_implILb0ES3_S5_PjN6thrust23THRUST_200600_302600_NS6detail15normal_iteratorINS9_10device_ptrIjEEEENS0_8identityIjEEEE10hipError_tT2_T3_mT4_P12ihipStream_tbEUlT_E_NS1_11comp_targetILNS1_3genE9ELNS1_11target_archE1100ELNS1_3gpuE3ELNS1_3repE0EEENS1_30default_config_static_selectorELNS0_4arch9wavefront6targetE0EEEvT1_.private_seg_size, 0
	.set _ZN7rocprim17ROCPRIM_400000_NS6detail17trampoline_kernelINS0_14default_configENS1_25transform_config_selectorIjLb0EEEZNS1_14transform_implILb0ES3_S5_PjN6thrust23THRUST_200600_302600_NS6detail15normal_iteratorINS9_10device_ptrIjEEEENS0_8identityIjEEEE10hipError_tT2_T3_mT4_P12ihipStream_tbEUlT_E_NS1_11comp_targetILNS1_3genE9ELNS1_11target_archE1100ELNS1_3gpuE3ELNS1_3repE0EEENS1_30default_config_static_selectorELNS0_4arch9wavefront6targetE0EEEvT1_.uses_vcc, 0
	.set _ZN7rocprim17ROCPRIM_400000_NS6detail17trampoline_kernelINS0_14default_configENS1_25transform_config_selectorIjLb0EEEZNS1_14transform_implILb0ES3_S5_PjN6thrust23THRUST_200600_302600_NS6detail15normal_iteratorINS9_10device_ptrIjEEEENS0_8identityIjEEEE10hipError_tT2_T3_mT4_P12ihipStream_tbEUlT_E_NS1_11comp_targetILNS1_3genE9ELNS1_11target_archE1100ELNS1_3gpuE3ELNS1_3repE0EEENS1_30default_config_static_selectorELNS0_4arch9wavefront6targetE0EEEvT1_.uses_flat_scratch, 0
	.set _ZN7rocprim17ROCPRIM_400000_NS6detail17trampoline_kernelINS0_14default_configENS1_25transform_config_selectorIjLb0EEEZNS1_14transform_implILb0ES3_S5_PjN6thrust23THRUST_200600_302600_NS6detail15normal_iteratorINS9_10device_ptrIjEEEENS0_8identityIjEEEE10hipError_tT2_T3_mT4_P12ihipStream_tbEUlT_E_NS1_11comp_targetILNS1_3genE9ELNS1_11target_archE1100ELNS1_3gpuE3ELNS1_3repE0EEENS1_30default_config_static_selectorELNS0_4arch9wavefront6targetE0EEEvT1_.has_dyn_sized_stack, 0
	.set _ZN7rocprim17ROCPRIM_400000_NS6detail17trampoline_kernelINS0_14default_configENS1_25transform_config_selectorIjLb0EEEZNS1_14transform_implILb0ES3_S5_PjN6thrust23THRUST_200600_302600_NS6detail15normal_iteratorINS9_10device_ptrIjEEEENS0_8identityIjEEEE10hipError_tT2_T3_mT4_P12ihipStream_tbEUlT_E_NS1_11comp_targetILNS1_3genE9ELNS1_11target_archE1100ELNS1_3gpuE3ELNS1_3repE0EEENS1_30default_config_static_selectorELNS0_4arch9wavefront6targetE0EEEvT1_.has_recursion, 0
	.set _ZN7rocprim17ROCPRIM_400000_NS6detail17trampoline_kernelINS0_14default_configENS1_25transform_config_selectorIjLb0EEEZNS1_14transform_implILb0ES3_S5_PjN6thrust23THRUST_200600_302600_NS6detail15normal_iteratorINS9_10device_ptrIjEEEENS0_8identityIjEEEE10hipError_tT2_T3_mT4_P12ihipStream_tbEUlT_E_NS1_11comp_targetILNS1_3genE9ELNS1_11target_archE1100ELNS1_3gpuE3ELNS1_3repE0EEENS1_30default_config_static_selectorELNS0_4arch9wavefront6targetE0EEEvT1_.has_indirect_call, 0
	.section	.AMDGPU.csdata,"",@progbits
; Kernel info:
; codeLenInByte = 0
; TotalNumSgprs: 0
; NumVgprs: 0
; ScratchSize: 0
; MemoryBound: 0
; FloatMode: 240
; IeeeMode: 1
; LDSByteSize: 0 bytes/workgroup (compile time only)
; SGPRBlocks: 0
; VGPRBlocks: 0
; NumSGPRsForWavesPerEU: 1
; NumVGPRsForWavesPerEU: 1
; Occupancy: 16
; WaveLimiterHint : 0
; COMPUTE_PGM_RSRC2:SCRATCH_EN: 0
; COMPUTE_PGM_RSRC2:USER_SGPR: 6
; COMPUTE_PGM_RSRC2:TRAP_HANDLER: 0
; COMPUTE_PGM_RSRC2:TGID_X_EN: 1
; COMPUTE_PGM_RSRC2:TGID_Y_EN: 0
; COMPUTE_PGM_RSRC2:TGID_Z_EN: 0
; COMPUTE_PGM_RSRC2:TIDIG_COMP_CNT: 0
	.section	.text._ZN7rocprim17ROCPRIM_400000_NS6detail17trampoline_kernelINS0_14default_configENS1_25transform_config_selectorIjLb0EEEZNS1_14transform_implILb0ES3_S5_PjN6thrust23THRUST_200600_302600_NS6detail15normal_iteratorINS9_10device_ptrIjEEEENS0_8identityIjEEEE10hipError_tT2_T3_mT4_P12ihipStream_tbEUlT_E_NS1_11comp_targetILNS1_3genE8ELNS1_11target_archE1030ELNS1_3gpuE2ELNS1_3repE0EEENS1_30default_config_static_selectorELNS0_4arch9wavefront6targetE0EEEvT1_,"axG",@progbits,_ZN7rocprim17ROCPRIM_400000_NS6detail17trampoline_kernelINS0_14default_configENS1_25transform_config_selectorIjLb0EEEZNS1_14transform_implILb0ES3_S5_PjN6thrust23THRUST_200600_302600_NS6detail15normal_iteratorINS9_10device_ptrIjEEEENS0_8identityIjEEEE10hipError_tT2_T3_mT4_P12ihipStream_tbEUlT_E_NS1_11comp_targetILNS1_3genE8ELNS1_11target_archE1030ELNS1_3gpuE2ELNS1_3repE0EEENS1_30default_config_static_selectorELNS0_4arch9wavefront6targetE0EEEvT1_,comdat
	.protected	_ZN7rocprim17ROCPRIM_400000_NS6detail17trampoline_kernelINS0_14default_configENS1_25transform_config_selectorIjLb0EEEZNS1_14transform_implILb0ES3_S5_PjN6thrust23THRUST_200600_302600_NS6detail15normal_iteratorINS9_10device_ptrIjEEEENS0_8identityIjEEEE10hipError_tT2_T3_mT4_P12ihipStream_tbEUlT_E_NS1_11comp_targetILNS1_3genE8ELNS1_11target_archE1030ELNS1_3gpuE2ELNS1_3repE0EEENS1_30default_config_static_selectorELNS0_4arch9wavefront6targetE0EEEvT1_ ; -- Begin function _ZN7rocprim17ROCPRIM_400000_NS6detail17trampoline_kernelINS0_14default_configENS1_25transform_config_selectorIjLb0EEEZNS1_14transform_implILb0ES3_S5_PjN6thrust23THRUST_200600_302600_NS6detail15normal_iteratorINS9_10device_ptrIjEEEENS0_8identityIjEEEE10hipError_tT2_T3_mT4_P12ihipStream_tbEUlT_E_NS1_11comp_targetILNS1_3genE8ELNS1_11target_archE1030ELNS1_3gpuE2ELNS1_3repE0EEENS1_30default_config_static_selectorELNS0_4arch9wavefront6targetE0EEEvT1_
	.globl	_ZN7rocprim17ROCPRIM_400000_NS6detail17trampoline_kernelINS0_14default_configENS1_25transform_config_selectorIjLb0EEEZNS1_14transform_implILb0ES3_S5_PjN6thrust23THRUST_200600_302600_NS6detail15normal_iteratorINS9_10device_ptrIjEEEENS0_8identityIjEEEE10hipError_tT2_T3_mT4_P12ihipStream_tbEUlT_E_NS1_11comp_targetILNS1_3genE8ELNS1_11target_archE1030ELNS1_3gpuE2ELNS1_3repE0EEENS1_30default_config_static_selectorELNS0_4arch9wavefront6targetE0EEEvT1_
	.p2align	8
	.type	_ZN7rocprim17ROCPRIM_400000_NS6detail17trampoline_kernelINS0_14default_configENS1_25transform_config_selectorIjLb0EEEZNS1_14transform_implILb0ES3_S5_PjN6thrust23THRUST_200600_302600_NS6detail15normal_iteratorINS9_10device_ptrIjEEEENS0_8identityIjEEEE10hipError_tT2_T3_mT4_P12ihipStream_tbEUlT_E_NS1_11comp_targetILNS1_3genE8ELNS1_11target_archE1030ELNS1_3gpuE2ELNS1_3repE0EEENS1_30default_config_static_selectorELNS0_4arch9wavefront6targetE0EEEvT1_,@function
_ZN7rocprim17ROCPRIM_400000_NS6detail17trampoline_kernelINS0_14default_configENS1_25transform_config_selectorIjLb0EEEZNS1_14transform_implILb0ES3_S5_PjN6thrust23THRUST_200600_302600_NS6detail15normal_iteratorINS9_10device_ptrIjEEEENS0_8identityIjEEEE10hipError_tT2_T3_mT4_P12ihipStream_tbEUlT_E_NS1_11comp_targetILNS1_3genE8ELNS1_11target_archE1030ELNS1_3gpuE2ELNS1_3repE0EEENS1_30default_config_static_selectorELNS0_4arch9wavefront6targetE0EEEvT1_: ; @_ZN7rocprim17ROCPRIM_400000_NS6detail17trampoline_kernelINS0_14default_configENS1_25transform_config_selectorIjLb0EEEZNS1_14transform_implILb0ES3_S5_PjN6thrust23THRUST_200600_302600_NS6detail15normal_iteratorINS9_10device_ptrIjEEEENS0_8identityIjEEEE10hipError_tT2_T3_mT4_P12ihipStream_tbEUlT_E_NS1_11comp_targetILNS1_3genE8ELNS1_11target_archE1030ELNS1_3gpuE2ELNS1_3repE0EEENS1_30default_config_static_selectorELNS0_4arch9wavefront6targetE0EEEvT1_
; %bb.0:
	s_clause 0x1
	s_load_dword s0, s[4:5], 0x28
	s_load_dword s1, s[4:5], 0x10
	s_waitcnt lgkmcnt(0)
	s_add_i32 s2, s0, -1
	s_lshl_b32 s0, s6, 8
	s_cmp_lg_u32 s6, s2
	s_cselect_b32 s2, -1, 0
	s_sub_i32 s1, s1, s0
	v_cmp_gt_u32_e32 vcc_lo, s1, v0
	s_or_b32 s1, vcc_lo, s2
	s_and_saveexec_b32 s2, s1
	s_cbranch_execz .LBB203_2
; %bb.1:
	s_clause 0x1
	s_load_dwordx4 s[8:11], s[4:5], 0x0
	s_load_dwordx2 s[2:3], s[4:5], 0x18
	s_mov_b32 s1, 0
	v_lshlrev_b32_e32 v0, 2, v0
	s_waitcnt lgkmcnt(0)
	s_lshl_b64 s[4:5], s[10:11], 2
	s_add_u32 s6, s8, s4
	s_addc_u32 s7, s9, s5
	s_lshl_b64 s[0:1], s[0:1], 2
	s_add_u32 s6, s6, s0
	s_addc_u32 s7, s7, s1
	s_add_u32 s2, s2, s4
	global_load_dword v2, v0, s[6:7]
	s_addc_u32 s3, s3, s5
	s_add_u32 s0, s2, s0
	s_addc_u32 s1, s3, s1
	v_add_co_u32 v0, s0, s0, v0
	v_add_co_ci_u32_e64 v1, null, s1, 0, s0
	s_waitcnt vmcnt(0)
	flat_store_dword v[0:1], v2
.LBB203_2:
	s_endpgm
	.section	.rodata,"a",@progbits
	.p2align	6, 0x0
	.amdhsa_kernel _ZN7rocprim17ROCPRIM_400000_NS6detail17trampoline_kernelINS0_14default_configENS1_25transform_config_selectorIjLb0EEEZNS1_14transform_implILb0ES3_S5_PjN6thrust23THRUST_200600_302600_NS6detail15normal_iteratorINS9_10device_ptrIjEEEENS0_8identityIjEEEE10hipError_tT2_T3_mT4_P12ihipStream_tbEUlT_E_NS1_11comp_targetILNS1_3genE8ELNS1_11target_archE1030ELNS1_3gpuE2ELNS1_3repE0EEENS1_30default_config_static_selectorELNS0_4arch9wavefront6targetE0EEEvT1_
		.amdhsa_group_segment_fixed_size 0
		.amdhsa_private_segment_fixed_size 0
		.amdhsa_kernarg_size 296
		.amdhsa_user_sgpr_count 6
		.amdhsa_user_sgpr_private_segment_buffer 1
		.amdhsa_user_sgpr_dispatch_ptr 0
		.amdhsa_user_sgpr_queue_ptr 0
		.amdhsa_user_sgpr_kernarg_segment_ptr 1
		.amdhsa_user_sgpr_dispatch_id 0
		.amdhsa_user_sgpr_flat_scratch_init 0
		.amdhsa_user_sgpr_private_segment_size 0
		.amdhsa_wavefront_size32 1
		.amdhsa_uses_dynamic_stack 0
		.amdhsa_system_sgpr_private_segment_wavefront_offset 0
		.amdhsa_system_sgpr_workgroup_id_x 1
		.amdhsa_system_sgpr_workgroup_id_y 0
		.amdhsa_system_sgpr_workgroup_id_z 0
		.amdhsa_system_sgpr_workgroup_info 0
		.amdhsa_system_vgpr_workitem_id 0
		.amdhsa_next_free_vgpr 3
		.amdhsa_next_free_sgpr 12
		.amdhsa_reserve_vcc 1
		.amdhsa_reserve_flat_scratch 0
		.amdhsa_float_round_mode_32 0
		.amdhsa_float_round_mode_16_64 0
		.amdhsa_float_denorm_mode_32 3
		.amdhsa_float_denorm_mode_16_64 3
		.amdhsa_dx10_clamp 1
		.amdhsa_ieee_mode 1
		.amdhsa_fp16_overflow 0
		.amdhsa_workgroup_processor_mode 1
		.amdhsa_memory_ordered 1
		.amdhsa_forward_progress 1
		.amdhsa_shared_vgpr_count 0
		.amdhsa_exception_fp_ieee_invalid_op 0
		.amdhsa_exception_fp_denorm_src 0
		.amdhsa_exception_fp_ieee_div_zero 0
		.amdhsa_exception_fp_ieee_overflow 0
		.amdhsa_exception_fp_ieee_underflow 0
		.amdhsa_exception_fp_ieee_inexact 0
		.amdhsa_exception_int_div_zero 0
	.end_amdhsa_kernel
	.section	.text._ZN7rocprim17ROCPRIM_400000_NS6detail17trampoline_kernelINS0_14default_configENS1_25transform_config_selectorIjLb0EEEZNS1_14transform_implILb0ES3_S5_PjN6thrust23THRUST_200600_302600_NS6detail15normal_iteratorINS9_10device_ptrIjEEEENS0_8identityIjEEEE10hipError_tT2_T3_mT4_P12ihipStream_tbEUlT_E_NS1_11comp_targetILNS1_3genE8ELNS1_11target_archE1030ELNS1_3gpuE2ELNS1_3repE0EEENS1_30default_config_static_selectorELNS0_4arch9wavefront6targetE0EEEvT1_,"axG",@progbits,_ZN7rocprim17ROCPRIM_400000_NS6detail17trampoline_kernelINS0_14default_configENS1_25transform_config_selectorIjLb0EEEZNS1_14transform_implILb0ES3_S5_PjN6thrust23THRUST_200600_302600_NS6detail15normal_iteratorINS9_10device_ptrIjEEEENS0_8identityIjEEEE10hipError_tT2_T3_mT4_P12ihipStream_tbEUlT_E_NS1_11comp_targetILNS1_3genE8ELNS1_11target_archE1030ELNS1_3gpuE2ELNS1_3repE0EEENS1_30default_config_static_selectorELNS0_4arch9wavefront6targetE0EEEvT1_,comdat
.Lfunc_end203:
	.size	_ZN7rocprim17ROCPRIM_400000_NS6detail17trampoline_kernelINS0_14default_configENS1_25transform_config_selectorIjLb0EEEZNS1_14transform_implILb0ES3_S5_PjN6thrust23THRUST_200600_302600_NS6detail15normal_iteratorINS9_10device_ptrIjEEEENS0_8identityIjEEEE10hipError_tT2_T3_mT4_P12ihipStream_tbEUlT_E_NS1_11comp_targetILNS1_3genE8ELNS1_11target_archE1030ELNS1_3gpuE2ELNS1_3repE0EEENS1_30default_config_static_selectorELNS0_4arch9wavefront6targetE0EEEvT1_, .Lfunc_end203-_ZN7rocprim17ROCPRIM_400000_NS6detail17trampoline_kernelINS0_14default_configENS1_25transform_config_selectorIjLb0EEEZNS1_14transform_implILb0ES3_S5_PjN6thrust23THRUST_200600_302600_NS6detail15normal_iteratorINS9_10device_ptrIjEEEENS0_8identityIjEEEE10hipError_tT2_T3_mT4_P12ihipStream_tbEUlT_E_NS1_11comp_targetILNS1_3genE8ELNS1_11target_archE1030ELNS1_3gpuE2ELNS1_3repE0EEENS1_30default_config_static_selectorELNS0_4arch9wavefront6targetE0EEEvT1_
                                        ; -- End function
	.set _ZN7rocprim17ROCPRIM_400000_NS6detail17trampoline_kernelINS0_14default_configENS1_25transform_config_selectorIjLb0EEEZNS1_14transform_implILb0ES3_S5_PjN6thrust23THRUST_200600_302600_NS6detail15normal_iteratorINS9_10device_ptrIjEEEENS0_8identityIjEEEE10hipError_tT2_T3_mT4_P12ihipStream_tbEUlT_E_NS1_11comp_targetILNS1_3genE8ELNS1_11target_archE1030ELNS1_3gpuE2ELNS1_3repE0EEENS1_30default_config_static_selectorELNS0_4arch9wavefront6targetE0EEEvT1_.num_vgpr, 3
	.set _ZN7rocprim17ROCPRIM_400000_NS6detail17trampoline_kernelINS0_14default_configENS1_25transform_config_selectorIjLb0EEEZNS1_14transform_implILb0ES3_S5_PjN6thrust23THRUST_200600_302600_NS6detail15normal_iteratorINS9_10device_ptrIjEEEENS0_8identityIjEEEE10hipError_tT2_T3_mT4_P12ihipStream_tbEUlT_E_NS1_11comp_targetILNS1_3genE8ELNS1_11target_archE1030ELNS1_3gpuE2ELNS1_3repE0EEENS1_30default_config_static_selectorELNS0_4arch9wavefront6targetE0EEEvT1_.num_agpr, 0
	.set _ZN7rocprim17ROCPRIM_400000_NS6detail17trampoline_kernelINS0_14default_configENS1_25transform_config_selectorIjLb0EEEZNS1_14transform_implILb0ES3_S5_PjN6thrust23THRUST_200600_302600_NS6detail15normal_iteratorINS9_10device_ptrIjEEEENS0_8identityIjEEEE10hipError_tT2_T3_mT4_P12ihipStream_tbEUlT_E_NS1_11comp_targetILNS1_3genE8ELNS1_11target_archE1030ELNS1_3gpuE2ELNS1_3repE0EEENS1_30default_config_static_selectorELNS0_4arch9wavefront6targetE0EEEvT1_.numbered_sgpr, 12
	.set _ZN7rocprim17ROCPRIM_400000_NS6detail17trampoline_kernelINS0_14default_configENS1_25transform_config_selectorIjLb0EEEZNS1_14transform_implILb0ES3_S5_PjN6thrust23THRUST_200600_302600_NS6detail15normal_iteratorINS9_10device_ptrIjEEEENS0_8identityIjEEEE10hipError_tT2_T3_mT4_P12ihipStream_tbEUlT_E_NS1_11comp_targetILNS1_3genE8ELNS1_11target_archE1030ELNS1_3gpuE2ELNS1_3repE0EEENS1_30default_config_static_selectorELNS0_4arch9wavefront6targetE0EEEvT1_.num_named_barrier, 0
	.set _ZN7rocprim17ROCPRIM_400000_NS6detail17trampoline_kernelINS0_14default_configENS1_25transform_config_selectorIjLb0EEEZNS1_14transform_implILb0ES3_S5_PjN6thrust23THRUST_200600_302600_NS6detail15normal_iteratorINS9_10device_ptrIjEEEENS0_8identityIjEEEE10hipError_tT2_T3_mT4_P12ihipStream_tbEUlT_E_NS1_11comp_targetILNS1_3genE8ELNS1_11target_archE1030ELNS1_3gpuE2ELNS1_3repE0EEENS1_30default_config_static_selectorELNS0_4arch9wavefront6targetE0EEEvT1_.private_seg_size, 0
	.set _ZN7rocprim17ROCPRIM_400000_NS6detail17trampoline_kernelINS0_14default_configENS1_25transform_config_selectorIjLb0EEEZNS1_14transform_implILb0ES3_S5_PjN6thrust23THRUST_200600_302600_NS6detail15normal_iteratorINS9_10device_ptrIjEEEENS0_8identityIjEEEE10hipError_tT2_T3_mT4_P12ihipStream_tbEUlT_E_NS1_11comp_targetILNS1_3genE8ELNS1_11target_archE1030ELNS1_3gpuE2ELNS1_3repE0EEENS1_30default_config_static_selectorELNS0_4arch9wavefront6targetE0EEEvT1_.uses_vcc, 1
	.set _ZN7rocprim17ROCPRIM_400000_NS6detail17trampoline_kernelINS0_14default_configENS1_25transform_config_selectorIjLb0EEEZNS1_14transform_implILb0ES3_S5_PjN6thrust23THRUST_200600_302600_NS6detail15normal_iteratorINS9_10device_ptrIjEEEENS0_8identityIjEEEE10hipError_tT2_T3_mT4_P12ihipStream_tbEUlT_E_NS1_11comp_targetILNS1_3genE8ELNS1_11target_archE1030ELNS1_3gpuE2ELNS1_3repE0EEENS1_30default_config_static_selectorELNS0_4arch9wavefront6targetE0EEEvT1_.uses_flat_scratch, 0
	.set _ZN7rocprim17ROCPRIM_400000_NS6detail17trampoline_kernelINS0_14default_configENS1_25transform_config_selectorIjLb0EEEZNS1_14transform_implILb0ES3_S5_PjN6thrust23THRUST_200600_302600_NS6detail15normal_iteratorINS9_10device_ptrIjEEEENS0_8identityIjEEEE10hipError_tT2_T3_mT4_P12ihipStream_tbEUlT_E_NS1_11comp_targetILNS1_3genE8ELNS1_11target_archE1030ELNS1_3gpuE2ELNS1_3repE0EEENS1_30default_config_static_selectorELNS0_4arch9wavefront6targetE0EEEvT1_.has_dyn_sized_stack, 0
	.set _ZN7rocprim17ROCPRIM_400000_NS6detail17trampoline_kernelINS0_14default_configENS1_25transform_config_selectorIjLb0EEEZNS1_14transform_implILb0ES3_S5_PjN6thrust23THRUST_200600_302600_NS6detail15normal_iteratorINS9_10device_ptrIjEEEENS0_8identityIjEEEE10hipError_tT2_T3_mT4_P12ihipStream_tbEUlT_E_NS1_11comp_targetILNS1_3genE8ELNS1_11target_archE1030ELNS1_3gpuE2ELNS1_3repE0EEENS1_30default_config_static_selectorELNS0_4arch9wavefront6targetE0EEEvT1_.has_recursion, 0
	.set _ZN7rocprim17ROCPRIM_400000_NS6detail17trampoline_kernelINS0_14default_configENS1_25transform_config_selectorIjLb0EEEZNS1_14transform_implILb0ES3_S5_PjN6thrust23THRUST_200600_302600_NS6detail15normal_iteratorINS9_10device_ptrIjEEEENS0_8identityIjEEEE10hipError_tT2_T3_mT4_P12ihipStream_tbEUlT_E_NS1_11comp_targetILNS1_3genE8ELNS1_11target_archE1030ELNS1_3gpuE2ELNS1_3repE0EEENS1_30default_config_static_selectorELNS0_4arch9wavefront6targetE0EEEvT1_.has_indirect_call, 0
	.section	.AMDGPU.csdata,"",@progbits
; Kernel info:
; codeLenInByte = 172
; TotalNumSgprs: 14
; NumVgprs: 3
; ScratchSize: 0
; MemoryBound: 0
; FloatMode: 240
; IeeeMode: 1
; LDSByteSize: 0 bytes/workgroup (compile time only)
; SGPRBlocks: 0
; VGPRBlocks: 0
; NumSGPRsForWavesPerEU: 14
; NumVGPRsForWavesPerEU: 3
; Occupancy: 16
; WaveLimiterHint : 0
; COMPUTE_PGM_RSRC2:SCRATCH_EN: 0
; COMPUTE_PGM_RSRC2:USER_SGPR: 6
; COMPUTE_PGM_RSRC2:TRAP_HANDLER: 0
; COMPUTE_PGM_RSRC2:TGID_X_EN: 1
; COMPUTE_PGM_RSRC2:TGID_Y_EN: 0
; COMPUTE_PGM_RSRC2:TGID_Z_EN: 0
; COMPUTE_PGM_RSRC2:TIDIG_COMP_CNT: 0
	.section	.text._ZN7rocprim17ROCPRIM_400000_NS6detail17trampoline_kernelINS0_14default_configENS1_22reduce_config_selectorIN6thrust23THRUST_200600_302600_NS5tupleIblNS6_9null_typeES8_S8_S8_S8_S8_S8_S8_EEEEZNS1_11reduce_implILb1ES3_NS6_12zip_iteratorINS7_INS6_11hip_rocprim26transform_input_iterator_tIbNSD_35transform_pair_of_input_iterators_tIbNS6_6detail15normal_iteratorINS6_10device_ptrIKjEEEESL_NS6_8equal_toIjEEEENSG_9not_fun_tINSD_8identityEEEEENSD_19counting_iterator_tIlEES8_S8_S8_S8_S8_S8_S8_S8_EEEEPS9_S9_NSD_9__find_if7functorIS9_EEEE10hipError_tPvRmT1_T2_T3_mT4_P12ihipStream_tbEUlT_E0_NS1_11comp_targetILNS1_3genE0ELNS1_11target_archE4294967295ELNS1_3gpuE0ELNS1_3repE0EEENS1_30default_config_static_selectorELNS0_4arch9wavefront6targetE0EEEvS14_,"axG",@progbits,_ZN7rocprim17ROCPRIM_400000_NS6detail17trampoline_kernelINS0_14default_configENS1_22reduce_config_selectorIN6thrust23THRUST_200600_302600_NS5tupleIblNS6_9null_typeES8_S8_S8_S8_S8_S8_S8_EEEEZNS1_11reduce_implILb1ES3_NS6_12zip_iteratorINS7_INS6_11hip_rocprim26transform_input_iterator_tIbNSD_35transform_pair_of_input_iterators_tIbNS6_6detail15normal_iteratorINS6_10device_ptrIKjEEEESL_NS6_8equal_toIjEEEENSG_9not_fun_tINSD_8identityEEEEENSD_19counting_iterator_tIlEES8_S8_S8_S8_S8_S8_S8_S8_EEEEPS9_S9_NSD_9__find_if7functorIS9_EEEE10hipError_tPvRmT1_T2_T3_mT4_P12ihipStream_tbEUlT_E0_NS1_11comp_targetILNS1_3genE0ELNS1_11target_archE4294967295ELNS1_3gpuE0ELNS1_3repE0EEENS1_30default_config_static_selectorELNS0_4arch9wavefront6targetE0EEEvS14_,comdat
	.protected	_ZN7rocprim17ROCPRIM_400000_NS6detail17trampoline_kernelINS0_14default_configENS1_22reduce_config_selectorIN6thrust23THRUST_200600_302600_NS5tupleIblNS6_9null_typeES8_S8_S8_S8_S8_S8_S8_EEEEZNS1_11reduce_implILb1ES3_NS6_12zip_iteratorINS7_INS6_11hip_rocprim26transform_input_iterator_tIbNSD_35transform_pair_of_input_iterators_tIbNS6_6detail15normal_iteratorINS6_10device_ptrIKjEEEESL_NS6_8equal_toIjEEEENSG_9not_fun_tINSD_8identityEEEEENSD_19counting_iterator_tIlEES8_S8_S8_S8_S8_S8_S8_S8_EEEEPS9_S9_NSD_9__find_if7functorIS9_EEEE10hipError_tPvRmT1_T2_T3_mT4_P12ihipStream_tbEUlT_E0_NS1_11comp_targetILNS1_3genE0ELNS1_11target_archE4294967295ELNS1_3gpuE0ELNS1_3repE0EEENS1_30default_config_static_selectorELNS0_4arch9wavefront6targetE0EEEvS14_ ; -- Begin function _ZN7rocprim17ROCPRIM_400000_NS6detail17trampoline_kernelINS0_14default_configENS1_22reduce_config_selectorIN6thrust23THRUST_200600_302600_NS5tupleIblNS6_9null_typeES8_S8_S8_S8_S8_S8_S8_EEEEZNS1_11reduce_implILb1ES3_NS6_12zip_iteratorINS7_INS6_11hip_rocprim26transform_input_iterator_tIbNSD_35transform_pair_of_input_iterators_tIbNS6_6detail15normal_iteratorINS6_10device_ptrIKjEEEESL_NS6_8equal_toIjEEEENSG_9not_fun_tINSD_8identityEEEEENSD_19counting_iterator_tIlEES8_S8_S8_S8_S8_S8_S8_S8_EEEEPS9_S9_NSD_9__find_if7functorIS9_EEEE10hipError_tPvRmT1_T2_T3_mT4_P12ihipStream_tbEUlT_E0_NS1_11comp_targetILNS1_3genE0ELNS1_11target_archE4294967295ELNS1_3gpuE0ELNS1_3repE0EEENS1_30default_config_static_selectorELNS0_4arch9wavefront6targetE0EEEvS14_
	.globl	_ZN7rocprim17ROCPRIM_400000_NS6detail17trampoline_kernelINS0_14default_configENS1_22reduce_config_selectorIN6thrust23THRUST_200600_302600_NS5tupleIblNS6_9null_typeES8_S8_S8_S8_S8_S8_S8_EEEEZNS1_11reduce_implILb1ES3_NS6_12zip_iteratorINS7_INS6_11hip_rocprim26transform_input_iterator_tIbNSD_35transform_pair_of_input_iterators_tIbNS6_6detail15normal_iteratorINS6_10device_ptrIKjEEEESL_NS6_8equal_toIjEEEENSG_9not_fun_tINSD_8identityEEEEENSD_19counting_iterator_tIlEES8_S8_S8_S8_S8_S8_S8_S8_EEEEPS9_S9_NSD_9__find_if7functorIS9_EEEE10hipError_tPvRmT1_T2_T3_mT4_P12ihipStream_tbEUlT_E0_NS1_11comp_targetILNS1_3genE0ELNS1_11target_archE4294967295ELNS1_3gpuE0ELNS1_3repE0EEENS1_30default_config_static_selectorELNS0_4arch9wavefront6targetE0EEEvS14_
	.p2align	8
	.type	_ZN7rocprim17ROCPRIM_400000_NS6detail17trampoline_kernelINS0_14default_configENS1_22reduce_config_selectorIN6thrust23THRUST_200600_302600_NS5tupleIblNS6_9null_typeES8_S8_S8_S8_S8_S8_S8_EEEEZNS1_11reduce_implILb1ES3_NS6_12zip_iteratorINS7_INS6_11hip_rocprim26transform_input_iterator_tIbNSD_35transform_pair_of_input_iterators_tIbNS6_6detail15normal_iteratorINS6_10device_ptrIKjEEEESL_NS6_8equal_toIjEEEENSG_9not_fun_tINSD_8identityEEEEENSD_19counting_iterator_tIlEES8_S8_S8_S8_S8_S8_S8_S8_EEEEPS9_S9_NSD_9__find_if7functorIS9_EEEE10hipError_tPvRmT1_T2_T3_mT4_P12ihipStream_tbEUlT_E0_NS1_11comp_targetILNS1_3genE0ELNS1_11target_archE4294967295ELNS1_3gpuE0ELNS1_3repE0EEENS1_30default_config_static_selectorELNS0_4arch9wavefront6targetE0EEEvS14_,@function
_ZN7rocprim17ROCPRIM_400000_NS6detail17trampoline_kernelINS0_14default_configENS1_22reduce_config_selectorIN6thrust23THRUST_200600_302600_NS5tupleIblNS6_9null_typeES8_S8_S8_S8_S8_S8_S8_EEEEZNS1_11reduce_implILb1ES3_NS6_12zip_iteratorINS7_INS6_11hip_rocprim26transform_input_iterator_tIbNSD_35transform_pair_of_input_iterators_tIbNS6_6detail15normal_iteratorINS6_10device_ptrIKjEEEESL_NS6_8equal_toIjEEEENSG_9not_fun_tINSD_8identityEEEEENSD_19counting_iterator_tIlEES8_S8_S8_S8_S8_S8_S8_S8_EEEEPS9_S9_NSD_9__find_if7functorIS9_EEEE10hipError_tPvRmT1_T2_T3_mT4_P12ihipStream_tbEUlT_E0_NS1_11comp_targetILNS1_3genE0ELNS1_11target_archE4294967295ELNS1_3gpuE0ELNS1_3repE0EEENS1_30default_config_static_selectorELNS0_4arch9wavefront6targetE0EEEvS14_: ; @_ZN7rocprim17ROCPRIM_400000_NS6detail17trampoline_kernelINS0_14default_configENS1_22reduce_config_selectorIN6thrust23THRUST_200600_302600_NS5tupleIblNS6_9null_typeES8_S8_S8_S8_S8_S8_S8_EEEEZNS1_11reduce_implILb1ES3_NS6_12zip_iteratorINS7_INS6_11hip_rocprim26transform_input_iterator_tIbNSD_35transform_pair_of_input_iterators_tIbNS6_6detail15normal_iteratorINS6_10device_ptrIKjEEEESL_NS6_8equal_toIjEEEENSG_9not_fun_tINSD_8identityEEEEENSD_19counting_iterator_tIlEES8_S8_S8_S8_S8_S8_S8_S8_EEEEPS9_S9_NSD_9__find_if7functorIS9_EEEE10hipError_tPvRmT1_T2_T3_mT4_P12ihipStream_tbEUlT_E0_NS1_11comp_targetILNS1_3genE0ELNS1_11target_archE4294967295ELNS1_3gpuE0ELNS1_3repE0EEENS1_30default_config_static_selectorELNS0_4arch9wavefront6targetE0EEEvS14_
; %bb.0:
	.section	.rodata,"a",@progbits
	.p2align	6, 0x0
	.amdhsa_kernel _ZN7rocprim17ROCPRIM_400000_NS6detail17trampoline_kernelINS0_14default_configENS1_22reduce_config_selectorIN6thrust23THRUST_200600_302600_NS5tupleIblNS6_9null_typeES8_S8_S8_S8_S8_S8_S8_EEEEZNS1_11reduce_implILb1ES3_NS6_12zip_iteratorINS7_INS6_11hip_rocprim26transform_input_iterator_tIbNSD_35transform_pair_of_input_iterators_tIbNS6_6detail15normal_iteratorINS6_10device_ptrIKjEEEESL_NS6_8equal_toIjEEEENSG_9not_fun_tINSD_8identityEEEEENSD_19counting_iterator_tIlEES8_S8_S8_S8_S8_S8_S8_S8_EEEEPS9_S9_NSD_9__find_if7functorIS9_EEEE10hipError_tPvRmT1_T2_T3_mT4_P12ihipStream_tbEUlT_E0_NS1_11comp_targetILNS1_3genE0ELNS1_11target_archE4294967295ELNS1_3gpuE0ELNS1_3repE0EEENS1_30default_config_static_selectorELNS0_4arch9wavefront6targetE0EEEvS14_
		.amdhsa_group_segment_fixed_size 0
		.amdhsa_private_segment_fixed_size 0
		.amdhsa_kernarg_size 104
		.amdhsa_user_sgpr_count 6
		.amdhsa_user_sgpr_private_segment_buffer 1
		.amdhsa_user_sgpr_dispatch_ptr 0
		.amdhsa_user_sgpr_queue_ptr 0
		.amdhsa_user_sgpr_kernarg_segment_ptr 1
		.amdhsa_user_sgpr_dispatch_id 0
		.amdhsa_user_sgpr_flat_scratch_init 0
		.amdhsa_user_sgpr_private_segment_size 0
		.amdhsa_wavefront_size32 1
		.amdhsa_uses_dynamic_stack 0
		.amdhsa_system_sgpr_private_segment_wavefront_offset 0
		.amdhsa_system_sgpr_workgroup_id_x 1
		.amdhsa_system_sgpr_workgroup_id_y 0
		.amdhsa_system_sgpr_workgroup_id_z 0
		.amdhsa_system_sgpr_workgroup_info 0
		.amdhsa_system_vgpr_workitem_id 0
		.amdhsa_next_free_vgpr 1
		.amdhsa_next_free_sgpr 1
		.amdhsa_reserve_vcc 0
		.amdhsa_reserve_flat_scratch 0
		.amdhsa_float_round_mode_32 0
		.amdhsa_float_round_mode_16_64 0
		.amdhsa_float_denorm_mode_32 3
		.amdhsa_float_denorm_mode_16_64 3
		.amdhsa_dx10_clamp 1
		.amdhsa_ieee_mode 1
		.amdhsa_fp16_overflow 0
		.amdhsa_workgroup_processor_mode 1
		.amdhsa_memory_ordered 1
		.amdhsa_forward_progress 1
		.amdhsa_shared_vgpr_count 0
		.amdhsa_exception_fp_ieee_invalid_op 0
		.amdhsa_exception_fp_denorm_src 0
		.amdhsa_exception_fp_ieee_div_zero 0
		.amdhsa_exception_fp_ieee_overflow 0
		.amdhsa_exception_fp_ieee_underflow 0
		.amdhsa_exception_fp_ieee_inexact 0
		.amdhsa_exception_int_div_zero 0
	.end_amdhsa_kernel
	.section	.text._ZN7rocprim17ROCPRIM_400000_NS6detail17trampoline_kernelINS0_14default_configENS1_22reduce_config_selectorIN6thrust23THRUST_200600_302600_NS5tupleIblNS6_9null_typeES8_S8_S8_S8_S8_S8_S8_EEEEZNS1_11reduce_implILb1ES3_NS6_12zip_iteratorINS7_INS6_11hip_rocprim26transform_input_iterator_tIbNSD_35transform_pair_of_input_iterators_tIbNS6_6detail15normal_iteratorINS6_10device_ptrIKjEEEESL_NS6_8equal_toIjEEEENSG_9not_fun_tINSD_8identityEEEEENSD_19counting_iterator_tIlEES8_S8_S8_S8_S8_S8_S8_S8_EEEEPS9_S9_NSD_9__find_if7functorIS9_EEEE10hipError_tPvRmT1_T2_T3_mT4_P12ihipStream_tbEUlT_E0_NS1_11comp_targetILNS1_3genE0ELNS1_11target_archE4294967295ELNS1_3gpuE0ELNS1_3repE0EEENS1_30default_config_static_selectorELNS0_4arch9wavefront6targetE0EEEvS14_,"axG",@progbits,_ZN7rocprim17ROCPRIM_400000_NS6detail17trampoline_kernelINS0_14default_configENS1_22reduce_config_selectorIN6thrust23THRUST_200600_302600_NS5tupleIblNS6_9null_typeES8_S8_S8_S8_S8_S8_S8_EEEEZNS1_11reduce_implILb1ES3_NS6_12zip_iteratorINS7_INS6_11hip_rocprim26transform_input_iterator_tIbNSD_35transform_pair_of_input_iterators_tIbNS6_6detail15normal_iteratorINS6_10device_ptrIKjEEEESL_NS6_8equal_toIjEEEENSG_9not_fun_tINSD_8identityEEEEENSD_19counting_iterator_tIlEES8_S8_S8_S8_S8_S8_S8_S8_EEEEPS9_S9_NSD_9__find_if7functorIS9_EEEE10hipError_tPvRmT1_T2_T3_mT4_P12ihipStream_tbEUlT_E0_NS1_11comp_targetILNS1_3genE0ELNS1_11target_archE4294967295ELNS1_3gpuE0ELNS1_3repE0EEENS1_30default_config_static_selectorELNS0_4arch9wavefront6targetE0EEEvS14_,comdat
.Lfunc_end204:
	.size	_ZN7rocprim17ROCPRIM_400000_NS6detail17trampoline_kernelINS0_14default_configENS1_22reduce_config_selectorIN6thrust23THRUST_200600_302600_NS5tupleIblNS6_9null_typeES8_S8_S8_S8_S8_S8_S8_EEEEZNS1_11reduce_implILb1ES3_NS6_12zip_iteratorINS7_INS6_11hip_rocprim26transform_input_iterator_tIbNSD_35transform_pair_of_input_iterators_tIbNS6_6detail15normal_iteratorINS6_10device_ptrIKjEEEESL_NS6_8equal_toIjEEEENSG_9not_fun_tINSD_8identityEEEEENSD_19counting_iterator_tIlEES8_S8_S8_S8_S8_S8_S8_S8_EEEEPS9_S9_NSD_9__find_if7functorIS9_EEEE10hipError_tPvRmT1_T2_T3_mT4_P12ihipStream_tbEUlT_E0_NS1_11comp_targetILNS1_3genE0ELNS1_11target_archE4294967295ELNS1_3gpuE0ELNS1_3repE0EEENS1_30default_config_static_selectorELNS0_4arch9wavefront6targetE0EEEvS14_, .Lfunc_end204-_ZN7rocprim17ROCPRIM_400000_NS6detail17trampoline_kernelINS0_14default_configENS1_22reduce_config_selectorIN6thrust23THRUST_200600_302600_NS5tupleIblNS6_9null_typeES8_S8_S8_S8_S8_S8_S8_EEEEZNS1_11reduce_implILb1ES3_NS6_12zip_iteratorINS7_INS6_11hip_rocprim26transform_input_iterator_tIbNSD_35transform_pair_of_input_iterators_tIbNS6_6detail15normal_iteratorINS6_10device_ptrIKjEEEESL_NS6_8equal_toIjEEEENSG_9not_fun_tINSD_8identityEEEEENSD_19counting_iterator_tIlEES8_S8_S8_S8_S8_S8_S8_S8_EEEEPS9_S9_NSD_9__find_if7functorIS9_EEEE10hipError_tPvRmT1_T2_T3_mT4_P12ihipStream_tbEUlT_E0_NS1_11comp_targetILNS1_3genE0ELNS1_11target_archE4294967295ELNS1_3gpuE0ELNS1_3repE0EEENS1_30default_config_static_selectorELNS0_4arch9wavefront6targetE0EEEvS14_
                                        ; -- End function
	.set _ZN7rocprim17ROCPRIM_400000_NS6detail17trampoline_kernelINS0_14default_configENS1_22reduce_config_selectorIN6thrust23THRUST_200600_302600_NS5tupleIblNS6_9null_typeES8_S8_S8_S8_S8_S8_S8_EEEEZNS1_11reduce_implILb1ES3_NS6_12zip_iteratorINS7_INS6_11hip_rocprim26transform_input_iterator_tIbNSD_35transform_pair_of_input_iterators_tIbNS6_6detail15normal_iteratorINS6_10device_ptrIKjEEEESL_NS6_8equal_toIjEEEENSG_9not_fun_tINSD_8identityEEEEENSD_19counting_iterator_tIlEES8_S8_S8_S8_S8_S8_S8_S8_EEEEPS9_S9_NSD_9__find_if7functorIS9_EEEE10hipError_tPvRmT1_T2_T3_mT4_P12ihipStream_tbEUlT_E0_NS1_11comp_targetILNS1_3genE0ELNS1_11target_archE4294967295ELNS1_3gpuE0ELNS1_3repE0EEENS1_30default_config_static_selectorELNS0_4arch9wavefront6targetE0EEEvS14_.num_vgpr, 0
	.set _ZN7rocprim17ROCPRIM_400000_NS6detail17trampoline_kernelINS0_14default_configENS1_22reduce_config_selectorIN6thrust23THRUST_200600_302600_NS5tupleIblNS6_9null_typeES8_S8_S8_S8_S8_S8_S8_EEEEZNS1_11reduce_implILb1ES3_NS6_12zip_iteratorINS7_INS6_11hip_rocprim26transform_input_iterator_tIbNSD_35transform_pair_of_input_iterators_tIbNS6_6detail15normal_iteratorINS6_10device_ptrIKjEEEESL_NS6_8equal_toIjEEEENSG_9not_fun_tINSD_8identityEEEEENSD_19counting_iterator_tIlEES8_S8_S8_S8_S8_S8_S8_S8_EEEEPS9_S9_NSD_9__find_if7functorIS9_EEEE10hipError_tPvRmT1_T2_T3_mT4_P12ihipStream_tbEUlT_E0_NS1_11comp_targetILNS1_3genE0ELNS1_11target_archE4294967295ELNS1_3gpuE0ELNS1_3repE0EEENS1_30default_config_static_selectorELNS0_4arch9wavefront6targetE0EEEvS14_.num_agpr, 0
	.set _ZN7rocprim17ROCPRIM_400000_NS6detail17trampoline_kernelINS0_14default_configENS1_22reduce_config_selectorIN6thrust23THRUST_200600_302600_NS5tupleIblNS6_9null_typeES8_S8_S8_S8_S8_S8_S8_EEEEZNS1_11reduce_implILb1ES3_NS6_12zip_iteratorINS7_INS6_11hip_rocprim26transform_input_iterator_tIbNSD_35transform_pair_of_input_iterators_tIbNS6_6detail15normal_iteratorINS6_10device_ptrIKjEEEESL_NS6_8equal_toIjEEEENSG_9not_fun_tINSD_8identityEEEEENSD_19counting_iterator_tIlEES8_S8_S8_S8_S8_S8_S8_S8_EEEEPS9_S9_NSD_9__find_if7functorIS9_EEEE10hipError_tPvRmT1_T2_T3_mT4_P12ihipStream_tbEUlT_E0_NS1_11comp_targetILNS1_3genE0ELNS1_11target_archE4294967295ELNS1_3gpuE0ELNS1_3repE0EEENS1_30default_config_static_selectorELNS0_4arch9wavefront6targetE0EEEvS14_.numbered_sgpr, 0
	.set _ZN7rocprim17ROCPRIM_400000_NS6detail17trampoline_kernelINS0_14default_configENS1_22reduce_config_selectorIN6thrust23THRUST_200600_302600_NS5tupleIblNS6_9null_typeES8_S8_S8_S8_S8_S8_S8_EEEEZNS1_11reduce_implILb1ES3_NS6_12zip_iteratorINS7_INS6_11hip_rocprim26transform_input_iterator_tIbNSD_35transform_pair_of_input_iterators_tIbNS6_6detail15normal_iteratorINS6_10device_ptrIKjEEEESL_NS6_8equal_toIjEEEENSG_9not_fun_tINSD_8identityEEEEENSD_19counting_iterator_tIlEES8_S8_S8_S8_S8_S8_S8_S8_EEEEPS9_S9_NSD_9__find_if7functorIS9_EEEE10hipError_tPvRmT1_T2_T3_mT4_P12ihipStream_tbEUlT_E0_NS1_11comp_targetILNS1_3genE0ELNS1_11target_archE4294967295ELNS1_3gpuE0ELNS1_3repE0EEENS1_30default_config_static_selectorELNS0_4arch9wavefront6targetE0EEEvS14_.num_named_barrier, 0
	.set _ZN7rocprim17ROCPRIM_400000_NS6detail17trampoline_kernelINS0_14default_configENS1_22reduce_config_selectorIN6thrust23THRUST_200600_302600_NS5tupleIblNS6_9null_typeES8_S8_S8_S8_S8_S8_S8_EEEEZNS1_11reduce_implILb1ES3_NS6_12zip_iteratorINS7_INS6_11hip_rocprim26transform_input_iterator_tIbNSD_35transform_pair_of_input_iterators_tIbNS6_6detail15normal_iteratorINS6_10device_ptrIKjEEEESL_NS6_8equal_toIjEEEENSG_9not_fun_tINSD_8identityEEEEENSD_19counting_iterator_tIlEES8_S8_S8_S8_S8_S8_S8_S8_EEEEPS9_S9_NSD_9__find_if7functorIS9_EEEE10hipError_tPvRmT1_T2_T3_mT4_P12ihipStream_tbEUlT_E0_NS1_11comp_targetILNS1_3genE0ELNS1_11target_archE4294967295ELNS1_3gpuE0ELNS1_3repE0EEENS1_30default_config_static_selectorELNS0_4arch9wavefront6targetE0EEEvS14_.private_seg_size, 0
	.set _ZN7rocprim17ROCPRIM_400000_NS6detail17trampoline_kernelINS0_14default_configENS1_22reduce_config_selectorIN6thrust23THRUST_200600_302600_NS5tupleIblNS6_9null_typeES8_S8_S8_S8_S8_S8_S8_EEEEZNS1_11reduce_implILb1ES3_NS6_12zip_iteratorINS7_INS6_11hip_rocprim26transform_input_iterator_tIbNSD_35transform_pair_of_input_iterators_tIbNS6_6detail15normal_iteratorINS6_10device_ptrIKjEEEESL_NS6_8equal_toIjEEEENSG_9not_fun_tINSD_8identityEEEEENSD_19counting_iterator_tIlEES8_S8_S8_S8_S8_S8_S8_S8_EEEEPS9_S9_NSD_9__find_if7functorIS9_EEEE10hipError_tPvRmT1_T2_T3_mT4_P12ihipStream_tbEUlT_E0_NS1_11comp_targetILNS1_3genE0ELNS1_11target_archE4294967295ELNS1_3gpuE0ELNS1_3repE0EEENS1_30default_config_static_selectorELNS0_4arch9wavefront6targetE0EEEvS14_.uses_vcc, 0
	.set _ZN7rocprim17ROCPRIM_400000_NS6detail17trampoline_kernelINS0_14default_configENS1_22reduce_config_selectorIN6thrust23THRUST_200600_302600_NS5tupleIblNS6_9null_typeES8_S8_S8_S8_S8_S8_S8_EEEEZNS1_11reduce_implILb1ES3_NS6_12zip_iteratorINS7_INS6_11hip_rocprim26transform_input_iterator_tIbNSD_35transform_pair_of_input_iterators_tIbNS6_6detail15normal_iteratorINS6_10device_ptrIKjEEEESL_NS6_8equal_toIjEEEENSG_9not_fun_tINSD_8identityEEEEENSD_19counting_iterator_tIlEES8_S8_S8_S8_S8_S8_S8_S8_EEEEPS9_S9_NSD_9__find_if7functorIS9_EEEE10hipError_tPvRmT1_T2_T3_mT4_P12ihipStream_tbEUlT_E0_NS1_11comp_targetILNS1_3genE0ELNS1_11target_archE4294967295ELNS1_3gpuE0ELNS1_3repE0EEENS1_30default_config_static_selectorELNS0_4arch9wavefront6targetE0EEEvS14_.uses_flat_scratch, 0
	.set _ZN7rocprim17ROCPRIM_400000_NS6detail17trampoline_kernelINS0_14default_configENS1_22reduce_config_selectorIN6thrust23THRUST_200600_302600_NS5tupleIblNS6_9null_typeES8_S8_S8_S8_S8_S8_S8_EEEEZNS1_11reduce_implILb1ES3_NS6_12zip_iteratorINS7_INS6_11hip_rocprim26transform_input_iterator_tIbNSD_35transform_pair_of_input_iterators_tIbNS6_6detail15normal_iteratorINS6_10device_ptrIKjEEEESL_NS6_8equal_toIjEEEENSG_9not_fun_tINSD_8identityEEEEENSD_19counting_iterator_tIlEES8_S8_S8_S8_S8_S8_S8_S8_EEEEPS9_S9_NSD_9__find_if7functorIS9_EEEE10hipError_tPvRmT1_T2_T3_mT4_P12ihipStream_tbEUlT_E0_NS1_11comp_targetILNS1_3genE0ELNS1_11target_archE4294967295ELNS1_3gpuE0ELNS1_3repE0EEENS1_30default_config_static_selectorELNS0_4arch9wavefront6targetE0EEEvS14_.has_dyn_sized_stack, 0
	.set _ZN7rocprim17ROCPRIM_400000_NS6detail17trampoline_kernelINS0_14default_configENS1_22reduce_config_selectorIN6thrust23THRUST_200600_302600_NS5tupleIblNS6_9null_typeES8_S8_S8_S8_S8_S8_S8_EEEEZNS1_11reduce_implILb1ES3_NS6_12zip_iteratorINS7_INS6_11hip_rocprim26transform_input_iterator_tIbNSD_35transform_pair_of_input_iterators_tIbNS6_6detail15normal_iteratorINS6_10device_ptrIKjEEEESL_NS6_8equal_toIjEEEENSG_9not_fun_tINSD_8identityEEEEENSD_19counting_iterator_tIlEES8_S8_S8_S8_S8_S8_S8_S8_EEEEPS9_S9_NSD_9__find_if7functorIS9_EEEE10hipError_tPvRmT1_T2_T3_mT4_P12ihipStream_tbEUlT_E0_NS1_11comp_targetILNS1_3genE0ELNS1_11target_archE4294967295ELNS1_3gpuE0ELNS1_3repE0EEENS1_30default_config_static_selectorELNS0_4arch9wavefront6targetE0EEEvS14_.has_recursion, 0
	.set _ZN7rocprim17ROCPRIM_400000_NS6detail17trampoline_kernelINS0_14default_configENS1_22reduce_config_selectorIN6thrust23THRUST_200600_302600_NS5tupleIblNS6_9null_typeES8_S8_S8_S8_S8_S8_S8_EEEEZNS1_11reduce_implILb1ES3_NS6_12zip_iteratorINS7_INS6_11hip_rocprim26transform_input_iterator_tIbNSD_35transform_pair_of_input_iterators_tIbNS6_6detail15normal_iteratorINS6_10device_ptrIKjEEEESL_NS6_8equal_toIjEEEENSG_9not_fun_tINSD_8identityEEEEENSD_19counting_iterator_tIlEES8_S8_S8_S8_S8_S8_S8_S8_EEEEPS9_S9_NSD_9__find_if7functorIS9_EEEE10hipError_tPvRmT1_T2_T3_mT4_P12ihipStream_tbEUlT_E0_NS1_11comp_targetILNS1_3genE0ELNS1_11target_archE4294967295ELNS1_3gpuE0ELNS1_3repE0EEENS1_30default_config_static_selectorELNS0_4arch9wavefront6targetE0EEEvS14_.has_indirect_call, 0
	.section	.AMDGPU.csdata,"",@progbits
; Kernel info:
; codeLenInByte = 0
; TotalNumSgprs: 0
; NumVgprs: 0
; ScratchSize: 0
; MemoryBound: 0
; FloatMode: 240
; IeeeMode: 1
; LDSByteSize: 0 bytes/workgroup (compile time only)
; SGPRBlocks: 0
; VGPRBlocks: 0
; NumSGPRsForWavesPerEU: 1
; NumVGPRsForWavesPerEU: 1
; Occupancy: 16
; WaveLimiterHint : 0
; COMPUTE_PGM_RSRC2:SCRATCH_EN: 0
; COMPUTE_PGM_RSRC2:USER_SGPR: 6
; COMPUTE_PGM_RSRC2:TRAP_HANDLER: 0
; COMPUTE_PGM_RSRC2:TGID_X_EN: 1
; COMPUTE_PGM_RSRC2:TGID_Y_EN: 0
; COMPUTE_PGM_RSRC2:TGID_Z_EN: 0
; COMPUTE_PGM_RSRC2:TIDIG_COMP_CNT: 0
	.section	.text._ZN7rocprim17ROCPRIM_400000_NS6detail17trampoline_kernelINS0_14default_configENS1_22reduce_config_selectorIN6thrust23THRUST_200600_302600_NS5tupleIblNS6_9null_typeES8_S8_S8_S8_S8_S8_S8_EEEEZNS1_11reduce_implILb1ES3_NS6_12zip_iteratorINS7_INS6_11hip_rocprim26transform_input_iterator_tIbNSD_35transform_pair_of_input_iterators_tIbNS6_6detail15normal_iteratorINS6_10device_ptrIKjEEEESL_NS6_8equal_toIjEEEENSG_9not_fun_tINSD_8identityEEEEENSD_19counting_iterator_tIlEES8_S8_S8_S8_S8_S8_S8_S8_EEEEPS9_S9_NSD_9__find_if7functorIS9_EEEE10hipError_tPvRmT1_T2_T3_mT4_P12ihipStream_tbEUlT_E0_NS1_11comp_targetILNS1_3genE5ELNS1_11target_archE942ELNS1_3gpuE9ELNS1_3repE0EEENS1_30default_config_static_selectorELNS0_4arch9wavefront6targetE0EEEvS14_,"axG",@progbits,_ZN7rocprim17ROCPRIM_400000_NS6detail17trampoline_kernelINS0_14default_configENS1_22reduce_config_selectorIN6thrust23THRUST_200600_302600_NS5tupleIblNS6_9null_typeES8_S8_S8_S8_S8_S8_S8_EEEEZNS1_11reduce_implILb1ES3_NS6_12zip_iteratorINS7_INS6_11hip_rocprim26transform_input_iterator_tIbNSD_35transform_pair_of_input_iterators_tIbNS6_6detail15normal_iteratorINS6_10device_ptrIKjEEEESL_NS6_8equal_toIjEEEENSG_9not_fun_tINSD_8identityEEEEENSD_19counting_iterator_tIlEES8_S8_S8_S8_S8_S8_S8_S8_EEEEPS9_S9_NSD_9__find_if7functorIS9_EEEE10hipError_tPvRmT1_T2_T3_mT4_P12ihipStream_tbEUlT_E0_NS1_11comp_targetILNS1_3genE5ELNS1_11target_archE942ELNS1_3gpuE9ELNS1_3repE0EEENS1_30default_config_static_selectorELNS0_4arch9wavefront6targetE0EEEvS14_,comdat
	.protected	_ZN7rocprim17ROCPRIM_400000_NS6detail17trampoline_kernelINS0_14default_configENS1_22reduce_config_selectorIN6thrust23THRUST_200600_302600_NS5tupleIblNS6_9null_typeES8_S8_S8_S8_S8_S8_S8_EEEEZNS1_11reduce_implILb1ES3_NS6_12zip_iteratorINS7_INS6_11hip_rocprim26transform_input_iterator_tIbNSD_35transform_pair_of_input_iterators_tIbNS6_6detail15normal_iteratorINS6_10device_ptrIKjEEEESL_NS6_8equal_toIjEEEENSG_9not_fun_tINSD_8identityEEEEENSD_19counting_iterator_tIlEES8_S8_S8_S8_S8_S8_S8_S8_EEEEPS9_S9_NSD_9__find_if7functorIS9_EEEE10hipError_tPvRmT1_T2_T3_mT4_P12ihipStream_tbEUlT_E0_NS1_11comp_targetILNS1_3genE5ELNS1_11target_archE942ELNS1_3gpuE9ELNS1_3repE0EEENS1_30default_config_static_selectorELNS0_4arch9wavefront6targetE0EEEvS14_ ; -- Begin function _ZN7rocprim17ROCPRIM_400000_NS6detail17trampoline_kernelINS0_14default_configENS1_22reduce_config_selectorIN6thrust23THRUST_200600_302600_NS5tupleIblNS6_9null_typeES8_S8_S8_S8_S8_S8_S8_EEEEZNS1_11reduce_implILb1ES3_NS6_12zip_iteratorINS7_INS6_11hip_rocprim26transform_input_iterator_tIbNSD_35transform_pair_of_input_iterators_tIbNS6_6detail15normal_iteratorINS6_10device_ptrIKjEEEESL_NS6_8equal_toIjEEEENSG_9not_fun_tINSD_8identityEEEEENSD_19counting_iterator_tIlEES8_S8_S8_S8_S8_S8_S8_S8_EEEEPS9_S9_NSD_9__find_if7functorIS9_EEEE10hipError_tPvRmT1_T2_T3_mT4_P12ihipStream_tbEUlT_E0_NS1_11comp_targetILNS1_3genE5ELNS1_11target_archE942ELNS1_3gpuE9ELNS1_3repE0EEENS1_30default_config_static_selectorELNS0_4arch9wavefront6targetE0EEEvS14_
	.globl	_ZN7rocprim17ROCPRIM_400000_NS6detail17trampoline_kernelINS0_14default_configENS1_22reduce_config_selectorIN6thrust23THRUST_200600_302600_NS5tupleIblNS6_9null_typeES8_S8_S8_S8_S8_S8_S8_EEEEZNS1_11reduce_implILb1ES3_NS6_12zip_iteratorINS7_INS6_11hip_rocprim26transform_input_iterator_tIbNSD_35transform_pair_of_input_iterators_tIbNS6_6detail15normal_iteratorINS6_10device_ptrIKjEEEESL_NS6_8equal_toIjEEEENSG_9not_fun_tINSD_8identityEEEEENSD_19counting_iterator_tIlEES8_S8_S8_S8_S8_S8_S8_S8_EEEEPS9_S9_NSD_9__find_if7functorIS9_EEEE10hipError_tPvRmT1_T2_T3_mT4_P12ihipStream_tbEUlT_E0_NS1_11comp_targetILNS1_3genE5ELNS1_11target_archE942ELNS1_3gpuE9ELNS1_3repE0EEENS1_30default_config_static_selectorELNS0_4arch9wavefront6targetE0EEEvS14_
	.p2align	8
	.type	_ZN7rocprim17ROCPRIM_400000_NS6detail17trampoline_kernelINS0_14default_configENS1_22reduce_config_selectorIN6thrust23THRUST_200600_302600_NS5tupleIblNS6_9null_typeES8_S8_S8_S8_S8_S8_S8_EEEEZNS1_11reduce_implILb1ES3_NS6_12zip_iteratorINS7_INS6_11hip_rocprim26transform_input_iterator_tIbNSD_35transform_pair_of_input_iterators_tIbNS6_6detail15normal_iteratorINS6_10device_ptrIKjEEEESL_NS6_8equal_toIjEEEENSG_9not_fun_tINSD_8identityEEEEENSD_19counting_iterator_tIlEES8_S8_S8_S8_S8_S8_S8_S8_EEEEPS9_S9_NSD_9__find_if7functorIS9_EEEE10hipError_tPvRmT1_T2_T3_mT4_P12ihipStream_tbEUlT_E0_NS1_11comp_targetILNS1_3genE5ELNS1_11target_archE942ELNS1_3gpuE9ELNS1_3repE0EEENS1_30default_config_static_selectorELNS0_4arch9wavefront6targetE0EEEvS14_,@function
_ZN7rocprim17ROCPRIM_400000_NS6detail17trampoline_kernelINS0_14default_configENS1_22reduce_config_selectorIN6thrust23THRUST_200600_302600_NS5tupleIblNS6_9null_typeES8_S8_S8_S8_S8_S8_S8_EEEEZNS1_11reduce_implILb1ES3_NS6_12zip_iteratorINS7_INS6_11hip_rocprim26transform_input_iterator_tIbNSD_35transform_pair_of_input_iterators_tIbNS6_6detail15normal_iteratorINS6_10device_ptrIKjEEEESL_NS6_8equal_toIjEEEENSG_9not_fun_tINSD_8identityEEEEENSD_19counting_iterator_tIlEES8_S8_S8_S8_S8_S8_S8_S8_EEEEPS9_S9_NSD_9__find_if7functorIS9_EEEE10hipError_tPvRmT1_T2_T3_mT4_P12ihipStream_tbEUlT_E0_NS1_11comp_targetILNS1_3genE5ELNS1_11target_archE942ELNS1_3gpuE9ELNS1_3repE0EEENS1_30default_config_static_selectorELNS0_4arch9wavefront6targetE0EEEvS14_: ; @_ZN7rocprim17ROCPRIM_400000_NS6detail17trampoline_kernelINS0_14default_configENS1_22reduce_config_selectorIN6thrust23THRUST_200600_302600_NS5tupleIblNS6_9null_typeES8_S8_S8_S8_S8_S8_S8_EEEEZNS1_11reduce_implILb1ES3_NS6_12zip_iteratorINS7_INS6_11hip_rocprim26transform_input_iterator_tIbNSD_35transform_pair_of_input_iterators_tIbNS6_6detail15normal_iteratorINS6_10device_ptrIKjEEEESL_NS6_8equal_toIjEEEENSG_9not_fun_tINSD_8identityEEEEENSD_19counting_iterator_tIlEES8_S8_S8_S8_S8_S8_S8_S8_EEEEPS9_S9_NSD_9__find_if7functorIS9_EEEE10hipError_tPvRmT1_T2_T3_mT4_P12ihipStream_tbEUlT_E0_NS1_11comp_targetILNS1_3genE5ELNS1_11target_archE942ELNS1_3gpuE9ELNS1_3repE0EEENS1_30default_config_static_selectorELNS0_4arch9wavefront6targetE0EEEvS14_
; %bb.0:
	.section	.rodata,"a",@progbits
	.p2align	6, 0x0
	.amdhsa_kernel _ZN7rocprim17ROCPRIM_400000_NS6detail17trampoline_kernelINS0_14default_configENS1_22reduce_config_selectorIN6thrust23THRUST_200600_302600_NS5tupleIblNS6_9null_typeES8_S8_S8_S8_S8_S8_S8_EEEEZNS1_11reduce_implILb1ES3_NS6_12zip_iteratorINS7_INS6_11hip_rocprim26transform_input_iterator_tIbNSD_35transform_pair_of_input_iterators_tIbNS6_6detail15normal_iteratorINS6_10device_ptrIKjEEEESL_NS6_8equal_toIjEEEENSG_9not_fun_tINSD_8identityEEEEENSD_19counting_iterator_tIlEES8_S8_S8_S8_S8_S8_S8_S8_EEEEPS9_S9_NSD_9__find_if7functorIS9_EEEE10hipError_tPvRmT1_T2_T3_mT4_P12ihipStream_tbEUlT_E0_NS1_11comp_targetILNS1_3genE5ELNS1_11target_archE942ELNS1_3gpuE9ELNS1_3repE0EEENS1_30default_config_static_selectorELNS0_4arch9wavefront6targetE0EEEvS14_
		.amdhsa_group_segment_fixed_size 0
		.amdhsa_private_segment_fixed_size 0
		.amdhsa_kernarg_size 104
		.amdhsa_user_sgpr_count 6
		.amdhsa_user_sgpr_private_segment_buffer 1
		.amdhsa_user_sgpr_dispatch_ptr 0
		.amdhsa_user_sgpr_queue_ptr 0
		.amdhsa_user_sgpr_kernarg_segment_ptr 1
		.amdhsa_user_sgpr_dispatch_id 0
		.amdhsa_user_sgpr_flat_scratch_init 0
		.amdhsa_user_sgpr_private_segment_size 0
		.amdhsa_wavefront_size32 1
		.amdhsa_uses_dynamic_stack 0
		.amdhsa_system_sgpr_private_segment_wavefront_offset 0
		.amdhsa_system_sgpr_workgroup_id_x 1
		.amdhsa_system_sgpr_workgroup_id_y 0
		.amdhsa_system_sgpr_workgroup_id_z 0
		.amdhsa_system_sgpr_workgroup_info 0
		.amdhsa_system_vgpr_workitem_id 0
		.amdhsa_next_free_vgpr 1
		.amdhsa_next_free_sgpr 1
		.amdhsa_reserve_vcc 0
		.amdhsa_reserve_flat_scratch 0
		.amdhsa_float_round_mode_32 0
		.amdhsa_float_round_mode_16_64 0
		.amdhsa_float_denorm_mode_32 3
		.amdhsa_float_denorm_mode_16_64 3
		.amdhsa_dx10_clamp 1
		.amdhsa_ieee_mode 1
		.amdhsa_fp16_overflow 0
		.amdhsa_workgroup_processor_mode 1
		.amdhsa_memory_ordered 1
		.amdhsa_forward_progress 1
		.amdhsa_shared_vgpr_count 0
		.amdhsa_exception_fp_ieee_invalid_op 0
		.amdhsa_exception_fp_denorm_src 0
		.amdhsa_exception_fp_ieee_div_zero 0
		.amdhsa_exception_fp_ieee_overflow 0
		.amdhsa_exception_fp_ieee_underflow 0
		.amdhsa_exception_fp_ieee_inexact 0
		.amdhsa_exception_int_div_zero 0
	.end_amdhsa_kernel
	.section	.text._ZN7rocprim17ROCPRIM_400000_NS6detail17trampoline_kernelINS0_14default_configENS1_22reduce_config_selectorIN6thrust23THRUST_200600_302600_NS5tupleIblNS6_9null_typeES8_S8_S8_S8_S8_S8_S8_EEEEZNS1_11reduce_implILb1ES3_NS6_12zip_iteratorINS7_INS6_11hip_rocprim26transform_input_iterator_tIbNSD_35transform_pair_of_input_iterators_tIbNS6_6detail15normal_iteratorINS6_10device_ptrIKjEEEESL_NS6_8equal_toIjEEEENSG_9not_fun_tINSD_8identityEEEEENSD_19counting_iterator_tIlEES8_S8_S8_S8_S8_S8_S8_S8_EEEEPS9_S9_NSD_9__find_if7functorIS9_EEEE10hipError_tPvRmT1_T2_T3_mT4_P12ihipStream_tbEUlT_E0_NS1_11comp_targetILNS1_3genE5ELNS1_11target_archE942ELNS1_3gpuE9ELNS1_3repE0EEENS1_30default_config_static_selectorELNS0_4arch9wavefront6targetE0EEEvS14_,"axG",@progbits,_ZN7rocprim17ROCPRIM_400000_NS6detail17trampoline_kernelINS0_14default_configENS1_22reduce_config_selectorIN6thrust23THRUST_200600_302600_NS5tupleIblNS6_9null_typeES8_S8_S8_S8_S8_S8_S8_EEEEZNS1_11reduce_implILb1ES3_NS6_12zip_iteratorINS7_INS6_11hip_rocprim26transform_input_iterator_tIbNSD_35transform_pair_of_input_iterators_tIbNS6_6detail15normal_iteratorINS6_10device_ptrIKjEEEESL_NS6_8equal_toIjEEEENSG_9not_fun_tINSD_8identityEEEEENSD_19counting_iterator_tIlEES8_S8_S8_S8_S8_S8_S8_S8_EEEEPS9_S9_NSD_9__find_if7functorIS9_EEEE10hipError_tPvRmT1_T2_T3_mT4_P12ihipStream_tbEUlT_E0_NS1_11comp_targetILNS1_3genE5ELNS1_11target_archE942ELNS1_3gpuE9ELNS1_3repE0EEENS1_30default_config_static_selectorELNS0_4arch9wavefront6targetE0EEEvS14_,comdat
.Lfunc_end205:
	.size	_ZN7rocprim17ROCPRIM_400000_NS6detail17trampoline_kernelINS0_14default_configENS1_22reduce_config_selectorIN6thrust23THRUST_200600_302600_NS5tupleIblNS6_9null_typeES8_S8_S8_S8_S8_S8_S8_EEEEZNS1_11reduce_implILb1ES3_NS6_12zip_iteratorINS7_INS6_11hip_rocprim26transform_input_iterator_tIbNSD_35transform_pair_of_input_iterators_tIbNS6_6detail15normal_iteratorINS6_10device_ptrIKjEEEESL_NS6_8equal_toIjEEEENSG_9not_fun_tINSD_8identityEEEEENSD_19counting_iterator_tIlEES8_S8_S8_S8_S8_S8_S8_S8_EEEEPS9_S9_NSD_9__find_if7functorIS9_EEEE10hipError_tPvRmT1_T2_T3_mT4_P12ihipStream_tbEUlT_E0_NS1_11comp_targetILNS1_3genE5ELNS1_11target_archE942ELNS1_3gpuE9ELNS1_3repE0EEENS1_30default_config_static_selectorELNS0_4arch9wavefront6targetE0EEEvS14_, .Lfunc_end205-_ZN7rocprim17ROCPRIM_400000_NS6detail17trampoline_kernelINS0_14default_configENS1_22reduce_config_selectorIN6thrust23THRUST_200600_302600_NS5tupleIblNS6_9null_typeES8_S8_S8_S8_S8_S8_S8_EEEEZNS1_11reduce_implILb1ES3_NS6_12zip_iteratorINS7_INS6_11hip_rocprim26transform_input_iterator_tIbNSD_35transform_pair_of_input_iterators_tIbNS6_6detail15normal_iteratorINS6_10device_ptrIKjEEEESL_NS6_8equal_toIjEEEENSG_9not_fun_tINSD_8identityEEEEENSD_19counting_iterator_tIlEES8_S8_S8_S8_S8_S8_S8_S8_EEEEPS9_S9_NSD_9__find_if7functorIS9_EEEE10hipError_tPvRmT1_T2_T3_mT4_P12ihipStream_tbEUlT_E0_NS1_11comp_targetILNS1_3genE5ELNS1_11target_archE942ELNS1_3gpuE9ELNS1_3repE0EEENS1_30default_config_static_selectorELNS0_4arch9wavefront6targetE0EEEvS14_
                                        ; -- End function
	.set _ZN7rocprim17ROCPRIM_400000_NS6detail17trampoline_kernelINS0_14default_configENS1_22reduce_config_selectorIN6thrust23THRUST_200600_302600_NS5tupleIblNS6_9null_typeES8_S8_S8_S8_S8_S8_S8_EEEEZNS1_11reduce_implILb1ES3_NS6_12zip_iteratorINS7_INS6_11hip_rocprim26transform_input_iterator_tIbNSD_35transform_pair_of_input_iterators_tIbNS6_6detail15normal_iteratorINS6_10device_ptrIKjEEEESL_NS6_8equal_toIjEEEENSG_9not_fun_tINSD_8identityEEEEENSD_19counting_iterator_tIlEES8_S8_S8_S8_S8_S8_S8_S8_EEEEPS9_S9_NSD_9__find_if7functorIS9_EEEE10hipError_tPvRmT1_T2_T3_mT4_P12ihipStream_tbEUlT_E0_NS1_11comp_targetILNS1_3genE5ELNS1_11target_archE942ELNS1_3gpuE9ELNS1_3repE0EEENS1_30default_config_static_selectorELNS0_4arch9wavefront6targetE0EEEvS14_.num_vgpr, 0
	.set _ZN7rocprim17ROCPRIM_400000_NS6detail17trampoline_kernelINS0_14default_configENS1_22reduce_config_selectorIN6thrust23THRUST_200600_302600_NS5tupleIblNS6_9null_typeES8_S8_S8_S8_S8_S8_S8_EEEEZNS1_11reduce_implILb1ES3_NS6_12zip_iteratorINS7_INS6_11hip_rocprim26transform_input_iterator_tIbNSD_35transform_pair_of_input_iterators_tIbNS6_6detail15normal_iteratorINS6_10device_ptrIKjEEEESL_NS6_8equal_toIjEEEENSG_9not_fun_tINSD_8identityEEEEENSD_19counting_iterator_tIlEES8_S8_S8_S8_S8_S8_S8_S8_EEEEPS9_S9_NSD_9__find_if7functorIS9_EEEE10hipError_tPvRmT1_T2_T3_mT4_P12ihipStream_tbEUlT_E0_NS1_11comp_targetILNS1_3genE5ELNS1_11target_archE942ELNS1_3gpuE9ELNS1_3repE0EEENS1_30default_config_static_selectorELNS0_4arch9wavefront6targetE0EEEvS14_.num_agpr, 0
	.set _ZN7rocprim17ROCPRIM_400000_NS6detail17trampoline_kernelINS0_14default_configENS1_22reduce_config_selectorIN6thrust23THRUST_200600_302600_NS5tupleIblNS6_9null_typeES8_S8_S8_S8_S8_S8_S8_EEEEZNS1_11reduce_implILb1ES3_NS6_12zip_iteratorINS7_INS6_11hip_rocprim26transform_input_iterator_tIbNSD_35transform_pair_of_input_iterators_tIbNS6_6detail15normal_iteratorINS6_10device_ptrIKjEEEESL_NS6_8equal_toIjEEEENSG_9not_fun_tINSD_8identityEEEEENSD_19counting_iterator_tIlEES8_S8_S8_S8_S8_S8_S8_S8_EEEEPS9_S9_NSD_9__find_if7functorIS9_EEEE10hipError_tPvRmT1_T2_T3_mT4_P12ihipStream_tbEUlT_E0_NS1_11comp_targetILNS1_3genE5ELNS1_11target_archE942ELNS1_3gpuE9ELNS1_3repE0EEENS1_30default_config_static_selectorELNS0_4arch9wavefront6targetE0EEEvS14_.numbered_sgpr, 0
	.set _ZN7rocprim17ROCPRIM_400000_NS6detail17trampoline_kernelINS0_14default_configENS1_22reduce_config_selectorIN6thrust23THRUST_200600_302600_NS5tupleIblNS6_9null_typeES8_S8_S8_S8_S8_S8_S8_EEEEZNS1_11reduce_implILb1ES3_NS6_12zip_iteratorINS7_INS6_11hip_rocprim26transform_input_iterator_tIbNSD_35transform_pair_of_input_iterators_tIbNS6_6detail15normal_iteratorINS6_10device_ptrIKjEEEESL_NS6_8equal_toIjEEEENSG_9not_fun_tINSD_8identityEEEEENSD_19counting_iterator_tIlEES8_S8_S8_S8_S8_S8_S8_S8_EEEEPS9_S9_NSD_9__find_if7functorIS9_EEEE10hipError_tPvRmT1_T2_T3_mT4_P12ihipStream_tbEUlT_E0_NS1_11comp_targetILNS1_3genE5ELNS1_11target_archE942ELNS1_3gpuE9ELNS1_3repE0EEENS1_30default_config_static_selectorELNS0_4arch9wavefront6targetE0EEEvS14_.num_named_barrier, 0
	.set _ZN7rocprim17ROCPRIM_400000_NS6detail17trampoline_kernelINS0_14default_configENS1_22reduce_config_selectorIN6thrust23THRUST_200600_302600_NS5tupleIblNS6_9null_typeES8_S8_S8_S8_S8_S8_S8_EEEEZNS1_11reduce_implILb1ES3_NS6_12zip_iteratorINS7_INS6_11hip_rocprim26transform_input_iterator_tIbNSD_35transform_pair_of_input_iterators_tIbNS6_6detail15normal_iteratorINS6_10device_ptrIKjEEEESL_NS6_8equal_toIjEEEENSG_9not_fun_tINSD_8identityEEEEENSD_19counting_iterator_tIlEES8_S8_S8_S8_S8_S8_S8_S8_EEEEPS9_S9_NSD_9__find_if7functorIS9_EEEE10hipError_tPvRmT1_T2_T3_mT4_P12ihipStream_tbEUlT_E0_NS1_11comp_targetILNS1_3genE5ELNS1_11target_archE942ELNS1_3gpuE9ELNS1_3repE0EEENS1_30default_config_static_selectorELNS0_4arch9wavefront6targetE0EEEvS14_.private_seg_size, 0
	.set _ZN7rocprim17ROCPRIM_400000_NS6detail17trampoline_kernelINS0_14default_configENS1_22reduce_config_selectorIN6thrust23THRUST_200600_302600_NS5tupleIblNS6_9null_typeES8_S8_S8_S8_S8_S8_S8_EEEEZNS1_11reduce_implILb1ES3_NS6_12zip_iteratorINS7_INS6_11hip_rocprim26transform_input_iterator_tIbNSD_35transform_pair_of_input_iterators_tIbNS6_6detail15normal_iteratorINS6_10device_ptrIKjEEEESL_NS6_8equal_toIjEEEENSG_9not_fun_tINSD_8identityEEEEENSD_19counting_iterator_tIlEES8_S8_S8_S8_S8_S8_S8_S8_EEEEPS9_S9_NSD_9__find_if7functorIS9_EEEE10hipError_tPvRmT1_T2_T3_mT4_P12ihipStream_tbEUlT_E0_NS1_11comp_targetILNS1_3genE5ELNS1_11target_archE942ELNS1_3gpuE9ELNS1_3repE0EEENS1_30default_config_static_selectorELNS0_4arch9wavefront6targetE0EEEvS14_.uses_vcc, 0
	.set _ZN7rocprim17ROCPRIM_400000_NS6detail17trampoline_kernelINS0_14default_configENS1_22reduce_config_selectorIN6thrust23THRUST_200600_302600_NS5tupleIblNS6_9null_typeES8_S8_S8_S8_S8_S8_S8_EEEEZNS1_11reduce_implILb1ES3_NS6_12zip_iteratorINS7_INS6_11hip_rocprim26transform_input_iterator_tIbNSD_35transform_pair_of_input_iterators_tIbNS6_6detail15normal_iteratorINS6_10device_ptrIKjEEEESL_NS6_8equal_toIjEEEENSG_9not_fun_tINSD_8identityEEEEENSD_19counting_iterator_tIlEES8_S8_S8_S8_S8_S8_S8_S8_EEEEPS9_S9_NSD_9__find_if7functorIS9_EEEE10hipError_tPvRmT1_T2_T3_mT4_P12ihipStream_tbEUlT_E0_NS1_11comp_targetILNS1_3genE5ELNS1_11target_archE942ELNS1_3gpuE9ELNS1_3repE0EEENS1_30default_config_static_selectorELNS0_4arch9wavefront6targetE0EEEvS14_.uses_flat_scratch, 0
	.set _ZN7rocprim17ROCPRIM_400000_NS6detail17trampoline_kernelINS0_14default_configENS1_22reduce_config_selectorIN6thrust23THRUST_200600_302600_NS5tupleIblNS6_9null_typeES8_S8_S8_S8_S8_S8_S8_EEEEZNS1_11reduce_implILb1ES3_NS6_12zip_iteratorINS7_INS6_11hip_rocprim26transform_input_iterator_tIbNSD_35transform_pair_of_input_iterators_tIbNS6_6detail15normal_iteratorINS6_10device_ptrIKjEEEESL_NS6_8equal_toIjEEEENSG_9not_fun_tINSD_8identityEEEEENSD_19counting_iterator_tIlEES8_S8_S8_S8_S8_S8_S8_S8_EEEEPS9_S9_NSD_9__find_if7functorIS9_EEEE10hipError_tPvRmT1_T2_T3_mT4_P12ihipStream_tbEUlT_E0_NS1_11comp_targetILNS1_3genE5ELNS1_11target_archE942ELNS1_3gpuE9ELNS1_3repE0EEENS1_30default_config_static_selectorELNS0_4arch9wavefront6targetE0EEEvS14_.has_dyn_sized_stack, 0
	.set _ZN7rocprim17ROCPRIM_400000_NS6detail17trampoline_kernelINS0_14default_configENS1_22reduce_config_selectorIN6thrust23THRUST_200600_302600_NS5tupleIblNS6_9null_typeES8_S8_S8_S8_S8_S8_S8_EEEEZNS1_11reduce_implILb1ES3_NS6_12zip_iteratorINS7_INS6_11hip_rocprim26transform_input_iterator_tIbNSD_35transform_pair_of_input_iterators_tIbNS6_6detail15normal_iteratorINS6_10device_ptrIKjEEEESL_NS6_8equal_toIjEEEENSG_9not_fun_tINSD_8identityEEEEENSD_19counting_iterator_tIlEES8_S8_S8_S8_S8_S8_S8_S8_EEEEPS9_S9_NSD_9__find_if7functorIS9_EEEE10hipError_tPvRmT1_T2_T3_mT4_P12ihipStream_tbEUlT_E0_NS1_11comp_targetILNS1_3genE5ELNS1_11target_archE942ELNS1_3gpuE9ELNS1_3repE0EEENS1_30default_config_static_selectorELNS0_4arch9wavefront6targetE0EEEvS14_.has_recursion, 0
	.set _ZN7rocprim17ROCPRIM_400000_NS6detail17trampoline_kernelINS0_14default_configENS1_22reduce_config_selectorIN6thrust23THRUST_200600_302600_NS5tupleIblNS6_9null_typeES8_S8_S8_S8_S8_S8_S8_EEEEZNS1_11reduce_implILb1ES3_NS6_12zip_iteratorINS7_INS6_11hip_rocprim26transform_input_iterator_tIbNSD_35transform_pair_of_input_iterators_tIbNS6_6detail15normal_iteratorINS6_10device_ptrIKjEEEESL_NS6_8equal_toIjEEEENSG_9not_fun_tINSD_8identityEEEEENSD_19counting_iterator_tIlEES8_S8_S8_S8_S8_S8_S8_S8_EEEEPS9_S9_NSD_9__find_if7functorIS9_EEEE10hipError_tPvRmT1_T2_T3_mT4_P12ihipStream_tbEUlT_E0_NS1_11comp_targetILNS1_3genE5ELNS1_11target_archE942ELNS1_3gpuE9ELNS1_3repE0EEENS1_30default_config_static_selectorELNS0_4arch9wavefront6targetE0EEEvS14_.has_indirect_call, 0
	.section	.AMDGPU.csdata,"",@progbits
; Kernel info:
; codeLenInByte = 0
; TotalNumSgprs: 0
; NumVgprs: 0
; ScratchSize: 0
; MemoryBound: 0
; FloatMode: 240
; IeeeMode: 1
; LDSByteSize: 0 bytes/workgroup (compile time only)
; SGPRBlocks: 0
; VGPRBlocks: 0
; NumSGPRsForWavesPerEU: 1
; NumVGPRsForWavesPerEU: 1
; Occupancy: 16
; WaveLimiterHint : 0
; COMPUTE_PGM_RSRC2:SCRATCH_EN: 0
; COMPUTE_PGM_RSRC2:USER_SGPR: 6
; COMPUTE_PGM_RSRC2:TRAP_HANDLER: 0
; COMPUTE_PGM_RSRC2:TGID_X_EN: 1
; COMPUTE_PGM_RSRC2:TGID_Y_EN: 0
; COMPUTE_PGM_RSRC2:TGID_Z_EN: 0
; COMPUTE_PGM_RSRC2:TIDIG_COMP_CNT: 0
	.section	.text._ZN7rocprim17ROCPRIM_400000_NS6detail17trampoline_kernelINS0_14default_configENS1_22reduce_config_selectorIN6thrust23THRUST_200600_302600_NS5tupleIblNS6_9null_typeES8_S8_S8_S8_S8_S8_S8_EEEEZNS1_11reduce_implILb1ES3_NS6_12zip_iteratorINS7_INS6_11hip_rocprim26transform_input_iterator_tIbNSD_35transform_pair_of_input_iterators_tIbNS6_6detail15normal_iteratorINS6_10device_ptrIKjEEEESL_NS6_8equal_toIjEEEENSG_9not_fun_tINSD_8identityEEEEENSD_19counting_iterator_tIlEES8_S8_S8_S8_S8_S8_S8_S8_EEEEPS9_S9_NSD_9__find_if7functorIS9_EEEE10hipError_tPvRmT1_T2_T3_mT4_P12ihipStream_tbEUlT_E0_NS1_11comp_targetILNS1_3genE4ELNS1_11target_archE910ELNS1_3gpuE8ELNS1_3repE0EEENS1_30default_config_static_selectorELNS0_4arch9wavefront6targetE0EEEvS14_,"axG",@progbits,_ZN7rocprim17ROCPRIM_400000_NS6detail17trampoline_kernelINS0_14default_configENS1_22reduce_config_selectorIN6thrust23THRUST_200600_302600_NS5tupleIblNS6_9null_typeES8_S8_S8_S8_S8_S8_S8_EEEEZNS1_11reduce_implILb1ES3_NS6_12zip_iteratorINS7_INS6_11hip_rocprim26transform_input_iterator_tIbNSD_35transform_pair_of_input_iterators_tIbNS6_6detail15normal_iteratorINS6_10device_ptrIKjEEEESL_NS6_8equal_toIjEEEENSG_9not_fun_tINSD_8identityEEEEENSD_19counting_iterator_tIlEES8_S8_S8_S8_S8_S8_S8_S8_EEEEPS9_S9_NSD_9__find_if7functorIS9_EEEE10hipError_tPvRmT1_T2_T3_mT4_P12ihipStream_tbEUlT_E0_NS1_11comp_targetILNS1_3genE4ELNS1_11target_archE910ELNS1_3gpuE8ELNS1_3repE0EEENS1_30default_config_static_selectorELNS0_4arch9wavefront6targetE0EEEvS14_,comdat
	.protected	_ZN7rocprim17ROCPRIM_400000_NS6detail17trampoline_kernelINS0_14default_configENS1_22reduce_config_selectorIN6thrust23THRUST_200600_302600_NS5tupleIblNS6_9null_typeES8_S8_S8_S8_S8_S8_S8_EEEEZNS1_11reduce_implILb1ES3_NS6_12zip_iteratorINS7_INS6_11hip_rocprim26transform_input_iterator_tIbNSD_35transform_pair_of_input_iterators_tIbNS6_6detail15normal_iteratorINS6_10device_ptrIKjEEEESL_NS6_8equal_toIjEEEENSG_9not_fun_tINSD_8identityEEEEENSD_19counting_iterator_tIlEES8_S8_S8_S8_S8_S8_S8_S8_EEEEPS9_S9_NSD_9__find_if7functorIS9_EEEE10hipError_tPvRmT1_T2_T3_mT4_P12ihipStream_tbEUlT_E0_NS1_11comp_targetILNS1_3genE4ELNS1_11target_archE910ELNS1_3gpuE8ELNS1_3repE0EEENS1_30default_config_static_selectorELNS0_4arch9wavefront6targetE0EEEvS14_ ; -- Begin function _ZN7rocprim17ROCPRIM_400000_NS6detail17trampoline_kernelINS0_14default_configENS1_22reduce_config_selectorIN6thrust23THRUST_200600_302600_NS5tupleIblNS6_9null_typeES8_S8_S8_S8_S8_S8_S8_EEEEZNS1_11reduce_implILb1ES3_NS6_12zip_iteratorINS7_INS6_11hip_rocprim26transform_input_iterator_tIbNSD_35transform_pair_of_input_iterators_tIbNS6_6detail15normal_iteratorINS6_10device_ptrIKjEEEESL_NS6_8equal_toIjEEEENSG_9not_fun_tINSD_8identityEEEEENSD_19counting_iterator_tIlEES8_S8_S8_S8_S8_S8_S8_S8_EEEEPS9_S9_NSD_9__find_if7functorIS9_EEEE10hipError_tPvRmT1_T2_T3_mT4_P12ihipStream_tbEUlT_E0_NS1_11comp_targetILNS1_3genE4ELNS1_11target_archE910ELNS1_3gpuE8ELNS1_3repE0EEENS1_30default_config_static_selectorELNS0_4arch9wavefront6targetE0EEEvS14_
	.globl	_ZN7rocprim17ROCPRIM_400000_NS6detail17trampoline_kernelINS0_14default_configENS1_22reduce_config_selectorIN6thrust23THRUST_200600_302600_NS5tupleIblNS6_9null_typeES8_S8_S8_S8_S8_S8_S8_EEEEZNS1_11reduce_implILb1ES3_NS6_12zip_iteratorINS7_INS6_11hip_rocprim26transform_input_iterator_tIbNSD_35transform_pair_of_input_iterators_tIbNS6_6detail15normal_iteratorINS6_10device_ptrIKjEEEESL_NS6_8equal_toIjEEEENSG_9not_fun_tINSD_8identityEEEEENSD_19counting_iterator_tIlEES8_S8_S8_S8_S8_S8_S8_S8_EEEEPS9_S9_NSD_9__find_if7functorIS9_EEEE10hipError_tPvRmT1_T2_T3_mT4_P12ihipStream_tbEUlT_E0_NS1_11comp_targetILNS1_3genE4ELNS1_11target_archE910ELNS1_3gpuE8ELNS1_3repE0EEENS1_30default_config_static_selectorELNS0_4arch9wavefront6targetE0EEEvS14_
	.p2align	8
	.type	_ZN7rocprim17ROCPRIM_400000_NS6detail17trampoline_kernelINS0_14default_configENS1_22reduce_config_selectorIN6thrust23THRUST_200600_302600_NS5tupleIblNS6_9null_typeES8_S8_S8_S8_S8_S8_S8_EEEEZNS1_11reduce_implILb1ES3_NS6_12zip_iteratorINS7_INS6_11hip_rocprim26transform_input_iterator_tIbNSD_35transform_pair_of_input_iterators_tIbNS6_6detail15normal_iteratorINS6_10device_ptrIKjEEEESL_NS6_8equal_toIjEEEENSG_9not_fun_tINSD_8identityEEEEENSD_19counting_iterator_tIlEES8_S8_S8_S8_S8_S8_S8_S8_EEEEPS9_S9_NSD_9__find_if7functorIS9_EEEE10hipError_tPvRmT1_T2_T3_mT4_P12ihipStream_tbEUlT_E0_NS1_11comp_targetILNS1_3genE4ELNS1_11target_archE910ELNS1_3gpuE8ELNS1_3repE0EEENS1_30default_config_static_selectorELNS0_4arch9wavefront6targetE0EEEvS14_,@function
_ZN7rocprim17ROCPRIM_400000_NS6detail17trampoline_kernelINS0_14default_configENS1_22reduce_config_selectorIN6thrust23THRUST_200600_302600_NS5tupleIblNS6_9null_typeES8_S8_S8_S8_S8_S8_S8_EEEEZNS1_11reduce_implILb1ES3_NS6_12zip_iteratorINS7_INS6_11hip_rocprim26transform_input_iterator_tIbNSD_35transform_pair_of_input_iterators_tIbNS6_6detail15normal_iteratorINS6_10device_ptrIKjEEEESL_NS6_8equal_toIjEEEENSG_9not_fun_tINSD_8identityEEEEENSD_19counting_iterator_tIlEES8_S8_S8_S8_S8_S8_S8_S8_EEEEPS9_S9_NSD_9__find_if7functorIS9_EEEE10hipError_tPvRmT1_T2_T3_mT4_P12ihipStream_tbEUlT_E0_NS1_11comp_targetILNS1_3genE4ELNS1_11target_archE910ELNS1_3gpuE8ELNS1_3repE0EEENS1_30default_config_static_selectorELNS0_4arch9wavefront6targetE0EEEvS14_: ; @_ZN7rocprim17ROCPRIM_400000_NS6detail17trampoline_kernelINS0_14default_configENS1_22reduce_config_selectorIN6thrust23THRUST_200600_302600_NS5tupleIblNS6_9null_typeES8_S8_S8_S8_S8_S8_S8_EEEEZNS1_11reduce_implILb1ES3_NS6_12zip_iteratorINS7_INS6_11hip_rocprim26transform_input_iterator_tIbNSD_35transform_pair_of_input_iterators_tIbNS6_6detail15normal_iteratorINS6_10device_ptrIKjEEEESL_NS6_8equal_toIjEEEENSG_9not_fun_tINSD_8identityEEEEENSD_19counting_iterator_tIlEES8_S8_S8_S8_S8_S8_S8_S8_EEEEPS9_S9_NSD_9__find_if7functorIS9_EEEE10hipError_tPvRmT1_T2_T3_mT4_P12ihipStream_tbEUlT_E0_NS1_11comp_targetILNS1_3genE4ELNS1_11target_archE910ELNS1_3gpuE8ELNS1_3repE0EEENS1_30default_config_static_selectorELNS0_4arch9wavefront6targetE0EEEvS14_
; %bb.0:
	.section	.rodata,"a",@progbits
	.p2align	6, 0x0
	.amdhsa_kernel _ZN7rocprim17ROCPRIM_400000_NS6detail17trampoline_kernelINS0_14default_configENS1_22reduce_config_selectorIN6thrust23THRUST_200600_302600_NS5tupleIblNS6_9null_typeES8_S8_S8_S8_S8_S8_S8_EEEEZNS1_11reduce_implILb1ES3_NS6_12zip_iteratorINS7_INS6_11hip_rocprim26transform_input_iterator_tIbNSD_35transform_pair_of_input_iterators_tIbNS6_6detail15normal_iteratorINS6_10device_ptrIKjEEEESL_NS6_8equal_toIjEEEENSG_9not_fun_tINSD_8identityEEEEENSD_19counting_iterator_tIlEES8_S8_S8_S8_S8_S8_S8_S8_EEEEPS9_S9_NSD_9__find_if7functorIS9_EEEE10hipError_tPvRmT1_T2_T3_mT4_P12ihipStream_tbEUlT_E0_NS1_11comp_targetILNS1_3genE4ELNS1_11target_archE910ELNS1_3gpuE8ELNS1_3repE0EEENS1_30default_config_static_selectorELNS0_4arch9wavefront6targetE0EEEvS14_
		.amdhsa_group_segment_fixed_size 0
		.amdhsa_private_segment_fixed_size 0
		.amdhsa_kernarg_size 104
		.amdhsa_user_sgpr_count 6
		.amdhsa_user_sgpr_private_segment_buffer 1
		.amdhsa_user_sgpr_dispatch_ptr 0
		.amdhsa_user_sgpr_queue_ptr 0
		.amdhsa_user_sgpr_kernarg_segment_ptr 1
		.amdhsa_user_sgpr_dispatch_id 0
		.amdhsa_user_sgpr_flat_scratch_init 0
		.amdhsa_user_sgpr_private_segment_size 0
		.amdhsa_wavefront_size32 1
		.amdhsa_uses_dynamic_stack 0
		.amdhsa_system_sgpr_private_segment_wavefront_offset 0
		.amdhsa_system_sgpr_workgroup_id_x 1
		.amdhsa_system_sgpr_workgroup_id_y 0
		.amdhsa_system_sgpr_workgroup_id_z 0
		.amdhsa_system_sgpr_workgroup_info 0
		.amdhsa_system_vgpr_workitem_id 0
		.amdhsa_next_free_vgpr 1
		.amdhsa_next_free_sgpr 1
		.amdhsa_reserve_vcc 0
		.amdhsa_reserve_flat_scratch 0
		.amdhsa_float_round_mode_32 0
		.amdhsa_float_round_mode_16_64 0
		.amdhsa_float_denorm_mode_32 3
		.amdhsa_float_denorm_mode_16_64 3
		.amdhsa_dx10_clamp 1
		.amdhsa_ieee_mode 1
		.amdhsa_fp16_overflow 0
		.amdhsa_workgroup_processor_mode 1
		.amdhsa_memory_ordered 1
		.amdhsa_forward_progress 1
		.amdhsa_shared_vgpr_count 0
		.amdhsa_exception_fp_ieee_invalid_op 0
		.amdhsa_exception_fp_denorm_src 0
		.amdhsa_exception_fp_ieee_div_zero 0
		.amdhsa_exception_fp_ieee_overflow 0
		.amdhsa_exception_fp_ieee_underflow 0
		.amdhsa_exception_fp_ieee_inexact 0
		.amdhsa_exception_int_div_zero 0
	.end_amdhsa_kernel
	.section	.text._ZN7rocprim17ROCPRIM_400000_NS6detail17trampoline_kernelINS0_14default_configENS1_22reduce_config_selectorIN6thrust23THRUST_200600_302600_NS5tupleIblNS6_9null_typeES8_S8_S8_S8_S8_S8_S8_EEEEZNS1_11reduce_implILb1ES3_NS6_12zip_iteratorINS7_INS6_11hip_rocprim26transform_input_iterator_tIbNSD_35transform_pair_of_input_iterators_tIbNS6_6detail15normal_iteratorINS6_10device_ptrIKjEEEESL_NS6_8equal_toIjEEEENSG_9not_fun_tINSD_8identityEEEEENSD_19counting_iterator_tIlEES8_S8_S8_S8_S8_S8_S8_S8_EEEEPS9_S9_NSD_9__find_if7functorIS9_EEEE10hipError_tPvRmT1_T2_T3_mT4_P12ihipStream_tbEUlT_E0_NS1_11comp_targetILNS1_3genE4ELNS1_11target_archE910ELNS1_3gpuE8ELNS1_3repE0EEENS1_30default_config_static_selectorELNS0_4arch9wavefront6targetE0EEEvS14_,"axG",@progbits,_ZN7rocprim17ROCPRIM_400000_NS6detail17trampoline_kernelINS0_14default_configENS1_22reduce_config_selectorIN6thrust23THRUST_200600_302600_NS5tupleIblNS6_9null_typeES8_S8_S8_S8_S8_S8_S8_EEEEZNS1_11reduce_implILb1ES3_NS6_12zip_iteratorINS7_INS6_11hip_rocprim26transform_input_iterator_tIbNSD_35transform_pair_of_input_iterators_tIbNS6_6detail15normal_iteratorINS6_10device_ptrIKjEEEESL_NS6_8equal_toIjEEEENSG_9not_fun_tINSD_8identityEEEEENSD_19counting_iterator_tIlEES8_S8_S8_S8_S8_S8_S8_S8_EEEEPS9_S9_NSD_9__find_if7functorIS9_EEEE10hipError_tPvRmT1_T2_T3_mT4_P12ihipStream_tbEUlT_E0_NS1_11comp_targetILNS1_3genE4ELNS1_11target_archE910ELNS1_3gpuE8ELNS1_3repE0EEENS1_30default_config_static_selectorELNS0_4arch9wavefront6targetE0EEEvS14_,comdat
.Lfunc_end206:
	.size	_ZN7rocprim17ROCPRIM_400000_NS6detail17trampoline_kernelINS0_14default_configENS1_22reduce_config_selectorIN6thrust23THRUST_200600_302600_NS5tupleIblNS6_9null_typeES8_S8_S8_S8_S8_S8_S8_EEEEZNS1_11reduce_implILb1ES3_NS6_12zip_iteratorINS7_INS6_11hip_rocprim26transform_input_iterator_tIbNSD_35transform_pair_of_input_iterators_tIbNS6_6detail15normal_iteratorINS6_10device_ptrIKjEEEESL_NS6_8equal_toIjEEEENSG_9not_fun_tINSD_8identityEEEEENSD_19counting_iterator_tIlEES8_S8_S8_S8_S8_S8_S8_S8_EEEEPS9_S9_NSD_9__find_if7functorIS9_EEEE10hipError_tPvRmT1_T2_T3_mT4_P12ihipStream_tbEUlT_E0_NS1_11comp_targetILNS1_3genE4ELNS1_11target_archE910ELNS1_3gpuE8ELNS1_3repE0EEENS1_30default_config_static_selectorELNS0_4arch9wavefront6targetE0EEEvS14_, .Lfunc_end206-_ZN7rocprim17ROCPRIM_400000_NS6detail17trampoline_kernelINS0_14default_configENS1_22reduce_config_selectorIN6thrust23THRUST_200600_302600_NS5tupleIblNS6_9null_typeES8_S8_S8_S8_S8_S8_S8_EEEEZNS1_11reduce_implILb1ES3_NS6_12zip_iteratorINS7_INS6_11hip_rocprim26transform_input_iterator_tIbNSD_35transform_pair_of_input_iterators_tIbNS6_6detail15normal_iteratorINS6_10device_ptrIKjEEEESL_NS6_8equal_toIjEEEENSG_9not_fun_tINSD_8identityEEEEENSD_19counting_iterator_tIlEES8_S8_S8_S8_S8_S8_S8_S8_EEEEPS9_S9_NSD_9__find_if7functorIS9_EEEE10hipError_tPvRmT1_T2_T3_mT4_P12ihipStream_tbEUlT_E0_NS1_11comp_targetILNS1_3genE4ELNS1_11target_archE910ELNS1_3gpuE8ELNS1_3repE0EEENS1_30default_config_static_selectorELNS0_4arch9wavefront6targetE0EEEvS14_
                                        ; -- End function
	.set _ZN7rocprim17ROCPRIM_400000_NS6detail17trampoline_kernelINS0_14default_configENS1_22reduce_config_selectorIN6thrust23THRUST_200600_302600_NS5tupleIblNS6_9null_typeES8_S8_S8_S8_S8_S8_S8_EEEEZNS1_11reduce_implILb1ES3_NS6_12zip_iteratorINS7_INS6_11hip_rocprim26transform_input_iterator_tIbNSD_35transform_pair_of_input_iterators_tIbNS6_6detail15normal_iteratorINS6_10device_ptrIKjEEEESL_NS6_8equal_toIjEEEENSG_9not_fun_tINSD_8identityEEEEENSD_19counting_iterator_tIlEES8_S8_S8_S8_S8_S8_S8_S8_EEEEPS9_S9_NSD_9__find_if7functorIS9_EEEE10hipError_tPvRmT1_T2_T3_mT4_P12ihipStream_tbEUlT_E0_NS1_11comp_targetILNS1_3genE4ELNS1_11target_archE910ELNS1_3gpuE8ELNS1_3repE0EEENS1_30default_config_static_selectorELNS0_4arch9wavefront6targetE0EEEvS14_.num_vgpr, 0
	.set _ZN7rocprim17ROCPRIM_400000_NS6detail17trampoline_kernelINS0_14default_configENS1_22reduce_config_selectorIN6thrust23THRUST_200600_302600_NS5tupleIblNS6_9null_typeES8_S8_S8_S8_S8_S8_S8_EEEEZNS1_11reduce_implILb1ES3_NS6_12zip_iteratorINS7_INS6_11hip_rocprim26transform_input_iterator_tIbNSD_35transform_pair_of_input_iterators_tIbNS6_6detail15normal_iteratorINS6_10device_ptrIKjEEEESL_NS6_8equal_toIjEEEENSG_9not_fun_tINSD_8identityEEEEENSD_19counting_iterator_tIlEES8_S8_S8_S8_S8_S8_S8_S8_EEEEPS9_S9_NSD_9__find_if7functorIS9_EEEE10hipError_tPvRmT1_T2_T3_mT4_P12ihipStream_tbEUlT_E0_NS1_11comp_targetILNS1_3genE4ELNS1_11target_archE910ELNS1_3gpuE8ELNS1_3repE0EEENS1_30default_config_static_selectorELNS0_4arch9wavefront6targetE0EEEvS14_.num_agpr, 0
	.set _ZN7rocprim17ROCPRIM_400000_NS6detail17trampoline_kernelINS0_14default_configENS1_22reduce_config_selectorIN6thrust23THRUST_200600_302600_NS5tupleIblNS6_9null_typeES8_S8_S8_S8_S8_S8_S8_EEEEZNS1_11reduce_implILb1ES3_NS6_12zip_iteratorINS7_INS6_11hip_rocprim26transform_input_iterator_tIbNSD_35transform_pair_of_input_iterators_tIbNS6_6detail15normal_iteratorINS6_10device_ptrIKjEEEESL_NS6_8equal_toIjEEEENSG_9not_fun_tINSD_8identityEEEEENSD_19counting_iterator_tIlEES8_S8_S8_S8_S8_S8_S8_S8_EEEEPS9_S9_NSD_9__find_if7functorIS9_EEEE10hipError_tPvRmT1_T2_T3_mT4_P12ihipStream_tbEUlT_E0_NS1_11comp_targetILNS1_3genE4ELNS1_11target_archE910ELNS1_3gpuE8ELNS1_3repE0EEENS1_30default_config_static_selectorELNS0_4arch9wavefront6targetE0EEEvS14_.numbered_sgpr, 0
	.set _ZN7rocprim17ROCPRIM_400000_NS6detail17trampoline_kernelINS0_14default_configENS1_22reduce_config_selectorIN6thrust23THRUST_200600_302600_NS5tupleIblNS6_9null_typeES8_S8_S8_S8_S8_S8_S8_EEEEZNS1_11reduce_implILb1ES3_NS6_12zip_iteratorINS7_INS6_11hip_rocprim26transform_input_iterator_tIbNSD_35transform_pair_of_input_iterators_tIbNS6_6detail15normal_iteratorINS6_10device_ptrIKjEEEESL_NS6_8equal_toIjEEEENSG_9not_fun_tINSD_8identityEEEEENSD_19counting_iterator_tIlEES8_S8_S8_S8_S8_S8_S8_S8_EEEEPS9_S9_NSD_9__find_if7functorIS9_EEEE10hipError_tPvRmT1_T2_T3_mT4_P12ihipStream_tbEUlT_E0_NS1_11comp_targetILNS1_3genE4ELNS1_11target_archE910ELNS1_3gpuE8ELNS1_3repE0EEENS1_30default_config_static_selectorELNS0_4arch9wavefront6targetE0EEEvS14_.num_named_barrier, 0
	.set _ZN7rocprim17ROCPRIM_400000_NS6detail17trampoline_kernelINS0_14default_configENS1_22reduce_config_selectorIN6thrust23THRUST_200600_302600_NS5tupleIblNS6_9null_typeES8_S8_S8_S8_S8_S8_S8_EEEEZNS1_11reduce_implILb1ES3_NS6_12zip_iteratorINS7_INS6_11hip_rocprim26transform_input_iterator_tIbNSD_35transform_pair_of_input_iterators_tIbNS6_6detail15normal_iteratorINS6_10device_ptrIKjEEEESL_NS6_8equal_toIjEEEENSG_9not_fun_tINSD_8identityEEEEENSD_19counting_iterator_tIlEES8_S8_S8_S8_S8_S8_S8_S8_EEEEPS9_S9_NSD_9__find_if7functorIS9_EEEE10hipError_tPvRmT1_T2_T3_mT4_P12ihipStream_tbEUlT_E0_NS1_11comp_targetILNS1_3genE4ELNS1_11target_archE910ELNS1_3gpuE8ELNS1_3repE0EEENS1_30default_config_static_selectorELNS0_4arch9wavefront6targetE0EEEvS14_.private_seg_size, 0
	.set _ZN7rocprim17ROCPRIM_400000_NS6detail17trampoline_kernelINS0_14default_configENS1_22reduce_config_selectorIN6thrust23THRUST_200600_302600_NS5tupleIblNS6_9null_typeES8_S8_S8_S8_S8_S8_S8_EEEEZNS1_11reduce_implILb1ES3_NS6_12zip_iteratorINS7_INS6_11hip_rocprim26transform_input_iterator_tIbNSD_35transform_pair_of_input_iterators_tIbNS6_6detail15normal_iteratorINS6_10device_ptrIKjEEEESL_NS6_8equal_toIjEEEENSG_9not_fun_tINSD_8identityEEEEENSD_19counting_iterator_tIlEES8_S8_S8_S8_S8_S8_S8_S8_EEEEPS9_S9_NSD_9__find_if7functorIS9_EEEE10hipError_tPvRmT1_T2_T3_mT4_P12ihipStream_tbEUlT_E0_NS1_11comp_targetILNS1_3genE4ELNS1_11target_archE910ELNS1_3gpuE8ELNS1_3repE0EEENS1_30default_config_static_selectorELNS0_4arch9wavefront6targetE0EEEvS14_.uses_vcc, 0
	.set _ZN7rocprim17ROCPRIM_400000_NS6detail17trampoline_kernelINS0_14default_configENS1_22reduce_config_selectorIN6thrust23THRUST_200600_302600_NS5tupleIblNS6_9null_typeES8_S8_S8_S8_S8_S8_S8_EEEEZNS1_11reduce_implILb1ES3_NS6_12zip_iteratorINS7_INS6_11hip_rocprim26transform_input_iterator_tIbNSD_35transform_pair_of_input_iterators_tIbNS6_6detail15normal_iteratorINS6_10device_ptrIKjEEEESL_NS6_8equal_toIjEEEENSG_9not_fun_tINSD_8identityEEEEENSD_19counting_iterator_tIlEES8_S8_S8_S8_S8_S8_S8_S8_EEEEPS9_S9_NSD_9__find_if7functorIS9_EEEE10hipError_tPvRmT1_T2_T3_mT4_P12ihipStream_tbEUlT_E0_NS1_11comp_targetILNS1_3genE4ELNS1_11target_archE910ELNS1_3gpuE8ELNS1_3repE0EEENS1_30default_config_static_selectorELNS0_4arch9wavefront6targetE0EEEvS14_.uses_flat_scratch, 0
	.set _ZN7rocprim17ROCPRIM_400000_NS6detail17trampoline_kernelINS0_14default_configENS1_22reduce_config_selectorIN6thrust23THRUST_200600_302600_NS5tupleIblNS6_9null_typeES8_S8_S8_S8_S8_S8_S8_EEEEZNS1_11reduce_implILb1ES3_NS6_12zip_iteratorINS7_INS6_11hip_rocprim26transform_input_iterator_tIbNSD_35transform_pair_of_input_iterators_tIbNS6_6detail15normal_iteratorINS6_10device_ptrIKjEEEESL_NS6_8equal_toIjEEEENSG_9not_fun_tINSD_8identityEEEEENSD_19counting_iterator_tIlEES8_S8_S8_S8_S8_S8_S8_S8_EEEEPS9_S9_NSD_9__find_if7functorIS9_EEEE10hipError_tPvRmT1_T2_T3_mT4_P12ihipStream_tbEUlT_E0_NS1_11comp_targetILNS1_3genE4ELNS1_11target_archE910ELNS1_3gpuE8ELNS1_3repE0EEENS1_30default_config_static_selectorELNS0_4arch9wavefront6targetE0EEEvS14_.has_dyn_sized_stack, 0
	.set _ZN7rocprim17ROCPRIM_400000_NS6detail17trampoline_kernelINS0_14default_configENS1_22reduce_config_selectorIN6thrust23THRUST_200600_302600_NS5tupleIblNS6_9null_typeES8_S8_S8_S8_S8_S8_S8_EEEEZNS1_11reduce_implILb1ES3_NS6_12zip_iteratorINS7_INS6_11hip_rocprim26transform_input_iterator_tIbNSD_35transform_pair_of_input_iterators_tIbNS6_6detail15normal_iteratorINS6_10device_ptrIKjEEEESL_NS6_8equal_toIjEEEENSG_9not_fun_tINSD_8identityEEEEENSD_19counting_iterator_tIlEES8_S8_S8_S8_S8_S8_S8_S8_EEEEPS9_S9_NSD_9__find_if7functorIS9_EEEE10hipError_tPvRmT1_T2_T3_mT4_P12ihipStream_tbEUlT_E0_NS1_11comp_targetILNS1_3genE4ELNS1_11target_archE910ELNS1_3gpuE8ELNS1_3repE0EEENS1_30default_config_static_selectorELNS0_4arch9wavefront6targetE0EEEvS14_.has_recursion, 0
	.set _ZN7rocprim17ROCPRIM_400000_NS6detail17trampoline_kernelINS0_14default_configENS1_22reduce_config_selectorIN6thrust23THRUST_200600_302600_NS5tupleIblNS6_9null_typeES8_S8_S8_S8_S8_S8_S8_EEEEZNS1_11reduce_implILb1ES3_NS6_12zip_iteratorINS7_INS6_11hip_rocprim26transform_input_iterator_tIbNSD_35transform_pair_of_input_iterators_tIbNS6_6detail15normal_iteratorINS6_10device_ptrIKjEEEESL_NS6_8equal_toIjEEEENSG_9not_fun_tINSD_8identityEEEEENSD_19counting_iterator_tIlEES8_S8_S8_S8_S8_S8_S8_S8_EEEEPS9_S9_NSD_9__find_if7functorIS9_EEEE10hipError_tPvRmT1_T2_T3_mT4_P12ihipStream_tbEUlT_E0_NS1_11comp_targetILNS1_3genE4ELNS1_11target_archE910ELNS1_3gpuE8ELNS1_3repE0EEENS1_30default_config_static_selectorELNS0_4arch9wavefront6targetE0EEEvS14_.has_indirect_call, 0
	.section	.AMDGPU.csdata,"",@progbits
; Kernel info:
; codeLenInByte = 0
; TotalNumSgprs: 0
; NumVgprs: 0
; ScratchSize: 0
; MemoryBound: 0
; FloatMode: 240
; IeeeMode: 1
; LDSByteSize: 0 bytes/workgroup (compile time only)
; SGPRBlocks: 0
; VGPRBlocks: 0
; NumSGPRsForWavesPerEU: 1
; NumVGPRsForWavesPerEU: 1
; Occupancy: 16
; WaveLimiterHint : 0
; COMPUTE_PGM_RSRC2:SCRATCH_EN: 0
; COMPUTE_PGM_RSRC2:USER_SGPR: 6
; COMPUTE_PGM_RSRC2:TRAP_HANDLER: 0
; COMPUTE_PGM_RSRC2:TGID_X_EN: 1
; COMPUTE_PGM_RSRC2:TGID_Y_EN: 0
; COMPUTE_PGM_RSRC2:TGID_Z_EN: 0
; COMPUTE_PGM_RSRC2:TIDIG_COMP_CNT: 0
	.section	.text._ZN7rocprim17ROCPRIM_400000_NS6detail17trampoline_kernelINS0_14default_configENS1_22reduce_config_selectorIN6thrust23THRUST_200600_302600_NS5tupleIblNS6_9null_typeES8_S8_S8_S8_S8_S8_S8_EEEEZNS1_11reduce_implILb1ES3_NS6_12zip_iteratorINS7_INS6_11hip_rocprim26transform_input_iterator_tIbNSD_35transform_pair_of_input_iterators_tIbNS6_6detail15normal_iteratorINS6_10device_ptrIKjEEEESL_NS6_8equal_toIjEEEENSG_9not_fun_tINSD_8identityEEEEENSD_19counting_iterator_tIlEES8_S8_S8_S8_S8_S8_S8_S8_EEEEPS9_S9_NSD_9__find_if7functorIS9_EEEE10hipError_tPvRmT1_T2_T3_mT4_P12ihipStream_tbEUlT_E0_NS1_11comp_targetILNS1_3genE3ELNS1_11target_archE908ELNS1_3gpuE7ELNS1_3repE0EEENS1_30default_config_static_selectorELNS0_4arch9wavefront6targetE0EEEvS14_,"axG",@progbits,_ZN7rocprim17ROCPRIM_400000_NS6detail17trampoline_kernelINS0_14default_configENS1_22reduce_config_selectorIN6thrust23THRUST_200600_302600_NS5tupleIblNS6_9null_typeES8_S8_S8_S8_S8_S8_S8_EEEEZNS1_11reduce_implILb1ES3_NS6_12zip_iteratorINS7_INS6_11hip_rocprim26transform_input_iterator_tIbNSD_35transform_pair_of_input_iterators_tIbNS6_6detail15normal_iteratorINS6_10device_ptrIKjEEEESL_NS6_8equal_toIjEEEENSG_9not_fun_tINSD_8identityEEEEENSD_19counting_iterator_tIlEES8_S8_S8_S8_S8_S8_S8_S8_EEEEPS9_S9_NSD_9__find_if7functorIS9_EEEE10hipError_tPvRmT1_T2_T3_mT4_P12ihipStream_tbEUlT_E0_NS1_11comp_targetILNS1_3genE3ELNS1_11target_archE908ELNS1_3gpuE7ELNS1_3repE0EEENS1_30default_config_static_selectorELNS0_4arch9wavefront6targetE0EEEvS14_,comdat
	.protected	_ZN7rocprim17ROCPRIM_400000_NS6detail17trampoline_kernelINS0_14default_configENS1_22reduce_config_selectorIN6thrust23THRUST_200600_302600_NS5tupleIblNS6_9null_typeES8_S8_S8_S8_S8_S8_S8_EEEEZNS1_11reduce_implILb1ES3_NS6_12zip_iteratorINS7_INS6_11hip_rocprim26transform_input_iterator_tIbNSD_35transform_pair_of_input_iterators_tIbNS6_6detail15normal_iteratorINS6_10device_ptrIKjEEEESL_NS6_8equal_toIjEEEENSG_9not_fun_tINSD_8identityEEEEENSD_19counting_iterator_tIlEES8_S8_S8_S8_S8_S8_S8_S8_EEEEPS9_S9_NSD_9__find_if7functorIS9_EEEE10hipError_tPvRmT1_T2_T3_mT4_P12ihipStream_tbEUlT_E0_NS1_11comp_targetILNS1_3genE3ELNS1_11target_archE908ELNS1_3gpuE7ELNS1_3repE0EEENS1_30default_config_static_selectorELNS0_4arch9wavefront6targetE0EEEvS14_ ; -- Begin function _ZN7rocprim17ROCPRIM_400000_NS6detail17trampoline_kernelINS0_14default_configENS1_22reduce_config_selectorIN6thrust23THRUST_200600_302600_NS5tupleIblNS6_9null_typeES8_S8_S8_S8_S8_S8_S8_EEEEZNS1_11reduce_implILb1ES3_NS6_12zip_iteratorINS7_INS6_11hip_rocprim26transform_input_iterator_tIbNSD_35transform_pair_of_input_iterators_tIbNS6_6detail15normal_iteratorINS6_10device_ptrIKjEEEESL_NS6_8equal_toIjEEEENSG_9not_fun_tINSD_8identityEEEEENSD_19counting_iterator_tIlEES8_S8_S8_S8_S8_S8_S8_S8_EEEEPS9_S9_NSD_9__find_if7functorIS9_EEEE10hipError_tPvRmT1_T2_T3_mT4_P12ihipStream_tbEUlT_E0_NS1_11comp_targetILNS1_3genE3ELNS1_11target_archE908ELNS1_3gpuE7ELNS1_3repE0EEENS1_30default_config_static_selectorELNS0_4arch9wavefront6targetE0EEEvS14_
	.globl	_ZN7rocprim17ROCPRIM_400000_NS6detail17trampoline_kernelINS0_14default_configENS1_22reduce_config_selectorIN6thrust23THRUST_200600_302600_NS5tupleIblNS6_9null_typeES8_S8_S8_S8_S8_S8_S8_EEEEZNS1_11reduce_implILb1ES3_NS6_12zip_iteratorINS7_INS6_11hip_rocprim26transform_input_iterator_tIbNSD_35transform_pair_of_input_iterators_tIbNS6_6detail15normal_iteratorINS6_10device_ptrIKjEEEESL_NS6_8equal_toIjEEEENSG_9not_fun_tINSD_8identityEEEEENSD_19counting_iterator_tIlEES8_S8_S8_S8_S8_S8_S8_S8_EEEEPS9_S9_NSD_9__find_if7functorIS9_EEEE10hipError_tPvRmT1_T2_T3_mT4_P12ihipStream_tbEUlT_E0_NS1_11comp_targetILNS1_3genE3ELNS1_11target_archE908ELNS1_3gpuE7ELNS1_3repE0EEENS1_30default_config_static_selectorELNS0_4arch9wavefront6targetE0EEEvS14_
	.p2align	8
	.type	_ZN7rocprim17ROCPRIM_400000_NS6detail17trampoline_kernelINS0_14default_configENS1_22reduce_config_selectorIN6thrust23THRUST_200600_302600_NS5tupleIblNS6_9null_typeES8_S8_S8_S8_S8_S8_S8_EEEEZNS1_11reduce_implILb1ES3_NS6_12zip_iteratorINS7_INS6_11hip_rocprim26transform_input_iterator_tIbNSD_35transform_pair_of_input_iterators_tIbNS6_6detail15normal_iteratorINS6_10device_ptrIKjEEEESL_NS6_8equal_toIjEEEENSG_9not_fun_tINSD_8identityEEEEENSD_19counting_iterator_tIlEES8_S8_S8_S8_S8_S8_S8_S8_EEEEPS9_S9_NSD_9__find_if7functorIS9_EEEE10hipError_tPvRmT1_T2_T3_mT4_P12ihipStream_tbEUlT_E0_NS1_11comp_targetILNS1_3genE3ELNS1_11target_archE908ELNS1_3gpuE7ELNS1_3repE0EEENS1_30default_config_static_selectorELNS0_4arch9wavefront6targetE0EEEvS14_,@function
_ZN7rocprim17ROCPRIM_400000_NS6detail17trampoline_kernelINS0_14default_configENS1_22reduce_config_selectorIN6thrust23THRUST_200600_302600_NS5tupleIblNS6_9null_typeES8_S8_S8_S8_S8_S8_S8_EEEEZNS1_11reduce_implILb1ES3_NS6_12zip_iteratorINS7_INS6_11hip_rocprim26transform_input_iterator_tIbNSD_35transform_pair_of_input_iterators_tIbNS6_6detail15normal_iteratorINS6_10device_ptrIKjEEEESL_NS6_8equal_toIjEEEENSG_9not_fun_tINSD_8identityEEEEENSD_19counting_iterator_tIlEES8_S8_S8_S8_S8_S8_S8_S8_EEEEPS9_S9_NSD_9__find_if7functorIS9_EEEE10hipError_tPvRmT1_T2_T3_mT4_P12ihipStream_tbEUlT_E0_NS1_11comp_targetILNS1_3genE3ELNS1_11target_archE908ELNS1_3gpuE7ELNS1_3repE0EEENS1_30default_config_static_selectorELNS0_4arch9wavefront6targetE0EEEvS14_: ; @_ZN7rocprim17ROCPRIM_400000_NS6detail17trampoline_kernelINS0_14default_configENS1_22reduce_config_selectorIN6thrust23THRUST_200600_302600_NS5tupleIblNS6_9null_typeES8_S8_S8_S8_S8_S8_S8_EEEEZNS1_11reduce_implILb1ES3_NS6_12zip_iteratorINS7_INS6_11hip_rocprim26transform_input_iterator_tIbNSD_35transform_pair_of_input_iterators_tIbNS6_6detail15normal_iteratorINS6_10device_ptrIKjEEEESL_NS6_8equal_toIjEEEENSG_9not_fun_tINSD_8identityEEEEENSD_19counting_iterator_tIlEES8_S8_S8_S8_S8_S8_S8_S8_EEEEPS9_S9_NSD_9__find_if7functorIS9_EEEE10hipError_tPvRmT1_T2_T3_mT4_P12ihipStream_tbEUlT_E0_NS1_11comp_targetILNS1_3genE3ELNS1_11target_archE908ELNS1_3gpuE7ELNS1_3repE0EEENS1_30default_config_static_selectorELNS0_4arch9wavefront6targetE0EEEvS14_
; %bb.0:
	.section	.rodata,"a",@progbits
	.p2align	6, 0x0
	.amdhsa_kernel _ZN7rocprim17ROCPRIM_400000_NS6detail17trampoline_kernelINS0_14default_configENS1_22reduce_config_selectorIN6thrust23THRUST_200600_302600_NS5tupleIblNS6_9null_typeES8_S8_S8_S8_S8_S8_S8_EEEEZNS1_11reduce_implILb1ES3_NS6_12zip_iteratorINS7_INS6_11hip_rocprim26transform_input_iterator_tIbNSD_35transform_pair_of_input_iterators_tIbNS6_6detail15normal_iteratorINS6_10device_ptrIKjEEEESL_NS6_8equal_toIjEEEENSG_9not_fun_tINSD_8identityEEEEENSD_19counting_iterator_tIlEES8_S8_S8_S8_S8_S8_S8_S8_EEEEPS9_S9_NSD_9__find_if7functorIS9_EEEE10hipError_tPvRmT1_T2_T3_mT4_P12ihipStream_tbEUlT_E0_NS1_11comp_targetILNS1_3genE3ELNS1_11target_archE908ELNS1_3gpuE7ELNS1_3repE0EEENS1_30default_config_static_selectorELNS0_4arch9wavefront6targetE0EEEvS14_
		.amdhsa_group_segment_fixed_size 0
		.amdhsa_private_segment_fixed_size 0
		.amdhsa_kernarg_size 104
		.amdhsa_user_sgpr_count 6
		.amdhsa_user_sgpr_private_segment_buffer 1
		.amdhsa_user_sgpr_dispatch_ptr 0
		.amdhsa_user_sgpr_queue_ptr 0
		.amdhsa_user_sgpr_kernarg_segment_ptr 1
		.amdhsa_user_sgpr_dispatch_id 0
		.amdhsa_user_sgpr_flat_scratch_init 0
		.amdhsa_user_sgpr_private_segment_size 0
		.amdhsa_wavefront_size32 1
		.amdhsa_uses_dynamic_stack 0
		.amdhsa_system_sgpr_private_segment_wavefront_offset 0
		.amdhsa_system_sgpr_workgroup_id_x 1
		.amdhsa_system_sgpr_workgroup_id_y 0
		.amdhsa_system_sgpr_workgroup_id_z 0
		.amdhsa_system_sgpr_workgroup_info 0
		.amdhsa_system_vgpr_workitem_id 0
		.amdhsa_next_free_vgpr 1
		.amdhsa_next_free_sgpr 1
		.amdhsa_reserve_vcc 0
		.amdhsa_reserve_flat_scratch 0
		.amdhsa_float_round_mode_32 0
		.amdhsa_float_round_mode_16_64 0
		.amdhsa_float_denorm_mode_32 3
		.amdhsa_float_denorm_mode_16_64 3
		.amdhsa_dx10_clamp 1
		.amdhsa_ieee_mode 1
		.amdhsa_fp16_overflow 0
		.amdhsa_workgroup_processor_mode 1
		.amdhsa_memory_ordered 1
		.amdhsa_forward_progress 1
		.amdhsa_shared_vgpr_count 0
		.amdhsa_exception_fp_ieee_invalid_op 0
		.amdhsa_exception_fp_denorm_src 0
		.amdhsa_exception_fp_ieee_div_zero 0
		.amdhsa_exception_fp_ieee_overflow 0
		.amdhsa_exception_fp_ieee_underflow 0
		.amdhsa_exception_fp_ieee_inexact 0
		.amdhsa_exception_int_div_zero 0
	.end_amdhsa_kernel
	.section	.text._ZN7rocprim17ROCPRIM_400000_NS6detail17trampoline_kernelINS0_14default_configENS1_22reduce_config_selectorIN6thrust23THRUST_200600_302600_NS5tupleIblNS6_9null_typeES8_S8_S8_S8_S8_S8_S8_EEEEZNS1_11reduce_implILb1ES3_NS6_12zip_iteratorINS7_INS6_11hip_rocprim26transform_input_iterator_tIbNSD_35transform_pair_of_input_iterators_tIbNS6_6detail15normal_iteratorINS6_10device_ptrIKjEEEESL_NS6_8equal_toIjEEEENSG_9not_fun_tINSD_8identityEEEEENSD_19counting_iterator_tIlEES8_S8_S8_S8_S8_S8_S8_S8_EEEEPS9_S9_NSD_9__find_if7functorIS9_EEEE10hipError_tPvRmT1_T2_T3_mT4_P12ihipStream_tbEUlT_E0_NS1_11comp_targetILNS1_3genE3ELNS1_11target_archE908ELNS1_3gpuE7ELNS1_3repE0EEENS1_30default_config_static_selectorELNS0_4arch9wavefront6targetE0EEEvS14_,"axG",@progbits,_ZN7rocprim17ROCPRIM_400000_NS6detail17trampoline_kernelINS0_14default_configENS1_22reduce_config_selectorIN6thrust23THRUST_200600_302600_NS5tupleIblNS6_9null_typeES8_S8_S8_S8_S8_S8_S8_EEEEZNS1_11reduce_implILb1ES3_NS6_12zip_iteratorINS7_INS6_11hip_rocprim26transform_input_iterator_tIbNSD_35transform_pair_of_input_iterators_tIbNS6_6detail15normal_iteratorINS6_10device_ptrIKjEEEESL_NS6_8equal_toIjEEEENSG_9not_fun_tINSD_8identityEEEEENSD_19counting_iterator_tIlEES8_S8_S8_S8_S8_S8_S8_S8_EEEEPS9_S9_NSD_9__find_if7functorIS9_EEEE10hipError_tPvRmT1_T2_T3_mT4_P12ihipStream_tbEUlT_E0_NS1_11comp_targetILNS1_3genE3ELNS1_11target_archE908ELNS1_3gpuE7ELNS1_3repE0EEENS1_30default_config_static_selectorELNS0_4arch9wavefront6targetE0EEEvS14_,comdat
.Lfunc_end207:
	.size	_ZN7rocprim17ROCPRIM_400000_NS6detail17trampoline_kernelINS0_14default_configENS1_22reduce_config_selectorIN6thrust23THRUST_200600_302600_NS5tupleIblNS6_9null_typeES8_S8_S8_S8_S8_S8_S8_EEEEZNS1_11reduce_implILb1ES3_NS6_12zip_iteratorINS7_INS6_11hip_rocprim26transform_input_iterator_tIbNSD_35transform_pair_of_input_iterators_tIbNS6_6detail15normal_iteratorINS6_10device_ptrIKjEEEESL_NS6_8equal_toIjEEEENSG_9not_fun_tINSD_8identityEEEEENSD_19counting_iterator_tIlEES8_S8_S8_S8_S8_S8_S8_S8_EEEEPS9_S9_NSD_9__find_if7functorIS9_EEEE10hipError_tPvRmT1_T2_T3_mT4_P12ihipStream_tbEUlT_E0_NS1_11comp_targetILNS1_3genE3ELNS1_11target_archE908ELNS1_3gpuE7ELNS1_3repE0EEENS1_30default_config_static_selectorELNS0_4arch9wavefront6targetE0EEEvS14_, .Lfunc_end207-_ZN7rocprim17ROCPRIM_400000_NS6detail17trampoline_kernelINS0_14default_configENS1_22reduce_config_selectorIN6thrust23THRUST_200600_302600_NS5tupleIblNS6_9null_typeES8_S8_S8_S8_S8_S8_S8_EEEEZNS1_11reduce_implILb1ES3_NS6_12zip_iteratorINS7_INS6_11hip_rocprim26transform_input_iterator_tIbNSD_35transform_pair_of_input_iterators_tIbNS6_6detail15normal_iteratorINS6_10device_ptrIKjEEEESL_NS6_8equal_toIjEEEENSG_9not_fun_tINSD_8identityEEEEENSD_19counting_iterator_tIlEES8_S8_S8_S8_S8_S8_S8_S8_EEEEPS9_S9_NSD_9__find_if7functorIS9_EEEE10hipError_tPvRmT1_T2_T3_mT4_P12ihipStream_tbEUlT_E0_NS1_11comp_targetILNS1_3genE3ELNS1_11target_archE908ELNS1_3gpuE7ELNS1_3repE0EEENS1_30default_config_static_selectorELNS0_4arch9wavefront6targetE0EEEvS14_
                                        ; -- End function
	.set _ZN7rocprim17ROCPRIM_400000_NS6detail17trampoline_kernelINS0_14default_configENS1_22reduce_config_selectorIN6thrust23THRUST_200600_302600_NS5tupleIblNS6_9null_typeES8_S8_S8_S8_S8_S8_S8_EEEEZNS1_11reduce_implILb1ES3_NS6_12zip_iteratorINS7_INS6_11hip_rocprim26transform_input_iterator_tIbNSD_35transform_pair_of_input_iterators_tIbNS6_6detail15normal_iteratorINS6_10device_ptrIKjEEEESL_NS6_8equal_toIjEEEENSG_9not_fun_tINSD_8identityEEEEENSD_19counting_iterator_tIlEES8_S8_S8_S8_S8_S8_S8_S8_EEEEPS9_S9_NSD_9__find_if7functorIS9_EEEE10hipError_tPvRmT1_T2_T3_mT4_P12ihipStream_tbEUlT_E0_NS1_11comp_targetILNS1_3genE3ELNS1_11target_archE908ELNS1_3gpuE7ELNS1_3repE0EEENS1_30default_config_static_selectorELNS0_4arch9wavefront6targetE0EEEvS14_.num_vgpr, 0
	.set _ZN7rocprim17ROCPRIM_400000_NS6detail17trampoline_kernelINS0_14default_configENS1_22reduce_config_selectorIN6thrust23THRUST_200600_302600_NS5tupleIblNS6_9null_typeES8_S8_S8_S8_S8_S8_S8_EEEEZNS1_11reduce_implILb1ES3_NS6_12zip_iteratorINS7_INS6_11hip_rocprim26transform_input_iterator_tIbNSD_35transform_pair_of_input_iterators_tIbNS6_6detail15normal_iteratorINS6_10device_ptrIKjEEEESL_NS6_8equal_toIjEEEENSG_9not_fun_tINSD_8identityEEEEENSD_19counting_iterator_tIlEES8_S8_S8_S8_S8_S8_S8_S8_EEEEPS9_S9_NSD_9__find_if7functorIS9_EEEE10hipError_tPvRmT1_T2_T3_mT4_P12ihipStream_tbEUlT_E0_NS1_11comp_targetILNS1_3genE3ELNS1_11target_archE908ELNS1_3gpuE7ELNS1_3repE0EEENS1_30default_config_static_selectorELNS0_4arch9wavefront6targetE0EEEvS14_.num_agpr, 0
	.set _ZN7rocprim17ROCPRIM_400000_NS6detail17trampoline_kernelINS0_14default_configENS1_22reduce_config_selectorIN6thrust23THRUST_200600_302600_NS5tupleIblNS6_9null_typeES8_S8_S8_S8_S8_S8_S8_EEEEZNS1_11reduce_implILb1ES3_NS6_12zip_iteratorINS7_INS6_11hip_rocprim26transform_input_iterator_tIbNSD_35transform_pair_of_input_iterators_tIbNS6_6detail15normal_iteratorINS6_10device_ptrIKjEEEESL_NS6_8equal_toIjEEEENSG_9not_fun_tINSD_8identityEEEEENSD_19counting_iterator_tIlEES8_S8_S8_S8_S8_S8_S8_S8_EEEEPS9_S9_NSD_9__find_if7functorIS9_EEEE10hipError_tPvRmT1_T2_T3_mT4_P12ihipStream_tbEUlT_E0_NS1_11comp_targetILNS1_3genE3ELNS1_11target_archE908ELNS1_3gpuE7ELNS1_3repE0EEENS1_30default_config_static_selectorELNS0_4arch9wavefront6targetE0EEEvS14_.numbered_sgpr, 0
	.set _ZN7rocprim17ROCPRIM_400000_NS6detail17trampoline_kernelINS0_14default_configENS1_22reduce_config_selectorIN6thrust23THRUST_200600_302600_NS5tupleIblNS6_9null_typeES8_S8_S8_S8_S8_S8_S8_EEEEZNS1_11reduce_implILb1ES3_NS6_12zip_iteratorINS7_INS6_11hip_rocprim26transform_input_iterator_tIbNSD_35transform_pair_of_input_iterators_tIbNS6_6detail15normal_iteratorINS6_10device_ptrIKjEEEESL_NS6_8equal_toIjEEEENSG_9not_fun_tINSD_8identityEEEEENSD_19counting_iterator_tIlEES8_S8_S8_S8_S8_S8_S8_S8_EEEEPS9_S9_NSD_9__find_if7functorIS9_EEEE10hipError_tPvRmT1_T2_T3_mT4_P12ihipStream_tbEUlT_E0_NS1_11comp_targetILNS1_3genE3ELNS1_11target_archE908ELNS1_3gpuE7ELNS1_3repE0EEENS1_30default_config_static_selectorELNS0_4arch9wavefront6targetE0EEEvS14_.num_named_barrier, 0
	.set _ZN7rocprim17ROCPRIM_400000_NS6detail17trampoline_kernelINS0_14default_configENS1_22reduce_config_selectorIN6thrust23THRUST_200600_302600_NS5tupleIblNS6_9null_typeES8_S8_S8_S8_S8_S8_S8_EEEEZNS1_11reduce_implILb1ES3_NS6_12zip_iteratorINS7_INS6_11hip_rocprim26transform_input_iterator_tIbNSD_35transform_pair_of_input_iterators_tIbNS6_6detail15normal_iteratorINS6_10device_ptrIKjEEEESL_NS6_8equal_toIjEEEENSG_9not_fun_tINSD_8identityEEEEENSD_19counting_iterator_tIlEES8_S8_S8_S8_S8_S8_S8_S8_EEEEPS9_S9_NSD_9__find_if7functorIS9_EEEE10hipError_tPvRmT1_T2_T3_mT4_P12ihipStream_tbEUlT_E0_NS1_11comp_targetILNS1_3genE3ELNS1_11target_archE908ELNS1_3gpuE7ELNS1_3repE0EEENS1_30default_config_static_selectorELNS0_4arch9wavefront6targetE0EEEvS14_.private_seg_size, 0
	.set _ZN7rocprim17ROCPRIM_400000_NS6detail17trampoline_kernelINS0_14default_configENS1_22reduce_config_selectorIN6thrust23THRUST_200600_302600_NS5tupleIblNS6_9null_typeES8_S8_S8_S8_S8_S8_S8_EEEEZNS1_11reduce_implILb1ES3_NS6_12zip_iteratorINS7_INS6_11hip_rocprim26transform_input_iterator_tIbNSD_35transform_pair_of_input_iterators_tIbNS6_6detail15normal_iteratorINS6_10device_ptrIKjEEEESL_NS6_8equal_toIjEEEENSG_9not_fun_tINSD_8identityEEEEENSD_19counting_iterator_tIlEES8_S8_S8_S8_S8_S8_S8_S8_EEEEPS9_S9_NSD_9__find_if7functorIS9_EEEE10hipError_tPvRmT1_T2_T3_mT4_P12ihipStream_tbEUlT_E0_NS1_11comp_targetILNS1_3genE3ELNS1_11target_archE908ELNS1_3gpuE7ELNS1_3repE0EEENS1_30default_config_static_selectorELNS0_4arch9wavefront6targetE0EEEvS14_.uses_vcc, 0
	.set _ZN7rocprim17ROCPRIM_400000_NS6detail17trampoline_kernelINS0_14default_configENS1_22reduce_config_selectorIN6thrust23THRUST_200600_302600_NS5tupleIblNS6_9null_typeES8_S8_S8_S8_S8_S8_S8_EEEEZNS1_11reduce_implILb1ES3_NS6_12zip_iteratorINS7_INS6_11hip_rocprim26transform_input_iterator_tIbNSD_35transform_pair_of_input_iterators_tIbNS6_6detail15normal_iteratorINS6_10device_ptrIKjEEEESL_NS6_8equal_toIjEEEENSG_9not_fun_tINSD_8identityEEEEENSD_19counting_iterator_tIlEES8_S8_S8_S8_S8_S8_S8_S8_EEEEPS9_S9_NSD_9__find_if7functorIS9_EEEE10hipError_tPvRmT1_T2_T3_mT4_P12ihipStream_tbEUlT_E0_NS1_11comp_targetILNS1_3genE3ELNS1_11target_archE908ELNS1_3gpuE7ELNS1_3repE0EEENS1_30default_config_static_selectorELNS0_4arch9wavefront6targetE0EEEvS14_.uses_flat_scratch, 0
	.set _ZN7rocprim17ROCPRIM_400000_NS6detail17trampoline_kernelINS0_14default_configENS1_22reduce_config_selectorIN6thrust23THRUST_200600_302600_NS5tupleIblNS6_9null_typeES8_S8_S8_S8_S8_S8_S8_EEEEZNS1_11reduce_implILb1ES3_NS6_12zip_iteratorINS7_INS6_11hip_rocprim26transform_input_iterator_tIbNSD_35transform_pair_of_input_iterators_tIbNS6_6detail15normal_iteratorINS6_10device_ptrIKjEEEESL_NS6_8equal_toIjEEEENSG_9not_fun_tINSD_8identityEEEEENSD_19counting_iterator_tIlEES8_S8_S8_S8_S8_S8_S8_S8_EEEEPS9_S9_NSD_9__find_if7functorIS9_EEEE10hipError_tPvRmT1_T2_T3_mT4_P12ihipStream_tbEUlT_E0_NS1_11comp_targetILNS1_3genE3ELNS1_11target_archE908ELNS1_3gpuE7ELNS1_3repE0EEENS1_30default_config_static_selectorELNS0_4arch9wavefront6targetE0EEEvS14_.has_dyn_sized_stack, 0
	.set _ZN7rocprim17ROCPRIM_400000_NS6detail17trampoline_kernelINS0_14default_configENS1_22reduce_config_selectorIN6thrust23THRUST_200600_302600_NS5tupleIblNS6_9null_typeES8_S8_S8_S8_S8_S8_S8_EEEEZNS1_11reduce_implILb1ES3_NS6_12zip_iteratorINS7_INS6_11hip_rocprim26transform_input_iterator_tIbNSD_35transform_pair_of_input_iterators_tIbNS6_6detail15normal_iteratorINS6_10device_ptrIKjEEEESL_NS6_8equal_toIjEEEENSG_9not_fun_tINSD_8identityEEEEENSD_19counting_iterator_tIlEES8_S8_S8_S8_S8_S8_S8_S8_EEEEPS9_S9_NSD_9__find_if7functorIS9_EEEE10hipError_tPvRmT1_T2_T3_mT4_P12ihipStream_tbEUlT_E0_NS1_11comp_targetILNS1_3genE3ELNS1_11target_archE908ELNS1_3gpuE7ELNS1_3repE0EEENS1_30default_config_static_selectorELNS0_4arch9wavefront6targetE0EEEvS14_.has_recursion, 0
	.set _ZN7rocprim17ROCPRIM_400000_NS6detail17trampoline_kernelINS0_14default_configENS1_22reduce_config_selectorIN6thrust23THRUST_200600_302600_NS5tupleIblNS6_9null_typeES8_S8_S8_S8_S8_S8_S8_EEEEZNS1_11reduce_implILb1ES3_NS6_12zip_iteratorINS7_INS6_11hip_rocprim26transform_input_iterator_tIbNSD_35transform_pair_of_input_iterators_tIbNS6_6detail15normal_iteratorINS6_10device_ptrIKjEEEESL_NS6_8equal_toIjEEEENSG_9not_fun_tINSD_8identityEEEEENSD_19counting_iterator_tIlEES8_S8_S8_S8_S8_S8_S8_S8_EEEEPS9_S9_NSD_9__find_if7functorIS9_EEEE10hipError_tPvRmT1_T2_T3_mT4_P12ihipStream_tbEUlT_E0_NS1_11comp_targetILNS1_3genE3ELNS1_11target_archE908ELNS1_3gpuE7ELNS1_3repE0EEENS1_30default_config_static_selectorELNS0_4arch9wavefront6targetE0EEEvS14_.has_indirect_call, 0
	.section	.AMDGPU.csdata,"",@progbits
; Kernel info:
; codeLenInByte = 0
; TotalNumSgprs: 0
; NumVgprs: 0
; ScratchSize: 0
; MemoryBound: 0
; FloatMode: 240
; IeeeMode: 1
; LDSByteSize: 0 bytes/workgroup (compile time only)
; SGPRBlocks: 0
; VGPRBlocks: 0
; NumSGPRsForWavesPerEU: 1
; NumVGPRsForWavesPerEU: 1
; Occupancy: 16
; WaveLimiterHint : 0
; COMPUTE_PGM_RSRC2:SCRATCH_EN: 0
; COMPUTE_PGM_RSRC2:USER_SGPR: 6
; COMPUTE_PGM_RSRC2:TRAP_HANDLER: 0
; COMPUTE_PGM_RSRC2:TGID_X_EN: 1
; COMPUTE_PGM_RSRC2:TGID_Y_EN: 0
; COMPUTE_PGM_RSRC2:TGID_Z_EN: 0
; COMPUTE_PGM_RSRC2:TIDIG_COMP_CNT: 0
	.section	.text._ZN7rocprim17ROCPRIM_400000_NS6detail17trampoline_kernelINS0_14default_configENS1_22reduce_config_selectorIN6thrust23THRUST_200600_302600_NS5tupleIblNS6_9null_typeES8_S8_S8_S8_S8_S8_S8_EEEEZNS1_11reduce_implILb1ES3_NS6_12zip_iteratorINS7_INS6_11hip_rocprim26transform_input_iterator_tIbNSD_35transform_pair_of_input_iterators_tIbNS6_6detail15normal_iteratorINS6_10device_ptrIKjEEEESL_NS6_8equal_toIjEEEENSG_9not_fun_tINSD_8identityEEEEENSD_19counting_iterator_tIlEES8_S8_S8_S8_S8_S8_S8_S8_EEEEPS9_S9_NSD_9__find_if7functorIS9_EEEE10hipError_tPvRmT1_T2_T3_mT4_P12ihipStream_tbEUlT_E0_NS1_11comp_targetILNS1_3genE2ELNS1_11target_archE906ELNS1_3gpuE6ELNS1_3repE0EEENS1_30default_config_static_selectorELNS0_4arch9wavefront6targetE0EEEvS14_,"axG",@progbits,_ZN7rocprim17ROCPRIM_400000_NS6detail17trampoline_kernelINS0_14default_configENS1_22reduce_config_selectorIN6thrust23THRUST_200600_302600_NS5tupleIblNS6_9null_typeES8_S8_S8_S8_S8_S8_S8_EEEEZNS1_11reduce_implILb1ES3_NS6_12zip_iteratorINS7_INS6_11hip_rocprim26transform_input_iterator_tIbNSD_35transform_pair_of_input_iterators_tIbNS6_6detail15normal_iteratorINS6_10device_ptrIKjEEEESL_NS6_8equal_toIjEEEENSG_9not_fun_tINSD_8identityEEEEENSD_19counting_iterator_tIlEES8_S8_S8_S8_S8_S8_S8_S8_EEEEPS9_S9_NSD_9__find_if7functorIS9_EEEE10hipError_tPvRmT1_T2_T3_mT4_P12ihipStream_tbEUlT_E0_NS1_11comp_targetILNS1_3genE2ELNS1_11target_archE906ELNS1_3gpuE6ELNS1_3repE0EEENS1_30default_config_static_selectorELNS0_4arch9wavefront6targetE0EEEvS14_,comdat
	.protected	_ZN7rocprim17ROCPRIM_400000_NS6detail17trampoline_kernelINS0_14default_configENS1_22reduce_config_selectorIN6thrust23THRUST_200600_302600_NS5tupleIblNS6_9null_typeES8_S8_S8_S8_S8_S8_S8_EEEEZNS1_11reduce_implILb1ES3_NS6_12zip_iteratorINS7_INS6_11hip_rocprim26transform_input_iterator_tIbNSD_35transform_pair_of_input_iterators_tIbNS6_6detail15normal_iteratorINS6_10device_ptrIKjEEEESL_NS6_8equal_toIjEEEENSG_9not_fun_tINSD_8identityEEEEENSD_19counting_iterator_tIlEES8_S8_S8_S8_S8_S8_S8_S8_EEEEPS9_S9_NSD_9__find_if7functorIS9_EEEE10hipError_tPvRmT1_T2_T3_mT4_P12ihipStream_tbEUlT_E0_NS1_11comp_targetILNS1_3genE2ELNS1_11target_archE906ELNS1_3gpuE6ELNS1_3repE0EEENS1_30default_config_static_selectorELNS0_4arch9wavefront6targetE0EEEvS14_ ; -- Begin function _ZN7rocprim17ROCPRIM_400000_NS6detail17trampoline_kernelINS0_14default_configENS1_22reduce_config_selectorIN6thrust23THRUST_200600_302600_NS5tupleIblNS6_9null_typeES8_S8_S8_S8_S8_S8_S8_EEEEZNS1_11reduce_implILb1ES3_NS6_12zip_iteratorINS7_INS6_11hip_rocprim26transform_input_iterator_tIbNSD_35transform_pair_of_input_iterators_tIbNS6_6detail15normal_iteratorINS6_10device_ptrIKjEEEESL_NS6_8equal_toIjEEEENSG_9not_fun_tINSD_8identityEEEEENSD_19counting_iterator_tIlEES8_S8_S8_S8_S8_S8_S8_S8_EEEEPS9_S9_NSD_9__find_if7functorIS9_EEEE10hipError_tPvRmT1_T2_T3_mT4_P12ihipStream_tbEUlT_E0_NS1_11comp_targetILNS1_3genE2ELNS1_11target_archE906ELNS1_3gpuE6ELNS1_3repE0EEENS1_30default_config_static_selectorELNS0_4arch9wavefront6targetE0EEEvS14_
	.globl	_ZN7rocprim17ROCPRIM_400000_NS6detail17trampoline_kernelINS0_14default_configENS1_22reduce_config_selectorIN6thrust23THRUST_200600_302600_NS5tupleIblNS6_9null_typeES8_S8_S8_S8_S8_S8_S8_EEEEZNS1_11reduce_implILb1ES3_NS6_12zip_iteratorINS7_INS6_11hip_rocprim26transform_input_iterator_tIbNSD_35transform_pair_of_input_iterators_tIbNS6_6detail15normal_iteratorINS6_10device_ptrIKjEEEESL_NS6_8equal_toIjEEEENSG_9not_fun_tINSD_8identityEEEEENSD_19counting_iterator_tIlEES8_S8_S8_S8_S8_S8_S8_S8_EEEEPS9_S9_NSD_9__find_if7functorIS9_EEEE10hipError_tPvRmT1_T2_T3_mT4_P12ihipStream_tbEUlT_E0_NS1_11comp_targetILNS1_3genE2ELNS1_11target_archE906ELNS1_3gpuE6ELNS1_3repE0EEENS1_30default_config_static_selectorELNS0_4arch9wavefront6targetE0EEEvS14_
	.p2align	8
	.type	_ZN7rocprim17ROCPRIM_400000_NS6detail17trampoline_kernelINS0_14default_configENS1_22reduce_config_selectorIN6thrust23THRUST_200600_302600_NS5tupleIblNS6_9null_typeES8_S8_S8_S8_S8_S8_S8_EEEEZNS1_11reduce_implILb1ES3_NS6_12zip_iteratorINS7_INS6_11hip_rocprim26transform_input_iterator_tIbNSD_35transform_pair_of_input_iterators_tIbNS6_6detail15normal_iteratorINS6_10device_ptrIKjEEEESL_NS6_8equal_toIjEEEENSG_9not_fun_tINSD_8identityEEEEENSD_19counting_iterator_tIlEES8_S8_S8_S8_S8_S8_S8_S8_EEEEPS9_S9_NSD_9__find_if7functorIS9_EEEE10hipError_tPvRmT1_T2_T3_mT4_P12ihipStream_tbEUlT_E0_NS1_11comp_targetILNS1_3genE2ELNS1_11target_archE906ELNS1_3gpuE6ELNS1_3repE0EEENS1_30default_config_static_selectorELNS0_4arch9wavefront6targetE0EEEvS14_,@function
_ZN7rocprim17ROCPRIM_400000_NS6detail17trampoline_kernelINS0_14default_configENS1_22reduce_config_selectorIN6thrust23THRUST_200600_302600_NS5tupleIblNS6_9null_typeES8_S8_S8_S8_S8_S8_S8_EEEEZNS1_11reduce_implILb1ES3_NS6_12zip_iteratorINS7_INS6_11hip_rocprim26transform_input_iterator_tIbNSD_35transform_pair_of_input_iterators_tIbNS6_6detail15normal_iteratorINS6_10device_ptrIKjEEEESL_NS6_8equal_toIjEEEENSG_9not_fun_tINSD_8identityEEEEENSD_19counting_iterator_tIlEES8_S8_S8_S8_S8_S8_S8_S8_EEEEPS9_S9_NSD_9__find_if7functorIS9_EEEE10hipError_tPvRmT1_T2_T3_mT4_P12ihipStream_tbEUlT_E0_NS1_11comp_targetILNS1_3genE2ELNS1_11target_archE906ELNS1_3gpuE6ELNS1_3repE0EEENS1_30default_config_static_selectorELNS0_4arch9wavefront6targetE0EEEvS14_: ; @_ZN7rocprim17ROCPRIM_400000_NS6detail17trampoline_kernelINS0_14default_configENS1_22reduce_config_selectorIN6thrust23THRUST_200600_302600_NS5tupleIblNS6_9null_typeES8_S8_S8_S8_S8_S8_S8_EEEEZNS1_11reduce_implILb1ES3_NS6_12zip_iteratorINS7_INS6_11hip_rocprim26transform_input_iterator_tIbNSD_35transform_pair_of_input_iterators_tIbNS6_6detail15normal_iteratorINS6_10device_ptrIKjEEEESL_NS6_8equal_toIjEEEENSG_9not_fun_tINSD_8identityEEEEENSD_19counting_iterator_tIlEES8_S8_S8_S8_S8_S8_S8_S8_EEEEPS9_S9_NSD_9__find_if7functorIS9_EEEE10hipError_tPvRmT1_T2_T3_mT4_P12ihipStream_tbEUlT_E0_NS1_11comp_targetILNS1_3genE2ELNS1_11target_archE906ELNS1_3gpuE6ELNS1_3repE0EEENS1_30default_config_static_selectorELNS0_4arch9wavefront6targetE0EEEvS14_
; %bb.0:
	.section	.rodata,"a",@progbits
	.p2align	6, 0x0
	.amdhsa_kernel _ZN7rocprim17ROCPRIM_400000_NS6detail17trampoline_kernelINS0_14default_configENS1_22reduce_config_selectorIN6thrust23THRUST_200600_302600_NS5tupleIblNS6_9null_typeES8_S8_S8_S8_S8_S8_S8_EEEEZNS1_11reduce_implILb1ES3_NS6_12zip_iteratorINS7_INS6_11hip_rocprim26transform_input_iterator_tIbNSD_35transform_pair_of_input_iterators_tIbNS6_6detail15normal_iteratorINS6_10device_ptrIKjEEEESL_NS6_8equal_toIjEEEENSG_9not_fun_tINSD_8identityEEEEENSD_19counting_iterator_tIlEES8_S8_S8_S8_S8_S8_S8_S8_EEEEPS9_S9_NSD_9__find_if7functorIS9_EEEE10hipError_tPvRmT1_T2_T3_mT4_P12ihipStream_tbEUlT_E0_NS1_11comp_targetILNS1_3genE2ELNS1_11target_archE906ELNS1_3gpuE6ELNS1_3repE0EEENS1_30default_config_static_selectorELNS0_4arch9wavefront6targetE0EEEvS14_
		.amdhsa_group_segment_fixed_size 0
		.amdhsa_private_segment_fixed_size 0
		.amdhsa_kernarg_size 104
		.amdhsa_user_sgpr_count 6
		.amdhsa_user_sgpr_private_segment_buffer 1
		.amdhsa_user_sgpr_dispatch_ptr 0
		.amdhsa_user_sgpr_queue_ptr 0
		.amdhsa_user_sgpr_kernarg_segment_ptr 1
		.amdhsa_user_sgpr_dispatch_id 0
		.amdhsa_user_sgpr_flat_scratch_init 0
		.amdhsa_user_sgpr_private_segment_size 0
		.amdhsa_wavefront_size32 1
		.amdhsa_uses_dynamic_stack 0
		.amdhsa_system_sgpr_private_segment_wavefront_offset 0
		.amdhsa_system_sgpr_workgroup_id_x 1
		.amdhsa_system_sgpr_workgroup_id_y 0
		.amdhsa_system_sgpr_workgroup_id_z 0
		.amdhsa_system_sgpr_workgroup_info 0
		.amdhsa_system_vgpr_workitem_id 0
		.amdhsa_next_free_vgpr 1
		.amdhsa_next_free_sgpr 1
		.amdhsa_reserve_vcc 0
		.amdhsa_reserve_flat_scratch 0
		.amdhsa_float_round_mode_32 0
		.amdhsa_float_round_mode_16_64 0
		.amdhsa_float_denorm_mode_32 3
		.amdhsa_float_denorm_mode_16_64 3
		.amdhsa_dx10_clamp 1
		.amdhsa_ieee_mode 1
		.amdhsa_fp16_overflow 0
		.amdhsa_workgroup_processor_mode 1
		.amdhsa_memory_ordered 1
		.amdhsa_forward_progress 1
		.amdhsa_shared_vgpr_count 0
		.amdhsa_exception_fp_ieee_invalid_op 0
		.amdhsa_exception_fp_denorm_src 0
		.amdhsa_exception_fp_ieee_div_zero 0
		.amdhsa_exception_fp_ieee_overflow 0
		.amdhsa_exception_fp_ieee_underflow 0
		.amdhsa_exception_fp_ieee_inexact 0
		.amdhsa_exception_int_div_zero 0
	.end_amdhsa_kernel
	.section	.text._ZN7rocprim17ROCPRIM_400000_NS6detail17trampoline_kernelINS0_14default_configENS1_22reduce_config_selectorIN6thrust23THRUST_200600_302600_NS5tupleIblNS6_9null_typeES8_S8_S8_S8_S8_S8_S8_EEEEZNS1_11reduce_implILb1ES3_NS6_12zip_iteratorINS7_INS6_11hip_rocprim26transform_input_iterator_tIbNSD_35transform_pair_of_input_iterators_tIbNS6_6detail15normal_iteratorINS6_10device_ptrIKjEEEESL_NS6_8equal_toIjEEEENSG_9not_fun_tINSD_8identityEEEEENSD_19counting_iterator_tIlEES8_S8_S8_S8_S8_S8_S8_S8_EEEEPS9_S9_NSD_9__find_if7functorIS9_EEEE10hipError_tPvRmT1_T2_T3_mT4_P12ihipStream_tbEUlT_E0_NS1_11comp_targetILNS1_3genE2ELNS1_11target_archE906ELNS1_3gpuE6ELNS1_3repE0EEENS1_30default_config_static_selectorELNS0_4arch9wavefront6targetE0EEEvS14_,"axG",@progbits,_ZN7rocprim17ROCPRIM_400000_NS6detail17trampoline_kernelINS0_14default_configENS1_22reduce_config_selectorIN6thrust23THRUST_200600_302600_NS5tupleIblNS6_9null_typeES8_S8_S8_S8_S8_S8_S8_EEEEZNS1_11reduce_implILb1ES3_NS6_12zip_iteratorINS7_INS6_11hip_rocprim26transform_input_iterator_tIbNSD_35transform_pair_of_input_iterators_tIbNS6_6detail15normal_iteratorINS6_10device_ptrIKjEEEESL_NS6_8equal_toIjEEEENSG_9not_fun_tINSD_8identityEEEEENSD_19counting_iterator_tIlEES8_S8_S8_S8_S8_S8_S8_S8_EEEEPS9_S9_NSD_9__find_if7functorIS9_EEEE10hipError_tPvRmT1_T2_T3_mT4_P12ihipStream_tbEUlT_E0_NS1_11comp_targetILNS1_3genE2ELNS1_11target_archE906ELNS1_3gpuE6ELNS1_3repE0EEENS1_30default_config_static_selectorELNS0_4arch9wavefront6targetE0EEEvS14_,comdat
.Lfunc_end208:
	.size	_ZN7rocprim17ROCPRIM_400000_NS6detail17trampoline_kernelINS0_14default_configENS1_22reduce_config_selectorIN6thrust23THRUST_200600_302600_NS5tupleIblNS6_9null_typeES8_S8_S8_S8_S8_S8_S8_EEEEZNS1_11reduce_implILb1ES3_NS6_12zip_iteratorINS7_INS6_11hip_rocprim26transform_input_iterator_tIbNSD_35transform_pair_of_input_iterators_tIbNS6_6detail15normal_iteratorINS6_10device_ptrIKjEEEESL_NS6_8equal_toIjEEEENSG_9not_fun_tINSD_8identityEEEEENSD_19counting_iterator_tIlEES8_S8_S8_S8_S8_S8_S8_S8_EEEEPS9_S9_NSD_9__find_if7functorIS9_EEEE10hipError_tPvRmT1_T2_T3_mT4_P12ihipStream_tbEUlT_E0_NS1_11comp_targetILNS1_3genE2ELNS1_11target_archE906ELNS1_3gpuE6ELNS1_3repE0EEENS1_30default_config_static_selectorELNS0_4arch9wavefront6targetE0EEEvS14_, .Lfunc_end208-_ZN7rocprim17ROCPRIM_400000_NS6detail17trampoline_kernelINS0_14default_configENS1_22reduce_config_selectorIN6thrust23THRUST_200600_302600_NS5tupleIblNS6_9null_typeES8_S8_S8_S8_S8_S8_S8_EEEEZNS1_11reduce_implILb1ES3_NS6_12zip_iteratorINS7_INS6_11hip_rocprim26transform_input_iterator_tIbNSD_35transform_pair_of_input_iterators_tIbNS6_6detail15normal_iteratorINS6_10device_ptrIKjEEEESL_NS6_8equal_toIjEEEENSG_9not_fun_tINSD_8identityEEEEENSD_19counting_iterator_tIlEES8_S8_S8_S8_S8_S8_S8_S8_EEEEPS9_S9_NSD_9__find_if7functorIS9_EEEE10hipError_tPvRmT1_T2_T3_mT4_P12ihipStream_tbEUlT_E0_NS1_11comp_targetILNS1_3genE2ELNS1_11target_archE906ELNS1_3gpuE6ELNS1_3repE0EEENS1_30default_config_static_selectorELNS0_4arch9wavefront6targetE0EEEvS14_
                                        ; -- End function
	.set _ZN7rocprim17ROCPRIM_400000_NS6detail17trampoline_kernelINS0_14default_configENS1_22reduce_config_selectorIN6thrust23THRUST_200600_302600_NS5tupleIblNS6_9null_typeES8_S8_S8_S8_S8_S8_S8_EEEEZNS1_11reduce_implILb1ES3_NS6_12zip_iteratorINS7_INS6_11hip_rocprim26transform_input_iterator_tIbNSD_35transform_pair_of_input_iterators_tIbNS6_6detail15normal_iteratorINS6_10device_ptrIKjEEEESL_NS6_8equal_toIjEEEENSG_9not_fun_tINSD_8identityEEEEENSD_19counting_iterator_tIlEES8_S8_S8_S8_S8_S8_S8_S8_EEEEPS9_S9_NSD_9__find_if7functorIS9_EEEE10hipError_tPvRmT1_T2_T3_mT4_P12ihipStream_tbEUlT_E0_NS1_11comp_targetILNS1_3genE2ELNS1_11target_archE906ELNS1_3gpuE6ELNS1_3repE0EEENS1_30default_config_static_selectorELNS0_4arch9wavefront6targetE0EEEvS14_.num_vgpr, 0
	.set _ZN7rocprim17ROCPRIM_400000_NS6detail17trampoline_kernelINS0_14default_configENS1_22reduce_config_selectorIN6thrust23THRUST_200600_302600_NS5tupleIblNS6_9null_typeES8_S8_S8_S8_S8_S8_S8_EEEEZNS1_11reduce_implILb1ES3_NS6_12zip_iteratorINS7_INS6_11hip_rocprim26transform_input_iterator_tIbNSD_35transform_pair_of_input_iterators_tIbNS6_6detail15normal_iteratorINS6_10device_ptrIKjEEEESL_NS6_8equal_toIjEEEENSG_9not_fun_tINSD_8identityEEEEENSD_19counting_iterator_tIlEES8_S8_S8_S8_S8_S8_S8_S8_EEEEPS9_S9_NSD_9__find_if7functorIS9_EEEE10hipError_tPvRmT1_T2_T3_mT4_P12ihipStream_tbEUlT_E0_NS1_11comp_targetILNS1_3genE2ELNS1_11target_archE906ELNS1_3gpuE6ELNS1_3repE0EEENS1_30default_config_static_selectorELNS0_4arch9wavefront6targetE0EEEvS14_.num_agpr, 0
	.set _ZN7rocprim17ROCPRIM_400000_NS6detail17trampoline_kernelINS0_14default_configENS1_22reduce_config_selectorIN6thrust23THRUST_200600_302600_NS5tupleIblNS6_9null_typeES8_S8_S8_S8_S8_S8_S8_EEEEZNS1_11reduce_implILb1ES3_NS6_12zip_iteratorINS7_INS6_11hip_rocprim26transform_input_iterator_tIbNSD_35transform_pair_of_input_iterators_tIbNS6_6detail15normal_iteratorINS6_10device_ptrIKjEEEESL_NS6_8equal_toIjEEEENSG_9not_fun_tINSD_8identityEEEEENSD_19counting_iterator_tIlEES8_S8_S8_S8_S8_S8_S8_S8_EEEEPS9_S9_NSD_9__find_if7functorIS9_EEEE10hipError_tPvRmT1_T2_T3_mT4_P12ihipStream_tbEUlT_E0_NS1_11comp_targetILNS1_3genE2ELNS1_11target_archE906ELNS1_3gpuE6ELNS1_3repE0EEENS1_30default_config_static_selectorELNS0_4arch9wavefront6targetE0EEEvS14_.numbered_sgpr, 0
	.set _ZN7rocprim17ROCPRIM_400000_NS6detail17trampoline_kernelINS0_14default_configENS1_22reduce_config_selectorIN6thrust23THRUST_200600_302600_NS5tupleIblNS6_9null_typeES8_S8_S8_S8_S8_S8_S8_EEEEZNS1_11reduce_implILb1ES3_NS6_12zip_iteratorINS7_INS6_11hip_rocprim26transform_input_iterator_tIbNSD_35transform_pair_of_input_iterators_tIbNS6_6detail15normal_iteratorINS6_10device_ptrIKjEEEESL_NS6_8equal_toIjEEEENSG_9not_fun_tINSD_8identityEEEEENSD_19counting_iterator_tIlEES8_S8_S8_S8_S8_S8_S8_S8_EEEEPS9_S9_NSD_9__find_if7functorIS9_EEEE10hipError_tPvRmT1_T2_T3_mT4_P12ihipStream_tbEUlT_E0_NS1_11comp_targetILNS1_3genE2ELNS1_11target_archE906ELNS1_3gpuE6ELNS1_3repE0EEENS1_30default_config_static_selectorELNS0_4arch9wavefront6targetE0EEEvS14_.num_named_barrier, 0
	.set _ZN7rocprim17ROCPRIM_400000_NS6detail17trampoline_kernelINS0_14default_configENS1_22reduce_config_selectorIN6thrust23THRUST_200600_302600_NS5tupleIblNS6_9null_typeES8_S8_S8_S8_S8_S8_S8_EEEEZNS1_11reduce_implILb1ES3_NS6_12zip_iteratorINS7_INS6_11hip_rocprim26transform_input_iterator_tIbNSD_35transform_pair_of_input_iterators_tIbNS6_6detail15normal_iteratorINS6_10device_ptrIKjEEEESL_NS6_8equal_toIjEEEENSG_9not_fun_tINSD_8identityEEEEENSD_19counting_iterator_tIlEES8_S8_S8_S8_S8_S8_S8_S8_EEEEPS9_S9_NSD_9__find_if7functorIS9_EEEE10hipError_tPvRmT1_T2_T3_mT4_P12ihipStream_tbEUlT_E0_NS1_11comp_targetILNS1_3genE2ELNS1_11target_archE906ELNS1_3gpuE6ELNS1_3repE0EEENS1_30default_config_static_selectorELNS0_4arch9wavefront6targetE0EEEvS14_.private_seg_size, 0
	.set _ZN7rocprim17ROCPRIM_400000_NS6detail17trampoline_kernelINS0_14default_configENS1_22reduce_config_selectorIN6thrust23THRUST_200600_302600_NS5tupleIblNS6_9null_typeES8_S8_S8_S8_S8_S8_S8_EEEEZNS1_11reduce_implILb1ES3_NS6_12zip_iteratorINS7_INS6_11hip_rocprim26transform_input_iterator_tIbNSD_35transform_pair_of_input_iterators_tIbNS6_6detail15normal_iteratorINS6_10device_ptrIKjEEEESL_NS6_8equal_toIjEEEENSG_9not_fun_tINSD_8identityEEEEENSD_19counting_iterator_tIlEES8_S8_S8_S8_S8_S8_S8_S8_EEEEPS9_S9_NSD_9__find_if7functorIS9_EEEE10hipError_tPvRmT1_T2_T3_mT4_P12ihipStream_tbEUlT_E0_NS1_11comp_targetILNS1_3genE2ELNS1_11target_archE906ELNS1_3gpuE6ELNS1_3repE0EEENS1_30default_config_static_selectorELNS0_4arch9wavefront6targetE0EEEvS14_.uses_vcc, 0
	.set _ZN7rocprim17ROCPRIM_400000_NS6detail17trampoline_kernelINS0_14default_configENS1_22reduce_config_selectorIN6thrust23THRUST_200600_302600_NS5tupleIblNS6_9null_typeES8_S8_S8_S8_S8_S8_S8_EEEEZNS1_11reduce_implILb1ES3_NS6_12zip_iteratorINS7_INS6_11hip_rocprim26transform_input_iterator_tIbNSD_35transform_pair_of_input_iterators_tIbNS6_6detail15normal_iteratorINS6_10device_ptrIKjEEEESL_NS6_8equal_toIjEEEENSG_9not_fun_tINSD_8identityEEEEENSD_19counting_iterator_tIlEES8_S8_S8_S8_S8_S8_S8_S8_EEEEPS9_S9_NSD_9__find_if7functorIS9_EEEE10hipError_tPvRmT1_T2_T3_mT4_P12ihipStream_tbEUlT_E0_NS1_11comp_targetILNS1_3genE2ELNS1_11target_archE906ELNS1_3gpuE6ELNS1_3repE0EEENS1_30default_config_static_selectorELNS0_4arch9wavefront6targetE0EEEvS14_.uses_flat_scratch, 0
	.set _ZN7rocprim17ROCPRIM_400000_NS6detail17trampoline_kernelINS0_14default_configENS1_22reduce_config_selectorIN6thrust23THRUST_200600_302600_NS5tupleIblNS6_9null_typeES8_S8_S8_S8_S8_S8_S8_EEEEZNS1_11reduce_implILb1ES3_NS6_12zip_iteratorINS7_INS6_11hip_rocprim26transform_input_iterator_tIbNSD_35transform_pair_of_input_iterators_tIbNS6_6detail15normal_iteratorINS6_10device_ptrIKjEEEESL_NS6_8equal_toIjEEEENSG_9not_fun_tINSD_8identityEEEEENSD_19counting_iterator_tIlEES8_S8_S8_S8_S8_S8_S8_S8_EEEEPS9_S9_NSD_9__find_if7functorIS9_EEEE10hipError_tPvRmT1_T2_T3_mT4_P12ihipStream_tbEUlT_E0_NS1_11comp_targetILNS1_3genE2ELNS1_11target_archE906ELNS1_3gpuE6ELNS1_3repE0EEENS1_30default_config_static_selectorELNS0_4arch9wavefront6targetE0EEEvS14_.has_dyn_sized_stack, 0
	.set _ZN7rocprim17ROCPRIM_400000_NS6detail17trampoline_kernelINS0_14default_configENS1_22reduce_config_selectorIN6thrust23THRUST_200600_302600_NS5tupleIblNS6_9null_typeES8_S8_S8_S8_S8_S8_S8_EEEEZNS1_11reduce_implILb1ES3_NS6_12zip_iteratorINS7_INS6_11hip_rocprim26transform_input_iterator_tIbNSD_35transform_pair_of_input_iterators_tIbNS6_6detail15normal_iteratorINS6_10device_ptrIKjEEEESL_NS6_8equal_toIjEEEENSG_9not_fun_tINSD_8identityEEEEENSD_19counting_iterator_tIlEES8_S8_S8_S8_S8_S8_S8_S8_EEEEPS9_S9_NSD_9__find_if7functorIS9_EEEE10hipError_tPvRmT1_T2_T3_mT4_P12ihipStream_tbEUlT_E0_NS1_11comp_targetILNS1_3genE2ELNS1_11target_archE906ELNS1_3gpuE6ELNS1_3repE0EEENS1_30default_config_static_selectorELNS0_4arch9wavefront6targetE0EEEvS14_.has_recursion, 0
	.set _ZN7rocprim17ROCPRIM_400000_NS6detail17trampoline_kernelINS0_14default_configENS1_22reduce_config_selectorIN6thrust23THRUST_200600_302600_NS5tupleIblNS6_9null_typeES8_S8_S8_S8_S8_S8_S8_EEEEZNS1_11reduce_implILb1ES3_NS6_12zip_iteratorINS7_INS6_11hip_rocprim26transform_input_iterator_tIbNSD_35transform_pair_of_input_iterators_tIbNS6_6detail15normal_iteratorINS6_10device_ptrIKjEEEESL_NS6_8equal_toIjEEEENSG_9not_fun_tINSD_8identityEEEEENSD_19counting_iterator_tIlEES8_S8_S8_S8_S8_S8_S8_S8_EEEEPS9_S9_NSD_9__find_if7functorIS9_EEEE10hipError_tPvRmT1_T2_T3_mT4_P12ihipStream_tbEUlT_E0_NS1_11comp_targetILNS1_3genE2ELNS1_11target_archE906ELNS1_3gpuE6ELNS1_3repE0EEENS1_30default_config_static_selectorELNS0_4arch9wavefront6targetE0EEEvS14_.has_indirect_call, 0
	.section	.AMDGPU.csdata,"",@progbits
; Kernel info:
; codeLenInByte = 0
; TotalNumSgprs: 0
; NumVgprs: 0
; ScratchSize: 0
; MemoryBound: 0
; FloatMode: 240
; IeeeMode: 1
; LDSByteSize: 0 bytes/workgroup (compile time only)
; SGPRBlocks: 0
; VGPRBlocks: 0
; NumSGPRsForWavesPerEU: 1
; NumVGPRsForWavesPerEU: 1
; Occupancy: 16
; WaveLimiterHint : 0
; COMPUTE_PGM_RSRC2:SCRATCH_EN: 0
; COMPUTE_PGM_RSRC2:USER_SGPR: 6
; COMPUTE_PGM_RSRC2:TRAP_HANDLER: 0
; COMPUTE_PGM_RSRC2:TGID_X_EN: 1
; COMPUTE_PGM_RSRC2:TGID_Y_EN: 0
; COMPUTE_PGM_RSRC2:TGID_Z_EN: 0
; COMPUTE_PGM_RSRC2:TIDIG_COMP_CNT: 0
	.section	.text._ZN7rocprim17ROCPRIM_400000_NS6detail17trampoline_kernelINS0_14default_configENS1_22reduce_config_selectorIN6thrust23THRUST_200600_302600_NS5tupleIblNS6_9null_typeES8_S8_S8_S8_S8_S8_S8_EEEEZNS1_11reduce_implILb1ES3_NS6_12zip_iteratorINS7_INS6_11hip_rocprim26transform_input_iterator_tIbNSD_35transform_pair_of_input_iterators_tIbNS6_6detail15normal_iteratorINS6_10device_ptrIKjEEEESL_NS6_8equal_toIjEEEENSG_9not_fun_tINSD_8identityEEEEENSD_19counting_iterator_tIlEES8_S8_S8_S8_S8_S8_S8_S8_EEEEPS9_S9_NSD_9__find_if7functorIS9_EEEE10hipError_tPvRmT1_T2_T3_mT4_P12ihipStream_tbEUlT_E0_NS1_11comp_targetILNS1_3genE10ELNS1_11target_archE1201ELNS1_3gpuE5ELNS1_3repE0EEENS1_30default_config_static_selectorELNS0_4arch9wavefront6targetE0EEEvS14_,"axG",@progbits,_ZN7rocprim17ROCPRIM_400000_NS6detail17trampoline_kernelINS0_14default_configENS1_22reduce_config_selectorIN6thrust23THRUST_200600_302600_NS5tupleIblNS6_9null_typeES8_S8_S8_S8_S8_S8_S8_EEEEZNS1_11reduce_implILb1ES3_NS6_12zip_iteratorINS7_INS6_11hip_rocprim26transform_input_iterator_tIbNSD_35transform_pair_of_input_iterators_tIbNS6_6detail15normal_iteratorINS6_10device_ptrIKjEEEESL_NS6_8equal_toIjEEEENSG_9not_fun_tINSD_8identityEEEEENSD_19counting_iterator_tIlEES8_S8_S8_S8_S8_S8_S8_S8_EEEEPS9_S9_NSD_9__find_if7functorIS9_EEEE10hipError_tPvRmT1_T2_T3_mT4_P12ihipStream_tbEUlT_E0_NS1_11comp_targetILNS1_3genE10ELNS1_11target_archE1201ELNS1_3gpuE5ELNS1_3repE0EEENS1_30default_config_static_selectorELNS0_4arch9wavefront6targetE0EEEvS14_,comdat
	.protected	_ZN7rocprim17ROCPRIM_400000_NS6detail17trampoline_kernelINS0_14default_configENS1_22reduce_config_selectorIN6thrust23THRUST_200600_302600_NS5tupleIblNS6_9null_typeES8_S8_S8_S8_S8_S8_S8_EEEEZNS1_11reduce_implILb1ES3_NS6_12zip_iteratorINS7_INS6_11hip_rocprim26transform_input_iterator_tIbNSD_35transform_pair_of_input_iterators_tIbNS6_6detail15normal_iteratorINS6_10device_ptrIKjEEEESL_NS6_8equal_toIjEEEENSG_9not_fun_tINSD_8identityEEEEENSD_19counting_iterator_tIlEES8_S8_S8_S8_S8_S8_S8_S8_EEEEPS9_S9_NSD_9__find_if7functorIS9_EEEE10hipError_tPvRmT1_T2_T3_mT4_P12ihipStream_tbEUlT_E0_NS1_11comp_targetILNS1_3genE10ELNS1_11target_archE1201ELNS1_3gpuE5ELNS1_3repE0EEENS1_30default_config_static_selectorELNS0_4arch9wavefront6targetE0EEEvS14_ ; -- Begin function _ZN7rocprim17ROCPRIM_400000_NS6detail17trampoline_kernelINS0_14default_configENS1_22reduce_config_selectorIN6thrust23THRUST_200600_302600_NS5tupleIblNS6_9null_typeES8_S8_S8_S8_S8_S8_S8_EEEEZNS1_11reduce_implILb1ES3_NS6_12zip_iteratorINS7_INS6_11hip_rocprim26transform_input_iterator_tIbNSD_35transform_pair_of_input_iterators_tIbNS6_6detail15normal_iteratorINS6_10device_ptrIKjEEEESL_NS6_8equal_toIjEEEENSG_9not_fun_tINSD_8identityEEEEENSD_19counting_iterator_tIlEES8_S8_S8_S8_S8_S8_S8_S8_EEEEPS9_S9_NSD_9__find_if7functorIS9_EEEE10hipError_tPvRmT1_T2_T3_mT4_P12ihipStream_tbEUlT_E0_NS1_11comp_targetILNS1_3genE10ELNS1_11target_archE1201ELNS1_3gpuE5ELNS1_3repE0EEENS1_30default_config_static_selectorELNS0_4arch9wavefront6targetE0EEEvS14_
	.globl	_ZN7rocprim17ROCPRIM_400000_NS6detail17trampoline_kernelINS0_14default_configENS1_22reduce_config_selectorIN6thrust23THRUST_200600_302600_NS5tupleIblNS6_9null_typeES8_S8_S8_S8_S8_S8_S8_EEEEZNS1_11reduce_implILb1ES3_NS6_12zip_iteratorINS7_INS6_11hip_rocprim26transform_input_iterator_tIbNSD_35transform_pair_of_input_iterators_tIbNS6_6detail15normal_iteratorINS6_10device_ptrIKjEEEESL_NS6_8equal_toIjEEEENSG_9not_fun_tINSD_8identityEEEEENSD_19counting_iterator_tIlEES8_S8_S8_S8_S8_S8_S8_S8_EEEEPS9_S9_NSD_9__find_if7functorIS9_EEEE10hipError_tPvRmT1_T2_T3_mT4_P12ihipStream_tbEUlT_E0_NS1_11comp_targetILNS1_3genE10ELNS1_11target_archE1201ELNS1_3gpuE5ELNS1_3repE0EEENS1_30default_config_static_selectorELNS0_4arch9wavefront6targetE0EEEvS14_
	.p2align	8
	.type	_ZN7rocprim17ROCPRIM_400000_NS6detail17trampoline_kernelINS0_14default_configENS1_22reduce_config_selectorIN6thrust23THRUST_200600_302600_NS5tupleIblNS6_9null_typeES8_S8_S8_S8_S8_S8_S8_EEEEZNS1_11reduce_implILb1ES3_NS6_12zip_iteratorINS7_INS6_11hip_rocprim26transform_input_iterator_tIbNSD_35transform_pair_of_input_iterators_tIbNS6_6detail15normal_iteratorINS6_10device_ptrIKjEEEESL_NS6_8equal_toIjEEEENSG_9not_fun_tINSD_8identityEEEEENSD_19counting_iterator_tIlEES8_S8_S8_S8_S8_S8_S8_S8_EEEEPS9_S9_NSD_9__find_if7functorIS9_EEEE10hipError_tPvRmT1_T2_T3_mT4_P12ihipStream_tbEUlT_E0_NS1_11comp_targetILNS1_3genE10ELNS1_11target_archE1201ELNS1_3gpuE5ELNS1_3repE0EEENS1_30default_config_static_selectorELNS0_4arch9wavefront6targetE0EEEvS14_,@function
_ZN7rocprim17ROCPRIM_400000_NS6detail17trampoline_kernelINS0_14default_configENS1_22reduce_config_selectorIN6thrust23THRUST_200600_302600_NS5tupleIblNS6_9null_typeES8_S8_S8_S8_S8_S8_S8_EEEEZNS1_11reduce_implILb1ES3_NS6_12zip_iteratorINS7_INS6_11hip_rocprim26transform_input_iterator_tIbNSD_35transform_pair_of_input_iterators_tIbNS6_6detail15normal_iteratorINS6_10device_ptrIKjEEEESL_NS6_8equal_toIjEEEENSG_9not_fun_tINSD_8identityEEEEENSD_19counting_iterator_tIlEES8_S8_S8_S8_S8_S8_S8_S8_EEEEPS9_S9_NSD_9__find_if7functorIS9_EEEE10hipError_tPvRmT1_T2_T3_mT4_P12ihipStream_tbEUlT_E0_NS1_11comp_targetILNS1_3genE10ELNS1_11target_archE1201ELNS1_3gpuE5ELNS1_3repE0EEENS1_30default_config_static_selectorELNS0_4arch9wavefront6targetE0EEEvS14_: ; @_ZN7rocprim17ROCPRIM_400000_NS6detail17trampoline_kernelINS0_14default_configENS1_22reduce_config_selectorIN6thrust23THRUST_200600_302600_NS5tupleIblNS6_9null_typeES8_S8_S8_S8_S8_S8_S8_EEEEZNS1_11reduce_implILb1ES3_NS6_12zip_iteratorINS7_INS6_11hip_rocprim26transform_input_iterator_tIbNSD_35transform_pair_of_input_iterators_tIbNS6_6detail15normal_iteratorINS6_10device_ptrIKjEEEESL_NS6_8equal_toIjEEEENSG_9not_fun_tINSD_8identityEEEEENSD_19counting_iterator_tIlEES8_S8_S8_S8_S8_S8_S8_S8_EEEEPS9_S9_NSD_9__find_if7functorIS9_EEEE10hipError_tPvRmT1_T2_T3_mT4_P12ihipStream_tbEUlT_E0_NS1_11comp_targetILNS1_3genE10ELNS1_11target_archE1201ELNS1_3gpuE5ELNS1_3repE0EEENS1_30default_config_static_selectorELNS0_4arch9wavefront6targetE0EEEvS14_
; %bb.0:
	.section	.rodata,"a",@progbits
	.p2align	6, 0x0
	.amdhsa_kernel _ZN7rocprim17ROCPRIM_400000_NS6detail17trampoline_kernelINS0_14default_configENS1_22reduce_config_selectorIN6thrust23THRUST_200600_302600_NS5tupleIblNS6_9null_typeES8_S8_S8_S8_S8_S8_S8_EEEEZNS1_11reduce_implILb1ES3_NS6_12zip_iteratorINS7_INS6_11hip_rocprim26transform_input_iterator_tIbNSD_35transform_pair_of_input_iterators_tIbNS6_6detail15normal_iteratorINS6_10device_ptrIKjEEEESL_NS6_8equal_toIjEEEENSG_9not_fun_tINSD_8identityEEEEENSD_19counting_iterator_tIlEES8_S8_S8_S8_S8_S8_S8_S8_EEEEPS9_S9_NSD_9__find_if7functorIS9_EEEE10hipError_tPvRmT1_T2_T3_mT4_P12ihipStream_tbEUlT_E0_NS1_11comp_targetILNS1_3genE10ELNS1_11target_archE1201ELNS1_3gpuE5ELNS1_3repE0EEENS1_30default_config_static_selectorELNS0_4arch9wavefront6targetE0EEEvS14_
		.amdhsa_group_segment_fixed_size 0
		.amdhsa_private_segment_fixed_size 0
		.amdhsa_kernarg_size 104
		.amdhsa_user_sgpr_count 6
		.amdhsa_user_sgpr_private_segment_buffer 1
		.amdhsa_user_sgpr_dispatch_ptr 0
		.amdhsa_user_sgpr_queue_ptr 0
		.amdhsa_user_sgpr_kernarg_segment_ptr 1
		.amdhsa_user_sgpr_dispatch_id 0
		.amdhsa_user_sgpr_flat_scratch_init 0
		.amdhsa_user_sgpr_private_segment_size 0
		.amdhsa_wavefront_size32 1
		.amdhsa_uses_dynamic_stack 0
		.amdhsa_system_sgpr_private_segment_wavefront_offset 0
		.amdhsa_system_sgpr_workgroup_id_x 1
		.amdhsa_system_sgpr_workgroup_id_y 0
		.amdhsa_system_sgpr_workgroup_id_z 0
		.amdhsa_system_sgpr_workgroup_info 0
		.amdhsa_system_vgpr_workitem_id 0
		.amdhsa_next_free_vgpr 1
		.amdhsa_next_free_sgpr 1
		.amdhsa_reserve_vcc 0
		.amdhsa_reserve_flat_scratch 0
		.amdhsa_float_round_mode_32 0
		.amdhsa_float_round_mode_16_64 0
		.amdhsa_float_denorm_mode_32 3
		.amdhsa_float_denorm_mode_16_64 3
		.amdhsa_dx10_clamp 1
		.amdhsa_ieee_mode 1
		.amdhsa_fp16_overflow 0
		.amdhsa_workgroup_processor_mode 1
		.amdhsa_memory_ordered 1
		.amdhsa_forward_progress 1
		.amdhsa_shared_vgpr_count 0
		.amdhsa_exception_fp_ieee_invalid_op 0
		.amdhsa_exception_fp_denorm_src 0
		.amdhsa_exception_fp_ieee_div_zero 0
		.amdhsa_exception_fp_ieee_overflow 0
		.amdhsa_exception_fp_ieee_underflow 0
		.amdhsa_exception_fp_ieee_inexact 0
		.amdhsa_exception_int_div_zero 0
	.end_amdhsa_kernel
	.section	.text._ZN7rocprim17ROCPRIM_400000_NS6detail17trampoline_kernelINS0_14default_configENS1_22reduce_config_selectorIN6thrust23THRUST_200600_302600_NS5tupleIblNS6_9null_typeES8_S8_S8_S8_S8_S8_S8_EEEEZNS1_11reduce_implILb1ES3_NS6_12zip_iteratorINS7_INS6_11hip_rocprim26transform_input_iterator_tIbNSD_35transform_pair_of_input_iterators_tIbNS6_6detail15normal_iteratorINS6_10device_ptrIKjEEEESL_NS6_8equal_toIjEEEENSG_9not_fun_tINSD_8identityEEEEENSD_19counting_iterator_tIlEES8_S8_S8_S8_S8_S8_S8_S8_EEEEPS9_S9_NSD_9__find_if7functorIS9_EEEE10hipError_tPvRmT1_T2_T3_mT4_P12ihipStream_tbEUlT_E0_NS1_11comp_targetILNS1_3genE10ELNS1_11target_archE1201ELNS1_3gpuE5ELNS1_3repE0EEENS1_30default_config_static_selectorELNS0_4arch9wavefront6targetE0EEEvS14_,"axG",@progbits,_ZN7rocprim17ROCPRIM_400000_NS6detail17trampoline_kernelINS0_14default_configENS1_22reduce_config_selectorIN6thrust23THRUST_200600_302600_NS5tupleIblNS6_9null_typeES8_S8_S8_S8_S8_S8_S8_EEEEZNS1_11reduce_implILb1ES3_NS6_12zip_iteratorINS7_INS6_11hip_rocprim26transform_input_iterator_tIbNSD_35transform_pair_of_input_iterators_tIbNS6_6detail15normal_iteratorINS6_10device_ptrIKjEEEESL_NS6_8equal_toIjEEEENSG_9not_fun_tINSD_8identityEEEEENSD_19counting_iterator_tIlEES8_S8_S8_S8_S8_S8_S8_S8_EEEEPS9_S9_NSD_9__find_if7functorIS9_EEEE10hipError_tPvRmT1_T2_T3_mT4_P12ihipStream_tbEUlT_E0_NS1_11comp_targetILNS1_3genE10ELNS1_11target_archE1201ELNS1_3gpuE5ELNS1_3repE0EEENS1_30default_config_static_selectorELNS0_4arch9wavefront6targetE0EEEvS14_,comdat
.Lfunc_end209:
	.size	_ZN7rocprim17ROCPRIM_400000_NS6detail17trampoline_kernelINS0_14default_configENS1_22reduce_config_selectorIN6thrust23THRUST_200600_302600_NS5tupleIblNS6_9null_typeES8_S8_S8_S8_S8_S8_S8_EEEEZNS1_11reduce_implILb1ES3_NS6_12zip_iteratorINS7_INS6_11hip_rocprim26transform_input_iterator_tIbNSD_35transform_pair_of_input_iterators_tIbNS6_6detail15normal_iteratorINS6_10device_ptrIKjEEEESL_NS6_8equal_toIjEEEENSG_9not_fun_tINSD_8identityEEEEENSD_19counting_iterator_tIlEES8_S8_S8_S8_S8_S8_S8_S8_EEEEPS9_S9_NSD_9__find_if7functorIS9_EEEE10hipError_tPvRmT1_T2_T3_mT4_P12ihipStream_tbEUlT_E0_NS1_11comp_targetILNS1_3genE10ELNS1_11target_archE1201ELNS1_3gpuE5ELNS1_3repE0EEENS1_30default_config_static_selectorELNS0_4arch9wavefront6targetE0EEEvS14_, .Lfunc_end209-_ZN7rocprim17ROCPRIM_400000_NS6detail17trampoline_kernelINS0_14default_configENS1_22reduce_config_selectorIN6thrust23THRUST_200600_302600_NS5tupleIblNS6_9null_typeES8_S8_S8_S8_S8_S8_S8_EEEEZNS1_11reduce_implILb1ES3_NS6_12zip_iteratorINS7_INS6_11hip_rocprim26transform_input_iterator_tIbNSD_35transform_pair_of_input_iterators_tIbNS6_6detail15normal_iteratorINS6_10device_ptrIKjEEEESL_NS6_8equal_toIjEEEENSG_9not_fun_tINSD_8identityEEEEENSD_19counting_iterator_tIlEES8_S8_S8_S8_S8_S8_S8_S8_EEEEPS9_S9_NSD_9__find_if7functorIS9_EEEE10hipError_tPvRmT1_T2_T3_mT4_P12ihipStream_tbEUlT_E0_NS1_11comp_targetILNS1_3genE10ELNS1_11target_archE1201ELNS1_3gpuE5ELNS1_3repE0EEENS1_30default_config_static_selectorELNS0_4arch9wavefront6targetE0EEEvS14_
                                        ; -- End function
	.set _ZN7rocprim17ROCPRIM_400000_NS6detail17trampoline_kernelINS0_14default_configENS1_22reduce_config_selectorIN6thrust23THRUST_200600_302600_NS5tupleIblNS6_9null_typeES8_S8_S8_S8_S8_S8_S8_EEEEZNS1_11reduce_implILb1ES3_NS6_12zip_iteratorINS7_INS6_11hip_rocprim26transform_input_iterator_tIbNSD_35transform_pair_of_input_iterators_tIbNS6_6detail15normal_iteratorINS6_10device_ptrIKjEEEESL_NS6_8equal_toIjEEEENSG_9not_fun_tINSD_8identityEEEEENSD_19counting_iterator_tIlEES8_S8_S8_S8_S8_S8_S8_S8_EEEEPS9_S9_NSD_9__find_if7functorIS9_EEEE10hipError_tPvRmT1_T2_T3_mT4_P12ihipStream_tbEUlT_E0_NS1_11comp_targetILNS1_3genE10ELNS1_11target_archE1201ELNS1_3gpuE5ELNS1_3repE0EEENS1_30default_config_static_selectorELNS0_4arch9wavefront6targetE0EEEvS14_.num_vgpr, 0
	.set _ZN7rocprim17ROCPRIM_400000_NS6detail17trampoline_kernelINS0_14default_configENS1_22reduce_config_selectorIN6thrust23THRUST_200600_302600_NS5tupleIblNS6_9null_typeES8_S8_S8_S8_S8_S8_S8_EEEEZNS1_11reduce_implILb1ES3_NS6_12zip_iteratorINS7_INS6_11hip_rocprim26transform_input_iterator_tIbNSD_35transform_pair_of_input_iterators_tIbNS6_6detail15normal_iteratorINS6_10device_ptrIKjEEEESL_NS6_8equal_toIjEEEENSG_9not_fun_tINSD_8identityEEEEENSD_19counting_iterator_tIlEES8_S8_S8_S8_S8_S8_S8_S8_EEEEPS9_S9_NSD_9__find_if7functorIS9_EEEE10hipError_tPvRmT1_T2_T3_mT4_P12ihipStream_tbEUlT_E0_NS1_11comp_targetILNS1_3genE10ELNS1_11target_archE1201ELNS1_3gpuE5ELNS1_3repE0EEENS1_30default_config_static_selectorELNS0_4arch9wavefront6targetE0EEEvS14_.num_agpr, 0
	.set _ZN7rocprim17ROCPRIM_400000_NS6detail17trampoline_kernelINS0_14default_configENS1_22reduce_config_selectorIN6thrust23THRUST_200600_302600_NS5tupleIblNS6_9null_typeES8_S8_S8_S8_S8_S8_S8_EEEEZNS1_11reduce_implILb1ES3_NS6_12zip_iteratorINS7_INS6_11hip_rocprim26transform_input_iterator_tIbNSD_35transform_pair_of_input_iterators_tIbNS6_6detail15normal_iteratorINS6_10device_ptrIKjEEEESL_NS6_8equal_toIjEEEENSG_9not_fun_tINSD_8identityEEEEENSD_19counting_iterator_tIlEES8_S8_S8_S8_S8_S8_S8_S8_EEEEPS9_S9_NSD_9__find_if7functorIS9_EEEE10hipError_tPvRmT1_T2_T3_mT4_P12ihipStream_tbEUlT_E0_NS1_11comp_targetILNS1_3genE10ELNS1_11target_archE1201ELNS1_3gpuE5ELNS1_3repE0EEENS1_30default_config_static_selectorELNS0_4arch9wavefront6targetE0EEEvS14_.numbered_sgpr, 0
	.set _ZN7rocprim17ROCPRIM_400000_NS6detail17trampoline_kernelINS0_14default_configENS1_22reduce_config_selectorIN6thrust23THRUST_200600_302600_NS5tupleIblNS6_9null_typeES8_S8_S8_S8_S8_S8_S8_EEEEZNS1_11reduce_implILb1ES3_NS6_12zip_iteratorINS7_INS6_11hip_rocprim26transform_input_iterator_tIbNSD_35transform_pair_of_input_iterators_tIbNS6_6detail15normal_iteratorINS6_10device_ptrIKjEEEESL_NS6_8equal_toIjEEEENSG_9not_fun_tINSD_8identityEEEEENSD_19counting_iterator_tIlEES8_S8_S8_S8_S8_S8_S8_S8_EEEEPS9_S9_NSD_9__find_if7functorIS9_EEEE10hipError_tPvRmT1_T2_T3_mT4_P12ihipStream_tbEUlT_E0_NS1_11comp_targetILNS1_3genE10ELNS1_11target_archE1201ELNS1_3gpuE5ELNS1_3repE0EEENS1_30default_config_static_selectorELNS0_4arch9wavefront6targetE0EEEvS14_.num_named_barrier, 0
	.set _ZN7rocprim17ROCPRIM_400000_NS6detail17trampoline_kernelINS0_14default_configENS1_22reduce_config_selectorIN6thrust23THRUST_200600_302600_NS5tupleIblNS6_9null_typeES8_S8_S8_S8_S8_S8_S8_EEEEZNS1_11reduce_implILb1ES3_NS6_12zip_iteratorINS7_INS6_11hip_rocprim26transform_input_iterator_tIbNSD_35transform_pair_of_input_iterators_tIbNS6_6detail15normal_iteratorINS6_10device_ptrIKjEEEESL_NS6_8equal_toIjEEEENSG_9not_fun_tINSD_8identityEEEEENSD_19counting_iterator_tIlEES8_S8_S8_S8_S8_S8_S8_S8_EEEEPS9_S9_NSD_9__find_if7functorIS9_EEEE10hipError_tPvRmT1_T2_T3_mT4_P12ihipStream_tbEUlT_E0_NS1_11comp_targetILNS1_3genE10ELNS1_11target_archE1201ELNS1_3gpuE5ELNS1_3repE0EEENS1_30default_config_static_selectorELNS0_4arch9wavefront6targetE0EEEvS14_.private_seg_size, 0
	.set _ZN7rocprim17ROCPRIM_400000_NS6detail17trampoline_kernelINS0_14default_configENS1_22reduce_config_selectorIN6thrust23THRUST_200600_302600_NS5tupleIblNS6_9null_typeES8_S8_S8_S8_S8_S8_S8_EEEEZNS1_11reduce_implILb1ES3_NS6_12zip_iteratorINS7_INS6_11hip_rocprim26transform_input_iterator_tIbNSD_35transform_pair_of_input_iterators_tIbNS6_6detail15normal_iteratorINS6_10device_ptrIKjEEEESL_NS6_8equal_toIjEEEENSG_9not_fun_tINSD_8identityEEEEENSD_19counting_iterator_tIlEES8_S8_S8_S8_S8_S8_S8_S8_EEEEPS9_S9_NSD_9__find_if7functorIS9_EEEE10hipError_tPvRmT1_T2_T3_mT4_P12ihipStream_tbEUlT_E0_NS1_11comp_targetILNS1_3genE10ELNS1_11target_archE1201ELNS1_3gpuE5ELNS1_3repE0EEENS1_30default_config_static_selectorELNS0_4arch9wavefront6targetE0EEEvS14_.uses_vcc, 0
	.set _ZN7rocprim17ROCPRIM_400000_NS6detail17trampoline_kernelINS0_14default_configENS1_22reduce_config_selectorIN6thrust23THRUST_200600_302600_NS5tupleIblNS6_9null_typeES8_S8_S8_S8_S8_S8_S8_EEEEZNS1_11reduce_implILb1ES3_NS6_12zip_iteratorINS7_INS6_11hip_rocprim26transform_input_iterator_tIbNSD_35transform_pair_of_input_iterators_tIbNS6_6detail15normal_iteratorINS6_10device_ptrIKjEEEESL_NS6_8equal_toIjEEEENSG_9not_fun_tINSD_8identityEEEEENSD_19counting_iterator_tIlEES8_S8_S8_S8_S8_S8_S8_S8_EEEEPS9_S9_NSD_9__find_if7functorIS9_EEEE10hipError_tPvRmT1_T2_T3_mT4_P12ihipStream_tbEUlT_E0_NS1_11comp_targetILNS1_3genE10ELNS1_11target_archE1201ELNS1_3gpuE5ELNS1_3repE0EEENS1_30default_config_static_selectorELNS0_4arch9wavefront6targetE0EEEvS14_.uses_flat_scratch, 0
	.set _ZN7rocprim17ROCPRIM_400000_NS6detail17trampoline_kernelINS0_14default_configENS1_22reduce_config_selectorIN6thrust23THRUST_200600_302600_NS5tupleIblNS6_9null_typeES8_S8_S8_S8_S8_S8_S8_EEEEZNS1_11reduce_implILb1ES3_NS6_12zip_iteratorINS7_INS6_11hip_rocprim26transform_input_iterator_tIbNSD_35transform_pair_of_input_iterators_tIbNS6_6detail15normal_iteratorINS6_10device_ptrIKjEEEESL_NS6_8equal_toIjEEEENSG_9not_fun_tINSD_8identityEEEEENSD_19counting_iterator_tIlEES8_S8_S8_S8_S8_S8_S8_S8_EEEEPS9_S9_NSD_9__find_if7functorIS9_EEEE10hipError_tPvRmT1_T2_T3_mT4_P12ihipStream_tbEUlT_E0_NS1_11comp_targetILNS1_3genE10ELNS1_11target_archE1201ELNS1_3gpuE5ELNS1_3repE0EEENS1_30default_config_static_selectorELNS0_4arch9wavefront6targetE0EEEvS14_.has_dyn_sized_stack, 0
	.set _ZN7rocprim17ROCPRIM_400000_NS6detail17trampoline_kernelINS0_14default_configENS1_22reduce_config_selectorIN6thrust23THRUST_200600_302600_NS5tupleIblNS6_9null_typeES8_S8_S8_S8_S8_S8_S8_EEEEZNS1_11reduce_implILb1ES3_NS6_12zip_iteratorINS7_INS6_11hip_rocprim26transform_input_iterator_tIbNSD_35transform_pair_of_input_iterators_tIbNS6_6detail15normal_iteratorINS6_10device_ptrIKjEEEESL_NS6_8equal_toIjEEEENSG_9not_fun_tINSD_8identityEEEEENSD_19counting_iterator_tIlEES8_S8_S8_S8_S8_S8_S8_S8_EEEEPS9_S9_NSD_9__find_if7functorIS9_EEEE10hipError_tPvRmT1_T2_T3_mT4_P12ihipStream_tbEUlT_E0_NS1_11comp_targetILNS1_3genE10ELNS1_11target_archE1201ELNS1_3gpuE5ELNS1_3repE0EEENS1_30default_config_static_selectorELNS0_4arch9wavefront6targetE0EEEvS14_.has_recursion, 0
	.set _ZN7rocprim17ROCPRIM_400000_NS6detail17trampoline_kernelINS0_14default_configENS1_22reduce_config_selectorIN6thrust23THRUST_200600_302600_NS5tupleIblNS6_9null_typeES8_S8_S8_S8_S8_S8_S8_EEEEZNS1_11reduce_implILb1ES3_NS6_12zip_iteratorINS7_INS6_11hip_rocprim26transform_input_iterator_tIbNSD_35transform_pair_of_input_iterators_tIbNS6_6detail15normal_iteratorINS6_10device_ptrIKjEEEESL_NS6_8equal_toIjEEEENSG_9not_fun_tINSD_8identityEEEEENSD_19counting_iterator_tIlEES8_S8_S8_S8_S8_S8_S8_S8_EEEEPS9_S9_NSD_9__find_if7functorIS9_EEEE10hipError_tPvRmT1_T2_T3_mT4_P12ihipStream_tbEUlT_E0_NS1_11comp_targetILNS1_3genE10ELNS1_11target_archE1201ELNS1_3gpuE5ELNS1_3repE0EEENS1_30default_config_static_selectorELNS0_4arch9wavefront6targetE0EEEvS14_.has_indirect_call, 0
	.section	.AMDGPU.csdata,"",@progbits
; Kernel info:
; codeLenInByte = 0
; TotalNumSgprs: 0
; NumVgprs: 0
; ScratchSize: 0
; MemoryBound: 0
; FloatMode: 240
; IeeeMode: 1
; LDSByteSize: 0 bytes/workgroup (compile time only)
; SGPRBlocks: 0
; VGPRBlocks: 0
; NumSGPRsForWavesPerEU: 1
; NumVGPRsForWavesPerEU: 1
; Occupancy: 16
; WaveLimiterHint : 0
; COMPUTE_PGM_RSRC2:SCRATCH_EN: 0
; COMPUTE_PGM_RSRC2:USER_SGPR: 6
; COMPUTE_PGM_RSRC2:TRAP_HANDLER: 0
; COMPUTE_PGM_RSRC2:TGID_X_EN: 1
; COMPUTE_PGM_RSRC2:TGID_Y_EN: 0
; COMPUTE_PGM_RSRC2:TGID_Z_EN: 0
; COMPUTE_PGM_RSRC2:TIDIG_COMP_CNT: 0
	.section	.text._ZN7rocprim17ROCPRIM_400000_NS6detail17trampoline_kernelINS0_14default_configENS1_22reduce_config_selectorIN6thrust23THRUST_200600_302600_NS5tupleIblNS6_9null_typeES8_S8_S8_S8_S8_S8_S8_EEEEZNS1_11reduce_implILb1ES3_NS6_12zip_iteratorINS7_INS6_11hip_rocprim26transform_input_iterator_tIbNSD_35transform_pair_of_input_iterators_tIbNS6_6detail15normal_iteratorINS6_10device_ptrIKjEEEESL_NS6_8equal_toIjEEEENSG_9not_fun_tINSD_8identityEEEEENSD_19counting_iterator_tIlEES8_S8_S8_S8_S8_S8_S8_S8_EEEEPS9_S9_NSD_9__find_if7functorIS9_EEEE10hipError_tPvRmT1_T2_T3_mT4_P12ihipStream_tbEUlT_E0_NS1_11comp_targetILNS1_3genE10ELNS1_11target_archE1200ELNS1_3gpuE4ELNS1_3repE0EEENS1_30default_config_static_selectorELNS0_4arch9wavefront6targetE0EEEvS14_,"axG",@progbits,_ZN7rocprim17ROCPRIM_400000_NS6detail17trampoline_kernelINS0_14default_configENS1_22reduce_config_selectorIN6thrust23THRUST_200600_302600_NS5tupleIblNS6_9null_typeES8_S8_S8_S8_S8_S8_S8_EEEEZNS1_11reduce_implILb1ES3_NS6_12zip_iteratorINS7_INS6_11hip_rocprim26transform_input_iterator_tIbNSD_35transform_pair_of_input_iterators_tIbNS6_6detail15normal_iteratorINS6_10device_ptrIKjEEEESL_NS6_8equal_toIjEEEENSG_9not_fun_tINSD_8identityEEEEENSD_19counting_iterator_tIlEES8_S8_S8_S8_S8_S8_S8_S8_EEEEPS9_S9_NSD_9__find_if7functorIS9_EEEE10hipError_tPvRmT1_T2_T3_mT4_P12ihipStream_tbEUlT_E0_NS1_11comp_targetILNS1_3genE10ELNS1_11target_archE1200ELNS1_3gpuE4ELNS1_3repE0EEENS1_30default_config_static_selectorELNS0_4arch9wavefront6targetE0EEEvS14_,comdat
	.protected	_ZN7rocprim17ROCPRIM_400000_NS6detail17trampoline_kernelINS0_14default_configENS1_22reduce_config_selectorIN6thrust23THRUST_200600_302600_NS5tupleIblNS6_9null_typeES8_S8_S8_S8_S8_S8_S8_EEEEZNS1_11reduce_implILb1ES3_NS6_12zip_iteratorINS7_INS6_11hip_rocprim26transform_input_iterator_tIbNSD_35transform_pair_of_input_iterators_tIbNS6_6detail15normal_iteratorINS6_10device_ptrIKjEEEESL_NS6_8equal_toIjEEEENSG_9not_fun_tINSD_8identityEEEEENSD_19counting_iterator_tIlEES8_S8_S8_S8_S8_S8_S8_S8_EEEEPS9_S9_NSD_9__find_if7functorIS9_EEEE10hipError_tPvRmT1_T2_T3_mT4_P12ihipStream_tbEUlT_E0_NS1_11comp_targetILNS1_3genE10ELNS1_11target_archE1200ELNS1_3gpuE4ELNS1_3repE0EEENS1_30default_config_static_selectorELNS0_4arch9wavefront6targetE0EEEvS14_ ; -- Begin function _ZN7rocprim17ROCPRIM_400000_NS6detail17trampoline_kernelINS0_14default_configENS1_22reduce_config_selectorIN6thrust23THRUST_200600_302600_NS5tupleIblNS6_9null_typeES8_S8_S8_S8_S8_S8_S8_EEEEZNS1_11reduce_implILb1ES3_NS6_12zip_iteratorINS7_INS6_11hip_rocprim26transform_input_iterator_tIbNSD_35transform_pair_of_input_iterators_tIbNS6_6detail15normal_iteratorINS6_10device_ptrIKjEEEESL_NS6_8equal_toIjEEEENSG_9not_fun_tINSD_8identityEEEEENSD_19counting_iterator_tIlEES8_S8_S8_S8_S8_S8_S8_S8_EEEEPS9_S9_NSD_9__find_if7functorIS9_EEEE10hipError_tPvRmT1_T2_T3_mT4_P12ihipStream_tbEUlT_E0_NS1_11comp_targetILNS1_3genE10ELNS1_11target_archE1200ELNS1_3gpuE4ELNS1_3repE0EEENS1_30default_config_static_selectorELNS0_4arch9wavefront6targetE0EEEvS14_
	.globl	_ZN7rocprim17ROCPRIM_400000_NS6detail17trampoline_kernelINS0_14default_configENS1_22reduce_config_selectorIN6thrust23THRUST_200600_302600_NS5tupleIblNS6_9null_typeES8_S8_S8_S8_S8_S8_S8_EEEEZNS1_11reduce_implILb1ES3_NS6_12zip_iteratorINS7_INS6_11hip_rocprim26transform_input_iterator_tIbNSD_35transform_pair_of_input_iterators_tIbNS6_6detail15normal_iteratorINS6_10device_ptrIKjEEEESL_NS6_8equal_toIjEEEENSG_9not_fun_tINSD_8identityEEEEENSD_19counting_iterator_tIlEES8_S8_S8_S8_S8_S8_S8_S8_EEEEPS9_S9_NSD_9__find_if7functorIS9_EEEE10hipError_tPvRmT1_T2_T3_mT4_P12ihipStream_tbEUlT_E0_NS1_11comp_targetILNS1_3genE10ELNS1_11target_archE1200ELNS1_3gpuE4ELNS1_3repE0EEENS1_30default_config_static_selectorELNS0_4arch9wavefront6targetE0EEEvS14_
	.p2align	8
	.type	_ZN7rocprim17ROCPRIM_400000_NS6detail17trampoline_kernelINS0_14default_configENS1_22reduce_config_selectorIN6thrust23THRUST_200600_302600_NS5tupleIblNS6_9null_typeES8_S8_S8_S8_S8_S8_S8_EEEEZNS1_11reduce_implILb1ES3_NS6_12zip_iteratorINS7_INS6_11hip_rocprim26transform_input_iterator_tIbNSD_35transform_pair_of_input_iterators_tIbNS6_6detail15normal_iteratorINS6_10device_ptrIKjEEEESL_NS6_8equal_toIjEEEENSG_9not_fun_tINSD_8identityEEEEENSD_19counting_iterator_tIlEES8_S8_S8_S8_S8_S8_S8_S8_EEEEPS9_S9_NSD_9__find_if7functorIS9_EEEE10hipError_tPvRmT1_T2_T3_mT4_P12ihipStream_tbEUlT_E0_NS1_11comp_targetILNS1_3genE10ELNS1_11target_archE1200ELNS1_3gpuE4ELNS1_3repE0EEENS1_30default_config_static_selectorELNS0_4arch9wavefront6targetE0EEEvS14_,@function
_ZN7rocprim17ROCPRIM_400000_NS6detail17trampoline_kernelINS0_14default_configENS1_22reduce_config_selectorIN6thrust23THRUST_200600_302600_NS5tupleIblNS6_9null_typeES8_S8_S8_S8_S8_S8_S8_EEEEZNS1_11reduce_implILb1ES3_NS6_12zip_iteratorINS7_INS6_11hip_rocprim26transform_input_iterator_tIbNSD_35transform_pair_of_input_iterators_tIbNS6_6detail15normal_iteratorINS6_10device_ptrIKjEEEESL_NS6_8equal_toIjEEEENSG_9not_fun_tINSD_8identityEEEEENSD_19counting_iterator_tIlEES8_S8_S8_S8_S8_S8_S8_S8_EEEEPS9_S9_NSD_9__find_if7functorIS9_EEEE10hipError_tPvRmT1_T2_T3_mT4_P12ihipStream_tbEUlT_E0_NS1_11comp_targetILNS1_3genE10ELNS1_11target_archE1200ELNS1_3gpuE4ELNS1_3repE0EEENS1_30default_config_static_selectorELNS0_4arch9wavefront6targetE0EEEvS14_: ; @_ZN7rocprim17ROCPRIM_400000_NS6detail17trampoline_kernelINS0_14default_configENS1_22reduce_config_selectorIN6thrust23THRUST_200600_302600_NS5tupleIblNS6_9null_typeES8_S8_S8_S8_S8_S8_S8_EEEEZNS1_11reduce_implILb1ES3_NS6_12zip_iteratorINS7_INS6_11hip_rocprim26transform_input_iterator_tIbNSD_35transform_pair_of_input_iterators_tIbNS6_6detail15normal_iteratorINS6_10device_ptrIKjEEEESL_NS6_8equal_toIjEEEENSG_9not_fun_tINSD_8identityEEEEENSD_19counting_iterator_tIlEES8_S8_S8_S8_S8_S8_S8_S8_EEEEPS9_S9_NSD_9__find_if7functorIS9_EEEE10hipError_tPvRmT1_T2_T3_mT4_P12ihipStream_tbEUlT_E0_NS1_11comp_targetILNS1_3genE10ELNS1_11target_archE1200ELNS1_3gpuE4ELNS1_3repE0EEENS1_30default_config_static_selectorELNS0_4arch9wavefront6targetE0EEEvS14_
; %bb.0:
	.section	.rodata,"a",@progbits
	.p2align	6, 0x0
	.amdhsa_kernel _ZN7rocprim17ROCPRIM_400000_NS6detail17trampoline_kernelINS0_14default_configENS1_22reduce_config_selectorIN6thrust23THRUST_200600_302600_NS5tupleIblNS6_9null_typeES8_S8_S8_S8_S8_S8_S8_EEEEZNS1_11reduce_implILb1ES3_NS6_12zip_iteratorINS7_INS6_11hip_rocprim26transform_input_iterator_tIbNSD_35transform_pair_of_input_iterators_tIbNS6_6detail15normal_iteratorINS6_10device_ptrIKjEEEESL_NS6_8equal_toIjEEEENSG_9not_fun_tINSD_8identityEEEEENSD_19counting_iterator_tIlEES8_S8_S8_S8_S8_S8_S8_S8_EEEEPS9_S9_NSD_9__find_if7functorIS9_EEEE10hipError_tPvRmT1_T2_T3_mT4_P12ihipStream_tbEUlT_E0_NS1_11comp_targetILNS1_3genE10ELNS1_11target_archE1200ELNS1_3gpuE4ELNS1_3repE0EEENS1_30default_config_static_selectorELNS0_4arch9wavefront6targetE0EEEvS14_
		.amdhsa_group_segment_fixed_size 0
		.amdhsa_private_segment_fixed_size 0
		.amdhsa_kernarg_size 104
		.amdhsa_user_sgpr_count 6
		.amdhsa_user_sgpr_private_segment_buffer 1
		.amdhsa_user_sgpr_dispatch_ptr 0
		.amdhsa_user_sgpr_queue_ptr 0
		.amdhsa_user_sgpr_kernarg_segment_ptr 1
		.amdhsa_user_sgpr_dispatch_id 0
		.amdhsa_user_sgpr_flat_scratch_init 0
		.amdhsa_user_sgpr_private_segment_size 0
		.amdhsa_wavefront_size32 1
		.amdhsa_uses_dynamic_stack 0
		.amdhsa_system_sgpr_private_segment_wavefront_offset 0
		.amdhsa_system_sgpr_workgroup_id_x 1
		.amdhsa_system_sgpr_workgroup_id_y 0
		.amdhsa_system_sgpr_workgroup_id_z 0
		.amdhsa_system_sgpr_workgroup_info 0
		.amdhsa_system_vgpr_workitem_id 0
		.amdhsa_next_free_vgpr 1
		.amdhsa_next_free_sgpr 1
		.amdhsa_reserve_vcc 0
		.amdhsa_reserve_flat_scratch 0
		.amdhsa_float_round_mode_32 0
		.amdhsa_float_round_mode_16_64 0
		.amdhsa_float_denorm_mode_32 3
		.amdhsa_float_denorm_mode_16_64 3
		.amdhsa_dx10_clamp 1
		.amdhsa_ieee_mode 1
		.amdhsa_fp16_overflow 0
		.amdhsa_workgroup_processor_mode 1
		.amdhsa_memory_ordered 1
		.amdhsa_forward_progress 1
		.amdhsa_shared_vgpr_count 0
		.amdhsa_exception_fp_ieee_invalid_op 0
		.amdhsa_exception_fp_denorm_src 0
		.amdhsa_exception_fp_ieee_div_zero 0
		.amdhsa_exception_fp_ieee_overflow 0
		.amdhsa_exception_fp_ieee_underflow 0
		.amdhsa_exception_fp_ieee_inexact 0
		.amdhsa_exception_int_div_zero 0
	.end_amdhsa_kernel
	.section	.text._ZN7rocprim17ROCPRIM_400000_NS6detail17trampoline_kernelINS0_14default_configENS1_22reduce_config_selectorIN6thrust23THRUST_200600_302600_NS5tupleIblNS6_9null_typeES8_S8_S8_S8_S8_S8_S8_EEEEZNS1_11reduce_implILb1ES3_NS6_12zip_iteratorINS7_INS6_11hip_rocprim26transform_input_iterator_tIbNSD_35transform_pair_of_input_iterators_tIbNS6_6detail15normal_iteratorINS6_10device_ptrIKjEEEESL_NS6_8equal_toIjEEEENSG_9not_fun_tINSD_8identityEEEEENSD_19counting_iterator_tIlEES8_S8_S8_S8_S8_S8_S8_S8_EEEEPS9_S9_NSD_9__find_if7functorIS9_EEEE10hipError_tPvRmT1_T2_T3_mT4_P12ihipStream_tbEUlT_E0_NS1_11comp_targetILNS1_3genE10ELNS1_11target_archE1200ELNS1_3gpuE4ELNS1_3repE0EEENS1_30default_config_static_selectorELNS0_4arch9wavefront6targetE0EEEvS14_,"axG",@progbits,_ZN7rocprim17ROCPRIM_400000_NS6detail17trampoline_kernelINS0_14default_configENS1_22reduce_config_selectorIN6thrust23THRUST_200600_302600_NS5tupleIblNS6_9null_typeES8_S8_S8_S8_S8_S8_S8_EEEEZNS1_11reduce_implILb1ES3_NS6_12zip_iteratorINS7_INS6_11hip_rocprim26transform_input_iterator_tIbNSD_35transform_pair_of_input_iterators_tIbNS6_6detail15normal_iteratorINS6_10device_ptrIKjEEEESL_NS6_8equal_toIjEEEENSG_9not_fun_tINSD_8identityEEEEENSD_19counting_iterator_tIlEES8_S8_S8_S8_S8_S8_S8_S8_EEEEPS9_S9_NSD_9__find_if7functorIS9_EEEE10hipError_tPvRmT1_T2_T3_mT4_P12ihipStream_tbEUlT_E0_NS1_11comp_targetILNS1_3genE10ELNS1_11target_archE1200ELNS1_3gpuE4ELNS1_3repE0EEENS1_30default_config_static_selectorELNS0_4arch9wavefront6targetE0EEEvS14_,comdat
.Lfunc_end210:
	.size	_ZN7rocprim17ROCPRIM_400000_NS6detail17trampoline_kernelINS0_14default_configENS1_22reduce_config_selectorIN6thrust23THRUST_200600_302600_NS5tupleIblNS6_9null_typeES8_S8_S8_S8_S8_S8_S8_EEEEZNS1_11reduce_implILb1ES3_NS6_12zip_iteratorINS7_INS6_11hip_rocprim26transform_input_iterator_tIbNSD_35transform_pair_of_input_iterators_tIbNS6_6detail15normal_iteratorINS6_10device_ptrIKjEEEESL_NS6_8equal_toIjEEEENSG_9not_fun_tINSD_8identityEEEEENSD_19counting_iterator_tIlEES8_S8_S8_S8_S8_S8_S8_S8_EEEEPS9_S9_NSD_9__find_if7functorIS9_EEEE10hipError_tPvRmT1_T2_T3_mT4_P12ihipStream_tbEUlT_E0_NS1_11comp_targetILNS1_3genE10ELNS1_11target_archE1200ELNS1_3gpuE4ELNS1_3repE0EEENS1_30default_config_static_selectorELNS0_4arch9wavefront6targetE0EEEvS14_, .Lfunc_end210-_ZN7rocprim17ROCPRIM_400000_NS6detail17trampoline_kernelINS0_14default_configENS1_22reduce_config_selectorIN6thrust23THRUST_200600_302600_NS5tupleIblNS6_9null_typeES8_S8_S8_S8_S8_S8_S8_EEEEZNS1_11reduce_implILb1ES3_NS6_12zip_iteratorINS7_INS6_11hip_rocprim26transform_input_iterator_tIbNSD_35transform_pair_of_input_iterators_tIbNS6_6detail15normal_iteratorINS6_10device_ptrIKjEEEESL_NS6_8equal_toIjEEEENSG_9not_fun_tINSD_8identityEEEEENSD_19counting_iterator_tIlEES8_S8_S8_S8_S8_S8_S8_S8_EEEEPS9_S9_NSD_9__find_if7functorIS9_EEEE10hipError_tPvRmT1_T2_T3_mT4_P12ihipStream_tbEUlT_E0_NS1_11comp_targetILNS1_3genE10ELNS1_11target_archE1200ELNS1_3gpuE4ELNS1_3repE0EEENS1_30default_config_static_selectorELNS0_4arch9wavefront6targetE0EEEvS14_
                                        ; -- End function
	.set _ZN7rocprim17ROCPRIM_400000_NS6detail17trampoline_kernelINS0_14default_configENS1_22reduce_config_selectorIN6thrust23THRUST_200600_302600_NS5tupleIblNS6_9null_typeES8_S8_S8_S8_S8_S8_S8_EEEEZNS1_11reduce_implILb1ES3_NS6_12zip_iteratorINS7_INS6_11hip_rocprim26transform_input_iterator_tIbNSD_35transform_pair_of_input_iterators_tIbNS6_6detail15normal_iteratorINS6_10device_ptrIKjEEEESL_NS6_8equal_toIjEEEENSG_9not_fun_tINSD_8identityEEEEENSD_19counting_iterator_tIlEES8_S8_S8_S8_S8_S8_S8_S8_EEEEPS9_S9_NSD_9__find_if7functorIS9_EEEE10hipError_tPvRmT1_T2_T3_mT4_P12ihipStream_tbEUlT_E0_NS1_11comp_targetILNS1_3genE10ELNS1_11target_archE1200ELNS1_3gpuE4ELNS1_3repE0EEENS1_30default_config_static_selectorELNS0_4arch9wavefront6targetE0EEEvS14_.num_vgpr, 0
	.set _ZN7rocprim17ROCPRIM_400000_NS6detail17trampoline_kernelINS0_14default_configENS1_22reduce_config_selectorIN6thrust23THRUST_200600_302600_NS5tupleIblNS6_9null_typeES8_S8_S8_S8_S8_S8_S8_EEEEZNS1_11reduce_implILb1ES3_NS6_12zip_iteratorINS7_INS6_11hip_rocprim26transform_input_iterator_tIbNSD_35transform_pair_of_input_iterators_tIbNS6_6detail15normal_iteratorINS6_10device_ptrIKjEEEESL_NS6_8equal_toIjEEEENSG_9not_fun_tINSD_8identityEEEEENSD_19counting_iterator_tIlEES8_S8_S8_S8_S8_S8_S8_S8_EEEEPS9_S9_NSD_9__find_if7functorIS9_EEEE10hipError_tPvRmT1_T2_T3_mT4_P12ihipStream_tbEUlT_E0_NS1_11comp_targetILNS1_3genE10ELNS1_11target_archE1200ELNS1_3gpuE4ELNS1_3repE0EEENS1_30default_config_static_selectorELNS0_4arch9wavefront6targetE0EEEvS14_.num_agpr, 0
	.set _ZN7rocprim17ROCPRIM_400000_NS6detail17trampoline_kernelINS0_14default_configENS1_22reduce_config_selectorIN6thrust23THRUST_200600_302600_NS5tupleIblNS6_9null_typeES8_S8_S8_S8_S8_S8_S8_EEEEZNS1_11reduce_implILb1ES3_NS6_12zip_iteratorINS7_INS6_11hip_rocprim26transform_input_iterator_tIbNSD_35transform_pair_of_input_iterators_tIbNS6_6detail15normal_iteratorINS6_10device_ptrIKjEEEESL_NS6_8equal_toIjEEEENSG_9not_fun_tINSD_8identityEEEEENSD_19counting_iterator_tIlEES8_S8_S8_S8_S8_S8_S8_S8_EEEEPS9_S9_NSD_9__find_if7functorIS9_EEEE10hipError_tPvRmT1_T2_T3_mT4_P12ihipStream_tbEUlT_E0_NS1_11comp_targetILNS1_3genE10ELNS1_11target_archE1200ELNS1_3gpuE4ELNS1_3repE0EEENS1_30default_config_static_selectorELNS0_4arch9wavefront6targetE0EEEvS14_.numbered_sgpr, 0
	.set _ZN7rocprim17ROCPRIM_400000_NS6detail17trampoline_kernelINS0_14default_configENS1_22reduce_config_selectorIN6thrust23THRUST_200600_302600_NS5tupleIblNS6_9null_typeES8_S8_S8_S8_S8_S8_S8_EEEEZNS1_11reduce_implILb1ES3_NS6_12zip_iteratorINS7_INS6_11hip_rocprim26transform_input_iterator_tIbNSD_35transform_pair_of_input_iterators_tIbNS6_6detail15normal_iteratorINS6_10device_ptrIKjEEEESL_NS6_8equal_toIjEEEENSG_9not_fun_tINSD_8identityEEEEENSD_19counting_iterator_tIlEES8_S8_S8_S8_S8_S8_S8_S8_EEEEPS9_S9_NSD_9__find_if7functorIS9_EEEE10hipError_tPvRmT1_T2_T3_mT4_P12ihipStream_tbEUlT_E0_NS1_11comp_targetILNS1_3genE10ELNS1_11target_archE1200ELNS1_3gpuE4ELNS1_3repE0EEENS1_30default_config_static_selectorELNS0_4arch9wavefront6targetE0EEEvS14_.num_named_barrier, 0
	.set _ZN7rocprim17ROCPRIM_400000_NS6detail17trampoline_kernelINS0_14default_configENS1_22reduce_config_selectorIN6thrust23THRUST_200600_302600_NS5tupleIblNS6_9null_typeES8_S8_S8_S8_S8_S8_S8_EEEEZNS1_11reduce_implILb1ES3_NS6_12zip_iteratorINS7_INS6_11hip_rocprim26transform_input_iterator_tIbNSD_35transform_pair_of_input_iterators_tIbNS6_6detail15normal_iteratorINS6_10device_ptrIKjEEEESL_NS6_8equal_toIjEEEENSG_9not_fun_tINSD_8identityEEEEENSD_19counting_iterator_tIlEES8_S8_S8_S8_S8_S8_S8_S8_EEEEPS9_S9_NSD_9__find_if7functorIS9_EEEE10hipError_tPvRmT1_T2_T3_mT4_P12ihipStream_tbEUlT_E0_NS1_11comp_targetILNS1_3genE10ELNS1_11target_archE1200ELNS1_3gpuE4ELNS1_3repE0EEENS1_30default_config_static_selectorELNS0_4arch9wavefront6targetE0EEEvS14_.private_seg_size, 0
	.set _ZN7rocprim17ROCPRIM_400000_NS6detail17trampoline_kernelINS0_14default_configENS1_22reduce_config_selectorIN6thrust23THRUST_200600_302600_NS5tupleIblNS6_9null_typeES8_S8_S8_S8_S8_S8_S8_EEEEZNS1_11reduce_implILb1ES3_NS6_12zip_iteratorINS7_INS6_11hip_rocprim26transform_input_iterator_tIbNSD_35transform_pair_of_input_iterators_tIbNS6_6detail15normal_iteratorINS6_10device_ptrIKjEEEESL_NS6_8equal_toIjEEEENSG_9not_fun_tINSD_8identityEEEEENSD_19counting_iterator_tIlEES8_S8_S8_S8_S8_S8_S8_S8_EEEEPS9_S9_NSD_9__find_if7functorIS9_EEEE10hipError_tPvRmT1_T2_T3_mT4_P12ihipStream_tbEUlT_E0_NS1_11comp_targetILNS1_3genE10ELNS1_11target_archE1200ELNS1_3gpuE4ELNS1_3repE0EEENS1_30default_config_static_selectorELNS0_4arch9wavefront6targetE0EEEvS14_.uses_vcc, 0
	.set _ZN7rocprim17ROCPRIM_400000_NS6detail17trampoline_kernelINS0_14default_configENS1_22reduce_config_selectorIN6thrust23THRUST_200600_302600_NS5tupleIblNS6_9null_typeES8_S8_S8_S8_S8_S8_S8_EEEEZNS1_11reduce_implILb1ES3_NS6_12zip_iteratorINS7_INS6_11hip_rocprim26transform_input_iterator_tIbNSD_35transform_pair_of_input_iterators_tIbNS6_6detail15normal_iteratorINS6_10device_ptrIKjEEEESL_NS6_8equal_toIjEEEENSG_9not_fun_tINSD_8identityEEEEENSD_19counting_iterator_tIlEES8_S8_S8_S8_S8_S8_S8_S8_EEEEPS9_S9_NSD_9__find_if7functorIS9_EEEE10hipError_tPvRmT1_T2_T3_mT4_P12ihipStream_tbEUlT_E0_NS1_11comp_targetILNS1_3genE10ELNS1_11target_archE1200ELNS1_3gpuE4ELNS1_3repE0EEENS1_30default_config_static_selectorELNS0_4arch9wavefront6targetE0EEEvS14_.uses_flat_scratch, 0
	.set _ZN7rocprim17ROCPRIM_400000_NS6detail17trampoline_kernelINS0_14default_configENS1_22reduce_config_selectorIN6thrust23THRUST_200600_302600_NS5tupleIblNS6_9null_typeES8_S8_S8_S8_S8_S8_S8_EEEEZNS1_11reduce_implILb1ES3_NS6_12zip_iteratorINS7_INS6_11hip_rocprim26transform_input_iterator_tIbNSD_35transform_pair_of_input_iterators_tIbNS6_6detail15normal_iteratorINS6_10device_ptrIKjEEEESL_NS6_8equal_toIjEEEENSG_9not_fun_tINSD_8identityEEEEENSD_19counting_iterator_tIlEES8_S8_S8_S8_S8_S8_S8_S8_EEEEPS9_S9_NSD_9__find_if7functorIS9_EEEE10hipError_tPvRmT1_T2_T3_mT4_P12ihipStream_tbEUlT_E0_NS1_11comp_targetILNS1_3genE10ELNS1_11target_archE1200ELNS1_3gpuE4ELNS1_3repE0EEENS1_30default_config_static_selectorELNS0_4arch9wavefront6targetE0EEEvS14_.has_dyn_sized_stack, 0
	.set _ZN7rocprim17ROCPRIM_400000_NS6detail17trampoline_kernelINS0_14default_configENS1_22reduce_config_selectorIN6thrust23THRUST_200600_302600_NS5tupleIblNS6_9null_typeES8_S8_S8_S8_S8_S8_S8_EEEEZNS1_11reduce_implILb1ES3_NS6_12zip_iteratorINS7_INS6_11hip_rocprim26transform_input_iterator_tIbNSD_35transform_pair_of_input_iterators_tIbNS6_6detail15normal_iteratorINS6_10device_ptrIKjEEEESL_NS6_8equal_toIjEEEENSG_9not_fun_tINSD_8identityEEEEENSD_19counting_iterator_tIlEES8_S8_S8_S8_S8_S8_S8_S8_EEEEPS9_S9_NSD_9__find_if7functorIS9_EEEE10hipError_tPvRmT1_T2_T3_mT4_P12ihipStream_tbEUlT_E0_NS1_11comp_targetILNS1_3genE10ELNS1_11target_archE1200ELNS1_3gpuE4ELNS1_3repE0EEENS1_30default_config_static_selectorELNS0_4arch9wavefront6targetE0EEEvS14_.has_recursion, 0
	.set _ZN7rocprim17ROCPRIM_400000_NS6detail17trampoline_kernelINS0_14default_configENS1_22reduce_config_selectorIN6thrust23THRUST_200600_302600_NS5tupleIblNS6_9null_typeES8_S8_S8_S8_S8_S8_S8_EEEEZNS1_11reduce_implILb1ES3_NS6_12zip_iteratorINS7_INS6_11hip_rocprim26transform_input_iterator_tIbNSD_35transform_pair_of_input_iterators_tIbNS6_6detail15normal_iteratorINS6_10device_ptrIKjEEEESL_NS6_8equal_toIjEEEENSG_9not_fun_tINSD_8identityEEEEENSD_19counting_iterator_tIlEES8_S8_S8_S8_S8_S8_S8_S8_EEEEPS9_S9_NSD_9__find_if7functorIS9_EEEE10hipError_tPvRmT1_T2_T3_mT4_P12ihipStream_tbEUlT_E0_NS1_11comp_targetILNS1_3genE10ELNS1_11target_archE1200ELNS1_3gpuE4ELNS1_3repE0EEENS1_30default_config_static_selectorELNS0_4arch9wavefront6targetE0EEEvS14_.has_indirect_call, 0
	.section	.AMDGPU.csdata,"",@progbits
; Kernel info:
; codeLenInByte = 0
; TotalNumSgprs: 0
; NumVgprs: 0
; ScratchSize: 0
; MemoryBound: 0
; FloatMode: 240
; IeeeMode: 1
; LDSByteSize: 0 bytes/workgroup (compile time only)
; SGPRBlocks: 0
; VGPRBlocks: 0
; NumSGPRsForWavesPerEU: 1
; NumVGPRsForWavesPerEU: 1
; Occupancy: 16
; WaveLimiterHint : 0
; COMPUTE_PGM_RSRC2:SCRATCH_EN: 0
; COMPUTE_PGM_RSRC2:USER_SGPR: 6
; COMPUTE_PGM_RSRC2:TRAP_HANDLER: 0
; COMPUTE_PGM_RSRC2:TGID_X_EN: 1
; COMPUTE_PGM_RSRC2:TGID_Y_EN: 0
; COMPUTE_PGM_RSRC2:TGID_Z_EN: 0
; COMPUTE_PGM_RSRC2:TIDIG_COMP_CNT: 0
	.section	.text._ZN7rocprim17ROCPRIM_400000_NS6detail17trampoline_kernelINS0_14default_configENS1_22reduce_config_selectorIN6thrust23THRUST_200600_302600_NS5tupleIblNS6_9null_typeES8_S8_S8_S8_S8_S8_S8_EEEEZNS1_11reduce_implILb1ES3_NS6_12zip_iteratorINS7_INS6_11hip_rocprim26transform_input_iterator_tIbNSD_35transform_pair_of_input_iterators_tIbNS6_6detail15normal_iteratorINS6_10device_ptrIKjEEEESL_NS6_8equal_toIjEEEENSG_9not_fun_tINSD_8identityEEEEENSD_19counting_iterator_tIlEES8_S8_S8_S8_S8_S8_S8_S8_EEEEPS9_S9_NSD_9__find_if7functorIS9_EEEE10hipError_tPvRmT1_T2_T3_mT4_P12ihipStream_tbEUlT_E0_NS1_11comp_targetILNS1_3genE9ELNS1_11target_archE1100ELNS1_3gpuE3ELNS1_3repE0EEENS1_30default_config_static_selectorELNS0_4arch9wavefront6targetE0EEEvS14_,"axG",@progbits,_ZN7rocprim17ROCPRIM_400000_NS6detail17trampoline_kernelINS0_14default_configENS1_22reduce_config_selectorIN6thrust23THRUST_200600_302600_NS5tupleIblNS6_9null_typeES8_S8_S8_S8_S8_S8_S8_EEEEZNS1_11reduce_implILb1ES3_NS6_12zip_iteratorINS7_INS6_11hip_rocprim26transform_input_iterator_tIbNSD_35transform_pair_of_input_iterators_tIbNS6_6detail15normal_iteratorINS6_10device_ptrIKjEEEESL_NS6_8equal_toIjEEEENSG_9not_fun_tINSD_8identityEEEEENSD_19counting_iterator_tIlEES8_S8_S8_S8_S8_S8_S8_S8_EEEEPS9_S9_NSD_9__find_if7functorIS9_EEEE10hipError_tPvRmT1_T2_T3_mT4_P12ihipStream_tbEUlT_E0_NS1_11comp_targetILNS1_3genE9ELNS1_11target_archE1100ELNS1_3gpuE3ELNS1_3repE0EEENS1_30default_config_static_selectorELNS0_4arch9wavefront6targetE0EEEvS14_,comdat
	.protected	_ZN7rocprim17ROCPRIM_400000_NS6detail17trampoline_kernelINS0_14default_configENS1_22reduce_config_selectorIN6thrust23THRUST_200600_302600_NS5tupleIblNS6_9null_typeES8_S8_S8_S8_S8_S8_S8_EEEEZNS1_11reduce_implILb1ES3_NS6_12zip_iteratorINS7_INS6_11hip_rocprim26transform_input_iterator_tIbNSD_35transform_pair_of_input_iterators_tIbNS6_6detail15normal_iteratorINS6_10device_ptrIKjEEEESL_NS6_8equal_toIjEEEENSG_9not_fun_tINSD_8identityEEEEENSD_19counting_iterator_tIlEES8_S8_S8_S8_S8_S8_S8_S8_EEEEPS9_S9_NSD_9__find_if7functorIS9_EEEE10hipError_tPvRmT1_T2_T3_mT4_P12ihipStream_tbEUlT_E0_NS1_11comp_targetILNS1_3genE9ELNS1_11target_archE1100ELNS1_3gpuE3ELNS1_3repE0EEENS1_30default_config_static_selectorELNS0_4arch9wavefront6targetE0EEEvS14_ ; -- Begin function _ZN7rocprim17ROCPRIM_400000_NS6detail17trampoline_kernelINS0_14default_configENS1_22reduce_config_selectorIN6thrust23THRUST_200600_302600_NS5tupleIblNS6_9null_typeES8_S8_S8_S8_S8_S8_S8_EEEEZNS1_11reduce_implILb1ES3_NS6_12zip_iteratorINS7_INS6_11hip_rocprim26transform_input_iterator_tIbNSD_35transform_pair_of_input_iterators_tIbNS6_6detail15normal_iteratorINS6_10device_ptrIKjEEEESL_NS6_8equal_toIjEEEENSG_9not_fun_tINSD_8identityEEEEENSD_19counting_iterator_tIlEES8_S8_S8_S8_S8_S8_S8_S8_EEEEPS9_S9_NSD_9__find_if7functorIS9_EEEE10hipError_tPvRmT1_T2_T3_mT4_P12ihipStream_tbEUlT_E0_NS1_11comp_targetILNS1_3genE9ELNS1_11target_archE1100ELNS1_3gpuE3ELNS1_3repE0EEENS1_30default_config_static_selectorELNS0_4arch9wavefront6targetE0EEEvS14_
	.globl	_ZN7rocprim17ROCPRIM_400000_NS6detail17trampoline_kernelINS0_14default_configENS1_22reduce_config_selectorIN6thrust23THRUST_200600_302600_NS5tupleIblNS6_9null_typeES8_S8_S8_S8_S8_S8_S8_EEEEZNS1_11reduce_implILb1ES3_NS6_12zip_iteratorINS7_INS6_11hip_rocprim26transform_input_iterator_tIbNSD_35transform_pair_of_input_iterators_tIbNS6_6detail15normal_iteratorINS6_10device_ptrIKjEEEESL_NS6_8equal_toIjEEEENSG_9not_fun_tINSD_8identityEEEEENSD_19counting_iterator_tIlEES8_S8_S8_S8_S8_S8_S8_S8_EEEEPS9_S9_NSD_9__find_if7functorIS9_EEEE10hipError_tPvRmT1_T2_T3_mT4_P12ihipStream_tbEUlT_E0_NS1_11comp_targetILNS1_3genE9ELNS1_11target_archE1100ELNS1_3gpuE3ELNS1_3repE0EEENS1_30default_config_static_selectorELNS0_4arch9wavefront6targetE0EEEvS14_
	.p2align	8
	.type	_ZN7rocprim17ROCPRIM_400000_NS6detail17trampoline_kernelINS0_14default_configENS1_22reduce_config_selectorIN6thrust23THRUST_200600_302600_NS5tupleIblNS6_9null_typeES8_S8_S8_S8_S8_S8_S8_EEEEZNS1_11reduce_implILb1ES3_NS6_12zip_iteratorINS7_INS6_11hip_rocprim26transform_input_iterator_tIbNSD_35transform_pair_of_input_iterators_tIbNS6_6detail15normal_iteratorINS6_10device_ptrIKjEEEESL_NS6_8equal_toIjEEEENSG_9not_fun_tINSD_8identityEEEEENSD_19counting_iterator_tIlEES8_S8_S8_S8_S8_S8_S8_S8_EEEEPS9_S9_NSD_9__find_if7functorIS9_EEEE10hipError_tPvRmT1_T2_T3_mT4_P12ihipStream_tbEUlT_E0_NS1_11comp_targetILNS1_3genE9ELNS1_11target_archE1100ELNS1_3gpuE3ELNS1_3repE0EEENS1_30default_config_static_selectorELNS0_4arch9wavefront6targetE0EEEvS14_,@function
_ZN7rocprim17ROCPRIM_400000_NS6detail17trampoline_kernelINS0_14default_configENS1_22reduce_config_selectorIN6thrust23THRUST_200600_302600_NS5tupleIblNS6_9null_typeES8_S8_S8_S8_S8_S8_S8_EEEEZNS1_11reduce_implILb1ES3_NS6_12zip_iteratorINS7_INS6_11hip_rocprim26transform_input_iterator_tIbNSD_35transform_pair_of_input_iterators_tIbNS6_6detail15normal_iteratorINS6_10device_ptrIKjEEEESL_NS6_8equal_toIjEEEENSG_9not_fun_tINSD_8identityEEEEENSD_19counting_iterator_tIlEES8_S8_S8_S8_S8_S8_S8_S8_EEEEPS9_S9_NSD_9__find_if7functorIS9_EEEE10hipError_tPvRmT1_T2_T3_mT4_P12ihipStream_tbEUlT_E0_NS1_11comp_targetILNS1_3genE9ELNS1_11target_archE1100ELNS1_3gpuE3ELNS1_3repE0EEENS1_30default_config_static_selectorELNS0_4arch9wavefront6targetE0EEEvS14_: ; @_ZN7rocprim17ROCPRIM_400000_NS6detail17trampoline_kernelINS0_14default_configENS1_22reduce_config_selectorIN6thrust23THRUST_200600_302600_NS5tupleIblNS6_9null_typeES8_S8_S8_S8_S8_S8_S8_EEEEZNS1_11reduce_implILb1ES3_NS6_12zip_iteratorINS7_INS6_11hip_rocprim26transform_input_iterator_tIbNSD_35transform_pair_of_input_iterators_tIbNS6_6detail15normal_iteratorINS6_10device_ptrIKjEEEESL_NS6_8equal_toIjEEEENSG_9not_fun_tINSD_8identityEEEEENSD_19counting_iterator_tIlEES8_S8_S8_S8_S8_S8_S8_S8_EEEEPS9_S9_NSD_9__find_if7functorIS9_EEEE10hipError_tPvRmT1_T2_T3_mT4_P12ihipStream_tbEUlT_E0_NS1_11comp_targetILNS1_3genE9ELNS1_11target_archE1100ELNS1_3gpuE3ELNS1_3repE0EEENS1_30default_config_static_selectorELNS0_4arch9wavefront6targetE0EEEvS14_
; %bb.0:
	.section	.rodata,"a",@progbits
	.p2align	6, 0x0
	.amdhsa_kernel _ZN7rocprim17ROCPRIM_400000_NS6detail17trampoline_kernelINS0_14default_configENS1_22reduce_config_selectorIN6thrust23THRUST_200600_302600_NS5tupleIblNS6_9null_typeES8_S8_S8_S8_S8_S8_S8_EEEEZNS1_11reduce_implILb1ES3_NS6_12zip_iteratorINS7_INS6_11hip_rocprim26transform_input_iterator_tIbNSD_35transform_pair_of_input_iterators_tIbNS6_6detail15normal_iteratorINS6_10device_ptrIKjEEEESL_NS6_8equal_toIjEEEENSG_9not_fun_tINSD_8identityEEEEENSD_19counting_iterator_tIlEES8_S8_S8_S8_S8_S8_S8_S8_EEEEPS9_S9_NSD_9__find_if7functorIS9_EEEE10hipError_tPvRmT1_T2_T3_mT4_P12ihipStream_tbEUlT_E0_NS1_11comp_targetILNS1_3genE9ELNS1_11target_archE1100ELNS1_3gpuE3ELNS1_3repE0EEENS1_30default_config_static_selectorELNS0_4arch9wavefront6targetE0EEEvS14_
		.amdhsa_group_segment_fixed_size 0
		.amdhsa_private_segment_fixed_size 0
		.amdhsa_kernarg_size 104
		.amdhsa_user_sgpr_count 6
		.amdhsa_user_sgpr_private_segment_buffer 1
		.amdhsa_user_sgpr_dispatch_ptr 0
		.amdhsa_user_sgpr_queue_ptr 0
		.amdhsa_user_sgpr_kernarg_segment_ptr 1
		.amdhsa_user_sgpr_dispatch_id 0
		.amdhsa_user_sgpr_flat_scratch_init 0
		.amdhsa_user_sgpr_private_segment_size 0
		.amdhsa_wavefront_size32 1
		.amdhsa_uses_dynamic_stack 0
		.amdhsa_system_sgpr_private_segment_wavefront_offset 0
		.amdhsa_system_sgpr_workgroup_id_x 1
		.amdhsa_system_sgpr_workgroup_id_y 0
		.amdhsa_system_sgpr_workgroup_id_z 0
		.amdhsa_system_sgpr_workgroup_info 0
		.amdhsa_system_vgpr_workitem_id 0
		.amdhsa_next_free_vgpr 1
		.amdhsa_next_free_sgpr 1
		.amdhsa_reserve_vcc 0
		.amdhsa_reserve_flat_scratch 0
		.amdhsa_float_round_mode_32 0
		.amdhsa_float_round_mode_16_64 0
		.amdhsa_float_denorm_mode_32 3
		.amdhsa_float_denorm_mode_16_64 3
		.amdhsa_dx10_clamp 1
		.amdhsa_ieee_mode 1
		.amdhsa_fp16_overflow 0
		.amdhsa_workgroup_processor_mode 1
		.amdhsa_memory_ordered 1
		.amdhsa_forward_progress 1
		.amdhsa_shared_vgpr_count 0
		.amdhsa_exception_fp_ieee_invalid_op 0
		.amdhsa_exception_fp_denorm_src 0
		.amdhsa_exception_fp_ieee_div_zero 0
		.amdhsa_exception_fp_ieee_overflow 0
		.amdhsa_exception_fp_ieee_underflow 0
		.amdhsa_exception_fp_ieee_inexact 0
		.amdhsa_exception_int_div_zero 0
	.end_amdhsa_kernel
	.section	.text._ZN7rocprim17ROCPRIM_400000_NS6detail17trampoline_kernelINS0_14default_configENS1_22reduce_config_selectorIN6thrust23THRUST_200600_302600_NS5tupleIblNS6_9null_typeES8_S8_S8_S8_S8_S8_S8_EEEEZNS1_11reduce_implILb1ES3_NS6_12zip_iteratorINS7_INS6_11hip_rocprim26transform_input_iterator_tIbNSD_35transform_pair_of_input_iterators_tIbNS6_6detail15normal_iteratorINS6_10device_ptrIKjEEEESL_NS6_8equal_toIjEEEENSG_9not_fun_tINSD_8identityEEEEENSD_19counting_iterator_tIlEES8_S8_S8_S8_S8_S8_S8_S8_EEEEPS9_S9_NSD_9__find_if7functorIS9_EEEE10hipError_tPvRmT1_T2_T3_mT4_P12ihipStream_tbEUlT_E0_NS1_11comp_targetILNS1_3genE9ELNS1_11target_archE1100ELNS1_3gpuE3ELNS1_3repE0EEENS1_30default_config_static_selectorELNS0_4arch9wavefront6targetE0EEEvS14_,"axG",@progbits,_ZN7rocprim17ROCPRIM_400000_NS6detail17trampoline_kernelINS0_14default_configENS1_22reduce_config_selectorIN6thrust23THRUST_200600_302600_NS5tupleIblNS6_9null_typeES8_S8_S8_S8_S8_S8_S8_EEEEZNS1_11reduce_implILb1ES3_NS6_12zip_iteratorINS7_INS6_11hip_rocprim26transform_input_iterator_tIbNSD_35transform_pair_of_input_iterators_tIbNS6_6detail15normal_iteratorINS6_10device_ptrIKjEEEESL_NS6_8equal_toIjEEEENSG_9not_fun_tINSD_8identityEEEEENSD_19counting_iterator_tIlEES8_S8_S8_S8_S8_S8_S8_S8_EEEEPS9_S9_NSD_9__find_if7functorIS9_EEEE10hipError_tPvRmT1_T2_T3_mT4_P12ihipStream_tbEUlT_E0_NS1_11comp_targetILNS1_3genE9ELNS1_11target_archE1100ELNS1_3gpuE3ELNS1_3repE0EEENS1_30default_config_static_selectorELNS0_4arch9wavefront6targetE0EEEvS14_,comdat
.Lfunc_end211:
	.size	_ZN7rocprim17ROCPRIM_400000_NS6detail17trampoline_kernelINS0_14default_configENS1_22reduce_config_selectorIN6thrust23THRUST_200600_302600_NS5tupleIblNS6_9null_typeES8_S8_S8_S8_S8_S8_S8_EEEEZNS1_11reduce_implILb1ES3_NS6_12zip_iteratorINS7_INS6_11hip_rocprim26transform_input_iterator_tIbNSD_35transform_pair_of_input_iterators_tIbNS6_6detail15normal_iteratorINS6_10device_ptrIKjEEEESL_NS6_8equal_toIjEEEENSG_9not_fun_tINSD_8identityEEEEENSD_19counting_iterator_tIlEES8_S8_S8_S8_S8_S8_S8_S8_EEEEPS9_S9_NSD_9__find_if7functorIS9_EEEE10hipError_tPvRmT1_T2_T3_mT4_P12ihipStream_tbEUlT_E0_NS1_11comp_targetILNS1_3genE9ELNS1_11target_archE1100ELNS1_3gpuE3ELNS1_3repE0EEENS1_30default_config_static_selectorELNS0_4arch9wavefront6targetE0EEEvS14_, .Lfunc_end211-_ZN7rocprim17ROCPRIM_400000_NS6detail17trampoline_kernelINS0_14default_configENS1_22reduce_config_selectorIN6thrust23THRUST_200600_302600_NS5tupleIblNS6_9null_typeES8_S8_S8_S8_S8_S8_S8_EEEEZNS1_11reduce_implILb1ES3_NS6_12zip_iteratorINS7_INS6_11hip_rocprim26transform_input_iterator_tIbNSD_35transform_pair_of_input_iterators_tIbNS6_6detail15normal_iteratorINS6_10device_ptrIKjEEEESL_NS6_8equal_toIjEEEENSG_9not_fun_tINSD_8identityEEEEENSD_19counting_iterator_tIlEES8_S8_S8_S8_S8_S8_S8_S8_EEEEPS9_S9_NSD_9__find_if7functorIS9_EEEE10hipError_tPvRmT1_T2_T3_mT4_P12ihipStream_tbEUlT_E0_NS1_11comp_targetILNS1_3genE9ELNS1_11target_archE1100ELNS1_3gpuE3ELNS1_3repE0EEENS1_30default_config_static_selectorELNS0_4arch9wavefront6targetE0EEEvS14_
                                        ; -- End function
	.set _ZN7rocprim17ROCPRIM_400000_NS6detail17trampoline_kernelINS0_14default_configENS1_22reduce_config_selectorIN6thrust23THRUST_200600_302600_NS5tupleIblNS6_9null_typeES8_S8_S8_S8_S8_S8_S8_EEEEZNS1_11reduce_implILb1ES3_NS6_12zip_iteratorINS7_INS6_11hip_rocprim26transform_input_iterator_tIbNSD_35transform_pair_of_input_iterators_tIbNS6_6detail15normal_iteratorINS6_10device_ptrIKjEEEESL_NS6_8equal_toIjEEEENSG_9not_fun_tINSD_8identityEEEEENSD_19counting_iterator_tIlEES8_S8_S8_S8_S8_S8_S8_S8_EEEEPS9_S9_NSD_9__find_if7functorIS9_EEEE10hipError_tPvRmT1_T2_T3_mT4_P12ihipStream_tbEUlT_E0_NS1_11comp_targetILNS1_3genE9ELNS1_11target_archE1100ELNS1_3gpuE3ELNS1_3repE0EEENS1_30default_config_static_selectorELNS0_4arch9wavefront6targetE0EEEvS14_.num_vgpr, 0
	.set _ZN7rocprim17ROCPRIM_400000_NS6detail17trampoline_kernelINS0_14default_configENS1_22reduce_config_selectorIN6thrust23THRUST_200600_302600_NS5tupleIblNS6_9null_typeES8_S8_S8_S8_S8_S8_S8_EEEEZNS1_11reduce_implILb1ES3_NS6_12zip_iteratorINS7_INS6_11hip_rocprim26transform_input_iterator_tIbNSD_35transform_pair_of_input_iterators_tIbNS6_6detail15normal_iteratorINS6_10device_ptrIKjEEEESL_NS6_8equal_toIjEEEENSG_9not_fun_tINSD_8identityEEEEENSD_19counting_iterator_tIlEES8_S8_S8_S8_S8_S8_S8_S8_EEEEPS9_S9_NSD_9__find_if7functorIS9_EEEE10hipError_tPvRmT1_T2_T3_mT4_P12ihipStream_tbEUlT_E0_NS1_11comp_targetILNS1_3genE9ELNS1_11target_archE1100ELNS1_3gpuE3ELNS1_3repE0EEENS1_30default_config_static_selectorELNS0_4arch9wavefront6targetE0EEEvS14_.num_agpr, 0
	.set _ZN7rocprim17ROCPRIM_400000_NS6detail17trampoline_kernelINS0_14default_configENS1_22reduce_config_selectorIN6thrust23THRUST_200600_302600_NS5tupleIblNS6_9null_typeES8_S8_S8_S8_S8_S8_S8_EEEEZNS1_11reduce_implILb1ES3_NS6_12zip_iteratorINS7_INS6_11hip_rocprim26transform_input_iterator_tIbNSD_35transform_pair_of_input_iterators_tIbNS6_6detail15normal_iteratorINS6_10device_ptrIKjEEEESL_NS6_8equal_toIjEEEENSG_9not_fun_tINSD_8identityEEEEENSD_19counting_iterator_tIlEES8_S8_S8_S8_S8_S8_S8_S8_EEEEPS9_S9_NSD_9__find_if7functorIS9_EEEE10hipError_tPvRmT1_T2_T3_mT4_P12ihipStream_tbEUlT_E0_NS1_11comp_targetILNS1_3genE9ELNS1_11target_archE1100ELNS1_3gpuE3ELNS1_3repE0EEENS1_30default_config_static_selectorELNS0_4arch9wavefront6targetE0EEEvS14_.numbered_sgpr, 0
	.set _ZN7rocprim17ROCPRIM_400000_NS6detail17trampoline_kernelINS0_14default_configENS1_22reduce_config_selectorIN6thrust23THRUST_200600_302600_NS5tupleIblNS6_9null_typeES8_S8_S8_S8_S8_S8_S8_EEEEZNS1_11reduce_implILb1ES3_NS6_12zip_iteratorINS7_INS6_11hip_rocprim26transform_input_iterator_tIbNSD_35transform_pair_of_input_iterators_tIbNS6_6detail15normal_iteratorINS6_10device_ptrIKjEEEESL_NS6_8equal_toIjEEEENSG_9not_fun_tINSD_8identityEEEEENSD_19counting_iterator_tIlEES8_S8_S8_S8_S8_S8_S8_S8_EEEEPS9_S9_NSD_9__find_if7functorIS9_EEEE10hipError_tPvRmT1_T2_T3_mT4_P12ihipStream_tbEUlT_E0_NS1_11comp_targetILNS1_3genE9ELNS1_11target_archE1100ELNS1_3gpuE3ELNS1_3repE0EEENS1_30default_config_static_selectorELNS0_4arch9wavefront6targetE0EEEvS14_.num_named_barrier, 0
	.set _ZN7rocprim17ROCPRIM_400000_NS6detail17trampoline_kernelINS0_14default_configENS1_22reduce_config_selectorIN6thrust23THRUST_200600_302600_NS5tupleIblNS6_9null_typeES8_S8_S8_S8_S8_S8_S8_EEEEZNS1_11reduce_implILb1ES3_NS6_12zip_iteratorINS7_INS6_11hip_rocprim26transform_input_iterator_tIbNSD_35transform_pair_of_input_iterators_tIbNS6_6detail15normal_iteratorINS6_10device_ptrIKjEEEESL_NS6_8equal_toIjEEEENSG_9not_fun_tINSD_8identityEEEEENSD_19counting_iterator_tIlEES8_S8_S8_S8_S8_S8_S8_S8_EEEEPS9_S9_NSD_9__find_if7functorIS9_EEEE10hipError_tPvRmT1_T2_T3_mT4_P12ihipStream_tbEUlT_E0_NS1_11comp_targetILNS1_3genE9ELNS1_11target_archE1100ELNS1_3gpuE3ELNS1_3repE0EEENS1_30default_config_static_selectorELNS0_4arch9wavefront6targetE0EEEvS14_.private_seg_size, 0
	.set _ZN7rocprim17ROCPRIM_400000_NS6detail17trampoline_kernelINS0_14default_configENS1_22reduce_config_selectorIN6thrust23THRUST_200600_302600_NS5tupleIblNS6_9null_typeES8_S8_S8_S8_S8_S8_S8_EEEEZNS1_11reduce_implILb1ES3_NS6_12zip_iteratorINS7_INS6_11hip_rocprim26transform_input_iterator_tIbNSD_35transform_pair_of_input_iterators_tIbNS6_6detail15normal_iteratorINS6_10device_ptrIKjEEEESL_NS6_8equal_toIjEEEENSG_9not_fun_tINSD_8identityEEEEENSD_19counting_iterator_tIlEES8_S8_S8_S8_S8_S8_S8_S8_EEEEPS9_S9_NSD_9__find_if7functorIS9_EEEE10hipError_tPvRmT1_T2_T3_mT4_P12ihipStream_tbEUlT_E0_NS1_11comp_targetILNS1_3genE9ELNS1_11target_archE1100ELNS1_3gpuE3ELNS1_3repE0EEENS1_30default_config_static_selectorELNS0_4arch9wavefront6targetE0EEEvS14_.uses_vcc, 0
	.set _ZN7rocprim17ROCPRIM_400000_NS6detail17trampoline_kernelINS0_14default_configENS1_22reduce_config_selectorIN6thrust23THRUST_200600_302600_NS5tupleIblNS6_9null_typeES8_S8_S8_S8_S8_S8_S8_EEEEZNS1_11reduce_implILb1ES3_NS6_12zip_iteratorINS7_INS6_11hip_rocprim26transform_input_iterator_tIbNSD_35transform_pair_of_input_iterators_tIbNS6_6detail15normal_iteratorINS6_10device_ptrIKjEEEESL_NS6_8equal_toIjEEEENSG_9not_fun_tINSD_8identityEEEEENSD_19counting_iterator_tIlEES8_S8_S8_S8_S8_S8_S8_S8_EEEEPS9_S9_NSD_9__find_if7functorIS9_EEEE10hipError_tPvRmT1_T2_T3_mT4_P12ihipStream_tbEUlT_E0_NS1_11comp_targetILNS1_3genE9ELNS1_11target_archE1100ELNS1_3gpuE3ELNS1_3repE0EEENS1_30default_config_static_selectorELNS0_4arch9wavefront6targetE0EEEvS14_.uses_flat_scratch, 0
	.set _ZN7rocprim17ROCPRIM_400000_NS6detail17trampoline_kernelINS0_14default_configENS1_22reduce_config_selectorIN6thrust23THRUST_200600_302600_NS5tupleIblNS6_9null_typeES8_S8_S8_S8_S8_S8_S8_EEEEZNS1_11reduce_implILb1ES3_NS6_12zip_iteratorINS7_INS6_11hip_rocprim26transform_input_iterator_tIbNSD_35transform_pair_of_input_iterators_tIbNS6_6detail15normal_iteratorINS6_10device_ptrIKjEEEESL_NS6_8equal_toIjEEEENSG_9not_fun_tINSD_8identityEEEEENSD_19counting_iterator_tIlEES8_S8_S8_S8_S8_S8_S8_S8_EEEEPS9_S9_NSD_9__find_if7functorIS9_EEEE10hipError_tPvRmT1_T2_T3_mT4_P12ihipStream_tbEUlT_E0_NS1_11comp_targetILNS1_3genE9ELNS1_11target_archE1100ELNS1_3gpuE3ELNS1_3repE0EEENS1_30default_config_static_selectorELNS0_4arch9wavefront6targetE0EEEvS14_.has_dyn_sized_stack, 0
	.set _ZN7rocprim17ROCPRIM_400000_NS6detail17trampoline_kernelINS0_14default_configENS1_22reduce_config_selectorIN6thrust23THRUST_200600_302600_NS5tupleIblNS6_9null_typeES8_S8_S8_S8_S8_S8_S8_EEEEZNS1_11reduce_implILb1ES3_NS6_12zip_iteratorINS7_INS6_11hip_rocprim26transform_input_iterator_tIbNSD_35transform_pair_of_input_iterators_tIbNS6_6detail15normal_iteratorINS6_10device_ptrIKjEEEESL_NS6_8equal_toIjEEEENSG_9not_fun_tINSD_8identityEEEEENSD_19counting_iterator_tIlEES8_S8_S8_S8_S8_S8_S8_S8_EEEEPS9_S9_NSD_9__find_if7functorIS9_EEEE10hipError_tPvRmT1_T2_T3_mT4_P12ihipStream_tbEUlT_E0_NS1_11comp_targetILNS1_3genE9ELNS1_11target_archE1100ELNS1_3gpuE3ELNS1_3repE0EEENS1_30default_config_static_selectorELNS0_4arch9wavefront6targetE0EEEvS14_.has_recursion, 0
	.set _ZN7rocprim17ROCPRIM_400000_NS6detail17trampoline_kernelINS0_14default_configENS1_22reduce_config_selectorIN6thrust23THRUST_200600_302600_NS5tupleIblNS6_9null_typeES8_S8_S8_S8_S8_S8_S8_EEEEZNS1_11reduce_implILb1ES3_NS6_12zip_iteratorINS7_INS6_11hip_rocprim26transform_input_iterator_tIbNSD_35transform_pair_of_input_iterators_tIbNS6_6detail15normal_iteratorINS6_10device_ptrIKjEEEESL_NS6_8equal_toIjEEEENSG_9not_fun_tINSD_8identityEEEEENSD_19counting_iterator_tIlEES8_S8_S8_S8_S8_S8_S8_S8_EEEEPS9_S9_NSD_9__find_if7functorIS9_EEEE10hipError_tPvRmT1_T2_T3_mT4_P12ihipStream_tbEUlT_E0_NS1_11comp_targetILNS1_3genE9ELNS1_11target_archE1100ELNS1_3gpuE3ELNS1_3repE0EEENS1_30default_config_static_selectorELNS0_4arch9wavefront6targetE0EEEvS14_.has_indirect_call, 0
	.section	.AMDGPU.csdata,"",@progbits
; Kernel info:
; codeLenInByte = 0
; TotalNumSgprs: 0
; NumVgprs: 0
; ScratchSize: 0
; MemoryBound: 0
; FloatMode: 240
; IeeeMode: 1
; LDSByteSize: 0 bytes/workgroup (compile time only)
; SGPRBlocks: 0
; VGPRBlocks: 0
; NumSGPRsForWavesPerEU: 1
; NumVGPRsForWavesPerEU: 1
; Occupancy: 16
; WaveLimiterHint : 0
; COMPUTE_PGM_RSRC2:SCRATCH_EN: 0
; COMPUTE_PGM_RSRC2:USER_SGPR: 6
; COMPUTE_PGM_RSRC2:TRAP_HANDLER: 0
; COMPUTE_PGM_RSRC2:TGID_X_EN: 1
; COMPUTE_PGM_RSRC2:TGID_Y_EN: 0
; COMPUTE_PGM_RSRC2:TGID_Z_EN: 0
; COMPUTE_PGM_RSRC2:TIDIG_COMP_CNT: 0
	.section	.text._ZN7rocprim17ROCPRIM_400000_NS6detail17trampoline_kernelINS0_14default_configENS1_22reduce_config_selectorIN6thrust23THRUST_200600_302600_NS5tupleIblNS6_9null_typeES8_S8_S8_S8_S8_S8_S8_EEEEZNS1_11reduce_implILb1ES3_NS6_12zip_iteratorINS7_INS6_11hip_rocprim26transform_input_iterator_tIbNSD_35transform_pair_of_input_iterators_tIbNS6_6detail15normal_iteratorINS6_10device_ptrIKjEEEESL_NS6_8equal_toIjEEEENSG_9not_fun_tINSD_8identityEEEEENSD_19counting_iterator_tIlEES8_S8_S8_S8_S8_S8_S8_S8_EEEEPS9_S9_NSD_9__find_if7functorIS9_EEEE10hipError_tPvRmT1_T2_T3_mT4_P12ihipStream_tbEUlT_E0_NS1_11comp_targetILNS1_3genE8ELNS1_11target_archE1030ELNS1_3gpuE2ELNS1_3repE0EEENS1_30default_config_static_selectorELNS0_4arch9wavefront6targetE0EEEvS14_,"axG",@progbits,_ZN7rocprim17ROCPRIM_400000_NS6detail17trampoline_kernelINS0_14default_configENS1_22reduce_config_selectorIN6thrust23THRUST_200600_302600_NS5tupleIblNS6_9null_typeES8_S8_S8_S8_S8_S8_S8_EEEEZNS1_11reduce_implILb1ES3_NS6_12zip_iteratorINS7_INS6_11hip_rocprim26transform_input_iterator_tIbNSD_35transform_pair_of_input_iterators_tIbNS6_6detail15normal_iteratorINS6_10device_ptrIKjEEEESL_NS6_8equal_toIjEEEENSG_9not_fun_tINSD_8identityEEEEENSD_19counting_iterator_tIlEES8_S8_S8_S8_S8_S8_S8_S8_EEEEPS9_S9_NSD_9__find_if7functorIS9_EEEE10hipError_tPvRmT1_T2_T3_mT4_P12ihipStream_tbEUlT_E0_NS1_11comp_targetILNS1_3genE8ELNS1_11target_archE1030ELNS1_3gpuE2ELNS1_3repE0EEENS1_30default_config_static_selectorELNS0_4arch9wavefront6targetE0EEEvS14_,comdat
	.protected	_ZN7rocprim17ROCPRIM_400000_NS6detail17trampoline_kernelINS0_14default_configENS1_22reduce_config_selectorIN6thrust23THRUST_200600_302600_NS5tupleIblNS6_9null_typeES8_S8_S8_S8_S8_S8_S8_EEEEZNS1_11reduce_implILb1ES3_NS6_12zip_iteratorINS7_INS6_11hip_rocprim26transform_input_iterator_tIbNSD_35transform_pair_of_input_iterators_tIbNS6_6detail15normal_iteratorINS6_10device_ptrIKjEEEESL_NS6_8equal_toIjEEEENSG_9not_fun_tINSD_8identityEEEEENSD_19counting_iterator_tIlEES8_S8_S8_S8_S8_S8_S8_S8_EEEEPS9_S9_NSD_9__find_if7functorIS9_EEEE10hipError_tPvRmT1_T2_T3_mT4_P12ihipStream_tbEUlT_E0_NS1_11comp_targetILNS1_3genE8ELNS1_11target_archE1030ELNS1_3gpuE2ELNS1_3repE0EEENS1_30default_config_static_selectorELNS0_4arch9wavefront6targetE0EEEvS14_ ; -- Begin function _ZN7rocprim17ROCPRIM_400000_NS6detail17trampoline_kernelINS0_14default_configENS1_22reduce_config_selectorIN6thrust23THRUST_200600_302600_NS5tupleIblNS6_9null_typeES8_S8_S8_S8_S8_S8_S8_EEEEZNS1_11reduce_implILb1ES3_NS6_12zip_iteratorINS7_INS6_11hip_rocprim26transform_input_iterator_tIbNSD_35transform_pair_of_input_iterators_tIbNS6_6detail15normal_iteratorINS6_10device_ptrIKjEEEESL_NS6_8equal_toIjEEEENSG_9not_fun_tINSD_8identityEEEEENSD_19counting_iterator_tIlEES8_S8_S8_S8_S8_S8_S8_S8_EEEEPS9_S9_NSD_9__find_if7functorIS9_EEEE10hipError_tPvRmT1_T2_T3_mT4_P12ihipStream_tbEUlT_E0_NS1_11comp_targetILNS1_3genE8ELNS1_11target_archE1030ELNS1_3gpuE2ELNS1_3repE0EEENS1_30default_config_static_selectorELNS0_4arch9wavefront6targetE0EEEvS14_
	.globl	_ZN7rocprim17ROCPRIM_400000_NS6detail17trampoline_kernelINS0_14default_configENS1_22reduce_config_selectorIN6thrust23THRUST_200600_302600_NS5tupleIblNS6_9null_typeES8_S8_S8_S8_S8_S8_S8_EEEEZNS1_11reduce_implILb1ES3_NS6_12zip_iteratorINS7_INS6_11hip_rocprim26transform_input_iterator_tIbNSD_35transform_pair_of_input_iterators_tIbNS6_6detail15normal_iteratorINS6_10device_ptrIKjEEEESL_NS6_8equal_toIjEEEENSG_9not_fun_tINSD_8identityEEEEENSD_19counting_iterator_tIlEES8_S8_S8_S8_S8_S8_S8_S8_EEEEPS9_S9_NSD_9__find_if7functorIS9_EEEE10hipError_tPvRmT1_T2_T3_mT4_P12ihipStream_tbEUlT_E0_NS1_11comp_targetILNS1_3genE8ELNS1_11target_archE1030ELNS1_3gpuE2ELNS1_3repE0EEENS1_30default_config_static_selectorELNS0_4arch9wavefront6targetE0EEEvS14_
	.p2align	8
	.type	_ZN7rocprim17ROCPRIM_400000_NS6detail17trampoline_kernelINS0_14default_configENS1_22reduce_config_selectorIN6thrust23THRUST_200600_302600_NS5tupleIblNS6_9null_typeES8_S8_S8_S8_S8_S8_S8_EEEEZNS1_11reduce_implILb1ES3_NS6_12zip_iteratorINS7_INS6_11hip_rocprim26transform_input_iterator_tIbNSD_35transform_pair_of_input_iterators_tIbNS6_6detail15normal_iteratorINS6_10device_ptrIKjEEEESL_NS6_8equal_toIjEEEENSG_9not_fun_tINSD_8identityEEEEENSD_19counting_iterator_tIlEES8_S8_S8_S8_S8_S8_S8_S8_EEEEPS9_S9_NSD_9__find_if7functorIS9_EEEE10hipError_tPvRmT1_T2_T3_mT4_P12ihipStream_tbEUlT_E0_NS1_11comp_targetILNS1_3genE8ELNS1_11target_archE1030ELNS1_3gpuE2ELNS1_3repE0EEENS1_30default_config_static_selectorELNS0_4arch9wavefront6targetE0EEEvS14_,@function
_ZN7rocprim17ROCPRIM_400000_NS6detail17trampoline_kernelINS0_14default_configENS1_22reduce_config_selectorIN6thrust23THRUST_200600_302600_NS5tupleIblNS6_9null_typeES8_S8_S8_S8_S8_S8_S8_EEEEZNS1_11reduce_implILb1ES3_NS6_12zip_iteratorINS7_INS6_11hip_rocprim26transform_input_iterator_tIbNSD_35transform_pair_of_input_iterators_tIbNS6_6detail15normal_iteratorINS6_10device_ptrIKjEEEESL_NS6_8equal_toIjEEEENSG_9not_fun_tINSD_8identityEEEEENSD_19counting_iterator_tIlEES8_S8_S8_S8_S8_S8_S8_S8_EEEEPS9_S9_NSD_9__find_if7functorIS9_EEEE10hipError_tPvRmT1_T2_T3_mT4_P12ihipStream_tbEUlT_E0_NS1_11comp_targetILNS1_3genE8ELNS1_11target_archE1030ELNS1_3gpuE2ELNS1_3repE0EEENS1_30default_config_static_selectorELNS0_4arch9wavefront6targetE0EEEvS14_: ; @_ZN7rocprim17ROCPRIM_400000_NS6detail17trampoline_kernelINS0_14default_configENS1_22reduce_config_selectorIN6thrust23THRUST_200600_302600_NS5tupleIblNS6_9null_typeES8_S8_S8_S8_S8_S8_S8_EEEEZNS1_11reduce_implILb1ES3_NS6_12zip_iteratorINS7_INS6_11hip_rocprim26transform_input_iterator_tIbNSD_35transform_pair_of_input_iterators_tIbNS6_6detail15normal_iteratorINS6_10device_ptrIKjEEEESL_NS6_8equal_toIjEEEENSG_9not_fun_tINSD_8identityEEEEENSD_19counting_iterator_tIlEES8_S8_S8_S8_S8_S8_S8_S8_EEEEPS9_S9_NSD_9__find_if7functorIS9_EEEE10hipError_tPvRmT1_T2_T3_mT4_P12ihipStream_tbEUlT_E0_NS1_11comp_targetILNS1_3genE8ELNS1_11target_archE1030ELNS1_3gpuE2ELNS1_3repE0EEENS1_30default_config_static_selectorELNS0_4arch9wavefront6targetE0EEEvS14_
; %bb.0:
	s_clause 0x2
	s_load_dwordx8 s[8:15], s[4:5], 0x20
	s_load_dwordx4 s[0:3], s[4:5], 0x0
	s_load_dwordx4 s[16:19], s[4:5], 0x40
	s_mov_b32 s23, 0
	v_lshlrev_b32_e32 v9, 2, v0
	v_mbcnt_lo_u32_b32 v7, -1, 0
	s_mov_b32 s7, s23
	s_waitcnt lgkmcnt(0)
	s_lshl_b64 s[20:21], s[10:11], 2
	s_add_u32 s26, s0, s20
	s_addc_u32 s27, s1, s21
	s_add_u32 s20, s2, s20
	s_addc_u32 s21, s3, s21
	s_lshl_b32 s22, s6, 9
	s_lshr_b64 s[24:25], s[12:13], 9
	s_lshl_b64 s[0:1], s[22:23], 2
	s_add_u32 s2, s26, s0
	s_addc_u32 s3, s27, s1
	s_add_u32 s20, s20, s0
	s_addc_u32 s21, s21, s1
	;; [unrolled: 2-line block ×4, first 2 shown]
	s_cmp_lg_u64 s[24:25], s[6:7]
	s_cbranch_scc0 .LBB212_18
; %bb.1:
	s_clause 0x3
	global_load_dword v1, v9, s[2:3]
	global_load_dword v2, v9, s[20:21]
	global_load_dword v3, v9, s[20:21] offset:1024
	global_load_dword v4, v9, s[2:3] offset:1024
	v_add_co_u32 v5, s0, s10, v0
	v_add_co_ci_u32_e64 v6, null, s11, 0, s0
	v_add_co_u32 v8, vcc_lo, 0x100, v5
	v_add_co_ci_u32_e64 v10, null, 0, v6, vcc_lo
	s_waitcnt vmcnt(2)
	v_cmp_ne_u32_e32 vcc_lo, v1, v2
	s_waitcnt vmcnt(0)
	v_cmp_ne_u32_e64 s0, v4, v3
	v_cndmask_b32_e32 v2, v10, v6, vcc_lo
	v_cndmask_b32_e32 v1, v8, v5, vcc_lo
	s_or_b32 s0, vcc_lo, s0
	v_cndmask_b32_e64 v5, 0, 1, s0
	v_mov_b32_dpp v4, v2 quad_perm:[1,0,3,2] row_mask:0xf bank_mask:0xf
	v_mov_b32_dpp v3, v1 quad_perm:[1,0,3,2] row_mask:0xf bank_mask:0xf
	;; [unrolled: 1-line block ×3, first 2 shown]
	v_cmp_lt_i64_e32 vcc_lo, v[1:2], v[3:4]
	v_and_b32_e32 v6, 1, v6
	s_and_b32 vcc_lo, s0, vcc_lo
	v_cndmask_b32_e32 v3, v3, v1, vcc_lo
	v_cndmask_b32_e32 v4, v4, v2, vcc_lo
	v_cmp_eq_u32_e32 vcc_lo, 1, v6
	v_cndmask_b32_e32 v2, v2, v4, vcc_lo
	v_cndmask_b32_e32 v1, v1, v3, vcc_lo
	v_cndmask_b32_e64 v5, v5, 1, vcc_lo
	v_mov_b32_dpp v4, v2 quad_perm:[2,3,0,1] row_mask:0xf bank_mask:0xf
	v_mov_b32_dpp v3, v1 quad_perm:[2,3,0,1] row_mask:0xf bank_mask:0xf
	v_and_b32_e32 v8, 1, v5
	v_mov_b32_dpp v6, v5 quad_perm:[2,3,0,1] row_mask:0xf bank_mask:0xf
	v_cmp_lt_i64_e32 vcc_lo, v[1:2], v[3:4]
	v_cmp_eq_u32_e64 s0, 1, v8
	v_and_b32_e32 v6, 1, v6
	s_and_b32 vcc_lo, s0, vcc_lo
	v_cmp_eq_u32_e64 s1, 1, v6
	v_cndmask_b32_e32 v3, v3, v1, vcc_lo
	v_cndmask_b32_e32 v4, v4, v2, vcc_lo
	v_cndmask_b32_e64 v5, v5, 1, s1
	v_cndmask_b32_e64 v1, v1, v3, s1
	;; [unrolled: 1-line block ×3, first 2 shown]
	v_and_b32_e32 v8, 1, v5
	v_mov_b32_dpp v3, v1 row_ror:4 row_mask:0xf bank_mask:0xf
	v_mov_b32_dpp v4, v2 row_ror:4 row_mask:0xf bank_mask:0xf
	;; [unrolled: 1-line block ×3, first 2 shown]
	v_cmp_eq_u32_e64 s0, 1, v8
	v_cmp_lt_i64_e32 vcc_lo, v[1:2], v[3:4]
	v_and_b32_e32 v6, 1, v6
	s_and_b32 vcc_lo, s0, vcc_lo
	v_cmp_eq_u32_e64 s1, 1, v6
	v_cndmask_b32_e32 v3, v3, v1, vcc_lo
	v_cndmask_b32_e32 v4, v4, v2, vcc_lo
	v_cndmask_b32_e64 v5, v5, 1, s1
	v_cndmask_b32_e64 v1, v1, v3, s1
	;; [unrolled: 1-line block ×3, first 2 shown]
	v_and_b32_e32 v8, 1, v5
	v_mov_b32_dpp v3, v1 row_ror:8 row_mask:0xf bank_mask:0xf
	v_mov_b32_dpp v4, v2 row_ror:8 row_mask:0xf bank_mask:0xf
	;; [unrolled: 1-line block ×3, first 2 shown]
	v_cmp_eq_u32_e64 s0, 1, v8
	v_cmp_lt_i64_e32 vcc_lo, v[1:2], v[3:4]
	v_and_b32_e32 v6, 1, v6
	s_and_b32 vcc_lo, s0, vcc_lo
	v_cmp_eq_u32_e64 s1, 1, v6
	v_cndmask_b32_e32 v3, v3, v1, vcc_lo
	v_cndmask_b32_e32 v4, v4, v2, vcc_lo
	v_cndmask_b32_e64 v5, v5, 1, s1
	v_cndmask_b32_e64 v1, v1, v3, s1
	v_cndmask_b32_e64 v2, v2, v4, s1
	ds_swizzle_b32 v6, v5 offset:swizzle(BROADCAST,32,15)
	ds_swizzle_b32 v3, v1 offset:swizzle(BROADCAST,32,15)
	;; [unrolled: 1-line block ×3, first 2 shown]
	v_and_b32_e32 v8, 1, v5
	v_cmp_eq_u32_e64 s0, 1, v8
	s_waitcnt lgkmcnt(2)
	v_and_b32_e32 v6, 1, v6
	s_waitcnt lgkmcnt(0)
	v_cmp_lt_i64_e32 vcc_lo, v[1:2], v[3:4]
	v_cmp_eq_u32_e64 s1, 1, v6
	v_mov_b32_e32 v6, 0
	s_and_b32 vcc_lo, s0, vcc_lo
	s_mov_b32 s0, exec_lo
	v_cndmask_b32_e32 v3, v3, v1, vcc_lo
	v_cndmask_b32_e32 v4, v4, v2, vcc_lo
	v_cndmask_b32_e64 v5, v5, 1, s1
	v_cndmask_b32_e64 v1, v1, v3, s1
	v_cndmask_b32_e64 v2, v2, v4, s1
	ds_bpermute_b32 v8, v6, v5 offset:124
	ds_bpermute_b32 v1, v6, v1 offset:124
	;; [unrolled: 1-line block ×3, first 2 shown]
	v_cmpx_eq_u32_e32 0, v7
	s_cbranch_execz .LBB212_3
; %bb.2:
	v_lshrrev_b32_e32 v3, 1, v0
	v_and_b32_e32 v3, 0x70, v3
	s_waitcnt lgkmcnt(2)
	ds_write_b8 v3, v8
	s_waitcnt lgkmcnt(1)
	ds_write_b64 v3, v[1:2] offset:8
.LBB212_3:
	s_or_b32 exec_lo, exec_lo, s0
	s_mov_b32 s0, exec_lo
	s_waitcnt lgkmcnt(0)
	s_barrier
	buffer_gl0_inv
	v_cmpx_gt_u32_e32 32, v0
	s_cbranch_execz .LBB212_17
; %bb.4:
	v_and_b32_e32 v8, 7, v7
	v_lshlrev_b32_e32 v1, 4, v8
	v_cmp_ne_u32_e32 vcc_lo, 7, v8
	ds_read_u8 v11, v1
	ds_read_b64 v[3:4], v1 offset:8
	v_add_co_ci_u32_e64 v2, null, 0, v7, vcc_lo
	v_lshlrev_b32_e32 v2, 2, v2
	s_waitcnt lgkmcnt(1)
	v_and_b32_e32 v1, 0xff, v11
	s_waitcnt lgkmcnt(0)
	ds_bpermute_b32 v5, v2, v3
	ds_bpermute_b32 v6, v2, v4
	;; [unrolled: 1-line block ×3, first 2 shown]
	s_waitcnt lgkmcnt(0)
	v_and_b32_e32 v1, v11, v12
	v_and_b32_e32 v1, 1, v1
	v_cmp_eq_u32_e32 vcc_lo, 1, v1
                                        ; implicit-def: $vgpr1_vgpr2
	s_and_saveexec_b32 s1, vcc_lo
	s_xor_b32 s1, exec_lo, s1
; %bb.5:
	v_cmp_lt_i64_e32 vcc_lo, v[5:6], v[3:4]
                                        ; implicit-def: $vgpr11
                                        ; implicit-def: $vgpr12
	v_cndmask_b32_e32 v2, v4, v6, vcc_lo
	v_cndmask_b32_e32 v1, v3, v5, vcc_lo
                                        ; implicit-def: $vgpr5_vgpr6
                                        ; implicit-def: $vgpr3_vgpr4
; %bb.6:
	s_or_saveexec_b32 s1, s1
	v_mov_b32_e32 v10, 1
	s_xor_b32 exec_lo, exec_lo, s1
; %bb.7:
	v_and_b32_e32 v1, 1, v11
	v_and_b32_e32 v10, 0xff, v12
	v_cmp_eq_u32_e32 vcc_lo, 1, v1
	v_cndmask_b32_e32 v2, v6, v4, vcc_lo
	v_cndmask_b32_e32 v1, v5, v3, vcc_lo
	v_cndmask_b32_e64 v10, v10, 1, vcc_lo
; %bb.8:
	s_or_b32 exec_lo, exec_lo, s1
	v_cmp_gt_u32_e32 vcc_lo, 6, v8
	v_cndmask_b32_e64 v3, 0, 2, vcc_lo
	v_add_lshl_u32 v3, v3, v7, 2
	ds_bpermute_b32 v8, v3, v10
	ds_bpermute_b32 v5, v3, v1
	;; [unrolled: 1-line block ×3, first 2 shown]
	s_waitcnt lgkmcnt(2)
	v_and_b32_e32 v3, v10, v8
	v_and_b32_e32 v3, 1, v3
	v_cmp_eq_u32_e32 vcc_lo, 1, v3
                                        ; implicit-def: $vgpr3_vgpr4
	s_and_saveexec_b32 s1, vcc_lo
	s_xor_b32 s1, exec_lo, s1
	s_cbranch_execz .LBB212_10
; %bb.9:
	s_waitcnt lgkmcnt(0)
	v_cmp_lt_i64_e32 vcc_lo, v[5:6], v[1:2]
                                        ; implicit-def: $vgpr10
                                        ; implicit-def: $vgpr8
	v_cndmask_b32_e32 v4, v2, v6, vcc_lo
	v_cndmask_b32_e32 v3, v1, v5, vcc_lo
                                        ; implicit-def: $vgpr5_vgpr6
                                        ; implicit-def: $vgpr1_vgpr2
.LBB212_10:
	s_or_saveexec_b32 s1, s1
	v_lshlrev_b32_e32 v12, 2, v7
	v_mov_b32_e32 v11, 1
	s_xor_b32 exec_lo, exec_lo, s1
	s_cbranch_execz .LBB212_12
; %bb.11:
	v_and_b32_e32 v3, 1, v10
	v_and_b32_e32 v8, 0xff, v8
	v_cmp_eq_u32_e32 vcc_lo, 1, v3
	s_waitcnt lgkmcnt(0)
	v_cndmask_b32_e32 v4, v6, v2, vcc_lo
	v_cndmask_b32_e32 v3, v5, v1, vcc_lo
	v_cndmask_b32_e64 v11, v8, 1, vcc_lo
.LBB212_12:
	s_or_b32 exec_lo, exec_lo, s1
	v_or_b32_e32 v1, 16, v12
	ds_bpermute_b32 v10, v1, v11
	s_waitcnt lgkmcnt(2)
	ds_bpermute_b32 v5, v1, v3
	s_waitcnt lgkmcnt(2)
	;; [unrolled: 2-line block ×3, first 2 shown]
	v_and_b32_e32 v1, v11, v10
	v_and_b32_e32 v1, 1, v1
	v_cmp_eq_u32_e32 vcc_lo, 1, v1
                                        ; implicit-def: $vgpr1_vgpr2
	s_and_saveexec_b32 s1, vcc_lo
	s_xor_b32 s1, exec_lo, s1
	s_cbranch_execz .LBB212_14
; %bb.13:
	s_waitcnt lgkmcnt(0)
	v_cmp_lt_i64_e32 vcc_lo, v[5:6], v[3:4]
                                        ; implicit-def: $vgpr11
                                        ; implicit-def: $vgpr10
	v_cndmask_b32_e32 v2, v4, v6, vcc_lo
	v_cndmask_b32_e32 v1, v3, v5, vcc_lo
                                        ; implicit-def: $vgpr5_vgpr6
                                        ; implicit-def: $vgpr3_vgpr4
.LBB212_14:
	s_or_saveexec_b32 s1, s1
	v_mov_b32_e32 v8, 1
	s_xor_b32 exec_lo, exec_lo, s1
	s_cbranch_execz .LBB212_16
; %bb.15:
	v_and_b32_e32 v1, 1, v11
	v_cmp_eq_u32_e32 vcc_lo, 1, v1
	s_waitcnt lgkmcnt(0)
	v_cndmask_b32_e32 v2, v6, v4, vcc_lo
	v_cndmask_b32_e32 v1, v5, v3, vcc_lo
	v_cndmask_b32_e64 v8, v10, 1, vcc_lo
.LBB212_16:
	s_or_b32 exec_lo, exec_lo, s1
.LBB212_17:
	s_or_b32 exec_lo, exec_lo, s0
	s_load_dwordx2 s[8:9], s[4:5], 0x58
	s_branch .LBB212_76
.LBB212_18:
                                        ; implicit-def: $vgpr1_vgpr2
                                        ; implicit-def: $vgpr8
	s_load_dwordx2 s[8:9], s[4:5], 0x58
	s_cbranch_execz .LBB212_76
; %bb.19:
	v_mov_b32_e32 v3, 0
	v_mov_b32_e32 v1, 0
	s_waitcnt lgkmcnt(0)
	v_mov_b32_e32 v5, 0
	v_mov_b32_e32 v4, 0
	;; [unrolled: 1-line block ×4, first 2 shown]
	s_sub_i32 s22, s12, s22
	s_mov_b32 s0, exec_lo
	v_cmpx_gt_u32_e64 s22, v0
	s_cbranch_execz .LBB212_21
; %bb.20:
	s_clause 0x1
	global_load_dword v6, v9, s[2:3]
	global_load_dword v8, v9, s[20:21]
	v_add_co_u32 v1, s1, s10, v0
	v_add_co_ci_u32_e64 v2, null, s11, 0, s1
	s_waitcnt vmcnt(0)
	v_cmp_ne_u32_e32 vcc_lo, v6, v8
	v_cndmask_b32_e64 v6, 0, 1, vcc_lo
.LBB212_21:
	s_or_b32 exec_lo, exec_lo, s0
	v_or_b32_e32 v8, 0x100, v0
	v_cmp_gt_u32_e32 vcc_lo, s22, v8
	s_and_saveexec_b32 s1, vcc_lo
	s_cbranch_execz .LBB212_23
; %bb.22:
	s_clause 0x1
	global_load_dword v5, v9, s[2:3] offset:1024
	global_load_dword v9, v9, s[20:21] offset:1024
	v_add_co_u32 v3, s0, s10, v8
	v_add_co_ci_u32_e64 v4, null, s11, 0, s0
	s_waitcnt vmcnt(0)
	v_cmp_ne_u32_e64 s0, v5, v9
	v_cndmask_b32_e64 v5, 0, 1, s0
.LBB212_23:
	s_or_b32 exec_lo, exec_lo, s1
	v_and_b32_e32 v8, 1, v5
	v_cmp_lt_i64_e64 s0, v[3:4], v[1:2]
	v_and_b32_e32 v9, 1, v6
	v_and_b32_e32 v5, 0xffff, v5
	;; [unrolled: 1-line block ×3, first 2 shown]
	v_cmp_eq_u32_e64 s1, 1, v8
	v_cmp_eq_u32_e64 s2, 1, v9
	s_and_b32 s0, s1, s0
	s_mov_b32 s1, exec_lo
	v_cndmask_b32_e64 v8, v2, v4, s0
	v_cndmask_b32_e64 v9, v1, v3, s0
	v_cmp_ne_u32_e64 s0, 31, v7
	v_cndmask_b32_e64 v5, v5, 1, s2
	v_cndmask_b32_e64 v4, v4, v8, s2
	;; [unrolled: 1-line block ×3, first 2 shown]
	v_add_co_ci_u32_e64 v10, null, 0, v7, s0
	v_cndmask_b32_e32 v8, v6, v5, vcc_lo
	v_cndmask_b32_e32 v2, v2, v4, vcc_lo
	;; [unrolled: 1-line block ×3, first 2 shown]
	v_lshlrev_b32_e32 v9, 2, v10
	v_and_b32_e32 v5, 0xe0, v0
	s_min_u32 s0, s22, 0x100
	ds_bpermute_b32 v6, v9, v8
	ds_bpermute_b32 v3, v9, v1
	;; [unrolled: 1-line block ×3, first 2 shown]
	v_sub_nc_u32_e64 v5, s0, v5 clamp
	v_add_nc_u32_e32 v9, 1, v7
	v_cmpx_lt_u32_e64 v9, v5
	s_cbranch_execz .LBB212_29
; %bb.24:
	s_waitcnt lgkmcnt(2)
	v_and_b32_e32 v9, v8, v6
	s_mov_b32 s2, exec_lo
	v_cmpx_ne_u32_e32 0, v9
	s_xor_b32 s2, exec_lo, s2
	s_cbranch_execz .LBB212_26
; %bb.25:
	s_waitcnt lgkmcnt(0)
	v_cmp_lt_i64_e32 vcc_lo, v[3:4], v[1:2]
                                        ; implicit-def: $vgpr8
                                        ; implicit-def: $vgpr6
	v_cndmask_b32_e32 v2, v2, v4, vcc_lo
	v_cndmask_b32_e32 v1, v1, v3, vcc_lo
                                        ; implicit-def: $vgpr3_vgpr4
.LBB212_26:
	s_or_saveexec_b32 s2, s2
	v_mov_b32_e32 v9, 1
	s_xor_b32 exec_lo, exec_lo, s2
	s_cbranch_execz .LBB212_28
; %bb.27:
	v_and_b32_e32 v8, 1, v8
	v_and_b32_e32 v6, 0xff, v6
	v_cmp_eq_u32_e32 vcc_lo, 1, v8
	s_waitcnt lgkmcnt(0)
	v_cndmask_b32_e32 v2, v4, v2, vcc_lo
	v_cndmask_b32_e32 v1, v3, v1, vcc_lo
	v_cndmask_b32_e64 v9, v6, 1, vcc_lo
.LBB212_28:
	s_or_b32 exec_lo, exec_lo, s2
	v_mov_b32_e32 v8, v9
.LBB212_29:
	s_or_b32 exec_lo, exec_lo, s1
	v_cmp_gt_u32_e32 vcc_lo, 30, v7
	v_add_nc_u32_e32 v9, 2, v7
	s_mov_b32 s1, exec_lo
	s_waitcnt lgkmcnt(1)
	v_cndmask_b32_e64 v3, 0, 2, vcc_lo
	s_waitcnt lgkmcnt(0)
	v_add_lshl_u32 v4, v3, v7, 2
	ds_bpermute_b32 v6, v4, v8
	ds_bpermute_b32 v3, v4, v1
	ds_bpermute_b32 v4, v4, v2
	v_cmpx_lt_u32_e64 v9, v5
	s_cbranch_execz .LBB212_35
; %bb.30:
	s_waitcnt lgkmcnt(2)
	v_and_b32_e32 v9, v8, v6
	s_mov_b32 s2, exec_lo
	v_and_b32_e32 v9, 1, v9
	v_cmpx_eq_u32_e32 1, v9
	s_xor_b32 s2, exec_lo, s2
	s_cbranch_execz .LBB212_32
; %bb.31:
	s_waitcnt lgkmcnt(0)
	v_cmp_lt_i64_e32 vcc_lo, v[3:4], v[1:2]
                                        ; implicit-def: $vgpr8
                                        ; implicit-def: $vgpr6
	v_cndmask_b32_e32 v2, v2, v4, vcc_lo
	v_cndmask_b32_e32 v1, v1, v3, vcc_lo
                                        ; implicit-def: $vgpr3_vgpr4
.LBB212_32:
	s_or_saveexec_b32 s2, s2
	v_mov_b32_e32 v9, 1
	s_xor_b32 exec_lo, exec_lo, s2
	s_cbranch_execz .LBB212_34
; %bb.33:
	v_and_b32_e32 v8, 1, v8
	v_and_b32_e32 v6, 0xff, v6
	v_cmp_eq_u32_e32 vcc_lo, 1, v8
	s_waitcnt lgkmcnt(0)
	v_cndmask_b32_e32 v2, v4, v2, vcc_lo
	v_cndmask_b32_e32 v1, v3, v1, vcc_lo
	v_cndmask_b32_e64 v9, v6, 1, vcc_lo
.LBB212_34:
	s_or_b32 exec_lo, exec_lo, s2
	v_mov_b32_e32 v8, v9
.LBB212_35:
	s_or_b32 exec_lo, exec_lo, s1
	v_cmp_gt_u32_e32 vcc_lo, 28, v7
	v_add_nc_u32_e32 v9, 4, v7
	s_mov_b32 s1, exec_lo
	s_waitcnt lgkmcnt(1)
	v_cndmask_b32_e64 v3, 0, 4, vcc_lo
	s_waitcnt lgkmcnt(0)
	v_add_lshl_u32 v4, v3, v7, 2
	ds_bpermute_b32 v6, v4, v8
	ds_bpermute_b32 v3, v4, v1
	ds_bpermute_b32 v4, v4, v2
	v_cmpx_lt_u32_e64 v9, v5
	s_cbranch_execz .LBB212_41
; %bb.36:
	s_waitcnt lgkmcnt(2)
	v_and_b32_e32 v9, v8, v6
	s_mov_b32 s2, exec_lo
	v_and_b32_e32 v9, 1, v9
	v_cmpx_eq_u32_e32 1, v9
	s_xor_b32 s2, exec_lo, s2
	s_cbranch_execz .LBB212_38
; %bb.37:
	s_waitcnt lgkmcnt(0)
	v_cmp_lt_i64_e32 vcc_lo, v[3:4], v[1:2]
                                        ; implicit-def: $vgpr8
                                        ; implicit-def: $vgpr6
	v_cndmask_b32_e32 v2, v2, v4, vcc_lo
	v_cndmask_b32_e32 v1, v1, v3, vcc_lo
                                        ; implicit-def: $vgpr3_vgpr4
.LBB212_38:
	s_or_saveexec_b32 s2, s2
	v_mov_b32_e32 v9, 1
	s_xor_b32 exec_lo, exec_lo, s2
	s_cbranch_execz .LBB212_40
; %bb.39:
	v_and_b32_e32 v8, 1, v8
	v_and_b32_e32 v6, 0xff, v6
	v_cmp_eq_u32_e32 vcc_lo, 1, v8
	s_waitcnt lgkmcnt(0)
	v_cndmask_b32_e32 v2, v4, v2, vcc_lo
	v_cndmask_b32_e32 v1, v3, v1, vcc_lo
	v_cndmask_b32_e64 v9, v6, 1, vcc_lo
.LBB212_40:
	s_or_b32 exec_lo, exec_lo, s2
	v_mov_b32_e32 v8, v9
.LBB212_41:
	;; [unrolled: 46-line block ×3, first 2 shown]
	s_or_b32 exec_lo, exec_lo, s1
	s_waitcnt lgkmcnt(2)
	v_lshlrev_b32_e32 v6, 2, v7
	v_add_nc_u32_e32 v10, 16, v7
	s_waitcnt lgkmcnt(0)
	v_or_b32_e32 v4, 64, v6
	v_cmp_lt_u32_e32 vcc_lo, v10, v5
	v_mov_b32_e32 v5, v8
	ds_bpermute_b32 v9, v4, v8
	ds_bpermute_b32 v3, v4, v1
	;; [unrolled: 1-line block ×3, first 2 shown]
	s_and_saveexec_b32 s1, vcc_lo
	s_cbranch_execz .LBB212_53
; %bb.48:
	s_waitcnt lgkmcnt(2)
	v_and_b32_e32 v5, v8, v9
	s_mov_b32 s2, exec_lo
	v_and_b32_e32 v5, 1, v5
	v_cmpx_eq_u32_e32 1, v5
	s_xor_b32 s2, exec_lo, s2
	s_cbranch_execz .LBB212_50
; %bb.49:
	s_waitcnt lgkmcnt(0)
	v_cmp_lt_i64_e32 vcc_lo, v[3:4], v[1:2]
                                        ; implicit-def: $vgpr8
                                        ; implicit-def: $vgpr9
	v_cndmask_b32_e32 v2, v2, v4, vcc_lo
	v_cndmask_b32_e32 v1, v1, v3, vcc_lo
                                        ; implicit-def: $vgpr3_vgpr4
.LBB212_50:
	s_or_saveexec_b32 s2, s2
	v_mov_b32_e32 v5, 1
	s_xor_b32 exec_lo, exec_lo, s2
	s_cbranch_execz .LBB212_52
; %bb.51:
	v_and_b32_e32 v5, 1, v8
	v_cmp_eq_u32_e32 vcc_lo, 1, v5
	v_cndmask_b32_e64 v5, v9, 1, vcc_lo
	s_waitcnt lgkmcnt(0)
	v_cndmask_b32_e32 v2, v4, v2, vcc_lo
	v_cndmask_b32_e32 v1, v3, v1, vcc_lo
.LBB212_52:
	s_or_b32 exec_lo, exec_lo, s2
	v_and_b32_e32 v8, 0xff, v5
.LBB212_53:
	s_or_b32 exec_lo, exec_lo, s1
	s_mov_b32 s1, exec_lo
	v_cmpx_eq_u32_e32 0, v7
	s_cbranch_execz .LBB212_55
; %bb.54:
	s_waitcnt lgkmcnt(1)
	v_lshrrev_b32_e32 v3, 1, v0
	v_and_b32_e32 v3, 0x70, v3
	ds_write_b8 v3, v5 offset:128
	ds_write_b64 v3, v[1:2] offset:136
.LBB212_55:
	s_or_b32 exec_lo, exec_lo, s1
	s_mov_b32 s1, exec_lo
	s_waitcnt lgkmcnt(0)
	s_barrier
	buffer_gl0_inv
	v_cmpx_gt_u32_e32 8, v0
	s_cbranch_execz .LBB212_75
; %bb.56:
	v_lshlrev_b32_e32 v1, 4, v7
	v_and_b32_e32 v5, 7, v7
	s_add_i32 s0, s0, 31
	s_mov_b32 s2, exec_lo
	s_lshr_b32 s0, s0, 5
	ds_read_u8 v9, v1 offset:128
	ds_read_b64 v[1:2], v1 offset:136
	v_cmp_ne_u32_e32 vcc_lo, 7, v5
	v_add_nc_u32_e32 v11, 1, v5
	v_add_co_ci_u32_e64 v3, null, 0, v7, vcc_lo
	v_lshlrev_b32_e32 v4, 2, v3
	s_waitcnt lgkmcnt(1)
	v_and_b32_e32 v8, 0xff, v9
	s_waitcnt lgkmcnt(0)
	ds_bpermute_b32 v3, v4, v1
	ds_bpermute_b32 v10, v4, v8
	;; [unrolled: 1-line block ×3, first 2 shown]
	v_cmpx_gt_u32_e64 s0, v11
	s_cbranch_execz .LBB212_62
; %bb.57:
	s_waitcnt lgkmcnt(1)
	v_and_b32_e32 v8, v8, v10
	s_mov_b32 s3, exec_lo
	v_and_b32_e32 v8, 1, v8
	v_cmpx_eq_u32_e32 1, v8
	s_xor_b32 s3, exec_lo, s3
	s_cbranch_execz .LBB212_59
; %bb.58:
	s_waitcnt lgkmcnt(0)
	v_cmp_lt_i64_e32 vcc_lo, v[3:4], v[1:2]
                                        ; implicit-def: $vgpr9
                                        ; implicit-def: $vgpr10
	v_cndmask_b32_e32 v2, v2, v4, vcc_lo
	v_cndmask_b32_e32 v1, v1, v3, vcc_lo
                                        ; implicit-def: $vgpr3_vgpr4
.LBB212_59:
	s_or_saveexec_b32 s3, s3
	v_mov_b32_e32 v8, 1
	s_xor_b32 exec_lo, exec_lo, s3
	s_cbranch_execz .LBB212_61
; %bb.60:
	v_and_b32_e32 v8, 1, v9
	v_cmp_eq_u32_e32 vcc_lo, 1, v8
	v_and_b32_e32 v8, 0xff, v10
	s_waitcnt lgkmcnt(0)
	v_cndmask_b32_e32 v2, v4, v2, vcc_lo
	v_cndmask_b32_e32 v1, v3, v1, vcc_lo
	v_cndmask_b32_e64 v8, v8, 1, vcc_lo
.LBB212_61:
	s_or_b32 exec_lo, exec_lo, s3
.LBB212_62:
	s_or_b32 exec_lo, exec_lo, s2
	v_cmp_gt_u32_e32 vcc_lo, 6, v5
	v_add_nc_u32_e32 v9, 2, v5
	s_mov_b32 s2, exec_lo
	s_waitcnt lgkmcnt(2)
	v_cndmask_b32_e64 v3, 0, 2, vcc_lo
	s_waitcnt lgkmcnt(0)
	v_add_lshl_u32 v4, v3, v7, 2
	ds_bpermute_b32 v7, v4, v8
	ds_bpermute_b32 v3, v4, v1
	;; [unrolled: 1-line block ×3, first 2 shown]
	v_cmpx_gt_u32_e64 s0, v9
	s_cbranch_execz .LBB212_68
; %bb.63:
	s_waitcnt lgkmcnt(2)
	v_and_b32_e32 v9, v8, v7
	s_mov_b32 s3, exec_lo
	v_and_b32_e32 v9, 1, v9
	v_cmpx_eq_u32_e32 1, v9
	s_xor_b32 s3, exec_lo, s3
	s_cbranch_execz .LBB212_65
; %bb.64:
	s_waitcnt lgkmcnt(0)
	v_cmp_lt_i64_e32 vcc_lo, v[3:4], v[1:2]
                                        ; implicit-def: $vgpr8
                                        ; implicit-def: $vgpr7
	v_cndmask_b32_e32 v2, v2, v4, vcc_lo
	v_cndmask_b32_e32 v1, v1, v3, vcc_lo
                                        ; implicit-def: $vgpr3_vgpr4
.LBB212_65:
	s_or_saveexec_b32 s3, s3
	v_mov_b32_e32 v9, 1
	s_xor_b32 exec_lo, exec_lo, s3
	s_cbranch_execz .LBB212_67
; %bb.66:
	v_and_b32_e32 v8, 1, v8
	v_and_b32_e32 v7, 0xff, v7
	v_cmp_eq_u32_e32 vcc_lo, 1, v8
	s_waitcnt lgkmcnt(0)
	v_cndmask_b32_e32 v2, v4, v2, vcc_lo
	v_cndmask_b32_e32 v1, v3, v1, vcc_lo
	v_cndmask_b32_e64 v9, v7, 1, vcc_lo
.LBB212_67:
	s_or_b32 exec_lo, exec_lo, s3
	v_mov_b32_e32 v8, v9
.LBB212_68:
	s_or_b32 exec_lo, exec_lo, s2
	s_waitcnt lgkmcnt(0)
	v_or_b32_e32 v4, 16, v6
	v_add_nc_u32_e32 v5, 4, v5
	ds_bpermute_b32 v6, v4, v8
	ds_bpermute_b32 v3, v4, v1
	;; [unrolled: 1-line block ×3, first 2 shown]
	v_cmp_gt_u32_e32 vcc_lo, s0, v5
	s_and_saveexec_b32 s0, vcc_lo
	s_cbranch_execz .LBB212_74
; %bb.69:
	s_waitcnt lgkmcnt(2)
	v_and_b32_e32 v5, v8, v6
	s_mov_b32 s2, exec_lo
	v_and_b32_e32 v5, 1, v5
	v_cmpx_eq_u32_e32 1, v5
	s_xor_b32 s2, exec_lo, s2
	s_cbranch_execz .LBB212_71
; %bb.70:
	s_waitcnt lgkmcnt(0)
	v_cmp_lt_i64_e32 vcc_lo, v[3:4], v[1:2]
                                        ; implicit-def: $vgpr8
                                        ; implicit-def: $vgpr6
	v_cndmask_b32_e32 v2, v2, v4, vcc_lo
	v_cndmask_b32_e32 v1, v1, v3, vcc_lo
                                        ; implicit-def: $vgpr3_vgpr4
.LBB212_71:
	s_or_saveexec_b32 s2, s2
	v_mov_b32_e32 v5, 1
	s_xor_b32 exec_lo, exec_lo, s2
	s_cbranch_execz .LBB212_73
; %bb.72:
	v_and_b32_e32 v5, 1, v8
	v_cmp_eq_u32_e32 vcc_lo, 1, v5
	s_waitcnt lgkmcnt(0)
	v_cndmask_b32_e32 v2, v4, v2, vcc_lo
	v_cndmask_b32_e32 v1, v3, v1, vcc_lo
	v_cndmask_b32_e64 v5, v6, 1, vcc_lo
.LBB212_73:
	s_or_b32 exec_lo, exec_lo, s2
	v_mov_b32_e32 v8, v5
.LBB212_74:
	s_or_b32 exec_lo, exec_lo, s0
.LBB212_75:
	s_or_b32 exec_lo, exec_lo, s1
.LBB212_76:
	s_load_dword s0, s[4:5], 0x50
	s_mov_b32 s1, exec_lo
	v_cmpx_eq_u32_e32 0, v0
	s_cbranch_execz .LBB212_78
; %bb.77:
	s_mul_i32 s1, s18, s17
	s_mul_hi_u32 s2, s18, s16
	s_mul_i32 s3, s19, s16
	s_add_i32 s1, s2, s1
	s_mul_i32 s2, s18, s16
	s_add_i32 s3, s1, s3
	v_mov_b32_e32 v0, 0
	s_lshl_b64 s[2:3], s[2:3], 4
	s_add_u32 s1, s14, s2
	s_addc_u32 s4, s15, s3
	s_cmp_eq_u64 s[12:13], 0
	s_cselect_b32 s5, -1, 0
	s_lshl_b64 s[2:3], s[6:7], 4
	s_waitcnt lgkmcnt(0)
	v_cndmask_b32_e64 v3, v8, s0, s5
	v_cndmask_b32_e64 v2, v2, s9, s5
	;; [unrolled: 1-line block ×3, first 2 shown]
	s_add_u32 s0, s1, s2
	s_addc_u32 s1, s4, s3
	global_store_byte v0, v3, s[0:1]
	global_store_dwordx2 v0, v[1:2], s[0:1] offset:8
.LBB212_78:
	s_endpgm
	.section	.rodata,"a",@progbits
	.p2align	6, 0x0
	.amdhsa_kernel _ZN7rocprim17ROCPRIM_400000_NS6detail17trampoline_kernelINS0_14default_configENS1_22reduce_config_selectorIN6thrust23THRUST_200600_302600_NS5tupleIblNS6_9null_typeES8_S8_S8_S8_S8_S8_S8_EEEEZNS1_11reduce_implILb1ES3_NS6_12zip_iteratorINS7_INS6_11hip_rocprim26transform_input_iterator_tIbNSD_35transform_pair_of_input_iterators_tIbNS6_6detail15normal_iteratorINS6_10device_ptrIKjEEEESL_NS6_8equal_toIjEEEENSG_9not_fun_tINSD_8identityEEEEENSD_19counting_iterator_tIlEES8_S8_S8_S8_S8_S8_S8_S8_EEEEPS9_S9_NSD_9__find_if7functorIS9_EEEE10hipError_tPvRmT1_T2_T3_mT4_P12ihipStream_tbEUlT_E0_NS1_11comp_targetILNS1_3genE8ELNS1_11target_archE1030ELNS1_3gpuE2ELNS1_3repE0EEENS1_30default_config_static_selectorELNS0_4arch9wavefront6targetE0EEEvS14_
		.amdhsa_group_segment_fixed_size 256
		.amdhsa_private_segment_fixed_size 0
		.amdhsa_kernarg_size 104
		.amdhsa_user_sgpr_count 6
		.amdhsa_user_sgpr_private_segment_buffer 1
		.amdhsa_user_sgpr_dispatch_ptr 0
		.amdhsa_user_sgpr_queue_ptr 0
		.amdhsa_user_sgpr_kernarg_segment_ptr 1
		.amdhsa_user_sgpr_dispatch_id 0
		.amdhsa_user_sgpr_flat_scratch_init 0
		.amdhsa_user_sgpr_private_segment_size 0
		.amdhsa_wavefront_size32 1
		.amdhsa_uses_dynamic_stack 0
		.amdhsa_system_sgpr_private_segment_wavefront_offset 0
		.amdhsa_system_sgpr_workgroup_id_x 1
		.amdhsa_system_sgpr_workgroup_id_y 0
		.amdhsa_system_sgpr_workgroup_id_z 0
		.amdhsa_system_sgpr_workgroup_info 0
		.amdhsa_system_vgpr_workitem_id 0
		.amdhsa_next_free_vgpr 13
		.amdhsa_next_free_sgpr 28
		.amdhsa_reserve_vcc 1
		.amdhsa_reserve_flat_scratch 0
		.amdhsa_float_round_mode_32 0
		.amdhsa_float_round_mode_16_64 0
		.amdhsa_float_denorm_mode_32 3
		.amdhsa_float_denorm_mode_16_64 3
		.amdhsa_dx10_clamp 1
		.amdhsa_ieee_mode 1
		.amdhsa_fp16_overflow 0
		.amdhsa_workgroup_processor_mode 1
		.amdhsa_memory_ordered 1
		.amdhsa_forward_progress 1
		.amdhsa_shared_vgpr_count 0
		.amdhsa_exception_fp_ieee_invalid_op 0
		.amdhsa_exception_fp_denorm_src 0
		.amdhsa_exception_fp_ieee_div_zero 0
		.amdhsa_exception_fp_ieee_overflow 0
		.amdhsa_exception_fp_ieee_underflow 0
		.amdhsa_exception_fp_ieee_inexact 0
		.amdhsa_exception_int_div_zero 0
	.end_amdhsa_kernel
	.section	.text._ZN7rocprim17ROCPRIM_400000_NS6detail17trampoline_kernelINS0_14default_configENS1_22reduce_config_selectorIN6thrust23THRUST_200600_302600_NS5tupleIblNS6_9null_typeES8_S8_S8_S8_S8_S8_S8_EEEEZNS1_11reduce_implILb1ES3_NS6_12zip_iteratorINS7_INS6_11hip_rocprim26transform_input_iterator_tIbNSD_35transform_pair_of_input_iterators_tIbNS6_6detail15normal_iteratorINS6_10device_ptrIKjEEEESL_NS6_8equal_toIjEEEENSG_9not_fun_tINSD_8identityEEEEENSD_19counting_iterator_tIlEES8_S8_S8_S8_S8_S8_S8_S8_EEEEPS9_S9_NSD_9__find_if7functorIS9_EEEE10hipError_tPvRmT1_T2_T3_mT4_P12ihipStream_tbEUlT_E0_NS1_11comp_targetILNS1_3genE8ELNS1_11target_archE1030ELNS1_3gpuE2ELNS1_3repE0EEENS1_30default_config_static_selectorELNS0_4arch9wavefront6targetE0EEEvS14_,"axG",@progbits,_ZN7rocprim17ROCPRIM_400000_NS6detail17trampoline_kernelINS0_14default_configENS1_22reduce_config_selectorIN6thrust23THRUST_200600_302600_NS5tupleIblNS6_9null_typeES8_S8_S8_S8_S8_S8_S8_EEEEZNS1_11reduce_implILb1ES3_NS6_12zip_iteratorINS7_INS6_11hip_rocprim26transform_input_iterator_tIbNSD_35transform_pair_of_input_iterators_tIbNS6_6detail15normal_iteratorINS6_10device_ptrIKjEEEESL_NS6_8equal_toIjEEEENSG_9not_fun_tINSD_8identityEEEEENSD_19counting_iterator_tIlEES8_S8_S8_S8_S8_S8_S8_S8_EEEEPS9_S9_NSD_9__find_if7functorIS9_EEEE10hipError_tPvRmT1_T2_T3_mT4_P12ihipStream_tbEUlT_E0_NS1_11comp_targetILNS1_3genE8ELNS1_11target_archE1030ELNS1_3gpuE2ELNS1_3repE0EEENS1_30default_config_static_selectorELNS0_4arch9wavefront6targetE0EEEvS14_,comdat
.Lfunc_end212:
	.size	_ZN7rocprim17ROCPRIM_400000_NS6detail17trampoline_kernelINS0_14default_configENS1_22reduce_config_selectorIN6thrust23THRUST_200600_302600_NS5tupleIblNS6_9null_typeES8_S8_S8_S8_S8_S8_S8_EEEEZNS1_11reduce_implILb1ES3_NS6_12zip_iteratorINS7_INS6_11hip_rocprim26transform_input_iterator_tIbNSD_35transform_pair_of_input_iterators_tIbNS6_6detail15normal_iteratorINS6_10device_ptrIKjEEEESL_NS6_8equal_toIjEEEENSG_9not_fun_tINSD_8identityEEEEENSD_19counting_iterator_tIlEES8_S8_S8_S8_S8_S8_S8_S8_EEEEPS9_S9_NSD_9__find_if7functorIS9_EEEE10hipError_tPvRmT1_T2_T3_mT4_P12ihipStream_tbEUlT_E0_NS1_11comp_targetILNS1_3genE8ELNS1_11target_archE1030ELNS1_3gpuE2ELNS1_3repE0EEENS1_30default_config_static_selectorELNS0_4arch9wavefront6targetE0EEEvS14_, .Lfunc_end212-_ZN7rocprim17ROCPRIM_400000_NS6detail17trampoline_kernelINS0_14default_configENS1_22reduce_config_selectorIN6thrust23THRUST_200600_302600_NS5tupleIblNS6_9null_typeES8_S8_S8_S8_S8_S8_S8_EEEEZNS1_11reduce_implILb1ES3_NS6_12zip_iteratorINS7_INS6_11hip_rocprim26transform_input_iterator_tIbNSD_35transform_pair_of_input_iterators_tIbNS6_6detail15normal_iteratorINS6_10device_ptrIKjEEEESL_NS6_8equal_toIjEEEENSG_9not_fun_tINSD_8identityEEEEENSD_19counting_iterator_tIlEES8_S8_S8_S8_S8_S8_S8_S8_EEEEPS9_S9_NSD_9__find_if7functorIS9_EEEE10hipError_tPvRmT1_T2_T3_mT4_P12ihipStream_tbEUlT_E0_NS1_11comp_targetILNS1_3genE8ELNS1_11target_archE1030ELNS1_3gpuE2ELNS1_3repE0EEENS1_30default_config_static_selectorELNS0_4arch9wavefront6targetE0EEEvS14_
                                        ; -- End function
	.set _ZN7rocprim17ROCPRIM_400000_NS6detail17trampoline_kernelINS0_14default_configENS1_22reduce_config_selectorIN6thrust23THRUST_200600_302600_NS5tupleIblNS6_9null_typeES8_S8_S8_S8_S8_S8_S8_EEEEZNS1_11reduce_implILb1ES3_NS6_12zip_iteratorINS7_INS6_11hip_rocprim26transform_input_iterator_tIbNSD_35transform_pair_of_input_iterators_tIbNS6_6detail15normal_iteratorINS6_10device_ptrIKjEEEESL_NS6_8equal_toIjEEEENSG_9not_fun_tINSD_8identityEEEEENSD_19counting_iterator_tIlEES8_S8_S8_S8_S8_S8_S8_S8_EEEEPS9_S9_NSD_9__find_if7functorIS9_EEEE10hipError_tPvRmT1_T2_T3_mT4_P12ihipStream_tbEUlT_E0_NS1_11comp_targetILNS1_3genE8ELNS1_11target_archE1030ELNS1_3gpuE2ELNS1_3repE0EEENS1_30default_config_static_selectorELNS0_4arch9wavefront6targetE0EEEvS14_.num_vgpr, 13
	.set _ZN7rocprim17ROCPRIM_400000_NS6detail17trampoline_kernelINS0_14default_configENS1_22reduce_config_selectorIN6thrust23THRUST_200600_302600_NS5tupleIblNS6_9null_typeES8_S8_S8_S8_S8_S8_S8_EEEEZNS1_11reduce_implILb1ES3_NS6_12zip_iteratorINS7_INS6_11hip_rocprim26transform_input_iterator_tIbNSD_35transform_pair_of_input_iterators_tIbNS6_6detail15normal_iteratorINS6_10device_ptrIKjEEEESL_NS6_8equal_toIjEEEENSG_9not_fun_tINSD_8identityEEEEENSD_19counting_iterator_tIlEES8_S8_S8_S8_S8_S8_S8_S8_EEEEPS9_S9_NSD_9__find_if7functorIS9_EEEE10hipError_tPvRmT1_T2_T3_mT4_P12ihipStream_tbEUlT_E0_NS1_11comp_targetILNS1_3genE8ELNS1_11target_archE1030ELNS1_3gpuE2ELNS1_3repE0EEENS1_30default_config_static_selectorELNS0_4arch9wavefront6targetE0EEEvS14_.num_agpr, 0
	.set _ZN7rocprim17ROCPRIM_400000_NS6detail17trampoline_kernelINS0_14default_configENS1_22reduce_config_selectorIN6thrust23THRUST_200600_302600_NS5tupleIblNS6_9null_typeES8_S8_S8_S8_S8_S8_S8_EEEEZNS1_11reduce_implILb1ES3_NS6_12zip_iteratorINS7_INS6_11hip_rocprim26transform_input_iterator_tIbNSD_35transform_pair_of_input_iterators_tIbNS6_6detail15normal_iteratorINS6_10device_ptrIKjEEEESL_NS6_8equal_toIjEEEENSG_9not_fun_tINSD_8identityEEEEENSD_19counting_iterator_tIlEES8_S8_S8_S8_S8_S8_S8_S8_EEEEPS9_S9_NSD_9__find_if7functorIS9_EEEE10hipError_tPvRmT1_T2_T3_mT4_P12ihipStream_tbEUlT_E0_NS1_11comp_targetILNS1_3genE8ELNS1_11target_archE1030ELNS1_3gpuE2ELNS1_3repE0EEENS1_30default_config_static_selectorELNS0_4arch9wavefront6targetE0EEEvS14_.numbered_sgpr, 28
	.set _ZN7rocprim17ROCPRIM_400000_NS6detail17trampoline_kernelINS0_14default_configENS1_22reduce_config_selectorIN6thrust23THRUST_200600_302600_NS5tupleIblNS6_9null_typeES8_S8_S8_S8_S8_S8_S8_EEEEZNS1_11reduce_implILb1ES3_NS6_12zip_iteratorINS7_INS6_11hip_rocprim26transform_input_iterator_tIbNSD_35transform_pair_of_input_iterators_tIbNS6_6detail15normal_iteratorINS6_10device_ptrIKjEEEESL_NS6_8equal_toIjEEEENSG_9not_fun_tINSD_8identityEEEEENSD_19counting_iterator_tIlEES8_S8_S8_S8_S8_S8_S8_S8_EEEEPS9_S9_NSD_9__find_if7functorIS9_EEEE10hipError_tPvRmT1_T2_T3_mT4_P12ihipStream_tbEUlT_E0_NS1_11comp_targetILNS1_3genE8ELNS1_11target_archE1030ELNS1_3gpuE2ELNS1_3repE0EEENS1_30default_config_static_selectorELNS0_4arch9wavefront6targetE0EEEvS14_.num_named_barrier, 0
	.set _ZN7rocprim17ROCPRIM_400000_NS6detail17trampoline_kernelINS0_14default_configENS1_22reduce_config_selectorIN6thrust23THRUST_200600_302600_NS5tupleIblNS6_9null_typeES8_S8_S8_S8_S8_S8_S8_EEEEZNS1_11reduce_implILb1ES3_NS6_12zip_iteratorINS7_INS6_11hip_rocprim26transform_input_iterator_tIbNSD_35transform_pair_of_input_iterators_tIbNS6_6detail15normal_iteratorINS6_10device_ptrIKjEEEESL_NS6_8equal_toIjEEEENSG_9not_fun_tINSD_8identityEEEEENSD_19counting_iterator_tIlEES8_S8_S8_S8_S8_S8_S8_S8_EEEEPS9_S9_NSD_9__find_if7functorIS9_EEEE10hipError_tPvRmT1_T2_T3_mT4_P12ihipStream_tbEUlT_E0_NS1_11comp_targetILNS1_3genE8ELNS1_11target_archE1030ELNS1_3gpuE2ELNS1_3repE0EEENS1_30default_config_static_selectorELNS0_4arch9wavefront6targetE0EEEvS14_.private_seg_size, 0
	.set _ZN7rocprim17ROCPRIM_400000_NS6detail17trampoline_kernelINS0_14default_configENS1_22reduce_config_selectorIN6thrust23THRUST_200600_302600_NS5tupleIblNS6_9null_typeES8_S8_S8_S8_S8_S8_S8_EEEEZNS1_11reduce_implILb1ES3_NS6_12zip_iteratorINS7_INS6_11hip_rocprim26transform_input_iterator_tIbNSD_35transform_pair_of_input_iterators_tIbNS6_6detail15normal_iteratorINS6_10device_ptrIKjEEEESL_NS6_8equal_toIjEEEENSG_9not_fun_tINSD_8identityEEEEENSD_19counting_iterator_tIlEES8_S8_S8_S8_S8_S8_S8_S8_EEEEPS9_S9_NSD_9__find_if7functorIS9_EEEE10hipError_tPvRmT1_T2_T3_mT4_P12ihipStream_tbEUlT_E0_NS1_11comp_targetILNS1_3genE8ELNS1_11target_archE1030ELNS1_3gpuE2ELNS1_3repE0EEENS1_30default_config_static_selectorELNS0_4arch9wavefront6targetE0EEEvS14_.uses_vcc, 1
	.set _ZN7rocprim17ROCPRIM_400000_NS6detail17trampoline_kernelINS0_14default_configENS1_22reduce_config_selectorIN6thrust23THRUST_200600_302600_NS5tupleIblNS6_9null_typeES8_S8_S8_S8_S8_S8_S8_EEEEZNS1_11reduce_implILb1ES3_NS6_12zip_iteratorINS7_INS6_11hip_rocprim26transform_input_iterator_tIbNSD_35transform_pair_of_input_iterators_tIbNS6_6detail15normal_iteratorINS6_10device_ptrIKjEEEESL_NS6_8equal_toIjEEEENSG_9not_fun_tINSD_8identityEEEEENSD_19counting_iterator_tIlEES8_S8_S8_S8_S8_S8_S8_S8_EEEEPS9_S9_NSD_9__find_if7functorIS9_EEEE10hipError_tPvRmT1_T2_T3_mT4_P12ihipStream_tbEUlT_E0_NS1_11comp_targetILNS1_3genE8ELNS1_11target_archE1030ELNS1_3gpuE2ELNS1_3repE0EEENS1_30default_config_static_selectorELNS0_4arch9wavefront6targetE0EEEvS14_.uses_flat_scratch, 0
	.set _ZN7rocprim17ROCPRIM_400000_NS6detail17trampoline_kernelINS0_14default_configENS1_22reduce_config_selectorIN6thrust23THRUST_200600_302600_NS5tupleIblNS6_9null_typeES8_S8_S8_S8_S8_S8_S8_EEEEZNS1_11reduce_implILb1ES3_NS6_12zip_iteratorINS7_INS6_11hip_rocprim26transform_input_iterator_tIbNSD_35transform_pair_of_input_iterators_tIbNS6_6detail15normal_iteratorINS6_10device_ptrIKjEEEESL_NS6_8equal_toIjEEEENSG_9not_fun_tINSD_8identityEEEEENSD_19counting_iterator_tIlEES8_S8_S8_S8_S8_S8_S8_S8_EEEEPS9_S9_NSD_9__find_if7functorIS9_EEEE10hipError_tPvRmT1_T2_T3_mT4_P12ihipStream_tbEUlT_E0_NS1_11comp_targetILNS1_3genE8ELNS1_11target_archE1030ELNS1_3gpuE2ELNS1_3repE0EEENS1_30default_config_static_selectorELNS0_4arch9wavefront6targetE0EEEvS14_.has_dyn_sized_stack, 0
	.set _ZN7rocprim17ROCPRIM_400000_NS6detail17trampoline_kernelINS0_14default_configENS1_22reduce_config_selectorIN6thrust23THRUST_200600_302600_NS5tupleIblNS6_9null_typeES8_S8_S8_S8_S8_S8_S8_EEEEZNS1_11reduce_implILb1ES3_NS6_12zip_iteratorINS7_INS6_11hip_rocprim26transform_input_iterator_tIbNSD_35transform_pair_of_input_iterators_tIbNS6_6detail15normal_iteratorINS6_10device_ptrIKjEEEESL_NS6_8equal_toIjEEEENSG_9not_fun_tINSD_8identityEEEEENSD_19counting_iterator_tIlEES8_S8_S8_S8_S8_S8_S8_S8_EEEEPS9_S9_NSD_9__find_if7functorIS9_EEEE10hipError_tPvRmT1_T2_T3_mT4_P12ihipStream_tbEUlT_E0_NS1_11comp_targetILNS1_3genE8ELNS1_11target_archE1030ELNS1_3gpuE2ELNS1_3repE0EEENS1_30default_config_static_selectorELNS0_4arch9wavefront6targetE0EEEvS14_.has_recursion, 0
	.set _ZN7rocprim17ROCPRIM_400000_NS6detail17trampoline_kernelINS0_14default_configENS1_22reduce_config_selectorIN6thrust23THRUST_200600_302600_NS5tupleIblNS6_9null_typeES8_S8_S8_S8_S8_S8_S8_EEEEZNS1_11reduce_implILb1ES3_NS6_12zip_iteratorINS7_INS6_11hip_rocprim26transform_input_iterator_tIbNSD_35transform_pair_of_input_iterators_tIbNS6_6detail15normal_iteratorINS6_10device_ptrIKjEEEESL_NS6_8equal_toIjEEEENSG_9not_fun_tINSD_8identityEEEEENSD_19counting_iterator_tIlEES8_S8_S8_S8_S8_S8_S8_S8_EEEEPS9_S9_NSD_9__find_if7functorIS9_EEEE10hipError_tPvRmT1_T2_T3_mT4_P12ihipStream_tbEUlT_E0_NS1_11comp_targetILNS1_3genE8ELNS1_11target_archE1030ELNS1_3gpuE2ELNS1_3repE0EEENS1_30default_config_static_selectorELNS0_4arch9wavefront6targetE0EEEvS14_.has_indirect_call, 0
	.section	.AMDGPU.csdata,"",@progbits
; Kernel info:
; codeLenInByte = 3168
; TotalNumSgprs: 30
; NumVgprs: 13
; ScratchSize: 0
; MemoryBound: 0
; FloatMode: 240
; IeeeMode: 1
; LDSByteSize: 256 bytes/workgroup (compile time only)
; SGPRBlocks: 0
; VGPRBlocks: 1
; NumSGPRsForWavesPerEU: 30
; NumVGPRsForWavesPerEU: 13
; Occupancy: 16
; WaveLimiterHint : 0
; COMPUTE_PGM_RSRC2:SCRATCH_EN: 0
; COMPUTE_PGM_RSRC2:USER_SGPR: 6
; COMPUTE_PGM_RSRC2:TRAP_HANDLER: 0
; COMPUTE_PGM_RSRC2:TGID_X_EN: 1
; COMPUTE_PGM_RSRC2:TGID_Y_EN: 0
; COMPUTE_PGM_RSRC2:TGID_Z_EN: 0
; COMPUTE_PGM_RSRC2:TIDIG_COMP_CNT: 0
	.section	.text._ZN7rocprim17ROCPRIM_400000_NS6detail17trampoline_kernelINS0_14default_configENS1_22reduce_config_selectorIN6thrust23THRUST_200600_302600_NS5tupleIblNS6_9null_typeES8_S8_S8_S8_S8_S8_S8_EEEEZNS1_11reduce_implILb1ES3_NS6_12zip_iteratorINS7_INS6_11hip_rocprim26transform_input_iterator_tIbNSD_35transform_pair_of_input_iterators_tIbNS6_6detail15normal_iteratorINS6_10device_ptrIKjEEEESL_NS6_8equal_toIjEEEENSG_9not_fun_tINSD_8identityEEEEENSD_19counting_iterator_tIlEES8_S8_S8_S8_S8_S8_S8_S8_EEEEPS9_S9_NSD_9__find_if7functorIS9_EEEE10hipError_tPvRmT1_T2_T3_mT4_P12ihipStream_tbEUlT_E1_NS1_11comp_targetILNS1_3genE0ELNS1_11target_archE4294967295ELNS1_3gpuE0ELNS1_3repE0EEENS1_30default_config_static_selectorELNS0_4arch9wavefront6targetE0EEEvS14_,"axG",@progbits,_ZN7rocprim17ROCPRIM_400000_NS6detail17trampoline_kernelINS0_14default_configENS1_22reduce_config_selectorIN6thrust23THRUST_200600_302600_NS5tupleIblNS6_9null_typeES8_S8_S8_S8_S8_S8_S8_EEEEZNS1_11reduce_implILb1ES3_NS6_12zip_iteratorINS7_INS6_11hip_rocprim26transform_input_iterator_tIbNSD_35transform_pair_of_input_iterators_tIbNS6_6detail15normal_iteratorINS6_10device_ptrIKjEEEESL_NS6_8equal_toIjEEEENSG_9not_fun_tINSD_8identityEEEEENSD_19counting_iterator_tIlEES8_S8_S8_S8_S8_S8_S8_S8_EEEEPS9_S9_NSD_9__find_if7functorIS9_EEEE10hipError_tPvRmT1_T2_T3_mT4_P12ihipStream_tbEUlT_E1_NS1_11comp_targetILNS1_3genE0ELNS1_11target_archE4294967295ELNS1_3gpuE0ELNS1_3repE0EEENS1_30default_config_static_selectorELNS0_4arch9wavefront6targetE0EEEvS14_,comdat
	.protected	_ZN7rocprim17ROCPRIM_400000_NS6detail17trampoline_kernelINS0_14default_configENS1_22reduce_config_selectorIN6thrust23THRUST_200600_302600_NS5tupleIblNS6_9null_typeES8_S8_S8_S8_S8_S8_S8_EEEEZNS1_11reduce_implILb1ES3_NS6_12zip_iteratorINS7_INS6_11hip_rocprim26transform_input_iterator_tIbNSD_35transform_pair_of_input_iterators_tIbNS6_6detail15normal_iteratorINS6_10device_ptrIKjEEEESL_NS6_8equal_toIjEEEENSG_9not_fun_tINSD_8identityEEEEENSD_19counting_iterator_tIlEES8_S8_S8_S8_S8_S8_S8_S8_EEEEPS9_S9_NSD_9__find_if7functorIS9_EEEE10hipError_tPvRmT1_T2_T3_mT4_P12ihipStream_tbEUlT_E1_NS1_11comp_targetILNS1_3genE0ELNS1_11target_archE4294967295ELNS1_3gpuE0ELNS1_3repE0EEENS1_30default_config_static_selectorELNS0_4arch9wavefront6targetE0EEEvS14_ ; -- Begin function _ZN7rocprim17ROCPRIM_400000_NS6detail17trampoline_kernelINS0_14default_configENS1_22reduce_config_selectorIN6thrust23THRUST_200600_302600_NS5tupleIblNS6_9null_typeES8_S8_S8_S8_S8_S8_S8_EEEEZNS1_11reduce_implILb1ES3_NS6_12zip_iteratorINS7_INS6_11hip_rocprim26transform_input_iterator_tIbNSD_35transform_pair_of_input_iterators_tIbNS6_6detail15normal_iteratorINS6_10device_ptrIKjEEEESL_NS6_8equal_toIjEEEENSG_9not_fun_tINSD_8identityEEEEENSD_19counting_iterator_tIlEES8_S8_S8_S8_S8_S8_S8_S8_EEEEPS9_S9_NSD_9__find_if7functorIS9_EEEE10hipError_tPvRmT1_T2_T3_mT4_P12ihipStream_tbEUlT_E1_NS1_11comp_targetILNS1_3genE0ELNS1_11target_archE4294967295ELNS1_3gpuE0ELNS1_3repE0EEENS1_30default_config_static_selectorELNS0_4arch9wavefront6targetE0EEEvS14_
	.globl	_ZN7rocprim17ROCPRIM_400000_NS6detail17trampoline_kernelINS0_14default_configENS1_22reduce_config_selectorIN6thrust23THRUST_200600_302600_NS5tupleIblNS6_9null_typeES8_S8_S8_S8_S8_S8_S8_EEEEZNS1_11reduce_implILb1ES3_NS6_12zip_iteratorINS7_INS6_11hip_rocprim26transform_input_iterator_tIbNSD_35transform_pair_of_input_iterators_tIbNS6_6detail15normal_iteratorINS6_10device_ptrIKjEEEESL_NS6_8equal_toIjEEEENSG_9not_fun_tINSD_8identityEEEEENSD_19counting_iterator_tIlEES8_S8_S8_S8_S8_S8_S8_S8_EEEEPS9_S9_NSD_9__find_if7functorIS9_EEEE10hipError_tPvRmT1_T2_T3_mT4_P12ihipStream_tbEUlT_E1_NS1_11comp_targetILNS1_3genE0ELNS1_11target_archE4294967295ELNS1_3gpuE0ELNS1_3repE0EEENS1_30default_config_static_selectorELNS0_4arch9wavefront6targetE0EEEvS14_
	.p2align	8
	.type	_ZN7rocprim17ROCPRIM_400000_NS6detail17trampoline_kernelINS0_14default_configENS1_22reduce_config_selectorIN6thrust23THRUST_200600_302600_NS5tupleIblNS6_9null_typeES8_S8_S8_S8_S8_S8_S8_EEEEZNS1_11reduce_implILb1ES3_NS6_12zip_iteratorINS7_INS6_11hip_rocprim26transform_input_iterator_tIbNSD_35transform_pair_of_input_iterators_tIbNS6_6detail15normal_iteratorINS6_10device_ptrIKjEEEESL_NS6_8equal_toIjEEEENSG_9not_fun_tINSD_8identityEEEEENSD_19counting_iterator_tIlEES8_S8_S8_S8_S8_S8_S8_S8_EEEEPS9_S9_NSD_9__find_if7functorIS9_EEEE10hipError_tPvRmT1_T2_T3_mT4_P12ihipStream_tbEUlT_E1_NS1_11comp_targetILNS1_3genE0ELNS1_11target_archE4294967295ELNS1_3gpuE0ELNS1_3repE0EEENS1_30default_config_static_selectorELNS0_4arch9wavefront6targetE0EEEvS14_,@function
_ZN7rocprim17ROCPRIM_400000_NS6detail17trampoline_kernelINS0_14default_configENS1_22reduce_config_selectorIN6thrust23THRUST_200600_302600_NS5tupleIblNS6_9null_typeES8_S8_S8_S8_S8_S8_S8_EEEEZNS1_11reduce_implILb1ES3_NS6_12zip_iteratorINS7_INS6_11hip_rocprim26transform_input_iterator_tIbNSD_35transform_pair_of_input_iterators_tIbNS6_6detail15normal_iteratorINS6_10device_ptrIKjEEEESL_NS6_8equal_toIjEEEENSG_9not_fun_tINSD_8identityEEEEENSD_19counting_iterator_tIlEES8_S8_S8_S8_S8_S8_S8_S8_EEEEPS9_S9_NSD_9__find_if7functorIS9_EEEE10hipError_tPvRmT1_T2_T3_mT4_P12ihipStream_tbEUlT_E1_NS1_11comp_targetILNS1_3genE0ELNS1_11target_archE4294967295ELNS1_3gpuE0ELNS1_3repE0EEENS1_30default_config_static_selectorELNS0_4arch9wavefront6targetE0EEEvS14_: ; @_ZN7rocprim17ROCPRIM_400000_NS6detail17trampoline_kernelINS0_14default_configENS1_22reduce_config_selectorIN6thrust23THRUST_200600_302600_NS5tupleIblNS6_9null_typeES8_S8_S8_S8_S8_S8_S8_EEEEZNS1_11reduce_implILb1ES3_NS6_12zip_iteratorINS7_INS6_11hip_rocprim26transform_input_iterator_tIbNSD_35transform_pair_of_input_iterators_tIbNS6_6detail15normal_iteratorINS6_10device_ptrIKjEEEESL_NS6_8equal_toIjEEEENSG_9not_fun_tINSD_8identityEEEEENSD_19counting_iterator_tIlEES8_S8_S8_S8_S8_S8_S8_S8_EEEEPS9_S9_NSD_9__find_if7functorIS9_EEEE10hipError_tPvRmT1_T2_T3_mT4_P12ihipStream_tbEUlT_E1_NS1_11comp_targetILNS1_3genE0ELNS1_11target_archE4294967295ELNS1_3gpuE0ELNS1_3repE0EEENS1_30default_config_static_selectorELNS0_4arch9wavefront6targetE0EEEvS14_
; %bb.0:
	.section	.rodata,"a",@progbits
	.p2align	6, 0x0
	.amdhsa_kernel _ZN7rocprim17ROCPRIM_400000_NS6detail17trampoline_kernelINS0_14default_configENS1_22reduce_config_selectorIN6thrust23THRUST_200600_302600_NS5tupleIblNS6_9null_typeES8_S8_S8_S8_S8_S8_S8_EEEEZNS1_11reduce_implILb1ES3_NS6_12zip_iteratorINS7_INS6_11hip_rocprim26transform_input_iterator_tIbNSD_35transform_pair_of_input_iterators_tIbNS6_6detail15normal_iteratorINS6_10device_ptrIKjEEEESL_NS6_8equal_toIjEEEENSG_9not_fun_tINSD_8identityEEEEENSD_19counting_iterator_tIlEES8_S8_S8_S8_S8_S8_S8_S8_EEEEPS9_S9_NSD_9__find_if7functorIS9_EEEE10hipError_tPvRmT1_T2_T3_mT4_P12ihipStream_tbEUlT_E1_NS1_11comp_targetILNS1_3genE0ELNS1_11target_archE4294967295ELNS1_3gpuE0ELNS1_3repE0EEENS1_30default_config_static_selectorELNS0_4arch9wavefront6targetE0EEEvS14_
		.amdhsa_group_segment_fixed_size 0
		.amdhsa_private_segment_fixed_size 0
		.amdhsa_kernarg_size 88
		.amdhsa_user_sgpr_count 6
		.amdhsa_user_sgpr_private_segment_buffer 1
		.amdhsa_user_sgpr_dispatch_ptr 0
		.amdhsa_user_sgpr_queue_ptr 0
		.amdhsa_user_sgpr_kernarg_segment_ptr 1
		.amdhsa_user_sgpr_dispatch_id 0
		.amdhsa_user_sgpr_flat_scratch_init 0
		.amdhsa_user_sgpr_private_segment_size 0
		.amdhsa_wavefront_size32 1
		.amdhsa_uses_dynamic_stack 0
		.amdhsa_system_sgpr_private_segment_wavefront_offset 0
		.amdhsa_system_sgpr_workgroup_id_x 1
		.amdhsa_system_sgpr_workgroup_id_y 0
		.amdhsa_system_sgpr_workgroup_id_z 0
		.amdhsa_system_sgpr_workgroup_info 0
		.amdhsa_system_vgpr_workitem_id 0
		.amdhsa_next_free_vgpr 1
		.amdhsa_next_free_sgpr 1
		.amdhsa_reserve_vcc 0
		.amdhsa_reserve_flat_scratch 0
		.amdhsa_float_round_mode_32 0
		.amdhsa_float_round_mode_16_64 0
		.amdhsa_float_denorm_mode_32 3
		.amdhsa_float_denorm_mode_16_64 3
		.amdhsa_dx10_clamp 1
		.amdhsa_ieee_mode 1
		.amdhsa_fp16_overflow 0
		.amdhsa_workgroup_processor_mode 1
		.amdhsa_memory_ordered 1
		.amdhsa_forward_progress 1
		.amdhsa_shared_vgpr_count 0
		.amdhsa_exception_fp_ieee_invalid_op 0
		.amdhsa_exception_fp_denorm_src 0
		.amdhsa_exception_fp_ieee_div_zero 0
		.amdhsa_exception_fp_ieee_overflow 0
		.amdhsa_exception_fp_ieee_underflow 0
		.amdhsa_exception_fp_ieee_inexact 0
		.amdhsa_exception_int_div_zero 0
	.end_amdhsa_kernel
	.section	.text._ZN7rocprim17ROCPRIM_400000_NS6detail17trampoline_kernelINS0_14default_configENS1_22reduce_config_selectorIN6thrust23THRUST_200600_302600_NS5tupleIblNS6_9null_typeES8_S8_S8_S8_S8_S8_S8_EEEEZNS1_11reduce_implILb1ES3_NS6_12zip_iteratorINS7_INS6_11hip_rocprim26transform_input_iterator_tIbNSD_35transform_pair_of_input_iterators_tIbNS6_6detail15normal_iteratorINS6_10device_ptrIKjEEEESL_NS6_8equal_toIjEEEENSG_9not_fun_tINSD_8identityEEEEENSD_19counting_iterator_tIlEES8_S8_S8_S8_S8_S8_S8_S8_EEEEPS9_S9_NSD_9__find_if7functorIS9_EEEE10hipError_tPvRmT1_T2_T3_mT4_P12ihipStream_tbEUlT_E1_NS1_11comp_targetILNS1_3genE0ELNS1_11target_archE4294967295ELNS1_3gpuE0ELNS1_3repE0EEENS1_30default_config_static_selectorELNS0_4arch9wavefront6targetE0EEEvS14_,"axG",@progbits,_ZN7rocprim17ROCPRIM_400000_NS6detail17trampoline_kernelINS0_14default_configENS1_22reduce_config_selectorIN6thrust23THRUST_200600_302600_NS5tupleIblNS6_9null_typeES8_S8_S8_S8_S8_S8_S8_EEEEZNS1_11reduce_implILb1ES3_NS6_12zip_iteratorINS7_INS6_11hip_rocprim26transform_input_iterator_tIbNSD_35transform_pair_of_input_iterators_tIbNS6_6detail15normal_iteratorINS6_10device_ptrIKjEEEESL_NS6_8equal_toIjEEEENSG_9not_fun_tINSD_8identityEEEEENSD_19counting_iterator_tIlEES8_S8_S8_S8_S8_S8_S8_S8_EEEEPS9_S9_NSD_9__find_if7functorIS9_EEEE10hipError_tPvRmT1_T2_T3_mT4_P12ihipStream_tbEUlT_E1_NS1_11comp_targetILNS1_3genE0ELNS1_11target_archE4294967295ELNS1_3gpuE0ELNS1_3repE0EEENS1_30default_config_static_selectorELNS0_4arch9wavefront6targetE0EEEvS14_,comdat
.Lfunc_end213:
	.size	_ZN7rocprim17ROCPRIM_400000_NS6detail17trampoline_kernelINS0_14default_configENS1_22reduce_config_selectorIN6thrust23THRUST_200600_302600_NS5tupleIblNS6_9null_typeES8_S8_S8_S8_S8_S8_S8_EEEEZNS1_11reduce_implILb1ES3_NS6_12zip_iteratorINS7_INS6_11hip_rocprim26transform_input_iterator_tIbNSD_35transform_pair_of_input_iterators_tIbNS6_6detail15normal_iteratorINS6_10device_ptrIKjEEEESL_NS6_8equal_toIjEEEENSG_9not_fun_tINSD_8identityEEEEENSD_19counting_iterator_tIlEES8_S8_S8_S8_S8_S8_S8_S8_EEEEPS9_S9_NSD_9__find_if7functorIS9_EEEE10hipError_tPvRmT1_T2_T3_mT4_P12ihipStream_tbEUlT_E1_NS1_11comp_targetILNS1_3genE0ELNS1_11target_archE4294967295ELNS1_3gpuE0ELNS1_3repE0EEENS1_30default_config_static_selectorELNS0_4arch9wavefront6targetE0EEEvS14_, .Lfunc_end213-_ZN7rocprim17ROCPRIM_400000_NS6detail17trampoline_kernelINS0_14default_configENS1_22reduce_config_selectorIN6thrust23THRUST_200600_302600_NS5tupleIblNS6_9null_typeES8_S8_S8_S8_S8_S8_S8_EEEEZNS1_11reduce_implILb1ES3_NS6_12zip_iteratorINS7_INS6_11hip_rocprim26transform_input_iterator_tIbNSD_35transform_pair_of_input_iterators_tIbNS6_6detail15normal_iteratorINS6_10device_ptrIKjEEEESL_NS6_8equal_toIjEEEENSG_9not_fun_tINSD_8identityEEEEENSD_19counting_iterator_tIlEES8_S8_S8_S8_S8_S8_S8_S8_EEEEPS9_S9_NSD_9__find_if7functorIS9_EEEE10hipError_tPvRmT1_T2_T3_mT4_P12ihipStream_tbEUlT_E1_NS1_11comp_targetILNS1_3genE0ELNS1_11target_archE4294967295ELNS1_3gpuE0ELNS1_3repE0EEENS1_30default_config_static_selectorELNS0_4arch9wavefront6targetE0EEEvS14_
                                        ; -- End function
	.set _ZN7rocprim17ROCPRIM_400000_NS6detail17trampoline_kernelINS0_14default_configENS1_22reduce_config_selectorIN6thrust23THRUST_200600_302600_NS5tupleIblNS6_9null_typeES8_S8_S8_S8_S8_S8_S8_EEEEZNS1_11reduce_implILb1ES3_NS6_12zip_iteratorINS7_INS6_11hip_rocprim26transform_input_iterator_tIbNSD_35transform_pair_of_input_iterators_tIbNS6_6detail15normal_iteratorINS6_10device_ptrIKjEEEESL_NS6_8equal_toIjEEEENSG_9not_fun_tINSD_8identityEEEEENSD_19counting_iterator_tIlEES8_S8_S8_S8_S8_S8_S8_S8_EEEEPS9_S9_NSD_9__find_if7functorIS9_EEEE10hipError_tPvRmT1_T2_T3_mT4_P12ihipStream_tbEUlT_E1_NS1_11comp_targetILNS1_3genE0ELNS1_11target_archE4294967295ELNS1_3gpuE0ELNS1_3repE0EEENS1_30default_config_static_selectorELNS0_4arch9wavefront6targetE0EEEvS14_.num_vgpr, 0
	.set _ZN7rocprim17ROCPRIM_400000_NS6detail17trampoline_kernelINS0_14default_configENS1_22reduce_config_selectorIN6thrust23THRUST_200600_302600_NS5tupleIblNS6_9null_typeES8_S8_S8_S8_S8_S8_S8_EEEEZNS1_11reduce_implILb1ES3_NS6_12zip_iteratorINS7_INS6_11hip_rocprim26transform_input_iterator_tIbNSD_35transform_pair_of_input_iterators_tIbNS6_6detail15normal_iteratorINS6_10device_ptrIKjEEEESL_NS6_8equal_toIjEEEENSG_9not_fun_tINSD_8identityEEEEENSD_19counting_iterator_tIlEES8_S8_S8_S8_S8_S8_S8_S8_EEEEPS9_S9_NSD_9__find_if7functorIS9_EEEE10hipError_tPvRmT1_T2_T3_mT4_P12ihipStream_tbEUlT_E1_NS1_11comp_targetILNS1_3genE0ELNS1_11target_archE4294967295ELNS1_3gpuE0ELNS1_3repE0EEENS1_30default_config_static_selectorELNS0_4arch9wavefront6targetE0EEEvS14_.num_agpr, 0
	.set _ZN7rocprim17ROCPRIM_400000_NS6detail17trampoline_kernelINS0_14default_configENS1_22reduce_config_selectorIN6thrust23THRUST_200600_302600_NS5tupleIblNS6_9null_typeES8_S8_S8_S8_S8_S8_S8_EEEEZNS1_11reduce_implILb1ES3_NS6_12zip_iteratorINS7_INS6_11hip_rocprim26transform_input_iterator_tIbNSD_35transform_pair_of_input_iterators_tIbNS6_6detail15normal_iteratorINS6_10device_ptrIKjEEEESL_NS6_8equal_toIjEEEENSG_9not_fun_tINSD_8identityEEEEENSD_19counting_iterator_tIlEES8_S8_S8_S8_S8_S8_S8_S8_EEEEPS9_S9_NSD_9__find_if7functorIS9_EEEE10hipError_tPvRmT1_T2_T3_mT4_P12ihipStream_tbEUlT_E1_NS1_11comp_targetILNS1_3genE0ELNS1_11target_archE4294967295ELNS1_3gpuE0ELNS1_3repE0EEENS1_30default_config_static_selectorELNS0_4arch9wavefront6targetE0EEEvS14_.numbered_sgpr, 0
	.set _ZN7rocprim17ROCPRIM_400000_NS6detail17trampoline_kernelINS0_14default_configENS1_22reduce_config_selectorIN6thrust23THRUST_200600_302600_NS5tupleIblNS6_9null_typeES8_S8_S8_S8_S8_S8_S8_EEEEZNS1_11reduce_implILb1ES3_NS6_12zip_iteratorINS7_INS6_11hip_rocprim26transform_input_iterator_tIbNSD_35transform_pair_of_input_iterators_tIbNS6_6detail15normal_iteratorINS6_10device_ptrIKjEEEESL_NS6_8equal_toIjEEEENSG_9not_fun_tINSD_8identityEEEEENSD_19counting_iterator_tIlEES8_S8_S8_S8_S8_S8_S8_S8_EEEEPS9_S9_NSD_9__find_if7functorIS9_EEEE10hipError_tPvRmT1_T2_T3_mT4_P12ihipStream_tbEUlT_E1_NS1_11comp_targetILNS1_3genE0ELNS1_11target_archE4294967295ELNS1_3gpuE0ELNS1_3repE0EEENS1_30default_config_static_selectorELNS0_4arch9wavefront6targetE0EEEvS14_.num_named_barrier, 0
	.set _ZN7rocprim17ROCPRIM_400000_NS6detail17trampoline_kernelINS0_14default_configENS1_22reduce_config_selectorIN6thrust23THRUST_200600_302600_NS5tupleIblNS6_9null_typeES8_S8_S8_S8_S8_S8_S8_EEEEZNS1_11reduce_implILb1ES3_NS6_12zip_iteratorINS7_INS6_11hip_rocprim26transform_input_iterator_tIbNSD_35transform_pair_of_input_iterators_tIbNS6_6detail15normal_iteratorINS6_10device_ptrIKjEEEESL_NS6_8equal_toIjEEEENSG_9not_fun_tINSD_8identityEEEEENSD_19counting_iterator_tIlEES8_S8_S8_S8_S8_S8_S8_S8_EEEEPS9_S9_NSD_9__find_if7functorIS9_EEEE10hipError_tPvRmT1_T2_T3_mT4_P12ihipStream_tbEUlT_E1_NS1_11comp_targetILNS1_3genE0ELNS1_11target_archE4294967295ELNS1_3gpuE0ELNS1_3repE0EEENS1_30default_config_static_selectorELNS0_4arch9wavefront6targetE0EEEvS14_.private_seg_size, 0
	.set _ZN7rocprim17ROCPRIM_400000_NS6detail17trampoline_kernelINS0_14default_configENS1_22reduce_config_selectorIN6thrust23THRUST_200600_302600_NS5tupleIblNS6_9null_typeES8_S8_S8_S8_S8_S8_S8_EEEEZNS1_11reduce_implILb1ES3_NS6_12zip_iteratorINS7_INS6_11hip_rocprim26transform_input_iterator_tIbNSD_35transform_pair_of_input_iterators_tIbNS6_6detail15normal_iteratorINS6_10device_ptrIKjEEEESL_NS6_8equal_toIjEEEENSG_9not_fun_tINSD_8identityEEEEENSD_19counting_iterator_tIlEES8_S8_S8_S8_S8_S8_S8_S8_EEEEPS9_S9_NSD_9__find_if7functorIS9_EEEE10hipError_tPvRmT1_T2_T3_mT4_P12ihipStream_tbEUlT_E1_NS1_11comp_targetILNS1_3genE0ELNS1_11target_archE4294967295ELNS1_3gpuE0ELNS1_3repE0EEENS1_30default_config_static_selectorELNS0_4arch9wavefront6targetE0EEEvS14_.uses_vcc, 0
	.set _ZN7rocprim17ROCPRIM_400000_NS6detail17trampoline_kernelINS0_14default_configENS1_22reduce_config_selectorIN6thrust23THRUST_200600_302600_NS5tupleIblNS6_9null_typeES8_S8_S8_S8_S8_S8_S8_EEEEZNS1_11reduce_implILb1ES3_NS6_12zip_iteratorINS7_INS6_11hip_rocprim26transform_input_iterator_tIbNSD_35transform_pair_of_input_iterators_tIbNS6_6detail15normal_iteratorINS6_10device_ptrIKjEEEESL_NS6_8equal_toIjEEEENSG_9not_fun_tINSD_8identityEEEEENSD_19counting_iterator_tIlEES8_S8_S8_S8_S8_S8_S8_S8_EEEEPS9_S9_NSD_9__find_if7functorIS9_EEEE10hipError_tPvRmT1_T2_T3_mT4_P12ihipStream_tbEUlT_E1_NS1_11comp_targetILNS1_3genE0ELNS1_11target_archE4294967295ELNS1_3gpuE0ELNS1_3repE0EEENS1_30default_config_static_selectorELNS0_4arch9wavefront6targetE0EEEvS14_.uses_flat_scratch, 0
	.set _ZN7rocprim17ROCPRIM_400000_NS6detail17trampoline_kernelINS0_14default_configENS1_22reduce_config_selectorIN6thrust23THRUST_200600_302600_NS5tupleIblNS6_9null_typeES8_S8_S8_S8_S8_S8_S8_EEEEZNS1_11reduce_implILb1ES3_NS6_12zip_iteratorINS7_INS6_11hip_rocprim26transform_input_iterator_tIbNSD_35transform_pair_of_input_iterators_tIbNS6_6detail15normal_iteratorINS6_10device_ptrIKjEEEESL_NS6_8equal_toIjEEEENSG_9not_fun_tINSD_8identityEEEEENSD_19counting_iterator_tIlEES8_S8_S8_S8_S8_S8_S8_S8_EEEEPS9_S9_NSD_9__find_if7functorIS9_EEEE10hipError_tPvRmT1_T2_T3_mT4_P12ihipStream_tbEUlT_E1_NS1_11comp_targetILNS1_3genE0ELNS1_11target_archE4294967295ELNS1_3gpuE0ELNS1_3repE0EEENS1_30default_config_static_selectorELNS0_4arch9wavefront6targetE0EEEvS14_.has_dyn_sized_stack, 0
	.set _ZN7rocprim17ROCPRIM_400000_NS6detail17trampoline_kernelINS0_14default_configENS1_22reduce_config_selectorIN6thrust23THRUST_200600_302600_NS5tupleIblNS6_9null_typeES8_S8_S8_S8_S8_S8_S8_EEEEZNS1_11reduce_implILb1ES3_NS6_12zip_iteratorINS7_INS6_11hip_rocprim26transform_input_iterator_tIbNSD_35transform_pair_of_input_iterators_tIbNS6_6detail15normal_iteratorINS6_10device_ptrIKjEEEESL_NS6_8equal_toIjEEEENSG_9not_fun_tINSD_8identityEEEEENSD_19counting_iterator_tIlEES8_S8_S8_S8_S8_S8_S8_S8_EEEEPS9_S9_NSD_9__find_if7functorIS9_EEEE10hipError_tPvRmT1_T2_T3_mT4_P12ihipStream_tbEUlT_E1_NS1_11comp_targetILNS1_3genE0ELNS1_11target_archE4294967295ELNS1_3gpuE0ELNS1_3repE0EEENS1_30default_config_static_selectorELNS0_4arch9wavefront6targetE0EEEvS14_.has_recursion, 0
	.set _ZN7rocprim17ROCPRIM_400000_NS6detail17trampoline_kernelINS0_14default_configENS1_22reduce_config_selectorIN6thrust23THRUST_200600_302600_NS5tupleIblNS6_9null_typeES8_S8_S8_S8_S8_S8_S8_EEEEZNS1_11reduce_implILb1ES3_NS6_12zip_iteratorINS7_INS6_11hip_rocprim26transform_input_iterator_tIbNSD_35transform_pair_of_input_iterators_tIbNS6_6detail15normal_iteratorINS6_10device_ptrIKjEEEESL_NS6_8equal_toIjEEEENSG_9not_fun_tINSD_8identityEEEEENSD_19counting_iterator_tIlEES8_S8_S8_S8_S8_S8_S8_S8_EEEEPS9_S9_NSD_9__find_if7functorIS9_EEEE10hipError_tPvRmT1_T2_T3_mT4_P12ihipStream_tbEUlT_E1_NS1_11comp_targetILNS1_3genE0ELNS1_11target_archE4294967295ELNS1_3gpuE0ELNS1_3repE0EEENS1_30default_config_static_selectorELNS0_4arch9wavefront6targetE0EEEvS14_.has_indirect_call, 0
	.section	.AMDGPU.csdata,"",@progbits
; Kernel info:
; codeLenInByte = 0
; TotalNumSgprs: 0
; NumVgprs: 0
; ScratchSize: 0
; MemoryBound: 0
; FloatMode: 240
; IeeeMode: 1
; LDSByteSize: 0 bytes/workgroup (compile time only)
; SGPRBlocks: 0
; VGPRBlocks: 0
; NumSGPRsForWavesPerEU: 1
; NumVGPRsForWavesPerEU: 1
; Occupancy: 16
; WaveLimiterHint : 0
; COMPUTE_PGM_RSRC2:SCRATCH_EN: 0
; COMPUTE_PGM_RSRC2:USER_SGPR: 6
; COMPUTE_PGM_RSRC2:TRAP_HANDLER: 0
; COMPUTE_PGM_RSRC2:TGID_X_EN: 1
; COMPUTE_PGM_RSRC2:TGID_Y_EN: 0
; COMPUTE_PGM_RSRC2:TGID_Z_EN: 0
; COMPUTE_PGM_RSRC2:TIDIG_COMP_CNT: 0
	.section	.text._ZN7rocprim17ROCPRIM_400000_NS6detail17trampoline_kernelINS0_14default_configENS1_22reduce_config_selectorIN6thrust23THRUST_200600_302600_NS5tupleIblNS6_9null_typeES8_S8_S8_S8_S8_S8_S8_EEEEZNS1_11reduce_implILb1ES3_NS6_12zip_iteratorINS7_INS6_11hip_rocprim26transform_input_iterator_tIbNSD_35transform_pair_of_input_iterators_tIbNS6_6detail15normal_iteratorINS6_10device_ptrIKjEEEESL_NS6_8equal_toIjEEEENSG_9not_fun_tINSD_8identityEEEEENSD_19counting_iterator_tIlEES8_S8_S8_S8_S8_S8_S8_S8_EEEEPS9_S9_NSD_9__find_if7functorIS9_EEEE10hipError_tPvRmT1_T2_T3_mT4_P12ihipStream_tbEUlT_E1_NS1_11comp_targetILNS1_3genE5ELNS1_11target_archE942ELNS1_3gpuE9ELNS1_3repE0EEENS1_30default_config_static_selectorELNS0_4arch9wavefront6targetE0EEEvS14_,"axG",@progbits,_ZN7rocprim17ROCPRIM_400000_NS6detail17trampoline_kernelINS0_14default_configENS1_22reduce_config_selectorIN6thrust23THRUST_200600_302600_NS5tupleIblNS6_9null_typeES8_S8_S8_S8_S8_S8_S8_EEEEZNS1_11reduce_implILb1ES3_NS6_12zip_iteratorINS7_INS6_11hip_rocprim26transform_input_iterator_tIbNSD_35transform_pair_of_input_iterators_tIbNS6_6detail15normal_iteratorINS6_10device_ptrIKjEEEESL_NS6_8equal_toIjEEEENSG_9not_fun_tINSD_8identityEEEEENSD_19counting_iterator_tIlEES8_S8_S8_S8_S8_S8_S8_S8_EEEEPS9_S9_NSD_9__find_if7functorIS9_EEEE10hipError_tPvRmT1_T2_T3_mT4_P12ihipStream_tbEUlT_E1_NS1_11comp_targetILNS1_3genE5ELNS1_11target_archE942ELNS1_3gpuE9ELNS1_3repE0EEENS1_30default_config_static_selectorELNS0_4arch9wavefront6targetE0EEEvS14_,comdat
	.protected	_ZN7rocprim17ROCPRIM_400000_NS6detail17trampoline_kernelINS0_14default_configENS1_22reduce_config_selectorIN6thrust23THRUST_200600_302600_NS5tupleIblNS6_9null_typeES8_S8_S8_S8_S8_S8_S8_EEEEZNS1_11reduce_implILb1ES3_NS6_12zip_iteratorINS7_INS6_11hip_rocprim26transform_input_iterator_tIbNSD_35transform_pair_of_input_iterators_tIbNS6_6detail15normal_iteratorINS6_10device_ptrIKjEEEESL_NS6_8equal_toIjEEEENSG_9not_fun_tINSD_8identityEEEEENSD_19counting_iterator_tIlEES8_S8_S8_S8_S8_S8_S8_S8_EEEEPS9_S9_NSD_9__find_if7functorIS9_EEEE10hipError_tPvRmT1_T2_T3_mT4_P12ihipStream_tbEUlT_E1_NS1_11comp_targetILNS1_3genE5ELNS1_11target_archE942ELNS1_3gpuE9ELNS1_3repE0EEENS1_30default_config_static_selectorELNS0_4arch9wavefront6targetE0EEEvS14_ ; -- Begin function _ZN7rocprim17ROCPRIM_400000_NS6detail17trampoline_kernelINS0_14default_configENS1_22reduce_config_selectorIN6thrust23THRUST_200600_302600_NS5tupleIblNS6_9null_typeES8_S8_S8_S8_S8_S8_S8_EEEEZNS1_11reduce_implILb1ES3_NS6_12zip_iteratorINS7_INS6_11hip_rocprim26transform_input_iterator_tIbNSD_35transform_pair_of_input_iterators_tIbNS6_6detail15normal_iteratorINS6_10device_ptrIKjEEEESL_NS6_8equal_toIjEEEENSG_9not_fun_tINSD_8identityEEEEENSD_19counting_iterator_tIlEES8_S8_S8_S8_S8_S8_S8_S8_EEEEPS9_S9_NSD_9__find_if7functorIS9_EEEE10hipError_tPvRmT1_T2_T3_mT4_P12ihipStream_tbEUlT_E1_NS1_11comp_targetILNS1_3genE5ELNS1_11target_archE942ELNS1_3gpuE9ELNS1_3repE0EEENS1_30default_config_static_selectorELNS0_4arch9wavefront6targetE0EEEvS14_
	.globl	_ZN7rocprim17ROCPRIM_400000_NS6detail17trampoline_kernelINS0_14default_configENS1_22reduce_config_selectorIN6thrust23THRUST_200600_302600_NS5tupleIblNS6_9null_typeES8_S8_S8_S8_S8_S8_S8_EEEEZNS1_11reduce_implILb1ES3_NS6_12zip_iteratorINS7_INS6_11hip_rocprim26transform_input_iterator_tIbNSD_35transform_pair_of_input_iterators_tIbNS6_6detail15normal_iteratorINS6_10device_ptrIKjEEEESL_NS6_8equal_toIjEEEENSG_9not_fun_tINSD_8identityEEEEENSD_19counting_iterator_tIlEES8_S8_S8_S8_S8_S8_S8_S8_EEEEPS9_S9_NSD_9__find_if7functorIS9_EEEE10hipError_tPvRmT1_T2_T3_mT4_P12ihipStream_tbEUlT_E1_NS1_11comp_targetILNS1_3genE5ELNS1_11target_archE942ELNS1_3gpuE9ELNS1_3repE0EEENS1_30default_config_static_selectorELNS0_4arch9wavefront6targetE0EEEvS14_
	.p2align	8
	.type	_ZN7rocprim17ROCPRIM_400000_NS6detail17trampoline_kernelINS0_14default_configENS1_22reduce_config_selectorIN6thrust23THRUST_200600_302600_NS5tupleIblNS6_9null_typeES8_S8_S8_S8_S8_S8_S8_EEEEZNS1_11reduce_implILb1ES3_NS6_12zip_iteratorINS7_INS6_11hip_rocprim26transform_input_iterator_tIbNSD_35transform_pair_of_input_iterators_tIbNS6_6detail15normal_iteratorINS6_10device_ptrIKjEEEESL_NS6_8equal_toIjEEEENSG_9not_fun_tINSD_8identityEEEEENSD_19counting_iterator_tIlEES8_S8_S8_S8_S8_S8_S8_S8_EEEEPS9_S9_NSD_9__find_if7functorIS9_EEEE10hipError_tPvRmT1_T2_T3_mT4_P12ihipStream_tbEUlT_E1_NS1_11comp_targetILNS1_3genE5ELNS1_11target_archE942ELNS1_3gpuE9ELNS1_3repE0EEENS1_30default_config_static_selectorELNS0_4arch9wavefront6targetE0EEEvS14_,@function
_ZN7rocprim17ROCPRIM_400000_NS6detail17trampoline_kernelINS0_14default_configENS1_22reduce_config_selectorIN6thrust23THRUST_200600_302600_NS5tupleIblNS6_9null_typeES8_S8_S8_S8_S8_S8_S8_EEEEZNS1_11reduce_implILb1ES3_NS6_12zip_iteratorINS7_INS6_11hip_rocprim26transform_input_iterator_tIbNSD_35transform_pair_of_input_iterators_tIbNS6_6detail15normal_iteratorINS6_10device_ptrIKjEEEESL_NS6_8equal_toIjEEEENSG_9not_fun_tINSD_8identityEEEEENSD_19counting_iterator_tIlEES8_S8_S8_S8_S8_S8_S8_S8_EEEEPS9_S9_NSD_9__find_if7functorIS9_EEEE10hipError_tPvRmT1_T2_T3_mT4_P12ihipStream_tbEUlT_E1_NS1_11comp_targetILNS1_3genE5ELNS1_11target_archE942ELNS1_3gpuE9ELNS1_3repE0EEENS1_30default_config_static_selectorELNS0_4arch9wavefront6targetE0EEEvS14_: ; @_ZN7rocprim17ROCPRIM_400000_NS6detail17trampoline_kernelINS0_14default_configENS1_22reduce_config_selectorIN6thrust23THRUST_200600_302600_NS5tupleIblNS6_9null_typeES8_S8_S8_S8_S8_S8_S8_EEEEZNS1_11reduce_implILb1ES3_NS6_12zip_iteratorINS7_INS6_11hip_rocprim26transform_input_iterator_tIbNSD_35transform_pair_of_input_iterators_tIbNS6_6detail15normal_iteratorINS6_10device_ptrIKjEEEESL_NS6_8equal_toIjEEEENSG_9not_fun_tINSD_8identityEEEEENSD_19counting_iterator_tIlEES8_S8_S8_S8_S8_S8_S8_S8_EEEEPS9_S9_NSD_9__find_if7functorIS9_EEEE10hipError_tPvRmT1_T2_T3_mT4_P12ihipStream_tbEUlT_E1_NS1_11comp_targetILNS1_3genE5ELNS1_11target_archE942ELNS1_3gpuE9ELNS1_3repE0EEENS1_30default_config_static_selectorELNS0_4arch9wavefront6targetE0EEEvS14_
; %bb.0:
	.section	.rodata,"a",@progbits
	.p2align	6, 0x0
	.amdhsa_kernel _ZN7rocprim17ROCPRIM_400000_NS6detail17trampoline_kernelINS0_14default_configENS1_22reduce_config_selectorIN6thrust23THRUST_200600_302600_NS5tupleIblNS6_9null_typeES8_S8_S8_S8_S8_S8_S8_EEEEZNS1_11reduce_implILb1ES3_NS6_12zip_iteratorINS7_INS6_11hip_rocprim26transform_input_iterator_tIbNSD_35transform_pair_of_input_iterators_tIbNS6_6detail15normal_iteratorINS6_10device_ptrIKjEEEESL_NS6_8equal_toIjEEEENSG_9not_fun_tINSD_8identityEEEEENSD_19counting_iterator_tIlEES8_S8_S8_S8_S8_S8_S8_S8_EEEEPS9_S9_NSD_9__find_if7functorIS9_EEEE10hipError_tPvRmT1_T2_T3_mT4_P12ihipStream_tbEUlT_E1_NS1_11comp_targetILNS1_3genE5ELNS1_11target_archE942ELNS1_3gpuE9ELNS1_3repE0EEENS1_30default_config_static_selectorELNS0_4arch9wavefront6targetE0EEEvS14_
		.amdhsa_group_segment_fixed_size 0
		.amdhsa_private_segment_fixed_size 0
		.amdhsa_kernarg_size 88
		.amdhsa_user_sgpr_count 6
		.amdhsa_user_sgpr_private_segment_buffer 1
		.amdhsa_user_sgpr_dispatch_ptr 0
		.amdhsa_user_sgpr_queue_ptr 0
		.amdhsa_user_sgpr_kernarg_segment_ptr 1
		.amdhsa_user_sgpr_dispatch_id 0
		.amdhsa_user_sgpr_flat_scratch_init 0
		.amdhsa_user_sgpr_private_segment_size 0
		.amdhsa_wavefront_size32 1
		.amdhsa_uses_dynamic_stack 0
		.amdhsa_system_sgpr_private_segment_wavefront_offset 0
		.amdhsa_system_sgpr_workgroup_id_x 1
		.amdhsa_system_sgpr_workgroup_id_y 0
		.amdhsa_system_sgpr_workgroup_id_z 0
		.amdhsa_system_sgpr_workgroup_info 0
		.amdhsa_system_vgpr_workitem_id 0
		.amdhsa_next_free_vgpr 1
		.amdhsa_next_free_sgpr 1
		.amdhsa_reserve_vcc 0
		.amdhsa_reserve_flat_scratch 0
		.amdhsa_float_round_mode_32 0
		.amdhsa_float_round_mode_16_64 0
		.amdhsa_float_denorm_mode_32 3
		.amdhsa_float_denorm_mode_16_64 3
		.amdhsa_dx10_clamp 1
		.amdhsa_ieee_mode 1
		.amdhsa_fp16_overflow 0
		.amdhsa_workgroup_processor_mode 1
		.amdhsa_memory_ordered 1
		.amdhsa_forward_progress 1
		.amdhsa_shared_vgpr_count 0
		.amdhsa_exception_fp_ieee_invalid_op 0
		.amdhsa_exception_fp_denorm_src 0
		.amdhsa_exception_fp_ieee_div_zero 0
		.amdhsa_exception_fp_ieee_overflow 0
		.amdhsa_exception_fp_ieee_underflow 0
		.amdhsa_exception_fp_ieee_inexact 0
		.amdhsa_exception_int_div_zero 0
	.end_amdhsa_kernel
	.section	.text._ZN7rocprim17ROCPRIM_400000_NS6detail17trampoline_kernelINS0_14default_configENS1_22reduce_config_selectorIN6thrust23THRUST_200600_302600_NS5tupleIblNS6_9null_typeES8_S8_S8_S8_S8_S8_S8_EEEEZNS1_11reduce_implILb1ES3_NS6_12zip_iteratorINS7_INS6_11hip_rocprim26transform_input_iterator_tIbNSD_35transform_pair_of_input_iterators_tIbNS6_6detail15normal_iteratorINS6_10device_ptrIKjEEEESL_NS6_8equal_toIjEEEENSG_9not_fun_tINSD_8identityEEEEENSD_19counting_iterator_tIlEES8_S8_S8_S8_S8_S8_S8_S8_EEEEPS9_S9_NSD_9__find_if7functorIS9_EEEE10hipError_tPvRmT1_T2_T3_mT4_P12ihipStream_tbEUlT_E1_NS1_11comp_targetILNS1_3genE5ELNS1_11target_archE942ELNS1_3gpuE9ELNS1_3repE0EEENS1_30default_config_static_selectorELNS0_4arch9wavefront6targetE0EEEvS14_,"axG",@progbits,_ZN7rocprim17ROCPRIM_400000_NS6detail17trampoline_kernelINS0_14default_configENS1_22reduce_config_selectorIN6thrust23THRUST_200600_302600_NS5tupleIblNS6_9null_typeES8_S8_S8_S8_S8_S8_S8_EEEEZNS1_11reduce_implILb1ES3_NS6_12zip_iteratorINS7_INS6_11hip_rocprim26transform_input_iterator_tIbNSD_35transform_pair_of_input_iterators_tIbNS6_6detail15normal_iteratorINS6_10device_ptrIKjEEEESL_NS6_8equal_toIjEEEENSG_9not_fun_tINSD_8identityEEEEENSD_19counting_iterator_tIlEES8_S8_S8_S8_S8_S8_S8_S8_EEEEPS9_S9_NSD_9__find_if7functorIS9_EEEE10hipError_tPvRmT1_T2_T3_mT4_P12ihipStream_tbEUlT_E1_NS1_11comp_targetILNS1_3genE5ELNS1_11target_archE942ELNS1_3gpuE9ELNS1_3repE0EEENS1_30default_config_static_selectorELNS0_4arch9wavefront6targetE0EEEvS14_,comdat
.Lfunc_end214:
	.size	_ZN7rocprim17ROCPRIM_400000_NS6detail17trampoline_kernelINS0_14default_configENS1_22reduce_config_selectorIN6thrust23THRUST_200600_302600_NS5tupleIblNS6_9null_typeES8_S8_S8_S8_S8_S8_S8_EEEEZNS1_11reduce_implILb1ES3_NS6_12zip_iteratorINS7_INS6_11hip_rocprim26transform_input_iterator_tIbNSD_35transform_pair_of_input_iterators_tIbNS6_6detail15normal_iteratorINS6_10device_ptrIKjEEEESL_NS6_8equal_toIjEEEENSG_9not_fun_tINSD_8identityEEEEENSD_19counting_iterator_tIlEES8_S8_S8_S8_S8_S8_S8_S8_EEEEPS9_S9_NSD_9__find_if7functorIS9_EEEE10hipError_tPvRmT1_T2_T3_mT4_P12ihipStream_tbEUlT_E1_NS1_11comp_targetILNS1_3genE5ELNS1_11target_archE942ELNS1_3gpuE9ELNS1_3repE0EEENS1_30default_config_static_selectorELNS0_4arch9wavefront6targetE0EEEvS14_, .Lfunc_end214-_ZN7rocprim17ROCPRIM_400000_NS6detail17trampoline_kernelINS0_14default_configENS1_22reduce_config_selectorIN6thrust23THRUST_200600_302600_NS5tupleIblNS6_9null_typeES8_S8_S8_S8_S8_S8_S8_EEEEZNS1_11reduce_implILb1ES3_NS6_12zip_iteratorINS7_INS6_11hip_rocprim26transform_input_iterator_tIbNSD_35transform_pair_of_input_iterators_tIbNS6_6detail15normal_iteratorINS6_10device_ptrIKjEEEESL_NS6_8equal_toIjEEEENSG_9not_fun_tINSD_8identityEEEEENSD_19counting_iterator_tIlEES8_S8_S8_S8_S8_S8_S8_S8_EEEEPS9_S9_NSD_9__find_if7functorIS9_EEEE10hipError_tPvRmT1_T2_T3_mT4_P12ihipStream_tbEUlT_E1_NS1_11comp_targetILNS1_3genE5ELNS1_11target_archE942ELNS1_3gpuE9ELNS1_3repE0EEENS1_30default_config_static_selectorELNS0_4arch9wavefront6targetE0EEEvS14_
                                        ; -- End function
	.set _ZN7rocprim17ROCPRIM_400000_NS6detail17trampoline_kernelINS0_14default_configENS1_22reduce_config_selectorIN6thrust23THRUST_200600_302600_NS5tupleIblNS6_9null_typeES8_S8_S8_S8_S8_S8_S8_EEEEZNS1_11reduce_implILb1ES3_NS6_12zip_iteratorINS7_INS6_11hip_rocprim26transform_input_iterator_tIbNSD_35transform_pair_of_input_iterators_tIbNS6_6detail15normal_iteratorINS6_10device_ptrIKjEEEESL_NS6_8equal_toIjEEEENSG_9not_fun_tINSD_8identityEEEEENSD_19counting_iterator_tIlEES8_S8_S8_S8_S8_S8_S8_S8_EEEEPS9_S9_NSD_9__find_if7functorIS9_EEEE10hipError_tPvRmT1_T2_T3_mT4_P12ihipStream_tbEUlT_E1_NS1_11comp_targetILNS1_3genE5ELNS1_11target_archE942ELNS1_3gpuE9ELNS1_3repE0EEENS1_30default_config_static_selectorELNS0_4arch9wavefront6targetE0EEEvS14_.num_vgpr, 0
	.set _ZN7rocprim17ROCPRIM_400000_NS6detail17trampoline_kernelINS0_14default_configENS1_22reduce_config_selectorIN6thrust23THRUST_200600_302600_NS5tupleIblNS6_9null_typeES8_S8_S8_S8_S8_S8_S8_EEEEZNS1_11reduce_implILb1ES3_NS6_12zip_iteratorINS7_INS6_11hip_rocprim26transform_input_iterator_tIbNSD_35transform_pair_of_input_iterators_tIbNS6_6detail15normal_iteratorINS6_10device_ptrIKjEEEESL_NS6_8equal_toIjEEEENSG_9not_fun_tINSD_8identityEEEEENSD_19counting_iterator_tIlEES8_S8_S8_S8_S8_S8_S8_S8_EEEEPS9_S9_NSD_9__find_if7functorIS9_EEEE10hipError_tPvRmT1_T2_T3_mT4_P12ihipStream_tbEUlT_E1_NS1_11comp_targetILNS1_3genE5ELNS1_11target_archE942ELNS1_3gpuE9ELNS1_3repE0EEENS1_30default_config_static_selectorELNS0_4arch9wavefront6targetE0EEEvS14_.num_agpr, 0
	.set _ZN7rocprim17ROCPRIM_400000_NS6detail17trampoline_kernelINS0_14default_configENS1_22reduce_config_selectorIN6thrust23THRUST_200600_302600_NS5tupleIblNS6_9null_typeES8_S8_S8_S8_S8_S8_S8_EEEEZNS1_11reduce_implILb1ES3_NS6_12zip_iteratorINS7_INS6_11hip_rocprim26transform_input_iterator_tIbNSD_35transform_pair_of_input_iterators_tIbNS6_6detail15normal_iteratorINS6_10device_ptrIKjEEEESL_NS6_8equal_toIjEEEENSG_9not_fun_tINSD_8identityEEEEENSD_19counting_iterator_tIlEES8_S8_S8_S8_S8_S8_S8_S8_EEEEPS9_S9_NSD_9__find_if7functorIS9_EEEE10hipError_tPvRmT1_T2_T3_mT4_P12ihipStream_tbEUlT_E1_NS1_11comp_targetILNS1_3genE5ELNS1_11target_archE942ELNS1_3gpuE9ELNS1_3repE0EEENS1_30default_config_static_selectorELNS0_4arch9wavefront6targetE0EEEvS14_.numbered_sgpr, 0
	.set _ZN7rocprim17ROCPRIM_400000_NS6detail17trampoline_kernelINS0_14default_configENS1_22reduce_config_selectorIN6thrust23THRUST_200600_302600_NS5tupleIblNS6_9null_typeES8_S8_S8_S8_S8_S8_S8_EEEEZNS1_11reduce_implILb1ES3_NS6_12zip_iteratorINS7_INS6_11hip_rocprim26transform_input_iterator_tIbNSD_35transform_pair_of_input_iterators_tIbNS6_6detail15normal_iteratorINS6_10device_ptrIKjEEEESL_NS6_8equal_toIjEEEENSG_9not_fun_tINSD_8identityEEEEENSD_19counting_iterator_tIlEES8_S8_S8_S8_S8_S8_S8_S8_EEEEPS9_S9_NSD_9__find_if7functorIS9_EEEE10hipError_tPvRmT1_T2_T3_mT4_P12ihipStream_tbEUlT_E1_NS1_11comp_targetILNS1_3genE5ELNS1_11target_archE942ELNS1_3gpuE9ELNS1_3repE0EEENS1_30default_config_static_selectorELNS0_4arch9wavefront6targetE0EEEvS14_.num_named_barrier, 0
	.set _ZN7rocprim17ROCPRIM_400000_NS6detail17trampoline_kernelINS0_14default_configENS1_22reduce_config_selectorIN6thrust23THRUST_200600_302600_NS5tupleIblNS6_9null_typeES8_S8_S8_S8_S8_S8_S8_EEEEZNS1_11reduce_implILb1ES3_NS6_12zip_iteratorINS7_INS6_11hip_rocprim26transform_input_iterator_tIbNSD_35transform_pair_of_input_iterators_tIbNS6_6detail15normal_iteratorINS6_10device_ptrIKjEEEESL_NS6_8equal_toIjEEEENSG_9not_fun_tINSD_8identityEEEEENSD_19counting_iterator_tIlEES8_S8_S8_S8_S8_S8_S8_S8_EEEEPS9_S9_NSD_9__find_if7functorIS9_EEEE10hipError_tPvRmT1_T2_T3_mT4_P12ihipStream_tbEUlT_E1_NS1_11comp_targetILNS1_3genE5ELNS1_11target_archE942ELNS1_3gpuE9ELNS1_3repE0EEENS1_30default_config_static_selectorELNS0_4arch9wavefront6targetE0EEEvS14_.private_seg_size, 0
	.set _ZN7rocprim17ROCPRIM_400000_NS6detail17trampoline_kernelINS0_14default_configENS1_22reduce_config_selectorIN6thrust23THRUST_200600_302600_NS5tupleIblNS6_9null_typeES8_S8_S8_S8_S8_S8_S8_EEEEZNS1_11reduce_implILb1ES3_NS6_12zip_iteratorINS7_INS6_11hip_rocprim26transform_input_iterator_tIbNSD_35transform_pair_of_input_iterators_tIbNS6_6detail15normal_iteratorINS6_10device_ptrIKjEEEESL_NS6_8equal_toIjEEEENSG_9not_fun_tINSD_8identityEEEEENSD_19counting_iterator_tIlEES8_S8_S8_S8_S8_S8_S8_S8_EEEEPS9_S9_NSD_9__find_if7functorIS9_EEEE10hipError_tPvRmT1_T2_T3_mT4_P12ihipStream_tbEUlT_E1_NS1_11comp_targetILNS1_3genE5ELNS1_11target_archE942ELNS1_3gpuE9ELNS1_3repE0EEENS1_30default_config_static_selectorELNS0_4arch9wavefront6targetE0EEEvS14_.uses_vcc, 0
	.set _ZN7rocprim17ROCPRIM_400000_NS6detail17trampoline_kernelINS0_14default_configENS1_22reduce_config_selectorIN6thrust23THRUST_200600_302600_NS5tupleIblNS6_9null_typeES8_S8_S8_S8_S8_S8_S8_EEEEZNS1_11reduce_implILb1ES3_NS6_12zip_iteratorINS7_INS6_11hip_rocprim26transform_input_iterator_tIbNSD_35transform_pair_of_input_iterators_tIbNS6_6detail15normal_iteratorINS6_10device_ptrIKjEEEESL_NS6_8equal_toIjEEEENSG_9not_fun_tINSD_8identityEEEEENSD_19counting_iterator_tIlEES8_S8_S8_S8_S8_S8_S8_S8_EEEEPS9_S9_NSD_9__find_if7functorIS9_EEEE10hipError_tPvRmT1_T2_T3_mT4_P12ihipStream_tbEUlT_E1_NS1_11comp_targetILNS1_3genE5ELNS1_11target_archE942ELNS1_3gpuE9ELNS1_3repE0EEENS1_30default_config_static_selectorELNS0_4arch9wavefront6targetE0EEEvS14_.uses_flat_scratch, 0
	.set _ZN7rocprim17ROCPRIM_400000_NS6detail17trampoline_kernelINS0_14default_configENS1_22reduce_config_selectorIN6thrust23THRUST_200600_302600_NS5tupleIblNS6_9null_typeES8_S8_S8_S8_S8_S8_S8_EEEEZNS1_11reduce_implILb1ES3_NS6_12zip_iteratorINS7_INS6_11hip_rocprim26transform_input_iterator_tIbNSD_35transform_pair_of_input_iterators_tIbNS6_6detail15normal_iteratorINS6_10device_ptrIKjEEEESL_NS6_8equal_toIjEEEENSG_9not_fun_tINSD_8identityEEEEENSD_19counting_iterator_tIlEES8_S8_S8_S8_S8_S8_S8_S8_EEEEPS9_S9_NSD_9__find_if7functorIS9_EEEE10hipError_tPvRmT1_T2_T3_mT4_P12ihipStream_tbEUlT_E1_NS1_11comp_targetILNS1_3genE5ELNS1_11target_archE942ELNS1_3gpuE9ELNS1_3repE0EEENS1_30default_config_static_selectorELNS0_4arch9wavefront6targetE0EEEvS14_.has_dyn_sized_stack, 0
	.set _ZN7rocprim17ROCPRIM_400000_NS6detail17trampoline_kernelINS0_14default_configENS1_22reduce_config_selectorIN6thrust23THRUST_200600_302600_NS5tupleIblNS6_9null_typeES8_S8_S8_S8_S8_S8_S8_EEEEZNS1_11reduce_implILb1ES3_NS6_12zip_iteratorINS7_INS6_11hip_rocprim26transform_input_iterator_tIbNSD_35transform_pair_of_input_iterators_tIbNS6_6detail15normal_iteratorINS6_10device_ptrIKjEEEESL_NS6_8equal_toIjEEEENSG_9not_fun_tINSD_8identityEEEEENSD_19counting_iterator_tIlEES8_S8_S8_S8_S8_S8_S8_S8_EEEEPS9_S9_NSD_9__find_if7functorIS9_EEEE10hipError_tPvRmT1_T2_T3_mT4_P12ihipStream_tbEUlT_E1_NS1_11comp_targetILNS1_3genE5ELNS1_11target_archE942ELNS1_3gpuE9ELNS1_3repE0EEENS1_30default_config_static_selectorELNS0_4arch9wavefront6targetE0EEEvS14_.has_recursion, 0
	.set _ZN7rocprim17ROCPRIM_400000_NS6detail17trampoline_kernelINS0_14default_configENS1_22reduce_config_selectorIN6thrust23THRUST_200600_302600_NS5tupleIblNS6_9null_typeES8_S8_S8_S8_S8_S8_S8_EEEEZNS1_11reduce_implILb1ES3_NS6_12zip_iteratorINS7_INS6_11hip_rocprim26transform_input_iterator_tIbNSD_35transform_pair_of_input_iterators_tIbNS6_6detail15normal_iteratorINS6_10device_ptrIKjEEEESL_NS6_8equal_toIjEEEENSG_9not_fun_tINSD_8identityEEEEENSD_19counting_iterator_tIlEES8_S8_S8_S8_S8_S8_S8_S8_EEEEPS9_S9_NSD_9__find_if7functorIS9_EEEE10hipError_tPvRmT1_T2_T3_mT4_P12ihipStream_tbEUlT_E1_NS1_11comp_targetILNS1_3genE5ELNS1_11target_archE942ELNS1_3gpuE9ELNS1_3repE0EEENS1_30default_config_static_selectorELNS0_4arch9wavefront6targetE0EEEvS14_.has_indirect_call, 0
	.section	.AMDGPU.csdata,"",@progbits
; Kernel info:
; codeLenInByte = 0
; TotalNumSgprs: 0
; NumVgprs: 0
; ScratchSize: 0
; MemoryBound: 0
; FloatMode: 240
; IeeeMode: 1
; LDSByteSize: 0 bytes/workgroup (compile time only)
; SGPRBlocks: 0
; VGPRBlocks: 0
; NumSGPRsForWavesPerEU: 1
; NumVGPRsForWavesPerEU: 1
; Occupancy: 16
; WaveLimiterHint : 0
; COMPUTE_PGM_RSRC2:SCRATCH_EN: 0
; COMPUTE_PGM_RSRC2:USER_SGPR: 6
; COMPUTE_PGM_RSRC2:TRAP_HANDLER: 0
; COMPUTE_PGM_RSRC2:TGID_X_EN: 1
; COMPUTE_PGM_RSRC2:TGID_Y_EN: 0
; COMPUTE_PGM_RSRC2:TGID_Z_EN: 0
; COMPUTE_PGM_RSRC2:TIDIG_COMP_CNT: 0
	.section	.text._ZN7rocprim17ROCPRIM_400000_NS6detail17trampoline_kernelINS0_14default_configENS1_22reduce_config_selectorIN6thrust23THRUST_200600_302600_NS5tupleIblNS6_9null_typeES8_S8_S8_S8_S8_S8_S8_EEEEZNS1_11reduce_implILb1ES3_NS6_12zip_iteratorINS7_INS6_11hip_rocprim26transform_input_iterator_tIbNSD_35transform_pair_of_input_iterators_tIbNS6_6detail15normal_iteratorINS6_10device_ptrIKjEEEESL_NS6_8equal_toIjEEEENSG_9not_fun_tINSD_8identityEEEEENSD_19counting_iterator_tIlEES8_S8_S8_S8_S8_S8_S8_S8_EEEEPS9_S9_NSD_9__find_if7functorIS9_EEEE10hipError_tPvRmT1_T2_T3_mT4_P12ihipStream_tbEUlT_E1_NS1_11comp_targetILNS1_3genE4ELNS1_11target_archE910ELNS1_3gpuE8ELNS1_3repE0EEENS1_30default_config_static_selectorELNS0_4arch9wavefront6targetE0EEEvS14_,"axG",@progbits,_ZN7rocprim17ROCPRIM_400000_NS6detail17trampoline_kernelINS0_14default_configENS1_22reduce_config_selectorIN6thrust23THRUST_200600_302600_NS5tupleIblNS6_9null_typeES8_S8_S8_S8_S8_S8_S8_EEEEZNS1_11reduce_implILb1ES3_NS6_12zip_iteratorINS7_INS6_11hip_rocprim26transform_input_iterator_tIbNSD_35transform_pair_of_input_iterators_tIbNS6_6detail15normal_iteratorINS6_10device_ptrIKjEEEESL_NS6_8equal_toIjEEEENSG_9not_fun_tINSD_8identityEEEEENSD_19counting_iterator_tIlEES8_S8_S8_S8_S8_S8_S8_S8_EEEEPS9_S9_NSD_9__find_if7functorIS9_EEEE10hipError_tPvRmT1_T2_T3_mT4_P12ihipStream_tbEUlT_E1_NS1_11comp_targetILNS1_3genE4ELNS1_11target_archE910ELNS1_3gpuE8ELNS1_3repE0EEENS1_30default_config_static_selectorELNS0_4arch9wavefront6targetE0EEEvS14_,comdat
	.protected	_ZN7rocprim17ROCPRIM_400000_NS6detail17trampoline_kernelINS0_14default_configENS1_22reduce_config_selectorIN6thrust23THRUST_200600_302600_NS5tupleIblNS6_9null_typeES8_S8_S8_S8_S8_S8_S8_EEEEZNS1_11reduce_implILb1ES3_NS6_12zip_iteratorINS7_INS6_11hip_rocprim26transform_input_iterator_tIbNSD_35transform_pair_of_input_iterators_tIbNS6_6detail15normal_iteratorINS6_10device_ptrIKjEEEESL_NS6_8equal_toIjEEEENSG_9not_fun_tINSD_8identityEEEEENSD_19counting_iterator_tIlEES8_S8_S8_S8_S8_S8_S8_S8_EEEEPS9_S9_NSD_9__find_if7functorIS9_EEEE10hipError_tPvRmT1_T2_T3_mT4_P12ihipStream_tbEUlT_E1_NS1_11comp_targetILNS1_3genE4ELNS1_11target_archE910ELNS1_3gpuE8ELNS1_3repE0EEENS1_30default_config_static_selectorELNS0_4arch9wavefront6targetE0EEEvS14_ ; -- Begin function _ZN7rocprim17ROCPRIM_400000_NS6detail17trampoline_kernelINS0_14default_configENS1_22reduce_config_selectorIN6thrust23THRUST_200600_302600_NS5tupleIblNS6_9null_typeES8_S8_S8_S8_S8_S8_S8_EEEEZNS1_11reduce_implILb1ES3_NS6_12zip_iteratorINS7_INS6_11hip_rocprim26transform_input_iterator_tIbNSD_35transform_pair_of_input_iterators_tIbNS6_6detail15normal_iteratorINS6_10device_ptrIKjEEEESL_NS6_8equal_toIjEEEENSG_9not_fun_tINSD_8identityEEEEENSD_19counting_iterator_tIlEES8_S8_S8_S8_S8_S8_S8_S8_EEEEPS9_S9_NSD_9__find_if7functorIS9_EEEE10hipError_tPvRmT1_T2_T3_mT4_P12ihipStream_tbEUlT_E1_NS1_11comp_targetILNS1_3genE4ELNS1_11target_archE910ELNS1_3gpuE8ELNS1_3repE0EEENS1_30default_config_static_selectorELNS0_4arch9wavefront6targetE0EEEvS14_
	.globl	_ZN7rocprim17ROCPRIM_400000_NS6detail17trampoline_kernelINS0_14default_configENS1_22reduce_config_selectorIN6thrust23THRUST_200600_302600_NS5tupleIblNS6_9null_typeES8_S8_S8_S8_S8_S8_S8_EEEEZNS1_11reduce_implILb1ES3_NS6_12zip_iteratorINS7_INS6_11hip_rocprim26transform_input_iterator_tIbNSD_35transform_pair_of_input_iterators_tIbNS6_6detail15normal_iteratorINS6_10device_ptrIKjEEEESL_NS6_8equal_toIjEEEENSG_9not_fun_tINSD_8identityEEEEENSD_19counting_iterator_tIlEES8_S8_S8_S8_S8_S8_S8_S8_EEEEPS9_S9_NSD_9__find_if7functorIS9_EEEE10hipError_tPvRmT1_T2_T3_mT4_P12ihipStream_tbEUlT_E1_NS1_11comp_targetILNS1_3genE4ELNS1_11target_archE910ELNS1_3gpuE8ELNS1_3repE0EEENS1_30default_config_static_selectorELNS0_4arch9wavefront6targetE0EEEvS14_
	.p2align	8
	.type	_ZN7rocprim17ROCPRIM_400000_NS6detail17trampoline_kernelINS0_14default_configENS1_22reduce_config_selectorIN6thrust23THRUST_200600_302600_NS5tupleIblNS6_9null_typeES8_S8_S8_S8_S8_S8_S8_EEEEZNS1_11reduce_implILb1ES3_NS6_12zip_iteratorINS7_INS6_11hip_rocprim26transform_input_iterator_tIbNSD_35transform_pair_of_input_iterators_tIbNS6_6detail15normal_iteratorINS6_10device_ptrIKjEEEESL_NS6_8equal_toIjEEEENSG_9not_fun_tINSD_8identityEEEEENSD_19counting_iterator_tIlEES8_S8_S8_S8_S8_S8_S8_S8_EEEEPS9_S9_NSD_9__find_if7functorIS9_EEEE10hipError_tPvRmT1_T2_T3_mT4_P12ihipStream_tbEUlT_E1_NS1_11comp_targetILNS1_3genE4ELNS1_11target_archE910ELNS1_3gpuE8ELNS1_3repE0EEENS1_30default_config_static_selectorELNS0_4arch9wavefront6targetE0EEEvS14_,@function
_ZN7rocprim17ROCPRIM_400000_NS6detail17trampoline_kernelINS0_14default_configENS1_22reduce_config_selectorIN6thrust23THRUST_200600_302600_NS5tupleIblNS6_9null_typeES8_S8_S8_S8_S8_S8_S8_EEEEZNS1_11reduce_implILb1ES3_NS6_12zip_iteratorINS7_INS6_11hip_rocprim26transform_input_iterator_tIbNSD_35transform_pair_of_input_iterators_tIbNS6_6detail15normal_iteratorINS6_10device_ptrIKjEEEESL_NS6_8equal_toIjEEEENSG_9not_fun_tINSD_8identityEEEEENSD_19counting_iterator_tIlEES8_S8_S8_S8_S8_S8_S8_S8_EEEEPS9_S9_NSD_9__find_if7functorIS9_EEEE10hipError_tPvRmT1_T2_T3_mT4_P12ihipStream_tbEUlT_E1_NS1_11comp_targetILNS1_3genE4ELNS1_11target_archE910ELNS1_3gpuE8ELNS1_3repE0EEENS1_30default_config_static_selectorELNS0_4arch9wavefront6targetE0EEEvS14_: ; @_ZN7rocprim17ROCPRIM_400000_NS6detail17trampoline_kernelINS0_14default_configENS1_22reduce_config_selectorIN6thrust23THRUST_200600_302600_NS5tupleIblNS6_9null_typeES8_S8_S8_S8_S8_S8_S8_EEEEZNS1_11reduce_implILb1ES3_NS6_12zip_iteratorINS7_INS6_11hip_rocprim26transform_input_iterator_tIbNSD_35transform_pair_of_input_iterators_tIbNS6_6detail15normal_iteratorINS6_10device_ptrIKjEEEESL_NS6_8equal_toIjEEEENSG_9not_fun_tINSD_8identityEEEEENSD_19counting_iterator_tIlEES8_S8_S8_S8_S8_S8_S8_S8_EEEEPS9_S9_NSD_9__find_if7functorIS9_EEEE10hipError_tPvRmT1_T2_T3_mT4_P12ihipStream_tbEUlT_E1_NS1_11comp_targetILNS1_3genE4ELNS1_11target_archE910ELNS1_3gpuE8ELNS1_3repE0EEENS1_30default_config_static_selectorELNS0_4arch9wavefront6targetE0EEEvS14_
; %bb.0:
	.section	.rodata,"a",@progbits
	.p2align	6, 0x0
	.amdhsa_kernel _ZN7rocprim17ROCPRIM_400000_NS6detail17trampoline_kernelINS0_14default_configENS1_22reduce_config_selectorIN6thrust23THRUST_200600_302600_NS5tupleIblNS6_9null_typeES8_S8_S8_S8_S8_S8_S8_EEEEZNS1_11reduce_implILb1ES3_NS6_12zip_iteratorINS7_INS6_11hip_rocprim26transform_input_iterator_tIbNSD_35transform_pair_of_input_iterators_tIbNS6_6detail15normal_iteratorINS6_10device_ptrIKjEEEESL_NS6_8equal_toIjEEEENSG_9not_fun_tINSD_8identityEEEEENSD_19counting_iterator_tIlEES8_S8_S8_S8_S8_S8_S8_S8_EEEEPS9_S9_NSD_9__find_if7functorIS9_EEEE10hipError_tPvRmT1_T2_T3_mT4_P12ihipStream_tbEUlT_E1_NS1_11comp_targetILNS1_3genE4ELNS1_11target_archE910ELNS1_3gpuE8ELNS1_3repE0EEENS1_30default_config_static_selectorELNS0_4arch9wavefront6targetE0EEEvS14_
		.amdhsa_group_segment_fixed_size 0
		.amdhsa_private_segment_fixed_size 0
		.amdhsa_kernarg_size 88
		.amdhsa_user_sgpr_count 6
		.amdhsa_user_sgpr_private_segment_buffer 1
		.amdhsa_user_sgpr_dispatch_ptr 0
		.amdhsa_user_sgpr_queue_ptr 0
		.amdhsa_user_sgpr_kernarg_segment_ptr 1
		.amdhsa_user_sgpr_dispatch_id 0
		.amdhsa_user_sgpr_flat_scratch_init 0
		.amdhsa_user_sgpr_private_segment_size 0
		.amdhsa_wavefront_size32 1
		.amdhsa_uses_dynamic_stack 0
		.amdhsa_system_sgpr_private_segment_wavefront_offset 0
		.amdhsa_system_sgpr_workgroup_id_x 1
		.amdhsa_system_sgpr_workgroup_id_y 0
		.amdhsa_system_sgpr_workgroup_id_z 0
		.amdhsa_system_sgpr_workgroup_info 0
		.amdhsa_system_vgpr_workitem_id 0
		.amdhsa_next_free_vgpr 1
		.amdhsa_next_free_sgpr 1
		.amdhsa_reserve_vcc 0
		.amdhsa_reserve_flat_scratch 0
		.amdhsa_float_round_mode_32 0
		.amdhsa_float_round_mode_16_64 0
		.amdhsa_float_denorm_mode_32 3
		.amdhsa_float_denorm_mode_16_64 3
		.amdhsa_dx10_clamp 1
		.amdhsa_ieee_mode 1
		.amdhsa_fp16_overflow 0
		.amdhsa_workgroup_processor_mode 1
		.amdhsa_memory_ordered 1
		.amdhsa_forward_progress 1
		.amdhsa_shared_vgpr_count 0
		.amdhsa_exception_fp_ieee_invalid_op 0
		.amdhsa_exception_fp_denorm_src 0
		.amdhsa_exception_fp_ieee_div_zero 0
		.amdhsa_exception_fp_ieee_overflow 0
		.amdhsa_exception_fp_ieee_underflow 0
		.amdhsa_exception_fp_ieee_inexact 0
		.amdhsa_exception_int_div_zero 0
	.end_amdhsa_kernel
	.section	.text._ZN7rocprim17ROCPRIM_400000_NS6detail17trampoline_kernelINS0_14default_configENS1_22reduce_config_selectorIN6thrust23THRUST_200600_302600_NS5tupleIblNS6_9null_typeES8_S8_S8_S8_S8_S8_S8_EEEEZNS1_11reduce_implILb1ES3_NS6_12zip_iteratorINS7_INS6_11hip_rocprim26transform_input_iterator_tIbNSD_35transform_pair_of_input_iterators_tIbNS6_6detail15normal_iteratorINS6_10device_ptrIKjEEEESL_NS6_8equal_toIjEEEENSG_9not_fun_tINSD_8identityEEEEENSD_19counting_iterator_tIlEES8_S8_S8_S8_S8_S8_S8_S8_EEEEPS9_S9_NSD_9__find_if7functorIS9_EEEE10hipError_tPvRmT1_T2_T3_mT4_P12ihipStream_tbEUlT_E1_NS1_11comp_targetILNS1_3genE4ELNS1_11target_archE910ELNS1_3gpuE8ELNS1_3repE0EEENS1_30default_config_static_selectorELNS0_4arch9wavefront6targetE0EEEvS14_,"axG",@progbits,_ZN7rocprim17ROCPRIM_400000_NS6detail17trampoline_kernelINS0_14default_configENS1_22reduce_config_selectorIN6thrust23THRUST_200600_302600_NS5tupleIblNS6_9null_typeES8_S8_S8_S8_S8_S8_S8_EEEEZNS1_11reduce_implILb1ES3_NS6_12zip_iteratorINS7_INS6_11hip_rocprim26transform_input_iterator_tIbNSD_35transform_pair_of_input_iterators_tIbNS6_6detail15normal_iteratorINS6_10device_ptrIKjEEEESL_NS6_8equal_toIjEEEENSG_9not_fun_tINSD_8identityEEEEENSD_19counting_iterator_tIlEES8_S8_S8_S8_S8_S8_S8_S8_EEEEPS9_S9_NSD_9__find_if7functorIS9_EEEE10hipError_tPvRmT1_T2_T3_mT4_P12ihipStream_tbEUlT_E1_NS1_11comp_targetILNS1_3genE4ELNS1_11target_archE910ELNS1_3gpuE8ELNS1_3repE0EEENS1_30default_config_static_selectorELNS0_4arch9wavefront6targetE0EEEvS14_,comdat
.Lfunc_end215:
	.size	_ZN7rocprim17ROCPRIM_400000_NS6detail17trampoline_kernelINS0_14default_configENS1_22reduce_config_selectorIN6thrust23THRUST_200600_302600_NS5tupleIblNS6_9null_typeES8_S8_S8_S8_S8_S8_S8_EEEEZNS1_11reduce_implILb1ES3_NS6_12zip_iteratorINS7_INS6_11hip_rocprim26transform_input_iterator_tIbNSD_35transform_pair_of_input_iterators_tIbNS6_6detail15normal_iteratorINS6_10device_ptrIKjEEEESL_NS6_8equal_toIjEEEENSG_9not_fun_tINSD_8identityEEEEENSD_19counting_iterator_tIlEES8_S8_S8_S8_S8_S8_S8_S8_EEEEPS9_S9_NSD_9__find_if7functorIS9_EEEE10hipError_tPvRmT1_T2_T3_mT4_P12ihipStream_tbEUlT_E1_NS1_11comp_targetILNS1_3genE4ELNS1_11target_archE910ELNS1_3gpuE8ELNS1_3repE0EEENS1_30default_config_static_selectorELNS0_4arch9wavefront6targetE0EEEvS14_, .Lfunc_end215-_ZN7rocprim17ROCPRIM_400000_NS6detail17trampoline_kernelINS0_14default_configENS1_22reduce_config_selectorIN6thrust23THRUST_200600_302600_NS5tupleIblNS6_9null_typeES8_S8_S8_S8_S8_S8_S8_EEEEZNS1_11reduce_implILb1ES3_NS6_12zip_iteratorINS7_INS6_11hip_rocprim26transform_input_iterator_tIbNSD_35transform_pair_of_input_iterators_tIbNS6_6detail15normal_iteratorINS6_10device_ptrIKjEEEESL_NS6_8equal_toIjEEEENSG_9not_fun_tINSD_8identityEEEEENSD_19counting_iterator_tIlEES8_S8_S8_S8_S8_S8_S8_S8_EEEEPS9_S9_NSD_9__find_if7functorIS9_EEEE10hipError_tPvRmT1_T2_T3_mT4_P12ihipStream_tbEUlT_E1_NS1_11comp_targetILNS1_3genE4ELNS1_11target_archE910ELNS1_3gpuE8ELNS1_3repE0EEENS1_30default_config_static_selectorELNS0_4arch9wavefront6targetE0EEEvS14_
                                        ; -- End function
	.set _ZN7rocprim17ROCPRIM_400000_NS6detail17trampoline_kernelINS0_14default_configENS1_22reduce_config_selectorIN6thrust23THRUST_200600_302600_NS5tupleIblNS6_9null_typeES8_S8_S8_S8_S8_S8_S8_EEEEZNS1_11reduce_implILb1ES3_NS6_12zip_iteratorINS7_INS6_11hip_rocprim26transform_input_iterator_tIbNSD_35transform_pair_of_input_iterators_tIbNS6_6detail15normal_iteratorINS6_10device_ptrIKjEEEESL_NS6_8equal_toIjEEEENSG_9not_fun_tINSD_8identityEEEEENSD_19counting_iterator_tIlEES8_S8_S8_S8_S8_S8_S8_S8_EEEEPS9_S9_NSD_9__find_if7functorIS9_EEEE10hipError_tPvRmT1_T2_T3_mT4_P12ihipStream_tbEUlT_E1_NS1_11comp_targetILNS1_3genE4ELNS1_11target_archE910ELNS1_3gpuE8ELNS1_3repE0EEENS1_30default_config_static_selectorELNS0_4arch9wavefront6targetE0EEEvS14_.num_vgpr, 0
	.set _ZN7rocprim17ROCPRIM_400000_NS6detail17trampoline_kernelINS0_14default_configENS1_22reduce_config_selectorIN6thrust23THRUST_200600_302600_NS5tupleIblNS6_9null_typeES8_S8_S8_S8_S8_S8_S8_EEEEZNS1_11reduce_implILb1ES3_NS6_12zip_iteratorINS7_INS6_11hip_rocprim26transform_input_iterator_tIbNSD_35transform_pair_of_input_iterators_tIbNS6_6detail15normal_iteratorINS6_10device_ptrIKjEEEESL_NS6_8equal_toIjEEEENSG_9not_fun_tINSD_8identityEEEEENSD_19counting_iterator_tIlEES8_S8_S8_S8_S8_S8_S8_S8_EEEEPS9_S9_NSD_9__find_if7functorIS9_EEEE10hipError_tPvRmT1_T2_T3_mT4_P12ihipStream_tbEUlT_E1_NS1_11comp_targetILNS1_3genE4ELNS1_11target_archE910ELNS1_3gpuE8ELNS1_3repE0EEENS1_30default_config_static_selectorELNS0_4arch9wavefront6targetE0EEEvS14_.num_agpr, 0
	.set _ZN7rocprim17ROCPRIM_400000_NS6detail17trampoline_kernelINS0_14default_configENS1_22reduce_config_selectorIN6thrust23THRUST_200600_302600_NS5tupleIblNS6_9null_typeES8_S8_S8_S8_S8_S8_S8_EEEEZNS1_11reduce_implILb1ES3_NS6_12zip_iteratorINS7_INS6_11hip_rocprim26transform_input_iterator_tIbNSD_35transform_pair_of_input_iterators_tIbNS6_6detail15normal_iteratorINS6_10device_ptrIKjEEEESL_NS6_8equal_toIjEEEENSG_9not_fun_tINSD_8identityEEEEENSD_19counting_iterator_tIlEES8_S8_S8_S8_S8_S8_S8_S8_EEEEPS9_S9_NSD_9__find_if7functorIS9_EEEE10hipError_tPvRmT1_T2_T3_mT4_P12ihipStream_tbEUlT_E1_NS1_11comp_targetILNS1_3genE4ELNS1_11target_archE910ELNS1_3gpuE8ELNS1_3repE0EEENS1_30default_config_static_selectorELNS0_4arch9wavefront6targetE0EEEvS14_.numbered_sgpr, 0
	.set _ZN7rocprim17ROCPRIM_400000_NS6detail17trampoline_kernelINS0_14default_configENS1_22reduce_config_selectorIN6thrust23THRUST_200600_302600_NS5tupleIblNS6_9null_typeES8_S8_S8_S8_S8_S8_S8_EEEEZNS1_11reduce_implILb1ES3_NS6_12zip_iteratorINS7_INS6_11hip_rocprim26transform_input_iterator_tIbNSD_35transform_pair_of_input_iterators_tIbNS6_6detail15normal_iteratorINS6_10device_ptrIKjEEEESL_NS6_8equal_toIjEEEENSG_9not_fun_tINSD_8identityEEEEENSD_19counting_iterator_tIlEES8_S8_S8_S8_S8_S8_S8_S8_EEEEPS9_S9_NSD_9__find_if7functorIS9_EEEE10hipError_tPvRmT1_T2_T3_mT4_P12ihipStream_tbEUlT_E1_NS1_11comp_targetILNS1_3genE4ELNS1_11target_archE910ELNS1_3gpuE8ELNS1_3repE0EEENS1_30default_config_static_selectorELNS0_4arch9wavefront6targetE0EEEvS14_.num_named_barrier, 0
	.set _ZN7rocprim17ROCPRIM_400000_NS6detail17trampoline_kernelINS0_14default_configENS1_22reduce_config_selectorIN6thrust23THRUST_200600_302600_NS5tupleIblNS6_9null_typeES8_S8_S8_S8_S8_S8_S8_EEEEZNS1_11reduce_implILb1ES3_NS6_12zip_iteratorINS7_INS6_11hip_rocprim26transform_input_iterator_tIbNSD_35transform_pair_of_input_iterators_tIbNS6_6detail15normal_iteratorINS6_10device_ptrIKjEEEESL_NS6_8equal_toIjEEEENSG_9not_fun_tINSD_8identityEEEEENSD_19counting_iterator_tIlEES8_S8_S8_S8_S8_S8_S8_S8_EEEEPS9_S9_NSD_9__find_if7functorIS9_EEEE10hipError_tPvRmT1_T2_T3_mT4_P12ihipStream_tbEUlT_E1_NS1_11comp_targetILNS1_3genE4ELNS1_11target_archE910ELNS1_3gpuE8ELNS1_3repE0EEENS1_30default_config_static_selectorELNS0_4arch9wavefront6targetE0EEEvS14_.private_seg_size, 0
	.set _ZN7rocprim17ROCPRIM_400000_NS6detail17trampoline_kernelINS0_14default_configENS1_22reduce_config_selectorIN6thrust23THRUST_200600_302600_NS5tupleIblNS6_9null_typeES8_S8_S8_S8_S8_S8_S8_EEEEZNS1_11reduce_implILb1ES3_NS6_12zip_iteratorINS7_INS6_11hip_rocprim26transform_input_iterator_tIbNSD_35transform_pair_of_input_iterators_tIbNS6_6detail15normal_iteratorINS6_10device_ptrIKjEEEESL_NS6_8equal_toIjEEEENSG_9not_fun_tINSD_8identityEEEEENSD_19counting_iterator_tIlEES8_S8_S8_S8_S8_S8_S8_S8_EEEEPS9_S9_NSD_9__find_if7functorIS9_EEEE10hipError_tPvRmT1_T2_T3_mT4_P12ihipStream_tbEUlT_E1_NS1_11comp_targetILNS1_3genE4ELNS1_11target_archE910ELNS1_3gpuE8ELNS1_3repE0EEENS1_30default_config_static_selectorELNS0_4arch9wavefront6targetE0EEEvS14_.uses_vcc, 0
	.set _ZN7rocprim17ROCPRIM_400000_NS6detail17trampoline_kernelINS0_14default_configENS1_22reduce_config_selectorIN6thrust23THRUST_200600_302600_NS5tupleIblNS6_9null_typeES8_S8_S8_S8_S8_S8_S8_EEEEZNS1_11reduce_implILb1ES3_NS6_12zip_iteratorINS7_INS6_11hip_rocprim26transform_input_iterator_tIbNSD_35transform_pair_of_input_iterators_tIbNS6_6detail15normal_iteratorINS6_10device_ptrIKjEEEESL_NS6_8equal_toIjEEEENSG_9not_fun_tINSD_8identityEEEEENSD_19counting_iterator_tIlEES8_S8_S8_S8_S8_S8_S8_S8_EEEEPS9_S9_NSD_9__find_if7functorIS9_EEEE10hipError_tPvRmT1_T2_T3_mT4_P12ihipStream_tbEUlT_E1_NS1_11comp_targetILNS1_3genE4ELNS1_11target_archE910ELNS1_3gpuE8ELNS1_3repE0EEENS1_30default_config_static_selectorELNS0_4arch9wavefront6targetE0EEEvS14_.uses_flat_scratch, 0
	.set _ZN7rocprim17ROCPRIM_400000_NS6detail17trampoline_kernelINS0_14default_configENS1_22reduce_config_selectorIN6thrust23THRUST_200600_302600_NS5tupleIblNS6_9null_typeES8_S8_S8_S8_S8_S8_S8_EEEEZNS1_11reduce_implILb1ES3_NS6_12zip_iteratorINS7_INS6_11hip_rocprim26transform_input_iterator_tIbNSD_35transform_pair_of_input_iterators_tIbNS6_6detail15normal_iteratorINS6_10device_ptrIKjEEEESL_NS6_8equal_toIjEEEENSG_9not_fun_tINSD_8identityEEEEENSD_19counting_iterator_tIlEES8_S8_S8_S8_S8_S8_S8_S8_EEEEPS9_S9_NSD_9__find_if7functorIS9_EEEE10hipError_tPvRmT1_T2_T3_mT4_P12ihipStream_tbEUlT_E1_NS1_11comp_targetILNS1_3genE4ELNS1_11target_archE910ELNS1_3gpuE8ELNS1_3repE0EEENS1_30default_config_static_selectorELNS0_4arch9wavefront6targetE0EEEvS14_.has_dyn_sized_stack, 0
	.set _ZN7rocprim17ROCPRIM_400000_NS6detail17trampoline_kernelINS0_14default_configENS1_22reduce_config_selectorIN6thrust23THRUST_200600_302600_NS5tupleIblNS6_9null_typeES8_S8_S8_S8_S8_S8_S8_EEEEZNS1_11reduce_implILb1ES3_NS6_12zip_iteratorINS7_INS6_11hip_rocprim26transform_input_iterator_tIbNSD_35transform_pair_of_input_iterators_tIbNS6_6detail15normal_iteratorINS6_10device_ptrIKjEEEESL_NS6_8equal_toIjEEEENSG_9not_fun_tINSD_8identityEEEEENSD_19counting_iterator_tIlEES8_S8_S8_S8_S8_S8_S8_S8_EEEEPS9_S9_NSD_9__find_if7functorIS9_EEEE10hipError_tPvRmT1_T2_T3_mT4_P12ihipStream_tbEUlT_E1_NS1_11comp_targetILNS1_3genE4ELNS1_11target_archE910ELNS1_3gpuE8ELNS1_3repE0EEENS1_30default_config_static_selectorELNS0_4arch9wavefront6targetE0EEEvS14_.has_recursion, 0
	.set _ZN7rocprim17ROCPRIM_400000_NS6detail17trampoline_kernelINS0_14default_configENS1_22reduce_config_selectorIN6thrust23THRUST_200600_302600_NS5tupleIblNS6_9null_typeES8_S8_S8_S8_S8_S8_S8_EEEEZNS1_11reduce_implILb1ES3_NS6_12zip_iteratorINS7_INS6_11hip_rocprim26transform_input_iterator_tIbNSD_35transform_pair_of_input_iterators_tIbNS6_6detail15normal_iteratorINS6_10device_ptrIKjEEEESL_NS6_8equal_toIjEEEENSG_9not_fun_tINSD_8identityEEEEENSD_19counting_iterator_tIlEES8_S8_S8_S8_S8_S8_S8_S8_EEEEPS9_S9_NSD_9__find_if7functorIS9_EEEE10hipError_tPvRmT1_T2_T3_mT4_P12ihipStream_tbEUlT_E1_NS1_11comp_targetILNS1_3genE4ELNS1_11target_archE910ELNS1_3gpuE8ELNS1_3repE0EEENS1_30default_config_static_selectorELNS0_4arch9wavefront6targetE0EEEvS14_.has_indirect_call, 0
	.section	.AMDGPU.csdata,"",@progbits
; Kernel info:
; codeLenInByte = 0
; TotalNumSgprs: 0
; NumVgprs: 0
; ScratchSize: 0
; MemoryBound: 0
; FloatMode: 240
; IeeeMode: 1
; LDSByteSize: 0 bytes/workgroup (compile time only)
; SGPRBlocks: 0
; VGPRBlocks: 0
; NumSGPRsForWavesPerEU: 1
; NumVGPRsForWavesPerEU: 1
; Occupancy: 16
; WaveLimiterHint : 0
; COMPUTE_PGM_RSRC2:SCRATCH_EN: 0
; COMPUTE_PGM_RSRC2:USER_SGPR: 6
; COMPUTE_PGM_RSRC2:TRAP_HANDLER: 0
; COMPUTE_PGM_RSRC2:TGID_X_EN: 1
; COMPUTE_PGM_RSRC2:TGID_Y_EN: 0
; COMPUTE_PGM_RSRC2:TGID_Z_EN: 0
; COMPUTE_PGM_RSRC2:TIDIG_COMP_CNT: 0
	.section	.text._ZN7rocprim17ROCPRIM_400000_NS6detail17trampoline_kernelINS0_14default_configENS1_22reduce_config_selectorIN6thrust23THRUST_200600_302600_NS5tupleIblNS6_9null_typeES8_S8_S8_S8_S8_S8_S8_EEEEZNS1_11reduce_implILb1ES3_NS6_12zip_iteratorINS7_INS6_11hip_rocprim26transform_input_iterator_tIbNSD_35transform_pair_of_input_iterators_tIbNS6_6detail15normal_iteratorINS6_10device_ptrIKjEEEESL_NS6_8equal_toIjEEEENSG_9not_fun_tINSD_8identityEEEEENSD_19counting_iterator_tIlEES8_S8_S8_S8_S8_S8_S8_S8_EEEEPS9_S9_NSD_9__find_if7functorIS9_EEEE10hipError_tPvRmT1_T2_T3_mT4_P12ihipStream_tbEUlT_E1_NS1_11comp_targetILNS1_3genE3ELNS1_11target_archE908ELNS1_3gpuE7ELNS1_3repE0EEENS1_30default_config_static_selectorELNS0_4arch9wavefront6targetE0EEEvS14_,"axG",@progbits,_ZN7rocprim17ROCPRIM_400000_NS6detail17trampoline_kernelINS0_14default_configENS1_22reduce_config_selectorIN6thrust23THRUST_200600_302600_NS5tupleIblNS6_9null_typeES8_S8_S8_S8_S8_S8_S8_EEEEZNS1_11reduce_implILb1ES3_NS6_12zip_iteratorINS7_INS6_11hip_rocprim26transform_input_iterator_tIbNSD_35transform_pair_of_input_iterators_tIbNS6_6detail15normal_iteratorINS6_10device_ptrIKjEEEESL_NS6_8equal_toIjEEEENSG_9not_fun_tINSD_8identityEEEEENSD_19counting_iterator_tIlEES8_S8_S8_S8_S8_S8_S8_S8_EEEEPS9_S9_NSD_9__find_if7functorIS9_EEEE10hipError_tPvRmT1_T2_T3_mT4_P12ihipStream_tbEUlT_E1_NS1_11comp_targetILNS1_3genE3ELNS1_11target_archE908ELNS1_3gpuE7ELNS1_3repE0EEENS1_30default_config_static_selectorELNS0_4arch9wavefront6targetE0EEEvS14_,comdat
	.protected	_ZN7rocprim17ROCPRIM_400000_NS6detail17trampoline_kernelINS0_14default_configENS1_22reduce_config_selectorIN6thrust23THRUST_200600_302600_NS5tupleIblNS6_9null_typeES8_S8_S8_S8_S8_S8_S8_EEEEZNS1_11reduce_implILb1ES3_NS6_12zip_iteratorINS7_INS6_11hip_rocprim26transform_input_iterator_tIbNSD_35transform_pair_of_input_iterators_tIbNS6_6detail15normal_iteratorINS6_10device_ptrIKjEEEESL_NS6_8equal_toIjEEEENSG_9not_fun_tINSD_8identityEEEEENSD_19counting_iterator_tIlEES8_S8_S8_S8_S8_S8_S8_S8_EEEEPS9_S9_NSD_9__find_if7functorIS9_EEEE10hipError_tPvRmT1_T2_T3_mT4_P12ihipStream_tbEUlT_E1_NS1_11comp_targetILNS1_3genE3ELNS1_11target_archE908ELNS1_3gpuE7ELNS1_3repE0EEENS1_30default_config_static_selectorELNS0_4arch9wavefront6targetE0EEEvS14_ ; -- Begin function _ZN7rocprim17ROCPRIM_400000_NS6detail17trampoline_kernelINS0_14default_configENS1_22reduce_config_selectorIN6thrust23THRUST_200600_302600_NS5tupleIblNS6_9null_typeES8_S8_S8_S8_S8_S8_S8_EEEEZNS1_11reduce_implILb1ES3_NS6_12zip_iteratorINS7_INS6_11hip_rocprim26transform_input_iterator_tIbNSD_35transform_pair_of_input_iterators_tIbNS6_6detail15normal_iteratorINS6_10device_ptrIKjEEEESL_NS6_8equal_toIjEEEENSG_9not_fun_tINSD_8identityEEEEENSD_19counting_iterator_tIlEES8_S8_S8_S8_S8_S8_S8_S8_EEEEPS9_S9_NSD_9__find_if7functorIS9_EEEE10hipError_tPvRmT1_T2_T3_mT4_P12ihipStream_tbEUlT_E1_NS1_11comp_targetILNS1_3genE3ELNS1_11target_archE908ELNS1_3gpuE7ELNS1_3repE0EEENS1_30default_config_static_selectorELNS0_4arch9wavefront6targetE0EEEvS14_
	.globl	_ZN7rocprim17ROCPRIM_400000_NS6detail17trampoline_kernelINS0_14default_configENS1_22reduce_config_selectorIN6thrust23THRUST_200600_302600_NS5tupleIblNS6_9null_typeES8_S8_S8_S8_S8_S8_S8_EEEEZNS1_11reduce_implILb1ES3_NS6_12zip_iteratorINS7_INS6_11hip_rocprim26transform_input_iterator_tIbNSD_35transform_pair_of_input_iterators_tIbNS6_6detail15normal_iteratorINS6_10device_ptrIKjEEEESL_NS6_8equal_toIjEEEENSG_9not_fun_tINSD_8identityEEEEENSD_19counting_iterator_tIlEES8_S8_S8_S8_S8_S8_S8_S8_EEEEPS9_S9_NSD_9__find_if7functorIS9_EEEE10hipError_tPvRmT1_T2_T3_mT4_P12ihipStream_tbEUlT_E1_NS1_11comp_targetILNS1_3genE3ELNS1_11target_archE908ELNS1_3gpuE7ELNS1_3repE0EEENS1_30default_config_static_selectorELNS0_4arch9wavefront6targetE0EEEvS14_
	.p2align	8
	.type	_ZN7rocprim17ROCPRIM_400000_NS6detail17trampoline_kernelINS0_14default_configENS1_22reduce_config_selectorIN6thrust23THRUST_200600_302600_NS5tupleIblNS6_9null_typeES8_S8_S8_S8_S8_S8_S8_EEEEZNS1_11reduce_implILb1ES3_NS6_12zip_iteratorINS7_INS6_11hip_rocprim26transform_input_iterator_tIbNSD_35transform_pair_of_input_iterators_tIbNS6_6detail15normal_iteratorINS6_10device_ptrIKjEEEESL_NS6_8equal_toIjEEEENSG_9not_fun_tINSD_8identityEEEEENSD_19counting_iterator_tIlEES8_S8_S8_S8_S8_S8_S8_S8_EEEEPS9_S9_NSD_9__find_if7functorIS9_EEEE10hipError_tPvRmT1_T2_T3_mT4_P12ihipStream_tbEUlT_E1_NS1_11comp_targetILNS1_3genE3ELNS1_11target_archE908ELNS1_3gpuE7ELNS1_3repE0EEENS1_30default_config_static_selectorELNS0_4arch9wavefront6targetE0EEEvS14_,@function
_ZN7rocprim17ROCPRIM_400000_NS6detail17trampoline_kernelINS0_14default_configENS1_22reduce_config_selectorIN6thrust23THRUST_200600_302600_NS5tupleIblNS6_9null_typeES8_S8_S8_S8_S8_S8_S8_EEEEZNS1_11reduce_implILb1ES3_NS6_12zip_iteratorINS7_INS6_11hip_rocprim26transform_input_iterator_tIbNSD_35transform_pair_of_input_iterators_tIbNS6_6detail15normal_iteratorINS6_10device_ptrIKjEEEESL_NS6_8equal_toIjEEEENSG_9not_fun_tINSD_8identityEEEEENSD_19counting_iterator_tIlEES8_S8_S8_S8_S8_S8_S8_S8_EEEEPS9_S9_NSD_9__find_if7functorIS9_EEEE10hipError_tPvRmT1_T2_T3_mT4_P12ihipStream_tbEUlT_E1_NS1_11comp_targetILNS1_3genE3ELNS1_11target_archE908ELNS1_3gpuE7ELNS1_3repE0EEENS1_30default_config_static_selectorELNS0_4arch9wavefront6targetE0EEEvS14_: ; @_ZN7rocprim17ROCPRIM_400000_NS6detail17trampoline_kernelINS0_14default_configENS1_22reduce_config_selectorIN6thrust23THRUST_200600_302600_NS5tupleIblNS6_9null_typeES8_S8_S8_S8_S8_S8_S8_EEEEZNS1_11reduce_implILb1ES3_NS6_12zip_iteratorINS7_INS6_11hip_rocprim26transform_input_iterator_tIbNSD_35transform_pair_of_input_iterators_tIbNS6_6detail15normal_iteratorINS6_10device_ptrIKjEEEESL_NS6_8equal_toIjEEEENSG_9not_fun_tINSD_8identityEEEEENSD_19counting_iterator_tIlEES8_S8_S8_S8_S8_S8_S8_S8_EEEEPS9_S9_NSD_9__find_if7functorIS9_EEEE10hipError_tPvRmT1_T2_T3_mT4_P12ihipStream_tbEUlT_E1_NS1_11comp_targetILNS1_3genE3ELNS1_11target_archE908ELNS1_3gpuE7ELNS1_3repE0EEENS1_30default_config_static_selectorELNS0_4arch9wavefront6targetE0EEEvS14_
; %bb.0:
	.section	.rodata,"a",@progbits
	.p2align	6, 0x0
	.amdhsa_kernel _ZN7rocprim17ROCPRIM_400000_NS6detail17trampoline_kernelINS0_14default_configENS1_22reduce_config_selectorIN6thrust23THRUST_200600_302600_NS5tupleIblNS6_9null_typeES8_S8_S8_S8_S8_S8_S8_EEEEZNS1_11reduce_implILb1ES3_NS6_12zip_iteratorINS7_INS6_11hip_rocprim26transform_input_iterator_tIbNSD_35transform_pair_of_input_iterators_tIbNS6_6detail15normal_iteratorINS6_10device_ptrIKjEEEESL_NS6_8equal_toIjEEEENSG_9not_fun_tINSD_8identityEEEEENSD_19counting_iterator_tIlEES8_S8_S8_S8_S8_S8_S8_S8_EEEEPS9_S9_NSD_9__find_if7functorIS9_EEEE10hipError_tPvRmT1_T2_T3_mT4_P12ihipStream_tbEUlT_E1_NS1_11comp_targetILNS1_3genE3ELNS1_11target_archE908ELNS1_3gpuE7ELNS1_3repE0EEENS1_30default_config_static_selectorELNS0_4arch9wavefront6targetE0EEEvS14_
		.amdhsa_group_segment_fixed_size 0
		.amdhsa_private_segment_fixed_size 0
		.amdhsa_kernarg_size 88
		.amdhsa_user_sgpr_count 6
		.amdhsa_user_sgpr_private_segment_buffer 1
		.amdhsa_user_sgpr_dispatch_ptr 0
		.amdhsa_user_sgpr_queue_ptr 0
		.amdhsa_user_sgpr_kernarg_segment_ptr 1
		.amdhsa_user_sgpr_dispatch_id 0
		.amdhsa_user_sgpr_flat_scratch_init 0
		.amdhsa_user_sgpr_private_segment_size 0
		.amdhsa_wavefront_size32 1
		.amdhsa_uses_dynamic_stack 0
		.amdhsa_system_sgpr_private_segment_wavefront_offset 0
		.amdhsa_system_sgpr_workgroup_id_x 1
		.amdhsa_system_sgpr_workgroup_id_y 0
		.amdhsa_system_sgpr_workgroup_id_z 0
		.amdhsa_system_sgpr_workgroup_info 0
		.amdhsa_system_vgpr_workitem_id 0
		.amdhsa_next_free_vgpr 1
		.amdhsa_next_free_sgpr 1
		.amdhsa_reserve_vcc 0
		.amdhsa_reserve_flat_scratch 0
		.amdhsa_float_round_mode_32 0
		.amdhsa_float_round_mode_16_64 0
		.amdhsa_float_denorm_mode_32 3
		.amdhsa_float_denorm_mode_16_64 3
		.amdhsa_dx10_clamp 1
		.amdhsa_ieee_mode 1
		.amdhsa_fp16_overflow 0
		.amdhsa_workgroup_processor_mode 1
		.amdhsa_memory_ordered 1
		.amdhsa_forward_progress 1
		.amdhsa_shared_vgpr_count 0
		.amdhsa_exception_fp_ieee_invalid_op 0
		.amdhsa_exception_fp_denorm_src 0
		.amdhsa_exception_fp_ieee_div_zero 0
		.amdhsa_exception_fp_ieee_overflow 0
		.amdhsa_exception_fp_ieee_underflow 0
		.amdhsa_exception_fp_ieee_inexact 0
		.amdhsa_exception_int_div_zero 0
	.end_amdhsa_kernel
	.section	.text._ZN7rocprim17ROCPRIM_400000_NS6detail17trampoline_kernelINS0_14default_configENS1_22reduce_config_selectorIN6thrust23THRUST_200600_302600_NS5tupleIblNS6_9null_typeES8_S8_S8_S8_S8_S8_S8_EEEEZNS1_11reduce_implILb1ES3_NS6_12zip_iteratorINS7_INS6_11hip_rocprim26transform_input_iterator_tIbNSD_35transform_pair_of_input_iterators_tIbNS6_6detail15normal_iteratorINS6_10device_ptrIKjEEEESL_NS6_8equal_toIjEEEENSG_9not_fun_tINSD_8identityEEEEENSD_19counting_iterator_tIlEES8_S8_S8_S8_S8_S8_S8_S8_EEEEPS9_S9_NSD_9__find_if7functorIS9_EEEE10hipError_tPvRmT1_T2_T3_mT4_P12ihipStream_tbEUlT_E1_NS1_11comp_targetILNS1_3genE3ELNS1_11target_archE908ELNS1_3gpuE7ELNS1_3repE0EEENS1_30default_config_static_selectorELNS0_4arch9wavefront6targetE0EEEvS14_,"axG",@progbits,_ZN7rocprim17ROCPRIM_400000_NS6detail17trampoline_kernelINS0_14default_configENS1_22reduce_config_selectorIN6thrust23THRUST_200600_302600_NS5tupleIblNS6_9null_typeES8_S8_S8_S8_S8_S8_S8_EEEEZNS1_11reduce_implILb1ES3_NS6_12zip_iteratorINS7_INS6_11hip_rocprim26transform_input_iterator_tIbNSD_35transform_pair_of_input_iterators_tIbNS6_6detail15normal_iteratorINS6_10device_ptrIKjEEEESL_NS6_8equal_toIjEEEENSG_9not_fun_tINSD_8identityEEEEENSD_19counting_iterator_tIlEES8_S8_S8_S8_S8_S8_S8_S8_EEEEPS9_S9_NSD_9__find_if7functorIS9_EEEE10hipError_tPvRmT1_T2_T3_mT4_P12ihipStream_tbEUlT_E1_NS1_11comp_targetILNS1_3genE3ELNS1_11target_archE908ELNS1_3gpuE7ELNS1_3repE0EEENS1_30default_config_static_selectorELNS0_4arch9wavefront6targetE0EEEvS14_,comdat
.Lfunc_end216:
	.size	_ZN7rocprim17ROCPRIM_400000_NS6detail17trampoline_kernelINS0_14default_configENS1_22reduce_config_selectorIN6thrust23THRUST_200600_302600_NS5tupleIblNS6_9null_typeES8_S8_S8_S8_S8_S8_S8_EEEEZNS1_11reduce_implILb1ES3_NS6_12zip_iteratorINS7_INS6_11hip_rocprim26transform_input_iterator_tIbNSD_35transform_pair_of_input_iterators_tIbNS6_6detail15normal_iteratorINS6_10device_ptrIKjEEEESL_NS6_8equal_toIjEEEENSG_9not_fun_tINSD_8identityEEEEENSD_19counting_iterator_tIlEES8_S8_S8_S8_S8_S8_S8_S8_EEEEPS9_S9_NSD_9__find_if7functorIS9_EEEE10hipError_tPvRmT1_T2_T3_mT4_P12ihipStream_tbEUlT_E1_NS1_11comp_targetILNS1_3genE3ELNS1_11target_archE908ELNS1_3gpuE7ELNS1_3repE0EEENS1_30default_config_static_selectorELNS0_4arch9wavefront6targetE0EEEvS14_, .Lfunc_end216-_ZN7rocprim17ROCPRIM_400000_NS6detail17trampoline_kernelINS0_14default_configENS1_22reduce_config_selectorIN6thrust23THRUST_200600_302600_NS5tupleIblNS6_9null_typeES8_S8_S8_S8_S8_S8_S8_EEEEZNS1_11reduce_implILb1ES3_NS6_12zip_iteratorINS7_INS6_11hip_rocprim26transform_input_iterator_tIbNSD_35transform_pair_of_input_iterators_tIbNS6_6detail15normal_iteratorINS6_10device_ptrIKjEEEESL_NS6_8equal_toIjEEEENSG_9not_fun_tINSD_8identityEEEEENSD_19counting_iterator_tIlEES8_S8_S8_S8_S8_S8_S8_S8_EEEEPS9_S9_NSD_9__find_if7functorIS9_EEEE10hipError_tPvRmT1_T2_T3_mT4_P12ihipStream_tbEUlT_E1_NS1_11comp_targetILNS1_3genE3ELNS1_11target_archE908ELNS1_3gpuE7ELNS1_3repE0EEENS1_30default_config_static_selectorELNS0_4arch9wavefront6targetE0EEEvS14_
                                        ; -- End function
	.set _ZN7rocprim17ROCPRIM_400000_NS6detail17trampoline_kernelINS0_14default_configENS1_22reduce_config_selectorIN6thrust23THRUST_200600_302600_NS5tupleIblNS6_9null_typeES8_S8_S8_S8_S8_S8_S8_EEEEZNS1_11reduce_implILb1ES3_NS6_12zip_iteratorINS7_INS6_11hip_rocprim26transform_input_iterator_tIbNSD_35transform_pair_of_input_iterators_tIbNS6_6detail15normal_iteratorINS6_10device_ptrIKjEEEESL_NS6_8equal_toIjEEEENSG_9not_fun_tINSD_8identityEEEEENSD_19counting_iterator_tIlEES8_S8_S8_S8_S8_S8_S8_S8_EEEEPS9_S9_NSD_9__find_if7functorIS9_EEEE10hipError_tPvRmT1_T2_T3_mT4_P12ihipStream_tbEUlT_E1_NS1_11comp_targetILNS1_3genE3ELNS1_11target_archE908ELNS1_3gpuE7ELNS1_3repE0EEENS1_30default_config_static_selectorELNS0_4arch9wavefront6targetE0EEEvS14_.num_vgpr, 0
	.set _ZN7rocprim17ROCPRIM_400000_NS6detail17trampoline_kernelINS0_14default_configENS1_22reduce_config_selectorIN6thrust23THRUST_200600_302600_NS5tupleIblNS6_9null_typeES8_S8_S8_S8_S8_S8_S8_EEEEZNS1_11reduce_implILb1ES3_NS6_12zip_iteratorINS7_INS6_11hip_rocprim26transform_input_iterator_tIbNSD_35transform_pair_of_input_iterators_tIbNS6_6detail15normal_iteratorINS6_10device_ptrIKjEEEESL_NS6_8equal_toIjEEEENSG_9not_fun_tINSD_8identityEEEEENSD_19counting_iterator_tIlEES8_S8_S8_S8_S8_S8_S8_S8_EEEEPS9_S9_NSD_9__find_if7functorIS9_EEEE10hipError_tPvRmT1_T2_T3_mT4_P12ihipStream_tbEUlT_E1_NS1_11comp_targetILNS1_3genE3ELNS1_11target_archE908ELNS1_3gpuE7ELNS1_3repE0EEENS1_30default_config_static_selectorELNS0_4arch9wavefront6targetE0EEEvS14_.num_agpr, 0
	.set _ZN7rocprim17ROCPRIM_400000_NS6detail17trampoline_kernelINS0_14default_configENS1_22reduce_config_selectorIN6thrust23THRUST_200600_302600_NS5tupleIblNS6_9null_typeES8_S8_S8_S8_S8_S8_S8_EEEEZNS1_11reduce_implILb1ES3_NS6_12zip_iteratorINS7_INS6_11hip_rocprim26transform_input_iterator_tIbNSD_35transform_pair_of_input_iterators_tIbNS6_6detail15normal_iteratorINS6_10device_ptrIKjEEEESL_NS6_8equal_toIjEEEENSG_9not_fun_tINSD_8identityEEEEENSD_19counting_iterator_tIlEES8_S8_S8_S8_S8_S8_S8_S8_EEEEPS9_S9_NSD_9__find_if7functorIS9_EEEE10hipError_tPvRmT1_T2_T3_mT4_P12ihipStream_tbEUlT_E1_NS1_11comp_targetILNS1_3genE3ELNS1_11target_archE908ELNS1_3gpuE7ELNS1_3repE0EEENS1_30default_config_static_selectorELNS0_4arch9wavefront6targetE0EEEvS14_.numbered_sgpr, 0
	.set _ZN7rocprim17ROCPRIM_400000_NS6detail17trampoline_kernelINS0_14default_configENS1_22reduce_config_selectorIN6thrust23THRUST_200600_302600_NS5tupleIblNS6_9null_typeES8_S8_S8_S8_S8_S8_S8_EEEEZNS1_11reduce_implILb1ES3_NS6_12zip_iteratorINS7_INS6_11hip_rocprim26transform_input_iterator_tIbNSD_35transform_pair_of_input_iterators_tIbNS6_6detail15normal_iteratorINS6_10device_ptrIKjEEEESL_NS6_8equal_toIjEEEENSG_9not_fun_tINSD_8identityEEEEENSD_19counting_iterator_tIlEES8_S8_S8_S8_S8_S8_S8_S8_EEEEPS9_S9_NSD_9__find_if7functorIS9_EEEE10hipError_tPvRmT1_T2_T3_mT4_P12ihipStream_tbEUlT_E1_NS1_11comp_targetILNS1_3genE3ELNS1_11target_archE908ELNS1_3gpuE7ELNS1_3repE0EEENS1_30default_config_static_selectorELNS0_4arch9wavefront6targetE0EEEvS14_.num_named_barrier, 0
	.set _ZN7rocprim17ROCPRIM_400000_NS6detail17trampoline_kernelINS0_14default_configENS1_22reduce_config_selectorIN6thrust23THRUST_200600_302600_NS5tupleIblNS6_9null_typeES8_S8_S8_S8_S8_S8_S8_EEEEZNS1_11reduce_implILb1ES3_NS6_12zip_iteratorINS7_INS6_11hip_rocprim26transform_input_iterator_tIbNSD_35transform_pair_of_input_iterators_tIbNS6_6detail15normal_iteratorINS6_10device_ptrIKjEEEESL_NS6_8equal_toIjEEEENSG_9not_fun_tINSD_8identityEEEEENSD_19counting_iterator_tIlEES8_S8_S8_S8_S8_S8_S8_S8_EEEEPS9_S9_NSD_9__find_if7functorIS9_EEEE10hipError_tPvRmT1_T2_T3_mT4_P12ihipStream_tbEUlT_E1_NS1_11comp_targetILNS1_3genE3ELNS1_11target_archE908ELNS1_3gpuE7ELNS1_3repE0EEENS1_30default_config_static_selectorELNS0_4arch9wavefront6targetE0EEEvS14_.private_seg_size, 0
	.set _ZN7rocprim17ROCPRIM_400000_NS6detail17trampoline_kernelINS0_14default_configENS1_22reduce_config_selectorIN6thrust23THRUST_200600_302600_NS5tupleIblNS6_9null_typeES8_S8_S8_S8_S8_S8_S8_EEEEZNS1_11reduce_implILb1ES3_NS6_12zip_iteratorINS7_INS6_11hip_rocprim26transform_input_iterator_tIbNSD_35transform_pair_of_input_iterators_tIbNS6_6detail15normal_iteratorINS6_10device_ptrIKjEEEESL_NS6_8equal_toIjEEEENSG_9not_fun_tINSD_8identityEEEEENSD_19counting_iterator_tIlEES8_S8_S8_S8_S8_S8_S8_S8_EEEEPS9_S9_NSD_9__find_if7functorIS9_EEEE10hipError_tPvRmT1_T2_T3_mT4_P12ihipStream_tbEUlT_E1_NS1_11comp_targetILNS1_3genE3ELNS1_11target_archE908ELNS1_3gpuE7ELNS1_3repE0EEENS1_30default_config_static_selectorELNS0_4arch9wavefront6targetE0EEEvS14_.uses_vcc, 0
	.set _ZN7rocprim17ROCPRIM_400000_NS6detail17trampoline_kernelINS0_14default_configENS1_22reduce_config_selectorIN6thrust23THRUST_200600_302600_NS5tupleIblNS6_9null_typeES8_S8_S8_S8_S8_S8_S8_EEEEZNS1_11reduce_implILb1ES3_NS6_12zip_iteratorINS7_INS6_11hip_rocprim26transform_input_iterator_tIbNSD_35transform_pair_of_input_iterators_tIbNS6_6detail15normal_iteratorINS6_10device_ptrIKjEEEESL_NS6_8equal_toIjEEEENSG_9not_fun_tINSD_8identityEEEEENSD_19counting_iterator_tIlEES8_S8_S8_S8_S8_S8_S8_S8_EEEEPS9_S9_NSD_9__find_if7functorIS9_EEEE10hipError_tPvRmT1_T2_T3_mT4_P12ihipStream_tbEUlT_E1_NS1_11comp_targetILNS1_3genE3ELNS1_11target_archE908ELNS1_3gpuE7ELNS1_3repE0EEENS1_30default_config_static_selectorELNS0_4arch9wavefront6targetE0EEEvS14_.uses_flat_scratch, 0
	.set _ZN7rocprim17ROCPRIM_400000_NS6detail17trampoline_kernelINS0_14default_configENS1_22reduce_config_selectorIN6thrust23THRUST_200600_302600_NS5tupleIblNS6_9null_typeES8_S8_S8_S8_S8_S8_S8_EEEEZNS1_11reduce_implILb1ES3_NS6_12zip_iteratorINS7_INS6_11hip_rocprim26transform_input_iterator_tIbNSD_35transform_pair_of_input_iterators_tIbNS6_6detail15normal_iteratorINS6_10device_ptrIKjEEEESL_NS6_8equal_toIjEEEENSG_9not_fun_tINSD_8identityEEEEENSD_19counting_iterator_tIlEES8_S8_S8_S8_S8_S8_S8_S8_EEEEPS9_S9_NSD_9__find_if7functorIS9_EEEE10hipError_tPvRmT1_T2_T3_mT4_P12ihipStream_tbEUlT_E1_NS1_11comp_targetILNS1_3genE3ELNS1_11target_archE908ELNS1_3gpuE7ELNS1_3repE0EEENS1_30default_config_static_selectorELNS0_4arch9wavefront6targetE0EEEvS14_.has_dyn_sized_stack, 0
	.set _ZN7rocprim17ROCPRIM_400000_NS6detail17trampoline_kernelINS0_14default_configENS1_22reduce_config_selectorIN6thrust23THRUST_200600_302600_NS5tupleIblNS6_9null_typeES8_S8_S8_S8_S8_S8_S8_EEEEZNS1_11reduce_implILb1ES3_NS6_12zip_iteratorINS7_INS6_11hip_rocprim26transform_input_iterator_tIbNSD_35transform_pair_of_input_iterators_tIbNS6_6detail15normal_iteratorINS6_10device_ptrIKjEEEESL_NS6_8equal_toIjEEEENSG_9not_fun_tINSD_8identityEEEEENSD_19counting_iterator_tIlEES8_S8_S8_S8_S8_S8_S8_S8_EEEEPS9_S9_NSD_9__find_if7functorIS9_EEEE10hipError_tPvRmT1_T2_T3_mT4_P12ihipStream_tbEUlT_E1_NS1_11comp_targetILNS1_3genE3ELNS1_11target_archE908ELNS1_3gpuE7ELNS1_3repE0EEENS1_30default_config_static_selectorELNS0_4arch9wavefront6targetE0EEEvS14_.has_recursion, 0
	.set _ZN7rocprim17ROCPRIM_400000_NS6detail17trampoline_kernelINS0_14default_configENS1_22reduce_config_selectorIN6thrust23THRUST_200600_302600_NS5tupleIblNS6_9null_typeES8_S8_S8_S8_S8_S8_S8_EEEEZNS1_11reduce_implILb1ES3_NS6_12zip_iteratorINS7_INS6_11hip_rocprim26transform_input_iterator_tIbNSD_35transform_pair_of_input_iterators_tIbNS6_6detail15normal_iteratorINS6_10device_ptrIKjEEEESL_NS6_8equal_toIjEEEENSG_9not_fun_tINSD_8identityEEEEENSD_19counting_iterator_tIlEES8_S8_S8_S8_S8_S8_S8_S8_EEEEPS9_S9_NSD_9__find_if7functorIS9_EEEE10hipError_tPvRmT1_T2_T3_mT4_P12ihipStream_tbEUlT_E1_NS1_11comp_targetILNS1_3genE3ELNS1_11target_archE908ELNS1_3gpuE7ELNS1_3repE0EEENS1_30default_config_static_selectorELNS0_4arch9wavefront6targetE0EEEvS14_.has_indirect_call, 0
	.section	.AMDGPU.csdata,"",@progbits
; Kernel info:
; codeLenInByte = 0
; TotalNumSgprs: 0
; NumVgprs: 0
; ScratchSize: 0
; MemoryBound: 0
; FloatMode: 240
; IeeeMode: 1
; LDSByteSize: 0 bytes/workgroup (compile time only)
; SGPRBlocks: 0
; VGPRBlocks: 0
; NumSGPRsForWavesPerEU: 1
; NumVGPRsForWavesPerEU: 1
; Occupancy: 16
; WaveLimiterHint : 0
; COMPUTE_PGM_RSRC2:SCRATCH_EN: 0
; COMPUTE_PGM_RSRC2:USER_SGPR: 6
; COMPUTE_PGM_RSRC2:TRAP_HANDLER: 0
; COMPUTE_PGM_RSRC2:TGID_X_EN: 1
; COMPUTE_PGM_RSRC2:TGID_Y_EN: 0
; COMPUTE_PGM_RSRC2:TGID_Z_EN: 0
; COMPUTE_PGM_RSRC2:TIDIG_COMP_CNT: 0
	.section	.text._ZN7rocprim17ROCPRIM_400000_NS6detail17trampoline_kernelINS0_14default_configENS1_22reduce_config_selectorIN6thrust23THRUST_200600_302600_NS5tupleIblNS6_9null_typeES8_S8_S8_S8_S8_S8_S8_EEEEZNS1_11reduce_implILb1ES3_NS6_12zip_iteratorINS7_INS6_11hip_rocprim26transform_input_iterator_tIbNSD_35transform_pair_of_input_iterators_tIbNS6_6detail15normal_iteratorINS6_10device_ptrIKjEEEESL_NS6_8equal_toIjEEEENSG_9not_fun_tINSD_8identityEEEEENSD_19counting_iterator_tIlEES8_S8_S8_S8_S8_S8_S8_S8_EEEEPS9_S9_NSD_9__find_if7functorIS9_EEEE10hipError_tPvRmT1_T2_T3_mT4_P12ihipStream_tbEUlT_E1_NS1_11comp_targetILNS1_3genE2ELNS1_11target_archE906ELNS1_3gpuE6ELNS1_3repE0EEENS1_30default_config_static_selectorELNS0_4arch9wavefront6targetE0EEEvS14_,"axG",@progbits,_ZN7rocprim17ROCPRIM_400000_NS6detail17trampoline_kernelINS0_14default_configENS1_22reduce_config_selectorIN6thrust23THRUST_200600_302600_NS5tupleIblNS6_9null_typeES8_S8_S8_S8_S8_S8_S8_EEEEZNS1_11reduce_implILb1ES3_NS6_12zip_iteratorINS7_INS6_11hip_rocprim26transform_input_iterator_tIbNSD_35transform_pair_of_input_iterators_tIbNS6_6detail15normal_iteratorINS6_10device_ptrIKjEEEESL_NS6_8equal_toIjEEEENSG_9not_fun_tINSD_8identityEEEEENSD_19counting_iterator_tIlEES8_S8_S8_S8_S8_S8_S8_S8_EEEEPS9_S9_NSD_9__find_if7functorIS9_EEEE10hipError_tPvRmT1_T2_T3_mT4_P12ihipStream_tbEUlT_E1_NS1_11comp_targetILNS1_3genE2ELNS1_11target_archE906ELNS1_3gpuE6ELNS1_3repE0EEENS1_30default_config_static_selectorELNS0_4arch9wavefront6targetE0EEEvS14_,comdat
	.protected	_ZN7rocprim17ROCPRIM_400000_NS6detail17trampoline_kernelINS0_14default_configENS1_22reduce_config_selectorIN6thrust23THRUST_200600_302600_NS5tupleIblNS6_9null_typeES8_S8_S8_S8_S8_S8_S8_EEEEZNS1_11reduce_implILb1ES3_NS6_12zip_iteratorINS7_INS6_11hip_rocprim26transform_input_iterator_tIbNSD_35transform_pair_of_input_iterators_tIbNS6_6detail15normal_iteratorINS6_10device_ptrIKjEEEESL_NS6_8equal_toIjEEEENSG_9not_fun_tINSD_8identityEEEEENSD_19counting_iterator_tIlEES8_S8_S8_S8_S8_S8_S8_S8_EEEEPS9_S9_NSD_9__find_if7functorIS9_EEEE10hipError_tPvRmT1_T2_T3_mT4_P12ihipStream_tbEUlT_E1_NS1_11comp_targetILNS1_3genE2ELNS1_11target_archE906ELNS1_3gpuE6ELNS1_3repE0EEENS1_30default_config_static_selectorELNS0_4arch9wavefront6targetE0EEEvS14_ ; -- Begin function _ZN7rocprim17ROCPRIM_400000_NS6detail17trampoline_kernelINS0_14default_configENS1_22reduce_config_selectorIN6thrust23THRUST_200600_302600_NS5tupleIblNS6_9null_typeES8_S8_S8_S8_S8_S8_S8_EEEEZNS1_11reduce_implILb1ES3_NS6_12zip_iteratorINS7_INS6_11hip_rocprim26transform_input_iterator_tIbNSD_35transform_pair_of_input_iterators_tIbNS6_6detail15normal_iteratorINS6_10device_ptrIKjEEEESL_NS6_8equal_toIjEEEENSG_9not_fun_tINSD_8identityEEEEENSD_19counting_iterator_tIlEES8_S8_S8_S8_S8_S8_S8_S8_EEEEPS9_S9_NSD_9__find_if7functorIS9_EEEE10hipError_tPvRmT1_T2_T3_mT4_P12ihipStream_tbEUlT_E1_NS1_11comp_targetILNS1_3genE2ELNS1_11target_archE906ELNS1_3gpuE6ELNS1_3repE0EEENS1_30default_config_static_selectorELNS0_4arch9wavefront6targetE0EEEvS14_
	.globl	_ZN7rocprim17ROCPRIM_400000_NS6detail17trampoline_kernelINS0_14default_configENS1_22reduce_config_selectorIN6thrust23THRUST_200600_302600_NS5tupleIblNS6_9null_typeES8_S8_S8_S8_S8_S8_S8_EEEEZNS1_11reduce_implILb1ES3_NS6_12zip_iteratorINS7_INS6_11hip_rocprim26transform_input_iterator_tIbNSD_35transform_pair_of_input_iterators_tIbNS6_6detail15normal_iteratorINS6_10device_ptrIKjEEEESL_NS6_8equal_toIjEEEENSG_9not_fun_tINSD_8identityEEEEENSD_19counting_iterator_tIlEES8_S8_S8_S8_S8_S8_S8_S8_EEEEPS9_S9_NSD_9__find_if7functorIS9_EEEE10hipError_tPvRmT1_T2_T3_mT4_P12ihipStream_tbEUlT_E1_NS1_11comp_targetILNS1_3genE2ELNS1_11target_archE906ELNS1_3gpuE6ELNS1_3repE0EEENS1_30default_config_static_selectorELNS0_4arch9wavefront6targetE0EEEvS14_
	.p2align	8
	.type	_ZN7rocprim17ROCPRIM_400000_NS6detail17trampoline_kernelINS0_14default_configENS1_22reduce_config_selectorIN6thrust23THRUST_200600_302600_NS5tupleIblNS6_9null_typeES8_S8_S8_S8_S8_S8_S8_EEEEZNS1_11reduce_implILb1ES3_NS6_12zip_iteratorINS7_INS6_11hip_rocprim26transform_input_iterator_tIbNSD_35transform_pair_of_input_iterators_tIbNS6_6detail15normal_iteratorINS6_10device_ptrIKjEEEESL_NS6_8equal_toIjEEEENSG_9not_fun_tINSD_8identityEEEEENSD_19counting_iterator_tIlEES8_S8_S8_S8_S8_S8_S8_S8_EEEEPS9_S9_NSD_9__find_if7functorIS9_EEEE10hipError_tPvRmT1_T2_T3_mT4_P12ihipStream_tbEUlT_E1_NS1_11comp_targetILNS1_3genE2ELNS1_11target_archE906ELNS1_3gpuE6ELNS1_3repE0EEENS1_30default_config_static_selectorELNS0_4arch9wavefront6targetE0EEEvS14_,@function
_ZN7rocprim17ROCPRIM_400000_NS6detail17trampoline_kernelINS0_14default_configENS1_22reduce_config_selectorIN6thrust23THRUST_200600_302600_NS5tupleIblNS6_9null_typeES8_S8_S8_S8_S8_S8_S8_EEEEZNS1_11reduce_implILb1ES3_NS6_12zip_iteratorINS7_INS6_11hip_rocprim26transform_input_iterator_tIbNSD_35transform_pair_of_input_iterators_tIbNS6_6detail15normal_iteratorINS6_10device_ptrIKjEEEESL_NS6_8equal_toIjEEEENSG_9not_fun_tINSD_8identityEEEEENSD_19counting_iterator_tIlEES8_S8_S8_S8_S8_S8_S8_S8_EEEEPS9_S9_NSD_9__find_if7functorIS9_EEEE10hipError_tPvRmT1_T2_T3_mT4_P12ihipStream_tbEUlT_E1_NS1_11comp_targetILNS1_3genE2ELNS1_11target_archE906ELNS1_3gpuE6ELNS1_3repE0EEENS1_30default_config_static_selectorELNS0_4arch9wavefront6targetE0EEEvS14_: ; @_ZN7rocprim17ROCPRIM_400000_NS6detail17trampoline_kernelINS0_14default_configENS1_22reduce_config_selectorIN6thrust23THRUST_200600_302600_NS5tupleIblNS6_9null_typeES8_S8_S8_S8_S8_S8_S8_EEEEZNS1_11reduce_implILb1ES3_NS6_12zip_iteratorINS7_INS6_11hip_rocprim26transform_input_iterator_tIbNSD_35transform_pair_of_input_iterators_tIbNS6_6detail15normal_iteratorINS6_10device_ptrIKjEEEESL_NS6_8equal_toIjEEEENSG_9not_fun_tINSD_8identityEEEEENSD_19counting_iterator_tIlEES8_S8_S8_S8_S8_S8_S8_S8_EEEEPS9_S9_NSD_9__find_if7functorIS9_EEEE10hipError_tPvRmT1_T2_T3_mT4_P12ihipStream_tbEUlT_E1_NS1_11comp_targetILNS1_3genE2ELNS1_11target_archE906ELNS1_3gpuE6ELNS1_3repE0EEENS1_30default_config_static_selectorELNS0_4arch9wavefront6targetE0EEEvS14_
; %bb.0:
	.section	.rodata,"a",@progbits
	.p2align	6, 0x0
	.amdhsa_kernel _ZN7rocprim17ROCPRIM_400000_NS6detail17trampoline_kernelINS0_14default_configENS1_22reduce_config_selectorIN6thrust23THRUST_200600_302600_NS5tupleIblNS6_9null_typeES8_S8_S8_S8_S8_S8_S8_EEEEZNS1_11reduce_implILb1ES3_NS6_12zip_iteratorINS7_INS6_11hip_rocprim26transform_input_iterator_tIbNSD_35transform_pair_of_input_iterators_tIbNS6_6detail15normal_iteratorINS6_10device_ptrIKjEEEESL_NS6_8equal_toIjEEEENSG_9not_fun_tINSD_8identityEEEEENSD_19counting_iterator_tIlEES8_S8_S8_S8_S8_S8_S8_S8_EEEEPS9_S9_NSD_9__find_if7functorIS9_EEEE10hipError_tPvRmT1_T2_T3_mT4_P12ihipStream_tbEUlT_E1_NS1_11comp_targetILNS1_3genE2ELNS1_11target_archE906ELNS1_3gpuE6ELNS1_3repE0EEENS1_30default_config_static_selectorELNS0_4arch9wavefront6targetE0EEEvS14_
		.amdhsa_group_segment_fixed_size 0
		.amdhsa_private_segment_fixed_size 0
		.amdhsa_kernarg_size 88
		.amdhsa_user_sgpr_count 6
		.amdhsa_user_sgpr_private_segment_buffer 1
		.amdhsa_user_sgpr_dispatch_ptr 0
		.amdhsa_user_sgpr_queue_ptr 0
		.amdhsa_user_sgpr_kernarg_segment_ptr 1
		.amdhsa_user_sgpr_dispatch_id 0
		.amdhsa_user_sgpr_flat_scratch_init 0
		.amdhsa_user_sgpr_private_segment_size 0
		.amdhsa_wavefront_size32 1
		.amdhsa_uses_dynamic_stack 0
		.amdhsa_system_sgpr_private_segment_wavefront_offset 0
		.amdhsa_system_sgpr_workgroup_id_x 1
		.amdhsa_system_sgpr_workgroup_id_y 0
		.amdhsa_system_sgpr_workgroup_id_z 0
		.amdhsa_system_sgpr_workgroup_info 0
		.amdhsa_system_vgpr_workitem_id 0
		.amdhsa_next_free_vgpr 1
		.amdhsa_next_free_sgpr 1
		.amdhsa_reserve_vcc 0
		.amdhsa_reserve_flat_scratch 0
		.amdhsa_float_round_mode_32 0
		.amdhsa_float_round_mode_16_64 0
		.amdhsa_float_denorm_mode_32 3
		.amdhsa_float_denorm_mode_16_64 3
		.amdhsa_dx10_clamp 1
		.amdhsa_ieee_mode 1
		.amdhsa_fp16_overflow 0
		.amdhsa_workgroup_processor_mode 1
		.amdhsa_memory_ordered 1
		.amdhsa_forward_progress 1
		.amdhsa_shared_vgpr_count 0
		.amdhsa_exception_fp_ieee_invalid_op 0
		.amdhsa_exception_fp_denorm_src 0
		.amdhsa_exception_fp_ieee_div_zero 0
		.amdhsa_exception_fp_ieee_overflow 0
		.amdhsa_exception_fp_ieee_underflow 0
		.amdhsa_exception_fp_ieee_inexact 0
		.amdhsa_exception_int_div_zero 0
	.end_amdhsa_kernel
	.section	.text._ZN7rocprim17ROCPRIM_400000_NS6detail17trampoline_kernelINS0_14default_configENS1_22reduce_config_selectorIN6thrust23THRUST_200600_302600_NS5tupleIblNS6_9null_typeES8_S8_S8_S8_S8_S8_S8_EEEEZNS1_11reduce_implILb1ES3_NS6_12zip_iteratorINS7_INS6_11hip_rocprim26transform_input_iterator_tIbNSD_35transform_pair_of_input_iterators_tIbNS6_6detail15normal_iteratorINS6_10device_ptrIKjEEEESL_NS6_8equal_toIjEEEENSG_9not_fun_tINSD_8identityEEEEENSD_19counting_iterator_tIlEES8_S8_S8_S8_S8_S8_S8_S8_EEEEPS9_S9_NSD_9__find_if7functorIS9_EEEE10hipError_tPvRmT1_T2_T3_mT4_P12ihipStream_tbEUlT_E1_NS1_11comp_targetILNS1_3genE2ELNS1_11target_archE906ELNS1_3gpuE6ELNS1_3repE0EEENS1_30default_config_static_selectorELNS0_4arch9wavefront6targetE0EEEvS14_,"axG",@progbits,_ZN7rocprim17ROCPRIM_400000_NS6detail17trampoline_kernelINS0_14default_configENS1_22reduce_config_selectorIN6thrust23THRUST_200600_302600_NS5tupleIblNS6_9null_typeES8_S8_S8_S8_S8_S8_S8_EEEEZNS1_11reduce_implILb1ES3_NS6_12zip_iteratorINS7_INS6_11hip_rocprim26transform_input_iterator_tIbNSD_35transform_pair_of_input_iterators_tIbNS6_6detail15normal_iteratorINS6_10device_ptrIKjEEEESL_NS6_8equal_toIjEEEENSG_9not_fun_tINSD_8identityEEEEENSD_19counting_iterator_tIlEES8_S8_S8_S8_S8_S8_S8_S8_EEEEPS9_S9_NSD_9__find_if7functorIS9_EEEE10hipError_tPvRmT1_T2_T3_mT4_P12ihipStream_tbEUlT_E1_NS1_11comp_targetILNS1_3genE2ELNS1_11target_archE906ELNS1_3gpuE6ELNS1_3repE0EEENS1_30default_config_static_selectorELNS0_4arch9wavefront6targetE0EEEvS14_,comdat
.Lfunc_end217:
	.size	_ZN7rocprim17ROCPRIM_400000_NS6detail17trampoline_kernelINS0_14default_configENS1_22reduce_config_selectorIN6thrust23THRUST_200600_302600_NS5tupleIblNS6_9null_typeES8_S8_S8_S8_S8_S8_S8_EEEEZNS1_11reduce_implILb1ES3_NS6_12zip_iteratorINS7_INS6_11hip_rocprim26transform_input_iterator_tIbNSD_35transform_pair_of_input_iterators_tIbNS6_6detail15normal_iteratorINS6_10device_ptrIKjEEEESL_NS6_8equal_toIjEEEENSG_9not_fun_tINSD_8identityEEEEENSD_19counting_iterator_tIlEES8_S8_S8_S8_S8_S8_S8_S8_EEEEPS9_S9_NSD_9__find_if7functorIS9_EEEE10hipError_tPvRmT1_T2_T3_mT4_P12ihipStream_tbEUlT_E1_NS1_11comp_targetILNS1_3genE2ELNS1_11target_archE906ELNS1_3gpuE6ELNS1_3repE0EEENS1_30default_config_static_selectorELNS0_4arch9wavefront6targetE0EEEvS14_, .Lfunc_end217-_ZN7rocprim17ROCPRIM_400000_NS6detail17trampoline_kernelINS0_14default_configENS1_22reduce_config_selectorIN6thrust23THRUST_200600_302600_NS5tupleIblNS6_9null_typeES8_S8_S8_S8_S8_S8_S8_EEEEZNS1_11reduce_implILb1ES3_NS6_12zip_iteratorINS7_INS6_11hip_rocprim26transform_input_iterator_tIbNSD_35transform_pair_of_input_iterators_tIbNS6_6detail15normal_iteratorINS6_10device_ptrIKjEEEESL_NS6_8equal_toIjEEEENSG_9not_fun_tINSD_8identityEEEEENSD_19counting_iterator_tIlEES8_S8_S8_S8_S8_S8_S8_S8_EEEEPS9_S9_NSD_9__find_if7functorIS9_EEEE10hipError_tPvRmT1_T2_T3_mT4_P12ihipStream_tbEUlT_E1_NS1_11comp_targetILNS1_3genE2ELNS1_11target_archE906ELNS1_3gpuE6ELNS1_3repE0EEENS1_30default_config_static_selectorELNS0_4arch9wavefront6targetE0EEEvS14_
                                        ; -- End function
	.set _ZN7rocprim17ROCPRIM_400000_NS6detail17trampoline_kernelINS0_14default_configENS1_22reduce_config_selectorIN6thrust23THRUST_200600_302600_NS5tupleIblNS6_9null_typeES8_S8_S8_S8_S8_S8_S8_EEEEZNS1_11reduce_implILb1ES3_NS6_12zip_iteratorINS7_INS6_11hip_rocprim26transform_input_iterator_tIbNSD_35transform_pair_of_input_iterators_tIbNS6_6detail15normal_iteratorINS6_10device_ptrIKjEEEESL_NS6_8equal_toIjEEEENSG_9not_fun_tINSD_8identityEEEEENSD_19counting_iterator_tIlEES8_S8_S8_S8_S8_S8_S8_S8_EEEEPS9_S9_NSD_9__find_if7functorIS9_EEEE10hipError_tPvRmT1_T2_T3_mT4_P12ihipStream_tbEUlT_E1_NS1_11comp_targetILNS1_3genE2ELNS1_11target_archE906ELNS1_3gpuE6ELNS1_3repE0EEENS1_30default_config_static_selectorELNS0_4arch9wavefront6targetE0EEEvS14_.num_vgpr, 0
	.set _ZN7rocprim17ROCPRIM_400000_NS6detail17trampoline_kernelINS0_14default_configENS1_22reduce_config_selectorIN6thrust23THRUST_200600_302600_NS5tupleIblNS6_9null_typeES8_S8_S8_S8_S8_S8_S8_EEEEZNS1_11reduce_implILb1ES3_NS6_12zip_iteratorINS7_INS6_11hip_rocprim26transform_input_iterator_tIbNSD_35transform_pair_of_input_iterators_tIbNS6_6detail15normal_iteratorINS6_10device_ptrIKjEEEESL_NS6_8equal_toIjEEEENSG_9not_fun_tINSD_8identityEEEEENSD_19counting_iterator_tIlEES8_S8_S8_S8_S8_S8_S8_S8_EEEEPS9_S9_NSD_9__find_if7functorIS9_EEEE10hipError_tPvRmT1_T2_T3_mT4_P12ihipStream_tbEUlT_E1_NS1_11comp_targetILNS1_3genE2ELNS1_11target_archE906ELNS1_3gpuE6ELNS1_3repE0EEENS1_30default_config_static_selectorELNS0_4arch9wavefront6targetE0EEEvS14_.num_agpr, 0
	.set _ZN7rocprim17ROCPRIM_400000_NS6detail17trampoline_kernelINS0_14default_configENS1_22reduce_config_selectorIN6thrust23THRUST_200600_302600_NS5tupleIblNS6_9null_typeES8_S8_S8_S8_S8_S8_S8_EEEEZNS1_11reduce_implILb1ES3_NS6_12zip_iteratorINS7_INS6_11hip_rocprim26transform_input_iterator_tIbNSD_35transform_pair_of_input_iterators_tIbNS6_6detail15normal_iteratorINS6_10device_ptrIKjEEEESL_NS6_8equal_toIjEEEENSG_9not_fun_tINSD_8identityEEEEENSD_19counting_iterator_tIlEES8_S8_S8_S8_S8_S8_S8_S8_EEEEPS9_S9_NSD_9__find_if7functorIS9_EEEE10hipError_tPvRmT1_T2_T3_mT4_P12ihipStream_tbEUlT_E1_NS1_11comp_targetILNS1_3genE2ELNS1_11target_archE906ELNS1_3gpuE6ELNS1_3repE0EEENS1_30default_config_static_selectorELNS0_4arch9wavefront6targetE0EEEvS14_.numbered_sgpr, 0
	.set _ZN7rocprim17ROCPRIM_400000_NS6detail17trampoline_kernelINS0_14default_configENS1_22reduce_config_selectorIN6thrust23THRUST_200600_302600_NS5tupleIblNS6_9null_typeES8_S8_S8_S8_S8_S8_S8_EEEEZNS1_11reduce_implILb1ES3_NS6_12zip_iteratorINS7_INS6_11hip_rocprim26transform_input_iterator_tIbNSD_35transform_pair_of_input_iterators_tIbNS6_6detail15normal_iteratorINS6_10device_ptrIKjEEEESL_NS6_8equal_toIjEEEENSG_9not_fun_tINSD_8identityEEEEENSD_19counting_iterator_tIlEES8_S8_S8_S8_S8_S8_S8_S8_EEEEPS9_S9_NSD_9__find_if7functorIS9_EEEE10hipError_tPvRmT1_T2_T3_mT4_P12ihipStream_tbEUlT_E1_NS1_11comp_targetILNS1_3genE2ELNS1_11target_archE906ELNS1_3gpuE6ELNS1_3repE0EEENS1_30default_config_static_selectorELNS0_4arch9wavefront6targetE0EEEvS14_.num_named_barrier, 0
	.set _ZN7rocprim17ROCPRIM_400000_NS6detail17trampoline_kernelINS0_14default_configENS1_22reduce_config_selectorIN6thrust23THRUST_200600_302600_NS5tupleIblNS6_9null_typeES8_S8_S8_S8_S8_S8_S8_EEEEZNS1_11reduce_implILb1ES3_NS6_12zip_iteratorINS7_INS6_11hip_rocprim26transform_input_iterator_tIbNSD_35transform_pair_of_input_iterators_tIbNS6_6detail15normal_iteratorINS6_10device_ptrIKjEEEESL_NS6_8equal_toIjEEEENSG_9not_fun_tINSD_8identityEEEEENSD_19counting_iterator_tIlEES8_S8_S8_S8_S8_S8_S8_S8_EEEEPS9_S9_NSD_9__find_if7functorIS9_EEEE10hipError_tPvRmT1_T2_T3_mT4_P12ihipStream_tbEUlT_E1_NS1_11comp_targetILNS1_3genE2ELNS1_11target_archE906ELNS1_3gpuE6ELNS1_3repE0EEENS1_30default_config_static_selectorELNS0_4arch9wavefront6targetE0EEEvS14_.private_seg_size, 0
	.set _ZN7rocprim17ROCPRIM_400000_NS6detail17trampoline_kernelINS0_14default_configENS1_22reduce_config_selectorIN6thrust23THRUST_200600_302600_NS5tupleIblNS6_9null_typeES8_S8_S8_S8_S8_S8_S8_EEEEZNS1_11reduce_implILb1ES3_NS6_12zip_iteratorINS7_INS6_11hip_rocprim26transform_input_iterator_tIbNSD_35transform_pair_of_input_iterators_tIbNS6_6detail15normal_iteratorINS6_10device_ptrIKjEEEESL_NS6_8equal_toIjEEEENSG_9not_fun_tINSD_8identityEEEEENSD_19counting_iterator_tIlEES8_S8_S8_S8_S8_S8_S8_S8_EEEEPS9_S9_NSD_9__find_if7functorIS9_EEEE10hipError_tPvRmT1_T2_T3_mT4_P12ihipStream_tbEUlT_E1_NS1_11comp_targetILNS1_3genE2ELNS1_11target_archE906ELNS1_3gpuE6ELNS1_3repE0EEENS1_30default_config_static_selectorELNS0_4arch9wavefront6targetE0EEEvS14_.uses_vcc, 0
	.set _ZN7rocprim17ROCPRIM_400000_NS6detail17trampoline_kernelINS0_14default_configENS1_22reduce_config_selectorIN6thrust23THRUST_200600_302600_NS5tupleIblNS6_9null_typeES8_S8_S8_S8_S8_S8_S8_EEEEZNS1_11reduce_implILb1ES3_NS6_12zip_iteratorINS7_INS6_11hip_rocprim26transform_input_iterator_tIbNSD_35transform_pair_of_input_iterators_tIbNS6_6detail15normal_iteratorINS6_10device_ptrIKjEEEESL_NS6_8equal_toIjEEEENSG_9not_fun_tINSD_8identityEEEEENSD_19counting_iterator_tIlEES8_S8_S8_S8_S8_S8_S8_S8_EEEEPS9_S9_NSD_9__find_if7functorIS9_EEEE10hipError_tPvRmT1_T2_T3_mT4_P12ihipStream_tbEUlT_E1_NS1_11comp_targetILNS1_3genE2ELNS1_11target_archE906ELNS1_3gpuE6ELNS1_3repE0EEENS1_30default_config_static_selectorELNS0_4arch9wavefront6targetE0EEEvS14_.uses_flat_scratch, 0
	.set _ZN7rocprim17ROCPRIM_400000_NS6detail17trampoline_kernelINS0_14default_configENS1_22reduce_config_selectorIN6thrust23THRUST_200600_302600_NS5tupleIblNS6_9null_typeES8_S8_S8_S8_S8_S8_S8_EEEEZNS1_11reduce_implILb1ES3_NS6_12zip_iteratorINS7_INS6_11hip_rocprim26transform_input_iterator_tIbNSD_35transform_pair_of_input_iterators_tIbNS6_6detail15normal_iteratorINS6_10device_ptrIKjEEEESL_NS6_8equal_toIjEEEENSG_9not_fun_tINSD_8identityEEEEENSD_19counting_iterator_tIlEES8_S8_S8_S8_S8_S8_S8_S8_EEEEPS9_S9_NSD_9__find_if7functorIS9_EEEE10hipError_tPvRmT1_T2_T3_mT4_P12ihipStream_tbEUlT_E1_NS1_11comp_targetILNS1_3genE2ELNS1_11target_archE906ELNS1_3gpuE6ELNS1_3repE0EEENS1_30default_config_static_selectorELNS0_4arch9wavefront6targetE0EEEvS14_.has_dyn_sized_stack, 0
	.set _ZN7rocprim17ROCPRIM_400000_NS6detail17trampoline_kernelINS0_14default_configENS1_22reduce_config_selectorIN6thrust23THRUST_200600_302600_NS5tupleIblNS6_9null_typeES8_S8_S8_S8_S8_S8_S8_EEEEZNS1_11reduce_implILb1ES3_NS6_12zip_iteratorINS7_INS6_11hip_rocprim26transform_input_iterator_tIbNSD_35transform_pair_of_input_iterators_tIbNS6_6detail15normal_iteratorINS6_10device_ptrIKjEEEESL_NS6_8equal_toIjEEEENSG_9not_fun_tINSD_8identityEEEEENSD_19counting_iterator_tIlEES8_S8_S8_S8_S8_S8_S8_S8_EEEEPS9_S9_NSD_9__find_if7functorIS9_EEEE10hipError_tPvRmT1_T2_T3_mT4_P12ihipStream_tbEUlT_E1_NS1_11comp_targetILNS1_3genE2ELNS1_11target_archE906ELNS1_3gpuE6ELNS1_3repE0EEENS1_30default_config_static_selectorELNS0_4arch9wavefront6targetE0EEEvS14_.has_recursion, 0
	.set _ZN7rocprim17ROCPRIM_400000_NS6detail17trampoline_kernelINS0_14default_configENS1_22reduce_config_selectorIN6thrust23THRUST_200600_302600_NS5tupleIblNS6_9null_typeES8_S8_S8_S8_S8_S8_S8_EEEEZNS1_11reduce_implILb1ES3_NS6_12zip_iteratorINS7_INS6_11hip_rocprim26transform_input_iterator_tIbNSD_35transform_pair_of_input_iterators_tIbNS6_6detail15normal_iteratorINS6_10device_ptrIKjEEEESL_NS6_8equal_toIjEEEENSG_9not_fun_tINSD_8identityEEEEENSD_19counting_iterator_tIlEES8_S8_S8_S8_S8_S8_S8_S8_EEEEPS9_S9_NSD_9__find_if7functorIS9_EEEE10hipError_tPvRmT1_T2_T3_mT4_P12ihipStream_tbEUlT_E1_NS1_11comp_targetILNS1_3genE2ELNS1_11target_archE906ELNS1_3gpuE6ELNS1_3repE0EEENS1_30default_config_static_selectorELNS0_4arch9wavefront6targetE0EEEvS14_.has_indirect_call, 0
	.section	.AMDGPU.csdata,"",@progbits
; Kernel info:
; codeLenInByte = 0
; TotalNumSgprs: 0
; NumVgprs: 0
; ScratchSize: 0
; MemoryBound: 0
; FloatMode: 240
; IeeeMode: 1
; LDSByteSize: 0 bytes/workgroup (compile time only)
; SGPRBlocks: 0
; VGPRBlocks: 0
; NumSGPRsForWavesPerEU: 1
; NumVGPRsForWavesPerEU: 1
; Occupancy: 16
; WaveLimiterHint : 0
; COMPUTE_PGM_RSRC2:SCRATCH_EN: 0
; COMPUTE_PGM_RSRC2:USER_SGPR: 6
; COMPUTE_PGM_RSRC2:TRAP_HANDLER: 0
; COMPUTE_PGM_RSRC2:TGID_X_EN: 1
; COMPUTE_PGM_RSRC2:TGID_Y_EN: 0
; COMPUTE_PGM_RSRC2:TGID_Z_EN: 0
; COMPUTE_PGM_RSRC2:TIDIG_COMP_CNT: 0
	.section	.text._ZN7rocprim17ROCPRIM_400000_NS6detail17trampoline_kernelINS0_14default_configENS1_22reduce_config_selectorIN6thrust23THRUST_200600_302600_NS5tupleIblNS6_9null_typeES8_S8_S8_S8_S8_S8_S8_EEEEZNS1_11reduce_implILb1ES3_NS6_12zip_iteratorINS7_INS6_11hip_rocprim26transform_input_iterator_tIbNSD_35transform_pair_of_input_iterators_tIbNS6_6detail15normal_iteratorINS6_10device_ptrIKjEEEESL_NS6_8equal_toIjEEEENSG_9not_fun_tINSD_8identityEEEEENSD_19counting_iterator_tIlEES8_S8_S8_S8_S8_S8_S8_S8_EEEEPS9_S9_NSD_9__find_if7functorIS9_EEEE10hipError_tPvRmT1_T2_T3_mT4_P12ihipStream_tbEUlT_E1_NS1_11comp_targetILNS1_3genE10ELNS1_11target_archE1201ELNS1_3gpuE5ELNS1_3repE0EEENS1_30default_config_static_selectorELNS0_4arch9wavefront6targetE0EEEvS14_,"axG",@progbits,_ZN7rocprim17ROCPRIM_400000_NS6detail17trampoline_kernelINS0_14default_configENS1_22reduce_config_selectorIN6thrust23THRUST_200600_302600_NS5tupleIblNS6_9null_typeES8_S8_S8_S8_S8_S8_S8_EEEEZNS1_11reduce_implILb1ES3_NS6_12zip_iteratorINS7_INS6_11hip_rocprim26transform_input_iterator_tIbNSD_35transform_pair_of_input_iterators_tIbNS6_6detail15normal_iteratorINS6_10device_ptrIKjEEEESL_NS6_8equal_toIjEEEENSG_9not_fun_tINSD_8identityEEEEENSD_19counting_iterator_tIlEES8_S8_S8_S8_S8_S8_S8_S8_EEEEPS9_S9_NSD_9__find_if7functorIS9_EEEE10hipError_tPvRmT1_T2_T3_mT4_P12ihipStream_tbEUlT_E1_NS1_11comp_targetILNS1_3genE10ELNS1_11target_archE1201ELNS1_3gpuE5ELNS1_3repE0EEENS1_30default_config_static_selectorELNS0_4arch9wavefront6targetE0EEEvS14_,comdat
	.protected	_ZN7rocprim17ROCPRIM_400000_NS6detail17trampoline_kernelINS0_14default_configENS1_22reduce_config_selectorIN6thrust23THRUST_200600_302600_NS5tupleIblNS6_9null_typeES8_S8_S8_S8_S8_S8_S8_EEEEZNS1_11reduce_implILb1ES3_NS6_12zip_iteratorINS7_INS6_11hip_rocprim26transform_input_iterator_tIbNSD_35transform_pair_of_input_iterators_tIbNS6_6detail15normal_iteratorINS6_10device_ptrIKjEEEESL_NS6_8equal_toIjEEEENSG_9not_fun_tINSD_8identityEEEEENSD_19counting_iterator_tIlEES8_S8_S8_S8_S8_S8_S8_S8_EEEEPS9_S9_NSD_9__find_if7functorIS9_EEEE10hipError_tPvRmT1_T2_T3_mT4_P12ihipStream_tbEUlT_E1_NS1_11comp_targetILNS1_3genE10ELNS1_11target_archE1201ELNS1_3gpuE5ELNS1_3repE0EEENS1_30default_config_static_selectorELNS0_4arch9wavefront6targetE0EEEvS14_ ; -- Begin function _ZN7rocprim17ROCPRIM_400000_NS6detail17trampoline_kernelINS0_14default_configENS1_22reduce_config_selectorIN6thrust23THRUST_200600_302600_NS5tupleIblNS6_9null_typeES8_S8_S8_S8_S8_S8_S8_EEEEZNS1_11reduce_implILb1ES3_NS6_12zip_iteratorINS7_INS6_11hip_rocprim26transform_input_iterator_tIbNSD_35transform_pair_of_input_iterators_tIbNS6_6detail15normal_iteratorINS6_10device_ptrIKjEEEESL_NS6_8equal_toIjEEEENSG_9not_fun_tINSD_8identityEEEEENSD_19counting_iterator_tIlEES8_S8_S8_S8_S8_S8_S8_S8_EEEEPS9_S9_NSD_9__find_if7functorIS9_EEEE10hipError_tPvRmT1_T2_T3_mT4_P12ihipStream_tbEUlT_E1_NS1_11comp_targetILNS1_3genE10ELNS1_11target_archE1201ELNS1_3gpuE5ELNS1_3repE0EEENS1_30default_config_static_selectorELNS0_4arch9wavefront6targetE0EEEvS14_
	.globl	_ZN7rocprim17ROCPRIM_400000_NS6detail17trampoline_kernelINS0_14default_configENS1_22reduce_config_selectorIN6thrust23THRUST_200600_302600_NS5tupleIblNS6_9null_typeES8_S8_S8_S8_S8_S8_S8_EEEEZNS1_11reduce_implILb1ES3_NS6_12zip_iteratorINS7_INS6_11hip_rocprim26transform_input_iterator_tIbNSD_35transform_pair_of_input_iterators_tIbNS6_6detail15normal_iteratorINS6_10device_ptrIKjEEEESL_NS6_8equal_toIjEEEENSG_9not_fun_tINSD_8identityEEEEENSD_19counting_iterator_tIlEES8_S8_S8_S8_S8_S8_S8_S8_EEEEPS9_S9_NSD_9__find_if7functorIS9_EEEE10hipError_tPvRmT1_T2_T3_mT4_P12ihipStream_tbEUlT_E1_NS1_11comp_targetILNS1_3genE10ELNS1_11target_archE1201ELNS1_3gpuE5ELNS1_3repE0EEENS1_30default_config_static_selectorELNS0_4arch9wavefront6targetE0EEEvS14_
	.p2align	8
	.type	_ZN7rocprim17ROCPRIM_400000_NS6detail17trampoline_kernelINS0_14default_configENS1_22reduce_config_selectorIN6thrust23THRUST_200600_302600_NS5tupleIblNS6_9null_typeES8_S8_S8_S8_S8_S8_S8_EEEEZNS1_11reduce_implILb1ES3_NS6_12zip_iteratorINS7_INS6_11hip_rocprim26transform_input_iterator_tIbNSD_35transform_pair_of_input_iterators_tIbNS6_6detail15normal_iteratorINS6_10device_ptrIKjEEEESL_NS6_8equal_toIjEEEENSG_9not_fun_tINSD_8identityEEEEENSD_19counting_iterator_tIlEES8_S8_S8_S8_S8_S8_S8_S8_EEEEPS9_S9_NSD_9__find_if7functorIS9_EEEE10hipError_tPvRmT1_T2_T3_mT4_P12ihipStream_tbEUlT_E1_NS1_11comp_targetILNS1_3genE10ELNS1_11target_archE1201ELNS1_3gpuE5ELNS1_3repE0EEENS1_30default_config_static_selectorELNS0_4arch9wavefront6targetE0EEEvS14_,@function
_ZN7rocprim17ROCPRIM_400000_NS6detail17trampoline_kernelINS0_14default_configENS1_22reduce_config_selectorIN6thrust23THRUST_200600_302600_NS5tupleIblNS6_9null_typeES8_S8_S8_S8_S8_S8_S8_EEEEZNS1_11reduce_implILb1ES3_NS6_12zip_iteratorINS7_INS6_11hip_rocprim26transform_input_iterator_tIbNSD_35transform_pair_of_input_iterators_tIbNS6_6detail15normal_iteratorINS6_10device_ptrIKjEEEESL_NS6_8equal_toIjEEEENSG_9not_fun_tINSD_8identityEEEEENSD_19counting_iterator_tIlEES8_S8_S8_S8_S8_S8_S8_S8_EEEEPS9_S9_NSD_9__find_if7functorIS9_EEEE10hipError_tPvRmT1_T2_T3_mT4_P12ihipStream_tbEUlT_E1_NS1_11comp_targetILNS1_3genE10ELNS1_11target_archE1201ELNS1_3gpuE5ELNS1_3repE0EEENS1_30default_config_static_selectorELNS0_4arch9wavefront6targetE0EEEvS14_: ; @_ZN7rocprim17ROCPRIM_400000_NS6detail17trampoline_kernelINS0_14default_configENS1_22reduce_config_selectorIN6thrust23THRUST_200600_302600_NS5tupleIblNS6_9null_typeES8_S8_S8_S8_S8_S8_S8_EEEEZNS1_11reduce_implILb1ES3_NS6_12zip_iteratorINS7_INS6_11hip_rocprim26transform_input_iterator_tIbNSD_35transform_pair_of_input_iterators_tIbNS6_6detail15normal_iteratorINS6_10device_ptrIKjEEEESL_NS6_8equal_toIjEEEENSG_9not_fun_tINSD_8identityEEEEENSD_19counting_iterator_tIlEES8_S8_S8_S8_S8_S8_S8_S8_EEEEPS9_S9_NSD_9__find_if7functorIS9_EEEE10hipError_tPvRmT1_T2_T3_mT4_P12ihipStream_tbEUlT_E1_NS1_11comp_targetILNS1_3genE10ELNS1_11target_archE1201ELNS1_3gpuE5ELNS1_3repE0EEENS1_30default_config_static_selectorELNS0_4arch9wavefront6targetE0EEEvS14_
; %bb.0:
	.section	.rodata,"a",@progbits
	.p2align	6, 0x0
	.amdhsa_kernel _ZN7rocprim17ROCPRIM_400000_NS6detail17trampoline_kernelINS0_14default_configENS1_22reduce_config_selectorIN6thrust23THRUST_200600_302600_NS5tupleIblNS6_9null_typeES8_S8_S8_S8_S8_S8_S8_EEEEZNS1_11reduce_implILb1ES3_NS6_12zip_iteratorINS7_INS6_11hip_rocprim26transform_input_iterator_tIbNSD_35transform_pair_of_input_iterators_tIbNS6_6detail15normal_iteratorINS6_10device_ptrIKjEEEESL_NS6_8equal_toIjEEEENSG_9not_fun_tINSD_8identityEEEEENSD_19counting_iterator_tIlEES8_S8_S8_S8_S8_S8_S8_S8_EEEEPS9_S9_NSD_9__find_if7functorIS9_EEEE10hipError_tPvRmT1_T2_T3_mT4_P12ihipStream_tbEUlT_E1_NS1_11comp_targetILNS1_3genE10ELNS1_11target_archE1201ELNS1_3gpuE5ELNS1_3repE0EEENS1_30default_config_static_selectorELNS0_4arch9wavefront6targetE0EEEvS14_
		.amdhsa_group_segment_fixed_size 0
		.amdhsa_private_segment_fixed_size 0
		.amdhsa_kernarg_size 88
		.amdhsa_user_sgpr_count 6
		.amdhsa_user_sgpr_private_segment_buffer 1
		.amdhsa_user_sgpr_dispatch_ptr 0
		.amdhsa_user_sgpr_queue_ptr 0
		.amdhsa_user_sgpr_kernarg_segment_ptr 1
		.amdhsa_user_sgpr_dispatch_id 0
		.amdhsa_user_sgpr_flat_scratch_init 0
		.amdhsa_user_sgpr_private_segment_size 0
		.amdhsa_wavefront_size32 1
		.amdhsa_uses_dynamic_stack 0
		.amdhsa_system_sgpr_private_segment_wavefront_offset 0
		.amdhsa_system_sgpr_workgroup_id_x 1
		.amdhsa_system_sgpr_workgroup_id_y 0
		.amdhsa_system_sgpr_workgroup_id_z 0
		.amdhsa_system_sgpr_workgroup_info 0
		.amdhsa_system_vgpr_workitem_id 0
		.amdhsa_next_free_vgpr 1
		.amdhsa_next_free_sgpr 1
		.amdhsa_reserve_vcc 0
		.amdhsa_reserve_flat_scratch 0
		.amdhsa_float_round_mode_32 0
		.amdhsa_float_round_mode_16_64 0
		.amdhsa_float_denorm_mode_32 3
		.amdhsa_float_denorm_mode_16_64 3
		.amdhsa_dx10_clamp 1
		.amdhsa_ieee_mode 1
		.amdhsa_fp16_overflow 0
		.amdhsa_workgroup_processor_mode 1
		.amdhsa_memory_ordered 1
		.amdhsa_forward_progress 1
		.amdhsa_shared_vgpr_count 0
		.amdhsa_exception_fp_ieee_invalid_op 0
		.amdhsa_exception_fp_denorm_src 0
		.amdhsa_exception_fp_ieee_div_zero 0
		.amdhsa_exception_fp_ieee_overflow 0
		.amdhsa_exception_fp_ieee_underflow 0
		.amdhsa_exception_fp_ieee_inexact 0
		.amdhsa_exception_int_div_zero 0
	.end_amdhsa_kernel
	.section	.text._ZN7rocprim17ROCPRIM_400000_NS6detail17trampoline_kernelINS0_14default_configENS1_22reduce_config_selectorIN6thrust23THRUST_200600_302600_NS5tupleIblNS6_9null_typeES8_S8_S8_S8_S8_S8_S8_EEEEZNS1_11reduce_implILb1ES3_NS6_12zip_iteratorINS7_INS6_11hip_rocprim26transform_input_iterator_tIbNSD_35transform_pair_of_input_iterators_tIbNS6_6detail15normal_iteratorINS6_10device_ptrIKjEEEESL_NS6_8equal_toIjEEEENSG_9not_fun_tINSD_8identityEEEEENSD_19counting_iterator_tIlEES8_S8_S8_S8_S8_S8_S8_S8_EEEEPS9_S9_NSD_9__find_if7functorIS9_EEEE10hipError_tPvRmT1_T2_T3_mT4_P12ihipStream_tbEUlT_E1_NS1_11comp_targetILNS1_3genE10ELNS1_11target_archE1201ELNS1_3gpuE5ELNS1_3repE0EEENS1_30default_config_static_selectorELNS0_4arch9wavefront6targetE0EEEvS14_,"axG",@progbits,_ZN7rocprim17ROCPRIM_400000_NS6detail17trampoline_kernelINS0_14default_configENS1_22reduce_config_selectorIN6thrust23THRUST_200600_302600_NS5tupleIblNS6_9null_typeES8_S8_S8_S8_S8_S8_S8_EEEEZNS1_11reduce_implILb1ES3_NS6_12zip_iteratorINS7_INS6_11hip_rocprim26transform_input_iterator_tIbNSD_35transform_pair_of_input_iterators_tIbNS6_6detail15normal_iteratorINS6_10device_ptrIKjEEEESL_NS6_8equal_toIjEEEENSG_9not_fun_tINSD_8identityEEEEENSD_19counting_iterator_tIlEES8_S8_S8_S8_S8_S8_S8_S8_EEEEPS9_S9_NSD_9__find_if7functorIS9_EEEE10hipError_tPvRmT1_T2_T3_mT4_P12ihipStream_tbEUlT_E1_NS1_11comp_targetILNS1_3genE10ELNS1_11target_archE1201ELNS1_3gpuE5ELNS1_3repE0EEENS1_30default_config_static_selectorELNS0_4arch9wavefront6targetE0EEEvS14_,comdat
.Lfunc_end218:
	.size	_ZN7rocprim17ROCPRIM_400000_NS6detail17trampoline_kernelINS0_14default_configENS1_22reduce_config_selectorIN6thrust23THRUST_200600_302600_NS5tupleIblNS6_9null_typeES8_S8_S8_S8_S8_S8_S8_EEEEZNS1_11reduce_implILb1ES3_NS6_12zip_iteratorINS7_INS6_11hip_rocprim26transform_input_iterator_tIbNSD_35transform_pair_of_input_iterators_tIbNS6_6detail15normal_iteratorINS6_10device_ptrIKjEEEESL_NS6_8equal_toIjEEEENSG_9not_fun_tINSD_8identityEEEEENSD_19counting_iterator_tIlEES8_S8_S8_S8_S8_S8_S8_S8_EEEEPS9_S9_NSD_9__find_if7functorIS9_EEEE10hipError_tPvRmT1_T2_T3_mT4_P12ihipStream_tbEUlT_E1_NS1_11comp_targetILNS1_3genE10ELNS1_11target_archE1201ELNS1_3gpuE5ELNS1_3repE0EEENS1_30default_config_static_selectorELNS0_4arch9wavefront6targetE0EEEvS14_, .Lfunc_end218-_ZN7rocprim17ROCPRIM_400000_NS6detail17trampoline_kernelINS0_14default_configENS1_22reduce_config_selectorIN6thrust23THRUST_200600_302600_NS5tupleIblNS6_9null_typeES8_S8_S8_S8_S8_S8_S8_EEEEZNS1_11reduce_implILb1ES3_NS6_12zip_iteratorINS7_INS6_11hip_rocprim26transform_input_iterator_tIbNSD_35transform_pair_of_input_iterators_tIbNS6_6detail15normal_iteratorINS6_10device_ptrIKjEEEESL_NS6_8equal_toIjEEEENSG_9not_fun_tINSD_8identityEEEEENSD_19counting_iterator_tIlEES8_S8_S8_S8_S8_S8_S8_S8_EEEEPS9_S9_NSD_9__find_if7functorIS9_EEEE10hipError_tPvRmT1_T2_T3_mT4_P12ihipStream_tbEUlT_E1_NS1_11comp_targetILNS1_3genE10ELNS1_11target_archE1201ELNS1_3gpuE5ELNS1_3repE0EEENS1_30default_config_static_selectorELNS0_4arch9wavefront6targetE0EEEvS14_
                                        ; -- End function
	.set _ZN7rocprim17ROCPRIM_400000_NS6detail17trampoline_kernelINS0_14default_configENS1_22reduce_config_selectorIN6thrust23THRUST_200600_302600_NS5tupleIblNS6_9null_typeES8_S8_S8_S8_S8_S8_S8_EEEEZNS1_11reduce_implILb1ES3_NS6_12zip_iteratorINS7_INS6_11hip_rocprim26transform_input_iterator_tIbNSD_35transform_pair_of_input_iterators_tIbNS6_6detail15normal_iteratorINS6_10device_ptrIKjEEEESL_NS6_8equal_toIjEEEENSG_9not_fun_tINSD_8identityEEEEENSD_19counting_iterator_tIlEES8_S8_S8_S8_S8_S8_S8_S8_EEEEPS9_S9_NSD_9__find_if7functorIS9_EEEE10hipError_tPvRmT1_T2_T3_mT4_P12ihipStream_tbEUlT_E1_NS1_11comp_targetILNS1_3genE10ELNS1_11target_archE1201ELNS1_3gpuE5ELNS1_3repE0EEENS1_30default_config_static_selectorELNS0_4arch9wavefront6targetE0EEEvS14_.num_vgpr, 0
	.set _ZN7rocprim17ROCPRIM_400000_NS6detail17trampoline_kernelINS0_14default_configENS1_22reduce_config_selectorIN6thrust23THRUST_200600_302600_NS5tupleIblNS6_9null_typeES8_S8_S8_S8_S8_S8_S8_EEEEZNS1_11reduce_implILb1ES3_NS6_12zip_iteratorINS7_INS6_11hip_rocprim26transform_input_iterator_tIbNSD_35transform_pair_of_input_iterators_tIbNS6_6detail15normal_iteratorINS6_10device_ptrIKjEEEESL_NS6_8equal_toIjEEEENSG_9not_fun_tINSD_8identityEEEEENSD_19counting_iterator_tIlEES8_S8_S8_S8_S8_S8_S8_S8_EEEEPS9_S9_NSD_9__find_if7functorIS9_EEEE10hipError_tPvRmT1_T2_T3_mT4_P12ihipStream_tbEUlT_E1_NS1_11comp_targetILNS1_3genE10ELNS1_11target_archE1201ELNS1_3gpuE5ELNS1_3repE0EEENS1_30default_config_static_selectorELNS0_4arch9wavefront6targetE0EEEvS14_.num_agpr, 0
	.set _ZN7rocprim17ROCPRIM_400000_NS6detail17trampoline_kernelINS0_14default_configENS1_22reduce_config_selectorIN6thrust23THRUST_200600_302600_NS5tupleIblNS6_9null_typeES8_S8_S8_S8_S8_S8_S8_EEEEZNS1_11reduce_implILb1ES3_NS6_12zip_iteratorINS7_INS6_11hip_rocprim26transform_input_iterator_tIbNSD_35transform_pair_of_input_iterators_tIbNS6_6detail15normal_iteratorINS6_10device_ptrIKjEEEESL_NS6_8equal_toIjEEEENSG_9not_fun_tINSD_8identityEEEEENSD_19counting_iterator_tIlEES8_S8_S8_S8_S8_S8_S8_S8_EEEEPS9_S9_NSD_9__find_if7functorIS9_EEEE10hipError_tPvRmT1_T2_T3_mT4_P12ihipStream_tbEUlT_E1_NS1_11comp_targetILNS1_3genE10ELNS1_11target_archE1201ELNS1_3gpuE5ELNS1_3repE0EEENS1_30default_config_static_selectorELNS0_4arch9wavefront6targetE0EEEvS14_.numbered_sgpr, 0
	.set _ZN7rocprim17ROCPRIM_400000_NS6detail17trampoline_kernelINS0_14default_configENS1_22reduce_config_selectorIN6thrust23THRUST_200600_302600_NS5tupleIblNS6_9null_typeES8_S8_S8_S8_S8_S8_S8_EEEEZNS1_11reduce_implILb1ES3_NS6_12zip_iteratorINS7_INS6_11hip_rocprim26transform_input_iterator_tIbNSD_35transform_pair_of_input_iterators_tIbNS6_6detail15normal_iteratorINS6_10device_ptrIKjEEEESL_NS6_8equal_toIjEEEENSG_9not_fun_tINSD_8identityEEEEENSD_19counting_iterator_tIlEES8_S8_S8_S8_S8_S8_S8_S8_EEEEPS9_S9_NSD_9__find_if7functorIS9_EEEE10hipError_tPvRmT1_T2_T3_mT4_P12ihipStream_tbEUlT_E1_NS1_11comp_targetILNS1_3genE10ELNS1_11target_archE1201ELNS1_3gpuE5ELNS1_3repE0EEENS1_30default_config_static_selectorELNS0_4arch9wavefront6targetE0EEEvS14_.num_named_barrier, 0
	.set _ZN7rocprim17ROCPRIM_400000_NS6detail17trampoline_kernelINS0_14default_configENS1_22reduce_config_selectorIN6thrust23THRUST_200600_302600_NS5tupleIblNS6_9null_typeES8_S8_S8_S8_S8_S8_S8_EEEEZNS1_11reduce_implILb1ES3_NS6_12zip_iteratorINS7_INS6_11hip_rocprim26transform_input_iterator_tIbNSD_35transform_pair_of_input_iterators_tIbNS6_6detail15normal_iteratorINS6_10device_ptrIKjEEEESL_NS6_8equal_toIjEEEENSG_9not_fun_tINSD_8identityEEEEENSD_19counting_iterator_tIlEES8_S8_S8_S8_S8_S8_S8_S8_EEEEPS9_S9_NSD_9__find_if7functorIS9_EEEE10hipError_tPvRmT1_T2_T3_mT4_P12ihipStream_tbEUlT_E1_NS1_11comp_targetILNS1_3genE10ELNS1_11target_archE1201ELNS1_3gpuE5ELNS1_3repE0EEENS1_30default_config_static_selectorELNS0_4arch9wavefront6targetE0EEEvS14_.private_seg_size, 0
	.set _ZN7rocprim17ROCPRIM_400000_NS6detail17trampoline_kernelINS0_14default_configENS1_22reduce_config_selectorIN6thrust23THRUST_200600_302600_NS5tupleIblNS6_9null_typeES8_S8_S8_S8_S8_S8_S8_EEEEZNS1_11reduce_implILb1ES3_NS6_12zip_iteratorINS7_INS6_11hip_rocprim26transform_input_iterator_tIbNSD_35transform_pair_of_input_iterators_tIbNS6_6detail15normal_iteratorINS6_10device_ptrIKjEEEESL_NS6_8equal_toIjEEEENSG_9not_fun_tINSD_8identityEEEEENSD_19counting_iterator_tIlEES8_S8_S8_S8_S8_S8_S8_S8_EEEEPS9_S9_NSD_9__find_if7functorIS9_EEEE10hipError_tPvRmT1_T2_T3_mT4_P12ihipStream_tbEUlT_E1_NS1_11comp_targetILNS1_3genE10ELNS1_11target_archE1201ELNS1_3gpuE5ELNS1_3repE0EEENS1_30default_config_static_selectorELNS0_4arch9wavefront6targetE0EEEvS14_.uses_vcc, 0
	.set _ZN7rocprim17ROCPRIM_400000_NS6detail17trampoline_kernelINS0_14default_configENS1_22reduce_config_selectorIN6thrust23THRUST_200600_302600_NS5tupleIblNS6_9null_typeES8_S8_S8_S8_S8_S8_S8_EEEEZNS1_11reduce_implILb1ES3_NS6_12zip_iteratorINS7_INS6_11hip_rocprim26transform_input_iterator_tIbNSD_35transform_pair_of_input_iterators_tIbNS6_6detail15normal_iteratorINS6_10device_ptrIKjEEEESL_NS6_8equal_toIjEEEENSG_9not_fun_tINSD_8identityEEEEENSD_19counting_iterator_tIlEES8_S8_S8_S8_S8_S8_S8_S8_EEEEPS9_S9_NSD_9__find_if7functorIS9_EEEE10hipError_tPvRmT1_T2_T3_mT4_P12ihipStream_tbEUlT_E1_NS1_11comp_targetILNS1_3genE10ELNS1_11target_archE1201ELNS1_3gpuE5ELNS1_3repE0EEENS1_30default_config_static_selectorELNS0_4arch9wavefront6targetE0EEEvS14_.uses_flat_scratch, 0
	.set _ZN7rocprim17ROCPRIM_400000_NS6detail17trampoline_kernelINS0_14default_configENS1_22reduce_config_selectorIN6thrust23THRUST_200600_302600_NS5tupleIblNS6_9null_typeES8_S8_S8_S8_S8_S8_S8_EEEEZNS1_11reduce_implILb1ES3_NS6_12zip_iteratorINS7_INS6_11hip_rocprim26transform_input_iterator_tIbNSD_35transform_pair_of_input_iterators_tIbNS6_6detail15normal_iteratorINS6_10device_ptrIKjEEEESL_NS6_8equal_toIjEEEENSG_9not_fun_tINSD_8identityEEEEENSD_19counting_iterator_tIlEES8_S8_S8_S8_S8_S8_S8_S8_EEEEPS9_S9_NSD_9__find_if7functorIS9_EEEE10hipError_tPvRmT1_T2_T3_mT4_P12ihipStream_tbEUlT_E1_NS1_11comp_targetILNS1_3genE10ELNS1_11target_archE1201ELNS1_3gpuE5ELNS1_3repE0EEENS1_30default_config_static_selectorELNS0_4arch9wavefront6targetE0EEEvS14_.has_dyn_sized_stack, 0
	.set _ZN7rocprim17ROCPRIM_400000_NS6detail17trampoline_kernelINS0_14default_configENS1_22reduce_config_selectorIN6thrust23THRUST_200600_302600_NS5tupleIblNS6_9null_typeES8_S8_S8_S8_S8_S8_S8_EEEEZNS1_11reduce_implILb1ES3_NS6_12zip_iteratorINS7_INS6_11hip_rocprim26transform_input_iterator_tIbNSD_35transform_pair_of_input_iterators_tIbNS6_6detail15normal_iteratorINS6_10device_ptrIKjEEEESL_NS6_8equal_toIjEEEENSG_9not_fun_tINSD_8identityEEEEENSD_19counting_iterator_tIlEES8_S8_S8_S8_S8_S8_S8_S8_EEEEPS9_S9_NSD_9__find_if7functorIS9_EEEE10hipError_tPvRmT1_T2_T3_mT4_P12ihipStream_tbEUlT_E1_NS1_11comp_targetILNS1_3genE10ELNS1_11target_archE1201ELNS1_3gpuE5ELNS1_3repE0EEENS1_30default_config_static_selectorELNS0_4arch9wavefront6targetE0EEEvS14_.has_recursion, 0
	.set _ZN7rocprim17ROCPRIM_400000_NS6detail17trampoline_kernelINS0_14default_configENS1_22reduce_config_selectorIN6thrust23THRUST_200600_302600_NS5tupleIblNS6_9null_typeES8_S8_S8_S8_S8_S8_S8_EEEEZNS1_11reduce_implILb1ES3_NS6_12zip_iteratorINS7_INS6_11hip_rocprim26transform_input_iterator_tIbNSD_35transform_pair_of_input_iterators_tIbNS6_6detail15normal_iteratorINS6_10device_ptrIKjEEEESL_NS6_8equal_toIjEEEENSG_9not_fun_tINSD_8identityEEEEENSD_19counting_iterator_tIlEES8_S8_S8_S8_S8_S8_S8_S8_EEEEPS9_S9_NSD_9__find_if7functorIS9_EEEE10hipError_tPvRmT1_T2_T3_mT4_P12ihipStream_tbEUlT_E1_NS1_11comp_targetILNS1_3genE10ELNS1_11target_archE1201ELNS1_3gpuE5ELNS1_3repE0EEENS1_30default_config_static_selectorELNS0_4arch9wavefront6targetE0EEEvS14_.has_indirect_call, 0
	.section	.AMDGPU.csdata,"",@progbits
; Kernel info:
; codeLenInByte = 0
; TotalNumSgprs: 0
; NumVgprs: 0
; ScratchSize: 0
; MemoryBound: 0
; FloatMode: 240
; IeeeMode: 1
; LDSByteSize: 0 bytes/workgroup (compile time only)
; SGPRBlocks: 0
; VGPRBlocks: 0
; NumSGPRsForWavesPerEU: 1
; NumVGPRsForWavesPerEU: 1
; Occupancy: 16
; WaveLimiterHint : 0
; COMPUTE_PGM_RSRC2:SCRATCH_EN: 0
; COMPUTE_PGM_RSRC2:USER_SGPR: 6
; COMPUTE_PGM_RSRC2:TRAP_HANDLER: 0
; COMPUTE_PGM_RSRC2:TGID_X_EN: 1
; COMPUTE_PGM_RSRC2:TGID_Y_EN: 0
; COMPUTE_PGM_RSRC2:TGID_Z_EN: 0
; COMPUTE_PGM_RSRC2:TIDIG_COMP_CNT: 0
	.section	.text._ZN7rocprim17ROCPRIM_400000_NS6detail17trampoline_kernelINS0_14default_configENS1_22reduce_config_selectorIN6thrust23THRUST_200600_302600_NS5tupleIblNS6_9null_typeES8_S8_S8_S8_S8_S8_S8_EEEEZNS1_11reduce_implILb1ES3_NS6_12zip_iteratorINS7_INS6_11hip_rocprim26transform_input_iterator_tIbNSD_35transform_pair_of_input_iterators_tIbNS6_6detail15normal_iteratorINS6_10device_ptrIKjEEEESL_NS6_8equal_toIjEEEENSG_9not_fun_tINSD_8identityEEEEENSD_19counting_iterator_tIlEES8_S8_S8_S8_S8_S8_S8_S8_EEEEPS9_S9_NSD_9__find_if7functorIS9_EEEE10hipError_tPvRmT1_T2_T3_mT4_P12ihipStream_tbEUlT_E1_NS1_11comp_targetILNS1_3genE10ELNS1_11target_archE1200ELNS1_3gpuE4ELNS1_3repE0EEENS1_30default_config_static_selectorELNS0_4arch9wavefront6targetE0EEEvS14_,"axG",@progbits,_ZN7rocprim17ROCPRIM_400000_NS6detail17trampoline_kernelINS0_14default_configENS1_22reduce_config_selectorIN6thrust23THRUST_200600_302600_NS5tupleIblNS6_9null_typeES8_S8_S8_S8_S8_S8_S8_EEEEZNS1_11reduce_implILb1ES3_NS6_12zip_iteratorINS7_INS6_11hip_rocprim26transform_input_iterator_tIbNSD_35transform_pair_of_input_iterators_tIbNS6_6detail15normal_iteratorINS6_10device_ptrIKjEEEESL_NS6_8equal_toIjEEEENSG_9not_fun_tINSD_8identityEEEEENSD_19counting_iterator_tIlEES8_S8_S8_S8_S8_S8_S8_S8_EEEEPS9_S9_NSD_9__find_if7functorIS9_EEEE10hipError_tPvRmT1_T2_T3_mT4_P12ihipStream_tbEUlT_E1_NS1_11comp_targetILNS1_3genE10ELNS1_11target_archE1200ELNS1_3gpuE4ELNS1_3repE0EEENS1_30default_config_static_selectorELNS0_4arch9wavefront6targetE0EEEvS14_,comdat
	.protected	_ZN7rocprim17ROCPRIM_400000_NS6detail17trampoline_kernelINS0_14default_configENS1_22reduce_config_selectorIN6thrust23THRUST_200600_302600_NS5tupleIblNS6_9null_typeES8_S8_S8_S8_S8_S8_S8_EEEEZNS1_11reduce_implILb1ES3_NS6_12zip_iteratorINS7_INS6_11hip_rocprim26transform_input_iterator_tIbNSD_35transform_pair_of_input_iterators_tIbNS6_6detail15normal_iteratorINS6_10device_ptrIKjEEEESL_NS6_8equal_toIjEEEENSG_9not_fun_tINSD_8identityEEEEENSD_19counting_iterator_tIlEES8_S8_S8_S8_S8_S8_S8_S8_EEEEPS9_S9_NSD_9__find_if7functorIS9_EEEE10hipError_tPvRmT1_T2_T3_mT4_P12ihipStream_tbEUlT_E1_NS1_11comp_targetILNS1_3genE10ELNS1_11target_archE1200ELNS1_3gpuE4ELNS1_3repE0EEENS1_30default_config_static_selectorELNS0_4arch9wavefront6targetE0EEEvS14_ ; -- Begin function _ZN7rocprim17ROCPRIM_400000_NS6detail17trampoline_kernelINS0_14default_configENS1_22reduce_config_selectorIN6thrust23THRUST_200600_302600_NS5tupleIblNS6_9null_typeES8_S8_S8_S8_S8_S8_S8_EEEEZNS1_11reduce_implILb1ES3_NS6_12zip_iteratorINS7_INS6_11hip_rocprim26transform_input_iterator_tIbNSD_35transform_pair_of_input_iterators_tIbNS6_6detail15normal_iteratorINS6_10device_ptrIKjEEEESL_NS6_8equal_toIjEEEENSG_9not_fun_tINSD_8identityEEEEENSD_19counting_iterator_tIlEES8_S8_S8_S8_S8_S8_S8_S8_EEEEPS9_S9_NSD_9__find_if7functorIS9_EEEE10hipError_tPvRmT1_T2_T3_mT4_P12ihipStream_tbEUlT_E1_NS1_11comp_targetILNS1_3genE10ELNS1_11target_archE1200ELNS1_3gpuE4ELNS1_3repE0EEENS1_30default_config_static_selectorELNS0_4arch9wavefront6targetE0EEEvS14_
	.globl	_ZN7rocprim17ROCPRIM_400000_NS6detail17trampoline_kernelINS0_14default_configENS1_22reduce_config_selectorIN6thrust23THRUST_200600_302600_NS5tupleIblNS6_9null_typeES8_S8_S8_S8_S8_S8_S8_EEEEZNS1_11reduce_implILb1ES3_NS6_12zip_iteratorINS7_INS6_11hip_rocprim26transform_input_iterator_tIbNSD_35transform_pair_of_input_iterators_tIbNS6_6detail15normal_iteratorINS6_10device_ptrIKjEEEESL_NS6_8equal_toIjEEEENSG_9not_fun_tINSD_8identityEEEEENSD_19counting_iterator_tIlEES8_S8_S8_S8_S8_S8_S8_S8_EEEEPS9_S9_NSD_9__find_if7functorIS9_EEEE10hipError_tPvRmT1_T2_T3_mT4_P12ihipStream_tbEUlT_E1_NS1_11comp_targetILNS1_3genE10ELNS1_11target_archE1200ELNS1_3gpuE4ELNS1_3repE0EEENS1_30default_config_static_selectorELNS0_4arch9wavefront6targetE0EEEvS14_
	.p2align	8
	.type	_ZN7rocprim17ROCPRIM_400000_NS6detail17trampoline_kernelINS0_14default_configENS1_22reduce_config_selectorIN6thrust23THRUST_200600_302600_NS5tupleIblNS6_9null_typeES8_S8_S8_S8_S8_S8_S8_EEEEZNS1_11reduce_implILb1ES3_NS6_12zip_iteratorINS7_INS6_11hip_rocprim26transform_input_iterator_tIbNSD_35transform_pair_of_input_iterators_tIbNS6_6detail15normal_iteratorINS6_10device_ptrIKjEEEESL_NS6_8equal_toIjEEEENSG_9not_fun_tINSD_8identityEEEEENSD_19counting_iterator_tIlEES8_S8_S8_S8_S8_S8_S8_S8_EEEEPS9_S9_NSD_9__find_if7functorIS9_EEEE10hipError_tPvRmT1_T2_T3_mT4_P12ihipStream_tbEUlT_E1_NS1_11comp_targetILNS1_3genE10ELNS1_11target_archE1200ELNS1_3gpuE4ELNS1_3repE0EEENS1_30default_config_static_selectorELNS0_4arch9wavefront6targetE0EEEvS14_,@function
_ZN7rocprim17ROCPRIM_400000_NS6detail17trampoline_kernelINS0_14default_configENS1_22reduce_config_selectorIN6thrust23THRUST_200600_302600_NS5tupleIblNS6_9null_typeES8_S8_S8_S8_S8_S8_S8_EEEEZNS1_11reduce_implILb1ES3_NS6_12zip_iteratorINS7_INS6_11hip_rocprim26transform_input_iterator_tIbNSD_35transform_pair_of_input_iterators_tIbNS6_6detail15normal_iteratorINS6_10device_ptrIKjEEEESL_NS6_8equal_toIjEEEENSG_9not_fun_tINSD_8identityEEEEENSD_19counting_iterator_tIlEES8_S8_S8_S8_S8_S8_S8_S8_EEEEPS9_S9_NSD_9__find_if7functorIS9_EEEE10hipError_tPvRmT1_T2_T3_mT4_P12ihipStream_tbEUlT_E1_NS1_11comp_targetILNS1_3genE10ELNS1_11target_archE1200ELNS1_3gpuE4ELNS1_3repE0EEENS1_30default_config_static_selectorELNS0_4arch9wavefront6targetE0EEEvS14_: ; @_ZN7rocprim17ROCPRIM_400000_NS6detail17trampoline_kernelINS0_14default_configENS1_22reduce_config_selectorIN6thrust23THRUST_200600_302600_NS5tupleIblNS6_9null_typeES8_S8_S8_S8_S8_S8_S8_EEEEZNS1_11reduce_implILb1ES3_NS6_12zip_iteratorINS7_INS6_11hip_rocprim26transform_input_iterator_tIbNSD_35transform_pair_of_input_iterators_tIbNS6_6detail15normal_iteratorINS6_10device_ptrIKjEEEESL_NS6_8equal_toIjEEEENSG_9not_fun_tINSD_8identityEEEEENSD_19counting_iterator_tIlEES8_S8_S8_S8_S8_S8_S8_S8_EEEEPS9_S9_NSD_9__find_if7functorIS9_EEEE10hipError_tPvRmT1_T2_T3_mT4_P12ihipStream_tbEUlT_E1_NS1_11comp_targetILNS1_3genE10ELNS1_11target_archE1200ELNS1_3gpuE4ELNS1_3repE0EEENS1_30default_config_static_selectorELNS0_4arch9wavefront6targetE0EEEvS14_
; %bb.0:
	.section	.rodata,"a",@progbits
	.p2align	6, 0x0
	.amdhsa_kernel _ZN7rocprim17ROCPRIM_400000_NS6detail17trampoline_kernelINS0_14default_configENS1_22reduce_config_selectorIN6thrust23THRUST_200600_302600_NS5tupleIblNS6_9null_typeES8_S8_S8_S8_S8_S8_S8_EEEEZNS1_11reduce_implILb1ES3_NS6_12zip_iteratorINS7_INS6_11hip_rocprim26transform_input_iterator_tIbNSD_35transform_pair_of_input_iterators_tIbNS6_6detail15normal_iteratorINS6_10device_ptrIKjEEEESL_NS6_8equal_toIjEEEENSG_9not_fun_tINSD_8identityEEEEENSD_19counting_iterator_tIlEES8_S8_S8_S8_S8_S8_S8_S8_EEEEPS9_S9_NSD_9__find_if7functorIS9_EEEE10hipError_tPvRmT1_T2_T3_mT4_P12ihipStream_tbEUlT_E1_NS1_11comp_targetILNS1_3genE10ELNS1_11target_archE1200ELNS1_3gpuE4ELNS1_3repE0EEENS1_30default_config_static_selectorELNS0_4arch9wavefront6targetE0EEEvS14_
		.amdhsa_group_segment_fixed_size 0
		.amdhsa_private_segment_fixed_size 0
		.amdhsa_kernarg_size 88
		.amdhsa_user_sgpr_count 6
		.amdhsa_user_sgpr_private_segment_buffer 1
		.amdhsa_user_sgpr_dispatch_ptr 0
		.amdhsa_user_sgpr_queue_ptr 0
		.amdhsa_user_sgpr_kernarg_segment_ptr 1
		.amdhsa_user_sgpr_dispatch_id 0
		.amdhsa_user_sgpr_flat_scratch_init 0
		.amdhsa_user_sgpr_private_segment_size 0
		.amdhsa_wavefront_size32 1
		.amdhsa_uses_dynamic_stack 0
		.amdhsa_system_sgpr_private_segment_wavefront_offset 0
		.amdhsa_system_sgpr_workgroup_id_x 1
		.amdhsa_system_sgpr_workgroup_id_y 0
		.amdhsa_system_sgpr_workgroup_id_z 0
		.amdhsa_system_sgpr_workgroup_info 0
		.amdhsa_system_vgpr_workitem_id 0
		.amdhsa_next_free_vgpr 1
		.amdhsa_next_free_sgpr 1
		.amdhsa_reserve_vcc 0
		.amdhsa_reserve_flat_scratch 0
		.amdhsa_float_round_mode_32 0
		.amdhsa_float_round_mode_16_64 0
		.amdhsa_float_denorm_mode_32 3
		.amdhsa_float_denorm_mode_16_64 3
		.amdhsa_dx10_clamp 1
		.amdhsa_ieee_mode 1
		.amdhsa_fp16_overflow 0
		.amdhsa_workgroup_processor_mode 1
		.amdhsa_memory_ordered 1
		.amdhsa_forward_progress 1
		.amdhsa_shared_vgpr_count 0
		.amdhsa_exception_fp_ieee_invalid_op 0
		.amdhsa_exception_fp_denorm_src 0
		.amdhsa_exception_fp_ieee_div_zero 0
		.amdhsa_exception_fp_ieee_overflow 0
		.amdhsa_exception_fp_ieee_underflow 0
		.amdhsa_exception_fp_ieee_inexact 0
		.amdhsa_exception_int_div_zero 0
	.end_amdhsa_kernel
	.section	.text._ZN7rocprim17ROCPRIM_400000_NS6detail17trampoline_kernelINS0_14default_configENS1_22reduce_config_selectorIN6thrust23THRUST_200600_302600_NS5tupleIblNS6_9null_typeES8_S8_S8_S8_S8_S8_S8_EEEEZNS1_11reduce_implILb1ES3_NS6_12zip_iteratorINS7_INS6_11hip_rocprim26transform_input_iterator_tIbNSD_35transform_pair_of_input_iterators_tIbNS6_6detail15normal_iteratorINS6_10device_ptrIKjEEEESL_NS6_8equal_toIjEEEENSG_9not_fun_tINSD_8identityEEEEENSD_19counting_iterator_tIlEES8_S8_S8_S8_S8_S8_S8_S8_EEEEPS9_S9_NSD_9__find_if7functorIS9_EEEE10hipError_tPvRmT1_T2_T3_mT4_P12ihipStream_tbEUlT_E1_NS1_11comp_targetILNS1_3genE10ELNS1_11target_archE1200ELNS1_3gpuE4ELNS1_3repE0EEENS1_30default_config_static_selectorELNS0_4arch9wavefront6targetE0EEEvS14_,"axG",@progbits,_ZN7rocprim17ROCPRIM_400000_NS6detail17trampoline_kernelINS0_14default_configENS1_22reduce_config_selectorIN6thrust23THRUST_200600_302600_NS5tupleIblNS6_9null_typeES8_S8_S8_S8_S8_S8_S8_EEEEZNS1_11reduce_implILb1ES3_NS6_12zip_iteratorINS7_INS6_11hip_rocprim26transform_input_iterator_tIbNSD_35transform_pair_of_input_iterators_tIbNS6_6detail15normal_iteratorINS6_10device_ptrIKjEEEESL_NS6_8equal_toIjEEEENSG_9not_fun_tINSD_8identityEEEEENSD_19counting_iterator_tIlEES8_S8_S8_S8_S8_S8_S8_S8_EEEEPS9_S9_NSD_9__find_if7functorIS9_EEEE10hipError_tPvRmT1_T2_T3_mT4_P12ihipStream_tbEUlT_E1_NS1_11comp_targetILNS1_3genE10ELNS1_11target_archE1200ELNS1_3gpuE4ELNS1_3repE0EEENS1_30default_config_static_selectorELNS0_4arch9wavefront6targetE0EEEvS14_,comdat
.Lfunc_end219:
	.size	_ZN7rocprim17ROCPRIM_400000_NS6detail17trampoline_kernelINS0_14default_configENS1_22reduce_config_selectorIN6thrust23THRUST_200600_302600_NS5tupleIblNS6_9null_typeES8_S8_S8_S8_S8_S8_S8_EEEEZNS1_11reduce_implILb1ES3_NS6_12zip_iteratorINS7_INS6_11hip_rocprim26transform_input_iterator_tIbNSD_35transform_pair_of_input_iterators_tIbNS6_6detail15normal_iteratorINS6_10device_ptrIKjEEEESL_NS6_8equal_toIjEEEENSG_9not_fun_tINSD_8identityEEEEENSD_19counting_iterator_tIlEES8_S8_S8_S8_S8_S8_S8_S8_EEEEPS9_S9_NSD_9__find_if7functorIS9_EEEE10hipError_tPvRmT1_T2_T3_mT4_P12ihipStream_tbEUlT_E1_NS1_11comp_targetILNS1_3genE10ELNS1_11target_archE1200ELNS1_3gpuE4ELNS1_3repE0EEENS1_30default_config_static_selectorELNS0_4arch9wavefront6targetE0EEEvS14_, .Lfunc_end219-_ZN7rocprim17ROCPRIM_400000_NS6detail17trampoline_kernelINS0_14default_configENS1_22reduce_config_selectorIN6thrust23THRUST_200600_302600_NS5tupleIblNS6_9null_typeES8_S8_S8_S8_S8_S8_S8_EEEEZNS1_11reduce_implILb1ES3_NS6_12zip_iteratorINS7_INS6_11hip_rocprim26transform_input_iterator_tIbNSD_35transform_pair_of_input_iterators_tIbNS6_6detail15normal_iteratorINS6_10device_ptrIKjEEEESL_NS6_8equal_toIjEEEENSG_9not_fun_tINSD_8identityEEEEENSD_19counting_iterator_tIlEES8_S8_S8_S8_S8_S8_S8_S8_EEEEPS9_S9_NSD_9__find_if7functorIS9_EEEE10hipError_tPvRmT1_T2_T3_mT4_P12ihipStream_tbEUlT_E1_NS1_11comp_targetILNS1_3genE10ELNS1_11target_archE1200ELNS1_3gpuE4ELNS1_3repE0EEENS1_30default_config_static_selectorELNS0_4arch9wavefront6targetE0EEEvS14_
                                        ; -- End function
	.set _ZN7rocprim17ROCPRIM_400000_NS6detail17trampoline_kernelINS0_14default_configENS1_22reduce_config_selectorIN6thrust23THRUST_200600_302600_NS5tupleIblNS6_9null_typeES8_S8_S8_S8_S8_S8_S8_EEEEZNS1_11reduce_implILb1ES3_NS6_12zip_iteratorINS7_INS6_11hip_rocprim26transform_input_iterator_tIbNSD_35transform_pair_of_input_iterators_tIbNS6_6detail15normal_iteratorINS6_10device_ptrIKjEEEESL_NS6_8equal_toIjEEEENSG_9not_fun_tINSD_8identityEEEEENSD_19counting_iterator_tIlEES8_S8_S8_S8_S8_S8_S8_S8_EEEEPS9_S9_NSD_9__find_if7functorIS9_EEEE10hipError_tPvRmT1_T2_T3_mT4_P12ihipStream_tbEUlT_E1_NS1_11comp_targetILNS1_3genE10ELNS1_11target_archE1200ELNS1_3gpuE4ELNS1_3repE0EEENS1_30default_config_static_selectorELNS0_4arch9wavefront6targetE0EEEvS14_.num_vgpr, 0
	.set _ZN7rocprim17ROCPRIM_400000_NS6detail17trampoline_kernelINS0_14default_configENS1_22reduce_config_selectorIN6thrust23THRUST_200600_302600_NS5tupleIblNS6_9null_typeES8_S8_S8_S8_S8_S8_S8_EEEEZNS1_11reduce_implILb1ES3_NS6_12zip_iteratorINS7_INS6_11hip_rocprim26transform_input_iterator_tIbNSD_35transform_pair_of_input_iterators_tIbNS6_6detail15normal_iteratorINS6_10device_ptrIKjEEEESL_NS6_8equal_toIjEEEENSG_9not_fun_tINSD_8identityEEEEENSD_19counting_iterator_tIlEES8_S8_S8_S8_S8_S8_S8_S8_EEEEPS9_S9_NSD_9__find_if7functorIS9_EEEE10hipError_tPvRmT1_T2_T3_mT4_P12ihipStream_tbEUlT_E1_NS1_11comp_targetILNS1_3genE10ELNS1_11target_archE1200ELNS1_3gpuE4ELNS1_3repE0EEENS1_30default_config_static_selectorELNS0_4arch9wavefront6targetE0EEEvS14_.num_agpr, 0
	.set _ZN7rocprim17ROCPRIM_400000_NS6detail17trampoline_kernelINS0_14default_configENS1_22reduce_config_selectorIN6thrust23THRUST_200600_302600_NS5tupleIblNS6_9null_typeES8_S8_S8_S8_S8_S8_S8_EEEEZNS1_11reduce_implILb1ES3_NS6_12zip_iteratorINS7_INS6_11hip_rocprim26transform_input_iterator_tIbNSD_35transform_pair_of_input_iterators_tIbNS6_6detail15normal_iteratorINS6_10device_ptrIKjEEEESL_NS6_8equal_toIjEEEENSG_9not_fun_tINSD_8identityEEEEENSD_19counting_iterator_tIlEES8_S8_S8_S8_S8_S8_S8_S8_EEEEPS9_S9_NSD_9__find_if7functorIS9_EEEE10hipError_tPvRmT1_T2_T3_mT4_P12ihipStream_tbEUlT_E1_NS1_11comp_targetILNS1_3genE10ELNS1_11target_archE1200ELNS1_3gpuE4ELNS1_3repE0EEENS1_30default_config_static_selectorELNS0_4arch9wavefront6targetE0EEEvS14_.numbered_sgpr, 0
	.set _ZN7rocprim17ROCPRIM_400000_NS6detail17trampoline_kernelINS0_14default_configENS1_22reduce_config_selectorIN6thrust23THRUST_200600_302600_NS5tupleIblNS6_9null_typeES8_S8_S8_S8_S8_S8_S8_EEEEZNS1_11reduce_implILb1ES3_NS6_12zip_iteratorINS7_INS6_11hip_rocprim26transform_input_iterator_tIbNSD_35transform_pair_of_input_iterators_tIbNS6_6detail15normal_iteratorINS6_10device_ptrIKjEEEESL_NS6_8equal_toIjEEEENSG_9not_fun_tINSD_8identityEEEEENSD_19counting_iterator_tIlEES8_S8_S8_S8_S8_S8_S8_S8_EEEEPS9_S9_NSD_9__find_if7functorIS9_EEEE10hipError_tPvRmT1_T2_T3_mT4_P12ihipStream_tbEUlT_E1_NS1_11comp_targetILNS1_3genE10ELNS1_11target_archE1200ELNS1_3gpuE4ELNS1_3repE0EEENS1_30default_config_static_selectorELNS0_4arch9wavefront6targetE0EEEvS14_.num_named_barrier, 0
	.set _ZN7rocprim17ROCPRIM_400000_NS6detail17trampoline_kernelINS0_14default_configENS1_22reduce_config_selectorIN6thrust23THRUST_200600_302600_NS5tupleIblNS6_9null_typeES8_S8_S8_S8_S8_S8_S8_EEEEZNS1_11reduce_implILb1ES3_NS6_12zip_iteratorINS7_INS6_11hip_rocprim26transform_input_iterator_tIbNSD_35transform_pair_of_input_iterators_tIbNS6_6detail15normal_iteratorINS6_10device_ptrIKjEEEESL_NS6_8equal_toIjEEEENSG_9not_fun_tINSD_8identityEEEEENSD_19counting_iterator_tIlEES8_S8_S8_S8_S8_S8_S8_S8_EEEEPS9_S9_NSD_9__find_if7functorIS9_EEEE10hipError_tPvRmT1_T2_T3_mT4_P12ihipStream_tbEUlT_E1_NS1_11comp_targetILNS1_3genE10ELNS1_11target_archE1200ELNS1_3gpuE4ELNS1_3repE0EEENS1_30default_config_static_selectorELNS0_4arch9wavefront6targetE0EEEvS14_.private_seg_size, 0
	.set _ZN7rocprim17ROCPRIM_400000_NS6detail17trampoline_kernelINS0_14default_configENS1_22reduce_config_selectorIN6thrust23THRUST_200600_302600_NS5tupleIblNS6_9null_typeES8_S8_S8_S8_S8_S8_S8_EEEEZNS1_11reduce_implILb1ES3_NS6_12zip_iteratorINS7_INS6_11hip_rocprim26transform_input_iterator_tIbNSD_35transform_pair_of_input_iterators_tIbNS6_6detail15normal_iteratorINS6_10device_ptrIKjEEEESL_NS6_8equal_toIjEEEENSG_9not_fun_tINSD_8identityEEEEENSD_19counting_iterator_tIlEES8_S8_S8_S8_S8_S8_S8_S8_EEEEPS9_S9_NSD_9__find_if7functorIS9_EEEE10hipError_tPvRmT1_T2_T3_mT4_P12ihipStream_tbEUlT_E1_NS1_11comp_targetILNS1_3genE10ELNS1_11target_archE1200ELNS1_3gpuE4ELNS1_3repE0EEENS1_30default_config_static_selectorELNS0_4arch9wavefront6targetE0EEEvS14_.uses_vcc, 0
	.set _ZN7rocprim17ROCPRIM_400000_NS6detail17trampoline_kernelINS0_14default_configENS1_22reduce_config_selectorIN6thrust23THRUST_200600_302600_NS5tupleIblNS6_9null_typeES8_S8_S8_S8_S8_S8_S8_EEEEZNS1_11reduce_implILb1ES3_NS6_12zip_iteratorINS7_INS6_11hip_rocprim26transform_input_iterator_tIbNSD_35transform_pair_of_input_iterators_tIbNS6_6detail15normal_iteratorINS6_10device_ptrIKjEEEESL_NS6_8equal_toIjEEEENSG_9not_fun_tINSD_8identityEEEEENSD_19counting_iterator_tIlEES8_S8_S8_S8_S8_S8_S8_S8_EEEEPS9_S9_NSD_9__find_if7functorIS9_EEEE10hipError_tPvRmT1_T2_T3_mT4_P12ihipStream_tbEUlT_E1_NS1_11comp_targetILNS1_3genE10ELNS1_11target_archE1200ELNS1_3gpuE4ELNS1_3repE0EEENS1_30default_config_static_selectorELNS0_4arch9wavefront6targetE0EEEvS14_.uses_flat_scratch, 0
	.set _ZN7rocprim17ROCPRIM_400000_NS6detail17trampoline_kernelINS0_14default_configENS1_22reduce_config_selectorIN6thrust23THRUST_200600_302600_NS5tupleIblNS6_9null_typeES8_S8_S8_S8_S8_S8_S8_EEEEZNS1_11reduce_implILb1ES3_NS6_12zip_iteratorINS7_INS6_11hip_rocprim26transform_input_iterator_tIbNSD_35transform_pair_of_input_iterators_tIbNS6_6detail15normal_iteratorINS6_10device_ptrIKjEEEESL_NS6_8equal_toIjEEEENSG_9not_fun_tINSD_8identityEEEEENSD_19counting_iterator_tIlEES8_S8_S8_S8_S8_S8_S8_S8_EEEEPS9_S9_NSD_9__find_if7functorIS9_EEEE10hipError_tPvRmT1_T2_T3_mT4_P12ihipStream_tbEUlT_E1_NS1_11comp_targetILNS1_3genE10ELNS1_11target_archE1200ELNS1_3gpuE4ELNS1_3repE0EEENS1_30default_config_static_selectorELNS0_4arch9wavefront6targetE0EEEvS14_.has_dyn_sized_stack, 0
	.set _ZN7rocprim17ROCPRIM_400000_NS6detail17trampoline_kernelINS0_14default_configENS1_22reduce_config_selectorIN6thrust23THRUST_200600_302600_NS5tupleIblNS6_9null_typeES8_S8_S8_S8_S8_S8_S8_EEEEZNS1_11reduce_implILb1ES3_NS6_12zip_iteratorINS7_INS6_11hip_rocprim26transform_input_iterator_tIbNSD_35transform_pair_of_input_iterators_tIbNS6_6detail15normal_iteratorINS6_10device_ptrIKjEEEESL_NS6_8equal_toIjEEEENSG_9not_fun_tINSD_8identityEEEEENSD_19counting_iterator_tIlEES8_S8_S8_S8_S8_S8_S8_S8_EEEEPS9_S9_NSD_9__find_if7functorIS9_EEEE10hipError_tPvRmT1_T2_T3_mT4_P12ihipStream_tbEUlT_E1_NS1_11comp_targetILNS1_3genE10ELNS1_11target_archE1200ELNS1_3gpuE4ELNS1_3repE0EEENS1_30default_config_static_selectorELNS0_4arch9wavefront6targetE0EEEvS14_.has_recursion, 0
	.set _ZN7rocprim17ROCPRIM_400000_NS6detail17trampoline_kernelINS0_14default_configENS1_22reduce_config_selectorIN6thrust23THRUST_200600_302600_NS5tupleIblNS6_9null_typeES8_S8_S8_S8_S8_S8_S8_EEEEZNS1_11reduce_implILb1ES3_NS6_12zip_iteratorINS7_INS6_11hip_rocprim26transform_input_iterator_tIbNSD_35transform_pair_of_input_iterators_tIbNS6_6detail15normal_iteratorINS6_10device_ptrIKjEEEESL_NS6_8equal_toIjEEEENSG_9not_fun_tINSD_8identityEEEEENSD_19counting_iterator_tIlEES8_S8_S8_S8_S8_S8_S8_S8_EEEEPS9_S9_NSD_9__find_if7functorIS9_EEEE10hipError_tPvRmT1_T2_T3_mT4_P12ihipStream_tbEUlT_E1_NS1_11comp_targetILNS1_3genE10ELNS1_11target_archE1200ELNS1_3gpuE4ELNS1_3repE0EEENS1_30default_config_static_selectorELNS0_4arch9wavefront6targetE0EEEvS14_.has_indirect_call, 0
	.section	.AMDGPU.csdata,"",@progbits
; Kernel info:
; codeLenInByte = 0
; TotalNumSgprs: 0
; NumVgprs: 0
; ScratchSize: 0
; MemoryBound: 0
; FloatMode: 240
; IeeeMode: 1
; LDSByteSize: 0 bytes/workgroup (compile time only)
; SGPRBlocks: 0
; VGPRBlocks: 0
; NumSGPRsForWavesPerEU: 1
; NumVGPRsForWavesPerEU: 1
; Occupancy: 16
; WaveLimiterHint : 0
; COMPUTE_PGM_RSRC2:SCRATCH_EN: 0
; COMPUTE_PGM_RSRC2:USER_SGPR: 6
; COMPUTE_PGM_RSRC2:TRAP_HANDLER: 0
; COMPUTE_PGM_RSRC2:TGID_X_EN: 1
; COMPUTE_PGM_RSRC2:TGID_Y_EN: 0
; COMPUTE_PGM_RSRC2:TGID_Z_EN: 0
; COMPUTE_PGM_RSRC2:TIDIG_COMP_CNT: 0
	.section	.text._ZN7rocprim17ROCPRIM_400000_NS6detail17trampoline_kernelINS0_14default_configENS1_22reduce_config_selectorIN6thrust23THRUST_200600_302600_NS5tupleIblNS6_9null_typeES8_S8_S8_S8_S8_S8_S8_EEEEZNS1_11reduce_implILb1ES3_NS6_12zip_iteratorINS7_INS6_11hip_rocprim26transform_input_iterator_tIbNSD_35transform_pair_of_input_iterators_tIbNS6_6detail15normal_iteratorINS6_10device_ptrIKjEEEESL_NS6_8equal_toIjEEEENSG_9not_fun_tINSD_8identityEEEEENSD_19counting_iterator_tIlEES8_S8_S8_S8_S8_S8_S8_S8_EEEEPS9_S9_NSD_9__find_if7functorIS9_EEEE10hipError_tPvRmT1_T2_T3_mT4_P12ihipStream_tbEUlT_E1_NS1_11comp_targetILNS1_3genE9ELNS1_11target_archE1100ELNS1_3gpuE3ELNS1_3repE0EEENS1_30default_config_static_selectorELNS0_4arch9wavefront6targetE0EEEvS14_,"axG",@progbits,_ZN7rocprim17ROCPRIM_400000_NS6detail17trampoline_kernelINS0_14default_configENS1_22reduce_config_selectorIN6thrust23THRUST_200600_302600_NS5tupleIblNS6_9null_typeES8_S8_S8_S8_S8_S8_S8_EEEEZNS1_11reduce_implILb1ES3_NS6_12zip_iteratorINS7_INS6_11hip_rocprim26transform_input_iterator_tIbNSD_35transform_pair_of_input_iterators_tIbNS6_6detail15normal_iteratorINS6_10device_ptrIKjEEEESL_NS6_8equal_toIjEEEENSG_9not_fun_tINSD_8identityEEEEENSD_19counting_iterator_tIlEES8_S8_S8_S8_S8_S8_S8_S8_EEEEPS9_S9_NSD_9__find_if7functorIS9_EEEE10hipError_tPvRmT1_T2_T3_mT4_P12ihipStream_tbEUlT_E1_NS1_11comp_targetILNS1_3genE9ELNS1_11target_archE1100ELNS1_3gpuE3ELNS1_3repE0EEENS1_30default_config_static_selectorELNS0_4arch9wavefront6targetE0EEEvS14_,comdat
	.protected	_ZN7rocprim17ROCPRIM_400000_NS6detail17trampoline_kernelINS0_14default_configENS1_22reduce_config_selectorIN6thrust23THRUST_200600_302600_NS5tupleIblNS6_9null_typeES8_S8_S8_S8_S8_S8_S8_EEEEZNS1_11reduce_implILb1ES3_NS6_12zip_iteratorINS7_INS6_11hip_rocprim26transform_input_iterator_tIbNSD_35transform_pair_of_input_iterators_tIbNS6_6detail15normal_iteratorINS6_10device_ptrIKjEEEESL_NS6_8equal_toIjEEEENSG_9not_fun_tINSD_8identityEEEEENSD_19counting_iterator_tIlEES8_S8_S8_S8_S8_S8_S8_S8_EEEEPS9_S9_NSD_9__find_if7functorIS9_EEEE10hipError_tPvRmT1_T2_T3_mT4_P12ihipStream_tbEUlT_E1_NS1_11comp_targetILNS1_3genE9ELNS1_11target_archE1100ELNS1_3gpuE3ELNS1_3repE0EEENS1_30default_config_static_selectorELNS0_4arch9wavefront6targetE0EEEvS14_ ; -- Begin function _ZN7rocprim17ROCPRIM_400000_NS6detail17trampoline_kernelINS0_14default_configENS1_22reduce_config_selectorIN6thrust23THRUST_200600_302600_NS5tupleIblNS6_9null_typeES8_S8_S8_S8_S8_S8_S8_EEEEZNS1_11reduce_implILb1ES3_NS6_12zip_iteratorINS7_INS6_11hip_rocprim26transform_input_iterator_tIbNSD_35transform_pair_of_input_iterators_tIbNS6_6detail15normal_iteratorINS6_10device_ptrIKjEEEESL_NS6_8equal_toIjEEEENSG_9not_fun_tINSD_8identityEEEEENSD_19counting_iterator_tIlEES8_S8_S8_S8_S8_S8_S8_S8_EEEEPS9_S9_NSD_9__find_if7functorIS9_EEEE10hipError_tPvRmT1_T2_T3_mT4_P12ihipStream_tbEUlT_E1_NS1_11comp_targetILNS1_3genE9ELNS1_11target_archE1100ELNS1_3gpuE3ELNS1_3repE0EEENS1_30default_config_static_selectorELNS0_4arch9wavefront6targetE0EEEvS14_
	.globl	_ZN7rocprim17ROCPRIM_400000_NS6detail17trampoline_kernelINS0_14default_configENS1_22reduce_config_selectorIN6thrust23THRUST_200600_302600_NS5tupleIblNS6_9null_typeES8_S8_S8_S8_S8_S8_S8_EEEEZNS1_11reduce_implILb1ES3_NS6_12zip_iteratorINS7_INS6_11hip_rocprim26transform_input_iterator_tIbNSD_35transform_pair_of_input_iterators_tIbNS6_6detail15normal_iteratorINS6_10device_ptrIKjEEEESL_NS6_8equal_toIjEEEENSG_9not_fun_tINSD_8identityEEEEENSD_19counting_iterator_tIlEES8_S8_S8_S8_S8_S8_S8_S8_EEEEPS9_S9_NSD_9__find_if7functorIS9_EEEE10hipError_tPvRmT1_T2_T3_mT4_P12ihipStream_tbEUlT_E1_NS1_11comp_targetILNS1_3genE9ELNS1_11target_archE1100ELNS1_3gpuE3ELNS1_3repE0EEENS1_30default_config_static_selectorELNS0_4arch9wavefront6targetE0EEEvS14_
	.p2align	8
	.type	_ZN7rocprim17ROCPRIM_400000_NS6detail17trampoline_kernelINS0_14default_configENS1_22reduce_config_selectorIN6thrust23THRUST_200600_302600_NS5tupleIblNS6_9null_typeES8_S8_S8_S8_S8_S8_S8_EEEEZNS1_11reduce_implILb1ES3_NS6_12zip_iteratorINS7_INS6_11hip_rocprim26transform_input_iterator_tIbNSD_35transform_pair_of_input_iterators_tIbNS6_6detail15normal_iteratorINS6_10device_ptrIKjEEEESL_NS6_8equal_toIjEEEENSG_9not_fun_tINSD_8identityEEEEENSD_19counting_iterator_tIlEES8_S8_S8_S8_S8_S8_S8_S8_EEEEPS9_S9_NSD_9__find_if7functorIS9_EEEE10hipError_tPvRmT1_T2_T3_mT4_P12ihipStream_tbEUlT_E1_NS1_11comp_targetILNS1_3genE9ELNS1_11target_archE1100ELNS1_3gpuE3ELNS1_3repE0EEENS1_30default_config_static_selectorELNS0_4arch9wavefront6targetE0EEEvS14_,@function
_ZN7rocprim17ROCPRIM_400000_NS6detail17trampoline_kernelINS0_14default_configENS1_22reduce_config_selectorIN6thrust23THRUST_200600_302600_NS5tupleIblNS6_9null_typeES8_S8_S8_S8_S8_S8_S8_EEEEZNS1_11reduce_implILb1ES3_NS6_12zip_iteratorINS7_INS6_11hip_rocprim26transform_input_iterator_tIbNSD_35transform_pair_of_input_iterators_tIbNS6_6detail15normal_iteratorINS6_10device_ptrIKjEEEESL_NS6_8equal_toIjEEEENSG_9not_fun_tINSD_8identityEEEEENSD_19counting_iterator_tIlEES8_S8_S8_S8_S8_S8_S8_S8_EEEEPS9_S9_NSD_9__find_if7functorIS9_EEEE10hipError_tPvRmT1_T2_T3_mT4_P12ihipStream_tbEUlT_E1_NS1_11comp_targetILNS1_3genE9ELNS1_11target_archE1100ELNS1_3gpuE3ELNS1_3repE0EEENS1_30default_config_static_selectorELNS0_4arch9wavefront6targetE0EEEvS14_: ; @_ZN7rocprim17ROCPRIM_400000_NS6detail17trampoline_kernelINS0_14default_configENS1_22reduce_config_selectorIN6thrust23THRUST_200600_302600_NS5tupleIblNS6_9null_typeES8_S8_S8_S8_S8_S8_S8_EEEEZNS1_11reduce_implILb1ES3_NS6_12zip_iteratorINS7_INS6_11hip_rocprim26transform_input_iterator_tIbNSD_35transform_pair_of_input_iterators_tIbNS6_6detail15normal_iteratorINS6_10device_ptrIKjEEEESL_NS6_8equal_toIjEEEENSG_9not_fun_tINSD_8identityEEEEENSD_19counting_iterator_tIlEES8_S8_S8_S8_S8_S8_S8_S8_EEEEPS9_S9_NSD_9__find_if7functorIS9_EEEE10hipError_tPvRmT1_T2_T3_mT4_P12ihipStream_tbEUlT_E1_NS1_11comp_targetILNS1_3genE9ELNS1_11target_archE1100ELNS1_3gpuE3ELNS1_3repE0EEENS1_30default_config_static_selectorELNS0_4arch9wavefront6targetE0EEEvS14_
; %bb.0:
	.section	.rodata,"a",@progbits
	.p2align	6, 0x0
	.amdhsa_kernel _ZN7rocprim17ROCPRIM_400000_NS6detail17trampoline_kernelINS0_14default_configENS1_22reduce_config_selectorIN6thrust23THRUST_200600_302600_NS5tupleIblNS6_9null_typeES8_S8_S8_S8_S8_S8_S8_EEEEZNS1_11reduce_implILb1ES3_NS6_12zip_iteratorINS7_INS6_11hip_rocprim26transform_input_iterator_tIbNSD_35transform_pair_of_input_iterators_tIbNS6_6detail15normal_iteratorINS6_10device_ptrIKjEEEESL_NS6_8equal_toIjEEEENSG_9not_fun_tINSD_8identityEEEEENSD_19counting_iterator_tIlEES8_S8_S8_S8_S8_S8_S8_S8_EEEEPS9_S9_NSD_9__find_if7functorIS9_EEEE10hipError_tPvRmT1_T2_T3_mT4_P12ihipStream_tbEUlT_E1_NS1_11comp_targetILNS1_3genE9ELNS1_11target_archE1100ELNS1_3gpuE3ELNS1_3repE0EEENS1_30default_config_static_selectorELNS0_4arch9wavefront6targetE0EEEvS14_
		.amdhsa_group_segment_fixed_size 0
		.amdhsa_private_segment_fixed_size 0
		.amdhsa_kernarg_size 88
		.amdhsa_user_sgpr_count 6
		.amdhsa_user_sgpr_private_segment_buffer 1
		.amdhsa_user_sgpr_dispatch_ptr 0
		.amdhsa_user_sgpr_queue_ptr 0
		.amdhsa_user_sgpr_kernarg_segment_ptr 1
		.amdhsa_user_sgpr_dispatch_id 0
		.amdhsa_user_sgpr_flat_scratch_init 0
		.amdhsa_user_sgpr_private_segment_size 0
		.amdhsa_wavefront_size32 1
		.amdhsa_uses_dynamic_stack 0
		.amdhsa_system_sgpr_private_segment_wavefront_offset 0
		.amdhsa_system_sgpr_workgroup_id_x 1
		.amdhsa_system_sgpr_workgroup_id_y 0
		.amdhsa_system_sgpr_workgroup_id_z 0
		.amdhsa_system_sgpr_workgroup_info 0
		.amdhsa_system_vgpr_workitem_id 0
		.amdhsa_next_free_vgpr 1
		.amdhsa_next_free_sgpr 1
		.amdhsa_reserve_vcc 0
		.amdhsa_reserve_flat_scratch 0
		.amdhsa_float_round_mode_32 0
		.amdhsa_float_round_mode_16_64 0
		.amdhsa_float_denorm_mode_32 3
		.amdhsa_float_denorm_mode_16_64 3
		.amdhsa_dx10_clamp 1
		.amdhsa_ieee_mode 1
		.amdhsa_fp16_overflow 0
		.amdhsa_workgroup_processor_mode 1
		.amdhsa_memory_ordered 1
		.amdhsa_forward_progress 1
		.amdhsa_shared_vgpr_count 0
		.amdhsa_exception_fp_ieee_invalid_op 0
		.amdhsa_exception_fp_denorm_src 0
		.amdhsa_exception_fp_ieee_div_zero 0
		.amdhsa_exception_fp_ieee_overflow 0
		.amdhsa_exception_fp_ieee_underflow 0
		.amdhsa_exception_fp_ieee_inexact 0
		.amdhsa_exception_int_div_zero 0
	.end_amdhsa_kernel
	.section	.text._ZN7rocprim17ROCPRIM_400000_NS6detail17trampoline_kernelINS0_14default_configENS1_22reduce_config_selectorIN6thrust23THRUST_200600_302600_NS5tupleIblNS6_9null_typeES8_S8_S8_S8_S8_S8_S8_EEEEZNS1_11reduce_implILb1ES3_NS6_12zip_iteratorINS7_INS6_11hip_rocprim26transform_input_iterator_tIbNSD_35transform_pair_of_input_iterators_tIbNS6_6detail15normal_iteratorINS6_10device_ptrIKjEEEESL_NS6_8equal_toIjEEEENSG_9not_fun_tINSD_8identityEEEEENSD_19counting_iterator_tIlEES8_S8_S8_S8_S8_S8_S8_S8_EEEEPS9_S9_NSD_9__find_if7functorIS9_EEEE10hipError_tPvRmT1_T2_T3_mT4_P12ihipStream_tbEUlT_E1_NS1_11comp_targetILNS1_3genE9ELNS1_11target_archE1100ELNS1_3gpuE3ELNS1_3repE0EEENS1_30default_config_static_selectorELNS0_4arch9wavefront6targetE0EEEvS14_,"axG",@progbits,_ZN7rocprim17ROCPRIM_400000_NS6detail17trampoline_kernelINS0_14default_configENS1_22reduce_config_selectorIN6thrust23THRUST_200600_302600_NS5tupleIblNS6_9null_typeES8_S8_S8_S8_S8_S8_S8_EEEEZNS1_11reduce_implILb1ES3_NS6_12zip_iteratorINS7_INS6_11hip_rocprim26transform_input_iterator_tIbNSD_35transform_pair_of_input_iterators_tIbNS6_6detail15normal_iteratorINS6_10device_ptrIKjEEEESL_NS6_8equal_toIjEEEENSG_9not_fun_tINSD_8identityEEEEENSD_19counting_iterator_tIlEES8_S8_S8_S8_S8_S8_S8_S8_EEEEPS9_S9_NSD_9__find_if7functorIS9_EEEE10hipError_tPvRmT1_T2_T3_mT4_P12ihipStream_tbEUlT_E1_NS1_11comp_targetILNS1_3genE9ELNS1_11target_archE1100ELNS1_3gpuE3ELNS1_3repE0EEENS1_30default_config_static_selectorELNS0_4arch9wavefront6targetE0EEEvS14_,comdat
.Lfunc_end220:
	.size	_ZN7rocprim17ROCPRIM_400000_NS6detail17trampoline_kernelINS0_14default_configENS1_22reduce_config_selectorIN6thrust23THRUST_200600_302600_NS5tupleIblNS6_9null_typeES8_S8_S8_S8_S8_S8_S8_EEEEZNS1_11reduce_implILb1ES3_NS6_12zip_iteratorINS7_INS6_11hip_rocprim26transform_input_iterator_tIbNSD_35transform_pair_of_input_iterators_tIbNS6_6detail15normal_iteratorINS6_10device_ptrIKjEEEESL_NS6_8equal_toIjEEEENSG_9not_fun_tINSD_8identityEEEEENSD_19counting_iterator_tIlEES8_S8_S8_S8_S8_S8_S8_S8_EEEEPS9_S9_NSD_9__find_if7functorIS9_EEEE10hipError_tPvRmT1_T2_T3_mT4_P12ihipStream_tbEUlT_E1_NS1_11comp_targetILNS1_3genE9ELNS1_11target_archE1100ELNS1_3gpuE3ELNS1_3repE0EEENS1_30default_config_static_selectorELNS0_4arch9wavefront6targetE0EEEvS14_, .Lfunc_end220-_ZN7rocprim17ROCPRIM_400000_NS6detail17trampoline_kernelINS0_14default_configENS1_22reduce_config_selectorIN6thrust23THRUST_200600_302600_NS5tupleIblNS6_9null_typeES8_S8_S8_S8_S8_S8_S8_EEEEZNS1_11reduce_implILb1ES3_NS6_12zip_iteratorINS7_INS6_11hip_rocprim26transform_input_iterator_tIbNSD_35transform_pair_of_input_iterators_tIbNS6_6detail15normal_iteratorINS6_10device_ptrIKjEEEESL_NS6_8equal_toIjEEEENSG_9not_fun_tINSD_8identityEEEEENSD_19counting_iterator_tIlEES8_S8_S8_S8_S8_S8_S8_S8_EEEEPS9_S9_NSD_9__find_if7functorIS9_EEEE10hipError_tPvRmT1_T2_T3_mT4_P12ihipStream_tbEUlT_E1_NS1_11comp_targetILNS1_3genE9ELNS1_11target_archE1100ELNS1_3gpuE3ELNS1_3repE0EEENS1_30default_config_static_selectorELNS0_4arch9wavefront6targetE0EEEvS14_
                                        ; -- End function
	.set _ZN7rocprim17ROCPRIM_400000_NS6detail17trampoline_kernelINS0_14default_configENS1_22reduce_config_selectorIN6thrust23THRUST_200600_302600_NS5tupleIblNS6_9null_typeES8_S8_S8_S8_S8_S8_S8_EEEEZNS1_11reduce_implILb1ES3_NS6_12zip_iteratorINS7_INS6_11hip_rocprim26transform_input_iterator_tIbNSD_35transform_pair_of_input_iterators_tIbNS6_6detail15normal_iteratorINS6_10device_ptrIKjEEEESL_NS6_8equal_toIjEEEENSG_9not_fun_tINSD_8identityEEEEENSD_19counting_iterator_tIlEES8_S8_S8_S8_S8_S8_S8_S8_EEEEPS9_S9_NSD_9__find_if7functorIS9_EEEE10hipError_tPvRmT1_T2_T3_mT4_P12ihipStream_tbEUlT_E1_NS1_11comp_targetILNS1_3genE9ELNS1_11target_archE1100ELNS1_3gpuE3ELNS1_3repE0EEENS1_30default_config_static_selectorELNS0_4arch9wavefront6targetE0EEEvS14_.num_vgpr, 0
	.set _ZN7rocprim17ROCPRIM_400000_NS6detail17trampoline_kernelINS0_14default_configENS1_22reduce_config_selectorIN6thrust23THRUST_200600_302600_NS5tupleIblNS6_9null_typeES8_S8_S8_S8_S8_S8_S8_EEEEZNS1_11reduce_implILb1ES3_NS6_12zip_iteratorINS7_INS6_11hip_rocprim26transform_input_iterator_tIbNSD_35transform_pair_of_input_iterators_tIbNS6_6detail15normal_iteratorINS6_10device_ptrIKjEEEESL_NS6_8equal_toIjEEEENSG_9not_fun_tINSD_8identityEEEEENSD_19counting_iterator_tIlEES8_S8_S8_S8_S8_S8_S8_S8_EEEEPS9_S9_NSD_9__find_if7functorIS9_EEEE10hipError_tPvRmT1_T2_T3_mT4_P12ihipStream_tbEUlT_E1_NS1_11comp_targetILNS1_3genE9ELNS1_11target_archE1100ELNS1_3gpuE3ELNS1_3repE0EEENS1_30default_config_static_selectorELNS0_4arch9wavefront6targetE0EEEvS14_.num_agpr, 0
	.set _ZN7rocprim17ROCPRIM_400000_NS6detail17trampoline_kernelINS0_14default_configENS1_22reduce_config_selectorIN6thrust23THRUST_200600_302600_NS5tupleIblNS6_9null_typeES8_S8_S8_S8_S8_S8_S8_EEEEZNS1_11reduce_implILb1ES3_NS6_12zip_iteratorINS7_INS6_11hip_rocprim26transform_input_iterator_tIbNSD_35transform_pair_of_input_iterators_tIbNS6_6detail15normal_iteratorINS6_10device_ptrIKjEEEESL_NS6_8equal_toIjEEEENSG_9not_fun_tINSD_8identityEEEEENSD_19counting_iterator_tIlEES8_S8_S8_S8_S8_S8_S8_S8_EEEEPS9_S9_NSD_9__find_if7functorIS9_EEEE10hipError_tPvRmT1_T2_T3_mT4_P12ihipStream_tbEUlT_E1_NS1_11comp_targetILNS1_3genE9ELNS1_11target_archE1100ELNS1_3gpuE3ELNS1_3repE0EEENS1_30default_config_static_selectorELNS0_4arch9wavefront6targetE0EEEvS14_.numbered_sgpr, 0
	.set _ZN7rocprim17ROCPRIM_400000_NS6detail17trampoline_kernelINS0_14default_configENS1_22reduce_config_selectorIN6thrust23THRUST_200600_302600_NS5tupleIblNS6_9null_typeES8_S8_S8_S8_S8_S8_S8_EEEEZNS1_11reduce_implILb1ES3_NS6_12zip_iteratorINS7_INS6_11hip_rocprim26transform_input_iterator_tIbNSD_35transform_pair_of_input_iterators_tIbNS6_6detail15normal_iteratorINS6_10device_ptrIKjEEEESL_NS6_8equal_toIjEEEENSG_9not_fun_tINSD_8identityEEEEENSD_19counting_iterator_tIlEES8_S8_S8_S8_S8_S8_S8_S8_EEEEPS9_S9_NSD_9__find_if7functorIS9_EEEE10hipError_tPvRmT1_T2_T3_mT4_P12ihipStream_tbEUlT_E1_NS1_11comp_targetILNS1_3genE9ELNS1_11target_archE1100ELNS1_3gpuE3ELNS1_3repE0EEENS1_30default_config_static_selectorELNS0_4arch9wavefront6targetE0EEEvS14_.num_named_barrier, 0
	.set _ZN7rocprim17ROCPRIM_400000_NS6detail17trampoline_kernelINS0_14default_configENS1_22reduce_config_selectorIN6thrust23THRUST_200600_302600_NS5tupleIblNS6_9null_typeES8_S8_S8_S8_S8_S8_S8_EEEEZNS1_11reduce_implILb1ES3_NS6_12zip_iteratorINS7_INS6_11hip_rocprim26transform_input_iterator_tIbNSD_35transform_pair_of_input_iterators_tIbNS6_6detail15normal_iteratorINS6_10device_ptrIKjEEEESL_NS6_8equal_toIjEEEENSG_9not_fun_tINSD_8identityEEEEENSD_19counting_iterator_tIlEES8_S8_S8_S8_S8_S8_S8_S8_EEEEPS9_S9_NSD_9__find_if7functorIS9_EEEE10hipError_tPvRmT1_T2_T3_mT4_P12ihipStream_tbEUlT_E1_NS1_11comp_targetILNS1_3genE9ELNS1_11target_archE1100ELNS1_3gpuE3ELNS1_3repE0EEENS1_30default_config_static_selectorELNS0_4arch9wavefront6targetE0EEEvS14_.private_seg_size, 0
	.set _ZN7rocprim17ROCPRIM_400000_NS6detail17trampoline_kernelINS0_14default_configENS1_22reduce_config_selectorIN6thrust23THRUST_200600_302600_NS5tupleIblNS6_9null_typeES8_S8_S8_S8_S8_S8_S8_EEEEZNS1_11reduce_implILb1ES3_NS6_12zip_iteratorINS7_INS6_11hip_rocprim26transform_input_iterator_tIbNSD_35transform_pair_of_input_iterators_tIbNS6_6detail15normal_iteratorINS6_10device_ptrIKjEEEESL_NS6_8equal_toIjEEEENSG_9not_fun_tINSD_8identityEEEEENSD_19counting_iterator_tIlEES8_S8_S8_S8_S8_S8_S8_S8_EEEEPS9_S9_NSD_9__find_if7functorIS9_EEEE10hipError_tPvRmT1_T2_T3_mT4_P12ihipStream_tbEUlT_E1_NS1_11comp_targetILNS1_3genE9ELNS1_11target_archE1100ELNS1_3gpuE3ELNS1_3repE0EEENS1_30default_config_static_selectorELNS0_4arch9wavefront6targetE0EEEvS14_.uses_vcc, 0
	.set _ZN7rocprim17ROCPRIM_400000_NS6detail17trampoline_kernelINS0_14default_configENS1_22reduce_config_selectorIN6thrust23THRUST_200600_302600_NS5tupleIblNS6_9null_typeES8_S8_S8_S8_S8_S8_S8_EEEEZNS1_11reduce_implILb1ES3_NS6_12zip_iteratorINS7_INS6_11hip_rocprim26transform_input_iterator_tIbNSD_35transform_pair_of_input_iterators_tIbNS6_6detail15normal_iteratorINS6_10device_ptrIKjEEEESL_NS6_8equal_toIjEEEENSG_9not_fun_tINSD_8identityEEEEENSD_19counting_iterator_tIlEES8_S8_S8_S8_S8_S8_S8_S8_EEEEPS9_S9_NSD_9__find_if7functorIS9_EEEE10hipError_tPvRmT1_T2_T3_mT4_P12ihipStream_tbEUlT_E1_NS1_11comp_targetILNS1_3genE9ELNS1_11target_archE1100ELNS1_3gpuE3ELNS1_3repE0EEENS1_30default_config_static_selectorELNS0_4arch9wavefront6targetE0EEEvS14_.uses_flat_scratch, 0
	.set _ZN7rocprim17ROCPRIM_400000_NS6detail17trampoline_kernelINS0_14default_configENS1_22reduce_config_selectorIN6thrust23THRUST_200600_302600_NS5tupleIblNS6_9null_typeES8_S8_S8_S8_S8_S8_S8_EEEEZNS1_11reduce_implILb1ES3_NS6_12zip_iteratorINS7_INS6_11hip_rocprim26transform_input_iterator_tIbNSD_35transform_pair_of_input_iterators_tIbNS6_6detail15normal_iteratorINS6_10device_ptrIKjEEEESL_NS6_8equal_toIjEEEENSG_9not_fun_tINSD_8identityEEEEENSD_19counting_iterator_tIlEES8_S8_S8_S8_S8_S8_S8_S8_EEEEPS9_S9_NSD_9__find_if7functorIS9_EEEE10hipError_tPvRmT1_T2_T3_mT4_P12ihipStream_tbEUlT_E1_NS1_11comp_targetILNS1_3genE9ELNS1_11target_archE1100ELNS1_3gpuE3ELNS1_3repE0EEENS1_30default_config_static_selectorELNS0_4arch9wavefront6targetE0EEEvS14_.has_dyn_sized_stack, 0
	.set _ZN7rocprim17ROCPRIM_400000_NS6detail17trampoline_kernelINS0_14default_configENS1_22reduce_config_selectorIN6thrust23THRUST_200600_302600_NS5tupleIblNS6_9null_typeES8_S8_S8_S8_S8_S8_S8_EEEEZNS1_11reduce_implILb1ES3_NS6_12zip_iteratorINS7_INS6_11hip_rocprim26transform_input_iterator_tIbNSD_35transform_pair_of_input_iterators_tIbNS6_6detail15normal_iteratorINS6_10device_ptrIKjEEEESL_NS6_8equal_toIjEEEENSG_9not_fun_tINSD_8identityEEEEENSD_19counting_iterator_tIlEES8_S8_S8_S8_S8_S8_S8_S8_EEEEPS9_S9_NSD_9__find_if7functorIS9_EEEE10hipError_tPvRmT1_T2_T3_mT4_P12ihipStream_tbEUlT_E1_NS1_11comp_targetILNS1_3genE9ELNS1_11target_archE1100ELNS1_3gpuE3ELNS1_3repE0EEENS1_30default_config_static_selectorELNS0_4arch9wavefront6targetE0EEEvS14_.has_recursion, 0
	.set _ZN7rocprim17ROCPRIM_400000_NS6detail17trampoline_kernelINS0_14default_configENS1_22reduce_config_selectorIN6thrust23THRUST_200600_302600_NS5tupleIblNS6_9null_typeES8_S8_S8_S8_S8_S8_S8_EEEEZNS1_11reduce_implILb1ES3_NS6_12zip_iteratorINS7_INS6_11hip_rocprim26transform_input_iterator_tIbNSD_35transform_pair_of_input_iterators_tIbNS6_6detail15normal_iteratorINS6_10device_ptrIKjEEEESL_NS6_8equal_toIjEEEENSG_9not_fun_tINSD_8identityEEEEENSD_19counting_iterator_tIlEES8_S8_S8_S8_S8_S8_S8_S8_EEEEPS9_S9_NSD_9__find_if7functorIS9_EEEE10hipError_tPvRmT1_T2_T3_mT4_P12ihipStream_tbEUlT_E1_NS1_11comp_targetILNS1_3genE9ELNS1_11target_archE1100ELNS1_3gpuE3ELNS1_3repE0EEENS1_30default_config_static_selectorELNS0_4arch9wavefront6targetE0EEEvS14_.has_indirect_call, 0
	.section	.AMDGPU.csdata,"",@progbits
; Kernel info:
; codeLenInByte = 0
; TotalNumSgprs: 0
; NumVgprs: 0
; ScratchSize: 0
; MemoryBound: 0
; FloatMode: 240
; IeeeMode: 1
; LDSByteSize: 0 bytes/workgroup (compile time only)
; SGPRBlocks: 0
; VGPRBlocks: 0
; NumSGPRsForWavesPerEU: 1
; NumVGPRsForWavesPerEU: 1
; Occupancy: 16
; WaveLimiterHint : 0
; COMPUTE_PGM_RSRC2:SCRATCH_EN: 0
; COMPUTE_PGM_RSRC2:USER_SGPR: 6
; COMPUTE_PGM_RSRC2:TRAP_HANDLER: 0
; COMPUTE_PGM_RSRC2:TGID_X_EN: 1
; COMPUTE_PGM_RSRC2:TGID_Y_EN: 0
; COMPUTE_PGM_RSRC2:TGID_Z_EN: 0
; COMPUTE_PGM_RSRC2:TIDIG_COMP_CNT: 0
	.section	.text._ZN7rocprim17ROCPRIM_400000_NS6detail17trampoline_kernelINS0_14default_configENS1_22reduce_config_selectorIN6thrust23THRUST_200600_302600_NS5tupleIblNS6_9null_typeES8_S8_S8_S8_S8_S8_S8_EEEEZNS1_11reduce_implILb1ES3_NS6_12zip_iteratorINS7_INS6_11hip_rocprim26transform_input_iterator_tIbNSD_35transform_pair_of_input_iterators_tIbNS6_6detail15normal_iteratorINS6_10device_ptrIKjEEEESL_NS6_8equal_toIjEEEENSG_9not_fun_tINSD_8identityEEEEENSD_19counting_iterator_tIlEES8_S8_S8_S8_S8_S8_S8_S8_EEEEPS9_S9_NSD_9__find_if7functorIS9_EEEE10hipError_tPvRmT1_T2_T3_mT4_P12ihipStream_tbEUlT_E1_NS1_11comp_targetILNS1_3genE8ELNS1_11target_archE1030ELNS1_3gpuE2ELNS1_3repE0EEENS1_30default_config_static_selectorELNS0_4arch9wavefront6targetE0EEEvS14_,"axG",@progbits,_ZN7rocprim17ROCPRIM_400000_NS6detail17trampoline_kernelINS0_14default_configENS1_22reduce_config_selectorIN6thrust23THRUST_200600_302600_NS5tupleIblNS6_9null_typeES8_S8_S8_S8_S8_S8_S8_EEEEZNS1_11reduce_implILb1ES3_NS6_12zip_iteratorINS7_INS6_11hip_rocprim26transform_input_iterator_tIbNSD_35transform_pair_of_input_iterators_tIbNS6_6detail15normal_iteratorINS6_10device_ptrIKjEEEESL_NS6_8equal_toIjEEEENSG_9not_fun_tINSD_8identityEEEEENSD_19counting_iterator_tIlEES8_S8_S8_S8_S8_S8_S8_S8_EEEEPS9_S9_NSD_9__find_if7functorIS9_EEEE10hipError_tPvRmT1_T2_T3_mT4_P12ihipStream_tbEUlT_E1_NS1_11comp_targetILNS1_3genE8ELNS1_11target_archE1030ELNS1_3gpuE2ELNS1_3repE0EEENS1_30default_config_static_selectorELNS0_4arch9wavefront6targetE0EEEvS14_,comdat
	.protected	_ZN7rocprim17ROCPRIM_400000_NS6detail17trampoline_kernelINS0_14default_configENS1_22reduce_config_selectorIN6thrust23THRUST_200600_302600_NS5tupleIblNS6_9null_typeES8_S8_S8_S8_S8_S8_S8_EEEEZNS1_11reduce_implILb1ES3_NS6_12zip_iteratorINS7_INS6_11hip_rocprim26transform_input_iterator_tIbNSD_35transform_pair_of_input_iterators_tIbNS6_6detail15normal_iteratorINS6_10device_ptrIKjEEEESL_NS6_8equal_toIjEEEENSG_9not_fun_tINSD_8identityEEEEENSD_19counting_iterator_tIlEES8_S8_S8_S8_S8_S8_S8_S8_EEEEPS9_S9_NSD_9__find_if7functorIS9_EEEE10hipError_tPvRmT1_T2_T3_mT4_P12ihipStream_tbEUlT_E1_NS1_11comp_targetILNS1_3genE8ELNS1_11target_archE1030ELNS1_3gpuE2ELNS1_3repE0EEENS1_30default_config_static_selectorELNS0_4arch9wavefront6targetE0EEEvS14_ ; -- Begin function _ZN7rocprim17ROCPRIM_400000_NS6detail17trampoline_kernelINS0_14default_configENS1_22reduce_config_selectorIN6thrust23THRUST_200600_302600_NS5tupleIblNS6_9null_typeES8_S8_S8_S8_S8_S8_S8_EEEEZNS1_11reduce_implILb1ES3_NS6_12zip_iteratorINS7_INS6_11hip_rocprim26transform_input_iterator_tIbNSD_35transform_pair_of_input_iterators_tIbNS6_6detail15normal_iteratorINS6_10device_ptrIKjEEEESL_NS6_8equal_toIjEEEENSG_9not_fun_tINSD_8identityEEEEENSD_19counting_iterator_tIlEES8_S8_S8_S8_S8_S8_S8_S8_EEEEPS9_S9_NSD_9__find_if7functorIS9_EEEE10hipError_tPvRmT1_T2_T3_mT4_P12ihipStream_tbEUlT_E1_NS1_11comp_targetILNS1_3genE8ELNS1_11target_archE1030ELNS1_3gpuE2ELNS1_3repE0EEENS1_30default_config_static_selectorELNS0_4arch9wavefront6targetE0EEEvS14_
	.globl	_ZN7rocprim17ROCPRIM_400000_NS6detail17trampoline_kernelINS0_14default_configENS1_22reduce_config_selectorIN6thrust23THRUST_200600_302600_NS5tupleIblNS6_9null_typeES8_S8_S8_S8_S8_S8_S8_EEEEZNS1_11reduce_implILb1ES3_NS6_12zip_iteratorINS7_INS6_11hip_rocprim26transform_input_iterator_tIbNSD_35transform_pair_of_input_iterators_tIbNS6_6detail15normal_iteratorINS6_10device_ptrIKjEEEESL_NS6_8equal_toIjEEEENSG_9not_fun_tINSD_8identityEEEEENSD_19counting_iterator_tIlEES8_S8_S8_S8_S8_S8_S8_S8_EEEEPS9_S9_NSD_9__find_if7functorIS9_EEEE10hipError_tPvRmT1_T2_T3_mT4_P12ihipStream_tbEUlT_E1_NS1_11comp_targetILNS1_3genE8ELNS1_11target_archE1030ELNS1_3gpuE2ELNS1_3repE0EEENS1_30default_config_static_selectorELNS0_4arch9wavefront6targetE0EEEvS14_
	.p2align	8
	.type	_ZN7rocprim17ROCPRIM_400000_NS6detail17trampoline_kernelINS0_14default_configENS1_22reduce_config_selectorIN6thrust23THRUST_200600_302600_NS5tupleIblNS6_9null_typeES8_S8_S8_S8_S8_S8_S8_EEEEZNS1_11reduce_implILb1ES3_NS6_12zip_iteratorINS7_INS6_11hip_rocprim26transform_input_iterator_tIbNSD_35transform_pair_of_input_iterators_tIbNS6_6detail15normal_iteratorINS6_10device_ptrIKjEEEESL_NS6_8equal_toIjEEEENSG_9not_fun_tINSD_8identityEEEEENSD_19counting_iterator_tIlEES8_S8_S8_S8_S8_S8_S8_S8_EEEEPS9_S9_NSD_9__find_if7functorIS9_EEEE10hipError_tPvRmT1_T2_T3_mT4_P12ihipStream_tbEUlT_E1_NS1_11comp_targetILNS1_3genE8ELNS1_11target_archE1030ELNS1_3gpuE2ELNS1_3repE0EEENS1_30default_config_static_selectorELNS0_4arch9wavefront6targetE0EEEvS14_,@function
_ZN7rocprim17ROCPRIM_400000_NS6detail17trampoline_kernelINS0_14default_configENS1_22reduce_config_selectorIN6thrust23THRUST_200600_302600_NS5tupleIblNS6_9null_typeES8_S8_S8_S8_S8_S8_S8_EEEEZNS1_11reduce_implILb1ES3_NS6_12zip_iteratorINS7_INS6_11hip_rocprim26transform_input_iterator_tIbNSD_35transform_pair_of_input_iterators_tIbNS6_6detail15normal_iteratorINS6_10device_ptrIKjEEEESL_NS6_8equal_toIjEEEENSG_9not_fun_tINSD_8identityEEEEENSD_19counting_iterator_tIlEES8_S8_S8_S8_S8_S8_S8_S8_EEEEPS9_S9_NSD_9__find_if7functorIS9_EEEE10hipError_tPvRmT1_T2_T3_mT4_P12ihipStream_tbEUlT_E1_NS1_11comp_targetILNS1_3genE8ELNS1_11target_archE1030ELNS1_3gpuE2ELNS1_3repE0EEENS1_30default_config_static_selectorELNS0_4arch9wavefront6targetE0EEEvS14_: ; @_ZN7rocprim17ROCPRIM_400000_NS6detail17trampoline_kernelINS0_14default_configENS1_22reduce_config_selectorIN6thrust23THRUST_200600_302600_NS5tupleIblNS6_9null_typeES8_S8_S8_S8_S8_S8_S8_EEEEZNS1_11reduce_implILb1ES3_NS6_12zip_iteratorINS7_INS6_11hip_rocprim26transform_input_iterator_tIbNSD_35transform_pair_of_input_iterators_tIbNS6_6detail15normal_iteratorINS6_10device_ptrIKjEEEESL_NS6_8equal_toIjEEEENSG_9not_fun_tINSD_8identityEEEEENSD_19counting_iterator_tIlEES8_S8_S8_S8_S8_S8_S8_S8_EEEEPS9_S9_NSD_9__find_if7functorIS9_EEEE10hipError_tPvRmT1_T2_T3_mT4_P12ihipStream_tbEUlT_E1_NS1_11comp_targetILNS1_3genE8ELNS1_11target_archE1030ELNS1_3gpuE2ELNS1_3repE0EEENS1_30default_config_static_selectorELNS0_4arch9wavefront6targetE0EEEvS14_
; %bb.0:
	s_clause 0x4
	s_load_dword s25, s[4:5], 0x4
	s_load_dwordx4 s[16:19], s[4:5], 0x8
	s_load_dwordx4 s[12:15], s[4:5], 0x28
	s_load_dword s24, s[4:5], 0x40
	s_load_dwordx2 s[20:21], s[4:5], 0x48
	s_waitcnt lgkmcnt(0)
	s_cmp_lt_i32 s25, 4
	s_cbranch_scc1 .LBB221_21
; %bb.1:
	s_cmp_gt_i32 s25, 7
	s_cbranch_scc0 .LBB221_22
; %bb.2:
	s_cmp_eq_u32 s25, 8
	s_mov_b32 s26, 0
	s_cbranch_scc0 .LBB221_23
; %bb.3:
	s_mov_b32 s7, 0
	s_lshl_b32 s8, s6, 11
	s_mov_b32 s9, s7
	s_lshr_b64 s[2:3], s[14:15], 11
	s_lshl_b64 s[0:1], s[8:9], 2
	s_add_u32 s10, s16, s0
	s_addc_u32 s11, s17, s1
	s_add_u32 s22, s18, s0
	s_addc_u32 s23, s19, s1
	s_add_u32 s28, s12, s8
	s_addc_u32 s29, s13, 0
	s_cmp_lg_u64 s[2:3], s[6:7]
	s_cbranch_scc0 .LBB221_44
; %bb.4:
	v_lshlrev_b32_e32 v1, 2, v0
	s_clause 0x3
	global_load_dword v13, v1, s[10:11]
	global_load_dword v14, v1, s[22:23]
	global_load_dword v15, v1, s[22:23] offset:1024
	global_load_dword v16, v1, s[10:11] offset:1024
	v_add_co_u32 v9, s0, s10, v1
	v_add_co_ci_u32_e64 v10, null, s11, 0, s0
	v_add_co_u32 v11, s0, s22, v1
	v_add_co_u32 v1, vcc_lo, 0x800, v9
	v_add_co_ci_u32_e64 v12, null, s23, 0, s0
	v_add_co_ci_u32_e64 v2, null, 0, v10, vcc_lo
	v_add_co_u32 v3, vcc_lo, v9, 0x1000
	v_add_co_ci_u32_e64 v4, null, 0, v10, vcc_lo
	v_add_co_u32 v5, vcc_lo, 0x800, v11
	;; [unrolled: 2-line block ×3, first 2 shown]
	global_load_dword v17, v[1:2], off offset:1024
	global_load_dword v18, v[5:6], off offset:1024
	v_add_co_ci_u32_e64 v8, null, 0, v12, vcc_lo
	v_add_co_u32 v1, vcc_lo, 0x1000, v9
	v_add_co_ci_u32_e64 v2, null, 0, v10, vcc_lo
	v_add_co_u32 v5, vcc_lo, 0x1000, v11
	v_add_co_ci_u32_e64 v6, null, 0, v12, vcc_lo
	s_clause 0x1
	global_load_dword v19, v[3:4], off offset:-2048
	global_load_dword v20, v[3:4], off
	s_clause 0x1
	global_load_dword v21, v[7:8], off offset:-2048
	global_load_dword v7, v[7:8], off
	global_load_dword v8, v[1:2], off offset:1024
	global_load_dword v5, v[5:6], off offset:1024
	v_add_co_u32 v1, vcc_lo, 0x1800, v11
	v_add_co_ci_u32_e64 v2, null, 0, v12, vcc_lo
	v_add_co_u32 v3, vcc_lo, 0x1800, v9
	v_add_co_ci_u32_e64 v4, null, 0, v10, vcc_lo
	global_load_dword v6, v[1:2], off
	s_clause 0x1
	global_load_dword v9, v[3:4], off
	global_load_dword v3, v[3:4], off offset:1024
	global_load_dword v1, v[1:2], off offset:1024
	v_mov_b32_e32 v2, 0x100
	v_mov_b32_e32 v4, 0x300
	;; [unrolled: 1-line block ×3, first 2 shown]
	s_waitcnt vmcnt(14)
	v_cmp_ne_u32_e64 s0, v13, v14
	s_waitcnt vmcnt(12)
	v_cmp_ne_u32_e32 vcc_lo, v16, v15
	v_cndmask_b32_e32 v2, 0x200, v2, vcc_lo
	s_or_b32 s3, s0, vcc_lo
	v_cndmask_b32_e64 v2, v2, 0, s0
	s_waitcnt vmcnt(10)
	v_cmp_ne_u32_e64 s0, v17, v18
	v_cndmask_b32_e64 v4, 0x400, v4, s0
	s_waitcnt vmcnt(7)
	v_cmp_ne_u32_e32 vcc_lo, v19, v21
	s_waitcnt vmcnt(6)
	v_cmp_ne_u32_e64 s1, v20, v7
	s_waitcnt vmcnt(4)
	v_cmp_ne_u32_e64 s2, v8, v5
	s_or_b32 vcc_lo, s3, vcc_lo
	v_cndmask_b32_e32 v2, v4, v2, vcc_lo
	v_cndmask_b32_e64 v5, 0x600, v10, s2
	s_or_b32 s0, vcc_lo, s0
	s_or_b32 s0, s0, s1
	s_waitcnt vmcnt(2)
	v_cmp_ne_u32_e32 vcc_lo, v9, v6
	v_cndmask_b32_e64 v2, v5, v2, s0
	s_or_b32 s0, s0, s2
	s_or_b32 vcc_lo, s0, vcc_lo
	v_add_co_u32 v4, s0, s28, v0
	v_cndmask_b32_e32 v2, 0x700, v2, vcc_lo
	v_add_co_ci_u32_e64 v5, null, s29, 0, s0
	s_waitcnt vmcnt(0)
	v_cmp_ne_u32_e64 s0, v3, v1
	v_add_co_u32 v1, s1, v4, v2
	v_add_co_ci_u32_e64 v2, null, 0, v5, s1
	s_or_b32 s0, vcc_lo, s0
	v_mov_b32_dpp v3, v1 quad_perm:[1,0,3,2] row_mask:0xf bank_mask:0xf
	v_cndmask_b32_e64 v5, 0, 1, s0
	v_mov_b32_dpp v4, v2 quad_perm:[1,0,3,2] row_mask:0xf bank_mask:0xf
	v_mov_b32_dpp v6, v5 quad_perm:[1,0,3,2] row_mask:0xf bank_mask:0xf
	v_cmp_lt_i64_e32 vcc_lo, v[1:2], v[3:4]
	v_and_b32_e32 v6, 1, v6
	s_and_b32 vcc_lo, s0, vcc_lo
	v_cndmask_b32_e32 v3, v3, v1, vcc_lo
	v_cndmask_b32_e32 v4, v4, v2, vcc_lo
	v_cmp_eq_u32_e32 vcc_lo, 1, v6
	v_cndmask_b32_e32 v2, v2, v4, vcc_lo
	v_cndmask_b32_e32 v1, v1, v3, vcc_lo
	v_cndmask_b32_e64 v5, v5, 1, vcc_lo
	v_mov_b32_dpp v4, v2 quad_perm:[2,3,0,1] row_mask:0xf bank_mask:0xf
	v_mov_b32_dpp v3, v1 quad_perm:[2,3,0,1] row_mask:0xf bank_mask:0xf
	v_and_b32_e32 v7, 1, v5
	v_mov_b32_dpp v6, v5 quad_perm:[2,3,0,1] row_mask:0xf bank_mask:0xf
	v_cmp_lt_i64_e32 vcc_lo, v[1:2], v[3:4]
	v_cmp_eq_u32_e64 s0, 1, v7
	v_and_b32_e32 v6, 1, v6
	s_and_b32 vcc_lo, s0, vcc_lo
	v_cmp_eq_u32_e64 s1, 1, v6
	v_cndmask_b32_e32 v3, v3, v1, vcc_lo
	v_cndmask_b32_e32 v4, v4, v2, vcc_lo
	v_cndmask_b32_e64 v5, v5, 1, s1
	v_cndmask_b32_e64 v1, v1, v3, s1
	;; [unrolled: 1-line block ×3, first 2 shown]
	v_and_b32_e32 v7, 1, v5
	v_mov_b32_dpp v3, v1 row_ror:4 row_mask:0xf bank_mask:0xf
	v_mov_b32_dpp v4, v2 row_ror:4 row_mask:0xf bank_mask:0xf
	v_mov_b32_dpp v6, v5 row_ror:4 row_mask:0xf bank_mask:0xf
	v_cmp_eq_u32_e64 s0, 1, v7
	v_cmp_lt_i64_e32 vcc_lo, v[1:2], v[3:4]
	v_and_b32_e32 v6, 1, v6
	s_and_b32 vcc_lo, s0, vcc_lo
	v_cmp_eq_u32_e64 s1, 1, v6
	v_cndmask_b32_e32 v3, v3, v1, vcc_lo
	v_cndmask_b32_e32 v4, v4, v2, vcc_lo
	v_cndmask_b32_e64 v5, v5, 1, s1
	v_cndmask_b32_e64 v1, v1, v3, s1
	;; [unrolled: 1-line block ×3, first 2 shown]
	v_and_b32_e32 v7, 1, v5
	v_mov_b32_dpp v3, v1 row_ror:8 row_mask:0xf bank_mask:0xf
	v_mov_b32_dpp v4, v2 row_ror:8 row_mask:0xf bank_mask:0xf
	;; [unrolled: 1-line block ×3, first 2 shown]
	v_cmp_eq_u32_e64 s0, 1, v7
	v_cmp_lt_i64_e32 vcc_lo, v[1:2], v[3:4]
	v_and_b32_e32 v6, 1, v6
	s_and_b32 vcc_lo, s0, vcc_lo
	v_cmp_eq_u32_e64 s1, 1, v6
	v_cndmask_b32_e32 v3, v3, v1, vcc_lo
	v_cndmask_b32_e32 v4, v4, v2, vcc_lo
	v_cndmask_b32_e64 v5, v5, 1, s1
	v_cndmask_b32_e64 v1, v1, v3, s1
	;; [unrolled: 1-line block ×3, first 2 shown]
	ds_swizzle_b32 v6, v5 offset:swizzle(BROADCAST,32,15)
	ds_swizzle_b32 v3, v1 offset:swizzle(BROADCAST,32,15)
	ds_swizzle_b32 v4, v2 offset:swizzle(BROADCAST,32,15)
	v_and_b32_e32 v7, 1, v5
	v_cmp_eq_u32_e64 s0, 1, v7
	v_mbcnt_lo_u32_b32 v7, -1, 0
	s_waitcnt lgkmcnt(2)
	v_and_b32_e32 v6, 1, v6
	s_waitcnt lgkmcnt(0)
	v_cmp_lt_i64_e32 vcc_lo, v[1:2], v[3:4]
	v_cmp_eq_u32_e64 s1, 1, v6
	v_mov_b32_e32 v6, 0
	s_and_b32 vcc_lo, s0, vcc_lo
	s_mov_b32 s0, exec_lo
	v_cndmask_b32_e32 v3, v3, v1, vcc_lo
	v_cndmask_b32_e32 v4, v4, v2, vcc_lo
	v_cndmask_b32_e64 v5, v5, 1, s1
	v_cndmask_b32_e64 v1, v1, v3, s1
	;; [unrolled: 1-line block ×3, first 2 shown]
	ds_bpermute_b32 v17, v6, v5 offset:124
	ds_bpermute_b32 v1, v6, v1 offset:124
	;; [unrolled: 1-line block ×3, first 2 shown]
	v_cmpx_eq_u32_e32 0, v7
	s_cbranch_execz .LBB221_6
; %bb.5:
	v_lshrrev_b32_e32 v3, 1, v0
	v_and_b32_e32 v3, 0x70, v3
	s_waitcnt lgkmcnt(2)
	ds_write_b8 v3, v17 offset:384
	s_waitcnt lgkmcnt(1)
	ds_write_b64 v3, v[1:2] offset:392
.LBB221_6:
	s_or_b32 exec_lo, exec_lo, s0
	s_mov_b32 s0, exec_lo
	s_waitcnt lgkmcnt(0)
	s_barrier
	buffer_gl0_inv
	v_cmpx_gt_u32_e32 32, v0
	s_cbranch_execz .LBB221_20
; %bb.7:
	v_and_b32_e32 v8, 7, v7
	v_lshlrev_b32_e32 v1, 4, v8
	v_cmp_ne_u32_e32 vcc_lo, 7, v8
	ds_read_u8 v10, v1 offset:384
	ds_read_b64 v[3:4], v1 offset:392
	v_add_co_ci_u32_e64 v2, null, 0, v7, vcc_lo
	v_lshlrev_b32_e32 v2, 2, v2
	s_waitcnt lgkmcnt(1)
	v_and_b32_e32 v1, 0xff, v10
	s_waitcnt lgkmcnt(0)
	ds_bpermute_b32 v5, v2, v3
	ds_bpermute_b32 v6, v2, v4
	;; [unrolled: 1-line block ×3, first 2 shown]
	s_waitcnt lgkmcnt(0)
	v_and_b32_e32 v1, v10, v11
	v_and_b32_e32 v1, 1, v1
	v_cmp_eq_u32_e32 vcc_lo, 1, v1
                                        ; implicit-def: $vgpr1_vgpr2
	s_and_saveexec_b32 s1, vcc_lo
	s_xor_b32 s1, exec_lo, s1
; %bb.8:
	v_cmp_lt_i64_e32 vcc_lo, v[5:6], v[3:4]
                                        ; implicit-def: $vgpr10
                                        ; implicit-def: $vgpr11
	v_cndmask_b32_e32 v2, v4, v6, vcc_lo
	v_cndmask_b32_e32 v1, v3, v5, vcc_lo
                                        ; implicit-def: $vgpr5_vgpr6
                                        ; implicit-def: $vgpr3_vgpr4
; %bb.9:
	s_or_saveexec_b32 s1, s1
	v_mov_b32_e32 v9, 1
	s_xor_b32 exec_lo, exec_lo, s1
; %bb.10:
	v_and_b32_e32 v1, 1, v10
	v_and_b32_e32 v9, 0xff, v11
	v_cmp_eq_u32_e32 vcc_lo, 1, v1
	v_cndmask_b32_e32 v2, v6, v4, vcc_lo
	v_cndmask_b32_e32 v1, v5, v3, vcc_lo
	v_cndmask_b32_e64 v9, v9, 1, vcc_lo
; %bb.11:
	s_or_b32 exec_lo, exec_lo, s1
	v_cmp_gt_u32_e32 vcc_lo, 6, v8
	v_cndmask_b32_e64 v3, 0, 2, vcc_lo
	v_add_lshl_u32 v3, v3, v7, 2
	ds_bpermute_b32 v8, v3, v9
	ds_bpermute_b32 v5, v3, v1
	ds_bpermute_b32 v6, v3, v2
	s_waitcnt lgkmcnt(2)
	v_and_b32_e32 v3, v9, v8
	v_and_b32_e32 v3, 1, v3
	v_cmp_eq_u32_e32 vcc_lo, 1, v3
                                        ; implicit-def: $vgpr3_vgpr4
	s_and_saveexec_b32 s1, vcc_lo
	s_xor_b32 s1, exec_lo, s1
	s_cbranch_execz .LBB221_13
; %bb.12:
	s_waitcnt lgkmcnt(0)
	v_cmp_lt_i64_e32 vcc_lo, v[5:6], v[1:2]
                                        ; implicit-def: $vgpr9
                                        ; implicit-def: $vgpr8
	v_cndmask_b32_e32 v4, v2, v6, vcc_lo
	v_cndmask_b32_e32 v3, v1, v5, vcc_lo
                                        ; implicit-def: $vgpr5_vgpr6
                                        ; implicit-def: $vgpr1_vgpr2
.LBB221_13:
	s_or_saveexec_b32 s1, s1
	v_lshlrev_b32_e32 v10, 2, v7
	v_mov_b32_e32 v7, 1
	s_xor_b32 exec_lo, exec_lo, s1
	s_cbranch_execz .LBB221_15
; %bb.14:
	v_and_b32_e32 v3, 1, v9
	v_and_b32_e32 v7, 0xff, v8
	v_cmp_eq_u32_e32 vcc_lo, 1, v3
	s_waitcnt lgkmcnt(0)
	v_cndmask_b32_e32 v4, v6, v2, vcc_lo
	v_cndmask_b32_e32 v3, v5, v1, vcc_lo
	v_cndmask_b32_e64 v7, v7, 1, vcc_lo
.LBB221_15:
	s_or_b32 exec_lo, exec_lo, s1
	v_or_b32_e32 v1, 16, v10
	ds_bpermute_b32 v8, v1, v7
	s_waitcnt lgkmcnt(2)
	ds_bpermute_b32 v5, v1, v3
	s_waitcnt lgkmcnt(2)
	ds_bpermute_b32 v6, v1, v4
	s_waitcnt lgkmcnt(2)
	v_and_b32_e32 v1, v7, v8
	v_and_b32_e32 v1, 1, v1
	v_cmp_eq_u32_e32 vcc_lo, 1, v1
                                        ; implicit-def: $vgpr1_vgpr2
	s_and_saveexec_b32 s1, vcc_lo
	s_xor_b32 s1, exec_lo, s1
	s_cbranch_execz .LBB221_17
; %bb.16:
	s_waitcnt lgkmcnt(0)
	v_cmp_lt_i64_e32 vcc_lo, v[5:6], v[3:4]
                                        ; implicit-def: $vgpr7
                                        ; implicit-def: $vgpr8
	v_cndmask_b32_e32 v2, v4, v6, vcc_lo
	v_cndmask_b32_e32 v1, v3, v5, vcc_lo
                                        ; implicit-def: $vgpr5_vgpr6
                                        ; implicit-def: $vgpr3_vgpr4
.LBB221_17:
	s_or_saveexec_b32 s1, s1
	v_mov_b32_e32 v17, 1
	s_xor_b32 exec_lo, exec_lo, s1
	s_cbranch_execz .LBB221_19
; %bb.18:
	v_and_b32_e32 v1, 1, v7
	v_cmp_eq_u32_e32 vcc_lo, 1, v1
	s_waitcnt lgkmcnt(0)
	v_cndmask_b32_e32 v2, v6, v4, vcc_lo
	v_cndmask_b32_e32 v1, v5, v3, vcc_lo
	v_cndmask_b32_e64 v17, v8, 1, vcc_lo
.LBB221_19:
	s_or_b32 exec_lo, exec_lo, s1
.LBB221_20:
	s_or_b32 exec_lo, exec_lo, s0
	s_branch .LBB221_167
.LBB221_21:
	s_mov_b32 s22, 0
                                        ; implicit-def: $vgpr3_vgpr4
                                        ; implicit-def: $vgpr5
                                        ; implicit-def: $vgpr1_vgpr2
	s_cbranch_execnz .LBB221_247
	s_branch .LBB221_356
.LBB221_22:
	s_mov_b32 s26, -1
.LBB221_23:
	s_mov_b32 s22, 0
                                        ; implicit-def: $vgpr3_vgpr4
                                        ; implicit-def: $vgpr5
                                        ; implicit-def: $vgpr1_vgpr2
	s_and_b32 vcc_lo, exec_lo, s26
	s_cbranch_vccz .LBB221_172
.LBB221_24:
	s_cmp_eq_u32 s25, 4
	s_cbranch_scc0 .LBB221_43
; %bb.25:
	s_mov_b32 s7, 0
	s_lshl_b32 s10, s6, 10
	s_mov_b32 s11, s7
	s_lshr_b64 s[26:27], s[14:15], 10
	s_lshl_b64 s[0:1], s[10:11], 2
	s_add_u32 s2, s16, s0
	s_addc_u32 s3, s17, s1
	s_add_u32 s8, s18, s0
	s_addc_u32 s9, s19, s1
	;; [unrolled: 2-line block ×3, first 2 shown]
	s_cmp_lg_u64 s[26:27], s[6:7]
	s_cbranch_scc0 .LBB221_67
; %bb.26:
	s_waitcnt lgkmcnt(1)
	v_lshlrev_b32_e32 v5, 2, v0
	v_add_co_u32 v1, s0, s2, v5
	v_add_co_ci_u32_e64 v2, null, s3, 0, s0
	v_add_co_u32 v3, s0, s8, v5
	s_waitcnt lgkmcnt(0)
	v_add_co_ci_u32_e64 v4, null, s9, 0, s0
	v_add_co_u32 v1, vcc_lo, 0x800, v1
	v_add_co_ci_u32_e64 v2, null, 0, v2, vcc_lo
	v_add_co_u32 v3, vcc_lo, 0x800, v3
	v_add_co_ci_u32_e64 v4, null, 0, v4, vcc_lo
	s_clause 0x3
	global_load_dword v6, v5, s[8:9] offset:1024
	global_load_dword v7, v5, s[2:3] offset:1024
	global_load_dword v8, v5, s[8:9]
	global_load_dword v5, v5, s[2:3]
	global_load_dword v9, v[3:4], off
	s_clause 0x1
	global_load_dword v10, v[1:2], off
	global_load_dword v1, v[1:2], off offset:1024
	global_load_dword v2, v[3:4], off offset:1024
	v_mov_b32_e32 v3, 0x100
	s_waitcnt vmcnt(6)
	v_cmp_ne_u32_e32 vcc_lo, v7, v6
	s_waitcnt vmcnt(4)
	v_cmp_ne_u32_e64 s0, v5, v8
	s_waitcnt vmcnt(2)
	v_cmp_ne_u32_e64 s1, v10, v9
	v_cndmask_b32_e32 v3, 0x200, v3, vcc_lo
	v_cndmask_b32_e64 v3, v3, 0, s0
	s_or_b32 s0, s0, vcc_lo
	s_or_b32 vcc_lo, s0, s1
	v_add_co_u32 v4, s0, s11, v0
	v_cndmask_b32_e32 v3, 0x300, v3, vcc_lo
	v_add_co_ci_u32_e64 v5, null, s23, 0, s0
	s_waitcnt vmcnt(0)
	v_cmp_ne_u32_e64 s0, v1, v2
	v_add_co_u32 v1, s1, v4, v3
	v_add_co_ci_u32_e64 v2, null, 0, v5, s1
	s_or_b32 s0, vcc_lo, s0
	v_mov_b32_dpp v3, v1 quad_perm:[1,0,3,2] row_mask:0xf bank_mask:0xf
	v_cndmask_b32_e64 v5, 0, 1, s0
	v_mov_b32_dpp v4, v2 quad_perm:[1,0,3,2] row_mask:0xf bank_mask:0xf
	v_mov_b32_dpp v6, v5 quad_perm:[1,0,3,2] row_mask:0xf bank_mask:0xf
	v_cmp_lt_i64_e32 vcc_lo, v[1:2], v[3:4]
	v_and_b32_e32 v6, 1, v6
	s_and_b32 vcc_lo, s0, vcc_lo
	v_cndmask_b32_e32 v3, v3, v1, vcc_lo
	v_cndmask_b32_e32 v4, v4, v2, vcc_lo
	v_cmp_eq_u32_e32 vcc_lo, 1, v6
	v_cndmask_b32_e32 v2, v2, v4, vcc_lo
	v_cndmask_b32_e32 v1, v1, v3, vcc_lo
	v_cndmask_b32_e64 v5, v5, 1, vcc_lo
	v_mov_b32_dpp v4, v2 quad_perm:[2,3,0,1] row_mask:0xf bank_mask:0xf
	v_mov_b32_dpp v3, v1 quad_perm:[2,3,0,1] row_mask:0xf bank_mask:0xf
	v_and_b32_e32 v7, 1, v5
	v_mov_b32_dpp v6, v5 quad_perm:[2,3,0,1] row_mask:0xf bank_mask:0xf
	v_cmp_lt_i64_e32 vcc_lo, v[1:2], v[3:4]
	v_cmp_eq_u32_e64 s0, 1, v7
	v_and_b32_e32 v6, 1, v6
	s_and_b32 vcc_lo, s0, vcc_lo
	v_cmp_eq_u32_e64 s1, 1, v6
	v_cndmask_b32_e32 v3, v3, v1, vcc_lo
	v_cndmask_b32_e32 v4, v4, v2, vcc_lo
	v_cndmask_b32_e64 v5, v5, 1, s1
	v_cndmask_b32_e64 v1, v1, v3, s1
	;; [unrolled: 1-line block ×3, first 2 shown]
	v_and_b32_e32 v7, 1, v5
	v_mov_b32_dpp v3, v1 row_ror:4 row_mask:0xf bank_mask:0xf
	v_mov_b32_dpp v4, v2 row_ror:4 row_mask:0xf bank_mask:0xf
	;; [unrolled: 1-line block ×3, first 2 shown]
	v_cmp_eq_u32_e64 s0, 1, v7
	v_cmp_lt_i64_e32 vcc_lo, v[1:2], v[3:4]
	v_and_b32_e32 v6, 1, v6
	s_and_b32 vcc_lo, s0, vcc_lo
	v_cmp_eq_u32_e64 s1, 1, v6
	v_cndmask_b32_e32 v3, v3, v1, vcc_lo
	v_cndmask_b32_e32 v4, v4, v2, vcc_lo
	v_cndmask_b32_e64 v5, v5, 1, s1
	v_cndmask_b32_e64 v1, v1, v3, s1
	;; [unrolled: 1-line block ×3, first 2 shown]
	v_and_b32_e32 v7, 1, v5
	v_mov_b32_dpp v3, v1 row_ror:8 row_mask:0xf bank_mask:0xf
	v_mov_b32_dpp v4, v2 row_ror:8 row_mask:0xf bank_mask:0xf
	v_mov_b32_dpp v6, v5 row_ror:8 row_mask:0xf bank_mask:0xf
	v_cmp_eq_u32_e64 s0, 1, v7
	v_cmp_lt_i64_e32 vcc_lo, v[1:2], v[3:4]
	v_and_b32_e32 v6, 1, v6
	s_and_b32 vcc_lo, s0, vcc_lo
	v_cmp_eq_u32_e64 s1, 1, v6
	v_cndmask_b32_e32 v3, v3, v1, vcc_lo
	v_cndmask_b32_e32 v4, v4, v2, vcc_lo
	v_cndmask_b32_e64 v5, v5, 1, s1
	v_cndmask_b32_e64 v1, v1, v3, s1
	;; [unrolled: 1-line block ×3, first 2 shown]
	ds_swizzle_b32 v6, v5 offset:swizzle(BROADCAST,32,15)
	ds_swizzle_b32 v3, v1 offset:swizzle(BROADCAST,32,15)
	;; [unrolled: 1-line block ×3, first 2 shown]
	v_and_b32_e32 v7, 1, v5
	v_cmp_eq_u32_e64 s0, 1, v7
	v_mbcnt_lo_u32_b32 v7, -1, 0
	s_waitcnt lgkmcnt(2)
	v_and_b32_e32 v6, 1, v6
	s_waitcnt lgkmcnt(0)
	v_cmp_lt_i64_e32 vcc_lo, v[1:2], v[3:4]
	v_cmp_eq_u32_e64 s1, 1, v6
	v_mov_b32_e32 v6, 0
	s_and_b32 vcc_lo, s0, vcc_lo
	s_mov_b32 s0, exec_lo
	v_cndmask_b32_e32 v3, v3, v1, vcc_lo
	v_cndmask_b32_e32 v4, v4, v2, vcc_lo
	v_cndmask_b32_e64 v5, v5, 1, s1
	v_cndmask_b32_e64 v1, v1, v3, s1
	;; [unrolled: 1-line block ×3, first 2 shown]
	ds_bpermute_b32 v9, v6, v5 offset:124
	ds_bpermute_b32 v1, v6, v1 offset:124
	;; [unrolled: 1-line block ×3, first 2 shown]
	v_cmpx_eq_u32_e32 0, v7
	s_cbranch_execz .LBB221_28
; %bb.27:
	v_lshrrev_b32_e32 v3, 1, v0
	v_and_b32_e32 v3, 0x70, v3
	s_waitcnt lgkmcnt(2)
	ds_write_b8 v3, v9 offset:256
	s_waitcnt lgkmcnt(1)
	ds_write_b64 v3, v[1:2] offset:264
.LBB221_28:
	s_or_b32 exec_lo, exec_lo, s0
	s_mov_b32 s0, exec_lo
	s_waitcnt lgkmcnt(0)
	s_barrier
	buffer_gl0_inv
	v_cmpx_gt_u32_e32 32, v0
	s_cbranch_execz .LBB221_42
; %bb.29:
	v_and_b32_e32 v8, 7, v7
	v_lshlrev_b32_e32 v1, 4, v8
	v_cmp_ne_u32_e32 vcc_lo, 7, v8
	ds_read_u8 v10, v1 offset:256
	ds_read_b64 v[3:4], v1 offset:264
	v_add_co_ci_u32_e64 v2, null, 0, v7, vcc_lo
	v_lshlrev_b32_e32 v2, 2, v2
	s_waitcnt lgkmcnt(1)
	v_and_b32_e32 v1, 0xff, v10
	s_waitcnt lgkmcnt(0)
	ds_bpermute_b32 v5, v2, v3
	ds_bpermute_b32 v6, v2, v4
	;; [unrolled: 1-line block ×3, first 2 shown]
	s_waitcnt lgkmcnt(0)
	v_and_b32_e32 v1, v10, v11
	v_and_b32_e32 v1, 1, v1
	v_cmp_eq_u32_e32 vcc_lo, 1, v1
                                        ; implicit-def: $vgpr1_vgpr2
	s_and_saveexec_b32 s1, vcc_lo
	s_xor_b32 s1, exec_lo, s1
; %bb.30:
	v_cmp_lt_i64_e32 vcc_lo, v[5:6], v[3:4]
                                        ; implicit-def: $vgpr10
                                        ; implicit-def: $vgpr11
	v_cndmask_b32_e32 v2, v4, v6, vcc_lo
	v_cndmask_b32_e32 v1, v3, v5, vcc_lo
                                        ; implicit-def: $vgpr5_vgpr6
                                        ; implicit-def: $vgpr3_vgpr4
; %bb.31:
	s_or_saveexec_b32 s1, s1
	v_mov_b32_e32 v9, 1
	s_xor_b32 exec_lo, exec_lo, s1
; %bb.32:
	v_and_b32_e32 v1, 1, v10
	v_and_b32_e32 v9, 0xff, v11
	v_cmp_eq_u32_e32 vcc_lo, 1, v1
	v_cndmask_b32_e32 v2, v6, v4, vcc_lo
	v_cndmask_b32_e32 v1, v5, v3, vcc_lo
	v_cndmask_b32_e64 v9, v9, 1, vcc_lo
; %bb.33:
	s_or_b32 exec_lo, exec_lo, s1
	v_cmp_gt_u32_e32 vcc_lo, 6, v8
	v_cndmask_b32_e64 v3, 0, 2, vcc_lo
	v_add_lshl_u32 v3, v3, v7, 2
	ds_bpermute_b32 v8, v3, v9
	ds_bpermute_b32 v5, v3, v1
	;; [unrolled: 1-line block ×3, first 2 shown]
	s_waitcnt lgkmcnt(2)
	v_and_b32_e32 v3, v9, v8
	v_and_b32_e32 v3, 1, v3
	v_cmp_eq_u32_e32 vcc_lo, 1, v3
                                        ; implicit-def: $vgpr3_vgpr4
	s_and_saveexec_b32 s1, vcc_lo
	s_xor_b32 s1, exec_lo, s1
	s_cbranch_execz .LBB221_35
; %bb.34:
	s_waitcnt lgkmcnt(0)
	v_cmp_lt_i64_e32 vcc_lo, v[5:6], v[1:2]
                                        ; implicit-def: $vgpr9
                                        ; implicit-def: $vgpr8
	v_cndmask_b32_e32 v4, v2, v6, vcc_lo
	v_cndmask_b32_e32 v3, v1, v5, vcc_lo
                                        ; implicit-def: $vgpr5_vgpr6
                                        ; implicit-def: $vgpr1_vgpr2
.LBB221_35:
	s_or_saveexec_b32 s1, s1
	v_lshlrev_b32_e32 v10, 2, v7
	v_mov_b32_e32 v7, 1
	s_xor_b32 exec_lo, exec_lo, s1
	s_cbranch_execz .LBB221_37
; %bb.36:
	v_and_b32_e32 v3, 1, v9
	v_and_b32_e32 v7, 0xff, v8
	v_cmp_eq_u32_e32 vcc_lo, 1, v3
	s_waitcnt lgkmcnt(0)
	v_cndmask_b32_e32 v4, v6, v2, vcc_lo
	v_cndmask_b32_e32 v3, v5, v1, vcc_lo
	v_cndmask_b32_e64 v7, v7, 1, vcc_lo
.LBB221_37:
	s_or_b32 exec_lo, exec_lo, s1
	v_or_b32_e32 v1, 16, v10
	ds_bpermute_b32 v8, v1, v7
	s_waitcnt lgkmcnt(2)
	ds_bpermute_b32 v5, v1, v3
	s_waitcnt lgkmcnt(2)
	;; [unrolled: 2-line block ×3, first 2 shown]
	v_and_b32_e32 v1, v7, v8
	v_and_b32_e32 v1, 1, v1
	v_cmp_eq_u32_e32 vcc_lo, 1, v1
                                        ; implicit-def: $vgpr1_vgpr2
	s_and_saveexec_b32 s1, vcc_lo
	s_xor_b32 s1, exec_lo, s1
	s_cbranch_execz .LBB221_39
; %bb.38:
	s_waitcnt lgkmcnt(0)
	v_cmp_lt_i64_e32 vcc_lo, v[5:6], v[3:4]
                                        ; implicit-def: $vgpr7
                                        ; implicit-def: $vgpr8
	v_cndmask_b32_e32 v2, v4, v6, vcc_lo
	v_cndmask_b32_e32 v1, v3, v5, vcc_lo
                                        ; implicit-def: $vgpr5_vgpr6
                                        ; implicit-def: $vgpr3_vgpr4
.LBB221_39:
	s_or_saveexec_b32 s1, s1
	v_mov_b32_e32 v9, 1
	s_xor_b32 exec_lo, exec_lo, s1
	s_cbranch_execz .LBB221_41
; %bb.40:
	v_and_b32_e32 v1, 1, v7
	v_cmp_eq_u32_e32 vcc_lo, 1, v1
	s_waitcnt lgkmcnt(0)
	v_cndmask_b32_e32 v2, v6, v4, vcc_lo
	v_cndmask_b32_e32 v1, v5, v3, vcc_lo
	v_cndmask_b32_e64 v9, v8, 1, vcc_lo
.LBB221_41:
	s_or_b32 exec_lo, exec_lo, s1
.LBB221_42:
	s_or_b32 exec_lo, exec_lo, s0
	s_branch .LBB221_242
.LBB221_43:
                                        ; implicit-def: $vgpr3_vgpr4
                                        ; implicit-def: $vgpr5
                                        ; implicit-def: $vgpr1_vgpr2
	s_branch .LBB221_356
.LBB221_44:
                                        ; implicit-def: $vgpr1_vgpr2
                                        ; implicit-def: $vgpr17
	s_cbranch_execz .LBB221_167
; %bb.45:
	v_mov_b32_e32 v15, 0
	v_mov_b32_e32 v1, 0
	;; [unrolled: 1-line block ×6, first 2 shown]
	s_sub_i32 s27, s14, s8
	s_mov_b32 s0, exec_lo
	v_cmpx_gt_u32_e64 s27, v0
	s_cbranch_execz .LBB221_47
; %bb.46:
	v_lshlrev_b32_e32 v1, 2, v0
	s_clause 0x1
	global_load_dword v3, v1, s[10:11]
	global_load_dword v4, v1, s[22:23]
	v_add_co_u32 v1, s1, s28, v0
	v_add_co_ci_u32_e64 v2, null, s29, 0, s1
	s_waitcnt vmcnt(0)
	v_cmp_ne_u32_e32 vcc_lo, v3, v4
	v_cndmask_b32_e64 v17, 0, 1, vcc_lo
.LBB221_47:
	s_or_b32 exec_lo, exec_lo, s0
	v_or_b32_e32 v3, 0x100, v0
	v_cmp_gt_u32_e64 s9, s27, v3
	s_and_saveexec_b32 s0, s9
	s_cbranch_execz .LBB221_49
; %bb.48:
	v_lshlrev_b32_e32 v4, 2, v0
	v_add_co_u32 v15, s1, s28, v3
	v_add_co_ci_u32_e64 v16, null, s29, 0, s1
	s_waitcnt lgkmcnt(1)
	s_clause 0x1
	global_load_dword v5, v4, s[10:11] offset:1024
	global_load_dword v4, v4, s[22:23] offset:1024
	s_waitcnt vmcnt(0)
	v_cmp_ne_u32_e32 vcc_lo, v5, v4
	v_cndmask_b32_e64 v24, 0, 1, vcc_lo
.LBB221_49:
	s_or_b32 exec_lo, exec_lo, s0
	v_or_b32_e32 v3, 0x200, v0
	v_mov_b32_e32 v11, 0
	v_mov_b32_e32 v13, 0
	;; [unrolled: 1-line block ×5, first 2 shown]
	v_cmp_gt_u32_e64 s8, s27, v3
	v_mov_b32_e32 v23, 0
	s_and_saveexec_b32 s0, s8
	s_cbranch_execz .LBB221_51
; %bb.50:
	v_lshlrev_b32_e32 v4, 2, v3
	v_add_co_u32 v13, s1, s28, v3
	v_add_co_ci_u32_e64 v14, null, s29, 0, s1
	s_waitcnt lgkmcnt(1)
	s_clause 0x1
	global_load_dword v5, v4, s[10:11]
	global_load_dword v4, v4, s[22:23]
	s_waitcnt vmcnt(0)
	v_cmp_ne_u32_e32 vcc_lo, v5, v4
	v_cndmask_b32_e64 v23, 0, 1, vcc_lo
.LBB221_51:
	s_or_b32 exec_lo, exec_lo, s0
	v_or_b32_e32 v3, 0x300, v0
	v_cmp_gt_u32_e64 s3, s27, v3
	s_and_saveexec_b32 s0, s3
	s_cbranch_execz .LBB221_53
; %bb.52:
	v_lshlrev_b32_e32 v4, 2, v3
	v_add_co_u32 v11, s1, s28, v3
	v_add_co_ci_u32_e64 v12, null, s29, 0, s1
	s_waitcnt lgkmcnt(1)
	s_clause 0x1
	global_load_dword v5, v4, s[10:11]
	global_load_dword v4, v4, s[22:23]
	s_waitcnt vmcnt(0)
	v_cmp_ne_u32_e32 vcc_lo, v5, v4
	v_cndmask_b32_e64 v22, 0, 1, vcc_lo
.LBB221_53:
	s_or_b32 exec_lo, exec_lo, s0
	v_or_b32_e32 v3, 0x400, v0
	v_mov_b32_e32 v7, 0
	v_mov_b32_e32 v9, 0
	v_mov_b32_e32 v20, 0
	v_mov_b32_e32 v8, 0
	v_mov_b32_e32 v10, 0
	v_cmp_gt_u32_e64 s2, s27, v3
	v_mov_b32_e32 v21, 0
	s_and_saveexec_b32 s0, s2
	s_cbranch_execz .LBB221_55
; %bb.54:
	v_lshlrev_b32_e32 v4, 2, v3
	v_add_co_u32 v9, s1, s28, v3
	v_add_co_ci_u32_e64 v10, null, s29, 0, s1
	s_waitcnt lgkmcnt(1)
	s_clause 0x1
	global_load_dword v5, v4, s[10:11]
	global_load_dword v4, v4, s[22:23]
	s_waitcnt vmcnt(0)
	v_cmp_ne_u32_e32 vcc_lo, v5, v4
	v_cndmask_b32_e64 v21, 0, 1, vcc_lo
.LBB221_55:
	s_or_b32 exec_lo, exec_lo, s0
	v_or_b32_e32 v3, 0x500, v0
	v_cmp_gt_u32_e64 s1, s27, v3
	s_and_saveexec_b32 s0, s1
	s_cbranch_execz .LBB221_57
; %bb.56:
	v_lshlrev_b32_e32 v4, 2, v3
	v_add_co_u32 v7, s30, s28, v3
	v_add_co_ci_u32_e64 v8, null, s29, 0, s30
	s_waitcnt lgkmcnt(1)
	s_clause 0x1
	global_load_dword v5, v4, s[10:11]
	global_load_dword v4, v4, s[22:23]
	s_waitcnt vmcnt(0)
	v_cmp_ne_u32_e32 vcc_lo, v5, v4
	v_cndmask_b32_e64 v20, 0, 1, vcc_lo
.LBB221_57:
	s_or_b32 exec_lo, exec_lo, s0
	v_or_b32_e32 v25, 0x600, v0
	v_mov_b32_e32 v3, 0
	s_waitcnt lgkmcnt(0)
	v_mov_b32_e32 v5, 0
	v_mov_b32_e32 v4, 0
	v_mov_b32_e32 v18, 0
	v_mov_b32_e32 v6, 0
	v_cmp_gt_u32_e64 s0, s27, v25
	v_mov_b32_e32 v19, 0
	s_and_saveexec_b32 s30, s0
	s_cbranch_execz .LBB221_59
; %bb.58:
	v_lshlrev_b32_e32 v5, 2, v25
	s_clause 0x1
	global_load_dword v19, v5, s[10:11]
	global_load_dword v26, v5, s[22:23]
	v_add_co_u32 v5, s31, s28, v25
	v_add_co_ci_u32_e64 v6, null, s29, 0, s31
	s_waitcnt vmcnt(0)
	v_cmp_ne_u32_e32 vcc_lo, v19, v26
	v_cndmask_b32_e64 v19, 0, 1, vcc_lo
.LBB221_59:
	s_or_b32 exec_lo, exec_lo, s30
	v_or_b32_e32 v25, 0x700, v0
	v_cmp_gt_u32_e32 vcc_lo, s27, v25
	s_and_saveexec_b32 s30, vcc_lo
	s_cbranch_execnz .LBB221_78
; %bb.60:
	s_or_b32 exec_lo, exec_lo, s30
	s_and_saveexec_b32 s11, s9
	s_cbranch_execnz .LBB221_79
.LBB221_61:
	s_or_b32 exec_lo, exec_lo, s11
	s_and_saveexec_b32 s10, s8
	s_cbranch_execnz .LBB221_84
.LBB221_62:
	s_or_b32 exec_lo, exec_lo, s10
	s_and_saveexec_b32 s9, s3
	s_cbranch_execnz .LBB221_89
.LBB221_63:
	s_or_b32 exec_lo, exec_lo, s9
	s_and_saveexec_b32 s8, s2
	s_cbranch_execnz .LBB221_94
.LBB221_64:
	s_or_b32 exec_lo, exec_lo, s8
	s_and_saveexec_b32 s3, s1
	s_cbranch_execnz .LBB221_99
.LBB221_65:
	s_or_b32 exec_lo, exec_lo, s3
	s_and_saveexec_b32 s2, s0
	s_cbranch_execnz .LBB221_104
.LBB221_66:
	s_or_b32 exec_lo, exec_lo, s2
	s_and_saveexec_b32 s1, vcc_lo
	s_cbranch_execnz .LBB221_109
	s_branch .LBB221_114
.LBB221_67:
                                        ; implicit-def: $vgpr1_vgpr2
                                        ; implicit-def: $vgpr9
	s_cbranch_execz .LBB221_242
; %bb.68:
	v_mov_b32_e32 v7, 0
	v_mov_b32_e32 v1, 0
	;; [unrolled: 1-line block ×6, first 2 shown]
	s_sub_i32 s10, s14, s10
	s_mov_b32 s0, exec_lo
	v_cmpx_gt_u32_e64 s10, v0
	s_cbranch_execz .LBB221_70
; %bb.69:
	v_lshlrev_b32_e32 v1, 2, v0
	s_waitcnt lgkmcnt(1)
	global_load_dword v3, v1, s[2:3]
	s_waitcnt lgkmcnt(0)
	global_load_dword v4, v1, s[8:9]
	v_add_co_u32 v1, s1, s11, v0
	v_add_co_ci_u32_e64 v2, null, s23, 0, s1
	s_waitcnt vmcnt(0)
	v_cmp_ne_u32_e32 vcc_lo, v3, v4
	v_cndmask_b32_e64 v9, 0, 1, vcc_lo
.LBB221_70:
	s_or_b32 exec_lo, exec_lo, s0
	s_waitcnt lgkmcnt(1)
	v_or_b32_e32 v3, 0x100, v0
	v_cmp_gt_u32_e64 s1, s10, v3
	s_and_saveexec_b32 s0, s1
	s_cbranch_execz .LBB221_72
; %bb.71:
	s_waitcnt lgkmcnt(0)
	v_lshlrev_b32_e32 v4, 2, v0
	v_add_co_u32 v7, s26, s11, v3
	v_add_co_ci_u32_e64 v8, null, s23, 0, s26
	s_clause 0x1
	global_load_dword v5, v4, s[2:3] offset:1024
	global_load_dword v4, v4, s[8:9] offset:1024
	s_waitcnt vmcnt(0)
	v_cmp_ne_u32_e32 vcc_lo, v5, v4
	v_cndmask_b32_e64 v12, 0, 1, vcc_lo
.LBB221_72:
	s_or_b32 exec_lo, exec_lo, s0
	v_or_b32_e32 v13, 0x200, v0
	s_waitcnt lgkmcnt(0)
	v_mov_b32_e32 v3, 0
	v_mov_b32_e32 v5, 0
	v_mov_b32_e32 v10, 0
	v_mov_b32_e32 v4, 0
	v_mov_b32_e32 v6, 0
	v_cmp_gt_u32_e64 s0, s10, v13
	v_mov_b32_e32 v11, 0
	s_and_saveexec_b32 s26, s0
	s_cbranch_execz .LBB221_74
; %bb.73:
	v_lshlrev_b32_e32 v5, 2, v13
	s_clause 0x1
	global_load_dword v11, v5, s[2:3]
	global_load_dword v14, v5, s[8:9]
	v_add_co_u32 v5, s27, s11, v13
	v_add_co_ci_u32_e64 v6, null, s23, 0, s27
	s_waitcnt vmcnt(0)
	v_cmp_ne_u32_e32 vcc_lo, v11, v14
	v_cndmask_b32_e64 v11, 0, 1, vcc_lo
.LBB221_74:
	s_or_b32 exec_lo, exec_lo, s26
	v_or_b32_e32 v13, 0x300, v0
	v_cmp_gt_u32_e32 vcc_lo, s10, v13
	s_and_saveexec_b32 s26, vcc_lo
	s_cbranch_execnz .LBB221_173
; %bb.75:
	s_or_b32 exec_lo, exec_lo, s26
	s_and_saveexec_b32 s3, s1
	s_cbranch_execnz .LBB221_174
.LBB221_76:
	s_or_b32 exec_lo, exec_lo, s3
	s_and_saveexec_b32 s2, s0
	s_cbranch_execnz .LBB221_179
.LBB221_77:
	s_or_b32 exec_lo, exec_lo, s2
	s_and_saveexec_b32 s1, vcc_lo
	s_cbranch_execnz .LBB221_184
	s_branch .LBB221_189
.LBB221_78:
	v_lshlrev_b32_e32 v3, 2, v25
	s_clause 0x1
	global_load_dword v18, v3, s[10:11]
	global_load_dword v26, v3, s[22:23]
	v_add_co_u32 v3, s10, s28, v25
	v_add_co_ci_u32_e64 v4, null, s29, 0, s10
	s_waitcnt vmcnt(0)
	v_cmp_ne_u32_e64 s10, v18, v26
	v_cndmask_b32_e64 v18, 0, 1, s10
	s_or_b32 exec_lo, exec_lo, s30
	s_and_saveexec_b32 s11, s9
	s_cbranch_execz .LBB221_61
.LBB221_79:
	v_and_b32_e32 v17, 1, v17
	v_and_b32_e32 v25, 1, v24
	v_cmp_eq_u32_e64 s9, 1, v17
	v_cmp_eq_u32_e64 s10, 1, v25
                                        ; implicit-def: $vgpr17
	s_and_b32 s10, s9, s10
	s_xor_b32 s10, s10, -1
	s_and_saveexec_b32 s22, s10
	s_xor_b32 s10, exec_lo, s22
; %bb.80:
	v_and_b32_e32 v17, 0xffff, v24
	v_cndmask_b32_e64 v2, v16, v2, s9
	v_cndmask_b32_e64 v1, v15, v1, s9
                                        ; implicit-def: $vgpr15_vgpr16
	v_cndmask_b32_e64 v17, v17, 1, s9
; %bb.81:
	s_andn2_saveexec_b32 s10, s10
; %bb.82:
	v_cmp_lt_i64_e64 s9, v[15:16], v[1:2]
	v_mov_b32_e32 v17, 1
	v_cndmask_b32_e64 v2, v2, v16, s9
	v_cndmask_b32_e64 v1, v1, v15, s9
; %bb.83:
	s_or_b32 exec_lo, exec_lo, s10
	s_or_b32 exec_lo, exec_lo, s11
	s_and_saveexec_b32 s10, s8
	s_cbranch_execz .LBB221_62
.LBB221_84:
	v_and_b32_e32 v15, 1, v17
	v_and_b32_e32 v16, 1, v23
                                        ; implicit-def: $vgpr17
	v_cmp_eq_u32_e64 s8, 1, v15
	v_cmp_eq_u32_e64 s9, 1, v16
	s_and_b32 s9, s8, s9
	s_xor_b32 s9, s9, -1
	s_and_saveexec_b32 s11, s9
	s_xor_b32 s9, exec_lo, s11
; %bb.85:
	v_and_b32_e32 v15, 0xffff, v23
	v_cndmask_b32_e64 v2, v14, v2, s8
	v_cndmask_b32_e64 v1, v13, v1, s8
                                        ; implicit-def: $vgpr13_vgpr14
	v_cndmask_b32_e64 v17, v15, 1, s8
; %bb.86:
	s_andn2_saveexec_b32 s9, s9
; %bb.87:
	v_cmp_lt_i64_e64 s8, v[13:14], v[1:2]
	v_mov_b32_e32 v17, 1
	v_cndmask_b32_e64 v2, v2, v14, s8
	v_cndmask_b32_e64 v1, v1, v13, s8
; %bb.88:
	s_or_b32 exec_lo, exec_lo, s9
	s_or_b32 exec_lo, exec_lo, s10
	s_and_saveexec_b32 s9, s3
	s_cbranch_execz .LBB221_63
.LBB221_89:
	v_and_b32_e32 v13, 1, v17
	v_and_b32_e32 v14, 1, v22
                                        ; implicit-def: $vgpr17
	v_cmp_eq_u32_e64 s3, 1, v13
	v_cmp_eq_u32_e64 s8, 1, v14
	s_and_b32 s8, s3, s8
	s_xor_b32 s8, s8, -1
	s_and_saveexec_b32 s10, s8
	s_xor_b32 s8, exec_lo, s10
; %bb.90:
	v_and_b32_e32 v13, 0xffff, v22
	v_cndmask_b32_e64 v2, v12, v2, s3
	v_cndmask_b32_e64 v1, v11, v1, s3
                                        ; implicit-def: $vgpr11_vgpr12
	v_cndmask_b32_e64 v17, v13, 1, s3
; %bb.91:
	s_andn2_saveexec_b32 s8, s8
; %bb.92:
	v_cmp_lt_i64_e64 s3, v[11:12], v[1:2]
	v_mov_b32_e32 v17, 1
	v_cndmask_b32_e64 v2, v2, v12, s3
	v_cndmask_b32_e64 v1, v1, v11, s3
; %bb.93:
	s_or_b32 exec_lo, exec_lo, s8
	s_or_b32 exec_lo, exec_lo, s9
	s_and_saveexec_b32 s8, s2
	s_cbranch_execz .LBB221_64
.LBB221_94:
	v_and_b32_e32 v11, 1, v17
	v_and_b32_e32 v12, 1, v21
                                        ; implicit-def: $vgpr17
	v_cmp_eq_u32_e64 s2, 1, v11
	v_cmp_eq_u32_e64 s3, 1, v12
	s_and_b32 s3, s2, s3
	s_xor_b32 s3, s3, -1
	s_and_saveexec_b32 s9, s3
	s_xor_b32 s3, exec_lo, s9
; %bb.95:
	v_and_b32_e32 v11, 0xffff, v21
	v_cndmask_b32_e64 v2, v10, v2, s2
	v_cndmask_b32_e64 v1, v9, v1, s2
                                        ; implicit-def: $vgpr9_vgpr10
	v_cndmask_b32_e64 v17, v11, 1, s2
; %bb.96:
	s_andn2_saveexec_b32 s3, s3
; %bb.97:
	v_cmp_lt_i64_e64 s2, v[9:10], v[1:2]
	v_mov_b32_e32 v17, 1
	v_cndmask_b32_e64 v2, v2, v10, s2
	v_cndmask_b32_e64 v1, v1, v9, s2
; %bb.98:
	s_or_b32 exec_lo, exec_lo, s3
	s_or_b32 exec_lo, exec_lo, s8
	s_and_saveexec_b32 s3, s1
	s_cbranch_execz .LBB221_65
.LBB221_99:
	v_and_b32_e32 v9, 1, v17
	v_and_b32_e32 v10, 1, v20
                                        ; implicit-def: $vgpr17
	v_cmp_eq_u32_e64 s1, 1, v9
	v_cmp_eq_u32_e64 s2, 1, v10
	s_and_b32 s2, s1, s2
	s_xor_b32 s2, s2, -1
	s_and_saveexec_b32 s8, s2
	s_xor_b32 s2, exec_lo, s8
; %bb.100:
	v_and_b32_e32 v9, 0xffff, v20
	v_cndmask_b32_e64 v2, v8, v2, s1
	v_cndmask_b32_e64 v1, v7, v1, s1
                                        ; implicit-def: $vgpr7_vgpr8
	v_cndmask_b32_e64 v17, v9, 1, s1
; %bb.101:
	s_andn2_saveexec_b32 s2, s2
; %bb.102:
	v_cmp_lt_i64_e64 s1, v[7:8], v[1:2]
	v_mov_b32_e32 v17, 1
	v_cndmask_b32_e64 v2, v2, v8, s1
	v_cndmask_b32_e64 v1, v1, v7, s1
; %bb.103:
	s_or_b32 exec_lo, exec_lo, s2
	s_or_b32 exec_lo, exec_lo, s3
	s_and_saveexec_b32 s2, s0
	s_cbranch_execz .LBB221_66
.LBB221_104:
	v_and_b32_e32 v7, 1, v17
	v_and_b32_e32 v8, 1, v19
                                        ; implicit-def: $vgpr17
	v_cmp_eq_u32_e64 s0, 1, v7
	v_cmp_eq_u32_e64 s1, 1, v8
	s_and_b32 s1, s0, s1
	s_xor_b32 s1, s1, -1
	s_and_saveexec_b32 s3, s1
	s_xor_b32 s1, exec_lo, s3
; %bb.105:
	v_and_b32_e32 v7, 0xffff, v19
	v_cndmask_b32_e64 v2, v6, v2, s0
	v_cndmask_b32_e64 v1, v5, v1, s0
                                        ; implicit-def: $vgpr5_vgpr6
	v_cndmask_b32_e64 v17, v7, 1, s0
; %bb.106:
	s_andn2_saveexec_b32 s1, s1
; %bb.107:
	v_cmp_lt_i64_e64 s0, v[5:6], v[1:2]
	v_mov_b32_e32 v17, 1
	v_cndmask_b32_e64 v2, v2, v6, s0
	v_cndmask_b32_e64 v1, v1, v5, s0
; %bb.108:
	s_or_b32 exec_lo, exec_lo, s1
	s_or_b32 exec_lo, exec_lo, s2
	s_and_saveexec_b32 s1, vcc_lo
	s_cbranch_execz .LBB221_114
.LBB221_109:
	v_and_b32_e32 v5, 1, v17
	v_and_b32_e32 v6, 1, v18
                                        ; implicit-def: $vgpr17
	v_cmp_eq_u32_e32 vcc_lo, 1, v5
	v_cmp_eq_u32_e64 s0, 1, v6
	s_and_b32 s0, vcc_lo, s0
	s_xor_b32 s0, s0, -1
	s_and_saveexec_b32 s2, s0
	s_xor_b32 s0, exec_lo, s2
; %bb.110:
	v_and_b32_e32 v5, 0xffff, v18
	v_cndmask_b32_e32 v2, v4, v2, vcc_lo
	v_cndmask_b32_e32 v1, v3, v1, vcc_lo
                                        ; implicit-def: $vgpr3_vgpr4
	v_cndmask_b32_e64 v17, v5, 1, vcc_lo
; %bb.111:
	s_andn2_saveexec_b32 s0, s0
; %bb.112:
	v_cmp_lt_i64_e32 vcc_lo, v[3:4], v[1:2]
	v_mov_b32_e32 v17, 1
	v_cndmask_b32_e32 v2, v2, v4, vcc_lo
	v_cndmask_b32_e32 v1, v1, v3, vcc_lo
; %bb.113:
	s_or_b32 exec_lo, exec_lo, s0
.LBB221_114:
	s_or_b32 exec_lo, exec_lo, s1
	v_mbcnt_lo_u32_b32 v5, -1, 0
	v_and_b32_e32 v6, 0xe0, v0
	s_min_u32 s0, s27, 0x100
	s_mov_b32 s1, exec_lo
	v_cmp_ne_u32_e32 vcc_lo, 31, v5
	v_sub_nc_u32_e64 v6, s0, v6 clamp
	v_add_nc_u32_e32 v8, 1, v5
	v_add_co_ci_u32_e64 v3, null, 0, v5, vcc_lo
	v_lshlrev_b32_e32 v4, 2, v3
	ds_bpermute_b32 v7, v4, v17
	ds_bpermute_b32 v3, v4, v1
	;; [unrolled: 1-line block ×3, first 2 shown]
	v_cmpx_lt_u32_e64 v8, v6
	s_xor_b32 s1, exec_lo, s1
	s_cbranch_execz .LBB221_120
; %bb.115:
	s_waitcnt lgkmcnt(2)
	v_and_b32_e32 v8, v7, v17
	s_mov_b32 s2, exec_lo
	v_cmpx_ne_u32_e32 0, v8
	s_xor_b32 s2, exec_lo, s2
	s_cbranch_execz .LBB221_117
; %bb.116:
	s_waitcnt lgkmcnt(0)
	v_cmp_lt_i64_e32 vcc_lo, v[3:4], v[1:2]
                                        ; implicit-def: $vgpr17
                                        ; implicit-def: $vgpr7
	v_cndmask_b32_e32 v2, v2, v4, vcc_lo
	v_cndmask_b32_e32 v1, v1, v3, vcc_lo
                                        ; implicit-def: $vgpr3_vgpr4
.LBB221_117:
	s_or_saveexec_b32 s2, s2
	v_mov_b32_e32 v8, 1
	s_xor_b32 exec_lo, exec_lo, s2
	s_cbranch_execz .LBB221_119
; %bb.118:
	v_and_b32_e32 v8, 1, v17
	v_and_b32_e32 v7, 0xff, v7
	v_cmp_eq_u32_e32 vcc_lo, 1, v8
	s_waitcnt lgkmcnt(0)
	v_cndmask_b32_e32 v2, v4, v2, vcc_lo
	v_cndmask_b32_e32 v1, v3, v1, vcc_lo
	v_cndmask_b32_e64 v8, v7, 1, vcc_lo
.LBB221_119:
	s_or_b32 exec_lo, exec_lo, s2
	v_mov_b32_e32 v17, v8
.LBB221_120:
	s_or_b32 exec_lo, exec_lo, s1
	v_cmp_gt_u32_e32 vcc_lo, 30, v5
	v_add_nc_u32_e32 v8, 2, v5
	s_mov_b32 s1, exec_lo
	s_waitcnt lgkmcnt(1)
	v_cndmask_b32_e64 v3, 0, 2, vcc_lo
	s_waitcnt lgkmcnt(0)
	v_add_lshl_u32 v4, v3, v5, 2
	ds_bpermute_b32 v7, v4, v17
	ds_bpermute_b32 v3, v4, v1
	ds_bpermute_b32 v4, v4, v2
	v_cmpx_lt_u32_e64 v8, v6
	s_cbranch_execz .LBB221_126
; %bb.121:
	s_waitcnt lgkmcnt(2)
	v_and_b32_e32 v8, v17, v7
	s_mov_b32 s2, exec_lo
	v_and_b32_e32 v8, 1, v8
	v_cmpx_eq_u32_e32 1, v8
	s_xor_b32 s2, exec_lo, s2
	s_cbranch_execz .LBB221_123
; %bb.122:
	s_waitcnt lgkmcnt(0)
	v_cmp_lt_i64_e32 vcc_lo, v[3:4], v[1:2]
                                        ; implicit-def: $vgpr17
                                        ; implicit-def: $vgpr7
	v_cndmask_b32_e32 v2, v2, v4, vcc_lo
	v_cndmask_b32_e32 v1, v1, v3, vcc_lo
                                        ; implicit-def: $vgpr3_vgpr4
.LBB221_123:
	s_or_saveexec_b32 s2, s2
	v_mov_b32_e32 v8, 1
	s_xor_b32 exec_lo, exec_lo, s2
	s_cbranch_execz .LBB221_125
; %bb.124:
	v_and_b32_e32 v8, 1, v17
	v_and_b32_e32 v7, 0xff, v7
	v_cmp_eq_u32_e32 vcc_lo, 1, v8
	s_waitcnt lgkmcnt(0)
	v_cndmask_b32_e32 v2, v4, v2, vcc_lo
	v_cndmask_b32_e32 v1, v3, v1, vcc_lo
	v_cndmask_b32_e64 v8, v7, 1, vcc_lo
.LBB221_125:
	s_or_b32 exec_lo, exec_lo, s2
	v_mov_b32_e32 v17, v8
.LBB221_126:
	s_or_b32 exec_lo, exec_lo, s1
	v_cmp_gt_u32_e32 vcc_lo, 28, v5
	v_add_nc_u32_e32 v8, 4, v5
	s_mov_b32 s1, exec_lo
	s_waitcnt lgkmcnt(1)
	v_cndmask_b32_e64 v3, 0, 4, vcc_lo
	s_waitcnt lgkmcnt(0)
	v_add_lshl_u32 v4, v3, v5, 2
	ds_bpermute_b32 v7, v4, v17
	ds_bpermute_b32 v3, v4, v1
	ds_bpermute_b32 v4, v4, v2
	v_cmpx_lt_u32_e64 v8, v6
	s_cbranch_execz .LBB221_132
; %bb.127:
	s_waitcnt lgkmcnt(2)
	v_and_b32_e32 v8, v17, v7
	s_mov_b32 s2, exec_lo
	v_and_b32_e32 v8, 1, v8
	v_cmpx_eq_u32_e32 1, v8
	s_xor_b32 s2, exec_lo, s2
	s_cbranch_execz .LBB221_129
; %bb.128:
	s_waitcnt lgkmcnt(0)
	v_cmp_lt_i64_e32 vcc_lo, v[3:4], v[1:2]
                                        ; implicit-def: $vgpr17
                                        ; implicit-def: $vgpr7
	v_cndmask_b32_e32 v2, v2, v4, vcc_lo
	v_cndmask_b32_e32 v1, v1, v3, vcc_lo
                                        ; implicit-def: $vgpr3_vgpr4
.LBB221_129:
	s_or_saveexec_b32 s2, s2
	v_mov_b32_e32 v8, 1
	s_xor_b32 exec_lo, exec_lo, s2
	s_cbranch_execz .LBB221_131
; %bb.130:
	v_and_b32_e32 v8, 1, v17
	v_and_b32_e32 v7, 0xff, v7
	v_cmp_eq_u32_e32 vcc_lo, 1, v8
	s_waitcnt lgkmcnt(0)
	v_cndmask_b32_e32 v2, v4, v2, vcc_lo
	v_cndmask_b32_e32 v1, v3, v1, vcc_lo
	v_cndmask_b32_e64 v8, v7, 1, vcc_lo
.LBB221_131:
	s_or_b32 exec_lo, exec_lo, s2
	v_mov_b32_e32 v17, v8
.LBB221_132:
	;; [unrolled: 46-line block ×3, first 2 shown]
	s_or_b32 exec_lo, exec_lo, s1
	s_waitcnt lgkmcnt(2)
	v_lshlrev_b32_e32 v7, 2, v5
	v_add_nc_u32_e32 v9, 16, v5
	s_waitcnt lgkmcnt(0)
	v_or_b32_e32 v4, 64, v7
	v_cmp_lt_u32_e32 vcc_lo, v9, v6
	v_mov_b32_e32 v6, v17
	ds_bpermute_b32 v8, v4, v17
	ds_bpermute_b32 v3, v4, v1
	;; [unrolled: 1-line block ×3, first 2 shown]
	s_and_saveexec_b32 s1, vcc_lo
	s_cbranch_execz .LBB221_144
; %bb.139:
	s_waitcnt lgkmcnt(2)
	v_and_b32_e32 v6, v17, v8
	s_mov_b32 s2, exec_lo
	v_and_b32_e32 v6, 1, v6
	v_cmpx_eq_u32_e32 1, v6
	s_xor_b32 s2, exec_lo, s2
	s_cbranch_execz .LBB221_141
; %bb.140:
	s_waitcnt lgkmcnt(0)
	v_cmp_lt_i64_e32 vcc_lo, v[3:4], v[1:2]
                                        ; implicit-def: $vgpr17
                                        ; implicit-def: $vgpr8
	v_cndmask_b32_e32 v2, v2, v4, vcc_lo
	v_cndmask_b32_e32 v1, v1, v3, vcc_lo
                                        ; implicit-def: $vgpr3_vgpr4
.LBB221_141:
	s_or_saveexec_b32 s2, s2
	v_mov_b32_e32 v6, 1
	s_xor_b32 exec_lo, exec_lo, s2
	s_cbranch_execz .LBB221_143
; %bb.142:
	v_and_b32_e32 v6, 1, v17
	v_cmp_eq_u32_e32 vcc_lo, 1, v6
	v_cndmask_b32_e64 v6, v8, 1, vcc_lo
	s_waitcnt lgkmcnt(0)
	v_cndmask_b32_e32 v2, v4, v2, vcc_lo
	v_cndmask_b32_e32 v1, v3, v1, vcc_lo
.LBB221_143:
	s_or_b32 exec_lo, exec_lo, s2
	v_and_b32_e32 v17, 0xff, v6
.LBB221_144:
	s_or_b32 exec_lo, exec_lo, s1
	s_mov_b32 s1, exec_lo
	v_cmpx_eq_u32_e32 0, v5
	s_cbranch_execz .LBB221_146
; %bb.145:
	s_waitcnt lgkmcnt(1)
	v_lshrrev_b32_e32 v3, 1, v0
	v_and_b32_e32 v3, 0x70, v3
	ds_write_b8 v3, v6 offset:512
	ds_write_b64 v3, v[1:2] offset:520
.LBB221_146:
	s_or_b32 exec_lo, exec_lo, s1
	s_mov_b32 s1, exec_lo
	s_waitcnt lgkmcnt(0)
	s_barrier
	buffer_gl0_inv
	v_cmpx_gt_u32_e32 8, v0
	s_cbranch_execz .LBB221_166
; %bb.147:
	v_lshlrev_b32_e32 v1, 4, v5
	v_and_b32_e32 v6, 7, v5
	s_add_i32 s0, s0, 31
	s_mov_b32 s2, exec_lo
	s_lshr_b32 s0, s0, 5
	ds_read_u8 v8, v1 offset:512
	ds_read_b64 v[1:2], v1 offset:520
	v_cmp_ne_u32_e32 vcc_lo, 7, v6
	v_add_nc_u32_e32 v10, 1, v6
	v_add_co_ci_u32_e64 v3, null, 0, v5, vcc_lo
	v_lshlrev_b32_e32 v4, 2, v3
	s_waitcnt lgkmcnt(1)
	v_and_b32_e32 v17, 0xff, v8
	s_waitcnt lgkmcnt(0)
	ds_bpermute_b32 v3, v4, v1
	ds_bpermute_b32 v9, v4, v17
	;; [unrolled: 1-line block ×3, first 2 shown]
	v_cmpx_gt_u32_e64 s0, v10
	s_cbranch_execz .LBB221_153
; %bb.148:
	s_waitcnt lgkmcnt(1)
	v_and_b32_e32 v10, v17, v9
	s_mov_b32 s3, exec_lo
	v_and_b32_e32 v10, 1, v10
	v_cmpx_eq_u32_e32 1, v10
	s_xor_b32 s3, exec_lo, s3
	s_cbranch_execz .LBB221_150
; %bb.149:
	s_waitcnt lgkmcnt(0)
	v_cmp_lt_i64_e32 vcc_lo, v[3:4], v[1:2]
                                        ; implicit-def: $vgpr8
                                        ; implicit-def: $vgpr9
	v_cndmask_b32_e32 v2, v2, v4, vcc_lo
	v_cndmask_b32_e32 v1, v1, v3, vcc_lo
                                        ; implicit-def: $vgpr3_vgpr4
.LBB221_150:
	s_or_saveexec_b32 s3, s3
	v_mov_b32_e32 v17, 1
	s_xor_b32 exec_lo, exec_lo, s3
	s_cbranch_execz .LBB221_152
; %bb.151:
	v_and_b32_e32 v8, 1, v8
	v_cmp_eq_u32_e32 vcc_lo, 1, v8
	v_and_b32_e32 v8, 0xff, v9
	s_waitcnt lgkmcnt(0)
	v_cndmask_b32_e32 v2, v4, v2, vcc_lo
	v_cndmask_b32_e32 v1, v3, v1, vcc_lo
	v_cndmask_b32_e64 v17, v8, 1, vcc_lo
.LBB221_152:
	s_or_b32 exec_lo, exec_lo, s3
.LBB221_153:
	s_or_b32 exec_lo, exec_lo, s2
	v_cmp_gt_u32_e32 vcc_lo, 6, v6
	v_add_nc_u32_e32 v8, 2, v6
	s_mov_b32 s2, exec_lo
	s_waitcnt lgkmcnt(2)
	v_cndmask_b32_e64 v3, 0, 2, vcc_lo
	s_waitcnt lgkmcnt(0)
	v_add_lshl_u32 v4, v3, v5, 2
	ds_bpermute_b32 v5, v4, v17
	ds_bpermute_b32 v3, v4, v1
	;; [unrolled: 1-line block ×3, first 2 shown]
	v_cmpx_gt_u32_e64 s0, v8
	s_cbranch_execz .LBB221_159
; %bb.154:
	s_waitcnt lgkmcnt(2)
	v_and_b32_e32 v8, v17, v5
	s_mov_b32 s3, exec_lo
	v_and_b32_e32 v8, 1, v8
	v_cmpx_eq_u32_e32 1, v8
	s_xor_b32 s3, exec_lo, s3
	s_cbranch_execz .LBB221_156
; %bb.155:
	s_waitcnt lgkmcnt(0)
	v_cmp_lt_i64_e32 vcc_lo, v[3:4], v[1:2]
                                        ; implicit-def: $vgpr17
                                        ; implicit-def: $vgpr5
	v_cndmask_b32_e32 v2, v2, v4, vcc_lo
	v_cndmask_b32_e32 v1, v1, v3, vcc_lo
                                        ; implicit-def: $vgpr3_vgpr4
.LBB221_156:
	s_or_saveexec_b32 s3, s3
	v_mov_b32_e32 v8, 1
	s_xor_b32 exec_lo, exec_lo, s3
	s_cbranch_execz .LBB221_158
; %bb.157:
	v_and_b32_e32 v8, 1, v17
	v_and_b32_e32 v5, 0xff, v5
	v_cmp_eq_u32_e32 vcc_lo, 1, v8
	s_waitcnt lgkmcnt(0)
	v_cndmask_b32_e32 v2, v4, v2, vcc_lo
	v_cndmask_b32_e32 v1, v3, v1, vcc_lo
	v_cndmask_b32_e64 v8, v5, 1, vcc_lo
.LBB221_158:
	s_or_b32 exec_lo, exec_lo, s3
	v_mov_b32_e32 v17, v8
.LBB221_159:
	s_or_b32 exec_lo, exec_lo, s2
	s_waitcnt lgkmcnt(0)
	v_or_b32_e32 v4, 16, v7
	v_add_nc_u32_e32 v6, 4, v6
	ds_bpermute_b32 v5, v4, v17
	ds_bpermute_b32 v3, v4, v1
	;; [unrolled: 1-line block ×3, first 2 shown]
	v_cmp_gt_u32_e32 vcc_lo, s0, v6
	s_and_saveexec_b32 s0, vcc_lo
	s_cbranch_execz .LBB221_165
; %bb.160:
	s_waitcnt lgkmcnt(2)
	v_and_b32_e32 v6, v17, v5
	s_mov_b32 s2, exec_lo
	v_and_b32_e32 v6, 1, v6
	v_cmpx_eq_u32_e32 1, v6
	s_xor_b32 s2, exec_lo, s2
	s_cbranch_execz .LBB221_162
; %bb.161:
	s_waitcnt lgkmcnt(0)
	v_cmp_lt_i64_e32 vcc_lo, v[3:4], v[1:2]
                                        ; implicit-def: $vgpr17
                                        ; implicit-def: $vgpr5
	v_cndmask_b32_e32 v2, v2, v4, vcc_lo
	v_cndmask_b32_e32 v1, v1, v3, vcc_lo
                                        ; implicit-def: $vgpr3_vgpr4
.LBB221_162:
	s_or_saveexec_b32 s2, s2
	v_mov_b32_e32 v6, 1
	s_xor_b32 exec_lo, exec_lo, s2
	s_cbranch_execz .LBB221_164
; %bb.163:
	v_and_b32_e32 v6, 1, v17
	v_cmp_eq_u32_e32 vcc_lo, 1, v6
	s_waitcnt lgkmcnt(0)
	v_cndmask_b32_e32 v2, v4, v2, vcc_lo
	v_cndmask_b32_e32 v1, v3, v1, vcc_lo
	v_cndmask_b32_e64 v6, v5, 1, vcc_lo
.LBB221_164:
	s_or_b32 exec_lo, exec_lo, s2
	v_mov_b32_e32 v17, v6
.LBB221_165:
	s_or_b32 exec_lo, exec_lo, s0
.LBB221_166:
	s_or_b32 exec_lo, exec_lo, s1
.LBB221_167:
	s_mov_b32 s22, 0
                                        ; implicit-def: $vgpr3_vgpr4
                                        ; implicit-def: $vgpr5
	s_mov_b32 s0, exec_lo
	v_cmpx_eq_u32_e32 0, v0
	s_xor_b32 s2, exec_lo, s0
	s_cbranch_execz .LBB221_171
; %bb.168:
	s_waitcnt lgkmcnt(0)
	v_mov_b32_e32 v3, s20
	v_mov_b32_e32 v4, s21
	;; [unrolled: 1-line block ×3, first 2 shown]
	s_cmp_eq_u64 s[14:15], 0
	s_cbranch_scc1 .LBB221_170
; %bb.169:
	v_and_b32_e32 v3, 1, v17
	v_cmp_gt_i64_e32 vcc_lo, s[20:21], v[1:2]
	s_bitcmp1_b32 s24, 0
	s_cselect_b32 s1, -1, 0
	v_cmp_eq_u32_e64 s0, 1, v3
	v_cndmask_b32_e64 v5, v17, 1, s1
	s_and_b32 vcc_lo, s0, vcc_lo
	v_cndmask_b32_e32 v3, s20, v1, vcc_lo
	v_cndmask_b32_e32 v4, s21, v2, vcc_lo
	v_cndmask_b32_e64 v3, v1, v3, s1
	v_cndmask_b32_e64 v4, v2, v4, s1
.LBB221_170:
	s_mov_b32 s22, exec_lo
.LBB221_171:
	s_or_b32 exec_lo, exec_lo, s2
	v_mov_b32_e32 v1, s6
	v_mov_b32_e32 v2, s7
	s_and_b32 vcc_lo, exec_lo, s26
	s_cbranch_vccnz .LBB221_24
.LBB221_172:
	s_branch .LBB221_356
.LBB221_173:
	v_lshlrev_b32_e32 v3, 2, v13
	s_clause 0x1
	global_load_dword v10, v3, s[2:3]
	global_load_dword v14, v3, s[8:9]
	v_add_co_u32 v3, s2, s11, v13
	v_add_co_ci_u32_e64 v4, null, s23, 0, s2
	s_waitcnt vmcnt(0)
	v_cmp_ne_u32_e64 s2, v10, v14
	v_cndmask_b32_e64 v10, 0, 1, s2
	s_or_b32 exec_lo, exec_lo, s26
	s_and_saveexec_b32 s3, s1
	s_cbranch_execz .LBB221_76
.LBB221_174:
	v_and_b32_e32 v9, 1, v9
	v_and_b32_e32 v13, 1, v12
	v_cmp_eq_u32_e64 s1, 1, v9
	v_cmp_eq_u32_e64 s2, 1, v13
                                        ; implicit-def: $vgpr9
	s_and_b32 s2, s1, s2
	s_xor_b32 s2, s2, -1
	s_and_saveexec_b32 s8, s2
	s_xor_b32 s2, exec_lo, s8
; %bb.175:
	v_and_b32_e32 v9, 0xffff, v12
	v_cndmask_b32_e64 v2, v8, v2, s1
	v_cndmask_b32_e64 v1, v7, v1, s1
                                        ; implicit-def: $vgpr7_vgpr8
	v_cndmask_b32_e64 v9, v9, 1, s1
; %bb.176:
	s_andn2_saveexec_b32 s2, s2
; %bb.177:
	v_cmp_lt_i64_e64 s1, v[7:8], v[1:2]
	v_mov_b32_e32 v9, 1
	v_cndmask_b32_e64 v2, v2, v8, s1
	v_cndmask_b32_e64 v1, v1, v7, s1
; %bb.178:
	s_or_b32 exec_lo, exec_lo, s2
	s_or_b32 exec_lo, exec_lo, s3
	s_and_saveexec_b32 s2, s0
	s_cbranch_execz .LBB221_77
.LBB221_179:
	v_and_b32_e32 v7, 1, v9
	v_and_b32_e32 v8, 1, v11
                                        ; implicit-def: $vgpr9
	v_cmp_eq_u32_e64 s0, 1, v7
	v_cmp_eq_u32_e64 s1, 1, v8
	s_and_b32 s1, s0, s1
	s_xor_b32 s1, s1, -1
	s_and_saveexec_b32 s3, s1
	s_xor_b32 s1, exec_lo, s3
; %bb.180:
	v_and_b32_e32 v7, 0xffff, v11
	v_cndmask_b32_e64 v2, v6, v2, s0
	v_cndmask_b32_e64 v1, v5, v1, s0
                                        ; implicit-def: $vgpr5_vgpr6
	v_cndmask_b32_e64 v9, v7, 1, s0
; %bb.181:
	s_andn2_saveexec_b32 s1, s1
; %bb.182:
	v_cmp_lt_i64_e64 s0, v[5:6], v[1:2]
	v_mov_b32_e32 v9, 1
	v_cndmask_b32_e64 v2, v2, v6, s0
	v_cndmask_b32_e64 v1, v1, v5, s0
; %bb.183:
	s_or_b32 exec_lo, exec_lo, s1
	s_or_b32 exec_lo, exec_lo, s2
	s_and_saveexec_b32 s1, vcc_lo
	s_cbranch_execz .LBB221_189
.LBB221_184:
	v_and_b32_e32 v5, 1, v9
	v_and_b32_e32 v6, 1, v10
                                        ; implicit-def: $vgpr9
	v_cmp_eq_u32_e32 vcc_lo, 1, v5
	v_cmp_eq_u32_e64 s0, 1, v6
	s_and_b32 s0, vcc_lo, s0
	s_xor_b32 s0, s0, -1
	s_and_saveexec_b32 s2, s0
	s_xor_b32 s0, exec_lo, s2
; %bb.185:
	v_and_b32_e32 v5, 0xffff, v10
	v_cndmask_b32_e32 v2, v4, v2, vcc_lo
	v_cndmask_b32_e32 v1, v3, v1, vcc_lo
                                        ; implicit-def: $vgpr3_vgpr4
	v_cndmask_b32_e64 v9, v5, 1, vcc_lo
; %bb.186:
	s_andn2_saveexec_b32 s0, s0
; %bb.187:
	v_cmp_lt_i64_e32 vcc_lo, v[3:4], v[1:2]
	v_mov_b32_e32 v9, 1
	v_cndmask_b32_e32 v2, v2, v4, vcc_lo
	v_cndmask_b32_e32 v1, v1, v3, vcc_lo
; %bb.188:
	s_or_b32 exec_lo, exec_lo, s0
.LBB221_189:
	s_or_b32 exec_lo, exec_lo, s1
	v_mbcnt_lo_u32_b32 v5, -1, 0
	v_and_b32_e32 v6, 0xe0, v0
	s_min_u32 s0, s10, 0x100
	s_mov_b32 s1, exec_lo
	v_cmp_ne_u32_e32 vcc_lo, 31, v5
	v_sub_nc_u32_e64 v6, s0, v6 clamp
	v_add_nc_u32_e32 v8, 1, v5
	v_add_co_ci_u32_e64 v3, null, 0, v5, vcc_lo
	v_lshlrev_b32_e32 v4, 2, v3
	ds_bpermute_b32 v7, v4, v9
	ds_bpermute_b32 v3, v4, v1
	;; [unrolled: 1-line block ×3, first 2 shown]
	v_cmpx_lt_u32_e64 v8, v6
	s_xor_b32 s1, exec_lo, s1
	s_cbranch_execz .LBB221_195
; %bb.190:
	s_waitcnt lgkmcnt(2)
	v_and_b32_e32 v8, v7, v9
	s_mov_b32 s2, exec_lo
	v_cmpx_ne_u32_e32 0, v8
	s_xor_b32 s2, exec_lo, s2
	s_cbranch_execz .LBB221_192
; %bb.191:
	s_waitcnt lgkmcnt(0)
	v_cmp_lt_i64_e32 vcc_lo, v[3:4], v[1:2]
                                        ; implicit-def: $vgpr9
                                        ; implicit-def: $vgpr7
	v_cndmask_b32_e32 v2, v2, v4, vcc_lo
	v_cndmask_b32_e32 v1, v1, v3, vcc_lo
                                        ; implicit-def: $vgpr3_vgpr4
.LBB221_192:
	s_or_saveexec_b32 s2, s2
	v_mov_b32_e32 v8, 1
	s_xor_b32 exec_lo, exec_lo, s2
	s_cbranch_execz .LBB221_194
; %bb.193:
	v_and_b32_e32 v8, 1, v9
	v_and_b32_e32 v7, 0xff, v7
	v_cmp_eq_u32_e32 vcc_lo, 1, v8
	s_waitcnt lgkmcnt(0)
	v_cndmask_b32_e32 v2, v4, v2, vcc_lo
	v_cndmask_b32_e32 v1, v3, v1, vcc_lo
	v_cndmask_b32_e64 v8, v7, 1, vcc_lo
.LBB221_194:
	s_or_b32 exec_lo, exec_lo, s2
	v_mov_b32_e32 v9, v8
.LBB221_195:
	s_or_b32 exec_lo, exec_lo, s1
	v_cmp_gt_u32_e32 vcc_lo, 30, v5
	v_add_nc_u32_e32 v8, 2, v5
	s_mov_b32 s1, exec_lo
	s_waitcnt lgkmcnt(1)
	v_cndmask_b32_e64 v3, 0, 2, vcc_lo
	s_waitcnt lgkmcnt(0)
	v_add_lshl_u32 v4, v3, v5, 2
	ds_bpermute_b32 v7, v4, v9
	ds_bpermute_b32 v3, v4, v1
	ds_bpermute_b32 v4, v4, v2
	v_cmpx_lt_u32_e64 v8, v6
	s_cbranch_execz .LBB221_201
; %bb.196:
	s_waitcnt lgkmcnt(2)
	v_and_b32_e32 v8, v9, v7
	s_mov_b32 s2, exec_lo
	v_and_b32_e32 v8, 1, v8
	v_cmpx_eq_u32_e32 1, v8
	s_xor_b32 s2, exec_lo, s2
	s_cbranch_execz .LBB221_198
; %bb.197:
	s_waitcnt lgkmcnt(0)
	v_cmp_lt_i64_e32 vcc_lo, v[3:4], v[1:2]
                                        ; implicit-def: $vgpr9
                                        ; implicit-def: $vgpr7
	v_cndmask_b32_e32 v2, v2, v4, vcc_lo
	v_cndmask_b32_e32 v1, v1, v3, vcc_lo
                                        ; implicit-def: $vgpr3_vgpr4
.LBB221_198:
	s_or_saveexec_b32 s2, s2
	v_mov_b32_e32 v8, 1
	s_xor_b32 exec_lo, exec_lo, s2
	s_cbranch_execz .LBB221_200
; %bb.199:
	v_and_b32_e32 v8, 1, v9
	v_and_b32_e32 v7, 0xff, v7
	v_cmp_eq_u32_e32 vcc_lo, 1, v8
	s_waitcnt lgkmcnt(0)
	v_cndmask_b32_e32 v2, v4, v2, vcc_lo
	v_cndmask_b32_e32 v1, v3, v1, vcc_lo
	v_cndmask_b32_e64 v8, v7, 1, vcc_lo
.LBB221_200:
	s_or_b32 exec_lo, exec_lo, s2
	v_mov_b32_e32 v9, v8
.LBB221_201:
	s_or_b32 exec_lo, exec_lo, s1
	v_cmp_gt_u32_e32 vcc_lo, 28, v5
	v_add_nc_u32_e32 v8, 4, v5
	s_mov_b32 s1, exec_lo
	s_waitcnt lgkmcnt(1)
	v_cndmask_b32_e64 v3, 0, 4, vcc_lo
	s_waitcnt lgkmcnt(0)
	v_add_lshl_u32 v4, v3, v5, 2
	ds_bpermute_b32 v7, v4, v9
	ds_bpermute_b32 v3, v4, v1
	ds_bpermute_b32 v4, v4, v2
	v_cmpx_lt_u32_e64 v8, v6
	s_cbranch_execz .LBB221_207
; %bb.202:
	s_waitcnt lgkmcnt(2)
	v_and_b32_e32 v8, v9, v7
	s_mov_b32 s2, exec_lo
	v_and_b32_e32 v8, 1, v8
	v_cmpx_eq_u32_e32 1, v8
	s_xor_b32 s2, exec_lo, s2
	s_cbranch_execz .LBB221_204
; %bb.203:
	s_waitcnt lgkmcnt(0)
	v_cmp_lt_i64_e32 vcc_lo, v[3:4], v[1:2]
                                        ; implicit-def: $vgpr9
                                        ; implicit-def: $vgpr7
	v_cndmask_b32_e32 v2, v2, v4, vcc_lo
	v_cndmask_b32_e32 v1, v1, v3, vcc_lo
                                        ; implicit-def: $vgpr3_vgpr4
.LBB221_204:
	s_or_saveexec_b32 s2, s2
	v_mov_b32_e32 v8, 1
	s_xor_b32 exec_lo, exec_lo, s2
	s_cbranch_execz .LBB221_206
; %bb.205:
	v_and_b32_e32 v8, 1, v9
	v_and_b32_e32 v7, 0xff, v7
	v_cmp_eq_u32_e32 vcc_lo, 1, v8
	s_waitcnt lgkmcnt(0)
	v_cndmask_b32_e32 v2, v4, v2, vcc_lo
	v_cndmask_b32_e32 v1, v3, v1, vcc_lo
	v_cndmask_b32_e64 v8, v7, 1, vcc_lo
.LBB221_206:
	s_or_b32 exec_lo, exec_lo, s2
	v_mov_b32_e32 v9, v8
.LBB221_207:
	;; [unrolled: 46-line block ×3, first 2 shown]
	s_or_b32 exec_lo, exec_lo, s1
	s_waitcnt lgkmcnt(2)
	v_lshlrev_b32_e32 v7, 2, v5
	v_add_nc_u32_e32 v10, 16, v5
	s_waitcnt lgkmcnt(0)
	v_or_b32_e32 v4, 64, v7
	v_cmp_lt_u32_e32 vcc_lo, v10, v6
	v_mov_b32_e32 v6, v9
	ds_bpermute_b32 v8, v4, v9
	ds_bpermute_b32 v3, v4, v1
	;; [unrolled: 1-line block ×3, first 2 shown]
	s_and_saveexec_b32 s1, vcc_lo
	s_cbranch_execz .LBB221_219
; %bb.214:
	s_waitcnt lgkmcnt(2)
	v_and_b32_e32 v6, v9, v8
	s_mov_b32 s2, exec_lo
	v_and_b32_e32 v6, 1, v6
	v_cmpx_eq_u32_e32 1, v6
	s_xor_b32 s2, exec_lo, s2
	s_cbranch_execz .LBB221_216
; %bb.215:
	s_waitcnt lgkmcnt(0)
	v_cmp_lt_i64_e32 vcc_lo, v[3:4], v[1:2]
                                        ; implicit-def: $vgpr9
                                        ; implicit-def: $vgpr8
	v_cndmask_b32_e32 v2, v2, v4, vcc_lo
	v_cndmask_b32_e32 v1, v1, v3, vcc_lo
                                        ; implicit-def: $vgpr3_vgpr4
.LBB221_216:
	s_or_saveexec_b32 s2, s2
	v_mov_b32_e32 v6, 1
	s_xor_b32 exec_lo, exec_lo, s2
	s_cbranch_execz .LBB221_218
; %bb.217:
	v_and_b32_e32 v6, 1, v9
	v_cmp_eq_u32_e32 vcc_lo, 1, v6
	v_cndmask_b32_e64 v6, v8, 1, vcc_lo
	s_waitcnt lgkmcnt(0)
	v_cndmask_b32_e32 v2, v4, v2, vcc_lo
	v_cndmask_b32_e32 v1, v3, v1, vcc_lo
.LBB221_218:
	s_or_b32 exec_lo, exec_lo, s2
	v_and_b32_e32 v9, 0xff, v6
.LBB221_219:
	s_or_b32 exec_lo, exec_lo, s1
	s_mov_b32 s1, exec_lo
	v_cmpx_eq_u32_e32 0, v5
	s_cbranch_execz .LBB221_221
; %bb.220:
	s_waitcnt lgkmcnt(1)
	v_lshrrev_b32_e32 v3, 1, v0
	v_and_b32_e32 v3, 0x70, v3
	ds_write_b8 v3, v6 offset:512
	ds_write_b64 v3, v[1:2] offset:520
.LBB221_221:
	s_or_b32 exec_lo, exec_lo, s1
	s_mov_b32 s1, exec_lo
	s_waitcnt lgkmcnt(0)
	s_barrier
	buffer_gl0_inv
	v_cmpx_gt_u32_e32 8, v0
	s_cbranch_execz .LBB221_241
; %bb.222:
	v_lshlrev_b32_e32 v1, 4, v5
	v_and_b32_e32 v6, 7, v5
	s_add_i32 s0, s0, 31
	s_mov_b32 s2, exec_lo
	s_lshr_b32 s0, s0, 5
	ds_read_u8 v8, v1 offset:512
	ds_read_b64 v[1:2], v1 offset:520
	v_cmp_ne_u32_e32 vcc_lo, 7, v6
	v_add_nc_u32_e32 v11, 1, v6
	v_add_co_ci_u32_e64 v3, null, 0, v5, vcc_lo
	v_lshlrev_b32_e32 v4, 2, v3
	s_waitcnt lgkmcnt(1)
	v_and_b32_e32 v9, 0xff, v8
	s_waitcnt lgkmcnt(0)
	ds_bpermute_b32 v3, v4, v1
	ds_bpermute_b32 v10, v4, v9
	;; [unrolled: 1-line block ×3, first 2 shown]
	v_cmpx_gt_u32_e64 s0, v11
	s_cbranch_execz .LBB221_228
; %bb.223:
	s_waitcnt lgkmcnt(1)
	v_and_b32_e32 v9, v9, v10
	s_mov_b32 s3, exec_lo
	v_and_b32_e32 v9, 1, v9
	v_cmpx_eq_u32_e32 1, v9
	s_xor_b32 s3, exec_lo, s3
	s_cbranch_execz .LBB221_225
; %bb.224:
	s_waitcnt lgkmcnt(0)
	v_cmp_lt_i64_e32 vcc_lo, v[3:4], v[1:2]
                                        ; implicit-def: $vgpr8
                                        ; implicit-def: $vgpr10
	v_cndmask_b32_e32 v2, v2, v4, vcc_lo
	v_cndmask_b32_e32 v1, v1, v3, vcc_lo
                                        ; implicit-def: $vgpr3_vgpr4
.LBB221_225:
	s_or_saveexec_b32 s3, s3
	v_mov_b32_e32 v9, 1
	s_xor_b32 exec_lo, exec_lo, s3
	s_cbranch_execz .LBB221_227
; %bb.226:
	v_and_b32_e32 v8, 1, v8
	v_cmp_eq_u32_e32 vcc_lo, 1, v8
	v_and_b32_e32 v8, 0xff, v10
	s_waitcnt lgkmcnt(0)
	v_cndmask_b32_e32 v2, v4, v2, vcc_lo
	v_cndmask_b32_e32 v1, v3, v1, vcc_lo
	v_cndmask_b32_e64 v9, v8, 1, vcc_lo
.LBB221_227:
	s_or_b32 exec_lo, exec_lo, s3
.LBB221_228:
	s_or_b32 exec_lo, exec_lo, s2
	v_cmp_gt_u32_e32 vcc_lo, 6, v6
	v_add_nc_u32_e32 v8, 2, v6
	s_mov_b32 s2, exec_lo
	s_waitcnt lgkmcnt(2)
	v_cndmask_b32_e64 v3, 0, 2, vcc_lo
	s_waitcnt lgkmcnt(0)
	v_add_lshl_u32 v4, v3, v5, 2
	ds_bpermute_b32 v5, v4, v9
	ds_bpermute_b32 v3, v4, v1
	ds_bpermute_b32 v4, v4, v2
	v_cmpx_gt_u32_e64 s0, v8
	s_cbranch_execz .LBB221_234
; %bb.229:
	s_waitcnt lgkmcnt(2)
	v_and_b32_e32 v8, v9, v5
	s_mov_b32 s3, exec_lo
	v_and_b32_e32 v8, 1, v8
	v_cmpx_eq_u32_e32 1, v8
	s_xor_b32 s3, exec_lo, s3
	s_cbranch_execz .LBB221_231
; %bb.230:
	s_waitcnt lgkmcnt(0)
	v_cmp_lt_i64_e32 vcc_lo, v[3:4], v[1:2]
                                        ; implicit-def: $vgpr9
                                        ; implicit-def: $vgpr5
	v_cndmask_b32_e32 v2, v2, v4, vcc_lo
	v_cndmask_b32_e32 v1, v1, v3, vcc_lo
                                        ; implicit-def: $vgpr3_vgpr4
.LBB221_231:
	s_or_saveexec_b32 s3, s3
	v_mov_b32_e32 v8, 1
	s_xor_b32 exec_lo, exec_lo, s3
	s_cbranch_execz .LBB221_233
; %bb.232:
	v_and_b32_e32 v8, 1, v9
	v_and_b32_e32 v5, 0xff, v5
	v_cmp_eq_u32_e32 vcc_lo, 1, v8
	s_waitcnt lgkmcnt(0)
	v_cndmask_b32_e32 v2, v4, v2, vcc_lo
	v_cndmask_b32_e32 v1, v3, v1, vcc_lo
	v_cndmask_b32_e64 v8, v5, 1, vcc_lo
.LBB221_233:
	s_or_b32 exec_lo, exec_lo, s3
	v_mov_b32_e32 v9, v8
.LBB221_234:
	s_or_b32 exec_lo, exec_lo, s2
	s_waitcnt lgkmcnt(0)
	v_or_b32_e32 v4, 16, v7
	v_add_nc_u32_e32 v6, 4, v6
	ds_bpermute_b32 v5, v4, v9
	ds_bpermute_b32 v3, v4, v1
	;; [unrolled: 1-line block ×3, first 2 shown]
	v_cmp_gt_u32_e32 vcc_lo, s0, v6
	s_and_saveexec_b32 s0, vcc_lo
	s_cbranch_execz .LBB221_240
; %bb.235:
	s_waitcnt lgkmcnt(2)
	v_and_b32_e32 v6, v9, v5
	s_mov_b32 s2, exec_lo
	v_and_b32_e32 v6, 1, v6
	v_cmpx_eq_u32_e32 1, v6
	s_xor_b32 s2, exec_lo, s2
	s_cbranch_execz .LBB221_237
; %bb.236:
	s_waitcnt lgkmcnt(0)
	v_cmp_lt_i64_e32 vcc_lo, v[3:4], v[1:2]
                                        ; implicit-def: $vgpr9
                                        ; implicit-def: $vgpr5
	v_cndmask_b32_e32 v2, v2, v4, vcc_lo
	v_cndmask_b32_e32 v1, v1, v3, vcc_lo
                                        ; implicit-def: $vgpr3_vgpr4
.LBB221_237:
	s_or_saveexec_b32 s2, s2
	v_mov_b32_e32 v6, 1
	s_xor_b32 exec_lo, exec_lo, s2
	s_cbranch_execz .LBB221_239
; %bb.238:
	v_and_b32_e32 v6, 1, v9
	v_cmp_eq_u32_e32 vcc_lo, 1, v6
	s_waitcnt lgkmcnt(0)
	v_cndmask_b32_e32 v2, v4, v2, vcc_lo
	v_cndmask_b32_e32 v1, v3, v1, vcc_lo
	v_cndmask_b32_e64 v6, v5, 1, vcc_lo
.LBB221_239:
	s_or_b32 exec_lo, exec_lo, s2
	v_mov_b32_e32 v9, v6
.LBB221_240:
	s_or_b32 exec_lo, exec_lo, s0
.LBB221_241:
	s_or_b32 exec_lo, exec_lo, s1
.LBB221_242:
                                        ; implicit-def: $vgpr3_vgpr4
                                        ; implicit-def: $vgpr5
	s_mov_b32 s0, exec_lo
	v_cmpx_eq_u32_e32 0, v0
	s_xor_b32 s2, exec_lo, s0
	s_cbranch_execz .LBB221_246
; %bb.243:
	s_waitcnt lgkmcnt(0)
	v_mov_b32_e32 v3, s20
	v_mov_b32_e32 v4, s21
	;; [unrolled: 1-line block ×3, first 2 shown]
	s_cmp_eq_u64 s[14:15], 0
	s_cbranch_scc1 .LBB221_245
; %bb.244:
	v_and_b32_e32 v3, 1, v9
	v_cmp_gt_i64_e32 vcc_lo, s[20:21], v[1:2]
	s_bitcmp1_b32 s24, 0
	s_cselect_b32 s1, -1, 0
	v_cmp_eq_u32_e64 s0, 1, v3
	v_cndmask_b32_e64 v5, v9, 1, s1
	s_and_b32 vcc_lo, s0, vcc_lo
	v_cndmask_b32_e32 v3, s20, v1, vcc_lo
	v_cndmask_b32_e32 v4, s21, v2, vcc_lo
	v_cndmask_b32_e64 v3, v1, v3, s1
	v_cndmask_b32_e64 v4, v2, v4, s1
.LBB221_245:
	s_or_b32 s22, s22, exec_lo
.LBB221_246:
	s_or_b32 exec_lo, exec_lo, s2
	v_mov_b32_e32 v1, s6
	v_mov_b32_e32 v2, s7
	s_branch .LBB221_356
.LBB221_247:
	s_cmp_gt_i32 s25, 1
	s_cbranch_scc0 .LBB221_267
; %bb.248:
	s_cmp_eq_u32 s25, 2
	s_cbranch_scc0 .LBB221_268
; %bb.249:
	s_mov_b32 s7, 0
	s_lshl_b32 s10, s6, 9
	s_mov_b32 s11, s7
	s_lshr_b64 s[26:27], s[14:15], 9
	s_lshl_b64 s[0:1], s[10:11], 2
	s_add_u32 s2, s16, s0
	s_addc_u32 s3, s17, s1
	s_add_u32 s8, s18, s0
	s_addc_u32 s9, s19, s1
	;; [unrolled: 2-line block ×3, first 2 shown]
	s_cmp_lg_u64 s[26:27], s[6:7]
	s_cbranch_scc0 .LBB221_269
; %bb.250:
	v_lshlrev_b32_e32 v1, 2, v0
	s_waitcnt lgkmcnt(1)
	v_add_co_u32 v5, s0, s11, v0
	s_waitcnt lgkmcnt(0)
	v_add_co_ci_u32_e64 v6, null, s23, 0, s0
	s_clause 0x3
	global_load_dword v2, v1, s[2:3]
	global_load_dword v3, v1, s[8:9]
	global_load_dword v4, v1, s[8:9] offset:1024
	global_load_dword v1, v1, s[2:3] offset:1024
	v_add_co_u32 v7, vcc_lo, 0x100, v5
	v_add_co_ci_u32_e64 v8, null, 0, v6, vcc_lo
	s_waitcnt vmcnt(2)
	v_cmp_ne_u32_e32 vcc_lo, v2, v3
	s_waitcnt vmcnt(0)
	v_cmp_ne_u32_e64 s0, v1, v4
	v_cndmask_b32_e32 v2, v8, v6, vcc_lo
	v_cndmask_b32_e32 v1, v7, v5, vcc_lo
	s_or_b32 s0, vcc_lo, s0
	v_mbcnt_lo_u32_b32 v8, -1, 0
	v_cndmask_b32_e64 v5, 0, 1, s0
	v_mov_b32_dpp v4, v2 quad_perm:[1,0,3,2] row_mask:0xf bank_mask:0xf
	v_mov_b32_dpp v3, v1 quad_perm:[1,0,3,2] row_mask:0xf bank_mask:0xf
	v_mov_b32_dpp v6, v5 quad_perm:[1,0,3,2] row_mask:0xf bank_mask:0xf
	v_cmp_lt_i64_e32 vcc_lo, v[1:2], v[3:4]
	v_and_b32_e32 v6, 1, v6
	s_and_b32 vcc_lo, s0, vcc_lo
	v_cndmask_b32_e32 v3, v3, v1, vcc_lo
	v_cndmask_b32_e32 v4, v4, v2, vcc_lo
	v_cmp_eq_u32_e32 vcc_lo, 1, v6
	v_cndmask_b32_e32 v2, v2, v4, vcc_lo
	v_cndmask_b32_e32 v1, v1, v3, vcc_lo
	v_cndmask_b32_e64 v5, v5, 1, vcc_lo
	v_mov_b32_dpp v4, v2 quad_perm:[2,3,0,1] row_mask:0xf bank_mask:0xf
	v_mov_b32_dpp v3, v1 quad_perm:[2,3,0,1] row_mask:0xf bank_mask:0xf
	v_and_b32_e32 v7, 1, v5
	v_mov_b32_dpp v6, v5 quad_perm:[2,3,0,1] row_mask:0xf bank_mask:0xf
	v_cmp_lt_i64_e32 vcc_lo, v[1:2], v[3:4]
	v_cmp_eq_u32_e64 s0, 1, v7
	v_and_b32_e32 v6, 1, v6
	s_and_b32 vcc_lo, s0, vcc_lo
	v_cmp_eq_u32_e64 s1, 1, v6
	v_cndmask_b32_e32 v3, v3, v1, vcc_lo
	v_cndmask_b32_e32 v4, v4, v2, vcc_lo
	v_cndmask_b32_e64 v5, v5, 1, s1
	v_cndmask_b32_e64 v1, v1, v3, s1
	;; [unrolled: 1-line block ×3, first 2 shown]
	v_and_b32_e32 v7, 1, v5
	v_mov_b32_dpp v3, v1 row_ror:4 row_mask:0xf bank_mask:0xf
	v_mov_b32_dpp v4, v2 row_ror:4 row_mask:0xf bank_mask:0xf
	;; [unrolled: 1-line block ×3, first 2 shown]
	v_cmp_eq_u32_e64 s0, 1, v7
	v_cmp_lt_i64_e32 vcc_lo, v[1:2], v[3:4]
	v_and_b32_e32 v6, 1, v6
	s_and_b32 vcc_lo, s0, vcc_lo
	v_cmp_eq_u32_e64 s1, 1, v6
	v_cndmask_b32_e32 v3, v3, v1, vcc_lo
	v_cndmask_b32_e32 v4, v4, v2, vcc_lo
	v_cndmask_b32_e64 v5, v5, 1, s1
	v_cndmask_b32_e64 v1, v1, v3, s1
	;; [unrolled: 1-line block ×3, first 2 shown]
	v_and_b32_e32 v7, 1, v5
	v_mov_b32_dpp v3, v1 row_ror:8 row_mask:0xf bank_mask:0xf
	v_mov_b32_dpp v4, v2 row_ror:8 row_mask:0xf bank_mask:0xf
	;; [unrolled: 1-line block ×3, first 2 shown]
	v_cmp_eq_u32_e64 s0, 1, v7
	v_cmp_lt_i64_e32 vcc_lo, v[1:2], v[3:4]
	v_and_b32_e32 v6, 1, v6
	s_and_b32 vcc_lo, s0, vcc_lo
	v_cmp_eq_u32_e64 s1, 1, v6
	v_cndmask_b32_e32 v3, v3, v1, vcc_lo
	v_cndmask_b32_e32 v4, v4, v2, vcc_lo
	v_cndmask_b32_e64 v5, v5, 1, s1
	v_cndmask_b32_e64 v1, v1, v3, s1
	v_cndmask_b32_e64 v2, v2, v4, s1
	ds_swizzle_b32 v6, v5 offset:swizzle(BROADCAST,32,15)
	ds_swizzle_b32 v3, v1 offset:swizzle(BROADCAST,32,15)
	;; [unrolled: 1-line block ×3, first 2 shown]
	v_and_b32_e32 v7, 1, v5
	v_cmp_eq_u32_e64 s0, 1, v7
	s_waitcnt lgkmcnt(2)
	v_and_b32_e32 v6, 1, v6
	s_waitcnt lgkmcnt(0)
	v_cmp_lt_i64_e32 vcc_lo, v[1:2], v[3:4]
	v_cmp_eq_u32_e64 s1, 1, v6
	v_mov_b32_e32 v6, 0
	s_and_b32 vcc_lo, s0, vcc_lo
	s_mov_b32 s0, exec_lo
	v_cndmask_b32_e32 v3, v3, v1, vcc_lo
	v_cndmask_b32_e32 v4, v4, v2, vcc_lo
	v_cndmask_b32_e64 v5, v5, 1, s1
	v_cndmask_b32_e64 v1, v1, v3, s1
	;; [unrolled: 1-line block ×3, first 2 shown]
	ds_bpermute_b32 v7, v6, v5 offset:124
	ds_bpermute_b32 v1, v6, v1 offset:124
	;; [unrolled: 1-line block ×3, first 2 shown]
	v_cmpx_eq_u32_e32 0, v8
	s_cbranch_execz .LBB221_252
; %bb.251:
	v_lshrrev_b32_e32 v3, 1, v0
	v_and_b32_e32 v3, 0x70, v3
	s_waitcnt lgkmcnt(2)
	ds_write_b8 v3, v7 offset:128
	s_waitcnt lgkmcnt(1)
	ds_write_b64 v3, v[1:2] offset:136
.LBB221_252:
	s_or_b32 exec_lo, exec_lo, s0
	s_mov_b32 s0, exec_lo
	s_waitcnt lgkmcnt(0)
	s_barrier
	buffer_gl0_inv
	v_cmpx_gt_u32_e32 32, v0
	s_cbranch_execz .LBB221_266
; %bb.253:
	v_and_b32_e32 v7, 7, v8
	v_lshlrev_b32_e32 v1, 4, v7
	v_cmp_ne_u32_e32 vcc_lo, 7, v7
	ds_read_u8 v10, v1 offset:128
	ds_read_b64 v[3:4], v1 offset:136
	v_add_co_ci_u32_e64 v2, null, 0, v8, vcc_lo
	v_lshlrev_b32_e32 v2, 2, v2
	s_waitcnt lgkmcnt(1)
	v_and_b32_e32 v1, 0xff, v10
	s_waitcnt lgkmcnt(0)
	ds_bpermute_b32 v5, v2, v3
	ds_bpermute_b32 v6, v2, v4
	ds_bpermute_b32 v11, v2, v1
	s_waitcnt lgkmcnt(0)
	v_and_b32_e32 v1, v10, v11
	v_and_b32_e32 v1, 1, v1
	v_cmp_eq_u32_e32 vcc_lo, 1, v1
                                        ; implicit-def: $vgpr1_vgpr2
	s_and_saveexec_b32 s1, vcc_lo
	s_xor_b32 s1, exec_lo, s1
; %bb.254:
	v_cmp_lt_i64_e32 vcc_lo, v[5:6], v[3:4]
                                        ; implicit-def: $vgpr10
                                        ; implicit-def: $vgpr11
	v_cndmask_b32_e32 v2, v4, v6, vcc_lo
	v_cndmask_b32_e32 v1, v3, v5, vcc_lo
                                        ; implicit-def: $vgpr5_vgpr6
                                        ; implicit-def: $vgpr3_vgpr4
; %bb.255:
	s_or_saveexec_b32 s1, s1
	v_mov_b32_e32 v9, 1
	s_xor_b32 exec_lo, exec_lo, s1
; %bb.256:
	v_and_b32_e32 v1, 1, v10
	v_and_b32_e32 v9, 0xff, v11
	v_cmp_eq_u32_e32 vcc_lo, 1, v1
	v_cndmask_b32_e32 v2, v6, v4, vcc_lo
	v_cndmask_b32_e32 v1, v5, v3, vcc_lo
	v_cndmask_b32_e64 v9, v9, 1, vcc_lo
; %bb.257:
	s_or_b32 exec_lo, exec_lo, s1
	v_cmp_gt_u32_e32 vcc_lo, 6, v7
	v_cndmask_b32_e64 v3, 0, 2, vcc_lo
	v_add_lshl_u32 v3, v3, v8, 2
	ds_bpermute_b32 v7, v3, v9
	ds_bpermute_b32 v5, v3, v1
	;; [unrolled: 1-line block ×3, first 2 shown]
	s_waitcnt lgkmcnt(2)
	v_and_b32_e32 v3, v9, v7
	v_and_b32_e32 v3, 1, v3
	v_cmp_eq_u32_e32 vcc_lo, 1, v3
                                        ; implicit-def: $vgpr3_vgpr4
	s_and_saveexec_b32 s1, vcc_lo
	s_xor_b32 s1, exec_lo, s1
	s_cbranch_execz .LBB221_259
; %bb.258:
	s_waitcnt lgkmcnt(0)
	v_cmp_lt_i64_e32 vcc_lo, v[5:6], v[1:2]
                                        ; implicit-def: $vgpr9
                                        ; implicit-def: $vgpr7
	v_cndmask_b32_e32 v4, v2, v6, vcc_lo
	v_cndmask_b32_e32 v3, v1, v5, vcc_lo
                                        ; implicit-def: $vgpr5_vgpr6
                                        ; implicit-def: $vgpr1_vgpr2
.LBB221_259:
	s_or_saveexec_b32 s1, s1
	v_lshlrev_b32_e32 v10, 2, v8
	v_mov_b32_e32 v8, 1
	s_xor_b32 exec_lo, exec_lo, s1
	s_cbranch_execz .LBB221_261
; %bb.260:
	v_and_b32_e32 v3, 1, v9
	v_and_b32_e32 v7, 0xff, v7
	v_cmp_eq_u32_e32 vcc_lo, 1, v3
	s_waitcnt lgkmcnt(0)
	v_cndmask_b32_e32 v4, v6, v2, vcc_lo
	v_cndmask_b32_e32 v3, v5, v1, vcc_lo
	v_cndmask_b32_e64 v8, v7, 1, vcc_lo
.LBB221_261:
	s_or_b32 exec_lo, exec_lo, s1
	v_or_b32_e32 v1, 16, v10
	ds_bpermute_b32 v9, v1, v8
	s_waitcnt lgkmcnt(2)
	ds_bpermute_b32 v5, v1, v3
	s_waitcnt lgkmcnt(2)
	;; [unrolled: 2-line block ×3, first 2 shown]
	v_and_b32_e32 v1, v8, v9
	v_and_b32_e32 v1, 1, v1
	v_cmp_eq_u32_e32 vcc_lo, 1, v1
                                        ; implicit-def: $vgpr1_vgpr2
	s_and_saveexec_b32 s1, vcc_lo
	s_xor_b32 s1, exec_lo, s1
	s_cbranch_execz .LBB221_263
; %bb.262:
	s_waitcnt lgkmcnt(0)
	v_cmp_lt_i64_e32 vcc_lo, v[5:6], v[3:4]
                                        ; implicit-def: $vgpr8
                                        ; implicit-def: $vgpr9
	v_cndmask_b32_e32 v2, v4, v6, vcc_lo
	v_cndmask_b32_e32 v1, v3, v5, vcc_lo
                                        ; implicit-def: $vgpr5_vgpr6
                                        ; implicit-def: $vgpr3_vgpr4
.LBB221_263:
	s_or_saveexec_b32 s1, s1
	v_mov_b32_e32 v7, 1
	s_xor_b32 exec_lo, exec_lo, s1
	s_cbranch_execz .LBB221_265
; %bb.264:
	v_and_b32_e32 v1, 1, v8
	v_cmp_eq_u32_e32 vcc_lo, 1, v1
	s_waitcnt lgkmcnt(0)
	v_cndmask_b32_e32 v2, v6, v4, vcc_lo
	v_cndmask_b32_e32 v1, v5, v3, vcc_lo
	v_cndmask_b32_e64 v7, v9, 1, vcc_lo
.LBB221_265:
	s_or_b32 exec_lo, exec_lo, s1
.LBB221_266:
	s_or_b32 exec_lo, exec_lo, s0
	s_branch .LBB221_327
.LBB221_267:
                                        ; implicit-def: $vgpr3_vgpr4
                                        ; implicit-def: $vgpr5
                                        ; implicit-def: $vgpr1_vgpr2
	s_cbranch_execnz .LBB221_332
	s_branch .LBB221_356
.LBB221_268:
                                        ; implicit-def: $vgpr3_vgpr4
                                        ; implicit-def: $vgpr5
                                        ; implicit-def: $vgpr1_vgpr2
	s_branch .LBB221_356
.LBB221_269:
                                        ; implicit-def: $vgpr1_vgpr2
                                        ; implicit-def: $vgpr7
	s_cbranch_execz .LBB221_327
; %bb.270:
	s_waitcnt lgkmcnt(0)
	v_mov_b32_e32 v3, 0
	v_mov_b32_e32 v1, 0
	;; [unrolled: 1-line block ×6, first 2 shown]
	s_sub_i32 s10, s14, s10
	s_mov_b32 s0, exec_lo
	v_cmpx_gt_u32_e64 s10, v0
	s_cbranch_execz .LBB221_272
; %bb.271:
	v_lshlrev_b32_e32 v1, 2, v0
	s_clause 0x1
	global_load_dword v6, v1, s[2:3]
	global_load_dword v7, v1, s[8:9]
	v_add_co_u32 v1, s1, s11, v0
	v_add_co_ci_u32_e64 v2, null, s23, 0, s1
	s_waitcnt vmcnt(0)
	v_cmp_ne_u32_e32 vcc_lo, v6, v7
	v_cndmask_b32_e64 v6, 0, 1, vcc_lo
.LBB221_272:
	s_or_b32 exec_lo, exec_lo, s0
	v_or_b32_e32 v7, 0x100, v0
	v_cmp_gt_u32_e32 vcc_lo, s10, v7
	s_and_saveexec_b32 s1, vcc_lo
	s_cbranch_execz .LBB221_274
; %bb.273:
	v_lshlrev_b32_e32 v3, 2, v0
	s_clause 0x1
	global_load_dword v5, v3, s[2:3] offset:1024
	global_load_dword v8, v3, s[8:9] offset:1024
	v_add_co_u32 v3, s0, s11, v7
	v_add_co_ci_u32_e64 v4, null, s23, 0, s0
	s_waitcnt vmcnt(0)
	v_cmp_ne_u32_e64 s0, v5, v8
	v_cndmask_b32_e64 v5, 0, 1, s0
.LBB221_274:
	s_or_b32 exec_lo, exec_lo, s1
	v_and_b32_e32 v7, 1, v5
	v_cmp_lt_i64_e64 s0, v[3:4], v[1:2]
	v_and_b32_e32 v8, 0xffff, v5
	v_mbcnt_lo_u32_b32 v5, -1, 0
	v_cmp_eq_u32_e64 s1, 1, v7
	v_and_b32_e32 v7, 0xffff, v6
	v_and_b32_e32 v6, 1, v6
	s_and_b32 s0, s1, s0
	v_cmp_ne_u32_e64 s1, 31, v5
	v_cndmask_b32_e64 v9, v2, v4, s0
	v_cndmask_b32_e64 v10, v1, v3, s0
	v_cmp_eq_u32_e64 s0, 1, v6
	v_cndmask_b32_e64 v6, v8, 1, s0
	v_add_co_ci_u32_e64 v8, null, 0, v5, s1
	v_cndmask_b32_e64 v3, v3, v10, s0
	v_cndmask_b32_e64 v4, v4, v9, s0
	v_cndmask_b32_e32 v7, v7, v6, vcc_lo
	v_lshlrev_b32_e32 v6, 2, v8
	s_min_u32 s0, s10, 0x100
	v_cndmask_b32_e32 v1, v1, v3, vcc_lo
	v_cndmask_b32_e32 v2, v2, v4, vcc_lo
	v_add_nc_u32_e32 v9, 1, v5
	ds_bpermute_b32 v8, v6, v7
	s_mov_b32 s1, exec_lo
	ds_bpermute_b32 v3, v6, v1
	ds_bpermute_b32 v4, v6, v2
	v_and_b32_e32 v6, 0xe0, v0
	v_sub_nc_u32_e64 v6, s0, v6 clamp
	v_cmpx_lt_u32_e64 v9, v6
	s_cbranch_execz .LBB221_280
; %bb.275:
	s_waitcnt lgkmcnt(2)
	v_and_b32_e32 v9, v7, v8
	s_mov_b32 s2, exec_lo
	v_cmpx_ne_u32_e32 0, v9
	s_xor_b32 s2, exec_lo, s2
	s_cbranch_execz .LBB221_277
; %bb.276:
	s_waitcnt lgkmcnt(0)
	v_cmp_lt_i64_e32 vcc_lo, v[3:4], v[1:2]
                                        ; implicit-def: $vgpr7
                                        ; implicit-def: $vgpr8
	v_cndmask_b32_e32 v2, v2, v4, vcc_lo
	v_cndmask_b32_e32 v1, v1, v3, vcc_lo
                                        ; implicit-def: $vgpr3_vgpr4
.LBB221_277:
	s_or_saveexec_b32 s2, s2
	v_mov_b32_e32 v9, 1
	s_xor_b32 exec_lo, exec_lo, s2
	s_cbranch_execz .LBB221_279
; %bb.278:
	v_and_b32_e32 v7, 1, v7
	v_cmp_eq_u32_e32 vcc_lo, 1, v7
	v_and_b32_e32 v7, 0xff, v8
	s_waitcnt lgkmcnt(0)
	v_cndmask_b32_e32 v2, v4, v2, vcc_lo
	v_cndmask_b32_e32 v1, v3, v1, vcc_lo
	v_cndmask_b32_e64 v9, v7, 1, vcc_lo
.LBB221_279:
	s_or_b32 exec_lo, exec_lo, s2
	v_mov_b32_e32 v7, v9
.LBB221_280:
	s_or_b32 exec_lo, exec_lo, s1
	v_cmp_gt_u32_e32 vcc_lo, 30, v5
	v_add_nc_u32_e32 v9, 2, v5
	s_mov_b32 s1, exec_lo
	s_waitcnt lgkmcnt(1)
	v_cndmask_b32_e64 v3, 0, 2, vcc_lo
	s_waitcnt lgkmcnt(0)
	v_add_lshl_u32 v4, v3, v5, 2
	ds_bpermute_b32 v8, v4, v7
	ds_bpermute_b32 v3, v4, v1
	ds_bpermute_b32 v4, v4, v2
	v_cmpx_lt_u32_e64 v9, v6
	s_cbranch_execz .LBB221_286
; %bb.281:
	s_waitcnt lgkmcnt(2)
	v_and_b32_e32 v9, v7, v8
	s_mov_b32 s2, exec_lo
	v_and_b32_e32 v9, 1, v9
	v_cmpx_eq_u32_e32 1, v9
	s_xor_b32 s2, exec_lo, s2
	s_cbranch_execz .LBB221_283
; %bb.282:
	s_waitcnt lgkmcnt(0)
	v_cmp_lt_i64_e32 vcc_lo, v[3:4], v[1:2]
                                        ; implicit-def: $vgpr7
                                        ; implicit-def: $vgpr8
	v_cndmask_b32_e32 v2, v2, v4, vcc_lo
	v_cndmask_b32_e32 v1, v1, v3, vcc_lo
                                        ; implicit-def: $vgpr3_vgpr4
.LBB221_283:
	s_or_saveexec_b32 s2, s2
	v_mov_b32_e32 v9, 1
	s_xor_b32 exec_lo, exec_lo, s2
	s_cbranch_execz .LBB221_285
; %bb.284:
	v_and_b32_e32 v7, 1, v7
	v_cmp_eq_u32_e32 vcc_lo, 1, v7
	v_and_b32_e32 v7, 0xff, v8
	s_waitcnt lgkmcnt(0)
	v_cndmask_b32_e32 v2, v4, v2, vcc_lo
	v_cndmask_b32_e32 v1, v3, v1, vcc_lo
	v_cndmask_b32_e64 v9, v7, 1, vcc_lo
.LBB221_285:
	s_or_b32 exec_lo, exec_lo, s2
	v_mov_b32_e32 v7, v9
.LBB221_286:
	s_or_b32 exec_lo, exec_lo, s1
	v_cmp_gt_u32_e32 vcc_lo, 28, v5
	v_add_nc_u32_e32 v9, 4, v5
	s_mov_b32 s1, exec_lo
	s_waitcnt lgkmcnt(1)
	v_cndmask_b32_e64 v3, 0, 4, vcc_lo
	s_waitcnt lgkmcnt(0)
	v_add_lshl_u32 v4, v3, v5, 2
	ds_bpermute_b32 v8, v4, v7
	ds_bpermute_b32 v3, v4, v1
	ds_bpermute_b32 v4, v4, v2
	v_cmpx_lt_u32_e64 v9, v6
	s_cbranch_execz .LBB221_292
; %bb.287:
	s_waitcnt lgkmcnt(2)
	v_and_b32_e32 v9, v7, v8
	s_mov_b32 s2, exec_lo
	v_and_b32_e32 v9, 1, v9
	v_cmpx_eq_u32_e32 1, v9
	s_xor_b32 s2, exec_lo, s2
	s_cbranch_execz .LBB221_289
; %bb.288:
	s_waitcnt lgkmcnt(0)
	v_cmp_lt_i64_e32 vcc_lo, v[3:4], v[1:2]
                                        ; implicit-def: $vgpr7
                                        ; implicit-def: $vgpr8
	v_cndmask_b32_e32 v2, v2, v4, vcc_lo
	v_cndmask_b32_e32 v1, v1, v3, vcc_lo
                                        ; implicit-def: $vgpr3_vgpr4
.LBB221_289:
	s_or_saveexec_b32 s2, s2
	v_mov_b32_e32 v9, 1
	s_xor_b32 exec_lo, exec_lo, s2
	s_cbranch_execz .LBB221_291
; %bb.290:
	v_and_b32_e32 v7, 1, v7
	v_cmp_eq_u32_e32 vcc_lo, 1, v7
	v_and_b32_e32 v7, 0xff, v8
	s_waitcnt lgkmcnt(0)
	v_cndmask_b32_e32 v2, v4, v2, vcc_lo
	v_cndmask_b32_e32 v1, v3, v1, vcc_lo
	v_cndmask_b32_e64 v9, v7, 1, vcc_lo
.LBB221_291:
	s_or_b32 exec_lo, exec_lo, s2
	v_mov_b32_e32 v7, v9
.LBB221_292:
	;; [unrolled: 46-line block ×3, first 2 shown]
	s_or_b32 exec_lo, exec_lo, s1
	s_waitcnt lgkmcnt(2)
	v_lshlrev_b32_e32 v8, 2, v5
	v_add_nc_u32_e32 v10, 16, v5
	s_waitcnt lgkmcnt(0)
	v_or_b32_e32 v4, 64, v8
	v_cmp_lt_u32_e32 vcc_lo, v10, v6
	v_mov_b32_e32 v6, v7
	ds_bpermute_b32 v9, v4, v7
	ds_bpermute_b32 v3, v4, v1
	ds_bpermute_b32 v4, v4, v2
	s_and_saveexec_b32 s1, vcc_lo
	s_cbranch_execz .LBB221_304
; %bb.299:
	s_waitcnt lgkmcnt(2)
	v_and_b32_e32 v6, v7, v9
	s_mov_b32 s2, exec_lo
	v_and_b32_e32 v6, 1, v6
	v_cmpx_eq_u32_e32 1, v6
	s_xor_b32 s2, exec_lo, s2
	s_cbranch_execz .LBB221_301
; %bb.300:
	s_waitcnt lgkmcnt(0)
	v_cmp_lt_i64_e32 vcc_lo, v[3:4], v[1:2]
                                        ; implicit-def: $vgpr7
                                        ; implicit-def: $vgpr9
	v_cndmask_b32_e32 v2, v2, v4, vcc_lo
	v_cndmask_b32_e32 v1, v1, v3, vcc_lo
                                        ; implicit-def: $vgpr3_vgpr4
.LBB221_301:
	s_or_saveexec_b32 s2, s2
	v_mov_b32_e32 v6, 1
	s_xor_b32 exec_lo, exec_lo, s2
	s_cbranch_execz .LBB221_303
; %bb.302:
	v_and_b32_e32 v6, 1, v7
	v_cmp_eq_u32_e32 vcc_lo, 1, v6
	v_cndmask_b32_e64 v6, v9, 1, vcc_lo
	s_waitcnt lgkmcnt(0)
	v_cndmask_b32_e32 v2, v4, v2, vcc_lo
	v_cndmask_b32_e32 v1, v3, v1, vcc_lo
.LBB221_303:
	s_or_b32 exec_lo, exec_lo, s2
	v_and_b32_e32 v7, 0xff, v6
.LBB221_304:
	s_or_b32 exec_lo, exec_lo, s1
	s_mov_b32 s1, exec_lo
	v_cmpx_eq_u32_e32 0, v5
	s_cbranch_execz .LBB221_306
; %bb.305:
	s_waitcnt lgkmcnt(1)
	v_lshrrev_b32_e32 v3, 1, v0
	v_and_b32_e32 v3, 0x70, v3
	ds_write_b8 v3, v6 offset:512
	ds_write_b64 v3, v[1:2] offset:520
.LBB221_306:
	s_or_b32 exec_lo, exec_lo, s1
	s_mov_b32 s1, exec_lo
	s_waitcnt lgkmcnt(0)
	s_barrier
	buffer_gl0_inv
	v_cmpx_gt_u32_e32 8, v0
	s_cbranch_execz .LBB221_326
; %bb.307:
	v_lshlrev_b32_e32 v1, 4, v5
	v_and_b32_e32 v6, 7, v5
	s_add_i32 s0, s0, 31
	s_mov_b32 s2, exec_lo
	s_lshr_b32 s0, s0, 5
	ds_read_u8 v9, v1 offset:512
	ds_read_b64 v[1:2], v1 offset:520
	v_cmp_ne_u32_e32 vcc_lo, 7, v6
	v_add_nc_u32_e32 v11, 1, v6
	v_add_co_ci_u32_e64 v3, null, 0, v5, vcc_lo
	v_lshlrev_b32_e32 v4, 2, v3
	s_waitcnt lgkmcnt(1)
	v_and_b32_e32 v7, 0xff, v9
	s_waitcnt lgkmcnt(0)
	ds_bpermute_b32 v3, v4, v1
	ds_bpermute_b32 v10, v4, v7
	;; [unrolled: 1-line block ×3, first 2 shown]
	v_cmpx_gt_u32_e64 s0, v11
	s_cbranch_execz .LBB221_313
; %bb.308:
	s_waitcnt lgkmcnt(1)
	v_and_b32_e32 v7, v7, v10
	s_mov_b32 s3, exec_lo
	v_and_b32_e32 v7, 1, v7
	v_cmpx_eq_u32_e32 1, v7
	s_xor_b32 s3, exec_lo, s3
	s_cbranch_execz .LBB221_310
; %bb.309:
	s_waitcnt lgkmcnt(0)
	v_cmp_lt_i64_e32 vcc_lo, v[3:4], v[1:2]
                                        ; implicit-def: $vgpr9
                                        ; implicit-def: $vgpr10
	v_cndmask_b32_e32 v2, v2, v4, vcc_lo
	v_cndmask_b32_e32 v1, v1, v3, vcc_lo
                                        ; implicit-def: $vgpr3_vgpr4
.LBB221_310:
	s_or_saveexec_b32 s3, s3
	v_mov_b32_e32 v7, 1
	s_xor_b32 exec_lo, exec_lo, s3
	s_cbranch_execz .LBB221_312
; %bb.311:
	v_and_b32_e32 v7, 1, v9
	v_cmp_eq_u32_e32 vcc_lo, 1, v7
	v_and_b32_e32 v7, 0xff, v10
	s_waitcnt lgkmcnt(0)
	v_cndmask_b32_e32 v2, v4, v2, vcc_lo
	v_cndmask_b32_e32 v1, v3, v1, vcc_lo
	v_cndmask_b32_e64 v7, v7, 1, vcc_lo
.LBB221_312:
	s_or_b32 exec_lo, exec_lo, s3
.LBB221_313:
	s_or_b32 exec_lo, exec_lo, s2
	v_cmp_gt_u32_e32 vcc_lo, 6, v6
	v_add_nc_u32_e32 v9, 2, v6
	s_mov_b32 s2, exec_lo
	s_waitcnt lgkmcnt(2)
	v_cndmask_b32_e64 v3, 0, 2, vcc_lo
	s_waitcnt lgkmcnt(0)
	v_add_lshl_u32 v4, v3, v5, 2
	ds_bpermute_b32 v5, v4, v7
	ds_bpermute_b32 v3, v4, v1
	;; [unrolled: 1-line block ×3, first 2 shown]
	v_cmpx_gt_u32_e64 s0, v9
	s_cbranch_execz .LBB221_319
; %bb.314:
	s_waitcnt lgkmcnt(2)
	v_and_b32_e32 v9, v7, v5
	s_mov_b32 s3, exec_lo
	v_and_b32_e32 v9, 1, v9
	v_cmpx_eq_u32_e32 1, v9
	s_xor_b32 s3, exec_lo, s3
	s_cbranch_execz .LBB221_316
; %bb.315:
	s_waitcnt lgkmcnt(0)
	v_cmp_lt_i64_e32 vcc_lo, v[3:4], v[1:2]
                                        ; implicit-def: $vgpr7
                                        ; implicit-def: $vgpr5
	v_cndmask_b32_e32 v2, v2, v4, vcc_lo
	v_cndmask_b32_e32 v1, v1, v3, vcc_lo
                                        ; implicit-def: $vgpr3_vgpr4
.LBB221_316:
	s_or_saveexec_b32 s3, s3
	v_mov_b32_e32 v9, 1
	s_xor_b32 exec_lo, exec_lo, s3
	s_cbranch_execz .LBB221_318
; %bb.317:
	v_and_b32_e32 v7, 1, v7
	v_and_b32_e32 v5, 0xff, v5
	v_cmp_eq_u32_e32 vcc_lo, 1, v7
	s_waitcnt lgkmcnt(0)
	v_cndmask_b32_e32 v2, v4, v2, vcc_lo
	v_cndmask_b32_e32 v1, v3, v1, vcc_lo
	v_cndmask_b32_e64 v9, v5, 1, vcc_lo
.LBB221_318:
	s_or_b32 exec_lo, exec_lo, s3
	v_mov_b32_e32 v7, v9
.LBB221_319:
	s_or_b32 exec_lo, exec_lo, s2
	s_waitcnt lgkmcnt(0)
	v_or_b32_e32 v4, 16, v8
	v_add_nc_u32_e32 v6, 4, v6
	ds_bpermute_b32 v5, v4, v7
	ds_bpermute_b32 v3, v4, v1
	;; [unrolled: 1-line block ×3, first 2 shown]
	v_cmp_gt_u32_e32 vcc_lo, s0, v6
	s_and_saveexec_b32 s0, vcc_lo
	s_cbranch_execz .LBB221_325
; %bb.320:
	s_waitcnt lgkmcnt(2)
	v_and_b32_e32 v6, v7, v5
	s_mov_b32 s2, exec_lo
	v_and_b32_e32 v6, 1, v6
	v_cmpx_eq_u32_e32 1, v6
	s_xor_b32 s2, exec_lo, s2
	s_cbranch_execz .LBB221_322
; %bb.321:
	s_waitcnt lgkmcnt(0)
	v_cmp_lt_i64_e32 vcc_lo, v[3:4], v[1:2]
                                        ; implicit-def: $vgpr7
                                        ; implicit-def: $vgpr5
	v_cndmask_b32_e32 v2, v2, v4, vcc_lo
	v_cndmask_b32_e32 v1, v1, v3, vcc_lo
                                        ; implicit-def: $vgpr3_vgpr4
.LBB221_322:
	s_or_saveexec_b32 s2, s2
	v_mov_b32_e32 v6, 1
	s_xor_b32 exec_lo, exec_lo, s2
	s_cbranch_execz .LBB221_324
; %bb.323:
	v_and_b32_e32 v6, 1, v7
	v_cmp_eq_u32_e32 vcc_lo, 1, v6
	s_waitcnt lgkmcnt(0)
	v_cndmask_b32_e32 v2, v4, v2, vcc_lo
	v_cndmask_b32_e32 v1, v3, v1, vcc_lo
	v_cndmask_b32_e64 v6, v5, 1, vcc_lo
.LBB221_324:
	s_or_b32 exec_lo, exec_lo, s2
	v_mov_b32_e32 v7, v6
.LBB221_325:
	s_or_b32 exec_lo, exec_lo, s0
.LBB221_326:
	s_or_b32 exec_lo, exec_lo, s1
.LBB221_327:
                                        ; implicit-def: $vgpr3_vgpr4
                                        ; implicit-def: $vgpr5
	s_mov_b32 s0, exec_lo
	v_cmpx_eq_u32_e32 0, v0
	s_xor_b32 s2, exec_lo, s0
	s_cbranch_execz .LBB221_331
; %bb.328:
	s_waitcnt lgkmcnt(0)
	v_mov_b32_e32 v3, s20
	v_mov_b32_e32 v4, s21
	;; [unrolled: 1-line block ×3, first 2 shown]
	s_cmp_eq_u64 s[14:15], 0
	s_cbranch_scc1 .LBB221_330
; %bb.329:
	v_and_b32_e32 v3, 1, v7
	v_cmp_gt_i64_e32 vcc_lo, s[20:21], v[1:2]
	s_bitcmp1_b32 s24, 0
	s_cselect_b32 s1, -1, 0
	v_cmp_eq_u32_e64 s0, 1, v3
	v_cndmask_b32_e64 v5, v7, 1, s1
	s_and_b32 vcc_lo, s0, vcc_lo
	v_cndmask_b32_e32 v3, s20, v1, vcc_lo
	v_cndmask_b32_e32 v4, s21, v2, vcc_lo
	v_cndmask_b32_e64 v3, v1, v3, s1
	v_cndmask_b32_e64 v4, v2, v4, s1
.LBB221_330:
	s_or_b32 s22, s22, exec_lo
.LBB221_331:
	s_or_b32 exec_lo, exec_lo, s2
	v_mov_b32_e32 v1, s6
	v_mov_b32_e32 v2, s7
	s_branch .LBB221_356
.LBB221_332:
	s_cmp_eq_u32 s25, 1
	s_cbranch_scc0 .LBB221_355
; %bb.333:
	s_mov_b32 s3, 0
	s_lshr_b64 s[0:1], s[14:15], 8
	s_mov_b32 s7, s3
	s_lshl_b32 s2, s6, 8
	s_cmp_lg_u64 s[0:1], s[6:7]
	s_cbranch_scc0 .LBB221_359
; %bb.334:
	s_lshl_b64 s[0:1], s[2:3], 2
	v_lshlrev_b32_e32 v1, 2, v0
	s_add_u32 s8, s16, s0
	s_addc_u32 s9, s17, s1
	s_add_u32 s0, s18, s0
	s_addc_u32 s1, s19, s1
	s_waitcnt lgkmcnt(0)
	s_clause 0x1
	global_load_dword v4, v1, s[8:9]
	global_load_dword v5, v1, s[0:1]
	s_add_u32 s0, s12, s2
	s_addc_u32 s1, s13, 0
	v_add_co_u32 v1, s0, s0, v0
	v_add_co_ci_u32_e64 v2, null, s1, 0, s0
                                        ; implicit-def: $vgpr7
	v_mov_b32_dpp v3, v1 quad_perm:[1,0,3,2] row_mask:0xf bank_mask:0xf
	s_waitcnt vmcnt(0)
	v_cmp_ne_u32_e32 vcc_lo, v4, v5
	v_mov_b32_dpp v4, v2 quad_perm:[1,0,3,2] row_mask:0xf bank_mask:0xf
	v_cndmask_b32_e64 v5, 0, 1, vcc_lo
	v_cmp_lt_i64_e64 s0, v[1:2], v[3:4]
	v_mov_b32_dpp v5, v5 quad_perm:[1,0,3,2] row_mask:0xf bank_mask:0xf
	s_and_b32 s0, vcc_lo, s0
	v_cndmask_b32_e64 v3, v3, v1, s0
	v_and_b32_e32 v5, 1, v5
	v_cndmask_b32_e64 v4, v4, v2, s0
	v_cmp_eq_u32_e64 s0, 1, v5
	s_or_b32 s1, s0, vcc_lo
	v_cndmask_b32_e64 v4, v2, v4, s0
	v_cndmask_b32_e64 v2, 0, 1, s1
	;; [unrolled: 1-line block ×3, first 2 shown]
	v_mov_b32_dpp v6, v4 quad_perm:[2,3,0,1] row_mask:0xf bank_mask:0xf
	v_mov_b32_dpp v2, v2 quad_perm:[2,3,0,1] row_mask:0xf bank_mask:0xf
	;; [unrolled: 1-line block ×3, first 2 shown]
	v_and_b32_e32 v2, 1, v2
	v_cmp_eq_u32_e32 vcc_lo, 1, v2
                                        ; implicit-def: $vgpr1_vgpr2
	s_and_b32 s0, vcc_lo, s1
	s_xor_b32 s0, s0, -1
	s_and_saveexec_b32 s8, s0
	s_xor_b32 s0, exec_lo, s8
; %bb.335:
	s_or_b32 s1, vcc_lo, s1
	v_cndmask_b32_e32 v2, v4, v6, vcc_lo
	v_cndmask_b32_e32 v1, v3, v5, vcc_lo
	v_cndmask_b32_e64 v7, 0, 1, s1
                                        ; implicit-def: $vgpr3_vgpr4
                                        ; implicit-def: $vgpr5_vgpr6
; %bb.336:
	s_andn2_saveexec_b32 s0, s0
; %bb.337:
	v_cmp_lt_i64_e32 vcc_lo, v[3:4], v[5:6]
	v_mov_b32_e32 v7, 1
	v_cndmask_b32_e32 v2, v6, v4, vcc_lo
	v_cndmask_b32_e32 v1, v5, v3, vcc_lo
; %bb.338:
	s_or_b32 exec_lo, exec_lo, s0
	v_mov_b32_dpp v3, v1 row_ror:4 row_mask:0xf bank_mask:0xf
	v_mov_b32_dpp v4, v2 row_ror:4 row_mask:0xf bank_mask:0xf
	v_and_b32_e32 v6, 1, v7
	v_mov_b32_dpp v5, v7 row_ror:4 row_mask:0xf bank_mask:0xf
	v_mbcnt_lo_u32_b32 v8, -1, 0
	v_cmp_lt_i64_e32 vcc_lo, v[1:2], v[3:4]
	v_cmp_eq_u32_e64 s0, 1, v6
	v_and_b32_e32 v5, 1, v5
	s_and_b32 vcc_lo, s0, vcc_lo
	v_cmp_eq_u32_e64 s1, 1, v5
	v_cndmask_b32_e32 v3, v3, v1, vcc_lo
	v_cndmask_b32_e32 v4, v4, v2, vcc_lo
	v_cndmask_b32_e64 v5, v7, 1, s1
	v_cndmask_b32_e64 v1, v1, v3, s1
	;; [unrolled: 1-line block ×3, first 2 shown]
	v_and_b32_e32 v7, 1, v5
	v_mov_b32_dpp v3, v1 row_ror:8 row_mask:0xf bank_mask:0xf
	v_mov_b32_dpp v4, v2 row_ror:8 row_mask:0xf bank_mask:0xf
	v_mov_b32_dpp v6, v5 row_ror:8 row_mask:0xf bank_mask:0xf
	v_cmp_eq_u32_e64 s0, 1, v7
	v_cmp_lt_i64_e32 vcc_lo, v[1:2], v[3:4]
	v_and_b32_e32 v6, 1, v6
	v_cmp_eq_u32_e64 s1, 1, v6
	s_and_b32 vcc_lo, s0, vcc_lo
	v_cndmask_b32_e32 v3, v3, v1, vcc_lo
	v_cndmask_b32_e32 v4, v4, v2, vcc_lo
	v_cndmask_b32_e64 v5, v5, 1, s1
	v_cndmask_b32_e64 v1, v1, v3, s1
	;; [unrolled: 1-line block ×3, first 2 shown]
	ds_swizzle_b32 v6, v5 offset:swizzle(BROADCAST,32,15)
	v_and_b32_e32 v7, 1, v5
	ds_swizzle_b32 v3, v1 offset:swizzle(BROADCAST,32,15)
	ds_swizzle_b32 v4, v2 offset:swizzle(BROADCAST,32,15)
	v_cmp_eq_u32_e64 s0, 1, v7
	s_waitcnt lgkmcnt(2)
	v_and_b32_e32 v6, 1, v6
	s_waitcnt lgkmcnt(0)
	v_cmp_lt_i64_e32 vcc_lo, v[1:2], v[3:4]
	v_cmp_eq_u32_e64 s1, 1, v6
	v_mov_b32_e32 v6, 0
	s_and_b32 vcc_lo, s0, vcc_lo
	v_cndmask_b32_e64 v5, v5, 1, s1
	v_cndmask_b32_e32 v3, v3, v1, vcc_lo
	v_cndmask_b32_e32 v4, v4, v2, vcc_lo
	s_mov_b32 s0, exec_lo
	ds_bpermute_b32 v7, v6, v5 offset:124
	v_cndmask_b32_e64 v1, v1, v3, s1
	v_cndmask_b32_e64 v2, v2, v4, s1
	ds_bpermute_b32 v1, v6, v1 offset:124
	ds_bpermute_b32 v2, v6, v2 offset:124
	v_cmpx_eq_u32_e32 0, v8
	s_cbranch_execz .LBB221_340
; %bb.339:
	v_lshrrev_b32_e32 v3, 1, v0
	v_and_b32_e32 v3, 0x70, v3
	s_waitcnt lgkmcnt(2)
	ds_write_b8 v3, v7
	s_waitcnt lgkmcnt(1)
	ds_write_b64 v3, v[1:2] offset:8
.LBB221_340:
	s_or_b32 exec_lo, exec_lo, s0
	s_mov_b32 s0, exec_lo
	s_waitcnt lgkmcnt(0)
	s_barrier
	buffer_gl0_inv
	v_cmpx_gt_u32_e32 32, v0
	s_cbranch_execz .LBB221_354
; %bb.341:
	v_and_b32_e32 v7, 7, v8
	v_lshlrev_b32_e32 v1, 4, v7
	v_cmp_ne_u32_e32 vcc_lo, 7, v7
	ds_read_u8 v10, v1
	ds_read_b64 v[3:4], v1 offset:8
	v_add_co_ci_u32_e64 v2, null, 0, v8, vcc_lo
	v_lshlrev_b32_e32 v2, 2, v2
	s_waitcnt lgkmcnt(1)
	v_and_b32_e32 v1, 0xff, v10
	s_waitcnt lgkmcnt(0)
	ds_bpermute_b32 v5, v2, v3
	ds_bpermute_b32 v6, v2, v4
	;; [unrolled: 1-line block ×3, first 2 shown]
	s_waitcnt lgkmcnt(0)
	v_and_b32_e32 v1, v10, v11
	v_and_b32_e32 v1, 1, v1
	v_cmp_eq_u32_e32 vcc_lo, 1, v1
                                        ; implicit-def: $vgpr1_vgpr2
	s_and_saveexec_b32 s1, vcc_lo
	s_xor_b32 s1, exec_lo, s1
; %bb.342:
	v_cmp_lt_i64_e32 vcc_lo, v[5:6], v[3:4]
                                        ; implicit-def: $vgpr10
                                        ; implicit-def: $vgpr11
	v_cndmask_b32_e32 v2, v4, v6, vcc_lo
	v_cndmask_b32_e32 v1, v3, v5, vcc_lo
                                        ; implicit-def: $vgpr5_vgpr6
                                        ; implicit-def: $vgpr3_vgpr4
; %bb.343:
	s_or_saveexec_b32 s1, s1
	v_mov_b32_e32 v9, 1
	s_xor_b32 exec_lo, exec_lo, s1
; %bb.344:
	v_and_b32_e32 v1, 1, v10
	v_and_b32_e32 v9, 0xff, v11
	v_cmp_eq_u32_e32 vcc_lo, 1, v1
	v_cndmask_b32_e32 v2, v6, v4, vcc_lo
	v_cndmask_b32_e32 v1, v5, v3, vcc_lo
	v_cndmask_b32_e64 v9, v9, 1, vcc_lo
; %bb.345:
	s_or_b32 exec_lo, exec_lo, s1
	v_cmp_gt_u32_e32 vcc_lo, 6, v7
	v_cndmask_b32_e64 v3, 0, 2, vcc_lo
	v_add_lshl_u32 v3, v3, v8, 2
	ds_bpermute_b32 v7, v3, v9
	ds_bpermute_b32 v5, v3, v1
	;; [unrolled: 1-line block ×3, first 2 shown]
	s_waitcnt lgkmcnt(2)
	v_and_b32_e32 v3, v9, v7
	v_and_b32_e32 v3, 1, v3
	v_cmp_eq_u32_e32 vcc_lo, 1, v3
                                        ; implicit-def: $vgpr3_vgpr4
	s_and_saveexec_b32 s1, vcc_lo
	s_xor_b32 s1, exec_lo, s1
	s_cbranch_execz .LBB221_347
; %bb.346:
	s_waitcnt lgkmcnt(0)
	v_cmp_lt_i64_e32 vcc_lo, v[5:6], v[1:2]
                                        ; implicit-def: $vgpr9
                                        ; implicit-def: $vgpr7
	v_cndmask_b32_e32 v4, v2, v6, vcc_lo
	v_cndmask_b32_e32 v3, v1, v5, vcc_lo
                                        ; implicit-def: $vgpr5_vgpr6
                                        ; implicit-def: $vgpr1_vgpr2
.LBB221_347:
	s_or_saveexec_b32 s1, s1
	v_lshlrev_b32_e32 v10, 2, v8
	v_mov_b32_e32 v8, 1
	s_xor_b32 exec_lo, exec_lo, s1
	s_cbranch_execz .LBB221_349
; %bb.348:
	v_and_b32_e32 v3, 1, v9
	v_and_b32_e32 v7, 0xff, v7
	v_cmp_eq_u32_e32 vcc_lo, 1, v3
	s_waitcnt lgkmcnt(0)
	v_cndmask_b32_e32 v4, v6, v2, vcc_lo
	v_cndmask_b32_e32 v3, v5, v1, vcc_lo
	v_cndmask_b32_e64 v8, v7, 1, vcc_lo
.LBB221_349:
	s_or_b32 exec_lo, exec_lo, s1
	v_or_b32_e32 v1, 16, v10
	ds_bpermute_b32 v9, v1, v8
	s_waitcnt lgkmcnt(2)
	ds_bpermute_b32 v5, v1, v3
	s_waitcnt lgkmcnt(2)
	;; [unrolled: 2-line block ×3, first 2 shown]
	v_and_b32_e32 v1, v8, v9
	v_and_b32_e32 v1, 1, v1
	v_cmp_eq_u32_e32 vcc_lo, 1, v1
                                        ; implicit-def: $vgpr1_vgpr2
	s_and_saveexec_b32 s1, vcc_lo
	s_xor_b32 s1, exec_lo, s1
	s_cbranch_execz .LBB221_351
; %bb.350:
	s_waitcnt lgkmcnt(0)
	v_cmp_lt_i64_e32 vcc_lo, v[5:6], v[3:4]
                                        ; implicit-def: $vgpr8
                                        ; implicit-def: $vgpr9
	v_cndmask_b32_e32 v2, v4, v6, vcc_lo
	v_cndmask_b32_e32 v1, v3, v5, vcc_lo
                                        ; implicit-def: $vgpr5_vgpr6
                                        ; implicit-def: $vgpr3_vgpr4
.LBB221_351:
	s_or_saveexec_b32 s1, s1
	v_mov_b32_e32 v7, 1
	s_xor_b32 exec_lo, exec_lo, s1
	s_cbranch_execz .LBB221_353
; %bb.352:
	v_and_b32_e32 v1, 1, v8
	v_cmp_eq_u32_e32 vcc_lo, 1, v1
	s_waitcnt lgkmcnt(0)
	v_cndmask_b32_e32 v2, v6, v4, vcc_lo
	v_cndmask_b32_e32 v1, v5, v3, vcc_lo
	v_cndmask_b32_e64 v7, v9, 1, vcc_lo
.LBB221_353:
	s_or_b32 exec_lo, exec_lo, s1
.LBB221_354:
	s_or_b32 exec_lo, exec_lo, s0
	s_branch .LBB221_415
.LBB221_355:
                                        ; implicit-def: $vgpr3_vgpr4
                                        ; implicit-def: $vgpr5
                                        ; implicit-def: $vgpr1_vgpr2
.LBB221_356:
	s_and_saveexec_b32 s0, s22
	s_cbranch_execz .LBB221_358
.LBB221_357:
	s_load_dwordx2 s[0:1], s[4:5], 0x38
	v_lshlrev_b64 v[0:1], 4, v[1:2]
	s_waitcnt lgkmcnt(0)
	v_add_co_u32 v0, vcc_lo, s0, v0
	v_add_co_ci_u32_e64 v1, null, s1, v1, vcc_lo
	global_store_byte v[0:1], v5, off
	global_store_dwordx2 v[0:1], v[3:4], off offset:8
.LBB221_358:
	s_endpgm
.LBB221_359:
                                        ; implicit-def: $vgpr1_vgpr2
                                        ; implicit-def: $vgpr7
	s_cbranch_execz .LBB221_415
; %bb.360:
	v_mov_b32_e32 v1, 0
	v_mov_b32_e32 v2, 0
	;; [unrolled: 1-line block ×3, first 2 shown]
	s_sub_i32 s0, s14, s2
	s_mov_b32 s1, exec_lo
	v_cmpx_gt_u32_e64 s0, v0
	s_cbranch_execz .LBB221_362
; %bb.361:
	s_lshl_b64 s[8:9], s[2:3], 2
	v_lshlrev_b32_e32 v1, 2, v0
	s_add_u32 s10, s18, s8
	s_addc_u32 s11, s19, s9
	s_add_u32 s8, s16, s8
	s_addc_u32 s9, s17, s9
	s_add_u32 s2, s12, s2
	s_waitcnt lgkmcnt(1)
	global_load_dword v3, v1, s[8:9]
	s_waitcnt lgkmcnt(0)
	global_load_dword v4, v1, s[10:11]
	s_addc_u32 s3, s13, 0
	v_add_co_u32 v1, s2, s2, v0
	v_add_co_ci_u32_e64 v2, null, s3, 0, s2
	s_waitcnt vmcnt(0)
	v_cmp_ne_u32_e32 vcc_lo, v3, v4
	v_cndmask_b32_e64 v8, 0, 1, vcc_lo
.LBB221_362:
	s_or_b32 exec_lo, exec_lo, s1
	s_waitcnt lgkmcnt(1)
	v_mbcnt_lo_u32_b32 v5, -1, 0
	v_and_b32_e32 v7, 0xffff, v8
	s_waitcnt lgkmcnt(0)
	v_and_b32_e32 v6, 0xe0, v0
	s_min_u32 s0, s0, 0x100
	s_mov_b32 s1, exec_lo
	v_cmp_ne_u32_e32 vcc_lo, 31, v5
	v_add_nc_u32_e32 v10, 1, v5
	v_sub_nc_u32_e64 v6, s0, v6 clamp
	v_add_co_ci_u32_e64 v3, null, 0, v5, vcc_lo
	v_lshlrev_b32_e32 v4, 2, v3
	ds_bpermute_b32 v9, v4, v7
	ds_bpermute_b32 v3, v4, v1
	;; [unrolled: 1-line block ×3, first 2 shown]
	v_cmpx_lt_u32_e64 v10, v6
	s_cbranch_execz .LBB221_368
; %bb.363:
	s_waitcnt lgkmcnt(2)
	v_and_b32_e32 v7, v9, v7
	s_mov_b32 s2, exec_lo
	v_and_b32_e32 v7, 1, v7
	v_cmpx_eq_u32_e32 1, v7
	s_xor_b32 s2, exec_lo, s2
	s_cbranch_execz .LBB221_365
; %bb.364:
	s_waitcnt lgkmcnt(0)
	v_cmp_lt_i64_e32 vcc_lo, v[3:4], v[1:2]
                                        ; implicit-def: $vgpr8
                                        ; implicit-def: $vgpr9
	v_cndmask_b32_e32 v2, v2, v4, vcc_lo
	v_cndmask_b32_e32 v1, v1, v3, vcc_lo
                                        ; implicit-def: $vgpr3_vgpr4
.LBB221_365:
	s_or_saveexec_b32 s2, s2
	v_mov_b32_e32 v7, 1
	s_xor_b32 exec_lo, exec_lo, s2
	s_cbranch_execz .LBB221_367
; %bb.366:
	v_and_b32_e32 v7, 1, v8
	v_cmp_eq_u32_e32 vcc_lo, 1, v7
	v_and_b32_e32 v7, 0xff, v9
	s_waitcnt lgkmcnt(0)
	v_cndmask_b32_e32 v2, v4, v2, vcc_lo
	v_cndmask_b32_e32 v1, v3, v1, vcc_lo
	v_cndmask_b32_e64 v7, v7, 1, vcc_lo
.LBB221_367:
	s_or_b32 exec_lo, exec_lo, s2
.LBB221_368:
	s_or_b32 exec_lo, exec_lo, s1
	v_cmp_gt_u32_e32 vcc_lo, 30, v5
	s_waitcnt lgkmcnt(2)
	v_add_nc_u32_e32 v9, 2, v5
	s_mov_b32 s1, exec_lo
	s_waitcnt lgkmcnt(1)
	v_cndmask_b32_e64 v3, 0, 2, vcc_lo
	s_waitcnt lgkmcnt(0)
	v_add_lshl_u32 v4, v3, v5, 2
	ds_bpermute_b32 v8, v4, v7
	ds_bpermute_b32 v3, v4, v1
	;; [unrolled: 1-line block ×3, first 2 shown]
	v_cmpx_lt_u32_e64 v9, v6
	s_cbranch_execz .LBB221_374
; %bb.369:
	s_waitcnt lgkmcnt(2)
	v_and_b32_e32 v9, v7, v8
	s_mov_b32 s2, exec_lo
	v_and_b32_e32 v9, 1, v9
	v_cmpx_eq_u32_e32 1, v9
	s_xor_b32 s2, exec_lo, s2
	s_cbranch_execz .LBB221_371
; %bb.370:
	s_waitcnt lgkmcnt(0)
	v_cmp_lt_i64_e32 vcc_lo, v[3:4], v[1:2]
                                        ; implicit-def: $vgpr7
                                        ; implicit-def: $vgpr8
	v_cndmask_b32_e32 v2, v2, v4, vcc_lo
	v_cndmask_b32_e32 v1, v1, v3, vcc_lo
                                        ; implicit-def: $vgpr3_vgpr4
.LBB221_371:
	s_or_saveexec_b32 s2, s2
	v_mov_b32_e32 v9, 1
	s_xor_b32 exec_lo, exec_lo, s2
	s_cbranch_execz .LBB221_373
; %bb.372:
	v_and_b32_e32 v7, 1, v7
	v_cmp_eq_u32_e32 vcc_lo, 1, v7
	v_and_b32_e32 v7, 0xff, v8
	s_waitcnt lgkmcnt(0)
	v_cndmask_b32_e32 v2, v4, v2, vcc_lo
	v_cndmask_b32_e32 v1, v3, v1, vcc_lo
	v_cndmask_b32_e64 v9, v7, 1, vcc_lo
.LBB221_373:
	s_or_b32 exec_lo, exec_lo, s2
	v_mov_b32_e32 v7, v9
.LBB221_374:
	s_or_b32 exec_lo, exec_lo, s1
	v_cmp_gt_u32_e32 vcc_lo, 28, v5
	v_add_nc_u32_e32 v9, 4, v5
	s_mov_b32 s1, exec_lo
	s_waitcnt lgkmcnt(1)
	v_cndmask_b32_e64 v3, 0, 4, vcc_lo
	s_waitcnt lgkmcnt(0)
	v_add_lshl_u32 v4, v3, v5, 2
	ds_bpermute_b32 v8, v4, v7
	ds_bpermute_b32 v3, v4, v1
	;; [unrolled: 1-line block ×3, first 2 shown]
	v_cmpx_lt_u32_e64 v9, v6
	s_cbranch_execz .LBB221_380
; %bb.375:
	s_waitcnt lgkmcnt(2)
	v_and_b32_e32 v9, v7, v8
	s_mov_b32 s2, exec_lo
	v_and_b32_e32 v9, 1, v9
	v_cmpx_eq_u32_e32 1, v9
	s_xor_b32 s2, exec_lo, s2
	s_cbranch_execz .LBB221_377
; %bb.376:
	s_waitcnt lgkmcnt(0)
	v_cmp_lt_i64_e32 vcc_lo, v[3:4], v[1:2]
                                        ; implicit-def: $vgpr7
                                        ; implicit-def: $vgpr8
	v_cndmask_b32_e32 v2, v2, v4, vcc_lo
	v_cndmask_b32_e32 v1, v1, v3, vcc_lo
                                        ; implicit-def: $vgpr3_vgpr4
.LBB221_377:
	s_or_saveexec_b32 s2, s2
	v_mov_b32_e32 v9, 1
	s_xor_b32 exec_lo, exec_lo, s2
	s_cbranch_execz .LBB221_379
; %bb.378:
	v_and_b32_e32 v7, 1, v7
	v_cmp_eq_u32_e32 vcc_lo, 1, v7
	v_and_b32_e32 v7, 0xff, v8
	s_waitcnt lgkmcnt(0)
	v_cndmask_b32_e32 v2, v4, v2, vcc_lo
	v_cndmask_b32_e32 v1, v3, v1, vcc_lo
	v_cndmask_b32_e64 v9, v7, 1, vcc_lo
.LBB221_379:
	s_or_b32 exec_lo, exec_lo, s2
	v_mov_b32_e32 v7, v9
.LBB221_380:
	s_or_b32 exec_lo, exec_lo, s1
	v_cmp_gt_u32_e32 vcc_lo, 24, v5
	v_add_nc_u32_e32 v9, 8, v5
	s_mov_b32 s1, exec_lo
	s_waitcnt lgkmcnt(1)
	v_cndmask_b32_e64 v3, 0, 8, vcc_lo
	s_waitcnt lgkmcnt(0)
	v_add_lshl_u32 v4, v3, v5, 2
	ds_bpermute_b32 v8, v4, v7
	ds_bpermute_b32 v3, v4, v1
	;; [unrolled: 1-line block ×3, first 2 shown]
	v_cmpx_lt_u32_e64 v9, v6
	s_cbranch_execz .LBB221_386
; %bb.381:
	s_waitcnt lgkmcnt(2)
	v_and_b32_e32 v9, v7, v8
	s_mov_b32 s2, exec_lo
	v_and_b32_e32 v9, 1, v9
	v_cmpx_eq_u32_e32 1, v9
	s_xor_b32 s2, exec_lo, s2
	s_cbranch_execz .LBB221_383
; %bb.382:
	s_waitcnt lgkmcnt(0)
	v_cmp_lt_i64_e32 vcc_lo, v[3:4], v[1:2]
                                        ; implicit-def: $vgpr7
                                        ; implicit-def: $vgpr8
	v_cndmask_b32_e32 v2, v2, v4, vcc_lo
	v_cndmask_b32_e32 v1, v1, v3, vcc_lo
                                        ; implicit-def: $vgpr3_vgpr4
.LBB221_383:
	s_or_saveexec_b32 s2, s2
	v_mov_b32_e32 v9, 1
	s_xor_b32 exec_lo, exec_lo, s2
	s_cbranch_execz .LBB221_385
; %bb.384:
	v_and_b32_e32 v7, 1, v7
	v_cmp_eq_u32_e32 vcc_lo, 1, v7
	v_and_b32_e32 v7, 0xff, v8
	s_waitcnt lgkmcnt(0)
	v_cndmask_b32_e32 v2, v4, v2, vcc_lo
	v_cndmask_b32_e32 v1, v3, v1, vcc_lo
	v_cndmask_b32_e64 v9, v7, 1, vcc_lo
.LBB221_385:
	s_or_b32 exec_lo, exec_lo, s2
	v_mov_b32_e32 v7, v9
.LBB221_386:
	s_or_b32 exec_lo, exec_lo, s1
	s_waitcnt lgkmcnt(2)
	v_lshlrev_b32_e32 v8, 2, v5
	v_add_nc_u32_e32 v10, 16, v5
	s_waitcnt lgkmcnt(0)
	v_or_b32_e32 v4, 64, v8
	v_cmp_lt_u32_e32 vcc_lo, v10, v6
	v_mov_b32_e32 v6, v7
	ds_bpermute_b32 v9, v4, v7
	ds_bpermute_b32 v3, v4, v1
	;; [unrolled: 1-line block ×3, first 2 shown]
	s_and_saveexec_b32 s1, vcc_lo
	s_cbranch_execz .LBB221_392
; %bb.387:
	s_waitcnt lgkmcnt(2)
	v_and_b32_e32 v6, v7, v9
	s_mov_b32 s2, exec_lo
	v_and_b32_e32 v6, 1, v6
	v_cmpx_eq_u32_e32 1, v6
	s_xor_b32 s2, exec_lo, s2
	s_cbranch_execz .LBB221_389
; %bb.388:
	s_waitcnt lgkmcnt(0)
	v_cmp_lt_i64_e32 vcc_lo, v[3:4], v[1:2]
                                        ; implicit-def: $vgpr7
                                        ; implicit-def: $vgpr9
	v_cndmask_b32_e32 v2, v2, v4, vcc_lo
	v_cndmask_b32_e32 v1, v1, v3, vcc_lo
                                        ; implicit-def: $vgpr3_vgpr4
.LBB221_389:
	s_or_saveexec_b32 s2, s2
	v_mov_b32_e32 v6, 1
	s_xor_b32 exec_lo, exec_lo, s2
	s_cbranch_execz .LBB221_391
; %bb.390:
	v_and_b32_e32 v6, 1, v7
	v_cmp_eq_u32_e32 vcc_lo, 1, v6
	v_cndmask_b32_e64 v6, v9, 1, vcc_lo
	s_waitcnt lgkmcnt(0)
	v_cndmask_b32_e32 v2, v4, v2, vcc_lo
	v_cndmask_b32_e32 v1, v3, v1, vcc_lo
.LBB221_391:
	s_or_b32 exec_lo, exec_lo, s2
	v_and_b32_e32 v7, 0xff, v6
.LBB221_392:
	s_or_b32 exec_lo, exec_lo, s1
	s_mov_b32 s1, exec_lo
	v_cmpx_eq_u32_e32 0, v5
	s_cbranch_execz .LBB221_394
; %bb.393:
	s_waitcnt lgkmcnt(1)
	v_lshrrev_b32_e32 v3, 1, v0
	v_and_b32_e32 v3, 0x70, v3
	ds_write_b8 v3, v6 offset:512
	ds_write_b64 v3, v[1:2] offset:520
.LBB221_394:
	s_or_b32 exec_lo, exec_lo, s1
	s_mov_b32 s1, exec_lo
	s_waitcnt lgkmcnt(0)
	s_barrier
	buffer_gl0_inv
	v_cmpx_gt_u32_e32 8, v0
	s_cbranch_execz .LBB221_414
; %bb.395:
	v_lshlrev_b32_e32 v1, 4, v5
	v_and_b32_e32 v6, 7, v5
	s_add_i32 s0, s0, 31
	s_mov_b32 s2, exec_lo
	s_lshr_b32 s0, s0, 5
	ds_read_u8 v9, v1 offset:512
	ds_read_b64 v[1:2], v1 offset:520
	v_cmp_ne_u32_e32 vcc_lo, 7, v6
	v_add_nc_u32_e32 v11, 1, v6
	v_add_co_ci_u32_e64 v3, null, 0, v5, vcc_lo
	v_lshlrev_b32_e32 v4, 2, v3
	s_waitcnt lgkmcnt(1)
	v_and_b32_e32 v7, 0xff, v9
	s_waitcnt lgkmcnt(0)
	ds_bpermute_b32 v3, v4, v1
	ds_bpermute_b32 v10, v4, v7
	;; [unrolled: 1-line block ×3, first 2 shown]
	v_cmpx_gt_u32_e64 s0, v11
	s_cbranch_execz .LBB221_401
; %bb.396:
	s_waitcnt lgkmcnt(1)
	v_and_b32_e32 v7, v7, v10
	s_mov_b32 s3, exec_lo
	v_and_b32_e32 v7, 1, v7
	v_cmpx_eq_u32_e32 1, v7
	s_xor_b32 s3, exec_lo, s3
	s_cbranch_execz .LBB221_398
; %bb.397:
	s_waitcnt lgkmcnt(0)
	v_cmp_lt_i64_e32 vcc_lo, v[3:4], v[1:2]
                                        ; implicit-def: $vgpr9
                                        ; implicit-def: $vgpr10
	v_cndmask_b32_e32 v2, v2, v4, vcc_lo
	v_cndmask_b32_e32 v1, v1, v3, vcc_lo
                                        ; implicit-def: $vgpr3_vgpr4
.LBB221_398:
	s_or_saveexec_b32 s3, s3
	v_mov_b32_e32 v7, 1
	s_xor_b32 exec_lo, exec_lo, s3
	s_cbranch_execz .LBB221_400
; %bb.399:
	v_and_b32_e32 v7, 1, v9
	v_cmp_eq_u32_e32 vcc_lo, 1, v7
	v_and_b32_e32 v7, 0xff, v10
	s_waitcnt lgkmcnt(0)
	v_cndmask_b32_e32 v2, v4, v2, vcc_lo
	v_cndmask_b32_e32 v1, v3, v1, vcc_lo
	v_cndmask_b32_e64 v7, v7, 1, vcc_lo
.LBB221_400:
	s_or_b32 exec_lo, exec_lo, s3
.LBB221_401:
	s_or_b32 exec_lo, exec_lo, s2
	v_cmp_gt_u32_e32 vcc_lo, 6, v6
	v_add_nc_u32_e32 v9, 2, v6
	s_mov_b32 s2, exec_lo
	s_waitcnt lgkmcnt(2)
	v_cndmask_b32_e64 v3, 0, 2, vcc_lo
	s_waitcnt lgkmcnt(0)
	v_add_lshl_u32 v4, v3, v5, 2
	ds_bpermute_b32 v5, v4, v7
	ds_bpermute_b32 v3, v4, v1
	;; [unrolled: 1-line block ×3, first 2 shown]
	v_cmpx_gt_u32_e64 s0, v9
	s_cbranch_execz .LBB221_407
; %bb.402:
	s_waitcnt lgkmcnt(2)
	v_and_b32_e32 v9, v7, v5
	s_mov_b32 s3, exec_lo
	v_and_b32_e32 v9, 1, v9
	v_cmpx_eq_u32_e32 1, v9
	s_xor_b32 s3, exec_lo, s3
	s_cbranch_execz .LBB221_404
; %bb.403:
	s_waitcnt lgkmcnt(0)
	v_cmp_lt_i64_e32 vcc_lo, v[3:4], v[1:2]
                                        ; implicit-def: $vgpr7
                                        ; implicit-def: $vgpr5
	v_cndmask_b32_e32 v2, v2, v4, vcc_lo
	v_cndmask_b32_e32 v1, v1, v3, vcc_lo
                                        ; implicit-def: $vgpr3_vgpr4
.LBB221_404:
	s_or_saveexec_b32 s3, s3
	v_mov_b32_e32 v9, 1
	s_xor_b32 exec_lo, exec_lo, s3
	s_cbranch_execz .LBB221_406
; %bb.405:
	v_and_b32_e32 v7, 1, v7
	v_and_b32_e32 v5, 0xff, v5
	v_cmp_eq_u32_e32 vcc_lo, 1, v7
	s_waitcnt lgkmcnt(0)
	v_cndmask_b32_e32 v2, v4, v2, vcc_lo
	v_cndmask_b32_e32 v1, v3, v1, vcc_lo
	v_cndmask_b32_e64 v9, v5, 1, vcc_lo
.LBB221_406:
	s_or_b32 exec_lo, exec_lo, s3
	v_mov_b32_e32 v7, v9
.LBB221_407:
	s_or_b32 exec_lo, exec_lo, s2
	s_waitcnt lgkmcnt(0)
	v_or_b32_e32 v4, 16, v8
	v_add_nc_u32_e32 v6, 4, v6
	ds_bpermute_b32 v5, v4, v7
	ds_bpermute_b32 v3, v4, v1
	;; [unrolled: 1-line block ×3, first 2 shown]
	v_cmp_gt_u32_e32 vcc_lo, s0, v6
	s_and_saveexec_b32 s0, vcc_lo
	s_cbranch_execz .LBB221_413
; %bb.408:
	s_waitcnt lgkmcnt(2)
	v_and_b32_e32 v6, v7, v5
	s_mov_b32 s2, exec_lo
	v_and_b32_e32 v6, 1, v6
	v_cmpx_eq_u32_e32 1, v6
	s_xor_b32 s2, exec_lo, s2
	s_cbranch_execz .LBB221_410
; %bb.409:
	s_waitcnt lgkmcnt(0)
	v_cmp_lt_i64_e32 vcc_lo, v[3:4], v[1:2]
                                        ; implicit-def: $vgpr7
                                        ; implicit-def: $vgpr5
	v_cndmask_b32_e32 v2, v2, v4, vcc_lo
	v_cndmask_b32_e32 v1, v1, v3, vcc_lo
                                        ; implicit-def: $vgpr3_vgpr4
.LBB221_410:
	s_or_saveexec_b32 s2, s2
	v_mov_b32_e32 v6, 1
	s_xor_b32 exec_lo, exec_lo, s2
	s_cbranch_execz .LBB221_412
; %bb.411:
	v_and_b32_e32 v6, 1, v7
	v_cmp_eq_u32_e32 vcc_lo, 1, v6
	s_waitcnt lgkmcnt(0)
	v_cndmask_b32_e32 v2, v4, v2, vcc_lo
	v_cndmask_b32_e32 v1, v3, v1, vcc_lo
	v_cndmask_b32_e64 v6, v5, 1, vcc_lo
.LBB221_412:
	s_or_b32 exec_lo, exec_lo, s2
	v_mov_b32_e32 v7, v6
.LBB221_413:
	s_or_b32 exec_lo, exec_lo, s0
.LBB221_414:
	s_or_b32 exec_lo, exec_lo, s1
.LBB221_415:
	s_mov_b32 s2, exec_lo
                                        ; implicit-def: $vgpr3_vgpr4
                                        ; implicit-def: $vgpr5
	v_cmpx_eq_u32_e32 0, v0
	s_cbranch_execz .LBB221_419
; %bb.416:
	s_waitcnt lgkmcnt(0)
	v_mov_b32_e32 v3, s20
	v_mov_b32_e32 v4, s21
	;; [unrolled: 1-line block ×3, first 2 shown]
	s_cmp_eq_u64 s[14:15], 0
	s_cbranch_scc1 .LBB221_418
; %bb.417:
	v_and_b32_e32 v0, 1, v7
	v_cmp_gt_i64_e32 vcc_lo, s[20:21], v[1:2]
	s_bitcmp1_b32 s24, 0
	s_cselect_b32 s1, -1, 0
	v_cmp_eq_u32_e64 s0, 1, v0
	v_cndmask_b32_e64 v5, v7, 1, s1
	s_and_b32 vcc_lo, s0, vcc_lo
	v_cndmask_b32_e32 v0, s20, v1, vcc_lo
	v_cndmask_b32_e32 v3, s21, v2, vcc_lo
	v_cndmask_b32_e64 v4, v2, v3, s1
	v_cndmask_b32_e64 v3, v1, v0, s1
.LBB221_418:
	s_or_b32 s22, s22, exec_lo
.LBB221_419:
	s_or_b32 exec_lo, exec_lo, s2
	v_mov_b32_e32 v1, s6
	v_mov_b32_e32 v2, s7
	s_and_saveexec_b32 s0, s22
	s_cbranch_execnz .LBB221_357
	s_branch .LBB221_358
	.section	.rodata,"a",@progbits
	.p2align	6, 0x0
	.amdhsa_kernel _ZN7rocprim17ROCPRIM_400000_NS6detail17trampoline_kernelINS0_14default_configENS1_22reduce_config_selectorIN6thrust23THRUST_200600_302600_NS5tupleIblNS6_9null_typeES8_S8_S8_S8_S8_S8_S8_EEEEZNS1_11reduce_implILb1ES3_NS6_12zip_iteratorINS7_INS6_11hip_rocprim26transform_input_iterator_tIbNSD_35transform_pair_of_input_iterators_tIbNS6_6detail15normal_iteratorINS6_10device_ptrIKjEEEESL_NS6_8equal_toIjEEEENSG_9not_fun_tINSD_8identityEEEEENSD_19counting_iterator_tIlEES8_S8_S8_S8_S8_S8_S8_S8_EEEEPS9_S9_NSD_9__find_if7functorIS9_EEEE10hipError_tPvRmT1_T2_T3_mT4_P12ihipStream_tbEUlT_E1_NS1_11comp_targetILNS1_3genE8ELNS1_11target_archE1030ELNS1_3gpuE2ELNS1_3repE0EEENS1_30default_config_static_selectorELNS0_4arch9wavefront6targetE0EEEvS14_
		.amdhsa_group_segment_fixed_size 640
		.amdhsa_private_segment_fixed_size 0
		.amdhsa_kernarg_size 88
		.amdhsa_user_sgpr_count 6
		.amdhsa_user_sgpr_private_segment_buffer 1
		.amdhsa_user_sgpr_dispatch_ptr 0
		.amdhsa_user_sgpr_queue_ptr 0
		.amdhsa_user_sgpr_kernarg_segment_ptr 1
		.amdhsa_user_sgpr_dispatch_id 0
		.amdhsa_user_sgpr_flat_scratch_init 0
		.amdhsa_user_sgpr_private_segment_size 0
		.amdhsa_wavefront_size32 1
		.amdhsa_uses_dynamic_stack 0
		.amdhsa_system_sgpr_private_segment_wavefront_offset 0
		.amdhsa_system_sgpr_workgroup_id_x 1
		.amdhsa_system_sgpr_workgroup_id_y 0
		.amdhsa_system_sgpr_workgroup_id_z 0
		.amdhsa_system_sgpr_workgroup_info 0
		.amdhsa_system_vgpr_workitem_id 0
		.amdhsa_next_free_vgpr 27
		.amdhsa_next_free_sgpr 32
		.amdhsa_reserve_vcc 1
		.amdhsa_reserve_flat_scratch 0
		.amdhsa_float_round_mode_32 0
		.amdhsa_float_round_mode_16_64 0
		.amdhsa_float_denorm_mode_32 3
		.amdhsa_float_denorm_mode_16_64 3
		.amdhsa_dx10_clamp 1
		.amdhsa_ieee_mode 1
		.amdhsa_fp16_overflow 0
		.amdhsa_workgroup_processor_mode 1
		.amdhsa_memory_ordered 1
		.amdhsa_forward_progress 1
		.amdhsa_shared_vgpr_count 0
		.amdhsa_exception_fp_ieee_invalid_op 0
		.amdhsa_exception_fp_denorm_src 0
		.amdhsa_exception_fp_ieee_div_zero 0
		.amdhsa_exception_fp_ieee_overflow 0
		.amdhsa_exception_fp_ieee_underflow 0
		.amdhsa_exception_fp_ieee_inexact 0
		.amdhsa_exception_int_div_zero 0
	.end_amdhsa_kernel
	.section	.text._ZN7rocprim17ROCPRIM_400000_NS6detail17trampoline_kernelINS0_14default_configENS1_22reduce_config_selectorIN6thrust23THRUST_200600_302600_NS5tupleIblNS6_9null_typeES8_S8_S8_S8_S8_S8_S8_EEEEZNS1_11reduce_implILb1ES3_NS6_12zip_iteratorINS7_INS6_11hip_rocprim26transform_input_iterator_tIbNSD_35transform_pair_of_input_iterators_tIbNS6_6detail15normal_iteratorINS6_10device_ptrIKjEEEESL_NS6_8equal_toIjEEEENSG_9not_fun_tINSD_8identityEEEEENSD_19counting_iterator_tIlEES8_S8_S8_S8_S8_S8_S8_S8_EEEEPS9_S9_NSD_9__find_if7functorIS9_EEEE10hipError_tPvRmT1_T2_T3_mT4_P12ihipStream_tbEUlT_E1_NS1_11comp_targetILNS1_3genE8ELNS1_11target_archE1030ELNS1_3gpuE2ELNS1_3repE0EEENS1_30default_config_static_selectorELNS0_4arch9wavefront6targetE0EEEvS14_,"axG",@progbits,_ZN7rocprim17ROCPRIM_400000_NS6detail17trampoline_kernelINS0_14default_configENS1_22reduce_config_selectorIN6thrust23THRUST_200600_302600_NS5tupleIblNS6_9null_typeES8_S8_S8_S8_S8_S8_S8_EEEEZNS1_11reduce_implILb1ES3_NS6_12zip_iteratorINS7_INS6_11hip_rocprim26transform_input_iterator_tIbNSD_35transform_pair_of_input_iterators_tIbNS6_6detail15normal_iteratorINS6_10device_ptrIKjEEEESL_NS6_8equal_toIjEEEENSG_9not_fun_tINSD_8identityEEEEENSD_19counting_iterator_tIlEES8_S8_S8_S8_S8_S8_S8_S8_EEEEPS9_S9_NSD_9__find_if7functorIS9_EEEE10hipError_tPvRmT1_T2_T3_mT4_P12ihipStream_tbEUlT_E1_NS1_11comp_targetILNS1_3genE8ELNS1_11target_archE1030ELNS1_3gpuE2ELNS1_3repE0EEENS1_30default_config_static_selectorELNS0_4arch9wavefront6targetE0EEEvS14_,comdat
.Lfunc_end221:
	.size	_ZN7rocprim17ROCPRIM_400000_NS6detail17trampoline_kernelINS0_14default_configENS1_22reduce_config_selectorIN6thrust23THRUST_200600_302600_NS5tupleIblNS6_9null_typeES8_S8_S8_S8_S8_S8_S8_EEEEZNS1_11reduce_implILb1ES3_NS6_12zip_iteratorINS7_INS6_11hip_rocprim26transform_input_iterator_tIbNSD_35transform_pair_of_input_iterators_tIbNS6_6detail15normal_iteratorINS6_10device_ptrIKjEEEESL_NS6_8equal_toIjEEEENSG_9not_fun_tINSD_8identityEEEEENSD_19counting_iterator_tIlEES8_S8_S8_S8_S8_S8_S8_S8_EEEEPS9_S9_NSD_9__find_if7functorIS9_EEEE10hipError_tPvRmT1_T2_T3_mT4_P12ihipStream_tbEUlT_E1_NS1_11comp_targetILNS1_3genE8ELNS1_11target_archE1030ELNS1_3gpuE2ELNS1_3repE0EEENS1_30default_config_static_selectorELNS0_4arch9wavefront6targetE0EEEvS14_, .Lfunc_end221-_ZN7rocprim17ROCPRIM_400000_NS6detail17trampoline_kernelINS0_14default_configENS1_22reduce_config_selectorIN6thrust23THRUST_200600_302600_NS5tupleIblNS6_9null_typeES8_S8_S8_S8_S8_S8_S8_EEEEZNS1_11reduce_implILb1ES3_NS6_12zip_iteratorINS7_INS6_11hip_rocprim26transform_input_iterator_tIbNSD_35transform_pair_of_input_iterators_tIbNS6_6detail15normal_iteratorINS6_10device_ptrIKjEEEESL_NS6_8equal_toIjEEEENSG_9not_fun_tINSD_8identityEEEEENSD_19counting_iterator_tIlEES8_S8_S8_S8_S8_S8_S8_S8_EEEEPS9_S9_NSD_9__find_if7functorIS9_EEEE10hipError_tPvRmT1_T2_T3_mT4_P12ihipStream_tbEUlT_E1_NS1_11comp_targetILNS1_3genE8ELNS1_11target_archE1030ELNS1_3gpuE2ELNS1_3repE0EEENS1_30default_config_static_selectorELNS0_4arch9wavefront6targetE0EEEvS14_
                                        ; -- End function
	.set _ZN7rocprim17ROCPRIM_400000_NS6detail17trampoline_kernelINS0_14default_configENS1_22reduce_config_selectorIN6thrust23THRUST_200600_302600_NS5tupleIblNS6_9null_typeES8_S8_S8_S8_S8_S8_S8_EEEEZNS1_11reduce_implILb1ES3_NS6_12zip_iteratorINS7_INS6_11hip_rocprim26transform_input_iterator_tIbNSD_35transform_pair_of_input_iterators_tIbNS6_6detail15normal_iteratorINS6_10device_ptrIKjEEEESL_NS6_8equal_toIjEEEENSG_9not_fun_tINSD_8identityEEEEENSD_19counting_iterator_tIlEES8_S8_S8_S8_S8_S8_S8_S8_EEEEPS9_S9_NSD_9__find_if7functorIS9_EEEE10hipError_tPvRmT1_T2_T3_mT4_P12ihipStream_tbEUlT_E1_NS1_11comp_targetILNS1_3genE8ELNS1_11target_archE1030ELNS1_3gpuE2ELNS1_3repE0EEENS1_30default_config_static_selectorELNS0_4arch9wavefront6targetE0EEEvS14_.num_vgpr, 27
	.set _ZN7rocprim17ROCPRIM_400000_NS6detail17trampoline_kernelINS0_14default_configENS1_22reduce_config_selectorIN6thrust23THRUST_200600_302600_NS5tupleIblNS6_9null_typeES8_S8_S8_S8_S8_S8_S8_EEEEZNS1_11reduce_implILb1ES3_NS6_12zip_iteratorINS7_INS6_11hip_rocprim26transform_input_iterator_tIbNSD_35transform_pair_of_input_iterators_tIbNS6_6detail15normal_iteratorINS6_10device_ptrIKjEEEESL_NS6_8equal_toIjEEEENSG_9not_fun_tINSD_8identityEEEEENSD_19counting_iterator_tIlEES8_S8_S8_S8_S8_S8_S8_S8_EEEEPS9_S9_NSD_9__find_if7functorIS9_EEEE10hipError_tPvRmT1_T2_T3_mT4_P12ihipStream_tbEUlT_E1_NS1_11comp_targetILNS1_3genE8ELNS1_11target_archE1030ELNS1_3gpuE2ELNS1_3repE0EEENS1_30default_config_static_selectorELNS0_4arch9wavefront6targetE0EEEvS14_.num_agpr, 0
	.set _ZN7rocprim17ROCPRIM_400000_NS6detail17trampoline_kernelINS0_14default_configENS1_22reduce_config_selectorIN6thrust23THRUST_200600_302600_NS5tupleIblNS6_9null_typeES8_S8_S8_S8_S8_S8_S8_EEEEZNS1_11reduce_implILb1ES3_NS6_12zip_iteratorINS7_INS6_11hip_rocprim26transform_input_iterator_tIbNSD_35transform_pair_of_input_iterators_tIbNS6_6detail15normal_iteratorINS6_10device_ptrIKjEEEESL_NS6_8equal_toIjEEEENSG_9not_fun_tINSD_8identityEEEEENSD_19counting_iterator_tIlEES8_S8_S8_S8_S8_S8_S8_S8_EEEEPS9_S9_NSD_9__find_if7functorIS9_EEEE10hipError_tPvRmT1_T2_T3_mT4_P12ihipStream_tbEUlT_E1_NS1_11comp_targetILNS1_3genE8ELNS1_11target_archE1030ELNS1_3gpuE2ELNS1_3repE0EEENS1_30default_config_static_selectorELNS0_4arch9wavefront6targetE0EEEvS14_.numbered_sgpr, 32
	.set _ZN7rocprim17ROCPRIM_400000_NS6detail17trampoline_kernelINS0_14default_configENS1_22reduce_config_selectorIN6thrust23THRUST_200600_302600_NS5tupleIblNS6_9null_typeES8_S8_S8_S8_S8_S8_S8_EEEEZNS1_11reduce_implILb1ES3_NS6_12zip_iteratorINS7_INS6_11hip_rocprim26transform_input_iterator_tIbNSD_35transform_pair_of_input_iterators_tIbNS6_6detail15normal_iteratorINS6_10device_ptrIKjEEEESL_NS6_8equal_toIjEEEENSG_9not_fun_tINSD_8identityEEEEENSD_19counting_iterator_tIlEES8_S8_S8_S8_S8_S8_S8_S8_EEEEPS9_S9_NSD_9__find_if7functorIS9_EEEE10hipError_tPvRmT1_T2_T3_mT4_P12ihipStream_tbEUlT_E1_NS1_11comp_targetILNS1_3genE8ELNS1_11target_archE1030ELNS1_3gpuE2ELNS1_3repE0EEENS1_30default_config_static_selectorELNS0_4arch9wavefront6targetE0EEEvS14_.num_named_barrier, 0
	.set _ZN7rocprim17ROCPRIM_400000_NS6detail17trampoline_kernelINS0_14default_configENS1_22reduce_config_selectorIN6thrust23THRUST_200600_302600_NS5tupleIblNS6_9null_typeES8_S8_S8_S8_S8_S8_S8_EEEEZNS1_11reduce_implILb1ES3_NS6_12zip_iteratorINS7_INS6_11hip_rocprim26transform_input_iterator_tIbNSD_35transform_pair_of_input_iterators_tIbNS6_6detail15normal_iteratorINS6_10device_ptrIKjEEEESL_NS6_8equal_toIjEEEENSG_9not_fun_tINSD_8identityEEEEENSD_19counting_iterator_tIlEES8_S8_S8_S8_S8_S8_S8_S8_EEEEPS9_S9_NSD_9__find_if7functorIS9_EEEE10hipError_tPvRmT1_T2_T3_mT4_P12ihipStream_tbEUlT_E1_NS1_11comp_targetILNS1_3genE8ELNS1_11target_archE1030ELNS1_3gpuE2ELNS1_3repE0EEENS1_30default_config_static_selectorELNS0_4arch9wavefront6targetE0EEEvS14_.private_seg_size, 0
	.set _ZN7rocprim17ROCPRIM_400000_NS6detail17trampoline_kernelINS0_14default_configENS1_22reduce_config_selectorIN6thrust23THRUST_200600_302600_NS5tupleIblNS6_9null_typeES8_S8_S8_S8_S8_S8_S8_EEEEZNS1_11reduce_implILb1ES3_NS6_12zip_iteratorINS7_INS6_11hip_rocprim26transform_input_iterator_tIbNSD_35transform_pair_of_input_iterators_tIbNS6_6detail15normal_iteratorINS6_10device_ptrIKjEEEESL_NS6_8equal_toIjEEEENSG_9not_fun_tINSD_8identityEEEEENSD_19counting_iterator_tIlEES8_S8_S8_S8_S8_S8_S8_S8_EEEEPS9_S9_NSD_9__find_if7functorIS9_EEEE10hipError_tPvRmT1_T2_T3_mT4_P12ihipStream_tbEUlT_E1_NS1_11comp_targetILNS1_3genE8ELNS1_11target_archE1030ELNS1_3gpuE2ELNS1_3repE0EEENS1_30default_config_static_selectorELNS0_4arch9wavefront6targetE0EEEvS14_.uses_vcc, 1
	.set _ZN7rocprim17ROCPRIM_400000_NS6detail17trampoline_kernelINS0_14default_configENS1_22reduce_config_selectorIN6thrust23THRUST_200600_302600_NS5tupleIblNS6_9null_typeES8_S8_S8_S8_S8_S8_S8_EEEEZNS1_11reduce_implILb1ES3_NS6_12zip_iteratorINS7_INS6_11hip_rocprim26transform_input_iterator_tIbNSD_35transform_pair_of_input_iterators_tIbNS6_6detail15normal_iteratorINS6_10device_ptrIKjEEEESL_NS6_8equal_toIjEEEENSG_9not_fun_tINSD_8identityEEEEENSD_19counting_iterator_tIlEES8_S8_S8_S8_S8_S8_S8_S8_EEEEPS9_S9_NSD_9__find_if7functorIS9_EEEE10hipError_tPvRmT1_T2_T3_mT4_P12ihipStream_tbEUlT_E1_NS1_11comp_targetILNS1_3genE8ELNS1_11target_archE1030ELNS1_3gpuE2ELNS1_3repE0EEENS1_30default_config_static_selectorELNS0_4arch9wavefront6targetE0EEEvS14_.uses_flat_scratch, 0
	.set _ZN7rocprim17ROCPRIM_400000_NS6detail17trampoline_kernelINS0_14default_configENS1_22reduce_config_selectorIN6thrust23THRUST_200600_302600_NS5tupleIblNS6_9null_typeES8_S8_S8_S8_S8_S8_S8_EEEEZNS1_11reduce_implILb1ES3_NS6_12zip_iteratorINS7_INS6_11hip_rocprim26transform_input_iterator_tIbNSD_35transform_pair_of_input_iterators_tIbNS6_6detail15normal_iteratorINS6_10device_ptrIKjEEEESL_NS6_8equal_toIjEEEENSG_9not_fun_tINSD_8identityEEEEENSD_19counting_iterator_tIlEES8_S8_S8_S8_S8_S8_S8_S8_EEEEPS9_S9_NSD_9__find_if7functorIS9_EEEE10hipError_tPvRmT1_T2_T3_mT4_P12ihipStream_tbEUlT_E1_NS1_11comp_targetILNS1_3genE8ELNS1_11target_archE1030ELNS1_3gpuE2ELNS1_3repE0EEENS1_30default_config_static_selectorELNS0_4arch9wavefront6targetE0EEEvS14_.has_dyn_sized_stack, 0
	.set _ZN7rocprim17ROCPRIM_400000_NS6detail17trampoline_kernelINS0_14default_configENS1_22reduce_config_selectorIN6thrust23THRUST_200600_302600_NS5tupleIblNS6_9null_typeES8_S8_S8_S8_S8_S8_S8_EEEEZNS1_11reduce_implILb1ES3_NS6_12zip_iteratorINS7_INS6_11hip_rocprim26transform_input_iterator_tIbNSD_35transform_pair_of_input_iterators_tIbNS6_6detail15normal_iteratorINS6_10device_ptrIKjEEEESL_NS6_8equal_toIjEEEENSG_9not_fun_tINSD_8identityEEEEENSD_19counting_iterator_tIlEES8_S8_S8_S8_S8_S8_S8_S8_EEEEPS9_S9_NSD_9__find_if7functorIS9_EEEE10hipError_tPvRmT1_T2_T3_mT4_P12ihipStream_tbEUlT_E1_NS1_11comp_targetILNS1_3genE8ELNS1_11target_archE1030ELNS1_3gpuE2ELNS1_3repE0EEENS1_30default_config_static_selectorELNS0_4arch9wavefront6targetE0EEEvS14_.has_recursion, 0
	.set _ZN7rocprim17ROCPRIM_400000_NS6detail17trampoline_kernelINS0_14default_configENS1_22reduce_config_selectorIN6thrust23THRUST_200600_302600_NS5tupleIblNS6_9null_typeES8_S8_S8_S8_S8_S8_S8_EEEEZNS1_11reduce_implILb1ES3_NS6_12zip_iteratorINS7_INS6_11hip_rocprim26transform_input_iterator_tIbNSD_35transform_pair_of_input_iterators_tIbNS6_6detail15normal_iteratorINS6_10device_ptrIKjEEEESL_NS6_8equal_toIjEEEENSG_9not_fun_tINSD_8identityEEEEENSD_19counting_iterator_tIlEES8_S8_S8_S8_S8_S8_S8_S8_EEEEPS9_S9_NSD_9__find_if7functorIS9_EEEE10hipError_tPvRmT1_T2_T3_mT4_P12ihipStream_tbEUlT_E1_NS1_11comp_targetILNS1_3genE8ELNS1_11target_archE1030ELNS1_3gpuE2ELNS1_3repE0EEENS1_30default_config_static_selectorELNS0_4arch9wavefront6targetE0EEEvS14_.has_indirect_call, 0
	.section	.AMDGPU.csdata,"",@progbits
; Kernel info:
; codeLenInByte = 14960
; TotalNumSgprs: 34
; NumVgprs: 27
; ScratchSize: 0
; MemoryBound: 0
; FloatMode: 240
; IeeeMode: 1
; LDSByteSize: 640 bytes/workgroup (compile time only)
; SGPRBlocks: 0
; VGPRBlocks: 3
; NumSGPRsForWavesPerEU: 34
; NumVGPRsForWavesPerEU: 27
; Occupancy: 16
; WaveLimiterHint : 0
; COMPUTE_PGM_RSRC2:SCRATCH_EN: 0
; COMPUTE_PGM_RSRC2:USER_SGPR: 6
; COMPUTE_PGM_RSRC2:TRAP_HANDLER: 0
; COMPUTE_PGM_RSRC2:TGID_X_EN: 1
; COMPUTE_PGM_RSRC2:TGID_Y_EN: 0
; COMPUTE_PGM_RSRC2:TGID_Z_EN: 0
; COMPUTE_PGM_RSRC2:TIDIG_COMP_CNT: 0
	.section	.text._ZN6thrust23THRUST_200600_302600_NS11hip_rocprim14__parallel_for6kernelILj256ENS1_20__uninitialized_fill7functorINS0_10device_ptrItEEtEEmLj1EEEvT0_T1_SA_,"axG",@progbits,_ZN6thrust23THRUST_200600_302600_NS11hip_rocprim14__parallel_for6kernelILj256ENS1_20__uninitialized_fill7functorINS0_10device_ptrItEEtEEmLj1EEEvT0_T1_SA_,comdat
	.protected	_ZN6thrust23THRUST_200600_302600_NS11hip_rocprim14__parallel_for6kernelILj256ENS1_20__uninitialized_fill7functorINS0_10device_ptrItEEtEEmLj1EEEvT0_T1_SA_ ; -- Begin function _ZN6thrust23THRUST_200600_302600_NS11hip_rocprim14__parallel_for6kernelILj256ENS1_20__uninitialized_fill7functorINS0_10device_ptrItEEtEEmLj1EEEvT0_T1_SA_
	.globl	_ZN6thrust23THRUST_200600_302600_NS11hip_rocprim14__parallel_for6kernelILj256ENS1_20__uninitialized_fill7functorINS0_10device_ptrItEEtEEmLj1EEEvT0_T1_SA_
	.p2align	8
	.type	_ZN6thrust23THRUST_200600_302600_NS11hip_rocprim14__parallel_for6kernelILj256ENS1_20__uninitialized_fill7functorINS0_10device_ptrItEEtEEmLj1EEEvT0_T1_SA_,@function
_ZN6thrust23THRUST_200600_302600_NS11hip_rocprim14__parallel_for6kernelILj256ENS1_20__uninitialized_fill7functorINS0_10device_ptrItEEtEEmLj1EEEvT0_T1_SA_: ; @_ZN6thrust23THRUST_200600_302600_NS11hip_rocprim14__parallel_for6kernelILj256ENS1_20__uninitialized_fill7functorINS0_10device_ptrItEEtEEmLj1EEEvT0_T1_SA_
; %bb.0:
	s_clause 0x2
	s_load_dwordx4 s[8:11], s[4:5], 0x10
	s_load_dwordx2 s[0:1], s[4:5], 0x0
	s_load_dword s7, s[4:5], 0x8
	s_lshl_b32 s2, s6, 8
	s_waitcnt lgkmcnt(0)
	s_add_u32 s2, s10, s2
	s_addc_u32 s3, s11, 0
	s_sub_u32 s4, s8, s2
	s_subb_u32 s5, s9, s3
	v_cmp_lt_u64_e64 s5, 0xff, s[4:5]
	s_and_b32 vcc_lo, exec_lo, s5
	s_mov_b32 s5, -1
	s_cbranch_vccz .LBB222_3
; %bb.1:
	s_andn2_b32 vcc_lo, exec_lo, s5
	s_cbranch_vccz .LBB222_6
.LBB222_2:
	s_endpgm
.LBB222_3:
	v_cmp_gt_u32_e32 vcc_lo, s4, v0
	s_and_saveexec_b32 s4, vcc_lo
	s_cbranch_execz .LBB222_5
; %bb.4:
	v_lshlrev_b32_e32 v1, 1, v0
	s_lshl_b64 s[8:9], s[2:3], 1
	v_mov_b32_e32 v3, s7
	s_add_u32 s5, s0, s8
	s_addc_u32 s6, s1, s9
	v_add_co_u32 v1, s5, s5, v1
	v_add_co_ci_u32_e64 v2, null, s6, 0, s5
	flat_store_short v[1:2], v3
.LBB222_5:
	s_or_b32 exec_lo, exec_lo, s4
	s_cbranch_execnz .LBB222_2
.LBB222_6:
	v_lshlrev_b32_e32 v0, 1, v0
	s_lshl_b64 s[2:3], s[2:3], 1
	v_mov_b32_e32 v2, s7
	s_add_u32 s0, s0, s2
	s_addc_u32 s1, s1, s3
	v_add_co_u32 v0, s0, s0, v0
	v_add_co_ci_u32_e64 v1, null, s1, 0, s0
	flat_store_short v[0:1], v2
	s_endpgm
	.section	.rodata,"a",@progbits
	.p2align	6, 0x0
	.amdhsa_kernel _ZN6thrust23THRUST_200600_302600_NS11hip_rocprim14__parallel_for6kernelILj256ENS1_20__uninitialized_fill7functorINS0_10device_ptrItEEtEEmLj1EEEvT0_T1_SA_
		.amdhsa_group_segment_fixed_size 0
		.amdhsa_private_segment_fixed_size 0
		.amdhsa_kernarg_size 32
		.amdhsa_user_sgpr_count 6
		.amdhsa_user_sgpr_private_segment_buffer 1
		.amdhsa_user_sgpr_dispatch_ptr 0
		.amdhsa_user_sgpr_queue_ptr 0
		.amdhsa_user_sgpr_kernarg_segment_ptr 1
		.amdhsa_user_sgpr_dispatch_id 0
		.amdhsa_user_sgpr_flat_scratch_init 0
		.amdhsa_user_sgpr_private_segment_size 0
		.amdhsa_wavefront_size32 1
		.amdhsa_uses_dynamic_stack 0
		.amdhsa_system_sgpr_private_segment_wavefront_offset 0
		.amdhsa_system_sgpr_workgroup_id_x 1
		.amdhsa_system_sgpr_workgroup_id_y 0
		.amdhsa_system_sgpr_workgroup_id_z 0
		.amdhsa_system_sgpr_workgroup_info 0
		.amdhsa_system_vgpr_workitem_id 0
		.amdhsa_next_free_vgpr 4
		.amdhsa_next_free_sgpr 12
		.amdhsa_reserve_vcc 1
		.amdhsa_reserve_flat_scratch 0
		.amdhsa_float_round_mode_32 0
		.amdhsa_float_round_mode_16_64 0
		.amdhsa_float_denorm_mode_32 3
		.amdhsa_float_denorm_mode_16_64 3
		.amdhsa_dx10_clamp 1
		.amdhsa_ieee_mode 1
		.amdhsa_fp16_overflow 0
		.amdhsa_workgroup_processor_mode 1
		.amdhsa_memory_ordered 1
		.amdhsa_forward_progress 1
		.amdhsa_shared_vgpr_count 0
		.amdhsa_exception_fp_ieee_invalid_op 0
		.amdhsa_exception_fp_denorm_src 0
		.amdhsa_exception_fp_ieee_div_zero 0
		.amdhsa_exception_fp_ieee_overflow 0
		.amdhsa_exception_fp_ieee_underflow 0
		.amdhsa_exception_fp_ieee_inexact 0
		.amdhsa_exception_int_div_zero 0
	.end_amdhsa_kernel
	.section	.text._ZN6thrust23THRUST_200600_302600_NS11hip_rocprim14__parallel_for6kernelILj256ENS1_20__uninitialized_fill7functorINS0_10device_ptrItEEtEEmLj1EEEvT0_T1_SA_,"axG",@progbits,_ZN6thrust23THRUST_200600_302600_NS11hip_rocprim14__parallel_for6kernelILj256ENS1_20__uninitialized_fill7functorINS0_10device_ptrItEEtEEmLj1EEEvT0_T1_SA_,comdat
.Lfunc_end222:
	.size	_ZN6thrust23THRUST_200600_302600_NS11hip_rocprim14__parallel_for6kernelILj256ENS1_20__uninitialized_fill7functorINS0_10device_ptrItEEtEEmLj1EEEvT0_T1_SA_, .Lfunc_end222-_ZN6thrust23THRUST_200600_302600_NS11hip_rocprim14__parallel_for6kernelILj256ENS1_20__uninitialized_fill7functorINS0_10device_ptrItEEtEEmLj1EEEvT0_T1_SA_
                                        ; -- End function
	.set _ZN6thrust23THRUST_200600_302600_NS11hip_rocprim14__parallel_for6kernelILj256ENS1_20__uninitialized_fill7functorINS0_10device_ptrItEEtEEmLj1EEEvT0_T1_SA_.num_vgpr, 4
	.set _ZN6thrust23THRUST_200600_302600_NS11hip_rocprim14__parallel_for6kernelILj256ENS1_20__uninitialized_fill7functorINS0_10device_ptrItEEtEEmLj1EEEvT0_T1_SA_.num_agpr, 0
	.set _ZN6thrust23THRUST_200600_302600_NS11hip_rocprim14__parallel_for6kernelILj256ENS1_20__uninitialized_fill7functorINS0_10device_ptrItEEtEEmLj1EEEvT0_T1_SA_.numbered_sgpr, 12
	.set _ZN6thrust23THRUST_200600_302600_NS11hip_rocprim14__parallel_for6kernelILj256ENS1_20__uninitialized_fill7functorINS0_10device_ptrItEEtEEmLj1EEEvT0_T1_SA_.num_named_barrier, 0
	.set _ZN6thrust23THRUST_200600_302600_NS11hip_rocprim14__parallel_for6kernelILj256ENS1_20__uninitialized_fill7functorINS0_10device_ptrItEEtEEmLj1EEEvT0_T1_SA_.private_seg_size, 0
	.set _ZN6thrust23THRUST_200600_302600_NS11hip_rocprim14__parallel_for6kernelILj256ENS1_20__uninitialized_fill7functorINS0_10device_ptrItEEtEEmLj1EEEvT0_T1_SA_.uses_vcc, 1
	.set _ZN6thrust23THRUST_200600_302600_NS11hip_rocprim14__parallel_for6kernelILj256ENS1_20__uninitialized_fill7functorINS0_10device_ptrItEEtEEmLj1EEEvT0_T1_SA_.uses_flat_scratch, 0
	.set _ZN6thrust23THRUST_200600_302600_NS11hip_rocprim14__parallel_for6kernelILj256ENS1_20__uninitialized_fill7functorINS0_10device_ptrItEEtEEmLj1EEEvT0_T1_SA_.has_dyn_sized_stack, 0
	.set _ZN6thrust23THRUST_200600_302600_NS11hip_rocprim14__parallel_for6kernelILj256ENS1_20__uninitialized_fill7functorINS0_10device_ptrItEEtEEmLj1EEEvT0_T1_SA_.has_recursion, 0
	.set _ZN6thrust23THRUST_200600_302600_NS11hip_rocprim14__parallel_for6kernelILj256ENS1_20__uninitialized_fill7functorINS0_10device_ptrItEEtEEmLj1EEEvT0_T1_SA_.has_indirect_call, 0
	.section	.AMDGPU.csdata,"",@progbits
; Kernel info:
; codeLenInByte = 200
; TotalNumSgprs: 14
; NumVgprs: 4
; ScratchSize: 0
; MemoryBound: 0
; FloatMode: 240
; IeeeMode: 1
; LDSByteSize: 0 bytes/workgroup (compile time only)
; SGPRBlocks: 0
; VGPRBlocks: 0
; NumSGPRsForWavesPerEU: 14
; NumVGPRsForWavesPerEU: 4
; Occupancy: 16
; WaveLimiterHint : 0
; COMPUTE_PGM_RSRC2:SCRATCH_EN: 0
; COMPUTE_PGM_RSRC2:USER_SGPR: 6
; COMPUTE_PGM_RSRC2:TRAP_HANDLER: 0
; COMPUTE_PGM_RSRC2:TGID_X_EN: 1
; COMPUTE_PGM_RSRC2:TGID_Y_EN: 0
; COMPUTE_PGM_RSRC2:TGID_Z_EN: 0
; COMPUTE_PGM_RSRC2:TIDIG_COMP_CNT: 0
	.section	.text._ZN7rocprim17ROCPRIM_400000_NS6detail44device_merge_sort_compile_time_verifier_archINS1_11comp_targetILNS1_3genE0ELNS1_11target_archE4294967295ELNS1_3gpuE0ELNS1_3repE0EEES8_NS0_14default_configES9_NS1_37merge_sort_block_sort_config_selectorItNS0_10empty_typeEEENS1_38merge_sort_block_merge_config_selectorItSB_EEEEvv,"axG",@progbits,_ZN7rocprim17ROCPRIM_400000_NS6detail44device_merge_sort_compile_time_verifier_archINS1_11comp_targetILNS1_3genE0ELNS1_11target_archE4294967295ELNS1_3gpuE0ELNS1_3repE0EEES8_NS0_14default_configES9_NS1_37merge_sort_block_sort_config_selectorItNS0_10empty_typeEEENS1_38merge_sort_block_merge_config_selectorItSB_EEEEvv,comdat
	.protected	_ZN7rocprim17ROCPRIM_400000_NS6detail44device_merge_sort_compile_time_verifier_archINS1_11comp_targetILNS1_3genE0ELNS1_11target_archE4294967295ELNS1_3gpuE0ELNS1_3repE0EEES8_NS0_14default_configES9_NS1_37merge_sort_block_sort_config_selectorItNS0_10empty_typeEEENS1_38merge_sort_block_merge_config_selectorItSB_EEEEvv ; -- Begin function _ZN7rocprim17ROCPRIM_400000_NS6detail44device_merge_sort_compile_time_verifier_archINS1_11comp_targetILNS1_3genE0ELNS1_11target_archE4294967295ELNS1_3gpuE0ELNS1_3repE0EEES8_NS0_14default_configES9_NS1_37merge_sort_block_sort_config_selectorItNS0_10empty_typeEEENS1_38merge_sort_block_merge_config_selectorItSB_EEEEvv
	.globl	_ZN7rocprim17ROCPRIM_400000_NS6detail44device_merge_sort_compile_time_verifier_archINS1_11comp_targetILNS1_3genE0ELNS1_11target_archE4294967295ELNS1_3gpuE0ELNS1_3repE0EEES8_NS0_14default_configES9_NS1_37merge_sort_block_sort_config_selectorItNS0_10empty_typeEEENS1_38merge_sort_block_merge_config_selectorItSB_EEEEvv
	.p2align	8
	.type	_ZN7rocprim17ROCPRIM_400000_NS6detail44device_merge_sort_compile_time_verifier_archINS1_11comp_targetILNS1_3genE0ELNS1_11target_archE4294967295ELNS1_3gpuE0ELNS1_3repE0EEES8_NS0_14default_configES9_NS1_37merge_sort_block_sort_config_selectorItNS0_10empty_typeEEENS1_38merge_sort_block_merge_config_selectorItSB_EEEEvv,@function
_ZN7rocprim17ROCPRIM_400000_NS6detail44device_merge_sort_compile_time_verifier_archINS1_11comp_targetILNS1_3genE0ELNS1_11target_archE4294967295ELNS1_3gpuE0ELNS1_3repE0EEES8_NS0_14default_configES9_NS1_37merge_sort_block_sort_config_selectorItNS0_10empty_typeEEENS1_38merge_sort_block_merge_config_selectorItSB_EEEEvv: ; @_ZN7rocprim17ROCPRIM_400000_NS6detail44device_merge_sort_compile_time_verifier_archINS1_11comp_targetILNS1_3genE0ELNS1_11target_archE4294967295ELNS1_3gpuE0ELNS1_3repE0EEES8_NS0_14default_configES9_NS1_37merge_sort_block_sort_config_selectorItNS0_10empty_typeEEENS1_38merge_sort_block_merge_config_selectorItSB_EEEEvv
; %bb.0:
	s_endpgm
	.section	.rodata,"a",@progbits
	.p2align	6, 0x0
	.amdhsa_kernel _ZN7rocprim17ROCPRIM_400000_NS6detail44device_merge_sort_compile_time_verifier_archINS1_11comp_targetILNS1_3genE0ELNS1_11target_archE4294967295ELNS1_3gpuE0ELNS1_3repE0EEES8_NS0_14default_configES9_NS1_37merge_sort_block_sort_config_selectorItNS0_10empty_typeEEENS1_38merge_sort_block_merge_config_selectorItSB_EEEEvv
		.amdhsa_group_segment_fixed_size 0
		.amdhsa_private_segment_fixed_size 0
		.amdhsa_kernarg_size 0
		.amdhsa_user_sgpr_count 4
		.amdhsa_user_sgpr_private_segment_buffer 1
		.amdhsa_user_sgpr_dispatch_ptr 0
		.amdhsa_user_sgpr_queue_ptr 0
		.amdhsa_user_sgpr_kernarg_segment_ptr 0
		.amdhsa_user_sgpr_dispatch_id 0
		.amdhsa_user_sgpr_flat_scratch_init 0
		.amdhsa_user_sgpr_private_segment_size 0
		.amdhsa_wavefront_size32 1
		.amdhsa_uses_dynamic_stack 0
		.amdhsa_system_sgpr_private_segment_wavefront_offset 0
		.amdhsa_system_sgpr_workgroup_id_x 1
		.amdhsa_system_sgpr_workgroup_id_y 0
		.amdhsa_system_sgpr_workgroup_id_z 0
		.amdhsa_system_sgpr_workgroup_info 0
		.amdhsa_system_vgpr_workitem_id 0
		.amdhsa_next_free_vgpr 1
		.amdhsa_next_free_sgpr 1
		.amdhsa_reserve_vcc 0
		.amdhsa_reserve_flat_scratch 0
		.amdhsa_float_round_mode_32 0
		.amdhsa_float_round_mode_16_64 0
		.amdhsa_float_denorm_mode_32 3
		.amdhsa_float_denorm_mode_16_64 3
		.amdhsa_dx10_clamp 1
		.amdhsa_ieee_mode 1
		.amdhsa_fp16_overflow 0
		.amdhsa_workgroup_processor_mode 1
		.amdhsa_memory_ordered 1
		.amdhsa_forward_progress 1
		.amdhsa_shared_vgpr_count 0
		.amdhsa_exception_fp_ieee_invalid_op 0
		.amdhsa_exception_fp_denorm_src 0
		.amdhsa_exception_fp_ieee_div_zero 0
		.amdhsa_exception_fp_ieee_overflow 0
		.amdhsa_exception_fp_ieee_underflow 0
		.amdhsa_exception_fp_ieee_inexact 0
		.amdhsa_exception_int_div_zero 0
	.end_amdhsa_kernel
	.section	.text._ZN7rocprim17ROCPRIM_400000_NS6detail44device_merge_sort_compile_time_verifier_archINS1_11comp_targetILNS1_3genE0ELNS1_11target_archE4294967295ELNS1_3gpuE0ELNS1_3repE0EEES8_NS0_14default_configES9_NS1_37merge_sort_block_sort_config_selectorItNS0_10empty_typeEEENS1_38merge_sort_block_merge_config_selectorItSB_EEEEvv,"axG",@progbits,_ZN7rocprim17ROCPRIM_400000_NS6detail44device_merge_sort_compile_time_verifier_archINS1_11comp_targetILNS1_3genE0ELNS1_11target_archE4294967295ELNS1_3gpuE0ELNS1_3repE0EEES8_NS0_14default_configES9_NS1_37merge_sort_block_sort_config_selectorItNS0_10empty_typeEEENS1_38merge_sort_block_merge_config_selectorItSB_EEEEvv,comdat
.Lfunc_end223:
	.size	_ZN7rocprim17ROCPRIM_400000_NS6detail44device_merge_sort_compile_time_verifier_archINS1_11comp_targetILNS1_3genE0ELNS1_11target_archE4294967295ELNS1_3gpuE0ELNS1_3repE0EEES8_NS0_14default_configES9_NS1_37merge_sort_block_sort_config_selectorItNS0_10empty_typeEEENS1_38merge_sort_block_merge_config_selectorItSB_EEEEvv, .Lfunc_end223-_ZN7rocprim17ROCPRIM_400000_NS6detail44device_merge_sort_compile_time_verifier_archINS1_11comp_targetILNS1_3genE0ELNS1_11target_archE4294967295ELNS1_3gpuE0ELNS1_3repE0EEES8_NS0_14default_configES9_NS1_37merge_sort_block_sort_config_selectorItNS0_10empty_typeEEENS1_38merge_sort_block_merge_config_selectorItSB_EEEEvv
                                        ; -- End function
	.set _ZN7rocprim17ROCPRIM_400000_NS6detail44device_merge_sort_compile_time_verifier_archINS1_11comp_targetILNS1_3genE0ELNS1_11target_archE4294967295ELNS1_3gpuE0ELNS1_3repE0EEES8_NS0_14default_configES9_NS1_37merge_sort_block_sort_config_selectorItNS0_10empty_typeEEENS1_38merge_sort_block_merge_config_selectorItSB_EEEEvv.num_vgpr, 0
	.set _ZN7rocprim17ROCPRIM_400000_NS6detail44device_merge_sort_compile_time_verifier_archINS1_11comp_targetILNS1_3genE0ELNS1_11target_archE4294967295ELNS1_3gpuE0ELNS1_3repE0EEES8_NS0_14default_configES9_NS1_37merge_sort_block_sort_config_selectorItNS0_10empty_typeEEENS1_38merge_sort_block_merge_config_selectorItSB_EEEEvv.num_agpr, 0
	.set _ZN7rocprim17ROCPRIM_400000_NS6detail44device_merge_sort_compile_time_verifier_archINS1_11comp_targetILNS1_3genE0ELNS1_11target_archE4294967295ELNS1_3gpuE0ELNS1_3repE0EEES8_NS0_14default_configES9_NS1_37merge_sort_block_sort_config_selectorItNS0_10empty_typeEEENS1_38merge_sort_block_merge_config_selectorItSB_EEEEvv.numbered_sgpr, 0
	.set _ZN7rocprim17ROCPRIM_400000_NS6detail44device_merge_sort_compile_time_verifier_archINS1_11comp_targetILNS1_3genE0ELNS1_11target_archE4294967295ELNS1_3gpuE0ELNS1_3repE0EEES8_NS0_14default_configES9_NS1_37merge_sort_block_sort_config_selectorItNS0_10empty_typeEEENS1_38merge_sort_block_merge_config_selectorItSB_EEEEvv.num_named_barrier, 0
	.set _ZN7rocprim17ROCPRIM_400000_NS6detail44device_merge_sort_compile_time_verifier_archINS1_11comp_targetILNS1_3genE0ELNS1_11target_archE4294967295ELNS1_3gpuE0ELNS1_3repE0EEES8_NS0_14default_configES9_NS1_37merge_sort_block_sort_config_selectorItNS0_10empty_typeEEENS1_38merge_sort_block_merge_config_selectorItSB_EEEEvv.private_seg_size, 0
	.set _ZN7rocprim17ROCPRIM_400000_NS6detail44device_merge_sort_compile_time_verifier_archINS1_11comp_targetILNS1_3genE0ELNS1_11target_archE4294967295ELNS1_3gpuE0ELNS1_3repE0EEES8_NS0_14default_configES9_NS1_37merge_sort_block_sort_config_selectorItNS0_10empty_typeEEENS1_38merge_sort_block_merge_config_selectorItSB_EEEEvv.uses_vcc, 0
	.set _ZN7rocprim17ROCPRIM_400000_NS6detail44device_merge_sort_compile_time_verifier_archINS1_11comp_targetILNS1_3genE0ELNS1_11target_archE4294967295ELNS1_3gpuE0ELNS1_3repE0EEES8_NS0_14default_configES9_NS1_37merge_sort_block_sort_config_selectorItNS0_10empty_typeEEENS1_38merge_sort_block_merge_config_selectorItSB_EEEEvv.uses_flat_scratch, 0
	.set _ZN7rocprim17ROCPRIM_400000_NS6detail44device_merge_sort_compile_time_verifier_archINS1_11comp_targetILNS1_3genE0ELNS1_11target_archE4294967295ELNS1_3gpuE0ELNS1_3repE0EEES8_NS0_14default_configES9_NS1_37merge_sort_block_sort_config_selectorItNS0_10empty_typeEEENS1_38merge_sort_block_merge_config_selectorItSB_EEEEvv.has_dyn_sized_stack, 0
	.set _ZN7rocprim17ROCPRIM_400000_NS6detail44device_merge_sort_compile_time_verifier_archINS1_11comp_targetILNS1_3genE0ELNS1_11target_archE4294967295ELNS1_3gpuE0ELNS1_3repE0EEES8_NS0_14default_configES9_NS1_37merge_sort_block_sort_config_selectorItNS0_10empty_typeEEENS1_38merge_sort_block_merge_config_selectorItSB_EEEEvv.has_recursion, 0
	.set _ZN7rocprim17ROCPRIM_400000_NS6detail44device_merge_sort_compile_time_verifier_archINS1_11comp_targetILNS1_3genE0ELNS1_11target_archE4294967295ELNS1_3gpuE0ELNS1_3repE0EEES8_NS0_14default_configES9_NS1_37merge_sort_block_sort_config_selectorItNS0_10empty_typeEEENS1_38merge_sort_block_merge_config_selectorItSB_EEEEvv.has_indirect_call, 0
	.section	.AMDGPU.csdata,"",@progbits
; Kernel info:
; codeLenInByte = 4
; TotalNumSgprs: 0
; NumVgprs: 0
; ScratchSize: 0
; MemoryBound: 0
; FloatMode: 240
; IeeeMode: 1
; LDSByteSize: 0 bytes/workgroup (compile time only)
; SGPRBlocks: 0
; VGPRBlocks: 0
; NumSGPRsForWavesPerEU: 1
; NumVGPRsForWavesPerEU: 1
; Occupancy: 16
; WaveLimiterHint : 0
; COMPUTE_PGM_RSRC2:SCRATCH_EN: 0
; COMPUTE_PGM_RSRC2:USER_SGPR: 4
; COMPUTE_PGM_RSRC2:TRAP_HANDLER: 0
; COMPUTE_PGM_RSRC2:TGID_X_EN: 1
; COMPUTE_PGM_RSRC2:TGID_Y_EN: 0
; COMPUTE_PGM_RSRC2:TGID_Z_EN: 0
; COMPUTE_PGM_RSRC2:TIDIG_COMP_CNT: 0
	.section	.text._ZN7rocprim17ROCPRIM_400000_NS6detail44device_merge_sort_compile_time_verifier_archINS1_11comp_targetILNS1_3genE5ELNS1_11target_archE942ELNS1_3gpuE9ELNS1_3repE0EEES8_NS0_14default_configES9_NS1_37merge_sort_block_sort_config_selectorItNS0_10empty_typeEEENS1_38merge_sort_block_merge_config_selectorItSB_EEEEvv,"axG",@progbits,_ZN7rocprim17ROCPRIM_400000_NS6detail44device_merge_sort_compile_time_verifier_archINS1_11comp_targetILNS1_3genE5ELNS1_11target_archE942ELNS1_3gpuE9ELNS1_3repE0EEES8_NS0_14default_configES9_NS1_37merge_sort_block_sort_config_selectorItNS0_10empty_typeEEENS1_38merge_sort_block_merge_config_selectorItSB_EEEEvv,comdat
	.protected	_ZN7rocprim17ROCPRIM_400000_NS6detail44device_merge_sort_compile_time_verifier_archINS1_11comp_targetILNS1_3genE5ELNS1_11target_archE942ELNS1_3gpuE9ELNS1_3repE0EEES8_NS0_14default_configES9_NS1_37merge_sort_block_sort_config_selectorItNS0_10empty_typeEEENS1_38merge_sort_block_merge_config_selectorItSB_EEEEvv ; -- Begin function _ZN7rocprim17ROCPRIM_400000_NS6detail44device_merge_sort_compile_time_verifier_archINS1_11comp_targetILNS1_3genE5ELNS1_11target_archE942ELNS1_3gpuE9ELNS1_3repE0EEES8_NS0_14default_configES9_NS1_37merge_sort_block_sort_config_selectorItNS0_10empty_typeEEENS1_38merge_sort_block_merge_config_selectorItSB_EEEEvv
	.globl	_ZN7rocprim17ROCPRIM_400000_NS6detail44device_merge_sort_compile_time_verifier_archINS1_11comp_targetILNS1_3genE5ELNS1_11target_archE942ELNS1_3gpuE9ELNS1_3repE0EEES8_NS0_14default_configES9_NS1_37merge_sort_block_sort_config_selectorItNS0_10empty_typeEEENS1_38merge_sort_block_merge_config_selectorItSB_EEEEvv
	.p2align	8
	.type	_ZN7rocprim17ROCPRIM_400000_NS6detail44device_merge_sort_compile_time_verifier_archINS1_11comp_targetILNS1_3genE5ELNS1_11target_archE942ELNS1_3gpuE9ELNS1_3repE0EEES8_NS0_14default_configES9_NS1_37merge_sort_block_sort_config_selectorItNS0_10empty_typeEEENS1_38merge_sort_block_merge_config_selectorItSB_EEEEvv,@function
_ZN7rocprim17ROCPRIM_400000_NS6detail44device_merge_sort_compile_time_verifier_archINS1_11comp_targetILNS1_3genE5ELNS1_11target_archE942ELNS1_3gpuE9ELNS1_3repE0EEES8_NS0_14default_configES9_NS1_37merge_sort_block_sort_config_selectorItNS0_10empty_typeEEENS1_38merge_sort_block_merge_config_selectorItSB_EEEEvv: ; @_ZN7rocprim17ROCPRIM_400000_NS6detail44device_merge_sort_compile_time_verifier_archINS1_11comp_targetILNS1_3genE5ELNS1_11target_archE942ELNS1_3gpuE9ELNS1_3repE0EEES8_NS0_14default_configES9_NS1_37merge_sort_block_sort_config_selectorItNS0_10empty_typeEEENS1_38merge_sort_block_merge_config_selectorItSB_EEEEvv
; %bb.0:
	s_endpgm
	.section	.rodata,"a",@progbits
	.p2align	6, 0x0
	.amdhsa_kernel _ZN7rocprim17ROCPRIM_400000_NS6detail44device_merge_sort_compile_time_verifier_archINS1_11comp_targetILNS1_3genE5ELNS1_11target_archE942ELNS1_3gpuE9ELNS1_3repE0EEES8_NS0_14default_configES9_NS1_37merge_sort_block_sort_config_selectorItNS0_10empty_typeEEENS1_38merge_sort_block_merge_config_selectorItSB_EEEEvv
		.amdhsa_group_segment_fixed_size 0
		.amdhsa_private_segment_fixed_size 0
		.amdhsa_kernarg_size 0
		.amdhsa_user_sgpr_count 4
		.amdhsa_user_sgpr_private_segment_buffer 1
		.amdhsa_user_sgpr_dispatch_ptr 0
		.amdhsa_user_sgpr_queue_ptr 0
		.amdhsa_user_sgpr_kernarg_segment_ptr 0
		.amdhsa_user_sgpr_dispatch_id 0
		.amdhsa_user_sgpr_flat_scratch_init 0
		.amdhsa_user_sgpr_private_segment_size 0
		.amdhsa_wavefront_size32 1
		.amdhsa_uses_dynamic_stack 0
		.amdhsa_system_sgpr_private_segment_wavefront_offset 0
		.amdhsa_system_sgpr_workgroup_id_x 1
		.amdhsa_system_sgpr_workgroup_id_y 0
		.amdhsa_system_sgpr_workgroup_id_z 0
		.amdhsa_system_sgpr_workgroup_info 0
		.amdhsa_system_vgpr_workitem_id 0
		.amdhsa_next_free_vgpr 1
		.amdhsa_next_free_sgpr 1
		.amdhsa_reserve_vcc 0
		.amdhsa_reserve_flat_scratch 0
		.amdhsa_float_round_mode_32 0
		.amdhsa_float_round_mode_16_64 0
		.amdhsa_float_denorm_mode_32 3
		.amdhsa_float_denorm_mode_16_64 3
		.amdhsa_dx10_clamp 1
		.amdhsa_ieee_mode 1
		.amdhsa_fp16_overflow 0
		.amdhsa_workgroup_processor_mode 1
		.amdhsa_memory_ordered 1
		.amdhsa_forward_progress 1
		.amdhsa_shared_vgpr_count 0
		.amdhsa_exception_fp_ieee_invalid_op 0
		.amdhsa_exception_fp_denorm_src 0
		.amdhsa_exception_fp_ieee_div_zero 0
		.amdhsa_exception_fp_ieee_overflow 0
		.amdhsa_exception_fp_ieee_underflow 0
		.amdhsa_exception_fp_ieee_inexact 0
		.amdhsa_exception_int_div_zero 0
	.end_amdhsa_kernel
	.section	.text._ZN7rocprim17ROCPRIM_400000_NS6detail44device_merge_sort_compile_time_verifier_archINS1_11comp_targetILNS1_3genE5ELNS1_11target_archE942ELNS1_3gpuE9ELNS1_3repE0EEES8_NS0_14default_configES9_NS1_37merge_sort_block_sort_config_selectorItNS0_10empty_typeEEENS1_38merge_sort_block_merge_config_selectorItSB_EEEEvv,"axG",@progbits,_ZN7rocprim17ROCPRIM_400000_NS6detail44device_merge_sort_compile_time_verifier_archINS1_11comp_targetILNS1_3genE5ELNS1_11target_archE942ELNS1_3gpuE9ELNS1_3repE0EEES8_NS0_14default_configES9_NS1_37merge_sort_block_sort_config_selectorItNS0_10empty_typeEEENS1_38merge_sort_block_merge_config_selectorItSB_EEEEvv,comdat
.Lfunc_end224:
	.size	_ZN7rocprim17ROCPRIM_400000_NS6detail44device_merge_sort_compile_time_verifier_archINS1_11comp_targetILNS1_3genE5ELNS1_11target_archE942ELNS1_3gpuE9ELNS1_3repE0EEES8_NS0_14default_configES9_NS1_37merge_sort_block_sort_config_selectorItNS0_10empty_typeEEENS1_38merge_sort_block_merge_config_selectorItSB_EEEEvv, .Lfunc_end224-_ZN7rocprim17ROCPRIM_400000_NS6detail44device_merge_sort_compile_time_verifier_archINS1_11comp_targetILNS1_3genE5ELNS1_11target_archE942ELNS1_3gpuE9ELNS1_3repE0EEES8_NS0_14default_configES9_NS1_37merge_sort_block_sort_config_selectorItNS0_10empty_typeEEENS1_38merge_sort_block_merge_config_selectorItSB_EEEEvv
                                        ; -- End function
	.set _ZN7rocprim17ROCPRIM_400000_NS6detail44device_merge_sort_compile_time_verifier_archINS1_11comp_targetILNS1_3genE5ELNS1_11target_archE942ELNS1_3gpuE9ELNS1_3repE0EEES8_NS0_14default_configES9_NS1_37merge_sort_block_sort_config_selectorItNS0_10empty_typeEEENS1_38merge_sort_block_merge_config_selectorItSB_EEEEvv.num_vgpr, 0
	.set _ZN7rocprim17ROCPRIM_400000_NS6detail44device_merge_sort_compile_time_verifier_archINS1_11comp_targetILNS1_3genE5ELNS1_11target_archE942ELNS1_3gpuE9ELNS1_3repE0EEES8_NS0_14default_configES9_NS1_37merge_sort_block_sort_config_selectorItNS0_10empty_typeEEENS1_38merge_sort_block_merge_config_selectorItSB_EEEEvv.num_agpr, 0
	.set _ZN7rocprim17ROCPRIM_400000_NS6detail44device_merge_sort_compile_time_verifier_archINS1_11comp_targetILNS1_3genE5ELNS1_11target_archE942ELNS1_3gpuE9ELNS1_3repE0EEES8_NS0_14default_configES9_NS1_37merge_sort_block_sort_config_selectorItNS0_10empty_typeEEENS1_38merge_sort_block_merge_config_selectorItSB_EEEEvv.numbered_sgpr, 0
	.set _ZN7rocprim17ROCPRIM_400000_NS6detail44device_merge_sort_compile_time_verifier_archINS1_11comp_targetILNS1_3genE5ELNS1_11target_archE942ELNS1_3gpuE9ELNS1_3repE0EEES8_NS0_14default_configES9_NS1_37merge_sort_block_sort_config_selectorItNS0_10empty_typeEEENS1_38merge_sort_block_merge_config_selectorItSB_EEEEvv.num_named_barrier, 0
	.set _ZN7rocprim17ROCPRIM_400000_NS6detail44device_merge_sort_compile_time_verifier_archINS1_11comp_targetILNS1_3genE5ELNS1_11target_archE942ELNS1_3gpuE9ELNS1_3repE0EEES8_NS0_14default_configES9_NS1_37merge_sort_block_sort_config_selectorItNS0_10empty_typeEEENS1_38merge_sort_block_merge_config_selectorItSB_EEEEvv.private_seg_size, 0
	.set _ZN7rocprim17ROCPRIM_400000_NS6detail44device_merge_sort_compile_time_verifier_archINS1_11comp_targetILNS1_3genE5ELNS1_11target_archE942ELNS1_3gpuE9ELNS1_3repE0EEES8_NS0_14default_configES9_NS1_37merge_sort_block_sort_config_selectorItNS0_10empty_typeEEENS1_38merge_sort_block_merge_config_selectorItSB_EEEEvv.uses_vcc, 0
	.set _ZN7rocprim17ROCPRIM_400000_NS6detail44device_merge_sort_compile_time_verifier_archINS1_11comp_targetILNS1_3genE5ELNS1_11target_archE942ELNS1_3gpuE9ELNS1_3repE0EEES8_NS0_14default_configES9_NS1_37merge_sort_block_sort_config_selectorItNS0_10empty_typeEEENS1_38merge_sort_block_merge_config_selectorItSB_EEEEvv.uses_flat_scratch, 0
	.set _ZN7rocprim17ROCPRIM_400000_NS6detail44device_merge_sort_compile_time_verifier_archINS1_11comp_targetILNS1_3genE5ELNS1_11target_archE942ELNS1_3gpuE9ELNS1_3repE0EEES8_NS0_14default_configES9_NS1_37merge_sort_block_sort_config_selectorItNS0_10empty_typeEEENS1_38merge_sort_block_merge_config_selectorItSB_EEEEvv.has_dyn_sized_stack, 0
	.set _ZN7rocprim17ROCPRIM_400000_NS6detail44device_merge_sort_compile_time_verifier_archINS1_11comp_targetILNS1_3genE5ELNS1_11target_archE942ELNS1_3gpuE9ELNS1_3repE0EEES8_NS0_14default_configES9_NS1_37merge_sort_block_sort_config_selectorItNS0_10empty_typeEEENS1_38merge_sort_block_merge_config_selectorItSB_EEEEvv.has_recursion, 0
	.set _ZN7rocprim17ROCPRIM_400000_NS6detail44device_merge_sort_compile_time_verifier_archINS1_11comp_targetILNS1_3genE5ELNS1_11target_archE942ELNS1_3gpuE9ELNS1_3repE0EEES8_NS0_14default_configES9_NS1_37merge_sort_block_sort_config_selectorItNS0_10empty_typeEEENS1_38merge_sort_block_merge_config_selectorItSB_EEEEvv.has_indirect_call, 0
	.section	.AMDGPU.csdata,"",@progbits
; Kernel info:
; codeLenInByte = 4
; TotalNumSgprs: 0
; NumVgprs: 0
; ScratchSize: 0
; MemoryBound: 0
; FloatMode: 240
; IeeeMode: 1
; LDSByteSize: 0 bytes/workgroup (compile time only)
; SGPRBlocks: 0
; VGPRBlocks: 0
; NumSGPRsForWavesPerEU: 1
; NumVGPRsForWavesPerEU: 1
; Occupancy: 16
; WaveLimiterHint : 0
; COMPUTE_PGM_RSRC2:SCRATCH_EN: 0
; COMPUTE_PGM_RSRC2:USER_SGPR: 4
; COMPUTE_PGM_RSRC2:TRAP_HANDLER: 0
; COMPUTE_PGM_RSRC2:TGID_X_EN: 1
; COMPUTE_PGM_RSRC2:TGID_Y_EN: 0
; COMPUTE_PGM_RSRC2:TGID_Z_EN: 0
; COMPUTE_PGM_RSRC2:TIDIG_COMP_CNT: 0
	.section	.text._ZN7rocprim17ROCPRIM_400000_NS6detail44device_merge_sort_compile_time_verifier_archINS1_11comp_targetILNS1_3genE4ELNS1_11target_archE910ELNS1_3gpuE8ELNS1_3repE0EEES8_NS0_14default_configES9_NS1_37merge_sort_block_sort_config_selectorItNS0_10empty_typeEEENS1_38merge_sort_block_merge_config_selectorItSB_EEEEvv,"axG",@progbits,_ZN7rocprim17ROCPRIM_400000_NS6detail44device_merge_sort_compile_time_verifier_archINS1_11comp_targetILNS1_3genE4ELNS1_11target_archE910ELNS1_3gpuE8ELNS1_3repE0EEES8_NS0_14default_configES9_NS1_37merge_sort_block_sort_config_selectorItNS0_10empty_typeEEENS1_38merge_sort_block_merge_config_selectorItSB_EEEEvv,comdat
	.protected	_ZN7rocprim17ROCPRIM_400000_NS6detail44device_merge_sort_compile_time_verifier_archINS1_11comp_targetILNS1_3genE4ELNS1_11target_archE910ELNS1_3gpuE8ELNS1_3repE0EEES8_NS0_14default_configES9_NS1_37merge_sort_block_sort_config_selectorItNS0_10empty_typeEEENS1_38merge_sort_block_merge_config_selectorItSB_EEEEvv ; -- Begin function _ZN7rocprim17ROCPRIM_400000_NS6detail44device_merge_sort_compile_time_verifier_archINS1_11comp_targetILNS1_3genE4ELNS1_11target_archE910ELNS1_3gpuE8ELNS1_3repE0EEES8_NS0_14default_configES9_NS1_37merge_sort_block_sort_config_selectorItNS0_10empty_typeEEENS1_38merge_sort_block_merge_config_selectorItSB_EEEEvv
	.globl	_ZN7rocprim17ROCPRIM_400000_NS6detail44device_merge_sort_compile_time_verifier_archINS1_11comp_targetILNS1_3genE4ELNS1_11target_archE910ELNS1_3gpuE8ELNS1_3repE0EEES8_NS0_14default_configES9_NS1_37merge_sort_block_sort_config_selectorItNS0_10empty_typeEEENS1_38merge_sort_block_merge_config_selectorItSB_EEEEvv
	.p2align	8
	.type	_ZN7rocprim17ROCPRIM_400000_NS6detail44device_merge_sort_compile_time_verifier_archINS1_11comp_targetILNS1_3genE4ELNS1_11target_archE910ELNS1_3gpuE8ELNS1_3repE0EEES8_NS0_14default_configES9_NS1_37merge_sort_block_sort_config_selectorItNS0_10empty_typeEEENS1_38merge_sort_block_merge_config_selectorItSB_EEEEvv,@function
_ZN7rocprim17ROCPRIM_400000_NS6detail44device_merge_sort_compile_time_verifier_archINS1_11comp_targetILNS1_3genE4ELNS1_11target_archE910ELNS1_3gpuE8ELNS1_3repE0EEES8_NS0_14default_configES9_NS1_37merge_sort_block_sort_config_selectorItNS0_10empty_typeEEENS1_38merge_sort_block_merge_config_selectorItSB_EEEEvv: ; @_ZN7rocprim17ROCPRIM_400000_NS6detail44device_merge_sort_compile_time_verifier_archINS1_11comp_targetILNS1_3genE4ELNS1_11target_archE910ELNS1_3gpuE8ELNS1_3repE0EEES8_NS0_14default_configES9_NS1_37merge_sort_block_sort_config_selectorItNS0_10empty_typeEEENS1_38merge_sort_block_merge_config_selectorItSB_EEEEvv
; %bb.0:
	s_endpgm
	.section	.rodata,"a",@progbits
	.p2align	6, 0x0
	.amdhsa_kernel _ZN7rocprim17ROCPRIM_400000_NS6detail44device_merge_sort_compile_time_verifier_archINS1_11comp_targetILNS1_3genE4ELNS1_11target_archE910ELNS1_3gpuE8ELNS1_3repE0EEES8_NS0_14default_configES9_NS1_37merge_sort_block_sort_config_selectorItNS0_10empty_typeEEENS1_38merge_sort_block_merge_config_selectorItSB_EEEEvv
		.amdhsa_group_segment_fixed_size 0
		.amdhsa_private_segment_fixed_size 0
		.amdhsa_kernarg_size 0
		.amdhsa_user_sgpr_count 4
		.amdhsa_user_sgpr_private_segment_buffer 1
		.amdhsa_user_sgpr_dispatch_ptr 0
		.amdhsa_user_sgpr_queue_ptr 0
		.amdhsa_user_sgpr_kernarg_segment_ptr 0
		.amdhsa_user_sgpr_dispatch_id 0
		.amdhsa_user_sgpr_flat_scratch_init 0
		.amdhsa_user_sgpr_private_segment_size 0
		.amdhsa_wavefront_size32 1
		.amdhsa_uses_dynamic_stack 0
		.amdhsa_system_sgpr_private_segment_wavefront_offset 0
		.amdhsa_system_sgpr_workgroup_id_x 1
		.amdhsa_system_sgpr_workgroup_id_y 0
		.amdhsa_system_sgpr_workgroup_id_z 0
		.amdhsa_system_sgpr_workgroup_info 0
		.amdhsa_system_vgpr_workitem_id 0
		.amdhsa_next_free_vgpr 1
		.amdhsa_next_free_sgpr 1
		.amdhsa_reserve_vcc 0
		.amdhsa_reserve_flat_scratch 0
		.amdhsa_float_round_mode_32 0
		.amdhsa_float_round_mode_16_64 0
		.amdhsa_float_denorm_mode_32 3
		.amdhsa_float_denorm_mode_16_64 3
		.amdhsa_dx10_clamp 1
		.amdhsa_ieee_mode 1
		.amdhsa_fp16_overflow 0
		.amdhsa_workgroup_processor_mode 1
		.amdhsa_memory_ordered 1
		.amdhsa_forward_progress 1
		.amdhsa_shared_vgpr_count 0
		.amdhsa_exception_fp_ieee_invalid_op 0
		.amdhsa_exception_fp_denorm_src 0
		.amdhsa_exception_fp_ieee_div_zero 0
		.amdhsa_exception_fp_ieee_overflow 0
		.amdhsa_exception_fp_ieee_underflow 0
		.amdhsa_exception_fp_ieee_inexact 0
		.amdhsa_exception_int_div_zero 0
	.end_amdhsa_kernel
	.section	.text._ZN7rocprim17ROCPRIM_400000_NS6detail44device_merge_sort_compile_time_verifier_archINS1_11comp_targetILNS1_3genE4ELNS1_11target_archE910ELNS1_3gpuE8ELNS1_3repE0EEES8_NS0_14default_configES9_NS1_37merge_sort_block_sort_config_selectorItNS0_10empty_typeEEENS1_38merge_sort_block_merge_config_selectorItSB_EEEEvv,"axG",@progbits,_ZN7rocprim17ROCPRIM_400000_NS6detail44device_merge_sort_compile_time_verifier_archINS1_11comp_targetILNS1_3genE4ELNS1_11target_archE910ELNS1_3gpuE8ELNS1_3repE0EEES8_NS0_14default_configES9_NS1_37merge_sort_block_sort_config_selectorItNS0_10empty_typeEEENS1_38merge_sort_block_merge_config_selectorItSB_EEEEvv,comdat
.Lfunc_end225:
	.size	_ZN7rocprim17ROCPRIM_400000_NS6detail44device_merge_sort_compile_time_verifier_archINS1_11comp_targetILNS1_3genE4ELNS1_11target_archE910ELNS1_3gpuE8ELNS1_3repE0EEES8_NS0_14default_configES9_NS1_37merge_sort_block_sort_config_selectorItNS0_10empty_typeEEENS1_38merge_sort_block_merge_config_selectorItSB_EEEEvv, .Lfunc_end225-_ZN7rocprim17ROCPRIM_400000_NS6detail44device_merge_sort_compile_time_verifier_archINS1_11comp_targetILNS1_3genE4ELNS1_11target_archE910ELNS1_3gpuE8ELNS1_3repE0EEES8_NS0_14default_configES9_NS1_37merge_sort_block_sort_config_selectorItNS0_10empty_typeEEENS1_38merge_sort_block_merge_config_selectorItSB_EEEEvv
                                        ; -- End function
	.set _ZN7rocprim17ROCPRIM_400000_NS6detail44device_merge_sort_compile_time_verifier_archINS1_11comp_targetILNS1_3genE4ELNS1_11target_archE910ELNS1_3gpuE8ELNS1_3repE0EEES8_NS0_14default_configES9_NS1_37merge_sort_block_sort_config_selectorItNS0_10empty_typeEEENS1_38merge_sort_block_merge_config_selectorItSB_EEEEvv.num_vgpr, 0
	.set _ZN7rocprim17ROCPRIM_400000_NS6detail44device_merge_sort_compile_time_verifier_archINS1_11comp_targetILNS1_3genE4ELNS1_11target_archE910ELNS1_3gpuE8ELNS1_3repE0EEES8_NS0_14default_configES9_NS1_37merge_sort_block_sort_config_selectorItNS0_10empty_typeEEENS1_38merge_sort_block_merge_config_selectorItSB_EEEEvv.num_agpr, 0
	.set _ZN7rocprim17ROCPRIM_400000_NS6detail44device_merge_sort_compile_time_verifier_archINS1_11comp_targetILNS1_3genE4ELNS1_11target_archE910ELNS1_3gpuE8ELNS1_3repE0EEES8_NS0_14default_configES9_NS1_37merge_sort_block_sort_config_selectorItNS0_10empty_typeEEENS1_38merge_sort_block_merge_config_selectorItSB_EEEEvv.numbered_sgpr, 0
	.set _ZN7rocprim17ROCPRIM_400000_NS6detail44device_merge_sort_compile_time_verifier_archINS1_11comp_targetILNS1_3genE4ELNS1_11target_archE910ELNS1_3gpuE8ELNS1_3repE0EEES8_NS0_14default_configES9_NS1_37merge_sort_block_sort_config_selectorItNS0_10empty_typeEEENS1_38merge_sort_block_merge_config_selectorItSB_EEEEvv.num_named_barrier, 0
	.set _ZN7rocprim17ROCPRIM_400000_NS6detail44device_merge_sort_compile_time_verifier_archINS1_11comp_targetILNS1_3genE4ELNS1_11target_archE910ELNS1_3gpuE8ELNS1_3repE0EEES8_NS0_14default_configES9_NS1_37merge_sort_block_sort_config_selectorItNS0_10empty_typeEEENS1_38merge_sort_block_merge_config_selectorItSB_EEEEvv.private_seg_size, 0
	.set _ZN7rocprim17ROCPRIM_400000_NS6detail44device_merge_sort_compile_time_verifier_archINS1_11comp_targetILNS1_3genE4ELNS1_11target_archE910ELNS1_3gpuE8ELNS1_3repE0EEES8_NS0_14default_configES9_NS1_37merge_sort_block_sort_config_selectorItNS0_10empty_typeEEENS1_38merge_sort_block_merge_config_selectorItSB_EEEEvv.uses_vcc, 0
	.set _ZN7rocprim17ROCPRIM_400000_NS6detail44device_merge_sort_compile_time_verifier_archINS1_11comp_targetILNS1_3genE4ELNS1_11target_archE910ELNS1_3gpuE8ELNS1_3repE0EEES8_NS0_14default_configES9_NS1_37merge_sort_block_sort_config_selectorItNS0_10empty_typeEEENS1_38merge_sort_block_merge_config_selectorItSB_EEEEvv.uses_flat_scratch, 0
	.set _ZN7rocprim17ROCPRIM_400000_NS6detail44device_merge_sort_compile_time_verifier_archINS1_11comp_targetILNS1_3genE4ELNS1_11target_archE910ELNS1_3gpuE8ELNS1_3repE0EEES8_NS0_14default_configES9_NS1_37merge_sort_block_sort_config_selectorItNS0_10empty_typeEEENS1_38merge_sort_block_merge_config_selectorItSB_EEEEvv.has_dyn_sized_stack, 0
	.set _ZN7rocprim17ROCPRIM_400000_NS6detail44device_merge_sort_compile_time_verifier_archINS1_11comp_targetILNS1_3genE4ELNS1_11target_archE910ELNS1_3gpuE8ELNS1_3repE0EEES8_NS0_14default_configES9_NS1_37merge_sort_block_sort_config_selectorItNS0_10empty_typeEEENS1_38merge_sort_block_merge_config_selectorItSB_EEEEvv.has_recursion, 0
	.set _ZN7rocprim17ROCPRIM_400000_NS6detail44device_merge_sort_compile_time_verifier_archINS1_11comp_targetILNS1_3genE4ELNS1_11target_archE910ELNS1_3gpuE8ELNS1_3repE0EEES8_NS0_14default_configES9_NS1_37merge_sort_block_sort_config_selectorItNS0_10empty_typeEEENS1_38merge_sort_block_merge_config_selectorItSB_EEEEvv.has_indirect_call, 0
	.section	.AMDGPU.csdata,"",@progbits
; Kernel info:
; codeLenInByte = 4
; TotalNumSgprs: 0
; NumVgprs: 0
; ScratchSize: 0
; MemoryBound: 0
; FloatMode: 240
; IeeeMode: 1
; LDSByteSize: 0 bytes/workgroup (compile time only)
; SGPRBlocks: 0
; VGPRBlocks: 0
; NumSGPRsForWavesPerEU: 1
; NumVGPRsForWavesPerEU: 1
; Occupancy: 16
; WaveLimiterHint : 0
; COMPUTE_PGM_RSRC2:SCRATCH_EN: 0
; COMPUTE_PGM_RSRC2:USER_SGPR: 4
; COMPUTE_PGM_RSRC2:TRAP_HANDLER: 0
; COMPUTE_PGM_RSRC2:TGID_X_EN: 1
; COMPUTE_PGM_RSRC2:TGID_Y_EN: 0
; COMPUTE_PGM_RSRC2:TGID_Z_EN: 0
; COMPUTE_PGM_RSRC2:TIDIG_COMP_CNT: 0
	.section	.text._ZN7rocprim17ROCPRIM_400000_NS6detail44device_merge_sort_compile_time_verifier_archINS1_11comp_targetILNS1_3genE3ELNS1_11target_archE908ELNS1_3gpuE7ELNS1_3repE0EEES8_NS0_14default_configES9_NS1_37merge_sort_block_sort_config_selectorItNS0_10empty_typeEEENS1_38merge_sort_block_merge_config_selectorItSB_EEEEvv,"axG",@progbits,_ZN7rocprim17ROCPRIM_400000_NS6detail44device_merge_sort_compile_time_verifier_archINS1_11comp_targetILNS1_3genE3ELNS1_11target_archE908ELNS1_3gpuE7ELNS1_3repE0EEES8_NS0_14default_configES9_NS1_37merge_sort_block_sort_config_selectorItNS0_10empty_typeEEENS1_38merge_sort_block_merge_config_selectorItSB_EEEEvv,comdat
	.protected	_ZN7rocprim17ROCPRIM_400000_NS6detail44device_merge_sort_compile_time_verifier_archINS1_11comp_targetILNS1_3genE3ELNS1_11target_archE908ELNS1_3gpuE7ELNS1_3repE0EEES8_NS0_14default_configES9_NS1_37merge_sort_block_sort_config_selectorItNS0_10empty_typeEEENS1_38merge_sort_block_merge_config_selectorItSB_EEEEvv ; -- Begin function _ZN7rocprim17ROCPRIM_400000_NS6detail44device_merge_sort_compile_time_verifier_archINS1_11comp_targetILNS1_3genE3ELNS1_11target_archE908ELNS1_3gpuE7ELNS1_3repE0EEES8_NS0_14default_configES9_NS1_37merge_sort_block_sort_config_selectorItNS0_10empty_typeEEENS1_38merge_sort_block_merge_config_selectorItSB_EEEEvv
	.globl	_ZN7rocprim17ROCPRIM_400000_NS6detail44device_merge_sort_compile_time_verifier_archINS1_11comp_targetILNS1_3genE3ELNS1_11target_archE908ELNS1_3gpuE7ELNS1_3repE0EEES8_NS0_14default_configES9_NS1_37merge_sort_block_sort_config_selectorItNS0_10empty_typeEEENS1_38merge_sort_block_merge_config_selectorItSB_EEEEvv
	.p2align	8
	.type	_ZN7rocprim17ROCPRIM_400000_NS6detail44device_merge_sort_compile_time_verifier_archINS1_11comp_targetILNS1_3genE3ELNS1_11target_archE908ELNS1_3gpuE7ELNS1_3repE0EEES8_NS0_14default_configES9_NS1_37merge_sort_block_sort_config_selectorItNS0_10empty_typeEEENS1_38merge_sort_block_merge_config_selectorItSB_EEEEvv,@function
_ZN7rocprim17ROCPRIM_400000_NS6detail44device_merge_sort_compile_time_verifier_archINS1_11comp_targetILNS1_3genE3ELNS1_11target_archE908ELNS1_3gpuE7ELNS1_3repE0EEES8_NS0_14default_configES9_NS1_37merge_sort_block_sort_config_selectorItNS0_10empty_typeEEENS1_38merge_sort_block_merge_config_selectorItSB_EEEEvv: ; @_ZN7rocprim17ROCPRIM_400000_NS6detail44device_merge_sort_compile_time_verifier_archINS1_11comp_targetILNS1_3genE3ELNS1_11target_archE908ELNS1_3gpuE7ELNS1_3repE0EEES8_NS0_14default_configES9_NS1_37merge_sort_block_sort_config_selectorItNS0_10empty_typeEEENS1_38merge_sort_block_merge_config_selectorItSB_EEEEvv
; %bb.0:
	s_endpgm
	.section	.rodata,"a",@progbits
	.p2align	6, 0x0
	.amdhsa_kernel _ZN7rocprim17ROCPRIM_400000_NS6detail44device_merge_sort_compile_time_verifier_archINS1_11comp_targetILNS1_3genE3ELNS1_11target_archE908ELNS1_3gpuE7ELNS1_3repE0EEES8_NS0_14default_configES9_NS1_37merge_sort_block_sort_config_selectorItNS0_10empty_typeEEENS1_38merge_sort_block_merge_config_selectorItSB_EEEEvv
		.amdhsa_group_segment_fixed_size 0
		.amdhsa_private_segment_fixed_size 0
		.amdhsa_kernarg_size 0
		.amdhsa_user_sgpr_count 4
		.amdhsa_user_sgpr_private_segment_buffer 1
		.amdhsa_user_sgpr_dispatch_ptr 0
		.amdhsa_user_sgpr_queue_ptr 0
		.amdhsa_user_sgpr_kernarg_segment_ptr 0
		.amdhsa_user_sgpr_dispatch_id 0
		.amdhsa_user_sgpr_flat_scratch_init 0
		.amdhsa_user_sgpr_private_segment_size 0
		.amdhsa_wavefront_size32 1
		.amdhsa_uses_dynamic_stack 0
		.amdhsa_system_sgpr_private_segment_wavefront_offset 0
		.amdhsa_system_sgpr_workgroup_id_x 1
		.amdhsa_system_sgpr_workgroup_id_y 0
		.amdhsa_system_sgpr_workgroup_id_z 0
		.amdhsa_system_sgpr_workgroup_info 0
		.amdhsa_system_vgpr_workitem_id 0
		.amdhsa_next_free_vgpr 1
		.amdhsa_next_free_sgpr 1
		.amdhsa_reserve_vcc 0
		.amdhsa_reserve_flat_scratch 0
		.amdhsa_float_round_mode_32 0
		.amdhsa_float_round_mode_16_64 0
		.amdhsa_float_denorm_mode_32 3
		.amdhsa_float_denorm_mode_16_64 3
		.amdhsa_dx10_clamp 1
		.amdhsa_ieee_mode 1
		.amdhsa_fp16_overflow 0
		.amdhsa_workgroup_processor_mode 1
		.amdhsa_memory_ordered 1
		.amdhsa_forward_progress 1
		.amdhsa_shared_vgpr_count 0
		.amdhsa_exception_fp_ieee_invalid_op 0
		.amdhsa_exception_fp_denorm_src 0
		.amdhsa_exception_fp_ieee_div_zero 0
		.amdhsa_exception_fp_ieee_overflow 0
		.amdhsa_exception_fp_ieee_underflow 0
		.amdhsa_exception_fp_ieee_inexact 0
		.amdhsa_exception_int_div_zero 0
	.end_amdhsa_kernel
	.section	.text._ZN7rocprim17ROCPRIM_400000_NS6detail44device_merge_sort_compile_time_verifier_archINS1_11comp_targetILNS1_3genE3ELNS1_11target_archE908ELNS1_3gpuE7ELNS1_3repE0EEES8_NS0_14default_configES9_NS1_37merge_sort_block_sort_config_selectorItNS0_10empty_typeEEENS1_38merge_sort_block_merge_config_selectorItSB_EEEEvv,"axG",@progbits,_ZN7rocprim17ROCPRIM_400000_NS6detail44device_merge_sort_compile_time_verifier_archINS1_11comp_targetILNS1_3genE3ELNS1_11target_archE908ELNS1_3gpuE7ELNS1_3repE0EEES8_NS0_14default_configES9_NS1_37merge_sort_block_sort_config_selectorItNS0_10empty_typeEEENS1_38merge_sort_block_merge_config_selectorItSB_EEEEvv,comdat
.Lfunc_end226:
	.size	_ZN7rocprim17ROCPRIM_400000_NS6detail44device_merge_sort_compile_time_verifier_archINS1_11comp_targetILNS1_3genE3ELNS1_11target_archE908ELNS1_3gpuE7ELNS1_3repE0EEES8_NS0_14default_configES9_NS1_37merge_sort_block_sort_config_selectorItNS0_10empty_typeEEENS1_38merge_sort_block_merge_config_selectorItSB_EEEEvv, .Lfunc_end226-_ZN7rocprim17ROCPRIM_400000_NS6detail44device_merge_sort_compile_time_verifier_archINS1_11comp_targetILNS1_3genE3ELNS1_11target_archE908ELNS1_3gpuE7ELNS1_3repE0EEES8_NS0_14default_configES9_NS1_37merge_sort_block_sort_config_selectorItNS0_10empty_typeEEENS1_38merge_sort_block_merge_config_selectorItSB_EEEEvv
                                        ; -- End function
	.set _ZN7rocprim17ROCPRIM_400000_NS6detail44device_merge_sort_compile_time_verifier_archINS1_11comp_targetILNS1_3genE3ELNS1_11target_archE908ELNS1_3gpuE7ELNS1_3repE0EEES8_NS0_14default_configES9_NS1_37merge_sort_block_sort_config_selectorItNS0_10empty_typeEEENS1_38merge_sort_block_merge_config_selectorItSB_EEEEvv.num_vgpr, 0
	.set _ZN7rocprim17ROCPRIM_400000_NS6detail44device_merge_sort_compile_time_verifier_archINS1_11comp_targetILNS1_3genE3ELNS1_11target_archE908ELNS1_3gpuE7ELNS1_3repE0EEES8_NS0_14default_configES9_NS1_37merge_sort_block_sort_config_selectorItNS0_10empty_typeEEENS1_38merge_sort_block_merge_config_selectorItSB_EEEEvv.num_agpr, 0
	.set _ZN7rocprim17ROCPRIM_400000_NS6detail44device_merge_sort_compile_time_verifier_archINS1_11comp_targetILNS1_3genE3ELNS1_11target_archE908ELNS1_3gpuE7ELNS1_3repE0EEES8_NS0_14default_configES9_NS1_37merge_sort_block_sort_config_selectorItNS0_10empty_typeEEENS1_38merge_sort_block_merge_config_selectorItSB_EEEEvv.numbered_sgpr, 0
	.set _ZN7rocprim17ROCPRIM_400000_NS6detail44device_merge_sort_compile_time_verifier_archINS1_11comp_targetILNS1_3genE3ELNS1_11target_archE908ELNS1_3gpuE7ELNS1_3repE0EEES8_NS0_14default_configES9_NS1_37merge_sort_block_sort_config_selectorItNS0_10empty_typeEEENS1_38merge_sort_block_merge_config_selectorItSB_EEEEvv.num_named_barrier, 0
	.set _ZN7rocprim17ROCPRIM_400000_NS6detail44device_merge_sort_compile_time_verifier_archINS1_11comp_targetILNS1_3genE3ELNS1_11target_archE908ELNS1_3gpuE7ELNS1_3repE0EEES8_NS0_14default_configES9_NS1_37merge_sort_block_sort_config_selectorItNS0_10empty_typeEEENS1_38merge_sort_block_merge_config_selectorItSB_EEEEvv.private_seg_size, 0
	.set _ZN7rocprim17ROCPRIM_400000_NS6detail44device_merge_sort_compile_time_verifier_archINS1_11comp_targetILNS1_3genE3ELNS1_11target_archE908ELNS1_3gpuE7ELNS1_3repE0EEES8_NS0_14default_configES9_NS1_37merge_sort_block_sort_config_selectorItNS0_10empty_typeEEENS1_38merge_sort_block_merge_config_selectorItSB_EEEEvv.uses_vcc, 0
	.set _ZN7rocprim17ROCPRIM_400000_NS6detail44device_merge_sort_compile_time_verifier_archINS1_11comp_targetILNS1_3genE3ELNS1_11target_archE908ELNS1_3gpuE7ELNS1_3repE0EEES8_NS0_14default_configES9_NS1_37merge_sort_block_sort_config_selectorItNS0_10empty_typeEEENS1_38merge_sort_block_merge_config_selectorItSB_EEEEvv.uses_flat_scratch, 0
	.set _ZN7rocprim17ROCPRIM_400000_NS6detail44device_merge_sort_compile_time_verifier_archINS1_11comp_targetILNS1_3genE3ELNS1_11target_archE908ELNS1_3gpuE7ELNS1_3repE0EEES8_NS0_14default_configES9_NS1_37merge_sort_block_sort_config_selectorItNS0_10empty_typeEEENS1_38merge_sort_block_merge_config_selectorItSB_EEEEvv.has_dyn_sized_stack, 0
	.set _ZN7rocprim17ROCPRIM_400000_NS6detail44device_merge_sort_compile_time_verifier_archINS1_11comp_targetILNS1_3genE3ELNS1_11target_archE908ELNS1_3gpuE7ELNS1_3repE0EEES8_NS0_14default_configES9_NS1_37merge_sort_block_sort_config_selectorItNS0_10empty_typeEEENS1_38merge_sort_block_merge_config_selectorItSB_EEEEvv.has_recursion, 0
	.set _ZN7rocprim17ROCPRIM_400000_NS6detail44device_merge_sort_compile_time_verifier_archINS1_11comp_targetILNS1_3genE3ELNS1_11target_archE908ELNS1_3gpuE7ELNS1_3repE0EEES8_NS0_14default_configES9_NS1_37merge_sort_block_sort_config_selectorItNS0_10empty_typeEEENS1_38merge_sort_block_merge_config_selectorItSB_EEEEvv.has_indirect_call, 0
	.section	.AMDGPU.csdata,"",@progbits
; Kernel info:
; codeLenInByte = 4
; TotalNumSgprs: 0
; NumVgprs: 0
; ScratchSize: 0
; MemoryBound: 0
; FloatMode: 240
; IeeeMode: 1
; LDSByteSize: 0 bytes/workgroup (compile time only)
; SGPRBlocks: 0
; VGPRBlocks: 0
; NumSGPRsForWavesPerEU: 1
; NumVGPRsForWavesPerEU: 1
; Occupancy: 16
; WaveLimiterHint : 0
; COMPUTE_PGM_RSRC2:SCRATCH_EN: 0
; COMPUTE_PGM_RSRC2:USER_SGPR: 4
; COMPUTE_PGM_RSRC2:TRAP_HANDLER: 0
; COMPUTE_PGM_RSRC2:TGID_X_EN: 1
; COMPUTE_PGM_RSRC2:TGID_Y_EN: 0
; COMPUTE_PGM_RSRC2:TGID_Z_EN: 0
; COMPUTE_PGM_RSRC2:TIDIG_COMP_CNT: 0
	.section	.text._ZN7rocprim17ROCPRIM_400000_NS6detail44device_merge_sort_compile_time_verifier_archINS1_11comp_targetILNS1_3genE2ELNS1_11target_archE906ELNS1_3gpuE6ELNS1_3repE0EEES8_NS0_14default_configES9_NS1_37merge_sort_block_sort_config_selectorItNS0_10empty_typeEEENS1_38merge_sort_block_merge_config_selectorItSB_EEEEvv,"axG",@progbits,_ZN7rocprim17ROCPRIM_400000_NS6detail44device_merge_sort_compile_time_verifier_archINS1_11comp_targetILNS1_3genE2ELNS1_11target_archE906ELNS1_3gpuE6ELNS1_3repE0EEES8_NS0_14default_configES9_NS1_37merge_sort_block_sort_config_selectorItNS0_10empty_typeEEENS1_38merge_sort_block_merge_config_selectorItSB_EEEEvv,comdat
	.protected	_ZN7rocprim17ROCPRIM_400000_NS6detail44device_merge_sort_compile_time_verifier_archINS1_11comp_targetILNS1_3genE2ELNS1_11target_archE906ELNS1_3gpuE6ELNS1_3repE0EEES8_NS0_14default_configES9_NS1_37merge_sort_block_sort_config_selectorItNS0_10empty_typeEEENS1_38merge_sort_block_merge_config_selectorItSB_EEEEvv ; -- Begin function _ZN7rocprim17ROCPRIM_400000_NS6detail44device_merge_sort_compile_time_verifier_archINS1_11comp_targetILNS1_3genE2ELNS1_11target_archE906ELNS1_3gpuE6ELNS1_3repE0EEES8_NS0_14default_configES9_NS1_37merge_sort_block_sort_config_selectorItNS0_10empty_typeEEENS1_38merge_sort_block_merge_config_selectorItSB_EEEEvv
	.globl	_ZN7rocprim17ROCPRIM_400000_NS6detail44device_merge_sort_compile_time_verifier_archINS1_11comp_targetILNS1_3genE2ELNS1_11target_archE906ELNS1_3gpuE6ELNS1_3repE0EEES8_NS0_14default_configES9_NS1_37merge_sort_block_sort_config_selectorItNS0_10empty_typeEEENS1_38merge_sort_block_merge_config_selectorItSB_EEEEvv
	.p2align	8
	.type	_ZN7rocprim17ROCPRIM_400000_NS6detail44device_merge_sort_compile_time_verifier_archINS1_11comp_targetILNS1_3genE2ELNS1_11target_archE906ELNS1_3gpuE6ELNS1_3repE0EEES8_NS0_14default_configES9_NS1_37merge_sort_block_sort_config_selectorItNS0_10empty_typeEEENS1_38merge_sort_block_merge_config_selectorItSB_EEEEvv,@function
_ZN7rocprim17ROCPRIM_400000_NS6detail44device_merge_sort_compile_time_verifier_archINS1_11comp_targetILNS1_3genE2ELNS1_11target_archE906ELNS1_3gpuE6ELNS1_3repE0EEES8_NS0_14default_configES9_NS1_37merge_sort_block_sort_config_selectorItNS0_10empty_typeEEENS1_38merge_sort_block_merge_config_selectorItSB_EEEEvv: ; @_ZN7rocprim17ROCPRIM_400000_NS6detail44device_merge_sort_compile_time_verifier_archINS1_11comp_targetILNS1_3genE2ELNS1_11target_archE906ELNS1_3gpuE6ELNS1_3repE0EEES8_NS0_14default_configES9_NS1_37merge_sort_block_sort_config_selectorItNS0_10empty_typeEEENS1_38merge_sort_block_merge_config_selectorItSB_EEEEvv
; %bb.0:
	s_endpgm
	.section	.rodata,"a",@progbits
	.p2align	6, 0x0
	.amdhsa_kernel _ZN7rocprim17ROCPRIM_400000_NS6detail44device_merge_sort_compile_time_verifier_archINS1_11comp_targetILNS1_3genE2ELNS1_11target_archE906ELNS1_3gpuE6ELNS1_3repE0EEES8_NS0_14default_configES9_NS1_37merge_sort_block_sort_config_selectorItNS0_10empty_typeEEENS1_38merge_sort_block_merge_config_selectorItSB_EEEEvv
		.amdhsa_group_segment_fixed_size 0
		.amdhsa_private_segment_fixed_size 0
		.amdhsa_kernarg_size 0
		.amdhsa_user_sgpr_count 4
		.amdhsa_user_sgpr_private_segment_buffer 1
		.amdhsa_user_sgpr_dispatch_ptr 0
		.amdhsa_user_sgpr_queue_ptr 0
		.amdhsa_user_sgpr_kernarg_segment_ptr 0
		.amdhsa_user_sgpr_dispatch_id 0
		.amdhsa_user_sgpr_flat_scratch_init 0
		.amdhsa_user_sgpr_private_segment_size 0
		.amdhsa_wavefront_size32 1
		.amdhsa_uses_dynamic_stack 0
		.amdhsa_system_sgpr_private_segment_wavefront_offset 0
		.amdhsa_system_sgpr_workgroup_id_x 1
		.amdhsa_system_sgpr_workgroup_id_y 0
		.amdhsa_system_sgpr_workgroup_id_z 0
		.amdhsa_system_sgpr_workgroup_info 0
		.amdhsa_system_vgpr_workitem_id 0
		.amdhsa_next_free_vgpr 1
		.amdhsa_next_free_sgpr 1
		.amdhsa_reserve_vcc 0
		.amdhsa_reserve_flat_scratch 0
		.amdhsa_float_round_mode_32 0
		.amdhsa_float_round_mode_16_64 0
		.amdhsa_float_denorm_mode_32 3
		.amdhsa_float_denorm_mode_16_64 3
		.amdhsa_dx10_clamp 1
		.amdhsa_ieee_mode 1
		.amdhsa_fp16_overflow 0
		.amdhsa_workgroup_processor_mode 1
		.amdhsa_memory_ordered 1
		.amdhsa_forward_progress 1
		.amdhsa_shared_vgpr_count 0
		.amdhsa_exception_fp_ieee_invalid_op 0
		.amdhsa_exception_fp_denorm_src 0
		.amdhsa_exception_fp_ieee_div_zero 0
		.amdhsa_exception_fp_ieee_overflow 0
		.amdhsa_exception_fp_ieee_underflow 0
		.amdhsa_exception_fp_ieee_inexact 0
		.amdhsa_exception_int_div_zero 0
	.end_amdhsa_kernel
	.section	.text._ZN7rocprim17ROCPRIM_400000_NS6detail44device_merge_sort_compile_time_verifier_archINS1_11comp_targetILNS1_3genE2ELNS1_11target_archE906ELNS1_3gpuE6ELNS1_3repE0EEES8_NS0_14default_configES9_NS1_37merge_sort_block_sort_config_selectorItNS0_10empty_typeEEENS1_38merge_sort_block_merge_config_selectorItSB_EEEEvv,"axG",@progbits,_ZN7rocprim17ROCPRIM_400000_NS6detail44device_merge_sort_compile_time_verifier_archINS1_11comp_targetILNS1_3genE2ELNS1_11target_archE906ELNS1_3gpuE6ELNS1_3repE0EEES8_NS0_14default_configES9_NS1_37merge_sort_block_sort_config_selectorItNS0_10empty_typeEEENS1_38merge_sort_block_merge_config_selectorItSB_EEEEvv,comdat
.Lfunc_end227:
	.size	_ZN7rocprim17ROCPRIM_400000_NS6detail44device_merge_sort_compile_time_verifier_archINS1_11comp_targetILNS1_3genE2ELNS1_11target_archE906ELNS1_3gpuE6ELNS1_3repE0EEES8_NS0_14default_configES9_NS1_37merge_sort_block_sort_config_selectorItNS0_10empty_typeEEENS1_38merge_sort_block_merge_config_selectorItSB_EEEEvv, .Lfunc_end227-_ZN7rocprim17ROCPRIM_400000_NS6detail44device_merge_sort_compile_time_verifier_archINS1_11comp_targetILNS1_3genE2ELNS1_11target_archE906ELNS1_3gpuE6ELNS1_3repE0EEES8_NS0_14default_configES9_NS1_37merge_sort_block_sort_config_selectorItNS0_10empty_typeEEENS1_38merge_sort_block_merge_config_selectorItSB_EEEEvv
                                        ; -- End function
	.set _ZN7rocprim17ROCPRIM_400000_NS6detail44device_merge_sort_compile_time_verifier_archINS1_11comp_targetILNS1_3genE2ELNS1_11target_archE906ELNS1_3gpuE6ELNS1_3repE0EEES8_NS0_14default_configES9_NS1_37merge_sort_block_sort_config_selectorItNS0_10empty_typeEEENS1_38merge_sort_block_merge_config_selectorItSB_EEEEvv.num_vgpr, 0
	.set _ZN7rocprim17ROCPRIM_400000_NS6detail44device_merge_sort_compile_time_verifier_archINS1_11comp_targetILNS1_3genE2ELNS1_11target_archE906ELNS1_3gpuE6ELNS1_3repE0EEES8_NS0_14default_configES9_NS1_37merge_sort_block_sort_config_selectorItNS0_10empty_typeEEENS1_38merge_sort_block_merge_config_selectorItSB_EEEEvv.num_agpr, 0
	.set _ZN7rocprim17ROCPRIM_400000_NS6detail44device_merge_sort_compile_time_verifier_archINS1_11comp_targetILNS1_3genE2ELNS1_11target_archE906ELNS1_3gpuE6ELNS1_3repE0EEES8_NS0_14default_configES9_NS1_37merge_sort_block_sort_config_selectorItNS0_10empty_typeEEENS1_38merge_sort_block_merge_config_selectorItSB_EEEEvv.numbered_sgpr, 0
	.set _ZN7rocprim17ROCPRIM_400000_NS6detail44device_merge_sort_compile_time_verifier_archINS1_11comp_targetILNS1_3genE2ELNS1_11target_archE906ELNS1_3gpuE6ELNS1_3repE0EEES8_NS0_14default_configES9_NS1_37merge_sort_block_sort_config_selectorItNS0_10empty_typeEEENS1_38merge_sort_block_merge_config_selectorItSB_EEEEvv.num_named_barrier, 0
	.set _ZN7rocprim17ROCPRIM_400000_NS6detail44device_merge_sort_compile_time_verifier_archINS1_11comp_targetILNS1_3genE2ELNS1_11target_archE906ELNS1_3gpuE6ELNS1_3repE0EEES8_NS0_14default_configES9_NS1_37merge_sort_block_sort_config_selectorItNS0_10empty_typeEEENS1_38merge_sort_block_merge_config_selectorItSB_EEEEvv.private_seg_size, 0
	.set _ZN7rocprim17ROCPRIM_400000_NS6detail44device_merge_sort_compile_time_verifier_archINS1_11comp_targetILNS1_3genE2ELNS1_11target_archE906ELNS1_3gpuE6ELNS1_3repE0EEES8_NS0_14default_configES9_NS1_37merge_sort_block_sort_config_selectorItNS0_10empty_typeEEENS1_38merge_sort_block_merge_config_selectorItSB_EEEEvv.uses_vcc, 0
	.set _ZN7rocprim17ROCPRIM_400000_NS6detail44device_merge_sort_compile_time_verifier_archINS1_11comp_targetILNS1_3genE2ELNS1_11target_archE906ELNS1_3gpuE6ELNS1_3repE0EEES8_NS0_14default_configES9_NS1_37merge_sort_block_sort_config_selectorItNS0_10empty_typeEEENS1_38merge_sort_block_merge_config_selectorItSB_EEEEvv.uses_flat_scratch, 0
	.set _ZN7rocprim17ROCPRIM_400000_NS6detail44device_merge_sort_compile_time_verifier_archINS1_11comp_targetILNS1_3genE2ELNS1_11target_archE906ELNS1_3gpuE6ELNS1_3repE0EEES8_NS0_14default_configES9_NS1_37merge_sort_block_sort_config_selectorItNS0_10empty_typeEEENS1_38merge_sort_block_merge_config_selectorItSB_EEEEvv.has_dyn_sized_stack, 0
	.set _ZN7rocprim17ROCPRIM_400000_NS6detail44device_merge_sort_compile_time_verifier_archINS1_11comp_targetILNS1_3genE2ELNS1_11target_archE906ELNS1_3gpuE6ELNS1_3repE0EEES8_NS0_14default_configES9_NS1_37merge_sort_block_sort_config_selectorItNS0_10empty_typeEEENS1_38merge_sort_block_merge_config_selectorItSB_EEEEvv.has_recursion, 0
	.set _ZN7rocprim17ROCPRIM_400000_NS6detail44device_merge_sort_compile_time_verifier_archINS1_11comp_targetILNS1_3genE2ELNS1_11target_archE906ELNS1_3gpuE6ELNS1_3repE0EEES8_NS0_14default_configES9_NS1_37merge_sort_block_sort_config_selectorItNS0_10empty_typeEEENS1_38merge_sort_block_merge_config_selectorItSB_EEEEvv.has_indirect_call, 0
	.section	.AMDGPU.csdata,"",@progbits
; Kernel info:
; codeLenInByte = 4
; TotalNumSgprs: 0
; NumVgprs: 0
; ScratchSize: 0
; MemoryBound: 0
; FloatMode: 240
; IeeeMode: 1
; LDSByteSize: 0 bytes/workgroup (compile time only)
; SGPRBlocks: 0
; VGPRBlocks: 0
; NumSGPRsForWavesPerEU: 1
; NumVGPRsForWavesPerEU: 1
; Occupancy: 16
; WaveLimiterHint : 0
; COMPUTE_PGM_RSRC2:SCRATCH_EN: 0
; COMPUTE_PGM_RSRC2:USER_SGPR: 4
; COMPUTE_PGM_RSRC2:TRAP_HANDLER: 0
; COMPUTE_PGM_RSRC2:TGID_X_EN: 1
; COMPUTE_PGM_RSRC2:TGID_Y_EN: 0
; COMPUTE_PGM_RSRC2:TGID_Z_EN: 0
; COMPUTE_PGM_RSRC2:TIDIG_COMP_CNT: 0
	.section	.text._ZN7rocprim17ROCPRIM_400000_NS6detail44device_merge_sort_compile_time_verifier_archINS1_11comp_targetILNS1_3genE10ELNS1_11target_archE1201ELNS1_3gpuE5ELNS1_3repE0EEES8_NS0_14default_configES9_NS1_37merge_sort_block_sort_config_selectorItNS0_10empty_typeEEENS1_38merge_sort_block_merge_config_selectorItSB_EEEEvv,"axG",@progbits,_ZN7rocprim17ROCPRIM_400000_NS6detail44device_merge_sort_compile_time_verifier_archINS1_11comp_targetILNS1_3genE10ELNS1_11target_archE1201ELNS1_3gpuE5ELNS1_3repE0EEES8_NS0_14default_configES9_NS1_37merge_sort_block_sort_config_selectorItNS0_10empty_typeEEENS1_38merge_sort_block_merge_config_selectorItSB_EEEEvv,comdat
	.protected	_ZN7rocprim17ROCPRIM_400000_NS6detail44device_merge_sort_compile_time_verifier_archINS1_11comp_targetILNS1_3genE10ELNS1_11target_archE1201ELNS1_3gpuE5ELNS1_3repE0EEES8_NS0_14default_configES9_NS1_37merge_sort_block_sort_config_selectorItNS0_10empty_typeEEENS1_38merge_sort_block_merge_config_selectorItSB_EEEEvv ; -- Begin function _ZN7rocprim17ROCPRIM_400000_NS6detail44device_merge_sort_compile_time_verifier_archINS1_11comp_targetILNS1_3genE10ELNS1_11target_archE1201ELNS1_3gpuE5ELNS1_3repE0EEES8_NS0_14default_configES9_NS1_37merge_sort_block_sort_config_selectorItNS0_10empty_typeEEENS1_38merge_sort_block_merge_config_selectorItSB_EEEEvv
	.globl	_ZN7rocprim17ROCPRIM_400000_NS6detail44device_merge_sort_compile_time_verifier_archINS1_11comp_targetILNS1_3genE10ELNS1_11target_archE1201ELNS1_3gpuE5ELNS1_3repE0EEES8_NS0_14default_configES9_NS1_37merge_sort_block_sort_config_selectorItNS0_10empty_typeEEENS1_38merge_sort_block_merge_config_selectorItSB_EEEEvv
	.p2align	8
	.type	_ZN7rocprim17ROCPRIM_400000_NS6detail44device_merge_sort_compile_time_verifier_archINS1_11comp_targetILNS1_3genE10ELNS1_11target_archE1201ELNS1_3gpuE5ELNS1_3repE0EEES8_NS0_14default_configES9_NS1_37merge_sort_block_sort_config_selectorItNS0_10empty_typeEEENS1_38merge_sort_block_merge_config_selectorItSB_EEEEvv,@function
_ZN7rocprim17ROCPRIM_400000_NS6detail44device_merge_sort_compile_time_verifier_archINS1_11comp_targetILNS1_3genE10ELNS1_11target_archE1201ELNS1_3gpuE5ELNS1_3repE0EEES8_NS0_14default_configES9_NS1_37merge_sort_block_sort_config_selectorItNS0_10empty_typeEEENS1_38merge_sort_block_merge_config_selectorItSB_EEEEvv: ; @_ZN7rocprim17ROCPRIM_400000_NS6detail44device_merge_sort_compile_time_verifier_archINS1_11comp_targetILNS1_3genE10ELNS1_11target_archE1201ELNS1_3gpuE5ELNS1_3repE0EEES8_NS0_14default_configES9_NS1_37merge_sort_block_sort_config_selectorItNS0_10empty_typeEEENS1_38merge_sort_block_merge_config_selectorItSB_EEEEvv
; %bb.0:
	s_endpgm
	.section	.rodata,"a",@progbits
	.p2align	6, 0x0
	.amdhsa_kernel _ZN7rocprim17ROCPRIM_400000_NS6detail44device_merge_sort_compile_time_verifier_archINS1_11comp_targetILNS1_3genE10ELNS1_11target_archE1201ELNS1_3gpuE5ELNS1_3repE0EEES8_NS0_14default_configES9_NS1_37merge_sort_block_sort_config_selectorItNS0_10empty_typeEEENS1_38merge_sort_block_merge_config_selectorItSB_EEEEvv
		.amdhsa_group_segment_fixed_size 0
		.amdhsa_private_segment_fixed_size 0
		.amdhsa_kernarg_size 0
		.amdhsa_user_sgpr_count 4
		.amdhsa_user_sgpr_private_segment_buffer 1
		.amdhsa_user_sgpr_dispatch_ptr 0
		.amdhsa_user_sgpr_queue_ptr 0
		.amdhsa_user_sgpr_kernarg_segment_ptr 0
		.amdhsa_user_sgpr_dispatch_id 0
		.amdhsa_user_sgpr_flat_scratch_init 0
		.amdhsa_user_sgpr_private_segment_size 0
		.amdhsa_wavefront_size32 1
		.amdhsa_uses_dynamic_stack 0
		.amdhsa_system_sgpr_private_segment_wavefront_offset 0
		.amdhsa_system_sgpr_workgroup_id_x 1
		.amdhsa_system_sgpr_workgroup_id_y 0
		.amdhsa_system_sgpr_workgroup_id_z 0
		.amdhsa_system_sgpr_workgroup_info 0
		.amdhsa_system_vgpr_workitem_id 0
		.amdhsa_next_free_vgpr 1
		.amdhsa_next_free_sgpr 1
		.amdhsa_reserve_vcc 0
		.amdhsa_reserve_flat_scratch 0
		.amdhsa_float_round_mode_32 0
		.amdhsa_float_round_mode_16_64 0
		.amdhsa_float_denorm_mode_32 3
		.amdhsa_float_denorm_mode_16_64 3
		.amdhsa_dx10_clamp 1
		.amdhsa_ieee_mode 1
		.amdhsa_fp16_overflow 0
		.amdhsa_workgroup_processor_mode 1
		.amdhsa_memory_ordered 1
		.amdhsa_forward_progress 1
		.amdhsa_shared_vgpr_count 0
		.amdhsa_exception_fp_ieee_invalid_op 0
		.amdhsa_exception_fp_denorm_src 0
		.amdhsa_exception_fp_ieee_div_zero 0
		.amdhsa_exception_fp_ieee_overflow 0
		.amdhsa_exception_fp_ieee_underflow 0
		.amdhsa_exception_fp_ieee_inexact 0
		.amdhsa_exception_int_div_zero 0
	.end_amdhsa_kernel
	.section	.text._ZN7rocprim17ROCPRIM_400000_NS6detail44device_merge_sort_compile_time_verifier_archINS1_11comp_targetILNS1_3genE10ELNS1_11target_archE1201ELNS1_3gpuE5ELNS1_3repE0EEES8_NS0_14default_configES9_NS1_37merge_sort_block_sort_config_selectorItNS0_10empty_typeEEENS1_38merge_sort_block_merge_config_selectorItSB_EEEEvv,"axG",@progbits,_ZN7rocprim17ROCPRIM_400000_NS6detail44device_merge_sort_compile_time_verifier_archINS1_11comp_targetILNS1_3genE10ELNS1_11target_archE1201ELNS1_3gpuE5ELNS1_3repE0EEES8_NS0_14default_configES9_NS1_37merge_sort_block_sort_config_selectorItNS0_10empty_typeEEENS1_38merge_sort_block_merge_config_selectorItSB_EEEEvv,comdat
.Lfunc_end228:
	.size	_ZN7rocprim17ROCPRIM_400000_NS6detail44device_merge_sort_compile_time_verifier_archINS1_11comp_targetILNS1_3genE10ELNS1_11target_archE1201ELNS1_3gpuE5ELNS1_3repE0EEES8_NS0_14default_configES9_NS1_37merge_sort_block_sort_config_selectorItNS0_10empty_typeEEENS1_38merge_sort_block_merge_config_selectorItSB_EEEEvv, .Lfunc_end228-_ZN7rocprim17ROCPRIM_400000_NS6detail44device_merge_sort_compile_time_verifier_archINS1_11comp_targetILNS1_3genE10ELNS1_11target_archE1201ELNS1_3gpuE5ELNS1_3repE0EEES8_NS0_14default_configES9_NS1_37merge_sort_block_sort_config_selectorItNS0_10empty_typeEEENS1_38merge_sort_block_merge_config_selectorItSB_EEEEvv
                                        ; -- End function
	.set _ZN7rocprim17ROCPRIM_400000_NS6detail44device_merge_sort_compile_time_verifier_archINS1_11comp_targetILNS1_3genE10ELNS1_11target_archE1201ELNS1_3gpuE5ELNS1_3repE0EEES8_NS0_14default_configES9_NS1_37merge_sort_block_sort_config_selectorItNS0_10empty_typeEEENS1_38merge_sort_block_merge_config_selectorItSB_EEEEvv.num_vgpr, 0
	.set _ZN7rocprim17ROCPRIM_400000_NS6detail44device_merge_sort_compile_time_verifier_archINS1_11comp_targetILNS1_3genE10ELNS1_11target_archE1201ELNS1_3gpuE5ELNS1_3repE0EEES8_NS0_14default_configES9_NS1_37merge_sort_block_sort_config_selectorItNS0_10empty_typeEEENS1_38merge_sort_block_merge_config_selectorItSB_EEEEvv.num_agpr, 0
	.set _ZN7rocprim17ROCPRIM_400000_NS6detail44device_merge_sort_compile_time_verifier_archINS1_11comp_targetILNS1_3genE10ELNS1_11target_archE1201ELNS1_3gpuE5ELNS1_3repE0EEES8_NS0_14default_configES9_NS1_37merge_sort_block_sort_config_selectorItNS0_10empty_typeEEENS1_38merge_sort_block_merge_config_selectorItSB_EEEEvv.numbered_sgpr, 0
	.set _ZN7rocprim17ROCPRIM_400000_NS6detail44device_merge_sort_compile_time_verifier_archINS1_11comp_targetILNS1_3genE10ELNS1_11target_archE1201ELNS1_3gpuE5ELNS1_3repE0EEES8_NS0_14default_configES9_NS1_37merge_sort_block_sort_config_selectorItNS0_10empty_typeEEENS1_38merge_sort_block_merge_config_selectorItSB_EEEEvv.num_named_barrier, 0
	.set _ZN7rocprim17ROCPRIM_400000_NS6detail44device_merge_sort_compile_time_verifier_archINS1_11comp_targetILNS1_3genE10ELNS1_11target_archE1201ELNS1_3gpuE5ELNS1_3repE0EEES8_NS0_14default_configES9_NS1_37merge_sort_block_sort_config_selectorItNS0_10empty_typeEEENS1_38merge_sort_block_merge_config_selectorItSB_EEEEvv.private_seg_size, 0
	.set _ZN7rocprim17ROCPRIM_400000_NS6detail44device_merge_sort_compile_time_verifier_archINS1_11comp_targetILNS1_3genE10ELNS1_11target_archE1201ELNS1_3gpuE5ELNS1_3repE0EEES8_NS0_14default_configES9_NS1_37merge_sort_block_sort_config_selectorItNS0_10empty_typeEEENS1_38merge_sort_block_merge_config_selectorItSB_EEEEvv.uses_vcc, 0
	.set _ZN7rocprim17ROCPRIM_400000_NS6detail44device_merge_sort_compile_time_verifier_archINS1_11comp_targetILNS1_3genE10ELNS1_11target_archE1201ELNS1_3gpuE5ELNS1_3repE0EEES8_NS0_14default_configES9_NS1_37merge_sort_block_sort_config_selectorItNS0_10empty_typeEEENS1_38merge_sort_block_merge_config_selectorItSB_EEEEvv.uses_flat_scratch, 0
	.set _ZN7rocprim17ROCPRIM_400000_NS6detail44device_merge_sort_compile_time_verifier_archINS1_11comp_targetILNS1_3genE10ELNS1_11target_archE1201ELNS1_3gpuE5ELNS1_3repE0EEES8_NS0_14default_configES9_NS1_37merge_sort_block_sort_config_selectorItNS0_10empty_typeEEENS1_38merge_sort_block_merge_config_selectorItSB_EEEEvv.has_dyn_sized_stack, 0
	.set _ZN7rocprim17ROCPRIM_400000_NS6detail44device_merge_sort_compile_time_verifier_archINS1_11comp_targetILNS1_3genE10ELNS1_11target_archE1201ELNS1_3gpuE5ELNS1_3repE0EEES8_NS0_14default_configES9_NS1_37merge_sort_block_sort_config_selectorItNS0_10empty_typeEEENS1_38merge_sort_block_merge_config_selectorItSB_EEEEvv.has_recursion, 0
	.set _ZN7rocprim17ROCPRIM_400000_NS6detail44device_merge_sort_compile_time_verifier_archINS1_11comp_targetILNS1_3genE10ELNS1_11target_archE1201ELNS1_3gpuE5ELNS1_3repE0EEES8_NS0_14default_configES9_NS1_37merge_sort_block_sort_config_selectorItNS0_10empty_typeEEENS1_38merge_sort_block_merge_config_selectorItSB_EEEEvv.has_indirect_call, 0
	.section	.AMDGPU.csdata,"",@progbits
; Kernel info:
; codeLenInByte = 4
; TotalNumSgprs: 0
; NumVgprs: 0
; ScratchSize: 0
; MemoryBound: 0
; FloatMode: 240
; IeeeMode: 1
; LDSByteSize: 0 bytes/workgroup (compile time only)
; SGPRBlocks: 0
; VGPRBlocks: 0
; NumSGPRsForWavesPerEU: 1
; NumVGPRsForWavesPerEU: 1
; Occupancy: 16
; WaveLimiterHint : 0
; COMPUTE_PGM_RSRC2:SCRATCH_EN: 0
; COMPUTE_PGM_RSRC2:USER_SGPR: 4
; COMPUTE_PGM_RSRC2:TRAP_HANDLER: 0
; COMPUTE_PGM_RSRC2:TGID_X_EN: 1
; COMPUTE_PGM_RSRC2:TGID_Y_EN: 0
; COMPUTE_PGM_RSRC2:TGID_Z_EN: 0
; COMPUTE_PGM_RSRC2:TIDIG_COMP_CNT: 0
	.section	.text._ZN7rocprim17ROCPRIM_400000_NS6detail44device_merge_sort_compile_time_verifier_archINS1_11comp_targetILNS1_3genE10ELNS1_11target_archE1200ELNS1_3gpuE4ELNS1_3repE0EEENS3_ILS4_10ELS5_1201ELS6_5ELS7_0EEENS0_14default_configESA_NS1_37merge_sort_block_sort_config_selectorItNS0_10empty_typeEEENS1_38merge_sort_block_merge_config_selectorItSC_EEEEvv,"axG",@progbits,_ZN7rocprim17ROCPRIM_400000_NS6detail44device_merge_sort_compile_time_verifier_archINS1_11comp_targetILNS1_3genE10ELNS1_11target_archE1200ELNS1_3gpuE4ELNS1_3repE0EEENS3_ILS4_10ELS5_1201ELS6_5ELS7_0EEENS0_14default_configESA_NS1_37merge_sort_block_sort_config_selectorItNS0_10empty_typeEEENS1_38merge_sort_block_merge_config_selectorItSC_EEEEvv,comdat
	.protected	_ZN7rocprim17ROCPRIM_400000_NS6detail44device_merge_sort_compile_time_verifier_archINS1_11comp_targetILNS1_3genE10ELNS1_11target_archE1200ELNS1_3gpuE4ELNS1_3repE0EEENS3_ILS4_10ELS5_1201ELS6_5ELS7_0EEENS0_14default_configESA_NS1_37merge_sort_block_sort_config_selectorItNS0_10empty_typeEEENS1_38merge_sort_block_merge_config_selectorItSC_EEEEvv ; -- Begin function _ZN7rocprim17ROCPRIM_400000_NS6detail44device_merge_sort_compile_time_verifier_archINS1_11comp_targetILNS1_3genE10ELNS1_11target_archE1200ELNS1_3gpuE4ELNS1_3repE0EEENS3_ILS4_10ELS5_1201ELS6_5ELS7_0EEENS0_14default_configESA_NS1_37merge_sort_block_sort_config_selectorItNS0_10empty_typeEEENS1_38merge_sort_block_merge_config_selectorItSC_EEEEvv
	.globl	_ZN7rocprim17ROCPRIM_400000_NS6detail44device_merge_sort_compile_time_verifier_archINS1_11comp_targetILNS1_3genE10ELNS1_11target_archE1200ELNS1_3gpuE4ELNS1_3repE0EEENS3_ILS4_10ELS5_1201ELS6_5ELS7_0EEENS0_14default_configESA_NS1_37merge_sort_block_sort_config_selectorItNS0_10empty_typeEEENS1_38merge_sort_block_merge_config_selectorItSC_EEEEvv
	.p2align	8
	.type	_ZN7rocprim17ROCPRIM_400000_NS6detail44device_merge_sort_compile_time_verifier_archINS1_11comp_targetILNS1_3genE10ELNS1_11target_archE1200ELNS1_3gpuE4ELNS1_3repE0EEENS3_ILS4_10ELS5_1201ELS6_5ELS7_0EEENS0_14default_configESA_NS1_37merge_sort_block_sort_config_selectorItNS0_10empty_typeEEENS1_38merge_sort_block_merge_config_selectorItSC_EEEEvv,@function
_ZN7rocprim17ROCPRIM_400000_NS6detail44device_merge_sort_compile_time_verifier_archINS1_11comp_targetILNS1_3genE10ELNS1_11target_archE1200ELNS1_3gpuE4ELNS1_3repE0EEENS3_ILS4_10ELS5_1201ELS6_5ELS7_0EEENS0_14default_configESA_NS1_37merge_sort_block_sort_config_selectorItNS0_10empty_typeEEENS1_38merge_sort_block_merge_config_selectorItSC_EEEEvv: ; @_ZN7rocprim17ROCPRIM_400000_NS6detail44device_merge_sort_compile_time_verifier_archINS1_11comp_targetILNS1_3genE10ELNS1_11target_archE1200ELNS1_3gpuE4ELNS1_3repE0EEENS3_ILS4_10ELS5_1201ELS6_5ELS7_0EEENS0_14default_configESA_NS1_37merge_sort_block_sort_config_selectorItNS0_10empty_typeEEENS1_38merge_sort_block_merge_config_selectorItSC_EEEEvv
; %bb.0:
	s_endpgm
	.section	.rodata,"a",@progbits
	.p2align	6, 0x0
	.amdhsa_kernel _ZN7rocprim17ROCPRIM_400000_NS6detail44device_merge_sort_compile_time_verifier_archINS1_11comp_targetILNS1_3genE10ELNS1_11target_archE1200ELNS1_3gpuE4ELNS1_3repE0EEENS3_ILS4_10ELS5_1201ELS6_5ELS7_0EEENS0_14default_configESA_NS1_37merge_sort_block_sort_config_selectorItNS0_10empty_typeEEENS1_38merge_sort_block_merge_config_selectorItSC_EEEEvv
		.amdhsa_group_segment_fixed_size 0
		.amdhsa_private_segment_fixed_size 0
		.amdhsa_kernarg_size 0
		.amdhsa_user_sgpr_count 4
		.amdhsa_user_sgpr_private_segment_buffer 1
		.amdhsa_user_sgpr_dispatch_ptr 0
		.amdhsa_user_sgpr_queue_ptr 0
		.amdhsa_user_sgpr_kernarg_segment_ptr 0
		.amdhsa_user_sgpr_dispatch_id 0
		.amdhsa_user_sgpr_flat_scratch_init 0
		.amdhsa_user_sgpr_private_segment_size 0
		.amdhsa_wavefront_size32 1
		.amdhsa_uses_dynamic_stack 0
		.amdhsa_system_sgpr_private_segment_wavefront_offset 0
		.amdhsa_system_sgpr_workgroup_id_x 1
		.amdhsa_system_sgpr_workgroup_id_y 0
		.amdhsa_system_sgpr_workgroup_id_z 0
		.amdhsa_system_sgpr_workgroup_info 0
		.amdhsa_system_vgpr_workitem_id 0
		.amdhsa_next_free_vgpr 1
		.amdhsa_next_free_sgpr 1
		.amdhsa_reserve_vcc 0
		.amdhsa_reserve_flat_scratch 0
		.amdhsa_float_round_mode_32 0
		.amdhsa_float_round_mode_16_64 0
		.amdhsa_float_denorm_mode_32 3
		.amdhsa_float_denorm_mode_16_64 3
		.amdhsa_dx10_clamp 1
		.amdhsa_ieee_mode 1
		.amdhsa_fp16_overflow 0
		.amdhsa_workgroup_processor_mode 1
		.amdhsa_memory_ordered 1
		.amdhsa_forward_progress 1
		.amdhsa_shared_vgpr_count 0
		.amdhsa_exception_fp_ieee_invalid_op 0
		.amdhsa_exception_fp_denorm_src 0
		.amdhsa_exception_fp_ieee_div_zero 0
		.amdhsa_exception_fp_ieee_overflow 0
		.amdhsa_exception_fp_ieee_underflow 0
		.amdhsa_exception_fp_ieee_inexact 0
		.amdhsa_exception_int_div_zero 0
	.end_amdhsa_kernel
	.section	.text._ZN7rocprim17ROCPRIM_400000_NS6detail44device_merge_sort_compile_time_verifier_archINS1_11comp_targetILNS1_3genE10ELNS1_11target_archE1200ELNS1_3gpuE4ELNS1_3repE0EEENS3_ILS4_10ELS5_1201ELS6_5ELS7_0EEENS0_14default_configESA_NS1_37merge_sort_block_sort_config_selectorItNS0_10empty_typeEEENS1_38merge_sort_block_merge_config_selectorItSC_EEEEvv,"axG",@progbits,_ZN7rocprim17ROCPRIM_400000_NS6detail44device_merge_sort_compile_time_verifier_archINS1_11comp_targetILNS1_3genE10ELNS1_11target_archE1200ELNS1_3gpuE4ELNS1_3repE0EEENS3_ILS4_10ELS5_1201ELS6_5ELS7_0EEENS0_14default_configESA_NS1_37merge_sort_block_sort_config_selectorItNS0_10empty_typeEEENS1_38merge_sort_block_merge_config_selectorItSC_EEEEvv,comdat
.Lfunc_end229:
	.size	_ZN7rocprim17ROCPRIM_400000_NS6detail44device_merge_sort_compile_time_verifier_archINS1_11comp_targetILNS1_3genE10ELNS1_11target_archE1200ELNS1_3gpuE4ELNS1_3repE0EEENS3_ILS4_10ELS5_1201ELS6_5ELS7_0EEENS0_14default_configESA_NS1_37merge_sort_block_sort_config_selectorItNS0_10empty_typeEEENS1_38merge_sort_block_merge_config_selectorItSC_EEEEvv, .Lfunc_end229-_ZN7rocprim17ROCPRIM_400000_NS6detail44device_merge_sort_compile_time_verifier_archINS1_11comp_targetILNS1_3genE10ELNS1_11target_archE1200ELNS1_3gpuE4ELNS1_3repE0EEENS3_ILS4_10ELS5_1201ELS6_5ELS7_0EEENS0_14default_configESA_NS1_37merge_sort_block_sort_config_selectorItNS0_10empty_typeEEENS1_38merge_sort_block_merge_config_selectorItSC_EEEEvv
                                        ; -- End function
	.set _ZN7rocprim17ROCPRIM_400000_NS6detail44device_merge_sort_compile_time_verifier_archINS1_11comp_targetILNS1_3genE10ELNS1_11target_archE1200ELNS1_3gpuE4ELNS1_3repE0EEENS3_ILS4_10ELS5_1201ELS6_5ELS7_0EEENS0_14default_configESA_NS1_37merge_sort_block_sort_config_selectorItNS0_10empty_typeEEENS1_38merge_sort_block_merge_config_selectorItSC_EEEEvv.num_vgpr, 0
	.set _ZN7rocprim17ROCPRIM_400000_NS6detail44device_merge_sort_compile_time_verifier_archINS1_11comp_targetILNS1_3genE10ELNS1_11target_archE1200ELNS1_3gpuE4ELNS1_3repE0EEENS3_ILS4_10ELS5_1201ELS6_5ELS7_0EEENS0_14default_configESA_NS1_37merge_sort_block_sort_config_selectorItNS0_10empty_typeEEENS1_38merge_sort_block_merge_config_selectorItSC_EEEEvv.num_agpr, 0
	.set _ZN7rocprim17ROCPRIM_400000_NS6detail44device_merge_sort_compile_time_verifier_archINS1_11comp_targetILNS1_3genE10ELNS1_11target_archE1200ELNS1_3gpuE4ELNS1_3repE0EEENS3_ILS4_10ELS5_1201ELS6_5ELS7_0EEENS0_14default_configESA_NS1_37merge_sort_block_sort_config_selectorItNS0_10empty_typeEEENS1_38merge_sort_block_merge_config_selectorItSC_EEEEvv.numbered_sgpr, 0
	.set _ZN7rocprim17ROCPRIM_400000_NS6detail44device_merge_sort_compile_time_verifier_archINS1_11comp_targetILNS1_3genE10ELNS1_11target_archE1200ELNS1_3gpuE4ELNS1_3repE0EEENS3_ILS4_10ELS5_1201ELS6_5ELS7_0EEENS0_14default_configESA_NS1_37merge_sort_block_sort_config_selectorItNS0_10empty_typeEEENS1_38merge_sort_block_merge_config_selectorItSC_EEEEvv.num_named_barrier, 0
	.set _ZN7rocprim17ROCPRIM_400000_NS6detail44device_merge_sort_compile_time_verifier_archINS1_11comp_targetILNS1_3genE10ELNS1_11target_archE1200ELNS1_3gpuE4ELNS1_3repE0EEENS3_ILS4_10ELS5_1201ELS6_5ELS7_0EEENS0_14default_configESA_NS1_37merge_sort_block_sort_config_selectorItNS0_10empty_typeEEENS1_38merge_sort_block_merge_config_selectorItSC_EEEEvv.private_seg_size, 0
	.set _ZN7rocprim17ROCPRIM_400000_NS6detail44device_merge_sort_compile_time_verifier_archINS1_11comp_targetILNS1_3genE10ELNS1_11target_archE1200ELNS1_3gpuE4ELNS1_3repE0EEENS3_ILS4_10ELS5_1201ELS6_5ELS7_0EEENS0_14default_configESA_NS1_37merge_sort_block_sort_config_selectorItNS0_10empty_typeEEENS1_38merge_sort_block_merge_config_selectorItSC_EEEEvv.uses_vcc, 0
	.set _ZN7rocprim17ROCPRIM_400000_NS6detail44device_merge_sort_compile_time_verifier_archINS1_11comp_targetILNS1_3genE10ELNS1_11target_archE1200ELNS1_3gpuE4ELNS1_3repE0EEENS3_ILS4_10ELS5_1201ELS6_5ELS7_0EEENS0_14default_configESA_NS1_37merge_sort_block_sort_config_selectorItNS0_10empty_typeEEENS1_38merge_sort_block_merge_config_selectorItSC_EEEEvv.uses_flat_scratch, 0
	.set _ZN7rocprim17ROCPRIM_400000_NS6detail44device_merge_sort_compile_time_verifier_archINS1_11comp_targetILNS1_3genE10ELNS1_11target_archE1200ELNS1_3gpuE4ELNS1_3repE0EEENS3_ILS4_10ELS5_1201ELS6_5ELS7_0EEENS0_14default_configESA_NS1_37merge_sort_block_sort_config_selectorItNS0_10empty_typeEEENS1_38merge_sort_block_merge_config_selectorItSC_EEEEvv.has_dyn_sized_stack, 0
	.set _ZN7rocprim17ROCPRIM_400000_NS6detail44device_merge_sort_compile_time_verifier_archINS1_11comp_targetILNS1_3genE10ELNS1_11target_archE1200ELNS1_3gpuE4ELNS1_3repE0EEENS3_ILS4_10ELS5_1201ELS6_5ELS7_0EEENS0_14default_configESA_NS1_37merge_sort_block_sort_config_selectorItNS0_10empty_typeEEENS1_38merge_sort_block_merge_config_selectorItSC_EEEEvv.has_recursion, 0
	.set _ZN7rocprim17ROCPRIM_400000_NS6detail44device_merge_sort_compile_time_verifier_archINS1_11comp_targetILNS1_3genE10ELNS1_11target_archE1200ELNS1_3gpuE4ELNS1_3repE0EEENS3_ILS4_10ELS5_1201ELS6_5ELS7_0EEENS0_14default_configESA_NS1_37merge_sort_block_sort_config_selectorItNS0_10empty_typeEEENS1_38merge_sort_block_merge_config_selectorItSC_EEEEvv.has_indirect_call, 0
	.section	.AMDGPU.csdata,"",@progbits
; Kernel info:
; codeLenInByte = 4
; TotalNumSgprs: 0
; NumVgprs: 0
; ScratchSize: 0
; MemoryBound: 0
; FloatMode: 240
; IeeeMode: 1
; LDSByteSize: 0 bytes/workgroup (compile time only)
; SGPRBlocks: 0
; VGPRBlocks: 0
; NumSGPRsForWavesPerEU: 1
; NumVGPRsForWavesPerEU: 1
; Occupancy: 16
; WaveLimiterHint : 0
; COMPUTE_PGM_RSRC2:SCRATCH_EN: 0
; COMPUTE_PGM_RSRC2:USER_SGPR: 4
; COMPUTE_PGM_RSRC2:TRAP_HANDLER: 0
; COMPUTE_PGM_RSRC2:TGID_X_EN: 1
; COMPUTE_PGM_RSRC2:TGID_Y_EN: 0
; COMPUTE_PGM_RSRC2:TGID_Z_EN: 0
; COMPUTE_PGM_RSRC2:TIDIG_COMP_CNT: 0
	.section	.text._ZN7rocprim17ROCPRIM_400000_NS6detail44device_merge_sort_compile_time_verifier_archINS1_11comp_targetILNS1_3genE9ELNS1_11target_archE1100ELNS1_3gpuE3ELNS1_3repE0EEES8_NS0_14default_configES9_NS1_37merge_sort_block_sort_config_selectorItNS0_10empty_typeEEENS1_38merge_sort_block_merge_config_selectorItSB_EEEEvv,"axG",@progbits,_ZN7rocprim17ROCPRIM_400000_NS6detail44device_merge_sort_compile_time_verifier_archINS1_11comp_targetILNS1_3genE9ELNS1_11target_archE1100ELNS1_3gpuE3ELNS1_3repE0EEES8_NS0_14default_configES9_NS1_37merge_sort_block_sort_config_selectorItNS0_10empty_typeEEENS1_38merge_sort_block_merge_config_selectorItSB_EEEEvv,comdat
	.protected	_ZN7rocprim17ROCPRIM_400000_NS6detail44device_merge_sort_compile_time_verifier_archINS1_11comp_targetILNS1_3genE9ELNS1_11target_archE1100ELNS1_3gpuE3ELNS1_3repE0EEES8_NS0_14default_configES9_NS1_37merge_sort_block_sort_config_selectorItNS0_10empty_typeEEENS1_38merge_sort_block_merge_config_selectorItSB_EEEEvv ; -- Begin function _ZN7rocprim17ROCPRIM_400000_NS6detail44device_merge_sort_compile_time_verifier_archINS1_11comp_targetILNS1_3genE9ELNS1_11target_archE1100ELNS1_3gpuE3ELNS1_3repE0EEES8_NS0_14default_configES9_NS1_37merge_sort_block_sort_config_selectorItNS0_10empty_typeEEENS1_38merge_sort_block_merge_config_selectorItSB_EEEEvv
	.globl	_ZN7rocprim17ROCPRIM_400000_NS6detail44device_merge_sort_compile_time_verifier_archINS1_11comp_targetILNS1_3genE9ELNS1_11target_archE1100ELNS1_3gpuE3ELNS1_3repE0EEES8_NS0_14default_configES9_NS1_37merge_sort_block_sort_config_selectorItNS0_10empty_typeEEENS1_38merge_sort_block_merge_config_selectorItSB_EEEEvv
	.p2align	8
	.type	_ZN7rocprim17ROCPRIM_400000_NS6detail44device_merge_sort_compile_time_verifier_archINS1_11comp_targetILNS1_3genE9ELNS1_11target_archE1100ELNS1_3gpuE3ELNS1_3repE0EEES8_NS0_14default_configES9_NS1_37merge_sort_block_sort_config_selectorItNS0_10empty_typeEEENS1_38merge_sort_block_merge_config_selectorItSB_EEEEvv,@function
_ZN7rocprim17ROCPRIM_400000_NS6detail44device_merge_sort_compile_time_verifier_archINS1_11comp_targetILNS1_3genE9ELNS1_11target_archE1100ELNS1_3gpuE3ELNS1_3repE0EEES8_NS0_14default_configES9_NS1_37merge_sort_block_sort_config_selectorItNS0_10empty_typeEEENS1_38merge_sort_block_merge_config_selectorItSB_EEEEvv: ; @_ZN7rocprim17ROCPRIM_400000_NS6detail44device_merge_sort_compile_time_verifier_archINS1_11comp_targetILNS1_3genE9ELNS1_11target_archE1100ELNS1_3gpuE3ELNS1_3repE0EEES8_NS0_14default_configES9_NS1_37merge_sort_block_sort_config_selectorItNS0_10empty_typeEEENS1_38merge_sort_block_merge_config_selectorItSB_EEEEvv
; %bb.0:
	s_endpgm
	.section	.rodata,"a",@progbits
	.p2align	6, 0x0
	.amdhsa_kernel _ZN7rocprim17ROCPRIM_400000_NS6detail44device_merge_sort_compile_time_verifier_archINS1_11comp_targetILNS1_3genE9ELNS1_11target_archE1100ELNS1_3gpuE3ELNS1_3repE0EEES8_NS0_14default_configES9_NS1_37merge_sort_block_sort_config_selectorItNS0_10empty_typeEEENS1_38merge_sort_block_merge_config_selectorItSB_EEEEvv
		.amdhsa_group_segment_fixed_size 0
		.amdhsa_private_segment_fixed_size 0
		.amdhsa_kernarg_size 0
		.amdhsa_user_sgpr_count 4
		.amdhsa_user_sgpr_private_segment_buffer 1
		.amdhsa_user_sgpr_dispatch_ptr 0
		.amdhsa_user_sgpr_queue_ptr 0
		.amdhsa_user_sgpr_kernarg_segment_ptr 0
		.amdhsa_user_sgpr_dispatch_id 0
		.amdhsa_user_sgpr_flat_scratch_init 0
		.amdhsa_user_sgpr_private_segment_size 0
		.amdhsa_wavefront_size32 1
		.amdhsa_uses_dynamic_stack 0
		.amdhsa_system_sgpr_private_segment_wavefront_offset 0
		.amdhsa_system_sgpr_workgroup_id_x 1
		.amdhsa_system_sgpr_workgroup_id_y 0
		.amdhsa_system_sgpr_workgroup_id_z 0
		.amdhsa_system_sgpr_workgroup_info 0
		.amdhsa_system_vgpr_workitem_id 0
		.amdhsa_next_free_vgpr 1
		.amdhsa_next_free_sgpr 1
		.amdhsa_reserve_vcc 0
		.amdhsa_reserve_flat_scratch 0
		.amdhsa_float_round_mode_32 0
		.amdhsa_float_round_mode_16_64 0
		.amdhsa_float_denorm_mode_32 3
		.amdhsa_float_denorm_mode_16_64 3
		.amdhsa_dx10_clamp 1
		.amdhsa_ieee_mode 1
		.amdhsa_fp16_overflow 0
		.amdhsa_workgroup_processor_mode 1
		.amdhsa_memory_ordered 1
		.amdhsa_forward_progress 1
		.amdhsa_shared_vgpr_count 0
		.amdhsa_exception_fp_ieee_invalid_op 0
		.amdhsa_exception_fp_denorm_src 0
		.amdhsa_exception_fp_ieee_div_zero 0
		.amdhsa_exception_fp_ieee_overflow 0
		.amdhsa_exception_fp_ieee_underflow 0
		.amdhsa_exception_fp_ieee_inexact 0
		.amdhsa_exception_int_div_zero 0
	.end_amdhsa_kernel
	.section	.text._ZN7rocprim17ROCPRIM_400000_NS6detail44device_merge_sort_compile_time_verifier_archINS1_11comp_targetILNS1_3genE9ELNS1_11target_archE1100ELNS1_3gpuE3ELNS1_3repE0EEES8_NS0_14default_configES9_NS1_37merge_sort_block_sort_config_selectorItNS0_10empty_typeEEENS1_38merge_sort_block_merge_config_selectorItSB_EEEEvv,"axG",@progbits,_ZN7rocprim17ROCPRIM_400000_NS6detail44device_merge_sort_compile_time_verifier_archINS1_11comp_targetILNS1_3genE9ELNS1_11target_archE1100ELNS1_3gpuE3ELNS1_3repE0EEES8_NS0_14default_configES9_NS1_37merge_sort_block_sort_config_selectorItNS0_10empty_typeEEENS1_38merge_sort_block_merge_config_selectorItSB_EEEEvv,comdat
.Lfunc_end230:
	.size	_ZN7rocprim17ROCPRIM_400000_NS6detail44device_merge_sort_compile_time_verifier_archINS1_11comp_targetILNS1_3genE9ELNS1_11target_archE1100ELNS1_3gpuE3ELNS1_3repE0EEES8_NS0_14default_configES9_NS1_37merge_sort_block_sort_config_selectorItNS0_10empty_typeEEENS1_38merge_sort_block_merge_config_selectorItSB_EEEEvv, .Lfunc_end230-_ZN7rocprim17ROCPRIM_400000_NS6detail44device_merge_sort_compile_time_verifier_archINS1_11comp_targetILNS1_3genE9ELNS1_11target_archE1100ELNS1_3gpuE3ELNS1_3repE0EEES8_NS0_14default_configES9_NS1_37merge_sort_block_sort_config_selectorItNS0_10empty_typeEEENS1_38merge_sort_block_merge_config_selectorItSB_EEEEvv
                                        ; -- End function
	.set _ZN7rocprim17ROCPRIM_400000_NS6detail44device_merge_sort_compile_time_verifier_archINS1_11comp_targetILNS1_3genE9ELNS1_11target_archE1100ELNS1_3gpuE3ELNS1_3repE0EEES8_NS0_14default_configES9_NS1_37merge_sort_block_sort_config_selectorItNS0_10empty_typeEEENS1_38merge_sort_block_merge_config_selectorItSB_EEEEvv.num_vgpr, 0
	.set _ZN7rocprim17ROCPRIM_400000_NS6detail44device_merge_sort_compile_time_verifier_archINS1_11comp_targetILNS1_3genE9ELNS1_11target_archE1100ELNS1_3gpuE3ELNS1_3repE0EEES8_NS0_14default_configES9_NS1_37merge_sort_block_sort_config_selectorItNS0_10empty_typeEEENS1_38merge_sort_block_merge_config_selectorItSB_EEEEvv.num_agpr, 0
	.set _ZN7rocprim17ROCPRIM_400000_NS6detail44device_merge_sort_compile_time_verifier_archINS1_11comp_targetILNS1_3genE9ELNS1_11target_archE1100ELNS1_3gpuE3ELNS1_3repE0EEES8_NS0_14default_configES9_NS1_37merge_sort_block_sort_config_selectorItNS0_10empty_typeEEENS1_38merge_sort_block_merge_config_selectorItSB_EEEEvv.numbered_sgpr, 0
	.set _ZN7rocprim17ROCPRIM_400000_NS6detail44device_merge_sort_compile_time_verifier_archINS1_11comp_targetILNS1_3genE9ELNS1_11target_archE1100ELNS1_3gpuE3ELNS1_3repE0EEES8_NS0_14default_configES9_NS1_37merge_sort_block_sort_config_selectorItNS0_10empty_typeEEENS1_38merge_sort_block_merge_config_selectorItSB_EEEEvv.num_named_barrier, 0
	.set _ZN7rocprim17ROCPRIM_400000_NS6detail44device_merge_sort_compile_time_verifier_archINS1_11comp_targetILNS1_3genE9ELNS1_11target_archE1100ELNS1_3gpuE3ELNS1_3repE0EEES8_NS0_14default_configES9_NS1_37merge_sort_block_sort_config_selectorItNS0_10empty_typeEEENS1_38merge_sort_block_merge_config_selectorItSB_EEEEvv.private_seg_size, 0
	.set _ZN7rocprim17ROCPRIM_400000_NS6detail44device_merge_sort_compile_time_verifier_archINS1_11comp_targetILNS1_3genE9ELNS1_11target_archE1100ELNS1_3gpuE3ELNS1_3repE0EEES8_NS0_14default_configES9_NS1_37merge_sort_block_sort_config_selectorItNS0_10empty_typeEEENS1_38merge_sort_block_merge_config_selectorItSB_EEEEvv.uses_vcc, 0
	.set _ZN7rocprim17ROCPRIM_400000_NS6detail44device_merge_sort_compile_time_verifier_archINS1_11comp_targetILNS1_3genE9ELNS1_11target_archE1100ELNS1_3gpuE3ELNS1_3repE0EEES8_NS0_14default_configES9_NS1_37merge_sort_block_sort_config_selectorItNS0_10empty_typeEEENS1_38merge_sort_block_merge_config_selectorItSB_EEEEvv.uses_flat_scratch, 0
	.set _ZN7rocprim17ROCPRIM_400000_NS6detail44device_merge_sort_compile_time_verifier_archINS1_11comp_targetILNS1_3genE9ELNS1_11target_archE1100ELNS1_3gpuE3ELNS1_3repE0EEES8_NS0_14default_configES9_NS1_37merge_sort_block_sort_config_selectorItNS0_10empty_typeEEENS1_38merge_sort_block_merge_config_selectorItSB_EEEEvv.has_dyn_sized_stack, 0
	.set _ZN7rocprim17ROCPRIM_400000_NS6detail44device_merge_sort_compile_time_verifier_archINS1_11comp_targetILNS1_3genE9ELNS1_11target_archE1100ELNS1_3gpuE3ELNS1_3repE0EEES8_NS0_14default_configES9_NS1_37merge_sort_block_sort_config_selectorItNS0_10empty_typeEEENS1_38merge_sort_block_merge_config_selectorItSB_EEEEvv.has_recursion, 0
	.set _ZN7rocprim17ROCPRIM_400000_NS6detail44device_merge_sort_compile_time_verifier_archINS1_11comp_targetILNS1_3genE9ELNS1_11target_archE1100ELNS1_3gpuE3ELNS1_3repE0EEES8_NS0_14default_configES9_NS1_37merge_sort_block_sort_config_selectorItNS0_10empty_typeEEENS1_38merge_sort_block_merge_config_selectorItSB_EEEEvv.has_indirect_call, 0
	.section	.AMDGPU.csdata,"",@progbits
; Kernel info:
; codeLenInByte = 4
; TotalNumSgprs: 0
; NumVgprs: 0
; ScratchSize: 0
; MemoryBound: 0
; FloatMode: 240
; IeeeMode: 1
; LDSByteSize: 0 bytes/workgroup (compile time only)
; SGPRBlocks: 0
; VGPRBlocks: 0
; NumSGPRsForWavesPerEU: 1
; NumVGPRsForWavesPerEU: 1
; Occupancy: 16
; WaveLimiterHint : 0
; COMPUTE_PGM_RSRC2:SCRATCH_EN: 0
; COMPUTE_PGM_RSRC2:USER_SGPR: 4
; COMPUTE_PGM_RSRC2:TRAP_HANDLER: 0
; COMPUTE_PGM_RSRC2:TGID_X_EN: 1
; COMPUTE_PGM_RSRC2:TGID_Y_EN: 0
; COMPUTE_PGM_RSRC2:TGID_Z_EN: 0
; COMPUTE_PGM_RSRC2:TIDIG_COMP_CNT: 0
	.section	.text._ZN7rocprim17ROCPRIM_400000_NS6detail44device_merge_sort_compile_time_verifier_archINS1_11comp_targetILNS1_3genE8ELNS1_11target_archE1030ELNS1_3gpuE2ELNS1_3repE0EEES8_NS0_14default_configES9_NS1_37merge_sort_block_sort_config_selectorItNS0_10empty_typeEEENS1_38merge_sort_block_merge_config_selectorItSB_EEEEvv,"axG",@progbits,_ZN7rocprim17ROCPRIM_400000_NS6detail44device_merge_sort_compile_time_verifier_archINS1_11comp_targetILNS1_3genE8ELNS1_11target_archE1030ELNS1_3gpuE2ELNS1_3repE0EEES8_NS0_14default_configES9_NS1_37merge_sort_block_sort_config_selectorItNS0_10empty_typeEEENS1_38merge_sort_block_merge_config_selectorItSB_EEEEvv,comdat
	.protected	_ZN7rocprim17ROCPRIM_400000_NS6detail44device_merge_sort_compile_time_verifier_archINS1_11comp_targetILNS1_3genE8ELNS1_11target_archE1030ELNS1_3gpuE2ELNS1_3repE0EEES8_NS0_14default_configES9_NS1_37merge_sort_block_sort_config_selectorItNS0_10empty_typeEEENS1_38merge_sort_block_merge_config_selectorItSB_EEEEvv ; -- Begin function _ZN7rocprim17ROCPRIM_400000_NS6detail44device_merge_sort_compile_time_verifier_archINS1_11comp_targetILNS1_3genE8ELNS1_11target_archE1030ELNS1_3gpuE2ELNS1_3repE0EEES8_NS0_14default_configES9_NS1_37merge_sort_block_sort_config_selectorItNS0_10empty_typeEEENS1_38merge_sort_block_merge_config_selectorItSB_EEEEvv
	.globl	_ZN7rocprim17ROCPRIM_400000_NS6detail44device_merge_sort_compile_time_verifier_archINS1_11comp_targetILNS1_3genE8ELNS1_11target_archE1030ELNS1_3gpuE2ELNS1_3repE0EEES8_NS0_14default_configES9_NS1_37merge_sort_block_sort_config_selectorItNS0_10empty_typeEEENS1_38merge_sort_block_merge_config_selectorItSB_EEEEvv
	.p2align	8
	.type	_ZN7rocprim17ROCPRIM_400000_NS6detail44device_merge_sort_compile_time_verifier_archINS1_11comp_targetILNS1_3genE8ELNS1_11target_archE1030ELNS1_3gpuE2ELNS1_3repE0EEES8_NS0_14default_configES9_NS1_37merge_sort_block_sort_config_selectorItNS0_10empty_typeEEENS1_38merge_sort_block_merge_config_selectorItSB_EEEEvv,@function
_ZN7rocprim17ROCPRIM_400000_NS6detail44device_merge_sort_compile_time_verifier_archINS1_11comp_targetILNS1_3genE8ELNS1_11target_archE1030ELNS1_3gpuE2ELNS1_3repE0EEES8_NS0_14default_configES9_NS1_37merge_sort_block_sort_config_selectorItNS0_10empty_typeEEENS1_38merge_sort_block_merge_config_selectorItSB_EEEEvv: ; @_ZN7rocprim17ROCPRIM_400000_NS6detail44device_merge_sort_compile_time_verifier_archINS1_11comp_targetILNS1_3genE8ELNS1_11target_archE1030ELNS1_3gpuE2ELNS1_3repE0EEES8_NS0_14default_configES9_NS1_37merge_sort_block_sort_config_selectorItNS0_10empty_typeEEENS1_38merge_sort_block_merge_config_selectorItSB_EEEEvv
; %bb.0:
	s_endpgm
	.section	.rodata,"a",@progbits
	.p2align	6, 0x0
	.amdhsa_kernel _ZN7rocprim17ROCPRIM_400000_NS6detail44device_merge_sort_compile_time_verifier_archINS1_11comp_targetILNS1_3genE8ELNS1_11target_archE1030ELNS1_3gpuE2ELNS1_3repE0EEES8_NS0_14default_configES9_NS1_37merge_sort_block_sort_config_selectorItNS0_10empty_typeEEENS1_38merge_sort_block_merge_config_selectorItSB_EEEEvv
		.amdhsa_group_segment_fixed_size 0
		.amdhsa_private_segment_fixed_size 0
		.amdhsa_kernarg_size 0
		.amdhsa_user_sgpr_count 4
		.amdhsa_user_sgpr_private_segment_buffer 1
		.amdhsa_user_sgpr_dispatch_ptr 0
		.amdhsa_user_sgpr_queue_ptr 0
		.amdhsa_user_sgpr_kernarg_segment_ptr 0
		.amdhsa_user_sgpr_dispatch_id 0
		.amdhsa_user_sgpr_flat_scratch_init 0
		.amdhsa_user_sgpr_private_segment_size 0
		.amdhsa_wavefront_size32 1
		.amdhsa_uses_dynamic_stack 0
		.amdhsa_system_sgpr_private_segment_wavefront_offset 0
		.amdhsa_system_sgpr_workgroup_id_x 1
		.amdhsa_system_sgpr_workgroup_id_y 0
		.amdhsa_system_sgpr_workgroup_id_z 0
		.amdhsa_system_sgpr_workgroup_info 0
		.amdhsa_system_vgpr_workitem_id 0
		.amdhsa_next_free_vgpr 1
		.amdhsa_next_free_sgpr 1
		.amdhsa_reserve_vcc 0
		.amdhsa_reserve_flat_scratch 0
		.amdhsa_float_round_mode_32 0
		.amdhsa_float_round_mode_16_64 0
		.amdhsa_float_denorm_mode_32 3
		.amdhsa_float_denorm_mode_16_64 3
		.amdhsa_dx10_clamp 1
		.amdhsa_ieee_mode 1
		.amdhsa_fp16_overflow 0
		.amdhsa_workgroup_processor_mode 1
		.amdhsa_memory_ordered 1
		.amdhsa_forward_progress 1
		.amdhsa_shared_vgpr_count 0
		.amdhsa_exception_fp_ieee_invalid_op 0
		.amdhsa_exception_fp_denorm_src 0
		.amdhsa_exception_fp_ieee_div_zero 0
		.amdhsa_exception_fp_ieee_overflow 0
		.amdhsa_exception_fp_ieee_underflow 0
		.amdhsa_exception_fp_ieee_inexact 0
		.amdhsa_exception_int_div_zero 0
	.end_amdhsa_kernel
	.section	.text._ZN7rocprim17ROCPRIM_400000_NS6detail44device_merge_sort_compile_time_verifier_archINS1_11comp_targetILNS1_3genE8ELNS1_11target_archE1030ELNS1_3gpuE2ELNS1_3repE0EEES8_NS0_14default_configES9_NS1_37merge_sort_block_sort_config_selectorItNS0_10empty_typeEEENS1_38merge_sort_block_merge_config_selectorItSB_EEEEvv,"axG",@progbits,_ZN7rocprim17ROCPRIM_400000_NS6detail44device_merge_sort_compile_time_verifier_archINS1_11comp_targetILNS1_3genE8ELNS1_11target_archE1030ELNS1_3gpuE2ELNS1_3repE0EEES8_NS0_14default_configES9_NS1_37merge_sort_block_sort_config_selectorItNS0_10empty_typeEEENS1_38merge_sort_block_merge_config_selectorItSB_EEEEvv,comdat
.Lfunc_end231:
	.size	_ZN7rocprim17ROCPRIM_400000_NS6detail44device_merge_sort_compile_time_verifier_archINS1_11comp_targetILNS1_3genE8ELNS1_11target_archE1030ELNS1_3gpuE2ELNS1_3repE0EEES8_NS0_14default_configES9_NS1_37merge_sort_block_sort_config_selectorItNS0_10empty_typeEEENS1_38merge_sort_block_merge_config_selectorItSB_EEEEvv, .Lfunc_end231-_ZN7rocprim17ROCPRIM_400000_NS6detail44device_merge_sort_compile_time_verifier_archINS1_11comp_targetILNS1_3genE8ELNS1_11target_archE1030ELNS1_3gpuE2ELNS1_3repE0EEES8_NS0_14default_configES9_NS1_37merge_sort_block_sort_config_selectorItNS0_10empty_typeEEENS1_38merge_sort_block_merge_config_selectorItSB_EEEEvv
                                        ; -- End function
	.set _ZN7rocprim17ROCPRIM_400000_NS6detail44device_merge_sort_compile_time_verifier_archINS1_11comp_targetILNS1_3genE8ELNS1_11target_archE1030ELNS1_3gpuE2ELNS1_3repE0EEES8_NS0_14default_configES9_NS1_37merge_sort_block_sort_config_selectorItNS0_10empty_typeEEENS1_38merge_sort_block_merge_config_selectorItSB_EEEEvv.num_vgpr, 0
	.set _ZN7rocprim17ROCPRIM_400000_NS6detail44device_merge_sort_compile_time_verifier_archINS1_11comp_targetILNS1_3genE8ELNS1_11target_archE1030ELNS1_3gpuE2ELNS1_3repE0EEES8_NS0_14default_configES9_NS1_37merge_sort_block_sort_config_selectorItNS0_10empty_typeEEENS1_38merge_sort_block_merge_config_selectorItSB_EEEEvv.num_agpr, 0
	.set _ZN7rocprim17ROCPRIM_400000_NS6detail44device_merge_sort_compile_time_verifier_archINS1_11comp_targetILNS1_3genE8ELNS1_11target_archE1030ELNS1_3gpuE2ELNS1_3repE0EEES8_NS0_14default_configES9_NS1_37merge_sort_block_sort_config_selectorItNS0_10empty_typeEEENS1_38merge_sort_block_merge_config_selectorItSB_EEEEvv.numbered_sgpr, 0
	.set _ZN7rocprim17ROCPRIM_400000_NS6detail44device_merge_sort_compile_time_verifier_archINS1_11comp_targetILNS1_3genE8ELNS1_11target_archE1030ELNS1_3gpuE2ELNS1_3repE0EEES8_NS0_14default_configES9_NS1_37merge_sort_block_sort_config_selectorItNS0_10empty_typeEEENS1_38merge_sort_block_merge_config_selectorItSB_EEEEvv.num_named_barrier, 0
	.set _ZN7rocprim17ROCPRIM_400000_NS6detail44device_merge_sort_compile_time_verifier_archINS1_11comp_targetILNS1_3genE8ELNS1_11target_archE1030ELNS1_3gpuE2ELNS1_3repE0EEES8_NS0_14default_configES9_NS1_37merge_sort_block_sort_config_selectorItNS0_10empty_typeEEENS1_38merge_sort_block_merge_config_selectorItSB_EEEEvv.private_seg_size, 0
	.set _ZN7rocprim17ROCPRIM_400000_NS6detail44device_merge_sort_compile_time_verifier_archINS1_11comp_targetILNS1_3genE8ELNS1_11target_archE1030ELNS1_3gpuE2ELNS1_3repE0EEES8_NS0_14default_configES9_NS1_37merge_sort_block_sort_config_selectorItNS0_10empty_typeEEENS1_38merge_sort_block_merge_config_selectorItSB_EEEEvv.uses_vcc, 0
	.set _ZN7rocprim17ROCPRIM_400000_NS6detail44device_merge_sort_compile_time_verifier_archINS1_11comp_targetILNS1_3genE8ELNS1_11target_archE1030ELNS1_3gpuE2ELNS1_3repE0EEES8_NS0_14default_configES9_NS1_37merge_sort_block_sort_config_selectorItNS0_10empty_typeEEENS1_38merge_sort_block_merge_config_selectorItSB_EEEEvv.uses_flat_scratch, 0
	.set _ZN7rocprim17ROCPRIM_400000_NS6detail44device_merge_sort_compile_time_verifier_archINS1_11comp_targetILNS1_3genE8ELNS1_11target_archE1030ELNS1_3gpuE2ELNS1_3repE0EEES8_NS0_14default_configES9_NS1_37merge_sort_block_sort_config_selectorItNS0_10empty_typeEEENS1_38merge_sort_block_merge_config_selectorItSB_EEEEvv.has_dyn_sized_stack, 0
	.set _ZN7rocprim17ROCPRIM_400000_NS6detail44device_merge_sort_compile_time_verifier_archINS1_11comp_targetILNS1_3genE8ELNS1_11target_archE1030ELNS1_3gpuE2ELNS1_3repE0EEES8_NS0_14default_configES9_NS1_37merge_sort_block_sort_config_selectorItNS0_10empty_typeEEENS1_38merge_sort_block_merge_config_selectorItSB_EEEEvv.has_recursion, 0
	.set _ZN7rocprim17ROCPRIM_400000_NS6detail44device_merge_sort_compile_time_verifier_archINS1_11comp_targetILNS1_3genE8ELNS1_11target_archE1030ELNS1_3gpuE2ELNS1_3repE0EEES8_NS0_14default_configES9_NS1_37merge_sort_block_sort_config_selectorItNS0_10empty_typeEEENS1_38merge_sort_block_merge_config_selectorItSB_EEEEvv.has_indirect_call, 0
	.section	.AMDGPU.csdata,"",@progbits
; Kernel info:
; codeLenInByte = 4
; TotalNumSgprs: 0
; NumVgprs: 0
; ScratchSize: 0
; MemoryBound: 0
; FloatMode: 240
; IeeeMode: 1
; LDSByteSize: 0 bytes/workgroup (compile time only)
; SGPRBlocks: 0
; VGPRBlocks: 0
; NumSGPRsForWavesPerEU: 1
; NumVGPRsForWavesPerEU: 1
; Occupancy: 16
; WaveLimiterHint : 0
; COMPUTE_PGM_RSRC2:SCRATCH_EN: 0
; COMPUTE_PGM_RSRC2:USER_SGPR: 4
; COMPUTE_PGM_RSRC2:TRAP_HANDLER: 0
; COMPUTE_PGM_RSRC2:TGID_X_EN: 1
; COMPUTE_PGM_RSRC2:TGID_Y_EN: 0
; COMPUTE_PGM_RSRC2:TGID_Z_EN: 0
; COMPUTE_PGM_RSRC2:TIDIG_COMP_CNT: 0
	.section	.text._ZN7rocprim17ROCPRIM_400000_NS6detail17trampoline_kernelINS0_14default_configENS1_37merge_sort_block_sort_config_selectorItNS0_10empty_typeEEEZNS1_21merge_sort_block_sortIS3_N6thrust23THRUST_200600_302600_NS6detail15normal_iteratorINS9_10device_ptrItEEEESE_PS5_SF_11less_div_10ItEEE10hipError_tT0_T1_T2_T3_mRjT4_P12ihipStream_tbNS1_7vsmem_tEEUlT_E_NS1_11comp_targetILNS1_3genE0ELNS1_11target_archE4294967295ELNS1_3gpuE0ELNS1_3repE0EEENS1_30default_config_static_selectorELNS0_4arch9wavefront6targetE0EEEvSK_,"axG",@progbits,_ZN7rocprim17ROCPRIM_400000_NS6detail17trampoline_kernelINS0_14default_configENS1_37merge_sort_block_sort_config_selectorItNS0_10empty_typeEEEZNS1_21merge_sort_block_sortIS3_N6thrust23THRUST_200600_302600_NS6detail15normal_iteratorINS9_10device_ptrItEEEESE_PS5_SF_11less_div_10ItEEE10hipError_tT0_T1_T2_T3_mRjT4_P12ihipStream_tbNS1_7vsmem_tEEUlT_E_NS1_11comp_targetILNS1_3genE0ELNS1_11target_archE4294967295ELNS1_3gpuE0ELNS1_3repE0EEENS1_30default_config_static_selectorELNS0_4arch9wavefront6targetE0EEEvSK_,comdat
	.protected	_ZN7rocprim17ROCPRIM_400000_NS6detail17trampoline_kernelINS0_14default_configENS1_37merge_sort_block_sort_config_selectorItNS0_10empty_typeEEEZNS1_21merge_sort_block_sortIS3_N6thrust23THRUST_200600_302600_NS6detail15normal_iteratorINS9_10device_ptrItEEEESE_PS5_SF_11less_div_10ItEEE10hipError_tT0_T1_T2_T3_mRjT4_P12ihipStream_tbNS1_7vsmem_tEEUlT_E_NS1_11comp_targetILNS1_3genE0ELNS1_11target_archE4294967295ELNS1_3gpuE0ELNS1_3repE0EEENS1_30default_config_static_selectorELNS0_4arch9wavefront6targetE0EEEvSK_ ; -- Begin function _ZN7rocprim17ROCPRIM_400000_NS6detail17trampoline_kernelINS0_14default_configENS1_37merge_sort_block_sort_config_selectorItNS0_10empty_typeEEEZNS1_21merge_sort_block_sortIS3_N6thrust23THRUST_200600_302600_NS6detail15normal_iteratorINS9_10device_ptrItEEEESE_PS5_SF_11less_div_10ItEEE10hipError_tT0_T1_T2_T3_mRjT4_P12ihipStream_tbNS1_7vsmem_tEEUlT_E_NS1_11comp_targetILNS1_3genE0ELNS1_11target_archE4294967295ELNS1_3gpuE0ELNS1_3repE0EEENS1_30default_config_static_selectorELNS0_4arch9wavefront6targetE0EEEvSK_
	.globl	_ZN7rocprim17ROCPRIM_400000_NS6detail17trampoline_kernelINS0_14default_configENS1_37merge_sort_block_sort_config_selectorItNS0_10empty_typeEEEZNS1_21merge_sort_block_sortIS3_N6thrust23THRUST_200600_302600_NS6detail15normal_iteratorINS9_10device_ptrItEEEESE_PS5_SF_11less_div_10ItEEE10hipError_tT0_T1_T2_T3_mRjT4_P12ihipStream_tbNS1_7vsmem_tEEUlT_E_NS1_11comp_targetILNS1_3genE0ELNS1_11target_archE4294967295ELNS1_3gpuE0ELNS1_3repE0EEENS1_30default_config_static_selectorELNS0_4arch9wavefront6targetE0EEEvSK_
	.p2align	8
	.type	_ZN7rocprim17ROCPRIM_400000_NS6detail17trampoline_kernelINS0_14default_configENS1_37merge_sort_block_sort_config_selectorItNS0_10empty_typeEEEZNS1_21merge_sort_block_sortIS3_N6thrust23THRUST_200600_302600_NS6detail15normal_iteratorINS9_10device_ptrItEEEESE_PS5_SF_11less_div_10ItEEE10hipError_tT0_T1_T2_T3_mRjT4_P12ihipStream_tbNS1_7vsmem_tEEUlT_E_NS1_11comp_targetILNS1_3genE0ELNS1_11target_archE4294967295ELNS1_3gpuE0ELNS1_3repE0EEENS1_30default_config_static_selectorELNS0_4arch9wavefront6targetE0EEEvSK_,@function
_ZN7rocprim17ROCPRIM_400000_NS6detail17trampoline_kernelINS0_14default_configENS1_37merge_sort_block_sort_config_selectorItNS0_10empty_typeEEEZNS1_21merge_sort_block_sortIS3_N6thrust23THRUST_200600_302600_NS6detail15normal_iteratorINS9_10device_ptrItEEEESE_PS5_SF_11less_div_10ItEEE10hipError_tT0_T1_T2_T3_mRjT4_P12ihipStream_tbNS1_7vsmem_tEEUlT_E_NS1_11comp_targetILNS1_3genE0ELNS1_11target_archE4294967295ELNS1_3gpuE0ELNS1_3repE0EEENS1_30default_config_static_selectorELNS0_4arch9wavefront6targetE0EEEvSK_: ; @_ZN7rocprim17ROCPRIM_400000_NS6detail17trampoline_kernelINS0_14default_configENS1_37merge_sort_block_sort_config_selectorItNS0_10empty_typeEEEZNS1_21merge_sort_block_sortIS3_N6thrust23THRUST_200600_302600_NS6detail15normal_iteratorINS9_10device_ptrItEEEESE_PS5_SF_11less_div_10ItEEE10hipError_tT0_T1_T2_T3_mRjT4_P12ihipStream_tbNS1_7vsmem_tEEUlT_E_NS1_11comp_targetILNS1_3genE0ELNS1_11target_archE4294967295ELNS1_3gpuE0ELNS1_3repE0EEENS1_30default_config_static_selectorELNS0_4arch9wavefront6targetE0EEEvSK_
; %bb.0:
	.section	.rodata,"a",@progbits
	.p2align	6, 0x0
	.amdhsa_kernel _ZN7rocprim17ROCPRIM_400000_NS6detail17trampoline_kernelINS0_14default_configENS1_37merge_sort_block_sort_config_selectorItNS0_10empty_typeEEEZNS1_21merge_sort_block_sortIS3_N6thrust23THRUST_200600_302600_NS6detail15normal_iteratorINS9_10device_ptrItEEEESE_PS5_SF_11less_div_10ItEEE10hipError_tT0_T1_T2_T3_mRjT4_P12ihipStream_tbNS1_7vsmem_tEEUlT_E_NS1_11comp_targetILNS1_3genE0ELNS1_11target_archE4294967295ELNS1_3gpuE0ELNS1_3repE0EEENS1_30default_config_static_selectorELNS0_4arch9wavefront6targetE0EEEvSK_
		.amdhsa_group_segment_fixed_size 0
		.amdhsa_private_segment_fixed_size 0
		.amdhsa_kernarg_size 64
		.amdhsa_user_sgpr_count 6
		.amdhsa_user_sgpr_private_segment_buffer 1
		.amdhsa_user_sgpr_dispatch_ptr 0
		.amdhsa_user_sgpr_queue_ptr 0
		.amdhsa_user_sgpr_kernarg_segment_ptr 1
		.amdhsa_user_sgpr_dispatch_id 0
		.amdhsa_user_sgpr_flat_scratch_init 0
		.amdhsa_user_sgpr_private_segment_size 0
		.amdhsa_wavefront_size32 1
		.amdhsa_uses_dynamic_stack 0
		.amdhsa_system_sgpr_private_segment_wavefront_offset 0
		.amdhsa_system_sgpr_workgroup_id_x 1
		.amdhsa_system_sgpr_workgroup_id_y 0
		.amdhsa_system_sgpr_workgroup_id_z 0
		.amdhsa_system_sgpr_workgroup_info 0
		.amdhsa_system_vgpr_workitem_id 0
		.amdhsa_next_free_vgpr 1
		.amdhsa_next_free_sgpr 1
		.amdhsa_reserve_vcc 0
		.amdhsa_reserve_flat_scratch 0
		.amdhsa_float_round_mode_32 0
		.amdhsa_float_round_mode_16_64 0
		.amdhsa_float_denorm_mode_32 3
		.amdhsa_float_denorm_mode_16_64 3
		.amdhsa_dx10_clamp 1
		.amdhsa_ieee_mode 1
		.amdhsa_fp16_overflow 0
		.amdhsa_workgroup_processor_mode 1
		.amdhsa_memory_ordered 1
		.amdhsa_forward_progress 1
		.amdhsa_shared_vgpr_count 0
		.amdhsa_exception_fp_ieee_invalid_op 0
		.amdhsa_exception_fp_denorm_src 0
		.amdhsa_exception_fp_ieee_div_zero 0
		.amdhsa_exception_fp_ieee_overflow 0
		.amdhsa_exception_fp_ieee_underflow 0
		.amdhsa_exception_fp_ieee_inexact 0
		.amdhsa_exception_int_div_zero 0
	.end_amdhsa_kernel
	.section	.text._ZN7rocprim17ROCPRIM_400000_NS6detail17trampoline_kernelINS0_14default_configENS1_37merge_sort_block_sort_config_selectorItNS0_10empty_typeEEEZNS1_21merge_sort_block_sortIS3_N6thrust23THRUST_200600_302600_NS6detail15normal_iteratorINS9_10device_ptrItEEEESE_PS5_SF_11less_div_10ItEEE10hipError_tT0_T1_T2_T3_mRjT4_P12ihipStream_tbNS1_7vsmem_tEEUlT_E_NS1_11comp_targetILNS1_3genE0ELNS1_11target_archE4294967295ELNS1_3gpuE0ELNS1_3repE0EEENS1_30default_config_static_selectorELNS0_4arch9wavefront6targetE0EEEvSK_,"axG",@progbits,_ZN7rocprim17ROCPRIM_400000_NS6detail17trampoline_kernelINS0_14default_configENS1_37merge_sort_block_sort_config_selectorItNS0_10empty_typeEEEZNS1_21merge_sort_block_sortIS3_N6thrust23THRUST_200600_302600_NS6detail15normal_iteratorINS9_10device_ptrItEEEESE_PS5_SF_11less_div_10ItEEE10hipError_tT0_T1_T2_T3_mRjT4_P12ihipStream_tbNS1_7vsmem_tEEUlT_E_NS1_11comp_targetILNS1_3genE0ELNS1_11target_archE4294967295ELNS1_3gpuE0ELNS1_3repE0EEENS1_30default_config_static_selectorELNS0_4arch9wavefront6targetE0EEEvSK_,comdat
.Lfunc_end232:
	.size	_ZN7rocprim17ROCPRIM_400000_NS6detail17trampoline_kernelINS0_14default_configENS1_37merge_sort_block_sort_config_selectorItNS0_10empty_typeEEEZNS1_21merge_sort_block_sortIS3_N6thrust23THRUST_200600_302600_NS6detail15normal_iteratorINS9_10device_ptrItEEEESE_PS5_SF_11less_div_10ItEEE10hipError_tT0_T1_T2_T3_mRjT4_P12ihipStream_tbNS1_7vsmem_tEEUlT_E_NS1_11comp_targetILNS1_3genE0ELNS1_11target_archE4294967295ELNS1_3gpuE0ELNS1_3repE0EEENS1_30default_config_static_selectorELNS0_4arch9wavefront6targetE0EEEvSK_, .Lfunc_end232-_ZN7rocprim17ROCPRIM_400000_NS6detail17trampoline_kernelINS0_14default_configENS1_37merge_sort_block_sort_config_selectorItNS0_10empty_typeEEEZNS1_21merge_sort_block_sortIS3_N6thrust23THRUST_200600_302600_NS6detail15normal_iteratorINS9_10device_ptrItEEEESE_PS5_SF_11less_div_10ItEEE10hipError_tT0_T1_T2_T3_mRjT4_P12ihipStream_tbNS1_7vsmem_tEEUlT_E_NS1_11comp_targetILNS1_3genE0ELNS1_11target_archE4294967295ELNS1_3gpuE0ELNS1_3repE0EEENS1_30default_config_static_selectorELNS0_4arch9wavefront6targetE0EEEvSK_
                                        ; -- End function
	.set _ZN7rocprim17ROCPRIM_400000_NS6detail17trampoline_kernelINS0_14default_configENS1_37merge_sort_block_sort_config_selectorItNS0_10empty_typeEEEZNS1_21merge_sort_block_sortIS3_N6thrust23THRUST_200600_302600_NS6detail15normal_iteratorINS9_10device_ptrItEEEESE_PS5_SF_11less_div_10ItEEE10hipError_tT0_T1_T2_T3_mRjT4_P12ihipStream_tbNS1_7vsmem_tEEUlT_E_NS1_11comp_targetILNS1_3genE0ELNS1_11target_archE4294967295ELNS1_3gpuE0ELNS1_3repE0EEENS1_30default_config_static_selectorELNS0_4arch9wavefront6targetE0EEEvSK_.num_vgpr, 0
	.set _ZN7rocprim17ROCPRIM_400000_NS6detail17trampoline_kernelINS0_14default_configENS1_37merge_sort_block_sort_config_selectorItNS0_10empty_typeEEEZNS1_21merge_sort_block_sortIS3_N6thrust23THRUST_200600_302600_NS6detail15normal_iteratorINS9_10device_ptrItEEEESE_PS5_SF_11less_div_10ItEEE10hipError_tT0_T1_T2_T3_mRjT4_P12ihipStream_tbNS1_7vsmem_tEEUlT_E_NS1_11comp_targetILNS1_3genE0ELNS1_11target_archE4294967295ELNS1_3gpuE0ELNS1_3repE0EEENS1_30default_config_static_selectorELNS0_4arch9wavefront6targetE0EEEvSK_.num_agpr, 0
	.set _ZN7rocprim17ROCPRIM_400000_NS6detail17trampoline_kernelINS0_14default_configENS1_37merge_sort_block_sort_config_selectorItNS0_10empty_typeEEEZNS1_21merge_sort_block_sortIS3_N6thrust23THRUST_200600_302600_NS6detail15normal_iteratorINS9_10device_ptrItEEEESE_PS5_SF_11less_div_10ItEEE10hipError_tT0_T1_T2_T3_mRjT4_P12ihipStream_tbNS1_7vsmem_tEEUlT_E_NS1_11comp_targetILNS1_3genE0ELNS1_11target_archE4294967295ELNS1_3gpuE0ELNS1_3repE0EEENS1_30default_config_static_selectorELNS0_4arch9wavefront6targetE0EEEvSK_.numbered_sgpr, 0
	.set _ZN7rocprim17ROCPRIM_400000_NS6detail17trampoline_kernelINS0_14default_configENS1_37merge_sort_block_sort_config_selectorItNS0_10empty_typeEEEZNS1_21merge_sort_block_sortIS3_N6thrust23THRUST_200600_302600_NS6detail15normal_iteratorINS9_10device_ptrItEEEESE_PS5_SF_11less_div_10ItEEE10hipError_tT0_T1_T2_T3_mRjT4_P12ihipStream_tbNS1_7vsmem_tEEUlT_E_NS1_11comp_targetILNS1_3genE0ELNS1_11target_archE4294967295ELNS1_3gpuE0ELNS1_3repE0EEENS1_30default_config_static_selectorELNS0_4arch9wavefront6targetE0EEEvSK_.num_named_barrier, 0
	.set _ZN7rocprim17ROCPRIM_400000_NS6detail17trampoline_kernelINS0_14default_configENS1_37merge_sort_block_sort_config_selectorItNS0_10empty_typeEEEZNS1_21merge_sort_block_sortIS3_N6thrust23THRUST_200600_302600_NS6detail15normal_iteratorINS9_10device_ptrItEEEESE_PS5_SF_11less_div_10ItEEE10hipError_tT0_T1_T2_T3_mRjT4_P12ihipStream_tbNS1_7vsmem_tEEUlT_E_NS1_11comp_targetILNS1_3genE0ELNS1_11target_archE4294967295ELNS1_3gpuE0ELNS1_3repE0EEENS1_30default_config_static_selectorELNS0_4arch9wavefront6targetE0EEEvSK_.private_seg_size, 0
	.set _ZN7rocprim17ROCPRIM_400000_NS6detail17trampoline_kernelINS0_14default_configENS1_37merge_sort_block_sort_config_selectorItNS0_10empty_typeEEEZNS1_21merge_sort_block_sortIS3_N6thrust23THRUST_200600_302600_NS6detail15normal_iteratorINS9_10device_ptrItEEEESE_PS5_SF_11less_div_10ItEEE10hipError_tT0_T1_T2_T3_mRjT4_P12ihipStream_tbNS1_7vsmem_tEEUlT_E_NS1_11comp_targetILNS1_3genE0ELNS1_11target_archE4294967295ELNS1_3gpuE0ELNS1_3repE0EEENS1_30default_config_static_selectorELNS0_4arch9wavefront6targetE0EEEvSK_.uses_vcc, 0
	.set _ZN7rocprim17ROCPRIM_400000_NS6detail17trampoline_kernelINS0_14default_configENS1_37merge_sort_block_sort_config_selectorItNS0_10empty_typeEEEZNS1_21merge_sort_block_sortIS3_N6thrust23THRUST_200600_302600_NS6detail15normal_iteratorINS9_10device_ptrItEEEESE_PS5_SF_11less_div_10ItEEE10hipError_tT0_T1_T2_T3_mRjT4_P12ihipStream_tbNS1_7vsmem_tEEUlT_E_NS1_11comp_targetILNS1_3genE0ELNS1_11target_archE4294967295ELNS1_3gpuE0ELNS1_3repE0EEENS1_30default_config_static_selectorELNS0_4arch9wavefront6targetE0EEEvSK_.uses_flat_scratch, 0
	.set _ZN7rocprim17ROCPRIM_400000_NS6detail17trampoline_kernelINS0_14default_configENS1_37merge_sort_block_sort_config_selectorItNS0_10empty_typeEEEZNS1_21merge_sort_block_sortIS3_N6thrust23THRUST_200600_302600_NS6detail15normal_iteratorINS9_10device_ptrItEEEESE_PS5_SF_11less_div_10ItEEE10hipError_tT0_T1_T2_T3_mRjT4_P12ihipStream_tbNS1_7vsmem_tEEUlT_E_NS1_11comp_targetILNS1_3genE0ELNS1_11target_archE4294967295ELNS1_3gpuE0ELNS1_3repE0EEENS1_30default_config_static_selectorELNS0_4arch9wavefront6targetE0EEEvSK_.has_dyn_sized_stack, 0
	.set _ZN7rocprim17ROCPRIM_400000_NS6detail17trampoline_kernelINS0_14default_configENS1_37merge_sort_block_sort_config_selectorItNS0_10empty_typeEEEZNS1_21merge_sort_block_sortIS3_N6thrust23THRUST_200600_302600_NS6detail15normal_iteratorINS9_10device_ptrItEEEESE_PS5_SF_11less_div_10ItEEE10hipError_tT0_T1_T2_T3_mRjT4_P12ihipStream_tbNS1_7vsmem_tEEUlT_E_NS1_11comp_targetILNS1_3genE0ELNS1_11target_archE4294967295ELNS1_3gpuE0ELNS1_3repE0EEENS1_30default_config_static_selectorELNS0_4arch9wavefront6targetE0EEEvSK_.has_recursion, 0
	.set _ZN7rocprim17ROCPRIM_400000_NS6detail17trampoline_kernelINS0_14default_configENS1_37merge_sort_block_sort_config_selectorItNS0_10empty_typeEEEZNS1_21merge_sort_block_sortIS3_N6thrust23THRUST_200600_302600_NS6detail15normal_iteratorINS9_10device_ptrItEEEESE_PS5_SF_11less_div_10ItEEE10hipError_tT0_T1_T2_T3_mRjT4_P12ihipStream_tbNS1_7vsmem_tEEUlT_E_NS1_11comp_targetILNS1_3genE0ELNS1_11target_archE4294967295ELNS1_3gpuE0ELNS1_3repE0EEENS1_30default_config_static_selectorELNS0_4arch9wavefront6targetE0EEEvSK_.has_indirect_call, 0
	.section	.AMDGPU.csdata,"",@progbits
; Kernel info:
; codeLenInByte = 0
; TotalNumSgprs: 0
; NumVgprs: 0
; ScratchSize: 0
; MemoryBound: 0
; FloatMode: 240
; IeeeMode: 1
; LDSByteSize: 0 bytes/workgroup (compile time only)
; SGPRBlocks: 0
; VGPRBlocks: 0
; NumSGPRsForWavesPerEU: 1
; NumVGPRsForWavesPerEU: 1
; Occupancy: 16
; WaveLimiterHint : 0
; COMPUTE_PGM_RSRC2:SCRATCH_EN: 0
; COMPUTE_PGM_RSRC2:USER_SGPR: 6
; COMPUTE_PGM_RSRC2:TRAP_HANDLER: 0
; COMPUTE_PGM_RSRC2:TGID_X_EN: 1
; COMPUTE_PGM_RSRC2:TGID_Y_EN: 0
; COMPUTE_PGM_RSRC2:TGID_Z_EN: 0
; COMPUTE_PGM_RSRC2:TIDIG_COMP_CNT: 0
	.section	.text._ZN7rocprim17ROCPRIM_400000_NS6detail17trampoline_kernelINS0_14default_configENS1_37merge_sort_block_sort_config_selectorItNS0_10empty_typeEEEZNS1_21merge_sort_block_sortIS3_N6thrust23THRUST_200600_302600_NS6detail15normal_iteratorINS9_10device_ptrItEEEESE_PS5_SF_11less_div_10ItEEE10hipError_tT0_T1_T2_T3_mRjT4_P12ihipStream_tbNS1_7vsmem_tEEUlT_E_NS1_11comp_targetILNS1_3genE5ELNS1_11target_archE942ELNS1_3gpuE9ELNS1_3repE0EEENS1_30default_config_static_selectorELNS0_4arch9wavefront6targetE0EEEvSK_,"axG",@progbits,_ZN7rocprim17ROCPRIM_400000_NS6detail17trampoline_kernelINS0_14default_configENS1_37merge_sort_block_sort_config_selectorItNS0_10empty_typeEEEZNS1_21merge_sort_block_sortIS3_N6thrust23THRUST_200600_302600_NS6detail15normal_iteratorINS9_10device_ptrItEEEESE_PS5_SF_11less_div_10ItEEE10hipError_tT0_T1_T2_T3_mRjT4_P12ihipStream_tbNS1_7vsmem_tEEUlT_E_NS1_11comp_targetILNS1_3genE5ELNS1_11target_archE942ELNS1_3gpuE9ELNS1_3repE0EEENS1_30default_config_static_selectorELNS0_4arch9wavefront6targetE0EEEvSK_,comdat
	.protected	_ZN7rocprim17ROCPRIM_400000_NS6detail17trampoline_kernelINS0_14default_configENS1_37merge_sort_block_sort_config_selectorItNS0_10empty_typeEEEZNS1_21merge_sort_block_sortIS3_N6thrust23THRUST_200600_302600_NS6detail15normal_iteratorINS9_10device_ptrItEEEESE_PS5_SF_11less_div_10ItEEE10hipError_tT0_T1_T2_T3_mRjT4_P12ihipStream_tbNS1_7vsmem_tEEUlT_E_NS1_11comp_targetILNS1_3genE5ELNS1_11target_archE942ELNS1_3gpuE9ELNS1_3repE0EEENS1_30default_config_static_selectorELNS0_4arch9wavefront6targetE0EEEvSK_ ; -- Begin function _ZN7rocprim17ROCPRIM_400000_NS6detail17trampoline_kernelINS0_14default_configENS1_37merge_sort_block_sort_config_selectorItNS0_10empty_typeEEEZNS1_21merge_sort_block_sortIS3_N6thrust23THRUST_200600_302600_NS6detail15normal_iteratorINS9_10device_ptrItEEEESE_PS5_SF_11less_div_10ItEEE10hipError_tT0_T1_T2_T3_mRjT4_P12ihipStream_tbNS1_7vsmem_tEEUlT_E_NS1_11comp_targetILNS1_3genE5ELNS1_11target_archE942ELNS1_3gpuE9ELNS1_3repE0EEENS1_30default_config_static_selectorELNS0_4arch9wavefront6targetE0EEEvSK_
	.globl	_ZN7rocprim17ROCPRIM_400000_NS6detail17trampoline_kernelINS0_14default_configENS1_37merge_sort_block_sort_config_selectorItNS0_10empty_typeEEEZNS1_21merge_sort_block_sortIS3_N6thrust23THRUST_200600_302600_NS6detail15normal_iteratorINS9_10device_ptrItEEEESE_PS5_SF_11less_div_10ItEEE10hipError_tT0_T1_T2_T3_mRjT4_P12ihipStream_tbNS1_7vsmem_tEEUlT_E_NS1_11comp_targetILNS1_3genE5ELNS1_11target_archE942ELNS1_3gpuE9ELNS1_3repE0EEENS1_30default_config_static_selectorELNS0_4arch9wavefront6targetE0EEEvSK_
	.p2align	8
	.type	_ZN7rocprim17ROCPRIM_400000_NS6detail17trampoline_kernelINS0_14default_configENS1_37merge_sort_block_sort_config_selectorItNS0_10empty_typeEEEZNS1_21merge_sort_block_sortIS3_N6thrust23THRUST_200600_302600_NS6detail15normal_iteratorINS9_10device_ptrItEEEESE_PS5_SF_11less_div_10ItEEE10hipError_tT0_T1_T2_T3_mRjT4_P12ihipStream_tbNS1_7vsmem_tEEUlT_E_NS1_11comp_targetILNS1_3genE5ELNS1_11target_archE942ELNS1_3gpuE9ELNS1_3repE0EEENS1_30default_config_static_selectorELNS0_4arch9wavefront6targetE0EEEvSK_,@function
_ZN7rocprim17ROCPRIM_400000_NS6detail17trampoline_kernelINS0_14default_configENS1_37merge_sort_block_sort_config_selectorItNS0_10empty_typeEEEZNS1_21merge_sort_block_sortIS3_N6thrust23THRUST_200600_302600_NS6detail15normal_iteratorINS9_10device_ptrItEEEESE_PS5_SF_11less_div_10ItEEE10hipError_tT0_T1_T2_T3_mRjT4_P12ihipStream_tbNS1_7vsmem_tEEUlT_E_NS1_11comp_targetILNS1_3genE5ELNS1_11target_archE942ELNS1_3gpuE9ELNS1_3repE0EEENS1_30default_config_static_selectorELNS0_4arch9wavefront6targetE0EEEvSK_: ; @_ZN7rocprim17ROCPRIM_400000_NS6detail17trampoline_kernelINS0_14default_configENS1_37merge_sort_block_sort_config_selectorItNS0_10empty_typeEEEZNS1_21merge_sort_block_sortIS3_N6thrust23THRUST_200600_302600_NS6detail15normal_iteratorINS9_10device_ptrItEEEESE_PS5_SF_11less_div_10ItEEE10hipError_tT0_T1_T2_T3_mRjT4_P12ihipStream_tbNS1_7vsmem_tEEUlT_E_NS1_11comp_targetILNS1_3genE5ELNS1_11target_archE942ELNS1_3gpuE9ELNS1_3repE0EEENS1_30default_config_static_selectorELNS0_4arch9wavefront6targetE0EEEvSK_
; %bb.0:
	.section	.rodata,"a",@progbits
	.p2align	6, 0x0
	.amdhsa_kernel _ZN7rocprim17ROCPRIM_400000_NS6detail17trampoline_kernelINS0_14default_configENS1_37merge_sort_block_sort_config_selectorItNS0_10empty_typeEEEZNS1_21merge_sort_block_sortIS3_N6thrust23THRUST_200600_302600_NS6detail15normal_iteratorINS9_10device_ptrItEEEESE_PS5_SF_11less_div_10ItEEE10hipError_tT0_T1_T2_T3_mRjT4_P12ihipStream_tbNS1_7vsmem_tEEUlT_E_NS1_11comp_targetILNS1_3genE5ELNS1_11target_archE942ELNS1_3gpuE9ELNS1_3repE0EEENS1_30default_config_static_selectorELNS0_4arch9wavefront6targetE0EEEvSK_
		.amdhsa_group_segment_fixed_size 0
		.amdhsa_private_segment_fixed_size 0
		.amdhsa_kernarg_size 64
		.amdhsa_user_sgpr_count 6
		.amdhsa_user_sgpr_private_segment_buffer 1
		.amdhsa_user_sgpr_dispatch_ptr 0
		.amdhsa_user_sgpr_queue_ptr 0
		.amdhsa_user_sgpr_kernarg_segment_ptr 1
		.amdhsa_user_sgpr_dispatch_id 0
		.amdhsa_user_sgpr_flat_scratch_init 0
		.amdhsa_user_sgpr_private_segment_size 0
		.amdhsa_wavefront_size32 1
		.amdhsa_uses_dynamic_stack 0
		.amdhsa_system_sgpr_private_segment_wavefront_offset 0
		.amdhsa_system_sgpr_workgroup_id_x 1
		.amdhsa_system_sgpr_workgroup_id_y 0
		.amdhsa_system_sgpr_workgroup_id_z 0
		.amdhsa_system_sgpr_workgroup_info 0
		.amdhsa_system_vgpr_workitem_id 0
		.amdhsa_next_free_vgpr 1
		.amdhsa_next_free_sgpr 1
		.amdhsa_reserve_vcc 0
		.amdhsa_reserve_flat_scratch 0
		.amdhsa_float_round_mode_32 0
		.amdhsa_float_round_mode_16_64 0
		.amdhsa_float_denorm_mode_32 3
		.amdhsa_float_denorm_mode_16_64 3
		.amdhsa_dx10_clamp 1
		.amdhsa_ieee_mode 1
		.amdhsa_fp16_overflow 0
		.amdhsa_workgroup_processor_mode 1
		.amdhsa_memory_ordered 1
		.amdhsa_forward_progress 1
		.amdhsa_shared_vgpr_count 0
		.amdhsa_exception_fp_ieee_invalid_op 0
		.amdhsa_exception_fp_denorm_src 0
		.amdhsa_exception_fp_ieee_div_zero 0
		.amdhsa_exception_fp_ieee_overflow 0
		.amdhsa_exception_fp_ieee_underflow 0
		.amdhsa_exception_fp_ieee_inexact 0
		.amdhsa_exception_int_div_zero 0
	.end_amdhsa_kernel
	.section	.text._ZN7rocprim17ROCPRIM_400000_NS6detail17trampoline_kernelINS0_14default_configENS1_37merge_sort_block_sort_config_selectorItNS0_10empty_typeEEEZNS1_21merge_sort_block_sortIS3_N6thrust23THRUST_200600_302600_NS6detail15normal_iteratorINS9_10device_ptrItEEEESE_PS5_SF_11less_div_10ItEEE10hipError_tT0_T1_T2_T3_mRjT4_P12ihipStream_tbNS1_7vsmem_tEEUlT_E_NS1_11comp_targetILNS1_3genE5ELNS1_11target_archE942ELNS1_3gpuE9ELNS1_3repE0EEENS1_30default_config_static_selectorELNS0_4arch9wavefront6targetE0EEEvSK_,"axG",@progbits,_ZN7rocprim17ROCPRIM_400000_NS6detail17trampoline_kernelINS0_14default_configENS1_37merge_sort_block_sort_config_selectorItNS0_10empty_typeEEEZNS1_21merge_sort_block_sortIS3_N6thrust23THRUST_200600_302600_NS6detail15normal_iteratorINS9_10device_ptrItEEEESE_PS5_SF_11less_div_10ItEEE10hipError_tT0_T1_T2_T3_mRjT4_P12ihipStream_tbNS1_7vsmem_tEEUlT_E_NS1_11comp_targetILNS1_3genE5ELNS1_11target_archE942ELNS1_3gpuE9ELNS1_3repE0EEENS1_30default_config_static_selectorELNS0_4arch9wavefront6targetE0EEEvSK_,comdat
.Lfunc_end233:
	.size	_ZN7rocprim17ROCPRIM_400000_NS6detail17trampoline_kernelINS0_14default_configENS1_37merge_sort_block_sort_config_selectorItNS0_10empty_typeEEEZNS1_21merge_sort_block_sortIS3_N6thrust23THRUST_200600_302600_NS6detail15normal_iteratorINS9_10device_ptrItEEEESE_PS5_SF_11less_div_10ItEEE10hipError_tT0_T1_T2_T3_mRjT4_P12ihipStream_tbNS1_7vsmem_tEEUlT_E_NS1_11comp_targetILNS1_3genE5ELNS1_11target_archE942ELNS1_3gpuE9ELNS1_3repE0EEENS1_30default_config_static_selectorELNS0_4arch9wavefront6targetE0EEEvSK_, .Lfunc_end233-_ZN7rocprim17ROCPRIM_400000_NS6detail17trampoline_kernelINS0_14default_configENS1_37merge_sort_block_sort_config_selectorItNS0_10empty_typeEEEZNS1_21merge_sort_block_sortIS3_N6thrust23THRUST_200600_302600_NS6detail15normal_iteratorINS9_10device_ptrItEEEESE_PS5_SF_11less_div_10ItEEE10hipError_tT0_T1_T2_T3_mRjT4_P12ihipStream_tbNS1_7vsmem_tEEUlT_E_NS1_11comp_targetILNS1_3genE5ELNS1_11target_archE942ELNS1_3gpuE9ELNS1_3repE0EEENS1_30default_config_static_selectorELNS0_4arch9wavefront6targetE0EEEvSK_
                                        ; -- End function
	.set _ZN7rocprim17ROCPRIM_400000_NS6detail17trampoline_kernelINS0_14default_configENS1_37merge_sort_block_sort_config_selectorItNS0_10empty_typeEEEZNS1_21merge_sort_block_sortIS3_N6thrust23THRUST_200600_302600_NS6detail15normal_iteratorINS9_10device_ptrItEEEESE_PS5_SF_11less_div_10ItEEE10hipError_tT0_T1_T2_T3_mRjT4_P12ihipStream_tbNS1_7vsmem_tEEUlT_E_NS1_11comp_targetILNS1_3genE5ELNS1_11target_archE942ELNS1_3gpuE9ELNS1_3repE0EEENS1_30default_config_static_selectorELNS0_4arch9wavefront6targetE0EEEvSK_.num_vgpr, 0
	.set _ZN7rocprim17ROCPRIM_400000_NS6detail17trampoline_kernelINS0_14default_configENS1_37merge_sort_block_sort_config_selectorItNS0_10empty_typeEEEZNS1_21merge_sort_block_sortIS3_N6thrust23THRUST_200600_302600_NS6detail15normal_iteratorINS9_10device_ptrItEEEESE_PS5_SF_11less_div_10ItEEE10hipError_tT0_T1_T2_T3_mRjT4_P12ihipStream_tbNS1_7vsmem_tEEUlT_E_NS1_11comp_targetILNS1_3genE5ELNS1_11target_archE942ELNS1_3gpuE9ELNS1_3repE0EEENS1_30default_config_static_selectorELNS0_4arch9wavefront6targetE0EEEvSK_.num_agpr, 0
	.set _ZN7rocprim17ROCPRIM_400000_NS6detail17trampoline_kernelINS0_14default_configENS1_37merge_sort_block_sort_config_selectorItNS0_10empty_typeEEEZNS1_21merge_sort_block_sortIS3_N6thrust23THRUST_200600_302600_NS6detail15normal_iteratorINS9_10device_ptrItEEEESE_PS5_SF_11less_div_10ItEEE10hipError_tT0_T1_T2_T3_mRjT4_P12ihipStream_tbNS1_7vsmem_tEEUlT_E_NS1_11comp_targetILNS1_3genE5ELNS1_11target_archE942ELNS1_3gpuE9ELNS1_3repE0EEENS1_30default_config_static_selectorELNS0_4arch9wavefront6targetE0EEEvSK_.numbered_sgpr, 0
	.set _ZN7rocprim17ROCPRIM_400000_NS6detail17trampoline_kernelINS0_14default_configENS1_37merge_sort_block_sort_config_selectorItNS0_10empty_typeEEEZNS1_21merge_sort_block_sortIS3_N6thrust23THRUST_200600_302600_NS6detail15normal_iteratorINS9_10device_ptrItEEEESE_PS5_SF_11less_div_10ItEEE10hipError_tT0_T1_T2_T3_mRjT4_P12ihipStream_tbNS1_7vsmem_tEEUlT_E_NS1_11comp_targetILNS1_3genE5ELNS1_11target_archE942ELNS1_3gpuE9ELNS1_3repE0EEENS1_30default_config_static_selectorELNS0_4arch9wavefront6targetE0EEEvSK_.num_named_barrier, 0
	.set _ZN7rocprim17ROCPRIM_400000_NS6detail17trampoline_kernelINS0_14default_configENS1_37merge_sort_block_sort_config_selectorItNS0_10empty_typeEEEZNS1_21merge_sort_block_sortIS3_N6thrust23THRUST_200600_302600_NS6detail15normal_iteratorINS9_10device_ptrItEEEESE_PS5_SF_11less_div_10ItEEE10hipError_tT0_T1_T2_T3_mRjT4_P12ihipStream_tbNS1_7vsmem_tEEUlT_E_NS1_11comp_targetILNS1_3genE5ELNS1_11target_archE942ELNS1_3gpuE9ELNS1_3repE0EEENS1_30default_config_static_selectorELNS0_4arch9wavefront6targetE0EEEvSK_.private_seg_size, 0
	.set _ZN7rocprim17ROCPRIM_400000_NS6detail17trampoline_kernelINS0_14default_configENS1_37merge_sort_block_sort_config_selectorItNS0_10empty_typeEEEZNS1_21merge_sort_block_sortIS3_N6thrust23THRUST_200600_302600_NS6detail15normal_iteratorINS9_10device_ptrItEEEESE_PS5_SF_11less_div_10ItEEE10hipError_tT0_T1_T2_T3_mRjT4_P12ihipStream_tbNS1_7vsmem_tEEUlT_E_NS1_11comp_targetILNS1_3genE5ELNS1_11target_archE942ELNS1_3gpuE9ELNS1_3repE0EEENS1_30default_config_static_selectorELNS0_4arch9wavefront6targetE0EEEvSK_.uses_vcc, 0
	.set _ZN7rocprim17ROCPRIM_400000_NS6detail17trampoline_kernelINS0_14default_configENS1_37merge_sort_block_sort_config_selectorItNS0_10empty_typeEEEZNS1_21merge_sort_block_sortIS3_N6thrust23THRUST_200600_302600_NS6detail15normal_iteratorINS9_10device_ptrItEEEESE_PS5_SF_11less_div_10ItEEE10hipError_tT0_T1_T2_T3_mRjT4_P12ihipStream_tbNS1_7vsmem_tEEUlT_E_NS1_11comp_targetILNS1_3genE5ELNS1_11target_archE942ELNS1_3gpuE9ELNS1_3repE0EEENS1_30default_config_static_selectorELNS0_4arch9wavefront6targetE0EEEvSK_.uses_flat_scratch, 0
	.set _ZN7rocprim17ROCPRIM_400000_NS6detail17trampoline_kernelINS0_14default_configENS1_37merge_sort_block_sort_config_selectorItNS0_10empty_typeEEEZNS1_21merge_sort_block_sortIS3_N6thrust23THRUST_200600_302600_NS6detail15normal_iteratorINS9_10device_ptrItEEEESE_PS5_SF_11less_div_10ItEEE10hipError_tT0_T1_T2_T3_mRjT4_P12ihipStream_tbNS1_7vsmem_tEEUlT_E_NS1_11comp_targetILNS1_3genE5ELNS1_11target_archE942ELNS1_3gpuE9ELNS1_3repE0EEENS1_30default_config_static_selectorELNS0_4arch9wavefront6targetE0EEEvSK_.has_dyn_sized_stack, 0
	.set _ZN7rocprim17ROCPRIM_400000_NS6detail17trampoline_kernelINS0_14default_configENS1_37merge_sort_block_sort_config_selectorItNS0_10empty_typeEEEZNS1_21merge_sort_block_sortIS3_N6thrust23THRUST_200600_302600_NS6detail15normal_iteratorINS9_10device_ptrItEEEESE_PS5_SF_11less_div_10ItEEE10hipError_tT0_T1_T2_T3_mRjT4_P12ihipStream_tbNS1_7vsmem_tEEUlT_E_NS1_11comp_targetILNS1_3genE5ELNS1_11target_archE942ELNS1_3gpuE9ELNS1_3repE0EEENS1_30default_config_static_selectorELNS0_4arch9wavefront6targetE0EEEvSK_.has_recursion, 0
	.set _ZN7rocprim17ROCPRIM_400000_NS6detail17trampoline_kernelINS0_14default_configENS1_37merge_sort_block_sort_config_selectorItNS0_10empty_typeEEEZNS1_21merge_sort_block_sortIS3_N6thrust23THRUST_200600_302600_NS6detail15normal_iteratorINS9_10device_ptrItEEEESE_PS5_SF_11less_div_10ItEEE10hipError_tT0_T1_T2_T3_mRjT4_P12ihipStream_tbNS1_7vsmem_tEEUlT_E_NS1_11comp_targetILNS1_3genE5ELNS1_11target_archE942ELNS1_3gpuE9ELNS1_3repE0EEENS1_30default_config_static_selectorELNS0_4arch9wavefront6targetE0EEEvSK_.has_indirect_call, 0
	.section	.AMDGPU.csdata,"",@progbits
; Kernel info:
; codeLenInByte = 0
; TotalNumSgprs: 0
; NumVgprs: 0
; ScratchSize: 0
; MemoryBound: 0
; FloatMode: 240
; IeeeMode: 1
; LDSByteSize: 0 bytes/workgroup (compile time only)
; SGPRBlocks: 0
; VGPRBlocks: 0
; NumSGPRsForWavesPerEU: 1
; NumVGPRsForWavesPerEU: 1
; Occupancy: 16
; WaveLimiterHint : 0
; COMPUTE_PGM_RSRC2:SCRATCH_EN: 0
; COMPUTE_PGM_RSRC2:USER_SGPR: 6
; COMPUTE_PGM_RSRC2:TRAP_HANDLER: 0
; COMPUTE_PGM_RSRC2:TGID_X_EN: 1
; COMPUTE_PGM_RSRC2:TGID_Y_EN: 0
; COMPUTE_PGM_RSRC2:TGID_Z_EN: 0
; COMPUTE_PGM_RSRC2:TIDIG_COMP_CNT: 0
	.section	.text._ZN7rocprim17ROCPRIM_400000_NS6detail17trampoline_kernelINS0_14default_configENS1_37merge_sort_block_sort_config_selectorItNS0_10empty_typeEEEZNS1_21merge_sort_block_sortIS3_N6thrust23THRUST_200600_302600_NS6detail15normal_iteratorINS9_10device_ptrItEEEESE_PS5_SF_11less_div_10ItEEE10hipError_tT0_T1_T2_T3_mRjT4_P12ihipStream_tbNS1_7vsmem_tEEUlT_E_NS1_11comp_targetILNS1_3genE4ELNS1_11target_archE910ELNS1_3gpuE8ELNS1_3repE0EEENS1_30default_config_static_selectorELNS0_4arch9wavefront6targetE0EEEvSK_,"axG",@progbits,_ZN7rocprim17ROCPRIM_400000_NS6detail17trampoline_kernelINS0_14default_configENS1_37merge_sort_block_sort_config_selectorItNS0_10empty_typeEEEZNS1_21merge_sort_block_sortIS3_N6thrust23THRUST_200600_302600_NS6detail15normal_iteratorINS9_10device_ptrItEEEESE_PS5_SF_11less_div_10ItEEE10hipError_tT0_T1_T2_T3_mRjT4_P12ihipStream_tbNS1_7vsmem_tEEUlT_E_NS1_11comp_targetILNS1_3genE4ELNS1_11target_archE910ELNS1_3gpuE8ELNS1_3repE0EEENS1_30default_config_static_selectorELNS0_4arch9wavefront6targetE0EEEvSK_,comdat
	.protected	_ZN7rocprim17ROCPRIM_400000_NS6detail17trampoline_kernelINS0_14default_configENS1_37merge_sort_block_sort_config_selectorItNS0_10empty_typeEEEZNS1_21merge_sort_block_sortIS3_N6thrust23THRUST_200600_302600_NS6detail15normal_iteratorINS9_10device_ptrItEEEESE_PS5_SF_11less_div_10ItEEE10hipError_tT0_T1_T2_T3_mRjT4_P12ihipStream_tbNS1_7vsmem_tEEUlT_E_NS1_11comp_targetILNS1_3genE4ELNS1_11target_archE910ELNS1_3gpuE8ELNS1_3repE0EEENS1_30default_config_static_selectorELNS0_4arch9wavefront6targetE0EEEvSK_ ; -- Begin function _ZN7rocprim17ROCPRIM_400000_NS6detail17trampoline_kernelINS0_14default_configENS1_37merge_sort_block_sort_config_selectorItNS0_10empty_typeEEEZNS1_21merge_sort_block_sortIS3_N6thrust23THRUST_200600_302600_NS6detail15normal_iteratorINS9_10device_ptrItEEEESE_PS5_SF_11less_div_10ItEEE10hipError_tT0_T1_T2_T3_mRjT4_P12ihipStream_tbNS1_7vsmem_tEEUlT_E_NS1_11comp_targetILNS1_3genE4ELNS1_11target_archE910ELNS1_3gpuE8ELNS1_3repE0EEENS1_30default_config_static_selectorELNS0_4arch9wavefront6targetE0EEEvSK_
	.globl	_ZN7rocprim17ROCPRIM_400000_NS6detail17trampoline_kernelINS0_14default_configENS1_37merge_sort_block_sort_config_selectorItNS0_10empty_typeEEEZNS1_21merge_sort_block_sortIS3_N6thrust23THRUST_200600_302600_NS6detail15normal_iteratorINS9_10device_ptrItEEEESE_PS5_SF_11less_div_10ItEEE10hipError_tT0_T1_T2_T3_mRjT4_P12ihipStream_tbNS1_7vsmem_tEEUlT_E_NS1_11comp_targetILNS1_3genE4ELNS1_11target_archE910ELNS1_3gpuE8ELNS1_3repE0EEENS1_30default_config_static_selectorELNS0_4arch9wavefront6targetE0EEEvSK_
	.p2align	8
	.type	_ZN7rocprim17ROCPRIM_400000_NS6detail17trampoline_kernelINS0_14default_configENS1_37merge_sort_block_sort_config_selectorItNS0_10empty_typeEEEZNS1_21merge_sort_block_sortIS3_N6thrust23THRUST_200600_302600_NS6detail15normal_iteratorINS9_10device_ptrItEEEESE_PS5_SF_11less_div_10ItEEE10hipError_tT0_T1_T2_T3_mRjT4_P12ihipStream_tbNS1_7vsmem_tEEUlT_E_NS1_11comp_targetILNS1_3genE4ELNS1_11target_archE910ELNS1_3gpuE8ELNS1_3repE0EEENS1_30default_config_static_selectorELNS0_4arch9wavefront6targetE0EEEvSK_,@function
_ZN7rocprim17ROCPRIM_400000_NS6detail17trampoline_kernelINS0_14default_configENS1_37merge_sort_block_sort_config_selectorItNS0_10empty_typeEEEZNS1_21merge_sort_block_sortIS3_N6thrust23THRUST_200600_302600_NS6detail15normal_iteratorINS9_10device_ptrItEEEESE_PS5_SF_11less_div_10ItEEE10hipError_tT0_T1_T2_T3_mRjT4_P12ihipStream_tbNS1_7vsmem_tEEUlT_E_NS1_11comp_targetILNS1_3genE4ELNS1_11target_archE910ELNS1_3gpuE8ELNS1_3repE0EEENS1_30default_config_static_selectorELNS0_4arch9wavefront6targetE0EEEvSK_: ; @_ZN7rocprim17ROCPRIM_400000_NS6detail17trampoline_kernelINS0_14default_configENS1_37merge_sort_block_sort_config_selectorItNS0_10empty_typeEEEZNS1_21merge_sort_block_sortIS3_N6thrust23THRUST_200600_302600_NS6detail15normal_iteratorINS9_10device_ptrItEEEESE_PS5_SF_11less_div_10ItEEE10hipError_tT0_T1_T2_T3_mRjT4_P12ihipStream_tbNS1_7vsmem_tEEUlT_E_NS1_11comp_targetILNS1_3genE4ELNS1_11target_archE910ELNS1_3gpuE8ELNS1_3repE0EEENS1_30default_config_static_selectorELNS0_4arch9wavefront6targetE0EEEvSK_
; %bb.0:
	.section	.rodata,"a",@progbits
	.p2align	6, 0x0
	.amdhsa_kernel _ZN7rocprim17ROCPRIM_400000_NS6detail17trampoline_kernelINS0_14default_configENS1_37merge_sort_block_sort_config_selectorItNS0_10empty_typeEEEZNS1_21merge_sort_block_sortIS3_N6thrust23THRUST_200600_302600_NS6detail15normal_iteratorINS9_10device_ptrItEEEESE_PS5_SF_11less_div_10ItEEE10hipError_tT0_T1_T2_T3_mRjT4_P12ihipStream_tbNS1_7vsmem_tEEUlT_E_NS1_11comp_targetILNS1_3genE4ELNS1_11target_archE910ELNS1_3gpuE8ELNS1_3repE0EEENS1_30default_config_static_selectorELNS0_4arch9wavefront6targetE0EEEvSK_
		.amdhsa_group_segment_fixed_size 0
		.amdhsa_private_segment_fixed_size 0
		.amdhsa_kernarg_size 64
		.amdhsa_user_sgpr_count 6
		.amdhsa_user_sgpr_private_segment_buffer 1
		.amdhsa_user_sgpr_dispatch_ptr 0
		.amdhsa_user_sgpr_queue_ptr 0
		.amdhsa_user_sgpr_kernarg_segment_ptr 1
		.amdhsa_user_sgpr_dispatch_id 0
		.amdhsa_user_sgpr_flat_scratch_init 0
		.amdhsa_user_sgpr_private_segment_size 0
		.amdhsa_wavefront_size32 1
		.amdhsa_uses_dynamic_stack 0
		.amdhsa_system_sgpr_private_segment_wavefront_offset 0
		.amdhsa_system_sgpr_workgroup_id_x 1
		.amdhsa_system_sgpr_workgroup_id_y 0
		.amdhsa_system_sgpr_workgroup_id_z 0
		.amdhsa_system_sgpr_workgroup_info 0
		.amdhsa_system_vgpr_workitem_id 0
		.amdhsa_next_free_vgpr 1
		.amdhsa_next_free_sgpr 1
		.amdhsa_reserve_vcc 0
		.amdhsa_reserve_flat_scratch 0
		.amdhsa_float_round_mode_32 0
		.amdhsa_float_round_mode_16_64 0
		.amdhsa_float_denorm_mode_32 3
		.amdhsa_float_denorm_mode_16_64 3
		.amdhsa_dx10_clamp 1
		.amdhsa_ieee_mode 1
		.amdhsa_fp16_overflow 0
		.amdhsa_workgroup_processor_mode 1
		.amdhsa_memory_ordered 1
		.amdhsa_forward_progress 1
		.amdhsa_shared_vgpr_count 0
		.amdhsa_exception_fp_ieee_invalid_op 0
		.amdhsa_exception_fp_denorm_src 0
		.amdhsa_exception_fp_ieee_div_zero 0
		.amdhsa_exception_fp_ieee_overflow 0
		.amdhsa_exception_fp_ieee_underflow 0
		.amdhsa_exception_fp_ieee_inexact 0
		.amdhsa_exception_int_div_zero 0
	.end_amdhsa_kernel
	.section	.text._ZN7rocprim17ROCPRIM_400000_NS6detail17trampoline_kernelINS0_14default_configENS1_37merge_sort_block_sort_config_selectorItNS0_10empty_typeEEEZNS1_21merge_sort_block_sortIS3_N6thrust23THRUST_200600_302600_NS6detail15normal_iteratorINS9_10device_ptrItEEEESE_PS5_SF_11less_div_10ItEEE10hipError_tT0_T1_T2_T3_mRjT4_P12ihipStream_tbNS1_7vsmem_tEEUlT_E_NS1_11comp_targetILNS1_3genE4ELNS1_11target_archE910ELNS1_3gpuE8ELNS1_3repE0EEENS1_30default_config_static_selectorELNS0_4arch9wavefront6targetE0EEEvSK_,"axG",@progbits,_ZN7rocprim17ROCPRIM_400000_NS6detail17trampoline_kernelINS0_14default_configENS1_37merge_sort_block_sort_config_selectorItNS0_10empty_typeEEEZNS1_21merge_sort_block_sortIS3_N6thrust23THRUST_200600_302600_NS6detail15normal_iteratorINS9_10device_ptrItEEEESE_PS5_SF_11less_div_10ItEEE10hipError_tT0_T1_T2_T3_mRjT4_P12ihipStream_tbNS1_7vsmem_tEEUlT_E_NS1_11comp_targetILNS1_3genE4ELNS1_11target_archE910ELNS1_3gpuE8ELNS1_3repE0EEENS1_30default_config_static_selectorELNS0_4arch9wavefront6targetE0EEEvSK_,comdat
.Lfunc_end234:
	.size	_ZN7rocprim17ROCPRIM_400000_NS6detail17trampoline_kernelINS0_14default_configENS1_37merge_sort_block_sort_config_selectorItNS0_10empty_typeEEEZNS1_21merge_sort_block_sortIS3_N6thrust23THRUST_200600_302600_NS6detail15normal_iteratorINS9_10device_ptrItEEEESE_PS5_SF_11less_div_10ItEEE10hipError_tT0_T1_T2_T3_mRjT4_P12ihipStream_tbNS1_7vsmem_tEEUlT_E_NS1_11comp_targetILNS1_3genE4ELNS1_11target_archE910ELNS1_3gpuE8ELNS1_3repE0EEENS1_30default_config_static_selectorELNS0_4arch9wavefront6targetE0EEEvSK_, .Lfunc_end234-_ZN7rocprim17ROCPRIM_400000_NS6detail17trampoline_kernelINS0_14default_configENS1_37merge_sort_block_sort_config_selectorItNS0_10empty_typeEEEZNS1_21merge_sort_block_sortIS3_N6thrust23THRUST_200600_302600_NS6detail15normal_iteratorINS9_10device_ptrItEEEESE_PS5_SF_11less_div_10ItEEE10hipError_tT0_T1_T2_T3_mRjT4_P12ihipStream_tbNS1_7vsmem_tEEUlT_E_NS1_11comp_targetILNS1_3genE4ELNS1_11target_archE910ELNS1_3gpuE8ELNS1_3repE0EEENS1_30default_config_static_selectorELNS0_4arch9wavefront6targetE0EEEvSK_
                                        ; -- End function
	.set _ZN7rocprim17ROCPRIM_400000_NS6detail17trampoline_kernelINS0_14default_configENS1_37merge_sort_block_sort_config_selectorItNS0_10empty_typeEEEZNS1_21merge_sort_block_sortIS3_N6thrust23THRUST_200600_302600_NS6detail15normal_iteratorINS9_10device_ptrItEEEESE_PS5_SF_11less_div_10ItEEE10hipError_tT0_T1_T2_T3_mRjT4_P12ihipStream_tbNS1_7vsmem_tEEUlT_E_NS1_11comp_targetILNS1_3genE4ELNS1_11target_archE910ELNS1_3gpuE8ELNS1_3repE0EEENS1_30default_config_static_selectorELNS0_4arch9wavefront6targetE0EEEvSK_.num_vgpr, 0
	.set _ZN7rocprim17ROCPRIM_400000_NS6detail17trampoline_kernelINS0_14default_configENS1_37merge_sort_block_sort_config_selectorItNS0_10empty_typeEEEZNS1_21merge_sort_block_sortIS3_N6thrust23THRUST_200600_302600_NS6detail15normal_iteratorINS9_10device_ptrItEEEESE_PS5_SF_11less_div_10ItEEE10hipError_tT0_T1_T2_T3_mRjT4_P12ihipStream_tbNS1_7vsmem_tEEUlT_E_NS1_11comp_targetILNS1_3genE4ELNS1_11target_archE910ELNS1_3gpuE8ELNS1_3repE0EEENS1_30default_config_static_selectorELNS0_4arch9wavefront6targetE0EEEvSK_.num_agpr, 0
	.set _ZN7rocprim17ROCPRIM_400000_NS6detail17trampoline_kernelINS0_14default_configENS1_37merge_sort_block_sort_config_selectorItNS0_10empty_typeEEEZNS1_21merge_sort_block_sortIS3_N6thrust23THRUST_200600_302600_NS6detail15normal_iteratorINS9_10device_ptrItEEEESE_PS5_SF_11less_div_10ItEEE10hipError_tT0_T1_T2_T3_mRjT4_P12ihipStream_tbNS1_7vsmem_tEEUlT_E_NS1_11comp_targetILNS1_3genE4ELNS1_11target_archE910ELNS1_3gpuE8ELNS1_3repE0EEENS1_30default_config_static_selectorELNS0_4arch9wavefront6targetE0EEEvSK_.numbered_sgpr, 0
	.set _ZN7rocprim17ROCPRIM_400000_NS6detail17trampoline_kernelINS0_14default_configENS1_37merge_sort_block_sort_config_selectorItNS0_10empty_typeEEEZNS1_21merge_sort_block_sortIS3_N6thrust23THRUST_200600_302600_NS6detail15normal_iteratorINS9_10device_ptrItEEEESE_PS5_SF_11less_div_10ItEEE10hipError_tT0_T1_T2_T3_mRjT4_P12ihipStream_tbNS1_7vsmem_tEEUlT_E_NS1_11comp_targetILNS1_3genE4ELNS1_11target_archE910ELNS1_3gpuE8ELNS1_3repE0EEENS1_30default_config_static_selectorELNS0_4arch9wavefront6targetE0EEEvSK_.num_named_barrier, 0
	.set _ZN7rocprim17ROCPRIM_400000_NS6detail17trampoline_kernelINS0_14default_configENS1_37merge_sort_block_sort_config_selectorItNS0_10empty_typeEEEZNS1_21merge_sort_block_sortIS3_N6thrust23THRUST_200600_302600_NS6detail15normal_iteratorINS9_10device_ptrItEEEESE_PS5_SF_11less_div_10ItEEE10hipError_tT0_T1_T2_T3_mRjT4_P12ihipStream_tbNS1_7vsmem_tEEUlT_E_NS1_11comp_targetILNS1_3genE4ELNS1_11target_archE910ELNS1_3gpuE8ELNS1_3repE0EEENS1_30default_config_static_selectorELNS0_4arch9wavefront6targetE0EEEvSK_.private_seg_size, 0
	.set _ZN7rocprim17ROCPRIM_400000_NS6detail17trampoline_kernelINS0_14default_configENS1_37merge_sort_block_sort_config_selectorItNS0_10empty_typeEEEZNS1_21merge_sort_block_sortIS3_N6thrust23THRUST_200600_302600_NS6detail15normal_iteratorINS9_10device_ptrItEEEESE_PS5_SF_11less_div_10ItEEE10hipError_tT0_T1_T2_T3_mRjT4_P12ihipStream_tbNS1_7vsmem_tEEUlT_E_NS1_11comp_targetILNS1_3genE4ELNS1_11target_archE910ELNS1_3gpuE8ELNS1_3repE0EEENS1_30default_config_static_selectorELNS0_4arch9wavefront6targetE0EEEvSK_.uses_vcc, 0
	.set _ZN7rocprim17ROCPRIM_400000_NS6detail17trampoline_kernelINS0_14default_configENS1_37merge_sort_block_sort_config_selectorItNS0_10empty_typeEEEZNS1_21merge_sort_block_sortIS3_N6thrust23THRUST_200600_302600_NS6detail15normal_iteratorINS9_10device_ptrItEEEESE_PS5_SF_11less_div_10ItEEE10hipError_tT0_T1_T2_T3_mRjT4_P12ihipStream_tbNS1_7vsmem_tEEUlT_E_NS1_11comp_targetILNS1_3genE4ELNS1_11target_archE910ELNS1_3gpuE8ELNS1_3repE0EEENS1_30default_config_static_selectorELNS0_4arch9wavefront6targetE0EEEvSK_.uses_flat_scratch, 0
	.set _ZN7rocprim17ROCPRIM_400000_NS6detail17trampoline_kernelINS0_14default_configENS1_37merge_sort_block_sort_config_selectorItNS0_10empty_typeEEEZNS1_21merge_sort_block_sortIS3_N6thrust23THRUST_200600_302600_NS6detail15normal_iteratorINS9_10device_ptrItEEEESE_PS5_SF_11less_div_10ItEEE10hipError_tT0_T1_T2_T3_mRjT4_P12ihipStream_tbNS1_7vsmem_tEEUlT_E_NS1_11comp_targetILNS1_3genE4ELNS1_11target_archE910ELNS1_3gpuE8ELNS1_3repE0EEENS1_30default_config_static_selectorELNS0_4arch9wavefront6targetE0EEEvSK_.has_dyn_sized_stack, 0
	.set _ZN7rocprim17ROCPRIM_400000_NS6detail17trampoline_kernelINS0_14default_configENS1_37merge_sort_block_sort_config_selectorItNS0_10empty_typeEEEZNS1_21merge_sort_block_sortIS3_N6thrust23THRUST_200600_302600_NS6detail15normal_iteratorINS9_10device_ptrItEEEESE_PS5_SF_11less_div_10ItEEE10hipError_tT0_T1_T2_T3_mRjT4_P12ihipStream_tbNS1_7vsmem_tEEUlT_E_NS1_11comp_targetILNS1_3genE4ELNS1_11target_archE910ELNS1_3gpuE8ELNS1_3repE0EEENS1_30default_config_static_selectorELNS0_4arch9wavefront6targetE0EEEvSK_.has_recursion, 0
	.set _ZN7rocprim17ROCPRIM_400000_NS6detail17trampoline_kernelINS0_14default_configENS1_37merge_sort_block_sort_config_selectorItNS0_10empty_typeEEEZNS1_21merge_sort_block_sortIS3_N6thrust23THRUST_200600_302600_NS6detail15normal_iteratorINS9_10device_ptrItEEEESE_PS5_SF_11less_div_10ItEEE10hipError_tT0_T1_T2_T3_mRjT4_P12ihipStream_tbNS1_7vsmem_tEEUlT_E_NS1_11comp_targetILNS1_3genE4ELNS1_11target_archE910ELNS1_3gpuE8ELNS1_3repE0EEENS1_30default_config_static_selectorELNS0_4arch9wavefront6targetE0EEEvSK_.has_indirect_call, 0
	.section	.AMDGPU.csdata,"",@progbits
; Kernel info:
; codeLenInByte = 0
; TotalNumSgprs: 0
; NumVgprs: 0
; ScratchSize: 0
; MemoryBound: 0
; FloatMode: 240
; IeeeMode: 1
; LDSByteSize: 0 bytes/workgroup (compile time only)
; SGPRBlocks: 0
; VGPRBlocks: 0
; NumSGPRsForWavesPerEU: 1
; NumVGPRsForWavesPerEU: 1
; Occupancy: 16
; WaveLimiterHint : 0
; COMPUTE_PGM_RSRC2:SCRATCH_EN: 0
; COMPUTE_PGM_RSRC2:USER_SGPR: 6
; COMPUTE_PGM_RSRC2:TRAP_HANDLER: 0
; COMPUTE_PGM_RSRC2:TGID_X_EN: 1
; COMPUTE_PGM_RSRC2:TGID_Y_EN: 0
; COMPUTE_PGM_RSRC2:TGID_Z_EN: 0
; COMPUTE_PGM_RSRC2:TIDIG_COMP_CNT: 0
	.section	.text._ZN7rocprim17ROCPRIM_400000_NS6detail17trampoline_kernelINS0_14default_configENS1_37merge_sort_block_sort_config_selectorItNS0_10empty_typeEEEZNS1_21merge_sort_block_sortIS3_N6thrust23THRUST_200600_302600_NS6detail15normal_iteratorINS9_10device_ptrItEEEESE_PS5_SF_11less_div_10ItEEE10hipError_tT0_T1_T2_T3_mRjT4_P12ihipStream_tbNS1_7vsmem_tEEUlT_E_NS1_11comp_targetILNS1_3genE3ELNS1_11target_archE908ELNS1_3gpuE7ELNS1_3repE0EEENS1_30default_config_static_selectorELNS0_4arch9wavefront6targetE0EEEvSK_,"axG",@progbits,_ZN7rocprim17ROCPRIM_400000_NS6detail17trampoline_kernelINS0_14default_configENS1_37merge_sort_block_sort_config_selectorItNS0_10empty_typeEEEZNS1_21merge_sort_block_sortIS3_N6thrust23THRUST_200600_302600_NS6detail15normal_iteratorINS9_10device_ptrItEEEESE_PS5_SF_11less_div_10ItEEE10hipError_tT0_T1_T2_T3_mRjT4_P12ihipStream_tbNS1_7vsmem_tEEUlT_E_NS1_11comp_targetILNS1_3genE3ELNS1_11target_archE908ELNS1_3gpuE7ELNS1_3repE0EEENS1_30default_config_static_selectorELNS0_4arch9wavefront6targetE0EEEvSK_,comdat
	.protected	_ZN7rocprim17ROCPRIM_400000_NS6detail17trampoline_kernelINS0_14default_configENS1_37merge_sort_block_sort_config_selectorItNS0_10empty_typeEEEZNS1_21merge_sort_block_sortIS3_N6thrust23THRUST_200600_302600_NS6detail15normal_iteratorINS9_10device_ptrItEEEESE_PS5_SF_11less_div_10ItEEE10hipError_tT0_T1_T2_T3_mRjT4_P12ihipStream_tbNS1_7vsmem_tEEUlT_E_NS1_11comp_targetILNS1_3genE3ELNS1_11target_archE908ELNS1_3gpuE7ELNS1_3repE0EEENS1_30default_config_static_selectorELNS0_4arch9wavefront6targetE0EEEvSK_ ; -- Begin function _ZN7rocprim17ROCPRIM_400000_NS6detail17trampoline_kernelINS0_14default_configENS1_37merge_sort_block_sort_config_selectorItNS0_10empty_typeEEEZNS1_21merge_sort_block_sortIS3_N6thrust23THRUST_200600_302600_NS6detail15normal_iteratorINS9_10device_ptrItEEEESE_PS5_SF_11less_div_10ItEEE10hipError_tT0_T1_T2_T3_mRjT4_P12ihipStream_tbNS1_7vsmem_tEEUlT_E_NS1_11comp_targetILNS1_3genE3ELNS1_11target_archE908ELNS1_3gpuE7ELNS1_3repE0EEENS1_30default_config_static_selectorELNS0_4arch9wavefront6targetE0EEEvSK_
	.globl	_ZN7rocprim17ROCPRIM_400000_NS6detail17trampoline_kernelINS0_14default_configENS1_37merge_sort_block_sort_config_selectorItNS0_10empty_typeEEEZNS1_21merge_sort_block_sortIS3_N6thrust23THRUST_200600_302600_NS6detail15normal_iteratorINS9_10device_ptrItEEEESE_PS5_SF_11less_div_10ItEEE10hipError_tT0_T1_T2_T3_mRjT4_P12ihipStream_tbNS1_7vsmem_tEEUlT_E_NS1_11comp_targetILNS1_3genE3ELNS1_11target_archE908ELNS1_3gpuE7ELNS1_3repE0EEENS1_30default_config_static_selectorELNS0_4arch9wavefront6targetE0EEEvSK_
	.p2align	8
	.type	_ZN7rocprim17ROCPRIM_400000_NS6detail17trampoline_kernelINS0_14default_configENS1_37merge_sort_block_sort_config_selectorItNS0_10empty_typeEEEZNS1_21merge_sort_block_sortIS3_N6thrust23THRUST_200600_302600_NS6detail15normal_iteratorINS9_10device_ptrItEEEESE_PS5_SF_11less_div_10ItEEE10hipError_tT0_T1_T2_T3_mRjT4_P12ihipStream_tbNS1_7vsmem_tEEUlT_E_NS1_11comp_targetILNS1_3genE3ELNS1_11target_archE908ELNS1_3gpuE7ELNS1_3repE0EEENS1_30default_config_static_selectorELNS0_4arch9wavefront6targetE0EEEvSK_,@function
_ZN7rocprim17ROCPRIM_400000_NS6detail17trampoline_kernelINS0_14default_configENS1_37merge_sort_block_sort_config_selectorItNS0_10empty_typeEEEZNS1_21merge_sort_block_sortIS3_N6thrust23THRUST_200600_302600_NS6detail15normal_iteratorINS9_10device_ptrItEEEESE_PS5_SF_11less_div_10ItEEE10hipError_tT0_T1_T2_T3_mRjT4_P12ihipStream_tbNS1_7vsmem_tEEUlT_E_NS1_11comp_targetILNS1_3genE3ELNS1_11target_archE908ELNS1_3gpuE7ELNS1_3repE0EEENS1_30default_config_static_selectorELNS0_4arch9wavefront6targetE0EEEvSK_: ; @_ZN7rocprim17ROCPRIM_400000_NS6detail17trampoline_kernelINS0_14default_configENS1_37merge_sort_block_sort_config_selectorItNS0_10empty_typeEEEZNS1_21merge_sort_block_sortIS3_N6thrust23THRUST_200600_302600_NS6detail15normal_iteratorINS9_10device_ptrItEEEESE_PS5_SF_11less_div_10ItEEE10hipError_tT0_T1_T2_T3_mRjT4_P12ihipStream_tbNS1_7vsmem_tEEUlT_E_NS1_11comp_targetILNS1_3genE3ELNS1_11target_archE908ELNS1_3gpuE7ELNS1_3repE0EEENS1_30default_config_static_selectorELNS0_4arch9wavefront6targetE0EEEvSK_
; %bb.0:
	.section	.rodata,"a",@progbits
	.p2align	6, 0x0
	.amdhsa_kernel _ZN7rocprim17ROCPRIM_400000_NS6detail17trampoline_kernelINS0_14default_configENS1_37merge_sort_block_sort_config_selectorItNS0_10empty_typeEEEZNS1_21merge_sort_block_sortIS3_N6thrust23THRUST_200600_302600_NS6detail15normal_iteratorINS9_10device_ptrItEEEESE_PS5_SF_11less_div_10ItEEE10hipError_tT0_T1_T2_T3_mRjT4_P12ihipStream_tbNS1_7vsmem_tEEUlT_E_NS1_11comp_targetILNS1_3genE3ELNS1_11target_archE908ELNS1_3gpuE7ELNS1_3repE0EEENS1_30default_config_static_selectorELNS0_4arch9wavefront6targetE0EEEvSK_
		.amdhsa_group_segment_fixed_size 0
		.amdhsa_private_segment_fixed_size 0
		.amdhsa_kernarg_size 64
		.amdhsa_user_sgpr_count 6
		.amdhsa_user_sgpr_private_segment_buffer 1
		.amdhsa_user_sgpr_dispatch_ptr 0
		.amdhsa_user_sgpr_queue_ptr 0
		.amdhsa_user_sgpr_kernarg_segment_ptr 1
		.amdhsa_user_sgpr_dispatch_id 0
		.amdhsa_user_sgpr_flat_scratch_init 0
		.amdhsa_user_sgpr_private_segment_size 0
		.amdhsa_wavefront_size32 1
		.amdhsa_uses_dynamic_stack 0
		.amdhsa_system_sgpr_private_segment_wavefront_offset 0
		.amdhsa_system_sgpr_workgroup_id_x 1
		.amdhsa_system_sgpr_workgroup_id_y 0
		.amdhsa_system_sgpr_workgroup_id_z 0
		.amdhsa_system_sgpr_workgroup_info 0
		.amdhsa_system_vgpr_workitem_id 0
		.amdhsa_next_free_vgpr 1
		.amdhsa_next_free_sgpr 1
		.amdhsa_reserve_vcc 0
		.amdhsa_reserve_flat_scratch 0
		.amdhsa_float_round_mode_32 0
		.amdhsa_float_round_mode_16_64 0
		.amdhsa_float_denorm_mode_32 3
		.amdhsa_float_denorm_mode_16_64 3
		.amdhsa_dx10_clamp 1
		.amdhsa_ieee_mode 1
		.amdhsa_fp16_overflow 0
		.amdhsa_workgroup_processor_mode 1
		.amdhsa_memory_ordered 1
		.amdhsa_forward_progress 1
		.amdhsa_shared_vgpr_count 0
		.amdhsa_exception_fp_ieee_invalid_op 0
		.amdhsa_exception_fp_denorm_src 0
		.amdhsa_exception_fp_ieee_div_zero 0
		.amdhsa_exception_fp_ieee_overflow 0
		.amdhsa_exception_fp_ieee_underflow 0
		.amdhsa_exception_fp_ieee_inexact 0
		.amdhsa_exception_int_div_zero 0
	.end_amdhsa_kernel
	.section	.text._ZN7rocprim17ROCPRIM_400000_NS6detail17trampoline_kernelINS0_14default_configENS1_37merge_sort_block_sort_config_selectorItNS0_10empty_typeEEEZNS1_21merge_sort_block_sortIS3_N6thrust23THRUST_200600_302600_NS6detail15normal_iteratorINS9_10device_ptrItEEEESE_PS5_SF_11less_div_10ItEEE10hipError_tT0_T1_T2_T3_mRjT4_P12ihipStream_tbNS1_7vsmem_tEEUlT_E_NS1_11comp_targetILNS1_3genE3ELNS1_11target_archE908ELNS1_3gpuE7ELNS1_3repE0EEENS1_30default_config_static_selectorELNS0_4arch9wavefront6targetE0EEEvSK_,"axG",@progbits,_ZN7rocprim17ROCPRIM_400000_NS6detail17trampoline_kernelINS0_14default_configENS1_37merge_sort_block_sort_config_selectorItNS0_10empty_typeEEEZNS1_21merge_sort_block_sortIS3_N6thrust23THRUST_200600_302600_NS6detail15normal_iteratorINS9_10device_ptrItEEEESE_PS5_SF_11less_div_10ItEEE10hipError_tT0_T1_T2_T3_mRjT4_P12ihipStream_tbNS1_7vsmem_tEEUlT_E_NS1_11comp_targetILNS1_3genE3ELNS1_11target_archE908ELNS1_3gpuE7ELNS1_3repE0EEENS1_30default_config_static_selectorELNS0_4arch9wavefront6targetE0EEEvSK_,comdat
.Lfunc_end235:
	.size	_ZN7rocprim17ROCPRIM_400000_NS6detail17trampoline_kernelINS0_14default_configENS1_37merge_sort_block_sort_config_selectorItNS0_10empty_typeEEEZNS1_21merge_sort_block_sortIS3_N6thrust23THRUST_200600_302600_NS6detail15normal_iteratorINS9_10device_ptrItEEEESE_PS5_SF_11less_div_10ItEEE10hipError_tT0_T1_T2_T3_mRjT4_P12ihipStream_tbNS1_7vsmem_tEEUlT_E_NS1_11comp_targetILNS1_3genE3ELNS1_11target_archE908ELNS1_3gpuE7ELNS1_3repE0EEENS1_30default_config_static_selectorELNS0_4arch9wavefront6targetE0EEEvSK_, .Lfunc_end235-_ZN7rocprim17ROCPRIM_400000_NS6detail17trampoline_kernelINS0_14default_configENS1_37merge_sort_block_sort_config_selectorItNS0_10empty_typeEEEZNS1_21merge_sort_block_sortIS3_N6thrust23THRUST_200600_302600_NS6detail15normal_iteratorINS9_10device_ptrItEEEESE_PS5_SF_11less_div_10ItEEE10hipError_tT0_T1_T2_T3_mRjT4_P12ihipStream_tbNS1_7vsmem_tEEUlT_E_NS1_11comp_targetILNS1_3genE3ELNS1_11target_archE908ELNS1_3gpuE7ELNS1_3repE0EEENS1_30default_config_static_selectorELNS0_4arch9wavefront6targetE0EEEvSK_
                                        ; -- End function
	.set _ZN7rocprim17ROCPRIM_400000_NS6detail17trampoline_kernelINS0_14default_configENS1_37merge_sort_block_sort_config_selectorItNS0_10empty_typeEEEZNS1_21merge_sort_block_sortIS3_N6thrust23THRUST_200600_302600_NS6detail15normal_iteratorINS9_10device_ptrItEEEESE_PS5_SF_11less_div_10ItEEE10hipError_tT0_T1_T2_T3_mRjT4_P12ihipStream_tbNS1_7vsmem_tEEUlT_E_NS1_11comp_targetILNS1_3genE3ELNS1_11target_archE908ELNS1_3gpuE7ELNS1_3repE0EEENS1_30default_config_static_selectorELNS0_4arch9wavefront6targetE0EEEvSK_.num_vgpr, 0
	.set _ZN7rocprim17ROCPRIM_400000_NS6detail17trampoline_kernelINS0_14default_configENS1_37merge_sort_block_sort_config_selectorItNS0_10empty_typeEEEZNS1_21merge_sort_block_sortIS3_N6thrust23THRUST_200600_302600_NS6detail15normal_iteratorINS9_10device_ptrItEEEESE_PS5_SF_11less_div_10ItEEE10hipError_tT0_T1_T2_T3_mRjT4_P12ihipStream_tbNS1_7vsmem_tEEUlT_E_NS1_11comp_targetILNS1_3genE3ELNS1_11target_archE908ELNS1_3gpuE7ELNS1_3repE0EEENS1_30default_config_static_selectorELNS0_4arch9wavefront6targetE0EEEvSK_.num_agpr, 0
	.set _ZN7rocprim17ROCPRIM_400000_NS6detail17trampoline_kernelINS0_14default_configENS1_37merge_sort_block_sort_config_selectorItNS0_10empty_typeEEEZNS1_21merge_sort_block_sortIS3_N6thrust23THRUST_200600_302600_NS6detail15normal_iteratorINS9_10device_ptrItEEEESE_PS5_SF_11less_div_10ItEEE10hipError_tT0_T1_T2_T3_mRjT4_P12ihipStream_tbNS1_7vsmem_tEEUlT_E_NS1_11comp_targetILNS1_3genE3ELNS1_11target_archE908ELNS1_3gpuE7ELNS1_3repE0EEENS1_30default_config_static_selectorELNS0_4arch9wavefront6targetE0EEEvSK_.numbered_sgpr, 0
	.set _ZN7rocprim17ROCPRIM_400000_NS6detail17trampoline_kernelINS0_14default_configENS1_37merge_sort_block_sort_config_selectorItNS0_10empty_typeEEEZNS1_21merge_sort_block_sortIS3_N6thrust23THRUST_200600_302600_NS6detail15normal_iteratorINS9_10device_ptrItEEEESE_PS5_SF_11less_div_10ItEEE10hipError_tT0_T1_T2_T3_mRjT4_P12ihipStream_tbNS1_7vsmem_tEEUlT_E_NS1_11comp_targetILNS1_3genE3ELNS1_11target_archE908ELNS1_3gpuE7ELNS1_3repE0EEENS1_30default_config_static_selectorELNS0_4arch9wavefront6targetE0EEEvSK_.num_named_barrier, 0
	.set _ZN7rocprim17ROCPRIM_400000_NS6detail17trampoline_kernelINS0_14default_configENS1_37merge_sort_block_sort_config_selectorItNS0_10empty_typeEEEZNS1_21merge_sort_block_sortIS3_N6thrust23THRUST_200600_302600_NS6detail15normal_iteratorINS9_10device_ptrItEEEESE_PS5_SF_11less_div_10ItEEE10hipError_tT0_T1_T2_T3_mRjT4_P12ihipStream_tbNS1_7vsmem_tEEUlT_E_NS1_11comp_targetILNS1_3genE3ELNS1_11target_archE908ELNS1_3gpuE7ELNS1_3repE0EEENS1_30default_config_static_selectorELNS0_4arch9wavefront6targetE0EEEvSK_.private_seg_size, 0
	.set _ZN7rocprim17ROCPRIM_400000_NS6detail17trampoline_kernelINS0_14default_configENS1_37merge_sort_block_sort_config_selectorItNS0_10empty_typeEEEZNS1_21merge_sort_block_sortIS3_N6thrust23THRUST_200600_302600_NS6detail15normal_iteratorINS9_10device_ptrItEEEESE_PS5_SF_11less_div_10ItEEE10hipError_tT0_T1_T2_T3_mRjT4_P12ihipStream_tbNS1_7vsmem_tEEUlT_E_NS1_11comp_targetILNS1_3genE3ELNS1_11target_archE908ELNS1_3gpuE7ELNS1_3repE0EEENS1_30default_config_static_selectorELNS0_4arch9wavefront6targetE0EEEvSK_.uses_vcc, 0
	.set _ZN7rocprim17ROCPRIM_400000_NS6detail17trampoline_kernelINS0_14default_configENS1_37merge_sort_block_sort_config_selectorItNS0_10empty_typeEEEZNS1_21merge_sort_block_sortIS3_N6thrust23THRUST_200600_302600_NS6detail15normal_iteratorINS9_10device_ptrItEEEESE_PS5_SF_11less_div_10ItEEE10hipError_tT0_T1_T2_T3_mRjT4_P12ihipStream_tbNS1_7vsmem_tEEUlT_E_NS1_11comp_targetILNS1_3genE3ELNS1_11target_archE908ELNS1_3gpuE7ELNS1_3repE0EEENS1_30default_config_static_selectorELNS0_4arch9wavefront6targetE0EEEvSK_.uses_flat_scratch, 0
	.set _ZN7rocprim17ROCPRIM_400000_NS6detail17trampoline_kernelINS0_14default_configENS1_37merge_sort_block_sort_config_selectorItNS0_10empty_typeEEEZNS1_21merge_sort_block_sortIS3_N6thrust23THRUST_200600_302600_NS6detail15normal_iteratorINS9_10device_ptrItEEEESE_PS5_SF_11less_div_10ItEEE10hipError_tT0_T1_T2_T3_mRjT4_P12ihipStream_tbNS1_7vsmem_tEEUlT_E_NS1_11comp_targetILNS1_3genE3ELNS1_11target_archE908ELNS1_3gpuE7ELNS1_3repE0EEENS1_30default_config_static_selectorELNS0_4arch9wavefront6targetE0EEEvSK_.has_dyn_sized_stack, 0
	.set _ZN7rocprim17ROCPRIM_400000_NS6detail17trampoline_kernelINS0_14default_configENS1_37merge_sort_block_sort_config_selectorItNS0_10empty_typeEEEZNS1_21merge_sort_block_sortIS3_N6thrust23THRUST_200600_302600_NS6detail15normal_iteratorINS9_10device_ptrItEEEESE_PS5_SF_11less_div_10ItEEE10hipError_tT0_T1_T2_T3_mRjT4_P12ihipStream_tbNS1_7vsmem_tEEUlT_E_NS1_11comp_targetILNS1_3genE3ELNS1_11target_archE908ELNS1_3gpuE7ELNS1_3repE0EEENS1_30default_config_static_selectorELNS0_4arch9wavefront6targetE0EEEvSK_.has_recursion, 0
	.set _ZN7rocprim17ROCPRIM_400000_NS6detail17trampoline_kernelINS0_14default_configENS1_37merge_sort_block_sort_config_selectorItNS0_10empty_typeEEEZNS1_21merge_sort_block_sortIS3_N6thrust23THRUST_200600_302600_NS6detail15normal_iteratorINS9_10device_ptrItEEEESE_PS5_SF_11less_div_10ItEEE10hipError_tT0_T1_T2_T3_mRjT4_P12ihipStream_tbNS1_7vsmem_tEEUlT_E_NS1_11comp_targetILNS1_3genE3ELNS1_11target_archE908ELNS1_3gpuE7ELNS1_3repE0EEENS1_30default_config_static_selectorELNS0_4arch9wavefront6targetE0EEEvSK_.has_indirect_call, 0
	.section	.AMDGPU.csdata,"",@progbits
; Kernel info:
; codeLenInByte = 0
; TotalNumSgprs: 0
; NumVgprs: 0
; ScratchSize: 0
; MemoryBound: 0
; FloatMode: 240
; IeeeMode: 1
; LDSByteSize: 0 bytes/workgroup (compile time only)
; SGPRBlocks: 0
; VGPRBlocks: 0
; NumSGPRsForWavesPerEU: 1
; NumVGPRsForWavesPerEU: 1
; Occupancy: 16
; WaveLimiterHint : 0
; COMPUTE_PGM_RSRC2:SCRATCH_EN: 0
; COMPUTE_PGM_RSRC2:USER_SGPR: 6
; COMPUTE_PGM_RSRC2:TRAP_HANDLER: 0
; COMPUTE_PGM_RSRC2:TGID_X_EN: 1
; COMPUTE_PGM_RSRC2:TGID_Y_EN: 0
; COMPUTE_PGM_RSRC2:TGID_Z_EN: 0
; COMPUTE_PGM_RSRC2:TIDIG_COMP_CNT: 0
	.section	.text._ZN7rocprim17ROCPRIM_400000_NS6detail17trampoline_kernelINS0_14default_configENS1_37merge_sort_block_sort_config_selectorItNS0_10empty_typeEEEZNS1_21merge_sort_block_sortIS3_N6thrust23THRUST_200600_302600_NS6detail15normal_iteratorINS9_10device_ptrItEEEESE_PS5_SF_11less_div_10ItEEE10hipError_tT0_T1_T2_T3_mRjT4_P12ihipStream_tbNS1_7vsmem_tEEUlT_E_NS1_11comp_targetILNS1_3genE2ELNS1_11target_archE906ELNS1_3gpuE6ELNS1_3repE0EEENS1_30default_config_static_selectorELNS0_4arch9wavefront6targetE0EEEvSK_,"axG",@progbits,_ZN7rocprim17ROCPRIM_400000_NS6detail17trampoline_kernelINS0_14default_configENS1_37merge_sort_block_sort_config_selectorItNS0_10empty_typeEEEZNS1_21merge_sort_block_sortIS3_N6thrust23THRUST_200600_302600_NS6detail15normal_iteratorINS9_10device_ptrItEEEESE_PS5_SF_11less_div_10ItEEE10hipError_tT0_T1_T2_T3_mRjT4_P12ihipStream_tbNS1_7vsmem_tEEUlT_E_NS1_11comp_targetILNS1_3genE2ELNS1_11target_archE906ELNS1_3gpuE6ELNS1_3repE0EEENS1_30default_config_static_selectorELNS0_4arch9wavefront6targetE0EEEvSK_,comdat
	.protected	_ZN7rocprim17ROCPRIM_400000_NS6detail17trampoline_kernelINS0_14default_configENS1_37merge_sort_block_sort_config_selectorItNS0_10empty_typeEEEZNS1_21merge_sort_block_sortIS3_N6thrust23THRUST_200600_302600_NS6detail15normal_iteratorINS9_10device_ptrItEEEESE_PS5_SF_11less_div_10ItEEE10hipError_tT0_T1_T2_T3_mRjT4_P12ihipStream_tbNS1_7vsmem_tEEUlT_E_NS1_11comp_targetILNS1_3genE2ELNS1_11target_archE906ELNS1_3gpuE6ELNS1_3repE0EEENS1_30default_config_static_selectorELNS0_4arch9wavefront6targetE0EEEvSK_ ; -- Begin function _ZN7rocprim17ROCPRIM_400000_NS6detail17trampoline_kernelINS0_14default_configENS1_37merge_sort_block_sort_config_selectorItNS0_10empty_typeEEEZNS1_21merge_sort_block_sortIS3_N6thrust23THRUST_200600_302600_NS6detail15normal_iteratorINS9_10device_ptrItEEEESE_PS5_SF_11less_div_10ItEEE10hipError_tT0_T1_T2_T3_mRjT4_P12ihipStream_tbNS1_7vsmem_tEEUlT_E_NS1_11comp_targetILNS1_3genE2ELNS1_11target_archE906ELNS1_3gpuE6ELNS1_3repE0EEENS1_30default_config_static_selectorELNS0_4arch9wavefront6targetE0EEEvSK_
	.globl	_ZN7rocprim17ROCPRIM_400000_NS6detail17trampoline_kernelINS0_14default_configENS1_37merge_sort_block_sort_config_selectorItNS0_10empty_typeEEEZNS1_21merge_sort_block_sortIS3_N6thrust23THRUST_200600_302600_NS6detail15normal_iteratorINS9_10device_ptrItEEEESE_PS5_SF_11less_div_10ItEEE10hipError_tT0_T1_T2_T3_mRjT4_P12ihipStream_tbNS1_7vsmem_tEEUlT_E_NS1_11comp_targetILNS1_3genE2ELNS1_11target_archE906ELNS1_3gpuE6ELNS1_3repE0EEENS1_30default_config_static_selectorELNS0_4arch9wavefront6targetE0EEEvSK_
	.p2align	8
	.type	_ZN7rocprim17ROCPRIM_400000_NS6detail17trampoline_kernelINS0_14default_configENS1_37merge_sort_block_sort_config_selectorItNS0_10empty_typeEEEZNS1_21merge_sort_block_sortIS3_N6thrust23THRUST_200600_302600_NS6detail15normal_iteratorINS9_10device_ptrItEEEESE_PS5_SF_11less_div_10ItEEE10hipError_tT0_T1_T2_T3_mRjT4_P12ihipStream_tbNS1_7vsmem_tEEUlT_E_NS1_11comp_targetILNS1_3genE2ELNS1_11target_archE906ELNS1_3gpuE6ELNS1_3repE0EEENS1_30default_config_static_selectorELNS0_4arch9wavefront6targetE0EEEvSK_,@function
_ZN7rocprim17ROCPRIM_400000_NS6detail17trampoline_kernelINS0_14default_configENS1_37merge_sort_block_sort_config_selectorItNS0_10empty_typeEEEZNS1_21merge_sort_block_sortIS3_N6thrust23THRUST_200600_302600_NS6detail15normal_iteratorINS9_10device_ptrItEEEESE_PS5_SF_11less_div_10ItEEE10hipError_tT0_T1_T2_T3_mRjT4_P12ihipStream_tbNS1_7vsmem_tEEUlT_E_NS1_11comp_targetILNS1_3genE2ELNS1_11target_archE906ELNS1_3gpuE6ELNS1_3repE0EEENS1_30default_config_static_selectorELNS0_4arch9wavefront6targetE0EEEvSK_: ; @_ZN7rocprim17ROCPRIM_400000_NS6detail17trampoline_kernelINS0_14default_configENS1_37merge_sort_block_sort_config_selectorItNS0_10empty_typeEEEZNS1_21merge_sort_block_sortIS3_N6thrust23THRUST_200600_302600_NS6detail15normal_iteratorINS9_10device_ptrItEEEESE_PS5_SF_11less_div_10ItEEE10hipError_tT0_T1_T2_T3_mRjT4_P12ihipStream_tbNS1_7vsmem_tEEUlT_E_NS1_11comp_targetILNS1_3genE2ELNS1_11target_archE906ELNS1_3gpuE6ELNS1_3repE0EEENS1_30default_config_static_selectorELNS0_4arch9wavefront6targetE0EEEvSK_
; %bb.0:
	.section	.rodata,"a",@progbits
	.p2align	6, 0x0
	.amdhsa_kernel _ZN7rocprim17ROCPRIM_400000_NS6detail17trampoline_kernelINS0_14default_configENS1_37merge_sort_block_sort_config_selectorItNS0_10empty_typeEEEZNS1_21merge_sort_block_sortIS3_N6thrust23THRUST_200600_302600_NS6detail15normal_iteratorINS9_10device_ptrItEEEESE_PS5_SF_11less_div_10ItEEE10hipError_tT0_T1_T2_T3_mRjT4_P12ihipStream_tbNS1_7vsmem_tEEUlT_E_NS1_11comp_targetILNS1_3genE2ELNS1_11target_archE906ELNS1_3gpuE6ELNS1_3repE0EEENS1_30default_config_static_selectorELNS0_4arch9wavefront6targetE0EEEvSK_
		.amdhsa_group_segment_fixed_size 0
		.amdhsa_private_segment_fixed_size 0
		.amdhsa_kernarg_size 64
		.amdhsa_user_sgpr_count 6
		.amdhsa_user_sgpr_private_segment_buffer 1
		.amdhsa_user_sgpr_dispatch_ptr 0
		.amdhsa_user_sgpr_queue_ptr 0
		.amdhsa_user_sgpr_kernarg_segment_ptr 1
		.amdhsa_user_sgpr_dispatch_id 0
		.amdhsa_user_sgpr_flat_scratch_init 0
		.amdhsa_user_sgpr_private_segment_size 0
		.amdhsa_wavefront_size32 1
		.amdhsa_uses_dynamic_stack 0
		.amdhsa_system_sgpr_private_segment_wavefront_offset 0
		.amdhsa_system_sgpr_workgroup_id_x 1
		.amdhsa_system_sgpr_workgroup_id_y 0
		.amdhsa_system_sgpr_workgroup_id_z 0
		.amdhsa_system_sgpr_workgroup_info 0
		.amdhsa_system_vgpr_workitem_id 0
		.amdhsa_next_free_vgpr 1
		.amdhsa_next_free_sgpr 1
		.amdhsa_reserve_vcc 0
		.amdhsa_reserve_flat_scratch 0
		.amdhsa_float_round_mode_32 0
		.amdhsa_float_round_mode_16_64 0
		.amdhsa_float_denorm_mode_32 3
		.amdhsa_float_denorm_mode_16_64 3
		.amdhsa_dx10_clamp 1
		.amdhsa_ieee_mode 1
		.amdhsa_fp16_overflow 0
		.amdhsa_workgroup_processor_mode 1
		.amdhsa_memory_ordered 1
		.amdhsa_forward_progress 1
		.amdhsa_shared_vgpr_count 0
		.amdhsa_exception_fp_ieee_invalid_op 0
		.amdhsa_exception_fp_denorm_src 0
		.amdhsa_exception_fp_ieee_div_zero 0
		.amdhsa_exception_fp_ieee_overflow 0
		.amdhsa_exception_fp_ieee_underflow 0
		.amdhsa_exception_fp_ieee_inexact 0
		.amdhsa_exception_int_div_zero 0
	.end_amdhsa_kernel
	.section	.text._ZN7rocprim17ROCPRIM_400000_NS6detail17trampoline_kernelINS0_14default_configENS1_37merge_sort_block_sort_config_selectorItNS0_10empty_typeEEEZNS1_21merge_sort_block_sortIS3_N6thrust23THRUST_200600_302600_NS6detail15normal_iteratorINS9_10device_ptrItEEEESE_PS5_SF_11less_div_10ItEEE10hipError_tT0_T1_T2_T3_mRjT4_P12ihipStream_tbNS1_7vsmem_tEEUlT_E_NS1_11comp_targetILNS1_3genE2ELNS1_11target_archE906ELNS1_3gpuE6ELNS1_3repE0EEENS1_30default_config_static_selectorELNS0_4arch9wavefront6targetE0EEEvSK_,"axG",@progbits,_ZN7rocprim17ROCPRIM_400000_NS6detail17trampoline_kernelINS0_14default_configENS1_37merge_sort_block_sort_config_selectorItNS0_10empty_typeEEEZNS1_21merge_sort_block_sortIS3_N6thrust23THRUST_200600_302600_NS6detail15normal_iteratorINS9_10device_ptrItEEEESE_PS5_SF_11less_div_10ItEEE10hipError_tT0_T1_T2_T3_mRjT4_P12ihipStream_tbNS1_7vsmem_tEEUlT_E_NS1_11comp_targetILNS1_3genE2ELNS1_11target_archE906ELNS1_3gpuE6ELNS1_3repE0EEENS1_30default_config_static_selectorELNS0_4arch9wavefront6targetE0EEEvSK_,comdat
.Lfunc_end236:
	.size	_ZN7rocprim17ROCPRIM_400000_NS6detail17trampoline_kernelINS0_14default_configENS1_37merge_sort_block_sort_config_selectorItNS0_10empty_typeEEEZNS1_21merge_sort_block_sortIS3_N6thrust23THRUST_200600_302600_NS6detail15normal_iteratorINS9_10device_ptrItEEEESE_PS5_SF_11less_div_10ItEEE10hipError_tT0_T1_T2_T3_mRjT4_P12ihipStream_tbNS1_7vsmem_tEEUlT_E_NS1_11comp_targetILNS1_3genE2ELNS1_11target_archE906ELNS1_3gpuE6ELNS1_3repE0EEENS1_30default_config_static_selectorELNS0_4arch9wavefront6targetE0EEEvSK_, .Lfunc_end236-_ZN7rocprim17ROCPRIM_400000_NS6detail17trampoline_kernelINS0_14default_configENS1_37merge_sort_block_sort_config_selectorItNS0_10empty_typeEEEZNS1_21merge_sort_block_sortIS3_N6thrust23THRUST_200600_302600_NS6detail15normal_iteratorINS9_10device_ptrItEEEESE_PS5_SF_11less_div_10ItEEE10hipError_tT0_T1_T2_T3_mRjT4_P12ihipStream_tbNS1_7vsmem_tEEUlT_E_NS1_11comp_targetILNS1_3genE2ELNS1_11target_archE906ELNS1_3gpuE6ELNS1_3repE0EEENS1_30default_config_static_selectorELNS0_4arch9wavefront6targetE0EEEvSK_
                                        ; -- End function
	.set _ZN7rocprim17ROCPRIM_400000_NS6detail17trampoline_kernelINS0_14default_configENS1_37merge_sort_block_sort_config_selectorItNS0_10empty_typeEEEZNS1_21merge_sort_block_sortIS3_N6thrust23THRUST_200600_302600_NS6detail15normal_iteratorINS9_10device_ptrItEEEESE_PS5_SF_11less_div_10ItEEE10hipError_tT0_T1_T2_T3_mRjT4_P12ihipStream_tbNS1_7vsmem_tEEUlT_E_NS1_11comp_targetILNS1_3genE2ELNS1_11target_archE906ELNS1_3gpuE6ELNS1_3repE0EEENS1_30default_config_static_selectorELNS0_4arch9wavefront6targetE0EEEvSK_.num_vgpr, 0
	.set _ZN7rocprim17ROCPRIM_400000_NS6detail17trampoline_kernelINS0_14default_configENS1_37merge_sort_block_sort_config_selectorItNS0_10empty_typeEEEZNS1_21merge_sort_block_sortIS3_N6thrust23THRUST_200600_302600_NS6detail15normal_iteratorINS9_10device_ptrItEEEESE_PS5_SF_11less_div_10ItEEE10hipError_tT0_T1_T2_T3_mRjT4_P12ihipStream_tbNS1_7vsmem_tEEUlT_E_NS1_11comp_targetILNS1_3genE2ELNS1_11target_archE906ELNS1_3gpuE6ELNS1_3repE0EEENS1_30default_config_static_selectorELNS0_4arch9wavefront6targetE0EEEvSK_.num_agpr, 0
	.set _ZN7rocprim17ROCPRIM_400000_NS6detail17trampoline_kernelINS0_14default_configENS1_37merge_sort_block_sort_config_selectorItNS0_10empty_typeEEEZNS1_21merge_sort_block_sortIS3_N6thrust23THRUST_200600_302600_NS6detail15normal_iteratorINS9_10device_ptrItEEEESE_PS5_SF_11less_div_10ItEEE10hipError_tT0_T1_T2_T3_mRjT4_P12ihipStream_tbNS1_7vsmem_tEEUlT_E_NS1_11comp_targetILNS1_3genE2ELNS1_11target_archE906ELNS1_3gpuE6ELNS1_3repE0EEENS1_30default_config_static_selectorELNS0_4arch9wavefront6targetE0EEEvSK_.numbered_sgpr, 0
	.set _ZN7rocprim17ROCPRIM_400000_NS6detail17trampoline_kernelINS0_14default_configENS1_37merge_sort_block_sort_config_selectorItNS0_10empty_typeEEEZNS1_21merge_sort_block_sortIS3_N6thrust23THRUST_200600_302600_NS6detail15normal_iteratorINS9_10device_ptrItEEEESE_PS5_SF_11less_div_10ItEEE10hipError_tT0_T1_T2_T3_mRjT4_P12ihipStream_tbNS1_7vsmem_tEEUlT_E_NS1_11comp_targetILNS1_3genE2ELNS1_11target_archE906ELNS1_3gpuE6ELNS1_3repE0EEENS1_30default_config_static_selectorELNS0_4arch9wavefront6targetE0EEEvSK_.num_named_barrier, 0
	.set _ZN7rocprim17ROCPRIM_400000_NS6detail17trampoline_kernelINS0_14default_configENS1_37merge_sort_block_sort_config_selectorItNS0_10empty_typeEEEZNS1_21merge_sort_block_sortIS3_N6thrust23THRUST_200600_302600_NS6detail15normal_iteratorINS9_10device_ptrItEEEESE_PS5_SF_11less_div_10ItEEE10hipError_tT0_T1_T2_T3_mRjT4_P12ihipStream_tbNS1_7vsmem_tEEUlT_E_NS1_11comp_targetILNS1_3genE2ELNS1_11target_archE906ELNS1_3gpuE6ELNS1_3repE0EEENS1_30default_config_static_selectorELNS0_4arch9wavefront6targetE0EEEvSK_.private_seg_size, 0
	.set _ZN7rocprim17ROCPRIM_400000_NS6detail17trampoline_kernelINS0_14default_configENS1_37merge_sort_block_sort_config_selectorItNS0_10empty_typeEEEZNS1_21merge_sort_block_sortIS3_N6thrust23THRUST_200600_302600_NS6detail15normal_iteratorINS9_10device_ptrItEEEESE_PS5_SF_11less_div_10ItEEE10hipError_tT0_T1_T2_T3_mRjT4_P12ihipStream_tbNS1_7vsmem_tEEUlT_E_NS1_11comp_targetILNS1_3genE2ELNS1_11target_archE906ELNS1_3gpuE6ELNS1_3repE0EEENS1_30default_config_static_selectorELNS0_4arch9wavefront6targetE0EEEvSK_.uses_vcc, 0
	.set _ZN7rocprim17ROCPRIM_400000_NS6detail17trampoline_kernelINS0_14default_configENS1_37merge_sort_block_sort_config_selectorItNS0_10empty_typeEEEZNS1_21merge_sort_block_sortIS3_N6thrust23THRUST_200600_302600_NS6detail15normal_iteratorINS9_10device_ptrItEEEESE_PS5_SF_11less_div_10ItEEE10hipError_tT0_T1_T2_T3_mRjT4_P12ihipStream_tbNS1_7vsmem_tEEUlT_E_NS1_11comp_targetILNS1_3genE2ELNS1_11target_archE906ELNS1_3gpuE6ELNS1_3repE0EEENS1_30default_config_static_selectorELNS0_4arch9wavefront6targetE0EEEvSK_.uses_flat_scratch, 0
	.set _ZN7rocprim17ROCPRIM_400000_NS6detail17trampoline_kernelINS0_14default_configENS1_37merge_sort_block_sort_config_selectorItNS0_10empty_typeEEEZNS1_21merge_sort_block_sortIS3_N6thrust23THRUST_200600_302600_NS6detail15normal_iteratorINS9_10device_ptrItEEEESE_PS5_SF_11less_div_10ItEEE10hipError_tT0_T1_T2_T3_mRjT4_P12ihipStream_tbNS1_7vsmem_tEEUlT_E_NS1_11comp_targetILNS1_3genE2ELNS1_11target_archE906ELNS1_3gpuE6ELNS1_3repE0EEENS1_30default_config_static_selectorELNS0_4arch9wavefront6targetE0EEEvSK_.has_dyn_sized_stack, 0
	.set _ZN7rocprim17ROCPRIM_400000_NS6detail17trampoline_kernelINS0_14default_configENS1_37merge_sort_block_sort_config_selectorItNS0_10empty_typeEEEZNS1_21merge_sort_block_sortIS3_N6thrust23THRUST_200600_302600_NS6detail15normal_iteratorINS9_10device_ptrItEEEESE_PS5_SF_11less_div_10ItEEE10hipError_tT0_T1_T2_T3_mRjT4_P12ihipStream_tbNS1_7vsmem_tEEUlT_E_NS1_11comp_targetILNS1_3genE2ELNS1_11target_archE906ELNS1_3gpuE6ELNS1_3repE0EEENS1_30default_config_static_selectorELNS0_4arch9wavefront6targetE0EEEvSK_.has_recursion, 0
	.set _ZN7rocprim17ROCPRIM_400000_NS6detail17trampoline_kernelINS0_14default_configENS1_37merge_sort_block_sort_config_selectorItNS0_10empty_typeEEEZNS1_21merge_sort_block_sortIS3_N6thrust23THRUST_200600_302600_NS6detail15normal_iteratorINS9_10device_ptrItEEEESE_PS5_SF_11less_div_10ItEEE10hipError_tT0_T1_T2_T3_mRjT4_P12ihipStream_tbNS1_7vsmem_tEEUlT_E_NS1_11comp_targetILNS1_3genE2ELNS1_11target_archE906ELNS1_3gpuE6ELNS1_3repE0EEENS1_30default_config_static_selectorELNS0_4arch9wavefront6targetE0EEEvSK_.has_indirect_call, 0
	.section	.AMDGPU.csdata,"",@progbits
; Kernel info:
; codeLenInByte = 0
; TotalNumSgprs: 0
; NumVgprs: 0
; ScratchSize: 0
; MemoryBound: 0
; FloatMode: 240
; IeeeMode: 1
; LDSByteSize: 0 bytes/workgroup (compile time only)
; SGPRBlocks: 0
; VGPRBlocks: 0
; NumSGPRsForWavesPerEU: 1
; NumVGPRsForWavesPerEU: 1
; Occupancy: 16
; WaveLimiterHint : 0
; COMPUTE_PGM_RSRC2:SCRATCH_EN: 0
; COMPUTE_PGM_RSRC2:USER_SGPR: 6
; COMPUTE_PGM_RSRC2:TRAP_HANDLER: 0
; COMPUTE_PGM_RSRC2:TGID_X_EN: 1
; COMPUTE_PGM_RSRC2:TGID_Y_EN: 0
; COMPUTE_PGM_RSRC2:TGID_Z_EN: 0
; COMPUTE_PGM_RSRC2:TIDIG_COMP_CNT: 0
	.section	.text._ZN7rocprim17ROCPRIM_400000_NS6detail17trampoline_kernelINS0_14default_configENS1_37merge_sort_block_sort_config_selectorItNS0_10empty_typeEEEZNS1_21merge_sort_block_sortIS3_N6thrust23THRUST_200600_302600_NS6detail15normal_iteratorINS9_10device_ptrItEEEESE_PS5_SF_11less_div_10ItEEE10hipError_tT0_T1_T2_T3_mRjT4_P12ihipStream_tbNS1_7vsmem_tEEUlT_E_NS1_11comp_targetILNS1_3genE10ELNS1_11target_archE1201ELNS1_3gpuE5ELNS1_3repE0EEENS1_30default_config_static_selectorELNS0_4arch9wavefront6targetE0EEEvSK_,"axG",@progbits,_ZN7rocprim17ROCPRIM_400000_NS6detail17trampoline_kernelINS0_14default_configENS1_37merge_sort_block_sort_config_selectorItNS0_10empty_typeEEEZNS1_21merge_sort_block_sortIS3_N6thrust23THRUST_200600_302600_NS6detail15normal_iteratorINS9_10device_ptrItEEEESE_PS5_SF_11less_div_10ItEEE10hipError_tT0_T1_T2_T3_mRjT4_P12ihipStream_tbNS1_7vsmem_tEEUlT_E_NS1_11comp_targetILNS1_3genE10ELNS1_11target_archE1201ELNS1_3gpuE5ELNS1_3repE0EEENS1_30default_config_static_selectorELNS0_4arch9wavefront6targetE0EEEvSK_,comdat
	.protected	_ZN7rocprim17ROCPRIM_400000_NS6detail17trampoline_kernelINS0_14default_configENS1_37merge_sort_block_sort_config_selectorItNS0_10empty_typeEEEZNS1_21merge_sort_block_sortIS3_N6thrust23THRUST_200600_302600_NS6detail15normal_iteratorINS9_10device_ptrItEEEESE_PS5_SF_11less_div_10ItEEE10hipError_tT0_T1_T2_T3_mRjT4_P12ihipStream_tbNS1_7vsmem_tEEUlT_E_NS1_11comp_targetILNS1_3genE10ELNS1_11target_archE1201ELNS1_3gpuE5ELNS1_3repE0EEENS1_30default_config_static_selectorELNS0_4arch9wavefront6targetE0EEEvSK_ ; -- Begin function _ZN7rocprim17ROCPRIM_400000_NS6detail17trampoline_kernelINS0_14default_configENS1_37merge_sort_block_sort_config_selectorItNS0_10empty_typeEEEZNS1_21merge_sort_block_sortIS3_N6thrust23THRUST_200600_302600_NS6detail15normal_iteratorINS9_10device_ptrItEEEESE_PS5_SF_11less_div_10ItEEE10hipError_tT0_T1_T2_T3_mRjT4_P12ihipStream_tbNS1_7vsmem_tEEUlT_E_NS1_11comp_targetILNS1_3genE10ELNS1_11target_archE1201ELNS1_3gpuE5ELNS1_3repE0EEENS1_30default_config_static_selectorELNS0_4arch9wavefront6targetE0EEEvSK_
	.globl	_ZN7rocprim17ROCPRIM_400000_NS6detail17trampoline_kernelINS0_14default_configENS1_37merge_sort_block_sort_config_selectorItNS0_10empty_typeEEEZNS1_21merge_sort_block_sortIS3_N6thrust23THRUST_200600_302600_NS6detail15normal_iteratorINS9_10device_ptrItEEEESE_PS5_SF_11less_div_10ItEEE10hipError_tT0_T1_T2_T3_mRjT4_P12ihipStream_tbNS1_7vsmem_tEEUlT_E_NS1_11comp_targetILNS1_3genE10ELNS1_11target_archE1201ELNS1_3gpuE5ELNS1_3repE0EEENS1_30default_config_static_selectorELNS0_4arch9wavefront6targetE0EEEvSK_
	.p2align	8
	.type	_ZN7rocprim17ROCPRIM_400000_NS6detail17trampoline_kernelINS0_14default_configENS1_37merge_sort_block_sort_config_selectorItNS0_10empty_typeEEEZNS1_21merge_sort_block_sortIS3_N6thrust23THRUST_200600_302600_NS6detail15normal_iteratorINS9_10device_ptrItEEEESE_PS5_SF_11less_div_10ItEEE10hipError_tT0_T1_T2_T3_mRjT4_P12ihipStream_tbNS1_7vsmem_tEEUlT_E_NS1_11comp_targetILNS1_3genE10ELNS1_11target_archE1201ELNS1_3gpuE5ELNS1_3repE0EEENS1_30default_config_static_selectorELNS0_4arch9wavefront6targetE0EEEvSK_,@function
_ZN7rocprim17ROCPRIM_400000_NS6detail17trampoline_kernelINS0_14default_configENS1_37merge_sort_block_sort_config_selectorItNS0_10empty_typeEEEZNS1_21merge_sort_block_sortIS3_N6thrust23THRUST_200600_302600_NS6detail15normal_iteratorINS9_10device_ptrItEEEESE_PS5_SF_11less_div_10ItEEE10hipError_tT0_T1_T2_T3_mRjT4_P12ihipStream_tbNS1_7vsmem_tEEUlT_E_NS1_11comp_targetILNS1_3genE10ELNS1_11target_archE1201ELNS1_3gpuE5ELNS1_3repE0EEENS1_30default_config_static_selectorELNS0_4arch9wavefront6targetE0EEEvSK_: ; @_ZN7rocprim17ROCPRIM_400000_NS6detail17trampoline_kernelINS0_14default_configENS1_37merge_sort_block_sort_config_selectorItNS0_10empty_typeEEEZNS1_21merge_sort_block_sortIS3_N6thrust23THRUST_200600_302600_NS6detail15normal_iteratorINS9_10device_ptrItEEEESE_PS5_SF_11less_div_10ItEEE10hipError_tT0_T1_T2_T3_mRjT4_P12ihipStream_tbNS1_7vsmem_tEEUlT_E_NS1_11comp_targetILNS1_3genE10ELNS1_11target_archE1201ELNS1_3gpuE5ELNS1_3repE0EEENS1_30default_config_static_selectorELNS0_4arch9wavefront6targetE0EEEvSK_
; %bb.0:
	.section	.rodata,"a",@progbits
	.p2align	6, 0x0
	.amdhsa_kernel _ZN7rocprim17ROCPRIM_400000_NS6detail17trampoline_kernelINS0_14default_configENS1_37merge_sort_block_sort_config_selectorItNS0_10empty_typeEEEZNS1_21merge_sort_block_sortIS3_N6thrust23THRUST_200600_302600_NS6detail15normal_iteratorINS9_10device_ptrItEEEESE_PS5_SF_11less_div_10ItEEE10hipError_tT0_T1_T2_T3_mRjT4_P12ihipStream_tbNS1_7vsmem_tEEUlT_E_NS1_11comp_targetILNS1_3genE10ELNS1_11target_archE1201ELNS1_3gpuE5ELNS1_3repE0EEENS1_30default_config_static_selectorELNS0_4arch9wavefront6targetE0EEEvSK_
		.amdhsa_group_segment_fixed_size 0
		.amdhsa_private_segment_fixed_size 0
		.amdhsa_kernarg_size 64
		.amdhsa_user_sgpr_count 6
		.amdhsa_user_sgpr_private_segment_buffer 1
		.amdhsa_user_sgpr_dispatch_ptr 0
		.amdhsa_user_sgpr_queue_ptr 0
		.amdhsa_user_sgpr_kernarg_segment_ptr 1
		.amdhsa_user_sgpr_dispatch_id 0
		.amdhsa_user_sgpr_flat_scratch_init 0
		.amdhsa_user_sgpr_private_segment_size 0
		.amdhsa_wavefront_size32 1
		.amdhsa_uses_dynamic_stack 0
		.amdhsa_system_sgpr_private_segment_wavefront_offset 0
		.amdhsa_system_sgpr_workgroup_id_x 1
		.amdhsa_system_sgpr_workgroup_id_y 0
		.amdhsa_system_sgpr_workgroup_id_z 0
		.amdhsa_system_sgpr_workgroup_info 0
		.amdhsa_system_vgpr_workitem_id 0
		.amdhsa_next_free_vgpr 1
		.amdhsa_next_free_sgpr 1
		.amdhsa_reserve_vcc 0
		.amdhsa_reserve_flat_scratch 0
		.amdhsa_float_round_mode_32 0
		.amdhsa_float_round_mode_16_64 0
		.amdhsa_float_denorm_mode_32 3
		.amdhsa_float_denorm_mode_16_64 3
		.amdhsa_dx10_clamp 1
		.amdhsa_ieee_mode 1
		.amdhsa_fp16_overflow 0
		.amdhsa_workgroup_processor_mode 1
		.amdhsa_memory_ordered 1
		.amdhsa_forward_progress 1
		.amdhsa_shared_vgpr_count 0
		.amdhsa_exception_fp_ieee_invalid_op 0
		.amdhsa_exception_fp_denorm_src 0
		.amdhsa_exception_fp_ieee_div_zero 0
		.amdhsa_exception_fp_ieee_overflow 0
		.amdhsa_exception_fp_ieee_underflow 0
		.amdhsa_exception_fp_ieee_inexact 0
		.amdhsa_exception_int_div_zero 0
	.end_amdhsa_kernel
	.section	.text._ZN7rocprim17ROCPRIM_400000_NS6detail17trampoline_kernelINS0_14default_configENS1_37merge_sort_block_sort_config_selectorItNS0_10empty_typeEEEZNS1_21merge_sort_block_sortIS3_N6thrust23THRUST_200600_302600_NS6detail15normal_iteratorINS9_10device_ptrItEEEESE_PS5_SF_11less_div_10ItEEE10hipError_tT0_T1_T2_T3_mRjT4_P12ihipStream_tbNS1_7vsmem_tEEUlT_E_NS1_11comp_targetILNS1_3genE10ELNS1_11target_archE1201ELNS1_3gpuE5ELNS1_3repE0EEENS1_30default_config_static_selectorELNS0_4arch9wavefront6targetE0EEEvSK_,"axG",@progbits,_ZN7rocprim17ROCPRIM_400000_NS6detail17trampoline_kernelINS0_14default_configENS1_37merge_sort_block_sort_config_selectorItNS0_10empty_typeEEEZNS1_21merge_sort_block_sortIS3_N6thrust23THRUST_200600_302600_NS6detail15normal_iteratorINS9_10device_ptrItEEEESE_PS5_SF_11less_div_10ItEEE10hipError_tT0_T1_T2_T3_mRjT4_P12ihipStream_tbNS1_7vsmem_tEEUlT_E_NS1_11comp_targetILNS1_3genE10ELNS1_11target_archE1201ELNS1_3gpuE5ELNS1_3repE0EEENS1_30default_config_static_selectorELNS0_4arch9wavefront6targetE0EEEvSK_,comdat
.Lfunc_end237:
	.size	_ZN7rocprim17ROCPRIM_400000_NS6detail17trampoline_kernelINS0_14default_configENS1_37merge_sort_block_sort_config_selectorItNS0_10empty_typeEEEZNS1_21merge_sort_block_sortIS3_N6thrust23THRUST_200600_302600_NS6detail15normal_iteratorINS9_10device_ptrItEEEESE_PS5_SF_11less_div_10ItEEE10hipError_tT0_T1_T2_T3_mRjT4_P12ihipStream_tbNS1_7vsmem_tEEUlT_E_NS1_11comp_targetILNS1_3genE10ELNS1_11target_archE1201ELNS1_3gpuE5ELNS1_3repE0EEENS1_30default_config_static_selectorELNS0_4arch9wavefront6targetE0EEEvSK_, .Lfunc_end237-_ZN7rocprim17ROCPRIM_400000_NS6detail17trampoline_kernelINS0_14default_configENS1_37merge_sort_block_sort_config_selectorItNS0_10empty_typeEEEZNS1_21merge_sort_block_sortIS3_N6thrust23THRUST_200600_302600_NS6detail15normal_iteratorINS9_10device_ptrItEEEESE_PS5_SF_11less_div_10ItEEE10hipError_tT0_T1_T2_T3_mRjT4_P12ihipStream_tbNS1_7vsmem_tEEUlT_E_NS1_11comp_targetILNS1_3genE10ELNS1_11target_archE1201ELNS1_3gpuE5ELNS1_3repE0EEENS1_30default_config_static_selectorELNS0_4arch9wavefront6targetE0EEEvSK_
                                        ; -- End function
	.set _ZN7rocprim17ROCPRIM_400000_NS6detail17trampoline_kernelINS0_14default_configENS1_37merge_sort_block_sort_config_selectorItNS0_10empty_typeEEEZNS1_21merge_sort_block_sortIS3_N6thrust23THRUST_200600_302600_NS6detail15normal_iteratorINS9_10device_ptrItEEEESE_PS5_SF_11less_div_10ItEEE10hipError_tT0_T1_T2_T3_mRjT4_P12ihipStream_tbNS1_7vsmem_tEEUlT_E_NS1_11comp_targetILNS1_3genE10ELNS1_11target_archE1201ELNS1_3gpuE5ELNS1_3repE0EEENS1_30default_config_static_selectorELNS0_4arch9wavefront6targetE0EEEvSK_.num_vgpr, 0
	.set _ZN7rocprim17ROCPRIM_400000_NS6detail17trampoline_kernelINS0_14default_configENS1_37merge_sort_block_sort_config_selectorItNS0_10empty_typeEEEZNS1_21merge_sort_block_sortIS3_N6thrust23THRUST_200600_302600_NS6detail15normal_iteratorINS9_10device_ptrItEEEESE_PS5_SF_11less_div_10ItEEE10hipError_tT0_T1_T2_T3_mRjT4_P12ihipStream_tbNS1_7vsmem_tEEUlT_E_NS1_11comp_targetILNS1_3genE10ELNS1_11target_archE1201ELNS1_3gpuE5ELNS1_3repE0EEENS1_30default_config_static_selectorELNS0_4arch9wavefront6targetE0EEEvSK_.num_agpr, 0
	.set _ZN7rocprim17ROCPRIM_400000_NS6detail17trampoline_kernelINS0_14default_configENS1_37merge_sort_block_sort_config_selectorItNS0_10empty_typeEEEZNS1_21merge_sort_block_sortIS3_N6thrust23THRUST_200600_302600_NS6detail15normal_iteratorINS9_10device_ptrItEEEESE_PS5_SF_11less_div_10ItEEE10hipError_tT0_T1_T2_T3_mRjT4_P12ihipStream_tbNS1_7vsmem_tEEUlT_E_NS1_11comp_targetILNS1_3genE10ELNS1_11target_archE1201ELNS1_3gpuE5ELNS1_3repE0EEENS1_30default_config_static_selectorELNS0_4arch9wavefront6targetE0EEEvSK_.numbered_sgpr, 0
	.set _ZN7rocprim17ROCPRIM_400000_NS6detail17trampoline_kernelINS0_14default_configENS1_37merge_sort_block_sort_config_selectorItNS0_10empty_typeEEEZNS1_21merge_sort_block_sortIS3_N6thrust23THRUST_200600_302600_NS6detail15normal_iteratorINS9_10device_ptrItEEEESE_PS5_SF_11less_div_10ItEEE10hipError_tT0_T1_T2_T3_mRjT4_P12ihipStream_tbNS1_7vsmem_tEEUlT_E_NS1_11comp_targetILNS1_3genE10ELNS1_11target_archE1201ELNS1_3gpuE5ELNS1_3repE0EEENS1_30default_config_static_selectorELNS0_4arch9wavefront6targetE0EEEvSK_.num_named_barrier, 0
	.set _ZN7rocprim17ROCPRIM_400000_NS6detail17trampoline_kernelINS0_14default_configENS1_37merge_sort_block_sort_config_selectorItNS0_10empty_typeEEEZNS1_21merge_sort_block_sortIS3_N6thrust23THRUST_200600_302600_NS6detail15normal_iteratorINS9_10device_ptrItEEEESE_PS5_SF_11less_div_10ItEEE10hipError_tT0_T1_T2_T3_mRjT4_P12ihipStream_tbNS1_7vsmem_tEEUlT_E_NS1_11comp_targetILNS1_3genE10ELNS1_11target_archE1201ELNS1_3gpuE5ELNS1_3repE0EEENS1_30default_config_static_selectorELNS0_4arch9wavefront6targetE0EEEvSK_.private_seg_size, 0
	.set _ZN7rocprim17ROCPRIM_400000_NS6detail17trampoline_kernelINS0_14default_configENS1_37merge_sort_block_sort_config_selectorItNS0_10empty_typeEEEZNS1_21merge_sort_block_sortIS3_N6thrust23THRUST_200600_302600_NS6detail15normal_iteratorINS9_10device_ptrItEEEESE_PS5_SF_11less_div_10ItEEE10hipError_tT0_T1_T2_T3_mRjT4_P12ihipStream_tbNS1_7vsmem_tEEUlT_E_NS1_11comp_targetILNS1_3genE10ELNS1_11target_archE1201ELNS1_3gpuE5ELNS1_3repE0EEENS1_30default_config_static_selectorELNS0_4arch9wavefront6targetE0EEEvSK_.uses_vcc, 0
	.set _ZN7rocprim17ROCPRIM_400000_NS6detail17trampoline_kernelINS0_14default_configENS1_37merge_sort_block_sort_config_selectorItNS0_10empty_typeEEEZNS1_21merge_sort_block_sortIS3_N6thrust23THRUST_200600_302600_NS6detail15normal_iteratorINS9_10device_ptrItEEEESE_PS5_SF_11less_div_10ItEEE10hipError_tT0_T1_T2_T3_mRjT4_P12ihipStream_tbNS1_7vsmem_tEEUlT_E_NS1_11comp_targetILNS1_3genE10ELNS1_11target_archE1201ELNS1_3gpuE5ELNS1_3repE0EEENS1_30default_config_static_selectorELNS0_4arch9wavefront6targetE0EEEvSK_.uses_flat_scratch, 0
	.set _ZN7rocprim17ROCPRIM_400000_NS6detail17trampoline_kernelINS0_14default_configENS1_37merge_sort_block_sort_config_selectorItNS0_10empty_typeEEEZNS1_21merge_sort_block_sortIS3_N6thrust23THRUST_200600_302600_NS6detail15normal_iteratorINS9_10device_ptrItEEEESE_PS5_SF_11less_div_10ItEEE10hipError_tT0_T1_T2_T3_mRjT4_P12ihipStream_tbNS1_7vsmem_tEEUlT_E_NS1_11comp_targetILNS1_3genE10ELNS1_11target_archE1201ELNS1_3gpuE5ELNS1_3repE0EEENS1_30default_config_static_selectorELNS0_4arch9wavefront6targetE0EEEvSK_.has_dyn_sized_stack, 0
	.set _ZN7rocprim17ROCPRIM_400000_NS6detail17trampoline_kernelINS0_14default_configENS1_37merge_sort_block_sort_config_selectorItNS0_10empty_typeEEEZNS1_21merge_sort_block_sortIS3_N6thrust23THRUST_200600_302600_NS6detail15normal_iteratorINS9_10device_ptrItEEEESE_PS5_SF_11less_div_10ItEEE10hipError_tT0_T1_T2_T3_mRjT4_P12ihipStream_tbNS1_7vsmem_tEEUlT_E_NS1_11comp_targetILNS1_3genE10ELNS1_11target_archE1201ELNS1_3gpuE5ELNS1_3repE0EEENS1_30default_config_static_selectorELNS0_4arch9wavefront6targetE0EEEvSK_.has_recursion, 0
	.set _ZN7rocprim17ROCPRIM_400000_NS6detail17trampoline_kernelINS0_14default_configENS1_37merge_sort_block_sort_config_selectorItNS0_10empty_typeEEEZNS1_21merge_sort_block_sortIS3_N6thrust23THRUST_200600_302600_NS6detail15normal_iteratorINS9_10device_ptrItEEEESE_PS5_SF_11less_div_10ItEEE10hipError_tT0_T1_T2_T3_mRjT4_P12ihipStream_tbNS1_7vsmem_tEEUlT_E_NS1_11comp_targetILNS1_3genE10ELNS1_11target_archE1201ELNS1_3gpuE5ELNS1_3repE0EEENS1_30default_config_static_selectorELNS0_4arch9wavefront6targetE0EEEvSK_.has_indirect_call, 0
	.section	.AMDGPU.csdata,"",@progbits
; Kernel info:
; codeLenInByte = 0
; TotalNumSgprs: 0
; NumVgprs: 0
; ScratchSize: 0
; MemoryBound: 0
; FloatMode: 240
; IeeeMode: 1
; LDSByteSize: 0 bytes/workgroup (compile time only)
; SGPRBlocks: 0
; VGPRBlocks: 0
; NumSGPRsForWavesPerEU: 1
; NumVGPRsForWavesPerEU: 1
; Occupancy: 16
; WaveLimiterHint : 0
; COMPUTE_PGM_RSRC2:SCRATCH_EN: 0
; COMPUTE_PGM_RSRC2:USER_SGPR: 6
; COMPUTE_PGM_RSRC2:TRAP_HANDLER: 0
; COMPUTE_PGM_RSRC2:TGID_X_EN: 1
; COMPUTE_PGM_RSRC2:TGID_Y_EN: 0
; COMPUTE_PGM_RSRC2:TGID_Z_EN: 0
; COMPUTE_PGM_RSRC2:TIDIG_COMP_CNT: 0
	.section	.text._ZN7rocprim17ROCPRIM_400000_NS6detail17trampoline_kernelINS0_14default_configENS1_37merge_sort_block_sort_config_selectorItNS0_10empty_typeEEEZNS1_21merge_sort_block_sortIS3_N6thrust23THRUST_200600_302600_NS6detail15normal_iteratorINS9_10device_ptrItEEEESE_PS5_SF_11less_div_10ItEEE10hipError_tT0_T1_T2_T3_mRjT4_P12ihipStream_tbNS1_7vsmem_tEEUlT_E_NS1_11comp_targetILNS1_3genE10ELNS1_11target_archE1200ELNS1_3gpuE4ELNS1_3repE0EEENS1_30default_config_static_selectorELNS0_4arch9wavefront6targetE0EEEvSK_,"axG",@progbits,_ZN7rocprim17ROCPRIM_400000_NS6detail17trampoline_kernelINS0_14default_configENS1_37merge_sort_block_sort_config_selectorItNS0_10empty_typeEEEZNS1_21merge_sort_block_sortIS3_N6thrust23THRUST_200600_302600_NS6detail15normal_iteratorINS9_10device_ptrItEEEESE_PS5_SF_11less_div_10ItEEE10hipError_tT0_T1_T2_T3_mRjT4_P12ihipStream_tbNS1_7vsmem_tEEUlT_E_NS1_11comp_targetILNS1_3genE10ELNS1_11target_archE1200ELNS1_3gpuE4ELNS1_3repE0EEENS1_30default_config_static_selectorELNS0_4arch9wavefront6targetE0EEEvSK_,comdat
	.protected	_ZN7rocprim17ROCPRIM_400000_NS6detail17trampoline_kernelINS0_14default_configENS1_37merge_sort_block_sort_config_selectorItNS0_10empty_typeEEEZNS1_21merge_sort_block_sortIS3_N6thrust23THRUST_200600_302600_NS6detail15normal_iteratorINS9_10device_ptrItEEEESE_PS5_SF_11less_div_10ItEEE10hipError_tT0_T1_T2_T3_mRjT4_P12ihipStream_tbNS1_7vsmem_tEEUlT_E_NS1_11comp_targetILNS1_3genE10ELNS1_11target_archE1200ELNS1_3gpuE4ELNS1_3repE0EEENS1_30default_config_static_selectorELNS0_4arch9wavefront6targetE0EEEvSK_ ; -- Begin function _ZN7rocprim17ROCPRIM_400000_NS6detail17trampoline_kernelINS0_14default_configENS1_37merge_sort_block_sort_config_selectorItNS0_10empty_typeEEEZNS1_21merge_sort_block_sortIS3_N6thrust23THRUST_200600_302600_NS6detail15normal_iteratorINS9_10device_ptrItEEEESE_PS5_SF_11less_div_10ItEEE10hipError_tT0_T1_T2_T3_mRjT4_P12ihipStream_tbNS1_7vsmem_tEEUlT_E_NS1_11comp_targetILNS1_3genE10ELNS1_11target_archE1200ELNS1_3gpuE4ELNS1_3repE0EEENS1_30default_config_static_selectorELNS0_4arch9wavefront6targetE0EEEvSK_
	.globl	_ZN7rocprim17ROCPRIM_400000_NS6detail17trampoline_kernelINS0_14default_configENS1_37merge_sort_block_sort_config_selectorItNS0_10empty_typeEEEZNS1_21merge_sort_block_sortIS3_N6thrust23THRUST_200600_302600_NS6detail15normal_iteratorINS9_10device_ptrItEEEESE_PS5_SF_11less_div_10ItEEE10hipError_tT0_T1_T2_T3_mRjT4_P12ihipStream_tbNS1_7vsmem_tEEUlT_E_NS1_11comp_targetILNS1_3genE10ELNS1_11target_archE1200ELNS1_3gpuE4ELNS1_3repE0EEENS1_30default_config_static_selectorELNS0_4arch9wavefront6targetE0EEEvSK_
	.p2align	8
	.type	_ZN7rocprim17ROCPRIM_400000_NS6detail17trampoline_kernelINS0_14default_configENS1_37merge_sort_block_sort_config_selectorItNS0_10empty_typeEEEZNS1_21merge_sort_block_sortIS3_N6thrust23THRUST_200600_302600_NS6detail15normal_iteratorINS9_10device_ptrItEEEESE_PS5_SF_11less_div_10ItEEE10hipError_tT0_T1_T2_T3_mRjT4_P12ihipStream_tbNS1_7vsmem_tEEUlT_E_NS1_11comp_targetILNS1_3genE10ELNS1_11target_archE1200ELNS1_3gpuE4ELNS1_3repE0EEENS1_30default_config_static_selectorELNS0_4arch9wavefront6targetE0EEEvSK_,@function
_ZN7rocprim17ROCPRIM_400000_NS6detail17trampoline_kernelINS0_14default_configENS1_37merge_sort_block_sort_config_selectorItNS0_10empty_typeEEEZNS1_21merge_sort_block_sortIS3_N6thrust23THRUST_200600_302600_NS6detail15normal_iteratorINS9_10device_ptrItEEEESE_PS5_SF_11less_div_10ItEEE10hipError_tT0_T1_T2_T3_mRjT4_P12ihipStream_tbNS1_7vsmem_tEEUlT_E_NS1_11comp_targetILNS1_3genE10ELNS1_11target_archE1200ELNS1_3gpuE4ELNS1_3repE0EEENS1_30default_config_static_selectorELNS0_4arch9wavefront6targetE0EEEvSK_: ; @_ZN7rocprim17ROCPRIM_400000_NS6detail17trampoline_kernelINS0_14default_configENS1_37merge_sort_block_sort_config_selectorItNS0_10empty_typeEEEZNS1_21merge_sort_block_sortIS3_N6thrust23THRUST_200600_302600_NS6detail15normal_iteratorINS9_10device_ptrItEEEESE_PS5_SF_11less_div_10ItEEE10hipError_tT0_T1_T2_T3_mRjT4_P12ihipStream_tbNS1_7vsmem_tEEUlT_E_NS1_11comp_targetILNS1_3genE10ELNS1_11target_archE1200ELNS1_3gpuE4ELNS1_3repE0EEENS1_30default_config_static_selectorELNS0_4arch9wavefront6targetE0EEEvSK_
; %bb.0:
	.section	.rodata,"a",@progbits
	.p2align	6, 0x0
	.amdhsa_kernel _ZN7rocprim17ROCPRIM_400000_NS6detail17trampoline_kernelINS0_14default_configENS1_37merge_sort_block_sort_config_selectorItNS0_10empty_typeEEEZNS1_21merge_sort_block_sortIS3_N6thrust23THRUST_200600_302600_NS6detail15normal_iteratorINS9_10device_ptrItEEEESE_PS5_SF_11less_div_10ItEEE10hipError_tT0_T1_T2_T3_mRjT4_P12ihipStream_tbNS1_7vsmem_tEEUlT_E_NS1_11comp_targetILNS1_3genE10ELNS1_11target_archE1200ELNS1_3gpuE4ELNS1_3repE0EEENS1_30default_config_static_selectorELNS0_4arch9wavefront6targetE0EEEvSK_
		.amdhsa_group_segment_fixed_size 0
		.amdhsa_private_segment_fixed_size 0
		.amdhsa_kernarg_size 64
		.amdhsa_user_sgpr_count 6
		.amdhsa_user_sgpr_private_segment_buffer 1
		.amdhsa_user_sgpr_dispatch_ptr 0
		.amdhsa_user_sgpr_queue_ptr 0
		.amdhsa_user_sgpr_kernarg_segment_ptr 1
		.amdhsa_user_sgpr_dispatch_id 0
		.amdhsa_user_sgpr_flat_scratch_init 0
		.amdhsa_user_sgpr_private_segment_size 0
		.amdhsa_wavefront_size32 1
		.amdhsa_uses_dynamic_stack 0
		.amdhsa_system_sgpr_private_segment_wavefront_offset 0
		.amdhsa_system_sgpr_workgroup_id_x 1
		.amdhsa_system_sgpr_workgroup_id_y 0
		.amdhsa_system_sgpr_workgroup_id_z 0
		.amdhsa_system_sgpr_workgroup_info 0
		.amdhsa_system_vgpr_workitem_id 0
		.amdhsa_next_free_vgpr 1
		.amdhsa_next_free_sgpr 1
		.amdhsa_reserve_vcc 0
		.amdhsa_reserve_flat_scratch 0
		.amdhsa_float_round_mode_32 0
		.amdhsa_float_round_mode_16_64 0
		.amdhsa_float_denorm_mode_32 3
		.amdhsa_float_denorm_mode_16_64 3
		.amdhsa_dx10_clamp 1
		.amdhsa_ieee_mode 1
		.amdhsa_fp16_overflow 0
		.amdhsa_workgroup_processor_mode 1
		.amdhsa_memory_ordered 1
		.amdhsa_forward_progress 1
		.amdhsa_shared_vgpr_count 0
		.amdhsa_exception_fp_ieee_invalid_op 0
		.amdhsa_exception_fp_denorm_src 0
		.amdhsa_exception_fp_ieee_div_zero 0
		.amdhsa_exception_fp_ieee_overflow 0
		.amdhsa_exception_fp_ieee_underflow 0
		.amdhsa_exception_fp_ieee_inexact 0
		.amdhsa_exception_int_div_zero 0
	.end_amdhsa_kernel
	.section	.text._ZN7rocprim17ROCPRIM_400000_NS6detail17trampoline_kernelINS0_14default_configENS1_37merge_sort_block_sort_config_selectorItNS0_10empty_typeEEEZNS1_21merge_sort_block_sortIS3_N6thrust23THRUST_200600_302600_NS6detail15normal_iteratorINS9_10device_ptrItEEEESE_PS5_SF_11less_div_10ItEEE10hipError_tT0_T1_T2_T3_mRjT4_P12ihipStream_tbNS1_7vsmem_tEEUlT_E_NS1_11comp_targetILNS1_3genE10ELNS1_11target_archE1200ELNS1_3gpuE4ELNS1_3repE0EEENS1_30default_config_static_selectorELNS0_4arch9wavefront6targetE0EEEvSK_,"axG",@progbits,_ZN7rocprim17ROCPRIM_400000_NS6detail17trampoline_kernelINS0_14default_configENS1_37merge_sort_block_sort_config_selectorItNS0_10empty_typeEEEZNS1_21merge_sort_block_sortIS3_N6thrust23THRUST_200600_302600_NS6detail15normal_iteratorINS9_10device_ptrItEEEESE_PS5_SF_11less_div_10ItEEE10hipError_tT0_T1_T2_T3_mRjT4_P12ihipStream_tbNS1_7vsmem_tEEUlT_E_NS1_11comp_targetILNS1_3genE10ELNS1_11target_archE1200ELNS1_3gpuE4ELNS1_3repE0EEENS1_30default_config_static_selectorELNS0_4arch9wavefront6targetE0EEEvSK_,comdat
.Lfunc_end238:
	.size	_ZN7rocprim17ROCPRIM_400000_NS6detail17trampoline_kernelINS0_14default_configENS1_37merge_sort_block_sort_config_selectorItNS0_10empty_typeEEEZNS1_21merge_sort_block_sortIS3_N6thrust23THRUST_200600_302600_NS6detail15normal_iteratorINS9_10device_ptrItEEEESE_PS5_SF_11less_div_10ItEEE10hipError_tT0_T1_T2_T3_mRjT4_P12ihipStream_tbNS1_7vsmem_tEEUlT_E_NS1_11comp_targetILNS1_3genE10ELNS1_11target_archE1200ELNS1_3gpuE4ELNS1_3repE0EEENS1_30default_config_static_selectorELNS0_4arch9wavefront6targetE0EEEvSK_, .Lfunc_end238-_ZN7rocprim17ROCPRIM_400000_NS6detail17trampoline_kernelINS0_14default_configENS1_37merge_sort_block_sort_config_selectorItNS0_10empty_typeEEEZNS1_21merge_sort_block_sortIS3_N6thrust23THRUST_200600_302600_NS6detail15normal_iteratorINS9_10device_ptrItEEEESE_PS5_SF_11less_div_10ItEEE10hipError_tT0_T1_T2_T3_mRjT4_P12ihipStream_tbNS1_7vsmem_tEEUlT_E_NS1_11comp_targetILNS1_3genE10ELNS1_11target_archE1200ELNS1_3gpuE4ELNS1_3repE0EEENS1_30default_config_static_selectorELNS0_4arch9wavefront6targetE0EEEvSK_
                                        ; -- End function
	.set _ZN7rocprim17ROCPRIM_400000_NS6detail17trampoline_kernelINS0_14default_configENS1_37merge_sort_block_sort_config_selectorItNS0_10empty_typeEEEZNS1_21merge_sort_block_sortIS3_N6thrust23THRUST_200600_302600_NS6detail15normal_iteratorINS9_10device_ptrItEEEESE_PS5_SF_11less_div_10ItEEE10hipError_tT0_T1_T2_T3_mRjT4_P12ihipStream_tbNS1_7vsmem_tEEUlT_E_NS1_11comp_targetILNS1_3genE10ELNS1_11target_archE1200ELNS1_3gpuE4ELNS1_3repE0EEENS1_30default_config_static_selectorELNS0_4arch9wavefront6targetE0EEEvSK_.num_vgpr, 0
	.set _ZN7rocprim17ROCPRIM_400000_NS6detail17trampoline_kernelINS0_14default_configENS1_37merge_sort_block_sort_config_selectorItNS0_10empty_typeEEEZNS1_21merge_sort_block_sortIS3_N6thrust23THRUST_200600_302600_NS6detail15normal_iteratorINS9_10device_ptrItEEEESE_PS5_SF_11less_div_10ItEEE10hipError_tT0_T1_T2_T3_mRjT4_P12ihipStream_tbNS1_7vsmem_tEEUlT_E_NS1_11comp_targetILNS1_3genE10ELNS1_11target_archE1200ELNS1_3gpuE4ELNS1_3repE0EEENS1_30default_config_static_selectorELNS0_4arch9wavefront6targetE0EEEvSK_.num_agpr, 0
	.set _ZN7rocprim17ROCPRIM_400000_NS6detail17trampoline_kernelINS0_14default_configENS1_37merge_sort_block_sort_config_selectorItNS0_10empty_typeEEEZNS1_21merge_sort_block_sortIS3_N6thrust23THRUST_200600_302600_NS6detail15normal_iteratorINS9_10device_ptrItEEEESE_PS5_SF_11less_div_10ItEEE10hipError_tT0_T1_T2_T3_mRjT4_P12ihipStream_tbNS1_7vsmem_tEEUlT_E_NS1_11comp_targetILNS1_3genE10ELNS1_11target_archE1200ELNS1_3gpuE4ELNS1_3repE0EEENS1_30default_config_static_selectorELNS0_4arch9wavefront6targetE0EEEvSK_.numbered_sgpr, 0
	.set _ZN7rocprim17ROCPRIM_400000_NS6detail17trampoline_kernelINS0_14default_configENS1_37merge_sort_block_sort_config_selectorItNS0_10empty_typeEEEZNS1_21merge_sort_block_sortIS3_N6thrust23THRUST_200600_302600_NS6detail15normal_iteratorINS9_10device_ptrItEEEESE_PS5_SF_11less_div_10ItEEE10hipError_tT0_T1_T2_T3_mRjT4_P12ihipStream_tbNS1_7vsmem_tEEUlT_E_NS1_11comp_targetILNS1_3genE10ELNS1_11target_archE1200ELNS1_3gpuE4ELNS1_3repE0EEENS1_30default_config_static_selectorELNS0_4arch9wavefront6targetE0EEEvSK_.num_named_barrier, 0
	.set _ZN7rocprim17ROCPRIM_400000_NS6detail17trampoline_kernelINS0_14default_configENS1_37merge_sort_block_sort_config_selectorItNS0_10empty_typeEEEZNS1_21merge_sort_block_sortIS3_N6thrust23THRUST_200600_302600_NS6detail15normal_iteratorINS9_10device_ptrItEEEESE_PS5_SF_11less_div_10ItEEE10hipError_tT0_T1_T2_T3_mRjT4_P12ihipStream_tbNS1_7vsmem_tEEUlT_E_NS1_11comp_targetILNS1_3genE10ELNS1_11target_archE1200ELNS1_3gpuE4ELNS1_3repE0EEENS1_30default_config_static_selectorELNS0_4arch9wavefront6targetE0EEEvSK_.private_seg_size, 0
	.set _ZN7rocprim17ROCPRIM_400000_NS6detail17trampoline_kernelINS0_14default_configENS1_37merge_sort_block_sort_config_selectorItNS0_10empty_typeEEEZNS1_21merge_sort_block_sortIS3_N6thrust23THRUST_200600_302600_NS6detail15normal_iteratorINS9_10device_ptrItEEEESE_PS5_SF_11less_div_10ItEEE10hipError_tT0_T1_T2_T3_mRjT4_P12ihipStream_tbNS1_7vsmem_tEEUlT_E_NS1_11comp_targetILNS1_3genE10ELNS1_11target_archE1200ELNS1_3gpuE4ELNS1_3repE0EEENS1_30default_config_static_selectorELNS0_4arch9wavefront6targetE0EEEvSK_.uses_vcc, 0
	.set _ZN7rocprim17ROCPRIM_400000_NS6detail17trampoline_kernelINS0_14default_configENS1_37merge_sort_block_sort_config_selectorItNS0_10empty_typeEEEZNS1_21merge_sort_block_sortIS3_N6thrust23THRUST_200600_302600_NS6detail15normal_iteratorINS9_10device_ptrItEEEESE_PS5_SF_11less_div_10ItEEE10hipError_tT0_T1_T2_T3_mRjT4_P12ihipStream_tbNS1_7vsmem_tEEUlT_E_NS1_11comp_targetILNS1_3genE10ELNS1_11target_archE1200ELNS1_3gpuE4ELNS1_3repE0EEENS1_30default_config_static_selectorELNS0_4arch9wavefront6targetE0EEEvSK_.uses_flat_scratch, 0
	.set _ZN7rocprim17ROCPRIM_400000_NS6detail17trampoline_kernelINS0_14default_configENS1_37merge_sort_block_sort_config_selectorItNS0_10empty_typeEEEZNS1_21merge_sort_block_sortIS3_N6thrust23THRUST_200600_302600_NS6detail15normal_iteratorINS9_10device_ptrItEEEESE_PS5_SF_11less_div_10ItEEE10hipError_tT0_T1_T2_T3_mRjT4_P12ihipStream_tbNS1_7vsmem_tEEUlT_E_NS1_11comp_targetILNS1_3genE10ELNS1_11target_archE1200ELNS1_3gpuE4ELNS1_3repE0EEENS1_30default_config_static_selectorELNS0_4arch9wavefront6targetE0EEEvSK_.has_dyn_sized_stack, 0
	.set _ZN7rocprim17ROCPRIM_400000_NS6detail17trampoline_kernelINS0_14default_configENS1_37merge_sort_block_sort_config_selectorItNS0_10empty_typeEEEZNS1_21merge_sort_block_sortIS3_N6thrust23THRUST_200600_302600_NS6detail15normal_iteratorINS9_10device_ptrItEEEESE_PS5_SF_11less_div_10ItEEE10hipError_tT0_T1_T2_T3_mRjT4_P12ihipStream_tbNS1_7vsmem_tEEUlT_E_NS1_11comp_targetILNS1_3genE10ELNS1_11target_archE1200ELNS1_3gpuE4ELNS1_3repE0EEENS1_30default_config_static_selectorELNS0_4arch9wavefront6targetE0EEEvSK_.has_recursion, 0
	.set _ZN7rocprim17ROCPRIM_400000_NS6detail17trampoline_kernelINS0_14default_configENS1_37merge_sort_block_sort_config_selectorItNS0_10empty_typeEEEZNS1_21merge_sort_block_sortIS3_N6thrust23THRUST_200600_302600_NS6detail15normal_iteratorINS9_10device_ptrItEEEESE_PS5_SF_11less_div_10ItEEE10hipError_tT0_T1_T2_T3_mRjT4_P12ihipStream_tbNS1_7vsmem_tEEUlT_E_NS1_11comp_targetILNS1_3genE10ELNS1_11target_archE1200ELNS1_3gpuE4ELNS1_3repE0EEENS1_30default_config_static_selectorELNS0_4arch9wavefront6targetE0EEEvSK_.has_indirect_call, 0
	.section	.AMDGPU.csdata,"",@progbits
; Kernel info:
; codeLenInByte = 0
; TotalNumSgprs: 0
; NumVgprs: 0
; ScratchSize: 0
; MemoryBound: 0
; FloatMode: 240
; IeeeMode: 1
; LDSByteSize: 0 bytes/workgroup (compile time only)
; SGPRBlocks: 0
; VGPRBlocks: 0
; NumSGPRsForWavesPerEU: 1
; NumVGPRsForWavesPerEU: 1
; Occupancy: 16
; WaveLimiterHint : 0
; COMPUTE_PGM_RSRC2:SCRATCH_EN: 0
; COMPUTE_PGM_RSRC2:USER_SGPR: 6
; COMPUTE_PGM_RSRC2:TRAP_HANDLER: 0
; COMPUTE_PGM_RSRC2:TGID_X_EN: 1
; COMPUTE_PGM_RSRC2:TGID_Y_EN: 0
; COMPUTE_PGM_RSRC2:TGID_Z_EN: 0
; COMPUTE_PGM_RSRC2:TIDIG_COMP_CNT: 0
	.section	.text._ZN7rocprim17ROCPRIM_400000_NS6detail17trampoline_kernelINS0_14default_configENS1_37merge_sort_block_sort_config_selectorItNS0_10empty_typeEEEZNS1_21merge_sort_block_sortIS3_N6thrust23THRUST_200600_302600_NS6detail15normal_iteratorINS9_10device_ptrItEEEESE_PS5_SF_11less_div_10ItEEE10hipError_tT0_T1_T2_T3_mRjT4_P12ihipStream_tbNS1_7vsmem_tEEUlT_E_NS1_11comp_targetILNS1_3genE9ELNS1_11target_archE1100ELNS1_3gpuE3ELNS1_3repE0EEENS1_30default_config_static_selectorELNS0_4arch9wavefront6targetE0EEEvSK_,"axG",@progbits,_ZN7rocprim17ROCPRIM_400000_NS6detail17trampoline_kernelINS0_14default_configENS1_37merge_sort_block_sort_config_selectorItNS0_10empty_typeEEEZNS1_21merge_sort_block_sortIS3_N6thrust23THRUST_200600_302600_NS6detail15normal_iteratorINS9_10device_ptrItEEEESE_PS5_SF_11less_div_10ItEEE10hipError_tT0_T1_T2_T3_mRjT4_P12ihipStream_tbNS1_7vsmem_tEEUlT_E_NS1_11comp_targetILNS1_3genE9ELNS1_11target_archE1100ELNS1_3gpuE3ELNS1_3repE0EEENS1_30default_config_static_selectorELNS0_4arch9wavefront6targetE0EEEvSK_,comdat
	.protected	_ZN7rocprim17ROCPRIM_400000_NS6detail17trampoline_kernelINS0_14default_configENS1_37merge_sort_block_sort_config_selectorItNS0_10empty_typeEEEZNS1_21merge_sort_block_sortIS3_N6thrust23THRUST_200600_302600_NS6detail15normal_iteratorINS9_10device_ptrItEEEESE_PS5_SF_11less_div_10ItEEE10hipError_tT0_T1_T2_T3_mRjT4_P12ihipStream_tbNS1_7vsmem_tEEUlT_E_NS1_11comp_targetILNS1_3genE9ELNS1_11target_archE1100ELNS1_3gpuE3ELNS1_3repE0EEENS1_30default_config_static_selectorELNS0_4arch9wavefront6targetE0EEEvSK_ ; -- Begin function _ZN7rocprim17ROCPRIM_400000_NS6detail17trampoline_kernelINS0_14default_configENS1_37merge_sort_block_sort_config_selectorItNS0_10empty_typeEEEZNS1_21merge_sort_block_sortIS3_N6thrust23THRUST_200600_302600_NS6detail15normal_iteratorINS9_10device_ptrItEEEESE_PS5_SF_11less_div_10ItEEE10hipError_tT0_T1_T2_T3_mRjT4_P12ihipStream_tbNS1_7vsmem_tEEUlT_E_NS1_11comp_targetILNS1_3genE9ELNS1_11target_archE1100ELNS1_3gpuE3ELNS1_3repE0EEENS1_30default_config_static_selectorELNS0_4arch9wavefront6targetE0EEEvSK_
	.globl	_ZN7rocprim17ROCPRIM_400000_NS6detail17trampoline_kernelINS0_14default_configENS1_37merge_sort_block_sort_config_selectorItNS0_10empty_typeEEEZNS1_21merge_sort_block_sortIS3_N6thrust23THRUST_200600_302600_NS6detail15normal_iteratorINS9_10device_ptrItEEEESE_PS5_SF_11less_div_10ItEEE10hipError_tT0_T1_T2_T3_mRjT4_P12ihipStream_tbNS1_7vsmem_tEEUlT_E_NS1_11comp_targetILNS1_3genE9ELNS1_11target_archE1100ELNS1_3gpuE3ELNS1_3repE0EEENS1_30default_config_static_selectorELNS0_4arch9wavefront6targetE0EEEvSK_
	.p2align	8
	.type	_ZN7rocprim17ROCPRIM_400000_NS6detail17trampoline_kernelINS0_14default_configENS1_37merge_sort_block_sort_config_selectorItNS0_10empty_typeEEEZNS1_21merge_sort_block_sortIS3_N6thrust23THRUST_200600_302600_NS6detail15normal_iteratorINS9_10device_ptrItEEEESE_PS5_SF_11less_div_10ItEEE10hipError_tT0_T1_T2_T3_mRjT4_P12ihipStream_tbNS1_7vsmem_tEEUlT_E_NS1_11comp_targetILNS1_3genE9ELNS1_11target_archE1100ELNS1_3gpuE3ELNS1_3repE0EEENS1_30default_config_static_selectorELNS0_4arch9wavefront6targetE0EEEvSK_,@function
_ZN7rocprim17ROCPRIM_400000_NS6detail17trampoline_kernelINS0_14default_configENS1_37merge_sort_block_sort_config_selectorItNS0_10empty_typeEEEZNS1_21merge_sort_block_sortIS3_N6thrust23THRUST_200600_302600_NS6detail15normal_iteratorINS9_10device_ptrItEEEESE_PS5_SF_11less_div_10ItEEE10hipError_tT0_T1_T2_T3_mRjT4_P12ihipStream_tbNS1_7vsmem_tEEUlT_E_NS1_11comp_targetILNS1_3genE9ELNS1_11target_archE1100ELNS1_3gpuE3ELNS1_3repE0EEENS1_30default_config_static_selectorELNS0_4arch9wavefront6targetE0EEEvSK_: ; @_ZN7rocprim17ROCPRIM_400000_NS6detail17trampoline_kernelINS0_14default_configENS1_37merge_sort_block_sort_config_selectorItNS0_10empty_typeEEEZNS1_21merge_sort_block_sortIS3_N6thrust23THRUST_200600_302600_NS6detail15normal_iteratorINS9_10device_ptrItEEEESE_PS5_SF_11less_div_10ItEEE10hipError_tT0_T1_T2_T3_mRjT4_P12ihipStream_tbNS1_7vsmem_tEEUlT_E_NS1_11comp_targetILNS1_3genE9ELNS1_11target_archE1100ELNS1_3gpuE3ELNS1_3repE0EEENS1_30default_config_static_selectorELNS0_4arch9wavefront6targetE0EEEvSK_
; %bb.0:
	.section	.rodata,"a",@progbits
	.p2align	6, 0x0
	.amdhsa_kernel _ZN7rocprim17ROCPRIM_400000_NS6detail17trampoline_kernelINS0_14default_configENS1_37merge_sort_block_sort_config_selectorItNS0_10empty_typeEEEZNS1_21merge_sort_block_sortIS3_N6thrust23THRUST_200600_302600_NS6detail15normal_iteratorINS9_10device_ptrItEEEESE_PS5_SF_11less_div_10ItEEE10hipError_tT0_T1_T2_T3_mRjT4_P12ihipStream_tbNS1_7vsmem_tEEUlT_E_NS1_11comp_targetILNS1_3genE9ELNS1_11target_archE1100ELNS1_3gpuE3ELNS1_3repE0EEENS1_30default_config_static_selectorELNS0_4arch9wavefront6targetE0EEEvSK_
		.amdhsa_group_segment_fixed_size 0
		.amdhsa_private_segment_fixed_size 0
		.amdhsa_kernarg_size 64
		.amdhsa_user_sgpr_count 6
		.amdhsa_user_sgpr_private_segment_buffer 1
		.amdhsa_user_sgpr_dispatch_ptr 0
		.amdhsa_user_sgpr_queue_ptr 0
		.amdhsa_user_sgpr_kernarg_segment_ptr 1
		.amdhsa_user_sgpr_dispatch_id 0
		.amdhsa_user_sgpr_flat_scratch_init 0
		.amdhsa_user_sgpr_private_segment_size 0
		.amdhsa_wavefront_size32 1
		.amdhsa_uses_dynamic_stack 0
		.amdhsa_system_sgpr_private_segment_wavefront_offset 0
		.amdhsa_system_sgpr_workgroup_id_x 1
		.amdhsa_system_sgpr_workgroup_id_y 0
		.amdhsa_system_sgpr_workgroup_id_z 0
		.amdhsa_system_sgpr_workgroup_info 0
		.amdhsa_system_vgpr_workitem_id 0
		.amdhsa_next_free_vgpr 1
		.amdhsa_next_free_sgpr 1
		.amdhsa_reserve_vcc 0
		.amdhsa_reserve_flat_scratch 0
		.amdhsa_float_round_mode_32 0
		.amdhsa_float_round_mode_16_64 0
		.amdhsa_float_denorm_mode_32 3
		.amdhsa_float_denorm_mode_16_64 3
		.amdhsa_dx10_clamp 1
		.amdhsa_ieee_mode 1
		.amdhsa_fp16_overflow 0
		.amdhsa_workgroup_processor_mode 1
		.amdhsa_memory_ordered 1
		.amdhsa_forward_progress 1
		.amdhsa_shared_vgpr_count 0
		.amdhsa_exception_fp_ieee_invalid_op 0
		.amdhsa_exception_fp_denorm_src 0
		.amdhsa_exception_fp_ieee_div_zero 0
		.amdhsa_exception_fp_ieee_overflow 0
		.amdhsa_exception_fp_ieee_underflow 0
		.amdhsa_exception_fp_ieee_inexact 0
		.amdhsa_exception_int_div_zero 0
	.end_amdhsa_kernel
	.section	.text._ZN7rocprim17ROCPRIM_400000_NS6detail17trampoline_kernelINS0_14default_configENS1_37merge_sort_block_sort_config_selectorItNS0_10empty_typeEEEZNS1_21merge_sort_block_sortIS3_N6thrust23THRUST_200600_302600_NS6detail15normal_iteratorINS9_10device_ptrItEEEESE_PS5_SF_11less_div_10ItEEE10hipError_tT0_T1_T2_T3_mRjT4_P12ihipStream_tbNS1_7vsmem_tEEUlT_E_NS1_11comp_targetILNS1_3genE9ELNS1_11target_archE1100ELNS1_3gpuE3ELNS1_3repE0EEENS1_30default_config_static_selectorELNS0_4arch9wavefront6targetE0EEEvSK_,"axG",@progbits,_ZN7rocprim17ROCPRIM_400000_NS6detail17trampoline_kernelINS0_14default_configENS1_37merge_sort_block_sort_config_selectorItNS0_10empty_typeEEEZNS1_21merge_sort_block_sortIS3_N6thrust23THRUST_200600_302600_NS6detail15normal_iteratorINS9_10device_ptrItEEEESE_PS5_SF_11less_div_10ItEEE10hipError_tT0_T1_T2_T3_mRjT4_P12ihipStream_tbNS1_7vsmem_tEEUlT_E_NS1_11comp_targetILNS1_3genE9ELNS1_11target_archE1100ELNS1_3gpuE3ELNS1_3repE0EEENS1_30default_config_static_selectorELNS0_4arch9wavefront6targetE0EEEvSK_,comdat
.Lfunc_end239:
	.size	_ZN7rocprim17ROCPRIM_400000_NS6detail17trampoline_kernelINS0_14default_configENS1_37merge_sort_block_sort_config_selectorItNS0_10empty_typeEEEZNS1_21merge_sort_block_sortIS3_N6thrust23THRUST_200600_302600_NS6detail15normal_iteratorINS9_10device_ptrItEEEESE_PS5_SF_11less_div_10ItEEE10hipError_tT0_T1_T2_T3_mRjT4_P12ihipStream_tbNS1_7vsmem_tEEUlT_E_NS1_11comp_targetILNS1_3genE9ELNS1_11target_archE1100ELNS1_3gpuE3ELNS1_3repE0EEENS1_30default_config_static_selectorELNS0_4arch9wavefront6targetE0EEEvSK_, .Lfunc_end239-_ZN7rocprim17ROCPRIM_400000_NS6detail17trampoline_kernelINS0_14default_configENS1_37merge_sort_block_sort_config_selectorItNS0_10empty_typeEEEZNS1_21merge_sort_block_sortIS3_N6thrust23THRUST_200600_302600_NS6detail15normal_iteratorINS9_10device_ptrItEEEESE_PS5_SF_11less_div_10ItEEE10hipError_tT0_T1_T2_T3_mRjT4_P12ihipStream_tbNS1_7vsmem_tEEUlT_E_NS1_11comp_targetILNS1_3genE9ELNS1_11target_archE1100ELNS1_3gpuE3ELNS1_3repE0EEENS1_30default_config_static_selectorELNS0_4arch9wavefront6targetE0EEEvSK_
                                        ; -- End function
	.set _ZN7rocprim17ROCPRIM_400000_NS6detail17trampoline_kernelINS0_14default_configENS1_37merge_sort_block_sort_config_selectorItNS0_10empty_typeEEEZNS1_21merge_sort_block_sortIS3_N6thrust23THRUST_200600_302600_NS6detail15normal_iteratorINS9_10device_ptrItEEEESE_PS5_SF_11less_div_10ItEEE10hipError_tT0_T1_T2_T3_mRjT4_P12ihipStream_tbNS1_7vsmem_tEEUlT_E_NS1_11comp_targetILNS1_3genE9ELNS1_11target_archE1100ELNS1_3gpuE3ELNS1_3repE0EEENS1_30default_config_static_selectorELNS0_4arch9wavefront6targetE0EEEvSK_.num_vgpr, 0
	.set _ZN7rocprim17ROCPRIM_400000_NS6detail17trampoline_kernelINS0_14default_configENS1_37merge_sort_block_sort_config_selectorItNS0_10empty_typeEEEZNS1_21merge_sort_block_sortIS3_N6thrust23THRUST_200600_302600_NS6detail15normal_iteratorINS9_10device_ptrItEEEESE_PS5_SF_11less_div_10ItEEE10hipError_tT0_T1_T2_T3_mRjT4_P12ihipStream_tbNS1_7vsmem_tEEUlT_E_NS1_11comp_targetILNS1_3genE9ELNS1_11target_archE1100ELNS1_3gpuE3ELNS1_3repE0EEENS1_30default_config_static_selectorELNS0_4arch9wavefront6targetE0EEEvSK_.num_agpr, 0
	.set _ZN7rocprim17ROCPRIM_400000_NS6detail17trampoline_kernelINS0_14default_configENS1_37merge_sort_block_sort_config_selectorItNS0_10empty_typeEEEZNS1_21merge_sort_block_sortIS3_N6thrust23THRUST_200600_302600_NS6detail15normal_iteratorINS9_10device_ptrItEEEESE_PS5_SF_11less_div_10ItEEE10hipError_tT0_T1_T2_T3_mRjT4_P12ihipStream_tbNS1_7vsmem_tEEUlT_E_NS1_11comp_targetILNS1_3genE9ELNS1_11target_archE1100ELNS1_3gpuE3ELNS1_3repE0EEENS1_30default_config_static_selectorELNS0_4arch9wavefront6targetE0EEEvSK_.numbered_sgpr, 0
	.set _ZN7rocprim17ROCPRIM_400000_NS6detail17trampoline_kernelINS0_14default_configENS1_37merge_sort_block_sort_config_selectorItNS0_10empty_typeEEEZNS1_21merge_sort_block_sortIS3_N6thrust23THRUST_200600_302600_NS6detail15normal_iteratorINS9_10device_ptrItEEEESE_PS5_SF_11less_div_10ItEEE10hipError_tT0_T1_T2_T3_mRjT4_P12ihipStream_tbNS1_7vsmem_tEEUlT_E_NS1_11comp_targetILNS1_3genE9ELNS1_11target_archE1100ELNS1_3gpuE3ELNS1_3repE0EEENS1_30default_config_static_selectorELNS0_4arch9wavefront6targetE0EEEvSK_.num_named_barrier, 0
	.set _ZN7rocprim17ROCPRIM_400000_NS6detail17trampoline_kernelINS0_14default_configENS1_37merge_sort_block_sort_config_selectorItNS0_10empty_typeEEEZNS1_21merge_sort_block_sortIS3_N6thrust23THRUST_200600_302600_NS6detail15normal_iteratorINS9_10device_ptrItEEEESE_PS5_SF_11less_div_10ItEEE10hipError_tT0_T1_T2_T3_mRjT4_P12ihipStream_tbNS1_7vsmem_tEEUlT_E_NS1_11comp_targetILNS1_3genE9ELNS1_11target_archE1100ELNS1_3gpuE3ELNS1_3repE0EEENS1_30default_config_static_selectorELNS0_4arch9wavefront6targetE0EEEvSK_.private_seg_size, 0
	.set _ZN7rocprim17ROCPRIM_400000_NS6detail17trampoline_kernelINS0_14default_configENS1_37merge_sort_block_sort_config_selectorItNS0_10empty_typeEEEZNS1_21merge_sort_block_sortIS3_N6thrust23THRUST_200600_302600_NS6detail15normal_iteratorINS9_10device_ptrItEEEESE_PS5_SF_11less_div_10ItEEE10hipError_tT0_T1_T2_T3_mRjT4_P12ihipStream_tbNS1_7vsmem_tEEUlT_E_NS1_11comp_targetILNS1_3genE9ELNS1_11target_archE1100ELNS1_3gpuE3ELNS1_3repE0EEENS1_30default_config_static_selectorELNS0_4arch9wavefront6targetE0EEEvSK_.uses_vcc, 0
	.set _ZN7rocprim17ROCPRIM_400000_NS6detail17trampoline_kernelINS0_14default_configENS1_37merge_sort_block_sort_config_selectorItNS0_10empty_typeEEEZNS1_21merge_sort_block_sortIS3_N6thrust23THRUST_200600_302600_NS6detail15normal_iteratorINS9_10device_ptrItEEEESE_PS5_SF_11less_div_10ItEEE10hipError_tT0_T1_T2_T3_mRjT4_P12ihipStream_tbNS1_7vsmem_tEEUlT_E_NS1_11comp_targetILNS1_3genE9ELNS1_11target_archE1100ELNS1_3gpuE3ELNS1_3repE0EEENS1_30default_config_static_selectorELNS0_4arch9wavefront6targetE0EEEvSK_.uses_flat_scratch, 0
	.set _ZN7rocprim17ROCPRIM_400000_NS6detail17trampoline_kernelINS0_14default_configENS1_37merge_sort_block_sort_config_selectorItNS0_10empty_typeEEEZNS1_21merge_sort_block_sortIS3_N6thrust23THRUST_200600_302600_NS6detail15normal_iteratorINS9_10device_ptrItEEEESE_PS5_SF_11less_div_10ItEEE10hipError_tT0_T1_T2_T3_mRjT4_P12ihipStream_tbNS1_7vsmem_tEEUlT_E_NS1_11comp_targetILNS1_3genE9ELNS1_11target_archE1100ELNS1_3gpuE3ELNS1_3repE0EEENS1_30default_config_static_selectorELNS0_4arch9wavefront6targetE0EEEvSK_.has_dyn_sized_stack, 0
	.set _ZN7rocprim17ROCPRIM_400000_NS6detail17trampoline_kernelINS0_14default_configENS1_37merge_sort_block_sort_config_selectorItNS0_10empty_typeEEEZNS1_21merge_sort_block_sortIS3_N6thrust23THRUST_200600_302600_NS6detail15normal_iteratorINS9_10device_ptrItEEEESE_PS5_SF_11less_div_10ItEEE10hipError_tT0_T1_T2_T3_mRjT4_P12ihipStream_tbNS1_7vsmem_tEEUlT_E_NS1_11comp_targetILNS1_3genE9ELNS1_11target_archE1100ELNS1_3gpuE3ELNS1_3repE0EEENS1_30default_config_static_selectorELNS0_4arch9wavefront6targetE0EEEvSK_.has_recursion, 0
	.set _ZN7rocprim17ROCPRIM_400000_NS6detail17trampoline_kernelINS0_14default_configENS1_37merge_sort_block_sort_config_selectorItNS0_10empty_typeEEEZNS1_21merge_sort_block_sortIS3_N6thrust23THRUST_200600_302600_NS6detail15normal_iteratorINS9_10device_ptrItEEEESE_PS5_SF_11less_div_10ItEEE10hipError_tT0_T1_T2_T3_mRjT4_P12ihipStream_tbNS1_7vsmem_tEEUlT_E_NS1_11comp_targetILNS1_3genE9ELNS1_11target_archE1100ELNS1_3gpuE3ELNS1_3repE0EEENS1_30default_config_static_selectorELNS0_4arch9wavefront6targetE0EEEvSK_.has_indirect_call, 0
	.section	.AMDGPU.csdata,"",@progbits
; Kernel info:
; codeLenInByte = 0
; TotalNumSgprs: 0
; NumVgprs: 0
; ScratchSize: 0
; MemoryBound: 0
; FloatMode: 240
; IeeeMode: 1
; LDSByteSize: 0 bytes/workgroup (compile time only)
; SGPRBlocks: 0
; VGPRBlocks: 0
; NumSGPRsForWavesPerEU: 1
; NumVGPRsForWavesPerEU: 1
; Occupancy: 16
; WaveLimiterHint : 0
; COMPUTE_PGM_RSRC2:SCRATCH_EN: 0
; COMPUTE_PGM_RSRC2:USER_SGPR: 6
; COMPUTE_PGM_RSRC2:TRAP_HANDLER: 0
; COMPUTE_PGM_RSRC2:TGID_X_EN: 1
; COMPUTE_PGM_RSRC2:TGID_Y_EN: 0
; COMPUTE_PGM_RSRC2:TGID_Z_EN: 0
; COMPUTE_PGM_RSRC2:TIDIG_COMP_CNT: 0
	.text
	.p2align	2                               ; -- Begin function _ZN7rocprim17ROCPRIM_400000_NS6detail15block_sort_implItNS0_10empty_typeELj256ELj32ELNS0_4arch9wavefront6targetE0EvE4sortIN6thrust23THRUST_200600_302600_NS6detail15normal_iteratorINSA_10device_ptrItEEEESF_PS3_SG_11less_div_10ItEEEvjbT_T0_T1_T2_T3_RNS7_12storage_typeE
	.type	_ZN7rocprim17ROCPRIM_400000_NS6detail15block_sort_implItNS0_10empty_typeELj256ELj32ELNS0_4arch9wavefront6targetE0EvE4sortIN6thrust23THRUST_200600_302600_NS6detail15normal_iteratorINSA_10device_ptrItEEEESF_PS3_SG_11less_div_10ItEEEvjbT_T0_T1_T2_T3_RNS7_12storage_typeE,@function
_ZN7rocprim17ROCPRIM_400000_NS6detail15block_sort_implItNS0_10empty_typeELj256ELj32ELNS0_4arch9wavefront6targetE0EvE4sortIN6thrust23THRUST_200600_302600_NS6detail15normal_iteratorINSA_10device_ptrItEEEESF_PS3_SG_11less_div_10ItEEEvjbT_T0_T1_T2_T3_RNS7_12storage_typeE: ; @_ZN7rocprim17ROCPRIM_400000_NS6detail15block_sort_implItNS0_10empty_typeELj256ELj32ELNS0_4arch9wavefront6targetE0EvE4sortIN6thrust23THRUST_200600_302600_NS6detail15normal_iteratorINSA_10device_ptrItEEEESF_PS3_SG_11less_div_10ItEEEvjbT_T0_T1_T2_T3_RNS7_12storage_typeE
; %bb.0:
	s_waitcnt vmcnt(0) expcnt(0) lgkmcnt(0)
	s_or_saveexec_b32 s4, -1
	buffer_store_dword v94, off, s[0:3], s32 offset:120 ; 4-byte Folded Spill
	s_mov_b32 exec_lo, s4
	buffer_store_dword v40, off, s[0:3], s32 offset:116 ; 4-byte Folded Spill
	buffer_store_dword v41, off, s[0:3], s32 offset:112 ; 4-byte Folded Spill
	;; [unrolled: 1-line block ×29, first 2 shown]
	buffer_store_dword v93, off, s[0:3], s32 ; 4-byte Folded Spill
	v_writelane_b32 v94, s34, 0
	v_writelane_b32 v94, s35, 1
	;; [unrolled: 1-line block ×12, first 2 shown]
	v_and_b32_e32 v1, 1, v1
	v_and_b32_e32 v6, 0x3ff, v31
	v_bfe_u32 v103, v31, 10, 10
	v_bfe_u32 v112, v31, 20, 10
	s_mov_b32 s36, 0
	v_cmp_ne_u32_e32 vcc_lo, 1, v1
	v_lshlrev_b32_e32 v8, 1, v6
	v_lshrrev_b32_e32 v36, 5, v6
	v_add_nc_u32_e32 v38, 0x100, v6
	v_add_nc_u32_e32 v35, 0x200, v6
	v_add_nc_u32_e32 v1, 0x300, v6
	v_or_b32_e32 v10, 0x400, v6
	v_add_nc_u32_e32 v49, 0x500, v6
	v_add_nc_u32_e32 v11, 0x600, v6
	v_add_nc_u32_e32 v12, 0x700, v6
	v_or_b32_e32 v13, 0x800, v6
	;; [unrolled: 4-line block ×7, first 2 shown]
	v_add_nc_u32_e32 v34, 0x1d00, v6
	v_add_nc_u32_e32 v48, 0x1e00, v6
	;; [unrolled: 1-line block ×3, first 2 shown]
	v_lshlrev_b32_e32 v9, 5, v6
	v_and_b32_e32 v37, 0x3fe, v6
                                        ; implicit-def: $vgpr50
	s_and_saveexec_b32 s4, vcc_lo
	s_xor_b32 s6, exec_lo, s4
	s_cbranch_execz .LBB240_686
; %bb.1:
	v_add_co_u32 v2, vcc_lo, v2, v8
	v_add_co_ci_u32_e64 v3, null, 0, v3, vcc_lo
	v_lshrrev_b32_e32 v1, 5, v1
	v_add_co_u32 v50, vcc_lo, 0x800, v2
	v_add_co_ci_u32_e64 v51, null, 0, v3, vcc_lo
	s_clause 0x7
	flat_load_ushort v7, v[2:3]
	flat_load_ushort v54, v[2:3] offset:512
	flat_load_ushort v55, v[2:3] offset:1024
	flat_load_ushort v64, v[2:3] offset:1536
	flat_load_ushort v65, v[50:51]
	flat_load_ushort v66, v[50:51] offset:512
	flat_load_ushort v67, v[50:51] offset:1024
	flat_load_ushort v68, v[50:51] offset:1536
	v_add_co_u32 v50, vcc_lo, 0x1000, v2
	v_add_co_ci_u32_e64 v51, null, 0, v3, vcc_lo
	v_add_co_u32 v52, vcc_lo, 0x1800, v2
	v_add_co_ci_u32_e64 v53, null, 0, v3, vcc_lo
	s_clause 0x7
	flat_load_ushort v69, v[50:51]
	flat_load_ushort v70, v[50:51] offset:512
	flat_load_ushort v71, v[50:51] offset:1024
	flat_load_ushort v80, v[50:51] offset:1536
	flat_load_ushort v81, v[52:53]
	flat_load_ushort v82, v[52:53] offset:512
	flat_load_ushort v83, v[52:53] offset:1024
	flat_load_ushort v84, v[52:53] offset:1536
	v_add_co_u32 v50, vcc_lo, 0x2000, v2
	v_add_co_ci_u32_e64 v51, null, 0, v3, vcc_lo
	;; [unrolled: 13-line block ×3, first 2 shown]
	v_add_co_u32 v2, vcc_lo, 0x3800, v2
	v_add_co_ci_u32_e64 v3, null, 0, v3, vcc_lo
	s_clause 0x7
	flat_load_ushort v53, v[50:51]
	flat_load_ushort v100, v[50:51] offset:512
	flat_load_ushort v101, v[50:51] offset:1024
	;; [unrolled: 1-line block ×3, first 2 shown]
	flat_load_ushort v51, v[2:3]
	flat_load_ushort v102, v[2:3] offset:512
	flat_load_ushort v113, v[2:3] offset:1024
	;; [unrolled: 1-line block ×3, first 2 shown]
	v_lshrrev_b32_e32 v2, 5, v38
	v_lshrrev_b32_e32 v3, 5, v35
	v_and_b32_e32 v0, 30, v36
	v_lshrrev_b32_e32 v36, 5, v10
	v_lshrrev_b32_e32 v38, 5, v49
	;; [unrolled: 1-line block ×28, first 2 shown]
	v_and_b32_e32 v2, 62, v2
	v_and_b32_e32 v3, 62, v3
	;; [unrolled: 1-line block ×4, first 2 shown]
	v_add_lshl_u32 v35, v37, v9, 1
	v_add_lshl_u32 v0, v0, v6, 1
	v_and_b32_e32 v166, 0x7e, v38
	v_and_b32_e32 v115, 0x7e, v115
	;; [unrolled: 1-line block ×27, first 2 shown]
	v_add_lshl_u32 v36, v2, v6, 1
	v_add_lshl_u32 v37, v3, v6, 1
	;; [unrolled: 1-line block ×31, first 2 shown]
	s_mov_b32 s7, exec_lo
	s_waitcnt vmcnt(31) lgkmcnt(31)
	ds_write_b16 v0, v7
	s_waitcnt vmcnt(30) lgkmcnt(31)
	ds_write_b16 v36, v54 offset:512
	s_waitcnt vmcnt(29) lgkmcnt(31)
	ds_write_b16 v37, v55 offset:1024
	s_waitcnt vmcnt(28) lgkmcnt(31)
	ds_write_b16 v38, v64 offset:1536
	s_waitcnt vmcnt(27) lgkmcnt(31)
	ds_write_b16 v2, v65
	s_waitcnt vmcnt(26) lgkmcnt(31)
	ds_write_b16 v3, v66
	;; [unrolled: 2-line block ×28, first 2 shown]
	s_waitcnt lgkmcnt(0)
	s_waitcnt_vscnt null, 0x0
	s_barrier
	buffer_gl0_inv
	ds_read_u16 v178, v35
	ds_read_u16 v231, v35 offset:2
	ds_read_u16 v228, v35 offset:4
	;; [unrolled: 1-line block ×31, first 2 shown]
	s_waitcnt lgkmcnt(0)
	s_barrier
	buffer_gl0_inv
	s_load_dwordx2 s[4:5], s[8:9], 0x0
	v_mov_b32_e32 v7, 0
	s_waitcnt lgkmcnt(0)
	s_cmp_lt_u32 s13, s5
	s_cselect_b32 s5, 14, 20
	s_add_u32 s10, s8, s5
	s_addc_u32 s11, s9, 0
	s_cmp_lt_u32 s12, s4
	global_load_ushort v39, v7, s[10:11]
	s_cselect_b32 s4, 12, 18
	s_add_u32 s4, s8, s4
	s_addc_u32 s5, s9, 0
	global_load_ushort v48, v7, s[4:5]
	s_waitcnt vmcnt(1)
	v_mad_u32_u24 v39, v112, v39, v103
	s_waitcnt vmcnt(0)
	v_mul_lo_u32 v39, v39, v48
	v_add_lshl_u32 v39, v39, v6, 5
	v_cmpx_gt_u32_e32 0x2000, v39
	s_cbranch_execz .LBB240_3
; %bb.2:
	v_mov_b32_e32 v48, 0xcccd
	v_mul_u32_u24_sdwa v49, v231, v48 dst_sel:DWORD dst_unused:UNUSED_PAD src0_sel:WORD_0 src1_sel:DWORD
	v_mul_u32_u24_sdwa v50, v178, v48 dst_sel:DWORD dst_unused:UNUSED_PAD src0_sel:WORD_0 src1_sel:DWORD
	;; [unrolled: 1-line block ×5, first 2 shown]
	v_lshrrev_b32_e32 v49, 19, v49
	v_lshrrev_b32_e32 v50, 19, v50
	v_mul_u32_u24_sdwa v64, v224, v48 dst_sel:DWORD dst_unused:UNUSED_PAD src0_sel:WORD_0 src1_sel:DWORD
	v_lshrrev_b32_e32 v51, 19, v51
	v_lshrrev_b32_e32 v52, 19, v52
	;; [unrolled: 1-line block ×3, first 2 shown]
	v_cmp_lt_u16_e32 vcc_lo, v49, v50
	v_lshrrev_b32_e32 v64, 19, v64
	v_mul_u32_u24_sdwa v65, v215, v48 dst_sel:DWORD dst_unused:UNUSED_PAD src0_sel:WORD_0 src1_sel:DWORD
	v_mul_u32_u24_sdwa v66, v214, v48 dst_sel:DWORD dst_unused:UNUSED_PAD src0_sel:WORD_0 src1_sel:DWORD
	;; [unrolled: 1-line block ×4, first 2 shown]
	v_cmp_lt_u16_e64 s4, v51, v52
	v_cndmask_b32_e32 v49, v231, v178, vcc_lo
	v_cndmask_b32_e32 v51, v178, v231, vcc_lo
	v_cmp_lt_u16_e32 vcc_lo, v55, v64
	v_lshrrev_b32_e32 v55, 19, v65
	v_lshrrev_b32_e32 v64, 19, v66
	;; [unrolled: 1-line block ×4, first 2 shown]
	v_cndmask_b32_e64 v50, v229, v228, s4
	v_cndmask_b32_e64 v52, v228, v229, s4
	v_cndmask_b32_e32 v67, v226, v224, vcc_lo
	v_cndmask_b32_e32 v68, v224, v226, vcc_lo
	v_cmp_lt_u16_e32 vcc_lo, v55, v64
	v_cmp_lt_u16_e64 s4, v65, v66
	v_mul_u32_u24_sdwa v64, v212, v48 dst_sel:DWORD dst_unused:UNUSED_PAD src0_sel:WORD_0 src1_sel:DWORD
	v_mul_u32_u24_sdwa v65, v211, v48 dst_sel:DWORD dst_unused:UNUSED_PAD src0_sel:WORD_0 src1_sel:DWORD
	v_mul_u32_u24_sdwa v71, v208, v48 dst_sel:DWORD dst_unused:UNUSED_PAD src0_sel:WORD_0 src1_sel:DWORD
	v_mul_u32_u24_sdwa v80, v209, v48 dst_sel:DWORD dst_unused:UNUSED_PAD src0_sel:WORD_0 src1_sel:DWORD
	v_mul_u32_u24_sdwa v81, v210, v48 dst_sel:DWORD dst_unused:UNUSED_PAD src0_sel:WORD_0 src1_sel:DWORD
	v_lshrrev_b32_e32 v64, 19, v64
	v_lshrrev_b32_e32 v65, 19, v65
	v_mul_u32_u24_sdwa v82, v199, v48 dst_sel:DWORD dst_unused:UNUSED_PAD src0_sel:WORD_0 src1_sel:DWORD
	v_cndmask_b32_e32 v55, v215, v214, vcc_lo
	v_cndmask_b32_e32 v66, v214, v215, vcc_lo
	v_cndmask_b32_e64 v69, v225, v213, s4
	v_cmp_lt_u16_e32 vcc_lo, v64, v65
	v_lshrrev_b32_e32 v64, 19, v71
	v_lshrrev_b32_e32 v65, 19, v80
	;; [unrolled: 1-line block ×4, first 2 shown]
	v_cndmask_b32_e64 v70, v213, v225, s4
	v_cndmask_b32_e32 v81, v212, v211, vcc_lo
	v_cndmask_b32_e32 v82, v211, v212, vcc_lo
	v_cmp_lt_u16_e32 vcc_lo, v64, v65
	v_cmp_lt_u16_e64 s4, v71, v80
	v_mul_u32_u24_sdwa v65, v197, v48 dst_sel:DWORD dst_unused:UNUSED_PAD src0_sel:WORD_0 src1_sel:DWORD
	v_mul_u32_u24_sdwa v71, v193, v48 dst_sel:DWORD dst_unused:UNUSED_PAD src0_sel:WORD_0 src1_sel:DWORD
	;; [unrolled: 1-line block ×5, first 2 shown]
	v_lshrrev_b32_e32 v65, 19, v65
	v_lshrrev_b32_e32 v71, 19, v71
	v_mul_u32_u24_sdwa v96, v194, v48 dst_sel:DWORD dst_unused:UNUSED_PAD src0_sel:WORD_0 src1_sel:DWORD
	v_cndmask_b32_e32 v64, v208, v209, vcc_lo
	v_cndmask_b32_e32 v80, v209, v208, vcc_lo
	v_mul_u32_u24_sdwa v53, v240, v48 dst_sel:DWORD dst_unused:UNUSED_PAD src0_sel:WORD_0 src1_sel:DWORD
	v_cmp_lt_u16_e32 vcc_lo, v65, v71
	v_lshrrev_b32_e32 v65, 19, v85
	v_lshrrev_b32_e32 v71, 19, v86
	;; [unrolled: 1-line block ×4, first 2 shown]
	v_mul_u32_u24_sdwa v54, v227, v48 dst_sel:DWORD dst_unused:UNUSED_PAD src0_sel:WORD_0 src1_sel:DWORD
	v_cndmask_b32_e64 v83, v210, v199, s4
	v_cndmask_b32_e64 v84, v199, v210, s4
	v_cndmask_b32_e32 v87, v197, v193, vcc_lo
	v_cndmask_b32_e32 v96, v193, v197, vcc_lo
	v_cmp_lt_u16_e32 vcc_lo, v65, v71
	v_cmp_lt_u16_e64 s4, v85, v86
	v_mul_u32_u24_sdwa v71, v192, v48 dst_sel:DWORD dst_unused:UNUSED_PAD src0_sel:WORD_0 src1_sel:DWORD
	v_mul_u32_u24_sdwa v85, v181, v48 dst_sel:DWORD dst_unused:UNUSED_PAD src0_sel:WORD_0 src1_sel:DWORD
	v_lshrrev_b32_e32 v53, 19, v53
	v_lshrrev_b32_e32 v54, 19, v54
	v_mul_u32_u24_sdwa v99, v182, v48 dst_sel:DWORD dst_unused:UNUSED_PAD src0_sel:WORD_0 src1_sel:DWORD
	v_lshrrev_b32_e32 v71, 19, v71
	v_lshrrev_b32_e32 v85, 19, v85
	v_mul_u32_u24_sdwa v100, v183, v48 dst_sel:DWORD dst_unused:UNUSED_PAD src0_sel:WORD_0 src1_sel:DWORD
	v_mul_u32_u24_sdwa v101, v179, v48 dst_sel:DWORD dst_unused:UNUSED_PAD src0_sel:WORD_0 src1_sel:DWORD
	;; [unrolled: 1-line block ×3, first 2 shown]
	v_cmp_lt_u16_e64 s5, v53, v54
	v_cndmask_b32_e32 v65, v196, v195, vcc_lo
	v_cndmask_b32_e32 v86, v195, v196, vcc_lo
	v_cmp_lt_u16_e32 vcc_lo, v71, v85
	v_lshrrev_b32_e32 v71, 19, v99
	v_lshrrev_b32_e32 v85, 19, v100
	;; [unrolled: 1-line block ×4, first 2 shown]
	v_cndmask_b32_e64 v54, v227, v240, s5
	v_cndmask_b32_e64 v97, v198, v194, s4
	v_cndmask_b32_e64 v98, v194, v198, s4
	v_cndmask_b32_e32 v101, v192, v181, vcc_lo
	v_cndmask_b32_e32 v102, v181, v192, vcc_lo
	v_cmp_lt_u16_e32 vcc_lo, v71, v85
	v_cmp_lt_u16_e64 s4, v99, v100
	v_mul_u32_u24_sdwa v85, v177, v48 dst_sel:DWORD dst_unused:UNUSED_PAD src0_sel:WORD_0 src1_sel:DWORD
	v_mul_u32_u24_sdwa v99, v230, v48 dst_sel:DWORD dst_unused:UNUSED_PAD src0_sel:WORD_0 src1_sel:DWORD
	;; [unrolled: 1-line block ×5, first 2 shown]
	v_lshrrev_b32_e32 v85, 19, v85
	v_lshrrev_b32_e32 v99, 19, v99
	v_mul_u32_u24_sdwa v116, v50, v48 dst_sel:DWORD dst_unused:UNUSED_PAD src0_sel:WORD_0 src1_sel:DWORD
	v_cndmask_b32_e64 v53, v240, v227, s5
	v_cndmask_b32_e32 v71, v183, v182, vcc_lo
	v_cndmask_b32_e32 v100, v182, v183, vcc_lo
	v_cmp_lt_u16_e32 vcc_lo, v85, v99
	v_lshrrev_b32_e32 v85, 19, v113
	v_lshrrev_b32_e32 v99, 19, v114
	;; [unrolled: 1-line block ×4, first 2 shown]
	v_cndmask_b32_e64 v103, v180, v179, s4
	v_cndmask_b32_e64 v112, v179, v180, s4
	v_cndmask_b32_e32 v115, v230, v177, vcc_lo
	v_cndmask_b32_e32 v116, v177, v230, vcc_lo
	v_cmp_lt_u16_e32 vcc_lo, v85, v99
	v_cmp_lt_u16_e64 s4, v113, v114
	v_mul_u32_u24_sdwa v99, v68, v48 dst_sel:DWORD dst_unused:UNUSED_PAD src0_sel:WORD_0 src1_sel:DWORD
	v_mul_u32_u24_sdwa v113, v53, v48 dst_sel:DWORD dst_unused:UNUSED_PAD src0_sel:WORD_0 src1_sel:DWORD
	;; [unrolled: 1-line block ×3, first 2 shown]
	v_cndmask_b32_e32 v85, v52, v49, vcc_lo
	v_cndmask_b32_e32 v49, v49, v52, vcc_lo
	v_cndmask_b32_e64 v52, v54, v50, s4
	v_cndmask_b32_e64 v50, v50, v54, s4
	v_lshrrev_b32_e32 v54, 19, v99
	v_lshrrev_b32_e32 v99, 19, v113
	v_mul_u32_u24_sdwa v113, v66, v48 dst_sel:DWORD dst_unused:UNUSED_PAD src0_sel:WORD_0 src1_sel:DWORD
	v_mul_u32_u24_sdwa v117, v70, v48 dst_sel:DWORD dst_unused:UNUSED_PAD src0_sel:WORD_0 src1_sel:DWORD
	v_mul_u32_u24_sdwa v118, v55, v48 dst_sel:DWORD dst_unused:UNUSED_PAD src0_sel:WORD_0 src1_sel:DWORD
	v_cmp_lt_u16_e32 vcc_lo, v54, v99
	v_lshrrev_b32_e32 v54, 19, v113
	v_lshrrev_b32_e32 v99, 19, v114
	v_lshrrev_b32_e32 v113, 19, v117
	v_lshrrev_b32_e32 v114, 19, v118
	v_cndmask_b32_e32 v117, v68, v53, vcc_lo
	v_cndmask_b32_e32 v53, v53, v68, vcc_lo
	v_cmp_lt_u16_e32 vcc_lo, v54, v99
	v_mul_u32_u24_sdwa v68, v82, v48 dst_sel:DWORD dst_unused:UNUSED_PAD src0_sel:WORD_0 src1_sel:DWORD
	v_cmp_lt_u16_e64 s4, v113, v114
	v_mul_u32_u24_sdwa v99, v69, v48 dst_sel:DWORD dst_unused:UNUSED_PAD src0_sel:WORD_0 src1_sel:DWORD
	v_mul_u32_u24_sdwa v113, v81, v48 dst_sel:DWORD dst_unused:UNUSED_PAD src0_sel:WORD_0 src1_sel:DWORD
	v_cndmask_b32_e32 v54, v66, v67, vcc_lo
	v_cndmask_b32_e32 v66, v67, v66, vcc_lo
	v_cndmask_b32_e64 v67, v70, v55, s4
	v_cndmask_b32_e64 v55, v55, v70, s4
	v_lshrrev_b32_e32 v68, 19, v68
	v_lshrrev_b32_e32 v70, 19, v99
	v_mul_u32_u24_sdwa v99, v80, v48 dst_sel:DWORD dst_unused:UNUSED_PAD src0_sel:WORD_0 src1_sel:DWORD
	v_mul_u32_u24_sdwa v114, v84, v48 dst_sel:DWORD dst_unused:UNUSED_PAD src0_sel:WORD_0 src1_sel:DWORD
	v_mul_u32_u24_sdwa v118, v64, v48 dst_sel:DWORD dst_unused:UNUSED_PAD src0_sel:WORD_0 src1_sel:DWORD
	v_cmp_lt_u16_e32 vcc_lo, v68, v70
	v_lshrrev_b32_e32 v68, 19, v99
	v_lshrrev_b32_e32 v70, 19, v113
	v_lshrrev_b32_e32 v99, 19, v114
	v_lshrrev_b32_e32 v113, 19, v118
	v_cndmask_b32_e32 v114, v82, v69, vcc_lo
	v_cndmask_b32_e32 v69, v69, v82, vcc_lo
	v_cmp_lt_u16_e32 vcc_lo, v68, v70
	v_mul_u32_u24_sdwa v70, v96, v48 dst_sel:DWORD dst_unused:UNUSED_PAD src0_sel:WORD_0 src1_sel:DWORD
	v_cmp_lt_u16_e64 s4, v99, v113
	v_mul_u32_u24_sdwa v82, v83, v48 dst_sel:DWORD dst_unused:UNUSED_PAD src0_sel:WORD_0 src1_sel:DWORD
	v_mul_u32_u24_sdwa v99, v87, v48 dst_sel:DWORD dst_unused:UNUSED_PAD src0_sel:WORD_0 src1_sel:DWORD
	;; [unrolled: 21-line block ×156, first 2 shown]
	v_mul_u32_u24_sdwa v64, v53, v48 dst_sel:DWORD dst_unused:UNUSED_PAD src0_sel:WORD_0 src1_sel:DWORD
	v_lshrrev_b32_e32 v49, 19, v49
	v_cndmask_b32_e64 v213, v51, v66, s4
	v_cndmask_b32_e64 v215, v66, v51, s4
	v_lshrrev_b32_e32 v50, 19, v50
	v_mul_u32_u24_sdwa v51, v71, v48 dst_sel:DWORD dst_unused:UNUSED_PAD src0_sel:WORD_0 src1_sel:DWORD
	v_mul_u32_u24_sdwa v66, v52, v48 dst_sel:DWORD dst_unused:UNUSED_PAD src0_sel:WORD_0 src1_sel:DWORD
	v_cndmask_b32_e32 v214, v67, v103, vcc_lo
	v_cndmask_b32_e32 v226, v103, v67, vcc_lo
	v_cmp_lt_u16_e32 vcc_lo, v49, v50
	v_lshrrev_b32_e32 v49, 19, v51
	v_lshrrev_b32_e32 v50, 19, v54
	;; [unrolled: 1-line block ×4, first 2 shown]
	v_mul_u32_u24_sdwa v64, v97, v48 dst_sel:DWORD dst_unused:UNUSED_PAD src0_sel:WORD_0 src1_sel:DWORD
	v_mul_u32_u24_sdwa v66, v100, v48 dst_sel:DWORD dst_unused:UNUSED_PAD src0_sel:WORD_0 src1_sel:DWORD
	v_cndmask_b32_e32 v211, v96, v86, vcc_lo
	v_cndmask_b32_e32 v225, v86, v96, vcc_lo
	v_cmp_lt_u16_e32 vcc_lo, v49, v50
	v_cmp_lt_u16_e64 s4, v51, v54
	v_lshrrev_b32_e32 v49, 19, v64
	v_lshrrev_b32_e32 v50, 19, v66
	v_mul_u32_u24_sdwa v51, v55, v48 dst_sel:DWORD dst_unused:UNUSED_PAD src0_sel:WORD_0 src1_sel:DWORD
	v_cndmask_b32_e32 v209, v71, v114, vcc_lo
	v_cndmask_b32_e32 v212, v114, v71, vcc_lo
	v_cndmask_b32_e64 v199, v53, v52, s4
	v_cndmask_b32_e64 v208, v52, v53, s4
	v_cmp_lt_u16_e32 vcc_lo, v49, v50
	v_mul_u32_u24_sdwa v49, v81, v48 dst_sel:DWORD dst_unused:UNUSED_PAD src0_sel:WORD_0 src1_sel:DWORD
	v_mul_u32_u24_sdwa v50, v113, v48 dst_sel:DWORD dst_unused:UNUSED_PAD src0_sel:WORD_0 src1_sel:DWORD
	;; [unrolled: 1-line block ×3, first 2 shown]
	v_lshrrev_b32_e32 v51, 19, v51
	v_mul_u32_u24_sdwa v53, v99, v48 dst_sel:DWORD dst_unused:UNUSED_PAD src0_sel:WORD_0 src1_sel:DWORD
	v_lshrrev_b32_e32 v49, 19, v49
	v_lshrrev_b32_e32 v50, 19, v50
	;; [unrolled: 1-line block ×3, first 2 shown]
	v_mul_u32_u24_sdwa v54, v101, v48 dst_sel:DWORD dst_unused:UNUSED_PAD src0_sel:WORD_0 src1_sel:DWORD
	v_cndmask_b32_e32 v193, v97, v100, vcc_lo
	v_cndmask_b32_e32 v210, v100, v97, vcc_lo
	v_cmp_lt_u16_e32 vcc_lo, v49, v50
	v_cmp_lt_u16_e64 s4, v51, v52
	v_lshrrev_b32_e32 v49, 19, v53
	v_lshrrev_b32_e32 v50, 19, v54
	v_mul_u32_u24_sdwa v51, v68, v48 dst_sel:DWORD dst_unused:UNUSED_PAD src0_sel:WORD_0 src1_sel:DWORD
	v_cndmask_b32_e32 v195, v81, v113, vcc_lo
	v_cndmask_b32_e32 v197, v113, v81, vcc_lo
	v_mul_u32_u24_sdwa v52, v69, v48 dst_sel:DWORD dst_unused:UNUSED_PAD src0_sel:WORD_0 src1_sel:DWORD
	v_cmp_lt_u16_e32 vcc_lo, v49, v50
	v_lshrrev_b32_e32 v49, 19, v51
	v_mul_u32_u24_sdwa v50, v112, v48 dst_sel:DWORD dst_unused:UNUSED_PAD src0_sel:WORD_0 src1_sel:DWORD
	v_mul_u32_u24_sdwa v51, v98, v48 dst_sel:DWORD dst_unused:UNUSED_PAD src0_sel:WORD_0 src1_sel:DWORD
	;; [unrolled: 1-line block ×4, first 2 shown]
	v_lshrrev_b32_e32 v52, 19, v52
	v_lshrrev_b32_e32 v50, 19, v50
	;; [unrolled: 1-line block ×5, first 2 shown]
	v_cndmask_b32_e64 v194, v55, v80, s4
	v_cndmask_b32_e64 v196, v80, v55, s4
	v_cndmask_b32_e32 v181, v99, v101, vcc_lo
	v_cmp_lt_u16_e64 s4, v49, v50
	v_cndmask_b32_e32 v198, v101, v99, vcc_lo
	v_cmp_lt_u16_e32 vcc_lo, v51, v52
	v_cmp_lt_u16_e64 s5, v53, v48
	v_cndmask_b32_e64 v192, v112, v68, s4
	v_cndmask_b32_e64 v183, v68, v112, s4
	v_cndmask_b32_e32 v182, v69, v98, vcc_lo
	v_cndmask_b32_e32 v180, v98, v69, vcc_lo
	v_cndmask_b32_e64 v179, v65, v116, s5
	v_cndmask_b32_e64 v230, v116, v65, s5
.LBB240_3:
	s_or_b32 exec_lo, exec_lo, s7
	v_and_b32_e32 v48, 0xfffffc00, v39
	v_mov_b32_e32 v49, v7
	v_mbcnt_lo_u32_b32 v39, -1, 0
	s_mov_b32 s4, exec_lo
	v_sub_nc_u32_e64 v103, 0x2000, v48 clamp
	v_lshlrev_b64 v[49:50], 1, v[48:49]
	v_lshlrev_b32_e32 v112, 5, v39
	v_and_b32_e32 v48, 32, v112
	v_add_co_u32 v102, null, 0, v49
	v_and_b32_e32 v243, 0x3c0, v112
	v_min_u32_e32 v244, v103, v48
	v_lshl_add_u32 v113, v39, 6, v102
	v_or_b32_e32 v39, 32, v112
	ds_write_b16 v113, v178
	ds_write_b16 v113, v231 offset:2
	ds_write_b16 v113, v228 offset:4
	;; [unrolled: 1-line block ×13, first 2 shown]
	v_min_u32_e32 v241, v103, v39
	ds_write_b16 v113, v209 offset:28
	ds_write_b16 v113, v208 offset:30
	;; [unrolled: 1-line block ×12, first 2 shown]
	v_add_nc_u32_e32 v39, 32, v241
	v_sub_nc_u32_e32 v48, v241, v243
	ds_write_b16 v113, v183 offset:52
	ds_write_b16 v113, v182 offset:54
	;; [unrolled: 1-line block ×6, first 2 shown]
	; wave barrier
	v_min_u32_e32 v242, v103, v39
	v_sub_nc_u32_e32 v39, v242, v241
	v_sub_nc_u32_e64 v245, v244, v39 clamp
	v_min_u32_e32 v39, v244, v48
	v_cmpx_lt_u32_e64 v245, v39
	s_cbranch_execz .LBB240_7
; %bb.4:
	v_lshlrev_b32_e32 v48, 1, v243
	v_lshlrev_b32_e32 v49, 1, v241
	s_mov_b32 s5, 0
	v_add_co_u32 v48, null, v102, v48
	v_add_co_u32 v49, null, v102, v49
	.p2align	6
.LBB240_5:                              ; =>This Inner Loop Header: Depth=1
	v_add_nc_u32_e32 v50, v39, v245
	v_lshrrev_b32_e32 v51, 1, v50
	v_and_b32_e32 v50, -2, v50
	v_xad_u32 v52, v51, -1, v244
	v_add_nc_u32_e32 v50, v48, v50
	v_add_nc_u32_e32 v53, 1, v51
	v_lshl_add_u32 v52, v52, 1, v49
	ds_read_u16 v50, v50
	ds_read_u16 v52, v52
	s_waitcnt lgkmcnt(1)
	v_mul_u32_u24_e32 v50, 0xcccd, v50
	s_waitcnt lgkmcnt(0)
	v_mul_u32_u24_e32 v52, 0xcccd, v52
	v_lshrrev_b32_e32 v50, 19, v50
	v_lshrrev_b32_e32 v52, 19, v52
	v_cmp_lt_u16_e32 vcc_lo, v52, v50
	v_cndmask_b32_e32 v39, v39, v51, vcc_lo
	v_cndmask_b32_e32 v245, v53, v245, vcc_lo
	v_cmp_ge_u32_e32 vcc_lo, v245, v39
	s_or_b32 s5, vcc_lo, s5
	s_andn2_b32 exec_lo, exec_lo, s5
	s_cbranch_execnz .LBB240_5
; %bb.6:
	s_or_b32 exec_lo, exec_lo, s5
.LBB240_7:
	s_or_b32 exec_lo, exec_lo, s4
	v_add_nc_u32_e32 v244, v241, v244
	v_add_nc_u32_e32 v243, v245, v243
	;; [unrolled: 1-line block ×5, first 2 shown]
	v_sub_nc_u32_e32 v244, v244, v245
	v_cmp_le_u32_e32 vcc_lo, v243, v241
	v_or_b32_e32 v39, 2, v35
	v_add_nc_u32_e32 v48, 4, v35
	v_add_nc_u32_e32 v49, 6, v35
	v_cmp_le_u32_e64 s4, v244, v242
	v_add_nc_u32_e32 v50, 8, v35
	v_add_nc_u32_e32 v51, 10, v35
	;; [unrolled: 1-line block ×59, first 2 shown]
	s_or_b32 s4, vcc_lo, s4
	s_and_saveexec_b32 s5, s4
	s_cbranch_execz .LBB240_139
; %bb.8:
	s_mov_b32 s7, exec_lo
	v_cmp_ge_u32_e32 vcc_lo, v243, v241
                                        ; implicit-def: $vgpr178
	v_cmpx_lt_u32_e64 v243, v241
; %bb.9:
	v_lshl_add_u32 v177, v243, 1, v102
	ds_read_u16 v178, v177
; %bb.10:
	s_or_b32 exec_lo, exec_lo, s7
	v_cmp_ge_u32_e64 s7, v244, v242
	s_mov_b32 s10, exec_lo
                                        ; implicit-def: $vgpr230
	v_cmpx_lt_u32_e64 v244, v242
; %bb.11:
	v_lshl_add_u32 v177, v244, 1, v102
	ds_read_u16 v230, v177
; %bb.12:
	s_or_b32 exec_lo, exec_lo, s10
	s_nor_b32 s10, vcc_lo, s7
	s_and_saveexec_b32 s4, s10
	s_cbranch_execz .LBB240_14
; %bb.13:
	v_mov_b32_e32 v177, 0xcccd
	s_andn2_b32 s7, s7, exec_lo
	s_waitcnt lgkmcnt(0)
	v_mul_u32_u24_sdwa v179, v230, v177 dst_sel:DWORD dst_unused:UNUSED_PAD src0_sel:WORD_0 src1_sel:DWORD
	v_mul_u32_u24_sdwa v177, v178, v177 dst_sel:DWORD dst_unused:UNUSED_PAD src0_sel:WORD_0 src1_sel:DWORD
	v_lshrrev_b32_e32 v179, 19, v179
	v_lshrrev_b32_e32 v177, 19, v177
	v_cmp_ge_u16_e32 vcc_lo, v179, v177
	s_and_b32 s10, vcc_lo, exec_lo
	s_or_b32 s7, s7, s10
.LBB240_14:
	s_or_b32 exec_lo, exec_lo, s4
	v_cndmask_b32_e64 v177, v244, v243, s7
	v_cndmask_b32_e64 v179, v242, v241, s7
	s_mov_b32 s10, -1
	s_mov_b32 s4, -1
	s_mov_b32 s11, exec_lo
	v_add_nc_u32_e32 v180, 1, v177
	v_add_nc_u32_e32 v177, -1, v179
	v_cndmask_b32_e64 v179, v243, v180, s7
	v_min_u32_e32 v177, v180, v177
	v_lshl_add_u32 v177, v177, 1, v102
	ds_read_u16 v181, v177
	v_cndmask_b32_e64 v177, v180, v244, s7
	s_waitcnt lgkmcnt(0)
	v_cndmask_b32_e64 v231, v181, v230, s7
	v_cndmask_b32_e64 v243, v178, v181, s7
	v_cmpx_lt_u32_e64 v177, v242
	s_cbranch_execz .LBB240_18
; %bb.15:
	s_mov_b32 s14, 0
	s_mov_b32 s4, exec_lo
	v_cmpx_lt_u32_e64 v179, v241
; %bb.16:
	v_mov_b32_e32 v180, 0xcccd
	v_mul_u32_u24_sdwa v181, v231, v180 dst_sel:DWORD dst_unused:UNUSED_PAD src0_sel:WORD_0 src1_sel:DWORD
	v_mul_u32_u24_sdwa v180, v243, v180 dst_sel:DWORD dst_unused:UNUSED_PAD src0_sel:WORD_0 src1_sel:DWORD
	v_lshrrev_b32_e32 v181, 19, v181
	v_lshrrev_b32_e32 v180, 19, v180
	v_cmp_ge_u16_e32 vcc_lo, v181, v180
	s_and_b32 s14, vcc_lo, exec_lo
; %bb.17:
	s_or_b32 exec_lo, exec_lo, s4
	s_orn2_b32 s4, s14, exec_lo
.LBB240_18:
	s_or_b32 exec_lo, exec_lo, s11
	v_cndmask_b32_e64 v180, v177, v179, s4
	v_cndmask_b32_e64 v181, v242, v241, s4
	s_mov_b32 s11, exec_lo
	v_add_nc_u32_e32 v180, 1, v180
	v_add_nc_u32_e32 v181, -1, v181
	v_cndmask_b32_e64 v177, v180, v177, s4
	v_min_u32_e32 v181, v180, v181
	v_cndmask_b32_e64 v179, v179, v180, s4
	v_lshl_add_u32 v181, v181, 1, v102
	ds_read_u16 v181, v181
	s_waitcnt lgkmcnt(0)
	v_cndmask_b32_e64 v228, v181, v231, s4
	v_cndmask_b32_e64 v244, v243, v181, s4
	v_cmpx_lt_u32_e64 v177, v242
	s_cbranch_execz .LBB240_22
; %bb.19:
	s_mov_b32 s14, 0
	s_mov_b32 s10, exec_lo
	v_cmpx_lt_u32_e64 v179, v241
; %bb.20:
	v_mov_b32_e32 v180, 0xcccd
	v_mul_u32_u24_sdwa v181, v228, v180 dst_sel:DWORD dst_unused:UNUSED_PAD src0_sel:WORD_0 src1_sel:DWORD
	v_mul_u32_u24_sdwa v180, v244, v180 dst_sel:DWORD dst_unused:UNUSED_PAD src0_sel:WORD_0 src1_sel:DWORD
	v_lshrrev_b32_e32 v181, 19, v181
	v_lshrrev_b32_e32 v180, 19, v180
	v_cmp_ge_u16_e32 vcc_lo, v181, v180
	s_and_b32 s14, vcc_lo, exec_lo
; %bb.21:
	s_or_b32 exec_lo, exec_lo, s10
	s_orn2_b32 s10, s14, exec_lo
.LBB240_22:
	s_or_b32 exec_lo, exec_lo, s11
	v_cndmask_b32_e64 v180, v177, v179, s10
	v_cndmask_b32_e64 v181, v242, v241, s10
	s_mov_b32 s14, -1
	s_mov_b32 s11, -1
	s_mov_b32 s15, exec_lo
	v_add_nc_u32_e32 v180, 1, v180
	v_add_nc_u32_e32 v181, -1, v181
	v_cndmask_b32_e64 v177, v180, v177, s10
	v_min_u32_e32 v181, v180, v181
	v_cndmask_b32_e64 v179, v179, v180, s10
	v_lshl_add_u32 v181, v181, 1, v102
	ds_read_u16 v181, v181
	s_waitcnt lgkmcnt(0)
	v_cndmask_b32_e64 v229, v181, v228, s10
	v_cndmask_b32_e64 v245, v244, v181, s10
	v_cmpx_lt_u32_e64 v177, v242
	s_cbranch_execz .LBB240_26
; %bb.23:
	s_mov_b32 s16, 0
	s_mov_b32 s11, exec_lo
	v_cmpx_lt_u32_e64 v179, v241
; %bb.24:
	v_mov_b32_e32 v180, 0xcccd
	v_mul_u32_u24_sdwa v181, v229, v180 dst_sel:DWORD dst_unused:UNUSED_PAD src0_sel:WORD_0 src1_sel:DWORD
	v_mul_u32_u24_sdwa v180, v245, v180 dst_sel:DWORD dst_unused:UNUSED_PAD src0_sel:WORD_0 src1_sel:DWORD
	v_lshrrev_b32_e32 v181, 19, v181
	v_lshrrev_b32_e32 v180, 19, v180
	v_cmp_ge_u16_e32 vcc_lo, v181, v180
	s_and_b32 s16, vcc_lo, exec_lo
; %bb.25:
	s_or_b32 exec_lo, exec_lo, s11
	s_orn2_b32 s11, s16, exec_lo
.LBB240_26:
	s_or_b32 exec_lo, exec_lo, s15
	v_cndmask_b32_e64 v180, v177, v179, s11
	v_cndmask_b32_e64 v181, v242, v241, s11
	s_mov_b32 s15, exec_lo
	v_add_nc_u32_e32 v180, 1, v180
	v_add_nc_u32_e32 v181, -1, v181
	v_cndmask_b32_e64 v177, v180, v177, s11
	v_min_u32_e32 v181, v180, v181
	v_cndmask_b32_e64 v179, v179, v180, s11
	v_lshl_add_u32 v181, v181, 1, v102
	ds_read_u16 v181, v181
	s_waitcnt lgkmcnt(0)
	v_cndmask_b32_e64 v227, v181, v229, s11
	v_cndmask_b32_e64 v246, v245, v181, s11
	v_cmpx_lt_u32_e64 v177, v242
	s_cbranch_execz .LBB240_30
; %bb.27:
	s_mov_b32 s16, 0
	s_mov_b32 s14, exec_lo
	v_cmpx_lt_u32_e64 v179, v241
; %bb.28:
	v_mov_b32_e32 v180, 0xcccd
	v_mul_u32_u24_sdwa v181, v227, v180 dst_sel:DWORD dst_unused:UNUSED_PAD src0_sel:WORD_0 src1_sel:DWORD
	v_mul_u32_u24_sdwa v180, v246, v180 dst_sel:DWORD dst_unused:UNUSED_PAD src0_sel:WORD_0 src1_sel:DWORD
	v_lshrrev_b32_e32 v181, 19, v181
	v_lshrrev_b32_e32 v180, 19, v180
	v_cmp_ge_u16_e32 vcc_lo, v181, v180
	s_and_b32 s16, vcc_lo, exec_lo
; %bb.29:
	s_or_b32 exec_lo, exec_lo, s14
	s_orn2_b32 s14, s16, exec_lo
.LBB240_30:
	s_or_b32 exec_lo, exec_lo, s15
	v_cndmask_b32_e64 v180, v177, v179, s14
	v_cndmask_b32_e64 v181, v242, v241, s14
	s_mov_b32 s16, -1
	s_mov_b32 s15, -1
	s_mov_b32 s17, exec_lo
	v_add_nc_u32_e32 v180, 1, v180
	v_add_nc_u32_e32 v181, -1, v181
	v_cndmask_b32_e64 v177, v180, v177, s14
	v_min_u32_e32 v181, v180, v181
	v_cndmask_b32_e64 v179, v179, v180, s14
	v_lshl_add_u32 v181, v181, 1, v102
	ds_read_u16 v181, v181
	s_waitcnt lgkmcnt(0)
	v_cndmask_b32_e64 v240, v181, v227, s14
	v_cndmask_b32_e64 v247, v246, v181, s14
	v_cmpx_lt_u32_e64 v177, v242
	s_cbranch_execz .LBB240_34
; %bb.31:
	s_mov_b32 s18, 0
	s_mov_b32 s15, exec_lo
	v_cmpx_lt_u32_e64 v179, v241
; %bb.32:
	v_mov_b32_e32 v180, 0xcccd
	v_mul_u32_u24_sdwa v181, v240, v180 dst_sel:DWORD dst_unused:UNUSED_PAD src0_sel:WORD_0 src1_sel:DWORD
	v_mul_u32_u24_sdwa v180, v247, v180 dst_sel:DWORD dst_unused:UNUSED_PAD src0_sel:WORD_0 src1_sel:DWORD
	v_lshrrev_b32_e32 v181, 19, v181
	v_lshrrev_b32_e32 v180, 19, v180
	v_cmp_ge_u16_e32 vcc_lo, v181, v180
	s_and_b32 s18, vcc_lo, exec_lo
; %bb.33:
	s_or_b32 exec_lo, exec_lo, s15
	s_orn2_b32 s15, s18, exec_lo
.LBB240_34:
	s_or_b32 exec_lo, exec_lo, s17
	v_cndmask_b32_e64 v180, v177, v179, s15
	v_cndmask_b32_e64 v181, v242, v241, s15
	s_mov_b32 s17, exec_lo
	v_add_nc_u32_e32 v180, 1, v180
	v_add_nc_u32_e32 v181, -1, v181
	v_cndmask_b32_e64 v177, v180, v177, s15
	v_min_u32_e32 v181, v180, v181
	v_cndmask_b32_e64 v179, v179, v180, s15
	v_lshl_add_u32 v181, v181, 1, v102
	ds_read_u16 v181, v181
	s_waitcnt lgkmcnt(0)
	v_cndmask_b32_e64 v224, v181, v240, s15
	v_cndmask_b32_e64 v40, v247, v181, s15
	v_cmpx_lt_u32_e64 v177, v242
	s_cbranch_execz .LBB240_38
; %bb.35:
	s_mov_b32 s18, 0
	s_mov_b32 s16, exec_lo
	v_cmpx_lt_u32_e64 v179, v241
; %bb.36:
	v_mov_b32_e32 v180, 0xcccd
	v_mul_u32_u24_sdwa v181, v224, v180 dst_sel:DWORD dst_unused:UNUSED_PAD src0_sel:WORD_0 src1_sel:DWORD
	v_mul_u32_u24_sdwa v180, v40, v180 dst_sel:DWORD dst_unused:UNUSED_PAD src0_sel:WORD_0 src1_sel:DWORD
	v_lshrrev_b32_e32 v181, 19, v181
	v_lshrrev_b32_e32 v180, 19, v180
	v_cmp_ge_u16_e32 vcc_lo, v181, v180
	s_and_b32 s18, vcc_lo, exec_lo
; %bb.37:
	s_or_b32 exec_lo, exec_lo, s16
	s_orn2_b32 s16, s18, exec_lo
.LBB240_38:
	s_or_b32 exec_lo, exec_lo, s17
	v_cndmask_b32_e64 v180, v177, v179, s16
	v_cndmask_b32_e64 v181, v242, v241, s16
	s_mov_b32 s18, -1
	s_mov_b32 s17, -1
	s_mov_b32 s19, exec_lo
	v_add_nc_u32_e32 v180, 1, v180
	v_add_nc_u32_e32 v181, -1, v181
	v_cndmask_b32_e64 v177, v180, v177, s16
	v_min_u32_e32 v181, v180, v181
	v_cndmask_b32_e64 v179, v179, v180, s16
	v_lshl_add_u32 v181, v181, 1, v102
	ds_read_u16 v181, v181
	s_waitcnt lgkmcnt(0)
	v_cndmask_b32_e64 v226, v181, v224, s16
	v_cndmask_b32_e64 v41, v40, v181, s16
	v_cmpx_lt_u32_e64 v177, v242
	s_cbranch_execz .LBB240_42
; %bb.39:
	s_mov_b32 s20, 0
	s_mov_b32 s17, exec_lo
	v_cmpx_lt_u32_e64 v179, v241
; %bb.40:
	v_mov_b32_e32 v180, 0xcccd
	v_mul_u32_u24_sdwa v181, v226, v180 dst_sel:DWORD dst_unused:UNUSED_PAD src0_sel:WORD_0 src1_sel:DWORD
	v_mul_u32_u24_sdwa v180, v41, v180 dst_sel:DWORD dst_unused:UNUSED_PAD src0_sel:WORD_0 src1_sel:DWORD
	v_lshrrev_b32_e32 v181, 19, v181
	v_lshrrev_b32_e32 v180, 19, v180
	v_cmp_ge_u16_e32 vcc_lo, v181, v180
	s_and_b32 s20, vcc_lo, exec_lo
; %bb.41:
	s_or_b32 exec_lo, exec_lo, s17
	s_orn2_b32 s17, s20, exec_lo
.LBB240_42:
	s_or_b32 exec_lo, exec_lo, s19
	v_cndmask_b32_e64 v180, v177, v179, s17
	v_cndmask_b32_e64 v181, v242, v241, s17
	s_mov_b32 s19, exec_lo
	v_add_nc_u32_e32 v180, 1, v180
	v_add_nc_u32_e32 v181, -1, v181
	v_cndmask_b32_e64 v177, v180, v177, s17
	v_min_u32_e32 v181, v180, v181
	v_cndmask_b32_e64 v179, v179, v180, s17
	v_lshl_add_u32 v181, v181, 1, v102
	ds_read_u16 v181, v181
	s_waitcnt lgkmcnt(0)
	v_cndmask_b32_e64 v214, v181, v226, s17
	v_cndmask_b32_e64 v42, v41, v181, s17
	v_cmpx_lt_u32_e64 v177, v242
	s_cbranch_execz .LBB240_46
; %bb.43:
	s_mov_b32 s20, 0
	s_mov_b32 s18, exec_lo
	v_cmpx_lt_u32_e64 v179, v241
; %bb.44:
	v_mov_b32_e32 v180, 0xcccd
	v_mul_u32_u24_sdwa v181, v214, v180 dst_sel:DWORD dst_unused:UNUSED_PAD src0_sel:WORD_0 src1_sel:DWORD
	v_mul_u32_u24_sdwa v180, v42, v180 dst_sel:DWORD dst_unused:UNUSED_PAD src0_sel:WORD_0 src1_sel:DWORD
	v_lshrrev_b32_e32 v181, 19, v181
	v_lshrrev_b32_e32 v180, 19, v180
	v_cmp_ge_u16_e32 vcc_lo, v181, v180
	s_and_b32 s20, vcc_lo, exec_lo
; %bb.45:
	s_or_b32 exec_lo, exec_lo, s18
	s_orn2_b32 s18, s20, exec_lo
.LBB240_46:
	s_or_b32 exec_lo, exec_lo, s19
	v_cndmask_b32_e64 v180, v177, v179, s18
	v_cndmask_b32_e64 v181, v242, v241, s18
	s_mov_b32 s20, -1
	s_mov_b32 s19, -1
	s_mov_b32 s21, exec_lo
	v_add_nc_u32_e32 v180, 1, v180
	v_add_nc_u32_e32 v181, -1, v181
	v_cndmask_b32_e64 v177, v180, v177, s18
	v_min_u32_e32 v181, v180, v181
	v_cndmask_b32_e64 v179, v179, v180, s18
	v_lshl_add_u32 v181, v181, 1, v102
	ds_read_u16 v181, v181
	s_waitcnt lgkmcnt(0)
	v_cndmask_b32_e64 v215, v181, v214, s18
	v_cndmask_b32_e64 v43, v42, v181, s18
	v_cmpx_lt_u32_e64 v177, v242
	s_cbranch_execz .LBB240_50
; %bb.47:
	s_mov_b32 s22, 0
	s_mov_b32 s19, exec_lo
	v_cmpx_lt_u32_e64 v179, v241
; %bb.48:
	v_mov_b32_e32 v180, 0xcccd
	v_mul_u32_u24_sdwa v181, v215, v180 dst_sel:DWORD dst_unused:UNUSED_PAD src0_sel:WORD_0 src1_sel:DWORD
	v_mul_u32_u24_sdwa v180, v43, v180 dst_sel:DWORD dst_unused:UNUSED_PAD src0_sel:WORD_0 src1_sel:DWORD
	v_lshrrev_b32_e32 v181, 19, v181
	v_lshrrev_b32_e32 v180, 19, v180
	v_cmp_ge_u16_e32 vcc_lo, v181, v180
	s_and_b32 s22, vcc_lo, exec_lo
; %bb.49:
	s_or_b32 exec_lo, exec_lo, s19
	s_orn2_b32 s19, s22, exec_lo
.LBB240_50:
	s_or_b32 exec_lo, exec_lo, s21
	v_cndmask_b32_e64 v180, v177, v179, s19
	v_cndmask_b32_e64 v181, v242, v241, s19
	s_mov_b32 s21, exec_lo
	v_add_nc_u32_e32 v180, 1, v180
	v_add_nc_u32_e32 v181, -1, v181
	v_cndmask_b32_e64 v177, v180, v177, s19
	v_min_u32_e32 v181, v180, v181
	v_cndmask_b32_e64 v179, v179, v180, s19
	v_lshl_add_u32 v181, v181, 1, v102
	ds_read_u16 v181, v181
	s_waitcnt lgkmcnt(0)
	v_cndmask_b32_e64 v213, v181, v215, s19
	v_cndmask_b32_e64 v44, v43, v181, s19
	v_cmpx_lt_u32_e64 v177, v242
	s_cbranch_execz .LBB240_54
; %bb.51:
	s_mov_b32 s22, 0
	s_mov_b32 s20, exec_lo
	v_cmpx_lt_u32_e64 v179, v241
; %bb.52:
	v_mov_b32_e32 v180, 0xcccd
	v_mul_u32_u24_sdwa v181, v213, v180 dst_sel:DWORD dst_unused:UNUSED_PAD src0_sel:WORD_0 src1_sel:DWORD
	v_mul_u32_u24_sdwa v180, v44, v180 dst_sel:DWORD dst_unused:UNUSED_PAD src0_sel:WORD_0 src1_sel:DWORD
	v_lshrrev_b32_e32 v181, 19, v181
	v_lshrrev_b32_e32 v180, 19, v180
	v_cmp_ge_u16_e32 vcc_lo, v181, v180
	s_and_b32 s22, vcc_lo, exec_lo
; %bb.53:
	s_or_b32 exec_lo, exec_lo, s20
	s_orn2_b32 s20, s22, exec_lo
.LBB240_54:
	s_or_b32 exec_lo, exec_lo, s21
	v_cndmask_b32_e64 v180, v177, v179, s20
	v_cndmask_b32_e64 v181, v242, v241, s20
	s_mov_b32 s22, -1
	s_mov_b32 s21, -1
	s_mov_b32 s23, exec_lo
	v_add_nc_u32_e32 v180, 1, v180
	v_add_nc_u32_e32 v181, -1, v181
	v_cndmask_b32_e64 v177, v180, v177, s20
	v_min_u32_e32 v181, v180, v181
	v_cndmask_b32_e64 v179, v179, v180, s20
	v_lshl_add_u32 v181, v181, 1, v102
	ds_read_u16 v181, v181
	s_waitcnt lgkmcnt(0)
	v_cndmask_b32_e64 v225, v181, v213, s20
	v_cndmask_b32_e64 v45, v44, v181, s20
	v_cmpx_lt_u32_e64 v177, v242
	s_cbranch_execz .LBB240_58
; %bb.55:
	s_mov_b32 s24, 0
	s_mov_b32 s21, exec_lo
	v_cmpx_lt_u32_e64 v179, v241
; %bb.56:
	v_mov_b32_e32 v180, 0xcccd
	v_mul_u32_u24_sdwa v181, v225, v180 dst_sel:DWORD dst_unused:UNUSED_PAD src0_sel:WORD_0 src1_sel:DWORD
	v_mul_u32_u24_sdwa v180, v45, v180 dst_sel:DWORD dst_unused:UNUSED_PAD src0_sel:WORD_0 src1_sel:DWORD
	v_lshrrev_b32_e32 v181, 19, v181
	v_lshrrev_b32_e32 v180, 19, v180
	v_cmp_ge_u16_e32 vcc_lo, v181, v180
	s_and_b32 s24, vcc_lo, exec_lo
; %bb.57:
	s_or_b32 exec_lo, exec_lo, s21
	s_orn2_b32 s21, s24, exec_lo
.LBB240_58:
	s_or_b32 exec_lo, exec_lo, s23
	v_cndmask_b32_e64 v180, v177, v179, s21
	v_cndmask_b32_e64 v181, v242, v241, s21
	s_mov_b32 s23, exec_lo
	v_add_nc_u32_e32 v180, 1, v180
	v_add_nc_u32_e32 v181, -1, v181
	v_cndmask_b32_e64 v177, v180, v177, s21
	v_min_u32_e32 v181, v180, v181
	v_cndmask_b32_e64 v179, v179, v180, s21
	v_lshl_add_u32 v181, v181, 1, v102
	ds_read_u16 v181, v181
	s_waitcnt lgkmcnt(0)
	v_cndmask_b32_e64 v211, v181, v225, s21
	v_cndmask_b32_e64 v46, v45, v181, s21
	v_cmpx_lt_u32_e64 v177, v242
	s_cbranch_execz .LBB240_62
; %bb.59:
	s_mov_b32 s24, 0
	s_mov_b32 s22, exec_lo
	v_cmpx_lt_u32_e64 v179, v241
; %bb.60:
	v_mov_b32_e32 v180, 0xcccd
	v_mul_u32_u24_sdwa v181, v211, v180 dst_sel:DWORD dst_unused:UNUSED_PAD src0_sel:WORD_0 src1_sel:DWORD
	v_mul_u32_u24_sdwa v180, v46, v180 dst_sel:DWORD dst_unused:UNUSED_PAD src0_sel:WORD_0 src1_sel:DWORD
	v_lshrrev_b32_e32 v181, 19, v181
	v_lshrrev_b32_e32 v180, 19, v180
	v_cmp_ge_u16_e32 vcc_lo, v181, v180
	s_and_b32 s24, vcc_lo, exec_lo
; %bb.61:
	s_or_b32 exec_lo, exec_lo, s22
	s_orn2_b32 s22, s24, exec_lo
.LBB240_62:
	s_or_b32 exec_lo, exec_lo, s23
	v_cndmask_b32_e64 v180, v177, v179, s22
	v_cndmask_b32_e64 v181, v242, v241, s22
	s_mov_b32 s24, -1
	s_mov_b32 s23, -1
	s_mov_b32 s25, exec_lo
	v_add_nc_u32_e32 v180, 1, v180
	v_add_nc_u32_e32 v181, -1, v181
	v_cndmask_b32_e64 v177, v180, v177, s22
	v_min_u32_e32 v181, v180, v181
	v_cndmask_b32_e64 v179, v179, v180, s22
	v_lshl_add_u32 v181, v181, 1, v102
	ds_read_u16 v181, v181
	s_waitcnt lgkmcnt(0)
	v_cndmask_b32_e64 v212, v181, v211, s22
	v_cndmask_b32_e64 v47, v46, v181, s22
	v_cmpx_lt_u32_e64 v177, v242
	s_cbranch_execz .LBB240_66
; %bb.63:
	s_mov_b32 s26, 0
	s_mov_b32 s23, exec_lo
	v_cmpx_lt_u32_e64 v179, v241
; %bb.64:
	v_mov_b32_e32 v180, 0xcccd
	v_mul_u32_u24_sdwa v181, v212, v180 dst_sel:DWORD dst_unused:UNUSED_PAD src0_sel:WORD_0 src1_sel:DWORD
	v_mul_u32_u24_sdwa v180, v47, v180 dst_sel:DWORD dst_unused:UNUSED_PAD src0_sel:WORD_0 src1_sel:DWORD
	v_lshrrev_b32_e32 v181, 19, v181
	v_lshrrev_b32_e32 v180, 19, v180
	v_cmp_ge_u16_e32 vcc_lo, v181, v180
	s_and_b32 s26, vcc_lo, exec_lo
; %bb.65:
	s_or_b32 exec_lo, exec_lo, s23
	s_orn2_b32 s23, s26, exec_lo
.LBB240_66:
	s_or_b32 exec_lo, exec_lo, s25
	v_cndmask_b32_e64 v180, v177, v179, s23
	v_cndmask_b32_e64 v181, v242, v241, s23
	s_mov_b32 s25, exec_lo
	v_add_nc_u32_e32 v180, 1, v180
	v_add_nc_u32_e32 v181, -1, v181
	v_cndmask_b32_e64 v177, v180, v177, s23
	v_min_u32_e32 v181, v180, v181
	v_cndmask_b32_e64 v179, v179, v180, s23
	v_lshl_add_u32 v181, v181, 1, v102
	ds_read_u16 v181, v181
	s_waitcnt lgkmcnt(0)
	v_cndmask_b32_e64 v209, v181, v212, s23
	v_cndmask_b32_e64 v56, v47, v181, s23
	v_cmpx_lt_u32_e64 v177, v242
	s_cbranch_execz .LBB240_70
; %bb.67:
	s_mov_b32 s26, 0
	s_mov_b32 s24, exec_lo
	v_cmpx_lt_u32_e64 v179, v241
; %bb.68:
	v_mov_b32_e32 v180, 0xcccd
	v_mul_u32_u24_sdwa v181, v209, v180 dst_sel:DWORD dst_unused:UNUSED_PAD src0_sel:WORD_0 src1_sel:DWORD
	v_mul_u32_u24_sdwa v180, v56, v180 dst_sel:DWORD dst_unused:UNUSED_PAD src0_sel:WORD_0 src1_sel:DWORD
	v_lshrrev_b32_e32 v181, 19, v181
	v_lshrrev_b32_e32 v180, 19, v180
	v_cmp_ge_u16_e32 vcc_lo, v181, v180
	s_and_b32 s26, vcc_lo, exec_lo
; %bb.69:
	s_or_b32 exec_lo, exec_lo, s24
	s_orn2_b32 s24, s26, exec_lo
.LBB240_70:
	s_or_b32 exec_lo, exec_lo, s25
	v_cndmask_b32_e64 v180, v177, v179, s24
	v_cndmask_b32_e64 v181, v242, v241, s24
	s_mov_b32 s26, -1
	s_mov_b32 s25, -1
	s_mov_b32 s27, exec_lo
	v_add_nc_u32_e32 v180, 1, v180
	v_add_nc_u32_e32 v181, -1, v181
	v_cndmask_b32_e64 v177, v180, v177, s24
	v_min_u32_e32 v181, v180, v181
	v_cndmask_b32_e64 v179, v179, v180, s24
	v_lshl_add_u32 v181, v181, 1, v102
	ds_read_u16 v181, v181
	s_waitcnt lgkmcnt(0)
	v_cndmask_b32_e64 v208, v181, v209, s24
	v_cndmask_b32_e64 v57, v56, v181, s24
	v_cmpx_lt_u32_e64 v177, v242
	s_cbranch_execz .LBB240_74
; %bb.71:
	s_mov_b32 s28, 0
	s_mov_b32 s25, exec_lo
	v_cmpx_lt_u32_e64 v179, v241
; %bb.72:
	v_mov_b32_e32 v180, 0xcccd
	v_mul_u32_u24_sdwa v181, v208, v180 dst_sel:DWORD dst_unused:UNUSED_PAD src0_sel:WORD_0 src1_sel:DWORD
	v_mul_u32_u24_sdwa v180, v57, v180 dst_sel:DWORD dst_unused:UNUSED_PAD src0_sel:WORD_0 src1_sel:DWORD
	v_lshrrev_b32_e32 v181, 19, v181
	v_lshrrev_b32_e32 v180, 19, v180
	v_cmp_ge_u16_e32 vcc_lo, v181, v180
	s_and_b32 s28, vcc_lo, exec_lo
; %bb.73:
	s_or_b32 exec_lo, exec_lo, s25
	s_orn2_b32 s25, s28, exec_lo
.LBB240_74:
	s_or_b32 exec_lo, exec_lo, s27
	v_cndmask_b32_e64 v180, v177, v179, s25
	v_cndmask_b32_e64 v181, v242, v241, s25
	s_mov_b32 s27, exec_lo
	v_add_nc_u32_e32 v180, 1, v180
	v_add_nc_u32_e32 v181, -1, v181
	v_cndmask_b32_e64 v177, v180, v177, s25
	v_min_u32_e32 v181, v180, v181
	v_cndmask_b32_e64 v179, v179, v180, s25
	v_lshl_add_u32 v181, v181, 1, v102
	ds_read_u16 v181, v181
	s_waitcnt lgkmcnt(0)
	v_cndmask_b32_e64 v199, v181, v208, s25
	v_cndmask_b32_e64 v58, v57, v181, s25
	v_cmpx_lt_u32_e64 v177, v242
	s_cbranch_execz .LBB240_78
; %bb.75:
	s_mov_b32 s28, 0
	s_mov_b32 s26, exec_lo
	v_cmpx_lt_u32_e64 v179, v241
; %bb.76:
	v_mov_b32_e32 v180, 0xcccd
	v_mul_u32_u24_sdwa v181, v199, v180 dst_sel:DWORD dst_unused:UNUSED_PAD src0_sel:WORD_0 src1_sel:DWORD
	v_mul_u32_u24_sdwa v180, v58, v180 dst_sel:DWORD dst_unused:UNUSED_PAD src0_sel:WORD_0 src1_sel:DWORD
	v_lshrrev_b32_e32 v181, 19, v181
	v_lshrrev_b32_e32 v180, 19, v180
	v_cmp_ge_u16_e32 vcc_lo, v181, v180
	s_and_b32 s28, vcc_lo, exec_lo
; %bb.77:
	s_or_b32 exec_lo, exec_lo, s26
	s_orn2_b32 s26, s28, exec_lo
.LBB240_78:
	s_or_b32 exec_lo, exec_lo, s27
	v_cndmask_b32_e64 v180, v177, v179, s26
	v_cndmask_b32_e64 v181, v242, v241, s26
	s_mov_b32 s28, -1
	s_mov_b32 s27, -1
	s_mov_b32 s29, exec_lo
	v_add_nc_u32_e32 v180, 1, v180
	v_add_nc_u32_e32 v181, -1, v181
	v_cndmask_b32_e64 v177, v180, v177, s26
	v_min_u32_e32 v181, v180, v181
	v_cndmask_b32_e64 v179, v179, v180, s26
	v_lshl_add_u32 v181, v181, 1, v102
	ds_read_u16 v181, v181
	s_waitcnt lgkmcnt(0)
	v_cndmask_b32_e64 v210, v181, v199, s26
	v_cndmask_b32_e64 v59, v58, v181, s26
	v_cmpx_lt_u32_e64 v177, v242
	s_cbranch_execz .LBB240_82
; %bb.79:
	s_mov_b32 s40, 0
	s_mov_b32 s27, exec_lo
	v_cmpx_lt_u32_e64 v179, v241
; %bb.80:
	v_mov_b32_e32 v180, 0xcccd
	v_mul_u32_u24_sdwa v181, v210, v180 dst_sel:DWORD dst_unused:UNUSED_PAD src0_sel:WORD_0 src1_sel:DWORD
	v_mul_u32_u24_sdwa v180, v59, v180 dst_sel:DWORD dst_unused:UNUSED_PAD src0_sel:WORD_0 src1_sel:DWORD
	v_lshrrev_b32_e32 v181, 19, v181
	v_lshrrev_b32_e32 v180, 19, v180
	v_cmp_ge_u16_e32 vcc_lo, v181, v180
	s_and_b32 s40, vcc_lo, exec_lo
; %bb.81:
	s_or_b32 exec_lo, exec_lo, s27
	s_orn2_b32 s27, s40, exec_lo
.LBB240_82:
	s_or_b32 exec_lo, exec_lo, s29
	v_cndmask_b32_e64 v180, v177, v179, s27
	v_cndmask_b32_e64 v181, v242, v241, s27
	s_mov_b32 s29, exec_lo
	v_add_nc_u32_e32 v180, 1, v180
	v_add_nc_u32_e32 v181, -1, v181
	v_cndmask_b32_e64 v177, v180, v177, s27
	v_min_u32_e32 v181, v180, v181
	v_cndmask_b32_e64 v179, v179, v180, s27
	v_lshl_add_u32 v181, v181, 1, v102
	ds_read_u16 v181, v181
	s_waitcnt lgkmcnt(0)
	v_cndmask_b32_e64 v193, v181, v210, s27
	v_cndmask_b32_e64 v60, v59, v181, s27
	v_cmpx_lt_u32_e64 v177, v242
	s_cbranch_execz .LBB240_86
; %bb.83:
	s_mov_b32 s40, 0
	s_mov_b32 s28, exec_lo
	v_cmpx_lt_u32_e64 v179, v241
; %bb.84:
	v_mov_b32_e32 v180, 0xcccd
	v_mul_u32_u24_sdwa v181, v193, v180 dst_sel:DWORD dst_unused:UNUSED_PAD src0_sel:WORD_0 src1_sel:DWORD
	v_mul_u32_u24_sdwa v180, v60, v180 dst_sel:DWORD dst_unused:UNUSED_PAD src0_sel:WORD_0 src1_sel:DWORD
	v_lshrrev_b32_e32 v181, 19, v181
	v_lshrrev_b32_e32 v180, 19, v180
	v_cmp_ge_u16_e32 vcc_lo, v181, v180
	s_and_b32 s40, vcc_lo, exec_lo
; %bb.85:
	s_or_b32 exec_lo, exec_lo, s28
	s_orn2_b32 s28, s40, exec_lo
.LBB240_86:
	s_or_b32 exec_lo, exec_lo, s29
	v_cndmask_b32_e64 v180, v177, v179, s28
	v_cndmask_b32_e64 v181, v242, v241, s28
	s_mov_b32 s40, -1
	s_mov_b32 s29, -1
	s_mov_b32 s41, exec_lo
	v_add_nc_u32_e32 v180, 1, v180
	v_add_nc_u32_e32 v181, -1, v181
	v_cndmask_b32_e64 v177, v180, v177, s28
	v_min_u32_e32 v181, v180, v181
	v_cndmask_b32_e64 v179, v179, v180, s28
	v_lshl_add_u32 v181, v181, 1, v102
	ds_read_u16 v181, v181
	s_waitcnt lgkmcnt(0)
	v_cndmask_b32_e64 v197, v181, v193, s28
	v_cndmask_b32_e64 v61, v60, v181, s28
	v_cmpx_lt_u32_e64 v177, v242
	s_cbranch_execz .LBB240_90
; %bb.87:
	s_mov_b32 s42, 0
	s_mov_b32 s29, exec_lo
	v_cmpx_lt_u32_e64 v179, v241
; %bb.88:
	v_mov_b32_e32 v180, 0xcccd
	v_mul_u32_u24_sdwa v181, v197, v180 dst_sel:DWORD dst_unused:UNUSED_PAD src0_sel:WORD_0 src1_sel:DWORD
	v_mul_u32_u24_sdwa v180, v61, v180 dst_sel:DWORD dst_unused:UNUSED_PAD src0_sel:WORD_0 src1_sel:DWORD
	v_lshrrev_b32_e32 v181, 19, v181
	v_lshrrev_b32_e32 v180, 19, v180
	v_cmp_ge_u16_e32 vcc_lo, v181, v180
	s_and_b32 s42, vcc_lo, exec_lo
; %bb.89:
	s_or_b32 exec_lo, exec_lo, s29
	s_orn2_b32 s29, s42, exec_lo
.LBB240_90:
	s_or_b32 exec_lo, exec_lo, s41
	v_cndmask_b32_e64 v180, v177, v179, s29
	v_cndmask_b32_e64 v181, v242, v241, s29
	s_mov_b32 s41, exec_lo
	v_add_nc_u32_e32 v180, 1, v180
	v_add_nc_u32_e32 v181, -1, v181
	v_cndmask_b32_e64 v177, v180, v177, s29
	v_min_u32_e32 v181, v180, v181
	v_cndmask_b32_e64 v179, v179, v180, s29
	v_lshl_add_u32 v181, v181, 1, v102
	ds_read_u16 v181, v181
	s_waitcnt lgkmcnt(0)
	v_cndmask_b32_e64 v195, v181, v197, s29
	v_cndmask_b32_e64 v62, v61, v181, s29
	v_cmpx_lt_u32_e64 v177, v242
	s_cbranch_execz .LBB240_94
; %bb.91:
	s_mov_b32 s42, 0
	s_mov_b32 s40, exec_lo
	v_cmpx_lt_u32_e64 v179, v241
; %bb.92:
	v_mov_b32_e32 v180, 0xcccd
	v_mul_u32_u24_sdwa v181, v195, v180 dst_sel:DWORD dst_unused:UNUSED_PAD src0_sel:WORD_0 src1_sel:DWORD
	v_mul_u32_u24_sdwa v180, v62, v180 dst_sel:DWORD dst_unused:UNUSED_PAD src0_sel:WORD_0 src1_sel:DWORD
	v_lshrrev_b32_e32 v181, 19, v181
	v_lshrrev_b32_e32 v180, 19, v180
	v_cmp_ge_u16_e32 vcc_lo, v181, v180
	s_and_b32 s42, vcc_lo, exec_lo
; %bb.93:
	s_or_b32 exec_lo, exec_lo, s40
	s_orn2_b32 s40, s42, exec_lo
.LBB240_94:
	s_or_b32 exec_lo, exec_lo, s41
	v_cndmask_b32_e64 v180, v177, v179, s40
	v_cndmask_b32_e64 v181, v242, v241, s40
	s_mov_b32 s42, -1
	s_mov_b32 s41, -1
	s_mov_b32 s43, exec_lo
	v_add_nc_u32_e32 v180, 1, v180
	v_add_nc_u32_e32 v181, -1, v181
	v_cndmask_b32_e64 v177, v180, v177, s40
	v_min_u32_e32 v181, v180, v181
	v_cndmask_b32_e64 v179, v179, v180, s40
	v_lshl_add_u32 v181, v181, 1, v102
	ds_read_u16 v181, v181
	s_waitcnt lgkmcnt(0)
	v_cndmask_b32_e64 v196, v181, v195, s40
	v_cndmask_b32_e64 v63, v62, v181, s40
	v_cmpx_lt_u32_e64 v177, v242
	s_cbranch_execz .LBB240_98
; %bb.95:
	s_mov_b32 s44, 0
	s_mov_b32 s41, exec_lo
	v_cmpx_lt_u32_e64 v179, v241
; %bb.96:
	v_mov_b32_e32 v180, 0xcccd
	v_mul_u32_u24_sdwa v181, v196, v180 dst_sel:DWORD dst_unused:UNUSED_PAD src0_sel:WORD_0 src1_sel:DWORD
	v_mul_u32_u24_sdwa v180, v63, v180 dst_sel:DWORD dst_unused:UNUSED_PAD src0_sel:WORD_0 src1_sel:DWORD
	v_lshrrev_b32_e32 v181, 19, v181
	v_lshrrev_b32_e32 v180, 19, v180
	v_cmp_ge_u16_e32 vcc_lo, v181, v180
	s_and_b32 s44, vcc_lo, exec_lo
; %bb.97:
	s_or_b32 exec_lo, exec_lo, s41
	s_orn2_b32 s41, s44, exec_lo
.LBB240_98:
	s_or_b32 exec_lo, exec_lo, s43
	v_cndmask_b32_e64 v180, v177, v179, s41
	v_cndmask_b32_e64 v181, v242, v241, s41
	s_mov_b32 s43, exec_lo
	v_add_nc_u32_e32 v180, 1, v180
	v_add_nc_u32_e32 v181, -1, v181
	v_cndmask_b32_e64 v177, v180, v177, s41
	v_min_u32_e32 v181, v180, v181
	v_cndmask_b32_e64 v179, v179, v180, s41
	v_lshl_add_u32 v181, v181, 1, v102
	ds_read_u16 v181, v181
	s_waitcnt lgkmcnt(0)
	v_cndmask_b32_e64 v194, v181, v196, s41
	v_cndmask_b32_e64 v72, v63, v181, s41
	v_cmpx_lt_u32_e64 v177, v242
	s_cbranch_execz .LBB240_102
; %bb.99:
	s_mov_b32 s44, 0
	s_mov_b32 s42, exec_lo
	v_cmpx_lt_u32_e64 v179, v241
; %bb.100:
	v_mov_b32_e32 v180, 0xcccd
	v_mul_u32_u24_sdwa v181, v194, v180 dst_sel:DWORD dst_unused:UNUSED_PAD src0_sel:WORD_0 src1_sel:DWORD
	v_mul_u32_u24_sdwa v180, v72, v180 dst_sel:DWORD dst_unused:UNUSED_PAD src0_sel:WORD_0 src1_sel:DWORD
	v_lshrrev_b32_e32 v181, 19, v181
	v_lshrrev_b32_e32 v180, 19, v180
	v_cmp_ge_u16_e32 vcc_lo, v181, v180
	s_and_b32 s44, vcc_lo, exec_lo
; %bb.101:
	s_or_b32 exec_lo, exec_lo, s42
	s_orn2_b32 s42, s44, exec_lo
.LBB240_102:
	s_or_b32 exec_lo, exec_lo, s43
	v_cndmask_b32_e64 v180, v177, v179, s42
	v_cndmask_b32_e64 v181, v242, v241, s42
	s_mov_b32 s44, -1
	s_mov_b32 s43, -1
	s_mov_b32 s45, exec_lo
	v_add_nc_u32_e32 v180, 1, v180
	v_add_nc_u32_e32 v181, -1, v181
	v_cndmask_b32_e64 v177, v180, v177, s42
	v_min_u32_e32 v181, v180, v181
	v_cndmask_b32_e64 v179, v179, v180, s42
	v_lshl_add_u32 v181, v181, 1, v102
	ds_read_u16 v181, v181
	s_waitcnt lgkmcnt(0)
	v_cndmask_b32_e64 v198, v181, v194, s42
	v_cndmask_b32_e64 v73, v72, v181, s42
	v_cmpx_lt_u32_e64 v177, v242
	s_cbranch_execz .LBB240_106
; %bb.103:
	s_mov_b32 s46, 0
	s_mov_b32 s43, exec_lo
	v_cmpx_lt_u32_e64 v179, v241
; %bb.104:
	v_mov_b32_e32 v180, 0xcccd
	v_mul_u32_u24_sdwa v181, v198, v180 dst_sel:DWORD dst_unused:UNUSED_PAD src0_sel:WORD_0 src1_sel:DWORD
	v_mul_u32_u24_sdwa v180, v73, v180 dst_sel:DWORD dst_unused:UNUSED_PAD src0_sel:WORD_0 src1_sel:DWORD
	v_lshrrev_b32_e32 v181, 19, v181
	v_lshrrev_b32_e32 v180, 19, v180
	v_cmp_ge_u16_e32 vcc_lo, v181, v180
	s_and_b32 s46, vcc_lo, exec_lo
; %bb.105:
	s_or_b32 exec_lo, exec_lo, s43
	s_orn2_b32 s43, s46, exec_lo
.LBB240_106:
	s_or_b32 exec_lo, exec_lo, s45
	v_cndmask_b32_e64 v180, v177, v179, s43
	v_cndmask_b32_e64 v181, v242, v241, s43
	s_mov_b32 s45, exec_lo
	v_add_nc_u32_e32 v180, 1, v180
	v_add_nc_u32_e32 v181, -1, v181
	v_cndmask_b32_e64 v177, v180, v177, s43
	v_min_u32_e32 v181, v180, v181
	v_cndmask_b32_e64 v179, v179, v180, s43
	v_lshl_add_u32 v181, v181, 1, v102
	ds_read_u16 v182, v181
	s_waitcnt lgkmcnt(0)
	v_cndmask_b32_e64 v181, v182, v198, s43
	v_cndmask_b32_e64 v74, v73, v182, s43
	v_cmpx_lt_u32_e64 v177, v242
	s_cbranch_execz .LBB240_110
; %bb.107:
	s_mov_b32 s46, 0
	s_mov_b32 s44, exec_lo
	v_cmpx_lt_u32_e64 v179, v241
; %bb.108:
	v_mov_b32_e32 v180, 0xcccd
	v_mul_u32_u24_sdwa v182, v181, v180 dst_sel:DWORD dst_unused:UNUSED_PAD src0_sel:WORD_0 src1_sel:DWORD
	v_mul_u32_u24_sdwa v180, v74, v180 dst_sel:DWORD dst_unused:UNUSED_PAD src0_sel:WORD_0 src1_sel:DWORD
	v_lshrrev_b32_e32 v182, 19, v182
	v_lshrrev_b32_e32 v180, 19, v180
	v_cmp_ge_u16_e32 vcc_lo, v182, v180
	s_and_b32 s46, vcc_lo, exec_lo
; %bb.109:
	s_or_b32 exec_lo, exec_lo, s44
	s_orn2_b32 s44, s46, exec_lo
.LBB240_110:
	s_or_b32 exec_lo, exec_lo, s45
	v_cndmask_b32_e64 v180, v177, v179, s44
	v_cndmask_b32_e64 v182, v242, v241, s44
	s_mov_b32 s46, -1
	s_mov_b32 s45, -1
	s_mov_b32 s47, exec_lo
	v_add_nc_u32_e32 v180, 1, v180
	v_add_nc_u32_e32 v182, -1, v182
	v_cndmask_b32_e64 v177, v180, v177, s44
	v_min_u32_e32 v182, v180, v182
	v_cndmask_b32_e64 v179, v179, v180, s44
	v_lshl_add_u32 v182, v182, 1, v102
	ds_read_u16 v182, v182
	s_waitcnt lgkmcnt(0)
	v_cndmask_b32_e64 v192, v182, v181, s44
	v_cndmask_b32_e64 v75, v74, v182, s44
	v_cmpx_lt_u32_e64 v177, v242
	s_cbranch_execz .LBB240_114
; %bb.111:
	s_mov_b32 s56, 0
	s_mov_b32 s45, exec_lo
	v_cmpx_lt_u32_e64 v179, v241
; %bb.112:
	v_mov_b32_e32 v180, 0xcccd
	v_mul_u32_u24_sdwa v182, v192, v180 dst_sel:DWORD dst_unused:UNUSED_PAD src0_sel:WORD_0 src1_sel:DWORD
	v_mul_u32_u24_sdwa v180, v75, v180 dst_sel:DWORD dst_unused:UNUSED_PAD src0_sel:WORD_0 src1_sel:DWORD
	v_lshrrev_b32_e32 v182, 19, v182
	v_lshrrev_b32_e32 v180, 19, v180
	v_cmp_ge_u16_e32 vcc_lo, v182, v180
	s_and_b32 s56, vcc_lo, exec_lo
; %bb.113:
	s_or_b32 exec_lo, exec_lo, s45
	s_orn2_b32 s45, s56, exec_lo
.LBB240_114:
	s_or_b32 exec_lo, exec_lo, s47
	v_cndmask_b32_e64 v180, v177, v179, s45
	v_cndmask_b32_e64 v182, v242, v241, s45
	s_mov_b32 s47, exec_lo
	v_add_nc_u32_e32 v180, 1, v180
	v_add_nc_u32_e32 v182, -1, v182
	v_cndmask_b32_e64 v177, v180, v177, s45
	v_min_u32_e32 v182, v180, v182
	v_cndmask_b32_e64 v179, v179, v180, s45
	v_lshl_add_u32 v182, v182, 1, v102
	ds_read_u16 v182, v182
	s_waitcnt lgkmcnt(0)
	v_cndmask_b32_e64 v183, v182, v192, s45
	v_cndmask_b32_e64 v76, v75, v182, s45
	v_cmpx_lt_u32_e64 v177, v242
	s_cbranch_execz .LBB240_118
; %bb.115:
	s_mov_b32 s56, 0
	s_mov_b32 s46, exec_lo
	v_cmpx_lt_u32_e64 v179, v241
; %bb.116:
	v_mov_b32_e32 v180, 0xcccd
	v_mul_u32_u24_sdwa v182, v183, v180 dst_sel:DWORD dst_unused:UNUSED_PAD src0_sel:WORD_0 src1_sel:DWORD
	v_mul_u32_u24_sdwa v180, v76, v180 dst_sel:DWORD dst_unused:UNUSED_PAD src0_sel:WORD_0 src1_sel:DWORD
	v_lshrrev_b32_e32 v182, 19, v182
	v_lshrrev_b32_e32 v180, 19, v180
	v_cmp_ge_u16_e32 vcc_lo, v182, v180
	s_and_b32 s56, vcc_lo, exec_lo
; %bb.117:
	s_or_b32 exec_lo, exec_lo, s46
	s_orn2_b32 s46, s56, exec_lo
.LBB240_118:
	s_or_b32 exec_lo, exec_lo, s47
	v_cndmask_b32_e64 v180, v177, v179, s46
	v_cndmask_b32_e64 v182, v242, v241, s46
	s_mov_b32 s56, -1
	s_mov_b32 s47, -1
	s_mov_b32 s57, exec_lo
	v_add_nc_u32_e32 v180, 1, v180
	v_add_nc_u32_e32 v182, -1, v182
	v_cndmask_b32_e64 v177, v180, v177, s46
	v_min_u32_e32 v182, v180, v182
	v_cndmask_b32_e64 v179, v179, v180, s46
	v_lshl_add_u32 v182, v182, 1, v102
	ds_read_u16 v77, v182
	s_waitcnt lgkmcnt(0)
	v_cndmask_b32_e64 v182, v77, v183, s46
	v_cndmask_b32_e64 v77, v76, v77, s46
	v_cmpx_lt_u32_e64 v177, v242
	s_cbranch_execz .LBB240_122
; %bb.119:
	s_mov_b32 s58, 0
	s_mov_b32 s47, exec_lo
	v_cmpx_lt_u32_e64 v179, v241
; %bb.120:
	v_mov_b32_e32 v180, 0xcccd
	v_mul_u32_u24_sdwa v78, v182, v180 dst_sel:DWORD dst_unused:UNUSED_PAD src0_sel:WORD_0 src1_sel:DWORD
	v_mul_u32_u24_sdwa v180, v77, v180 dst_sel:DWORD dst_unused:UNUSED_PAD src0_sel:WORD_0 src1_sel:DWORD
	v_lshrrev_b32_e32 v78, 19, v78
	v_lshrrev_b32_e32 v180, 19, v180
	v_cmp_ge_u16_e32 vcc_lo, v78, v180
	s_and_b32 s58, vcc_lo, exec_lo
; %bb.121:
	s_or_b32 exec_lo, exec_lo, s47
	s_orn2_b32 s47, s58, exec_lo
.LBB240_122:
	s_or_b32 exec_lo, exec_lo, s57
	v_cndmask_b32_e64 v180, v177, v179, s47
	v_cndmask_b32_e64 v78, v242, v241, s47
	s_mov_b32 s57, exec_lo
	v_add_nc_u32_e32 v180, 1, v180
	v_add_nc_u32_e32 v78, -1, v78
	v_cndmask_b32_e64 v177, v180, v177, s47
	v_min_u32_e32 v78, v180, v78
	v_cndmask_b32_e64 v179, v179, v180, s47
	v_lshl_add_u32 v78, v78, 1, v102
	ds_read_u16 v78, v78
	s_waitcnt lgkmcnt(0)
	v_cndmask_b32_e64 v180, v78, v182, s47
	v_cndmask_b32_e64 v78, v77, v78, s47
	v_cmpx_lt_u32_e64 v177, v242
	s_cbranch_execz .LBB240_126
; %bb.123:
	s_mov_b32 s58, 0
	s_mov_b32 s56, exec_lo
	v_cmpx_lt_u32_e64 v179, v241
; %bb.124:
	v_mov_b32_e32 v79, 0xcccd
	v_mul_u32_u24_sdwa v88, v180, v79 dst_sel:DWORD dst_unused:UNUSED_PAD src0_sel:WORD_0 src1_sel:DWORD
	v_mul_u32_u24_sdwa v79, v78, v79 dst_sel:DWORD dst_unused:UNUSED_PAD src0_sel:WORD_0 src1_sel:DWORD
	v_lshrrev_b32_e32 v88, 19, v88
	v_lshrrev_b32_e32 v79, 19, v79
	v_cmp_ge_u16_e32 vcc_lo, v88, v79
	s_and_b32 s58, vcc_lo, exec_lo
; %bb.125:
	s_or_b32 exec_lo, exec_lo, s56
	s_orn2_b32 s56, s58, exec_lo
.LBB240_126:
	s_or_b32 exec_lo, exec_lo, s57
	v_cndmask_b32_e64 v79, v177, v179, s56
	v_cndmask_b32_e64 v88, v242, v241, s56
	s_mov_b32 s57, -1
	s_mov_b32 s58, -1
	s_mov_b32 s59, exec_lo
	v_add_nc_u32_e32 v79, 1, v79
	v_add_nc_u32_e32 v88, -1, v88
	v_cndmask_b32_e64 v177, v79, v177, s56
	v_min_u32_e32 v88, v79, v88
	v_lshl_add_u32 v88, v88, 1, v102
	ds_read_u16 v89, v88
	v_cndmask_b32_e64 v88, v179, v79, s56
	s_waitcnt lgkmcnt(0)
	v_cndmask_b32_e64 v179, v89, v180, s56
	v_cndmask_b32_e64 v79, v78, v89, s56
	v_cmpx_lt_u32_e64 v177, v242
	s_cbranch_execz .LBB240_130
; %bb.127:
	s_mov_b32 s60, 0
	s_mov_b32 s58, exec_lo
	v_cmpx_lt_u32_e64 v88, v241
; %bb.128:
	v_mov_b32_e32 v89, 0xcccd
	v_mul_u32_u24_sdwa v90, v179, v89 dst_sel:DWORD dst_unused:UNUSED_PAD src0_sel:WORD_0 src1_sel:DWORD
	v_mul_u32_u24_sdwa v89, v79, v89 dst_sel:DWORD dst_unused:UNUSED_PAD src0_sel:WORD_0 src1_sel:DWORD
	v_lshrrev_b32_e32 v90, 19, v90
	v_lshrrev_b32_e32 v89, 19, v89
	v_cmp_ge_u16_e32 vcc_lo, v90, v89
	s_and_b32 s60, vcc_lo, exec_lo
; %bb.129:
	s_or_b32 exec_lo, exec_lo, s58
	s_orn2_b32 s58, s60, exec_lo
.LBB240_130:
	s_or_b32 exec_lo, exec_lo, s59
	v_cndmask_b32_e64 v89, v177, v88, s58
	v_cndmask_b32_e64 v90, v242, v241, s58
	s_mov_b32 s59, exec_lo
	v_add_nc_u32_e32 v89, 1, v89
	v_add_nc_u32_e32 v90, -1, v90
	v_cndmask_b32_e64 v177, v89, v177, s58
	v_min_u32_e32 v90, v89, v90
	v_lshl_add_u32 v90, v90, 1, v102
	ds_read_u16 v91, v90
	v_cndmask_b32_e64 v90, v88, v89, s58
	s_waitcnt lgkmcnt(0)
	v_cndmask_b32_e64 v88, v91, v179, s58
	v_cndmask_b32_e64 v89, v79, v91, s58
	v_cmpx_lt_u32_e64 v177, v242
	s_cbranch_execz .LBB240_134
; %bb.131:
	s_mov_b32 s60, 0
	s_mov_b32 s57, exec_lo
	v_cmpx_lt_u32_e64 v90, v241
; %bb.132:
	v_mov_b32_e32 v91, 0xcccd
	v_mul_u32_u24_sdwa v92, v88, v91 dst_sel:DWORD dst_unused:UNUSED_PAD src0_sel:WORD_0 src1_sel:DWORD
	v_mul_u32_u24_sdwa v91, v89, v91 dst_sel:DWORD dst_unused:UNUSED_PAD src0_sel:WORD_0 src1_sel:DWORD
	v_lshrrev_b32_e32 v92, 19, v92
	v_lshrrev_b32_e32 v91, 19, v91
	v_cmp_ge_u16_e32 vcc_lo, v92, v91
	s_and_b32 s60, vcc_lo, exec_lo
; %bb.133:
	s_or_b32 exec_lo, exec_lo, s57
	s_orn2_b32 s57, s60, exec_lo
.LBB240_134:
	s_or_b32 exec_lo, exec_lo, s59
	v_cndmask_b32_e64 v91, v177, v90, s57
	v_cndmask_b32_e64 v92, v242, v241, s57
	s_mov_b32 s59, exec_lo
	v_add_nc_u32_e32 v91, 1, v91
	v_add_nc_u32_e32 v92, -1, v92
	v_cndmask_b32_e64 v93, v91, v177, s57
	v_min_u32_e32 v92, v91, v92
	v_lshl_add_u32 v92, v92, 1, v102
	ds_read_u16 v92, v92
	s_waitcnt lgkmcnt(0)
	v_cndmask_b32_e64 v177, v89, v92, s57
	v_cmpx_lt_u32_e64 v93, v242
	s_cbranch_execz .LBB240_138
; %bb.135:
	v_cndmask_b32_e64 v90, v90, v91, s57
	v_cndmask_b32_e64 v242, v92, v88, s57
	s_mov_b32 s60, exec_lo
	v_cmpx_lt_u32_e64 v90, v241
	s_cbranch_execz .LBB240_137
; %bb.136:
	v_mov_b32_e32 v241, 0xcccd
	v_mul_u32_u24_sdwa v90, v242, v241 dst_sel:DWORD dst_unused:UNUSED_PAD src0_sel:WORD_0 src1_sel:DWORD
	v_mul_u32_u24_sdwa v241, v177, v241 dst_sel:DWORD dst_unused:UNUSED_PAD src0_sel:WORD_0 src1_sel:DWORD
	v_lshrrev_b32_e32 v90, 19, v90
	v_lshrrev_b32_e32 v241, 19, v241
	v_cmp_lt_u16_e32 vcc_lo, v90, v241
	v_cndmask_b32_e32 v242, v177, v242, vcc_lo
.LBB240_137:
	s_or_b32 exec_lo, exec_lo, s60
	v_mov_b32_e32 v177, v242
.LBB240_138:
	s_or_b32 exec_lo, exec_lo, s59
	v_cndmask_b32_e64 v179, v179, v79, s58
	v_cndmask_b32_e64 v180, v180, v78, s56
	v_cndmask_b32_e64 v182, v182, v77, s47
	v_cndmask_b32_e64 v183, v183, v76, s46
	v_cndmask_b32_e64 v192, v192, v75, s45
	v_cndmask_b32_e64 v181, v181, v74, s44
	v_cndmask_b32_e64 v198, v198, v73, s43
	v_cndmask_b32_e64 v194, v194, v72, s42
	v_cndmask_b32_e64 v196, v196, v63, s41
	v_cndmask_b32_e64 v195, v195, v62, s40
	v_cndmask_b32_e64 v197, v197, v61, s29
	v_cndmask_b32_e64 v193, v193, v60, s28
	v_cndmask_b32_e64 v210, v210, v59, s27
	v_cndmask_b32_e64 v199, v199, v58, s26
	v_cndmask_b32_e64 v208, v208, v57, s25
	v_cndmask_b32_e64 v209, v209, v56, s24
	v_cndmask_b32_e64 v212, v212, v47, s23
	v_cndmask_b32_e64 v211, v211, v46, s22
	v_cndmask_b32_e64 v225, v225, v45, s21
	v_cndmask_b32_e64 v213, v213, v44, s20
	v_cndmask_b32_e64 v215, v215, v43, s19
	v_cndmask_b32_e64 v214, v214, v42, s18
	v_cndmask_b32_e64 v226, v226, v41, s17
	v_cndmask_b32_e64 v224, v224, v40, s16
	v_cndmask_b32_e64 v240, v240, v247, s15
	v_cndmask_b32_e64 v227, v227, v246, s14
	v_cndmask_b32_e64 v229, v229, v245, s11
	v_cndmask_b32_e64 v228, v228, v244, s10
	v_cndmask_b32_e64 v231, v231, v243, s4
	v_cndmask_b32_e64 v178, v230, v178, s7
	v_cndmask_b32_e64 v230, v88, v89, s57
.LBB240_139:
	s_or_b32 exec_lo, exec_lo, s5
	v_and_b32_e32 v243, 0x380, v112
	v_and_b32_e32 v244, 0x60, v112
	s_mov_b32 s4, exec_lo
	; wave barrier
	v_or_b32_e32 v241, 64, v243
	v_min_u32_e32 v244, v103, v244
	ds_write_b16 v113, v178
	ds_write_b16 v165, v231
	;; [unrolled: 1-line block ×13, first 2 shown]
	v_min_u32_e32 v241, v103, v241
	ds_write_b16 v145, v212
	ds_write_b16 v146, v209
	ds_write_b16 v147, v208
	ds_write_b16 v148, v199
	ds_write_b16 v134, v210
	ds_write_b16 v135, v193
	ds_write_b16 v144, v197
	ds_write_b16 v131, v195
	ds_write_b16 v132, v196
	ds_write_b16 v133, v194
	ds_write_b16 v128, v198
	ds_write_b16 v129, v181
	ds_write_b16 v130, v192
	v_add_nc_u32_e32 v242, 64, v241
	v_sub_nc_u32_e32 v246, v241, v243
	ds_write_b16 v116, v183
	ds_write_b16 v117, v182
	;; [unrolled: 1-line block ×6, first 2 shown]
	; wave barrier
	v_min_u32_e32 v242, v103, v242
	v_min_u32_e32 v246, v244, v246
	v_sub_nc_u32_e32 v245, v242, v241
	v_sub_nc_u32_e64 v245, v244, v245 clamp
	v_cmpx_lt_u32_e64 v245, v246
	s_cbranch_execz .LBB240_143
; %bb.140:
	v_lshlrev_b32_e32 v247, 1, v243
	v_lshlrev_b32_e32 v40, 1, v241
	s_mov_b32 s5, 0
	v_add_co_u32 v247, null, v102, v247
	v_add_co_u32 v40, null, v102, v40
	.p2align	6
.LBB240_141:                            ; =>This Inner Loop Header: Depth=1
	v_add_nc_u32_e32 v41, v246, v245
	v_lshrrev_b32_e32 v42, 1, v41
	v_and_b32_e32 v41, -2, v41
	v_xad_u32 v43, v42, -1, v244
	v_add_nc_u32_e32 v41, v247, v41
	v_add_nc_u32_e32 v44, 1, v42
	v_lshl_add_u32 v43, v43, 1, v40
	ds_read_u16 v41, v41
	ds_read_u16 v43, v43
	s_waitcnt lgkmcnt(1)
	v_mul_u32_u24_e32 v41, 0xcccd, v41
	s_waitcnt lgkmcnt(0)
	v_mul_u32_u24_e32 v43, 0xcccd, v43
	v_lshrrev_b32_e32 v41, 19, v41
	v_lshrrev_b32_e32 v43, 19, v43
	v_cmp_lt_u16_e32 vcc_lo, v43, v41
	v_cndmask_b32_e32 v246, v246, v42, vcc_lo
	v_cndmask_b32_e32 v245, v44, v245, vcc_lo
	v_cmp_ge_u32_e32 vcc_lo, v245, v246
	s_or_b32 s5, vcc_lo, s5
	s_andn2_b32 exec_lo, exec_lo, s5
	s_cbranch_execnz .LBB240_141
; %bb.142:
	s_or_b32 exec_lo, exec_lo, s5
.LBB240_143:
	s_or_b32 exec_lo, exec_lo, s4
	v_add_nc_u32_e32 v244, v241, v244
	v_add_nc_u32_e32 v243, v245, v243
	v_sub_nc_u32_e32 v244, v244, v245
	v_cmp_le_u32_e32 vcc_lo, v243, v241
	v_cmp_le_u32_e64 s4, v244, v242
	s_or_b32 s4, vcc_lo, s4
	s_and_saveexec_b32 s5, s4
	s_cbranch_execz .LBB240_275
; %bb.144:
	s_mov_b32 s7, exec_lo
	v_cmp_ge_u32_e32 vcc_lo, v243, v241
                                        ; implicit-def: $vgpr178
	v_cmpx_lt_u32_e64 v243, v241
; %bb.145:
	v_lshl_add_u32 v177, v243, 1, v102
	ds_read_u16 v178, v177
; %bb.146:
	s_or_b32 exec_lo, exec_lo, s7
	v_cmp_ge_u32_e64 s7, v244, v242
	s_mov_b32 s10, exec_lo
                                        ; implicit-def: $vgpr230
	v_cmpx_lt_u32_e64 v244, v242
; %bb.147:
	v_lshl_add_u32 v177, v244, 1, v102
	ds_read_u16 v230, v177
; %bb.148:
	s_or_b32 exec_lo, exec_lo, s10
	s_nor_b32 s10, vcc_lo, s7
	s_and_saveexec_b32 s4, s10
	s_cbranch_execz .LBB240_150
; %bb.149:
	v_mov_b32_e32 v177, 0xcccd
	s_andn2_b32 s7, s7, exec_lo
	s_waitcnt lgkmcnt(0)
	v_mul_u32_u24_sdwa v179, v230, v177 dst_sel:DWORD dst_unused:UNUSED_PAD src0_sel:WORD_0 src1_sel:DWORD
	v_mul_u32_u24_sdwa v177, v178, v177 dst_sel:DWORD dst_unused:UNUSED_PAD src0_sel:WORD_0 src1_sel:DWORD
	v_lshrrev_b32_e32 v179, 19, v179
	v_lshrrev_b32_e32 v177, 19, v177
	v_cmp_ge_u16_e32 vcc_lo, v179, v177
	s_and_b32 s10, vcc_lo, exec_lo
	s_or_b32 s7, s7, s10
.LBB240_150:
	s_or_b32 exec_lo, exec_lo, s4
	v_cndmask_b32_e64 v177, v244, v243, s7
	v_cndmask_b32_e64 v179, v242, v241, s7
	s_mov_b32 s10, -1
	s_mov_b32 s4, -1
	s_mov_b32 s11, exec_lo
	v_add_nc_u32_e32 v180, 1, v177
	v_add_nc_u32_e32 v177, -1, v179
	v_cndmask_b32_e64 v179, v243, v180, s7
	v_min_u32_e32 v177, v180, v177
	v_lshl_add_u32 v177, v177, 1, v102
	ds_read_u16 v181, v177
	v_cndmask_b32_e64 v177, v180, v244, s7
	s_waitcnt lgkmcnt(0)
	v_cndmask_b32_e64 v231, v181, v230, s7
	v_cndmask_b32_e64 v243, v178, v181, s7
	v_cmpx_lt_u32_e64 v177, v242
	s_cbranch_execz .LBB240_154
; %bb.151:
	s_mov_b32 s14, 0
	s_mov_b32 s4, exec_lo
	v_cmpx_lt_u32_e64 v179, v241
; %bb.152:
	v_mov_b32_e32 v180, 0xcccd
	v_mul_u32_u24_sdwa v181, v231, v180 dst_sel:DWORD dst_unused:UNUSED_PAD src0_sel:WORD_0 src1_sel:DWORD
	v_mul_u32_u24_sdwa v180, v243, v180 dst_sel:DWORD dst_unused:UNUSED_PAD src0_sel:WORD_0 src1_sel:DWORD
	v_lshrrev_b32_e32 v181, 19, v181
	v_lshrrev_b32_e32 v180, 19, v180
	v_cmp_ge_u16_e32 vcc_lo, v181, v180
	s_and_b32 s14, vcc_lo, exec_lo
; %bb.153:
	s_or_b32 exec_lo, exec_lo, s4
	s_orn2_b32 s4, s14, exec_lo
.LBB240_154:
	s_or_b32 exec_lo, exec_lo, s11
	v_cndmask_b32_e64 v180, v177, v179, s4
	v_cndmask_b32_e64 v181, v242, v241, s4
	s_mov_b32 s11, exec_lo
	v_add_nc_u32_e32 v180, 1, v180
	v_add_nc_u32_e32 v181, -1, v181
	v_cndmask_b32_e64 v177, v180, v177, s4
	v_min_u32_e32 v181, v180, v181
	v_cndmask_b32_e64 v179, v179, v180, s4
	v_lshl_add_u32 v181, v181, 1, v102
	ds_read_u16 v181, v181
	s_waitcnt lgkmcnt(0)
	v_cndmask_b32_e64 v228, v181, v231, s4
	v_cndmask_b32_e64 v244, v243, v181, s4
	v_cmpx_lt_u32_e64 v177, v242
	s_cbranch_execz .LBB240_158
; %bb.155:
	s_mov_b32 s14, 0
	s_mov_b32 s10, exec_lo
	v_cmpx_lt_u32_e64 v179, v241
; %bb.156:
	v_mov_b32_e32 v180, 0xcccd
	v_mul_u32_u24_sdwa v181, v228, v180 dst_sel:DWORD dst_unused:UNUSED_PAD src0_sel:WORD_0 src1_sel:DWORD
	v_mul_u32_u24_sdwa v180, v244, v180 dst_sel:DWORD dst_unused:UNUSED_PAD src0_sel:WORD_0 src1_sel:DWORD
	v_lshrrev_b32_e32 v181, 19, v181
	v_lshrrev_b32_e32 v180, 19, v180
	v_cmp_ge_u16_e32 vcc_lo, v181, v180
	s_and_b32 s14, vcc_lo, exec_lo
; %bb.157:
	s_or_b32 exec_lo, exec_lo, s10
	s_orn2_b32 s10, s14, exec_lo
.LBB240_158:
	s_or_b32 exec_lo, exec_lo, s11
	v_cndmask_b32_e64 v180, v177, v179, s10
	v_cndmask_b32_e64 v181, v242, v241, s10
	s_mov_b32 s14, -1
	s_mov_b32 s11, -1
	s_mov_b32 s15, exec_lo
	v_add_nc_u32_e32 v180, 1, v180
	v_add_nc_u32_e32 v181, -1, v181
	v_cndmask_b32_e64 v177, v180, v177, s10
	v_min_u32_e32 v181, v180, v181
	v_cndmask_b32_e64 v179, v179, v180, s10
	v_lshl_add_u32 v181, v181, 1, v102
	ds_read_u16 v181, v181
	s_waitcnt lgkmcnt(0)
	v_cndmask_b32_e64 v229, v181, v228, s10
	v_cndmask_b32_e64 v245, v244, v181, s10
	v_cmpx_lt_u32_e64 v177, v242
	s_cbranch_execz .LBB240_162
; %bb.159:
	s_mov_b32 s16, 0
	s_mov_b32 s11, exec_lo
	v_cmpx_lt_u32_e64 v179, v241
; %bb.160:
	v_mov_b32_e32 v180, 0xcccd
	v_mul_u32_u24_sdwa v181, v229, v180 dst_sel:DWORD dst_unused:UNUSED_PAD src0_sel:WORD_0 src1_sel:DWORD
	v_mul_u32_u24_sdwa v180, v245, v180 dst_sel:DWORD dst_unused:UNUSED_PAD src0_sel:WORD_0 src1_sel:DWORD
	v_lshrrev_b32_e32 v181, 19, v181
	v_lshrrev_b32_e32 v180, 19, v180
	v_cmp_ge_u16_e32 vcc_lo, v181, v180
	s_and_b32 s16, vcc_lo, exec_lo
; %bb.161:
	s_or_b32 exec_lo, exec_lo, s11
	s_orn2_b32 s11, s16, exec_lo
.LBB240_162:
	s_or_b32 exec_lo, exec_lo, s15
	v_cndmask_b32_e64 v180, v177, v179, s11
	v_cndmask_b32_e64 v181, v242, v241, s11
	s_mov_b32 s15, exec_lo
	v_add_nc_u32_e32 v180, 1, v180
	v_add_nc_u32_e32 v181, -1, v181
	v_cndmask_b32_e64 v177, v180, v177, s11
	v_min_u32_e32 v181, v180, v181
	v_cndmask_b32_e64 v179, v179, v180, s11
	v_lshl_add_u32 v181, v181, 1, v102
	ds_read_u16 v181, v181
	s_waitcnt lgkmcnt(0)
	v_cndmask_b32_e64 v227, v181, v229, s11
	v_cndmask_b32_e64 v246, v245, v181, s11
	v_cmpx_lt_u32_e64 v177, v242
	s_cbranch_execz .LBB240_166
; %bb.163:
	s_mov_b32 s16, 0
	s_mov_b32 s14, exec_lo
	v_cmpx_lt_u32_e64 v179, v241
; %bb.164:
	v_mov_b32_e32 v180, 0xcccd
	v_mul_u32_u24_sdwa v181, v227, v180 dst_sel:DWORD dst_unused:UNUSED_PAD src0_sel:WORD_0 src1_sel:DWORD
	v_mul_u32_u24_sdwa v180, v246, v180 dst_sel:DWORD dst_unused:UNUSED_PAD src0_sel:WORD_0 src1_sel:DWORD
	v_lshrrev_b32_e32 v181, 19, v181
	v_lshrrev_b32_e32 v180, 19, v180
	v_cmp_ge_u16_e32 vcc_lo, v181, v180
	s_and_b32 s16, vcc_lo, exec_lo
; %bb.165:
	s_or_b32 exec_lo, exec_lo, s14
	s_orn2_b32 s14, s16, exec_lo
.LBB240_166:
	s_or_b32 exec_lo, exec_lo, s15
	v_cndmask_b32_e64 v180, v177, v179, s14
	v_cndmask_b32_e64 v181, v242, v241, s14
	s_mov_b32 s16, -1
	s_mov_b32 s15, -1
	s_mov_b32 s17, exec_lo
	v_add_nc_u32_e32 v180, 1, v180
	v_add_nc_u32_e32 v181, -1, v181
	v_cndmask_b32_e64 v177, v180, v177, s14
	v_min_u32_e32 v181, v180, v181
	v_cndmask_b32_e64 v179, v179, v180, s14
	v_lshl_add_u32 v181, v181, 1, v102
	ds_read_u16 v181, v181
	s_waitcnt lgkmcnt(0)
	v_cndmask_b32_e64 v240, v181, v227, s14
	v_cndmask_b32_e64 v247, v246, v181, s14
	v_cmpx_lt_u32_e64 v177, v242
	s_cbranch_execz .LBB240_170
; %bb.167:
	s_mov_b32 s18, 0
	s_mov_b32 s15, exec_lo
	v_cmpx_lt_u32_e64 v179, v241
; %bb.168:
	v_mov_b32_e32 v180, 0xcccd
	v_mul_u32_u24_sdwa v181, v240, v180 dst_sel:DWORD dst_unused:UNUSED_PAD src0_sel:WORD_0 src1_sel:DWORD
	v_mul_u32_u24_sdwa v180, v247, v180 dst_sel:DWORD dst_unused:UNUSED_PAD src0_sel:WORD_0 src1_sel:DWORD
	v_lshrrev_b32_e32 v181, 19, v181
	v_lshrrev_b32_e32 v180, 19, v180
	v_cmp_ge_u16_e32 vcc_lo, v181, v180
	s_and_b32 s18, vcc_lo, exec_lo
; %bb.169:
	s_or_b32 exec_lo, exec_lo, s15
	s_orn2_b32 s15, s18, exec_lo
.LBB240_170:
	s_or_b32 exec_lo, exec_lo, s17
	v_cndmask_b32_e64 v180, v177, v179, s15
	v_cndmask_b32_e64 v181, v242, v241, s15
	s_mov_b32 s17, exec_lo
	v_add_nc_u32_e32 v180, 1, v180
	v_add_nc_u32_e32 v181, -1, v181
	v_cndmask_b32_e64 v177, v180, v177, s15
	v_min_u32_e32 v181, v180, v181
	v_cndmask_b32_e64 v179, v179, v180, s15
	v_lshl_add_u32 v181, v181, 1, v102
	ds_read_u16 v181, v181
	s_waitcnt lgkmcnt(0)
	v_cndmask_b32_e64 v224, v181, v240, s15
	v_cndmask_b32_e64 v40, v247, v181, s15
	v_cmpx_lt_u32_e64 v177, v242
	s_cbranch_execz .LBB240_174
; %bb.171:
	s_mov_b32 s18, 0
	s_mov_b32 s16, exec_lo
	v_cmpx_lt_u32_e64 v179, v241
; %bb.172:
	v_mov_b32_e32 v180, 0xcccd
	v_mul_u32_u24_sdwa v181, v224, v180 dst_sel:DWORD dst_unused:UNUSED_PAD src0_sel:WORD_0 src1_sel:DWORD
	v_mul_u32_u24_sdwa v180, v40, v180 dst_sel:DWORD dst_unused:UNUSED_PAD src0_sel:WORD_0 src1_sel:DWORD
	v_lshrrev_b32_e32 v181, 19, v181
	v_lshrrev_b32_e32 v180, 19, v180
	v_cmp_ge_u16_e32 vcc_lo, v181, v180
	s_and_b32 s18, vcc_lo, exec_lo
; %bb.173:
	s_or_b32 exec_lo, exec_lo, s16
	s_orn2_b32 s16, s18, exec_lo
.LBB240_174:
	s_or_b32 exec_lo, exec_lo, s17
	v_cndmask_b32_e64 v180, v177, v179, s16
	v_cndmask_b32_e64 v181, v242, v241, s16
	s_mov_b32 s18, -1
	s_mov_b32 s17, -1
	s_mov_b32 s19, exec_lo
	v_add_nc_u32_e32 v180, 1, v180
	v_add_nc_u32_e32 v181, -1, v181
	v_cndmask_b32_e64 v177, v180, v177, s16
	v_min_u32_e32 v181, v180, v181
	v_cndmask_b32_e64 v179, v179, v180, s16
	v_lshl_add_u32 v181, v181, 1, v102
	ds_read_u16 v181, v181
	s_waitcnt lgkmcnt(0)
	v_cndmask_b32_e64 v226, v181, v224, s16
	v_cndmask_b32_e64 v41, v40, v181, s16
	v_cmpx_lt_u32_e64 v177, v242
	s_cbranch_execz .LBB240_178
; %bb.175:
	s_mov_b32 s20, 0
	s_mov_b32 s17, exec_lo
	v_cmpx_lt_u32_e64 v179, v241
; %bb.176:
	v_mov_b32_e32 v180, 0xcccd
	v_mul_u32_u24_sdwa v181, v226, v180 dst_sel:DWORD dst_unused:UNUSED_PAD src0_sel:WORD_0 src1_sel:DWORD
	v_mul_u32_u24_sdwa v180, v41, v180 dst_sel:DWORD dst_unused:UNUSED_PAD src0_sel:WORD_0 src1_sel:DWORD
	v_lshrrev_b32_e32 v181, 19, v181
	v_lshrrev_b32_e32 v180, 19, v180
	v_cmp_ge_u16_e32 vcc_lo, v181, v180
	s_and_b32 s20, vcc_lo, exec_lo
; %bb.177:
	s_or_b32 exec_lo, exec_lo, s17
	s_orn2_b32 s17, s20, exec_lo
.LBB240_178:
	s_or_b32 exec_lo, exec_lo, s19
	v_cndmask_b32_e64 v180, v177, v179, s17
	v_cndmask_b32_e64 v181, v242, v241, s17
	s_mov_b32 s19, exec_lo
	v_add_nc_u32_e32 v180, 1, v180
	v_add_nc_u32_e32 v181, -1, v181
	v_cndmask_b32_e64 v177, v180, v177, s17
	v_min_u32_e32 v181, v180, v181
	v_cndmask_b32_e64 v179, v179, v180, s17
	v_lshl_add_u32 v181, v181, 1, v102
	ds_read_u16 v181, v181
	s_waitcnt lgkmcnt(0)
	v_cndmask_b32_e64 v214, v181, v226, s17
	v_cndmask_b32_e64 v42, v41, v181, s17
	v_cmpx_lt_u32_e64 v177, v242
	s_cbranch_execz .LBB240_182
; %bb.179:
	s_mov_b32 s20, 0
	s_mov_b32 s18, exec_lo
	v_cmpx_lt_u32_e64 v179, v241
; %bb.180:
	v_mov_b32_e32 v180, 0xcccd
	v_mul_u32_u24_sdwa v181, v214, v180 dst_sel:DWORD dst_unused:UNUSED_PAD src0_sel:WORD_0 src1_sel:DWORD
	v_mul_u32_u24_sdwa v180, v42, v180 dst_sel:DWORD dst_unused:UNUSED_PAD src0_sel:WORD_0 src1_sel:DWORD
	v_lshrrev_b32_e32 v181, 19, v181
	v_lshrrev_b32_e32 v180, 19, v180
	v_cmp_ge_u16_e32 vcc_lo, v181, v180
	s_and_b32 s20, vcc_lo, exec_lo
; %bb.181:
	s_or_b32 exec_lo, exec_lo, s18
	s_orn2_b32 s18, s20, exec_lo
.LBB240_182:
	s_or_b32 exec_lo, exec_lo, s19
	v_cndmask_b32_e64 v180, v177, v179, s18
	v_cndmask_b32_e64 v181, v242, v241, s18
	s_mov_b32 s20, -1
	s_mov_b32 s19, -1
	s_mov_b32 s21, exec_lo
	v_add_nc_u32_e32 v180, 1, v180
	v_add_nc_u32_e32 v181, -1, v181
	v_cndmask_b32_e64 v177, v180, v177, s18
	v_min_u32_e32 v181, v180, v181
	v_cndmask_b32_e64 v179, v179, v180, s18
	v_lshl_add_u32 v181, v181, 1, v102
	ds_read_u16 v181, v181
	s_waitcnt lgkmcnt(0)
	v_cndmask_b32_e64 v215, v181, v214, s18
	v_cndmask_b32_e64 v43, v42, v181, s18
	v_cmpx_lt_u32_e64 v177, v242
	s_cbranch_execz .LBB240_186
; %bb.183:
	s_mov_b32 s22, 0
	s_mov_b32 s19, exec_lo
	v_cmpx_lt_u32_e64 v179, v241
; %bb.184:
	v_mov_b32_e32 v180, 0xcccd
	v_mul_u32_u24_sdwa v181, v215, v180 dst_sel:DWORD dst_unused:UNUSED_PAD src0_sel:WORD_0 src1_sel:DWORD
	v_mul_u32_u24_sdwa v180, v43, v180 dst_sel:DWORD dst_unused:UNUSED_PAD src0_sel:WORD_0 src1_sel:DWORD
	v_lshrrev_b32_e32 v181, 19, v181
	v_lshrrev_b32_e32 v180, 19, v180
	v_cmp_ge_u16_e32 vcc_lo, v181, v180
	s_and_b32 s22, vcc_lo, exec_lo
; %bb.185:
	s_or_b32 exec_lo, exec_lo, s19
	s_orn2_b32 s19, s22, exec_lo
.LBB240_186:
	s_or_b32 exec_lo, exec_lo, s21
	v_cndmask_b32_e64 v180, v177, v179, s19
	v_cndmask_b32_e64 v181, v242, v241, s19
	s_mov_b32 s21, exec_lo
	v_add_nc_u32_e32 v180, 1, v180
	v_add_nc_u32_e32 v181, -1, v181
	v_cndmask_b32_e64 v177, v180, v177, s19
	v_min_u32_e32 v181, v180, v181
	v_cndmask_b32_e64 v179, v179, v180, s19
	v_lshl_add_u32 v181, v181, 1, v102
	ds_read_u16 v181, v181
	s_waitcnt lgkmcnt(0)
	v_cndmask_b32_e64 v213, v181, v215, s19
	v_cndmask_b32_e64 v44, v43, v181, s19
	v_cmpx_lt_u32_e64 v177, v242
	s_cbranch_execz .LBB240_190
; %bb.187:
	s_mov_b32 s22, 0
	s_mov_b32 s20, exec_lo
	v_cmpx_lt_u32_e64 v179, v241
; %bb.188:
	v_mov_b32_e32 v180, 0xcccd
	v_mul_u32_u24_sdwa v181, v213, v180 dst_sel:DWORD dst_unused:UNUSED_PAD src0_sel:WORD_0 src1_sel:DWORD
	v_mul_u32_u24_sdwa v180, v44, v180 dst_sel:DWORD dst_unused:UNUSED_PAD src0_sel:WORD_0 src1_sel:DWORD
	v_lshrrev_b32_e32 v181, 19, v181
	v_lshrrev_b32_e32 v180, 19, v180
	v_cmp_ge_u16_e32 vcc_lo, v181, v180
	s_and_b32 s22, vcc_lo, exec_lo
; %bb.189:
	s_or_b32 exec_lo, exec_lo, s20
	s_orn2_b32 s20, s22, exec_lo
.LBB240_190:
	s_or_b32 exec_lo, exec_lo, s21
	v_cndmask_b32_e64 v180, v177, v179, s20
	v_cndmask_b32_e64 v181, v242, v241, s20
	s_mov_b32 s22, -1
	s_mov_b32 s21, -1
	s_mov_b32 s23, exec_lo
	v_add_nc_u32_e32 v180, 1, v180
	v_add_nc_u32_e32 v181, -1, v181
	v_cndmask_b32_e64 v177, v180, v177, s20
	v_min_u32_e32 v181, v180, v181
	v_cndmask_b32_e64 v179, v179, v180, s20
	v_lshl_add_u32 v181, v181, 1, v102
	ds_read_u16 v181, v181
	s_waitcnt lgkmcnt(0)
	v_cndmask_b32_e64 v225, v181, v213, s20
	v_cndmask_b32_e64 v45, v44, v181, s20
	v_cmpx_lt_u32_e64 v177, v242
	s_cbranch_execz .LBB240_194
; %bb.191:
	s_mov_b32 s24, 0
	s_mov_b32 s21, exec_lo
	v_cmpx_lt_u32_e64 v179, v241
; %bb.192:
	v_mov_b32_e32 v180, 0xcccd
	v_mul_u32_u24_sdwa v181, v225, v180 dst_sel:DWORD dst_unused:UNUSED_PAD src0_sel:WORD_0 src1_sel:DWORD
	v_mul_u32_u24_sdwa v180, v45, v180 dst_sel:DWORD dst_unused:UNUSED_PAD src0_sel:WORD_0 src1_sel:DWORD
	v_lshrrev_b32_e32 v181, 19, v181
	v_lshrrev_b32_e32 v180, 19, v180
	v_cmp_ge_u16_e32 vcc_lo, v181, v180
	s_and_b32 s24, vcc_lo, exec_lo
; %bb.193:
	s_or_b32 exec_lo, exec_lo, s21
	s_orn2_b32 s21, s24, exec_lo
.LBB240_194:
	s_or_b32 exec_lo, exec_lo, s23
	v_cndmask_b32_e64 v180, v177, v179, s21
	v_cndmask_b32_e64 v181, v242, v241, s21
	s_mov_b32 s23, exec_lo
	v_add_nc_u32_e32 v180, 1, v180
	v_add_nc_u32_e32 v181, -1, v181
	v_cndmask_b32_e64 v177, v180, v177, s21
	v_min_u32_e32 v181, v180, v181
	v_cndmask_b32_e64 v179, v179, v180, s21
	v_lshl_add_u32 v181, v181, 1, v102
	ds_read_u16 v181, v181
	s_waitcnt lgkmcnt(0)
	v_cndmask_b32_e64 v211, v181, v225, s21
	v_cndmask_b32_e64 v46, v45, v181, s21
	v_cmpx_lt_u32_e64 v177, v242
	s_cbranch_execz .LBB240_198
; %bb.195:
	s_mov_b32 s24, 0
	s_mov_b32 s22, exec_lo
	v_cmpx_lt_u32_e64 v179, v241
; %bb.196:
	v_mov_b32_e32 v180, 0xcccd
	v_mul_u32_u24_sdwa v181, v211, v180 dst_sel:DWORD dst_unused:UNUSED_PAD src0_sel:WORD_0 src1_sel:DWORD
	v_mul_u32_u24_sdwa v180, v46, v180 dst_sel:DWORD dst_unused:UNUSED_PAD src0_sel:WORD_0 src1_sel:DWORD
	v_lshrrev_b32_e32 v181, 19, v181
	v_lshrrev_b32_e32 v180, 19, v180
	v_cmp_ge_u16_e32 vcc_lo, v181, v180
	s_and_b32 s24, vcc_lo, exec_lo
; %bb.197:
	s_or_b32 exec_lo, exec_lo, s22
	s_orn2_b32 s22, s24, exec_lo
.LBB240_198:
	s_or_b32 exec_lo, exec_lo, s23
	v_cndmask_b32_e64 v180, v177, v179, s22
	v_cndmask_b32_e64 v181, v242, v241, s22
	s_mov_b32 s24, -1
	s_mov_b32 s23, -1
	s_mov_b32 s25, exec_lo
	v_add_nc_u32_e32 v180, 1, v180
	v_add_nc_u32_e32 v181, -1, v181
	v_cndmask_b32_e64 v177, v180, v177, s22
	v_min_u32_e32 v181, v180, v181
	v_cndmask_b32_e64 v179, v179, v180, s22
	v_lshl_add_u32 v181, v181, 1, v102
	ds_read_u16 v181, v181
	s_waitcnt lgkmcnt(0)
	v_cndmask_b32_e64 v212, v181, v211, s22
	v_cndmask_b32_e64 v47, v46, v181, s22
	v_cmpx_lt_u32_e64 v177, v242
	s_cbranch_execz .LBB240_202
; %bb.199:
	s_mov_b32 s26, 0
	s_mov_b32 s23, exec_lo
	v_cmpx_lt_u32_e64 v179, v241
; %bb.200:
	v_mov_b32_e32 v180, 0xcccd
	v_mul_u32_u24_sdwa v181, v212, v180 dst_sel:DWORD dst_unused:UNUSED_PAD src0_sel:WORD_0 src1_sel:DWORD
	v_mul_u32_u24_sdwa v180, v47, v180 dst_sel:DWORD dst_unused:UNUSED_PAD src0_sel:WORD_0 src1_sel:DWORD
	v_lshrrev_b32_e32 v181, 19, v181
	v_lshrrev_b32_e32 v180, 19, v180
	v_cmp_ge_u16_e32 vcc_lo, v181, v180
	s_and_b32 s26, vcc_lo, exec_lo
; %bb.201:
	s_or_b32 exec_lo, exec_lo, s23
	s_orn2_b32 s23, s26, exec_lo
.LBB240_202:
	s_or_b32 exec_lo, exec_lo, s25
	v_cndmask_b32_e64 v180, v177, v179, s23
	v_cndmask_b32_e64 v181, v242, v241, s23
	s_mov_b32 s25, exec_lo
	v_add_nc_u32_e32 v180, 1, v180
	v_add_nc_u32_e32 v181, -1, v181
	v_cndmask_b32_e64 v177, v180, v177, s23
	v_min_u32_e32 v181, v180, v181
	v_cndmask_b32_e64 v179, v179, v180, s23
	v_lshl_add_u32 v181, v181, 1, v102
	ds_read_u16 v181, v181
	s_waitcnt lgkmcnt(0)
	v_cndmask_b32_e64 v209, v181, v212, s23
	v_cndmask_b32_e64 v56, v47, v181, s23
	v_cmpx_lt_u32_e64 v177, v242
	s_cbranch_execz .LBB240_206
; %bb.203:
	s_mov_b32 s26, 0
	s_mov_b32 s24, exec_lo
	v_cmpx_lt_u32_e64 v179, v241
; %bb.204:
	v_mov_b32_e32 v180, 0xcccd
	v_mul_u32_u24_sdwa v181, v209, v180 dst_sel:DWORD dst_unused:UNUSED_PAD src0_sel:WORD_0 src1_sel:DWORD
	v_mul_u32_u24_sdwa v180, v56, v180 dst_sel:DWORD dst_unused:UNUSED_PAD src0_sel:WORD_0 src1_sel:DWORD
	v_lshrrev_b32_e32 v181, 19, v181
	v_lshrrev_b32_e32 v180, 19, v180
	v_cmp_ge_u16_e32 vcc_lo, v181, v180
	s_and_b32 s26, vcc_lo, exec_lo
; %bb.205:
	s_or_b32 exec_lo, exec_lo, s24
	s_orn2_b32 s24, s26, exec_lo
.LBB240_206:
	s_or_b32 exec_lo, exec_lo, s25
	v_cndmask_b32_e64 v180, v177, v179, s24
	v_cndmask_b32_e64 v181, v242, v241, s24
	s_mov_b32 s26, -1
	s_mov_b32 s25, -1
	s_mov_b32 s27, exec_lo
	v_add_nc_u32_e32 v180, 1, v180
	v_add_nc_u32_e32 v181, -1, v181
	v_cndmask_b32_e64 v177, v180, v177, s24
	v_min_u32_e32 v181, v180, v181
	v_cndmask_b32_e64 v179, v179, v180, s24
	v_lshl_add_u32 v181, v181, 1, v102
	ds_read_u16 v181, v181
	s_waitcnt lgkmcnt(0)
	v_cndmask_b32_e64 v208, v181, v209, s24
	v_cndmask_b32_e64 v57, v56, v181, s24
	v_cmpx_lt_u32_e64 v177, v242
	s_cbranch_execz .LBB240_210
; %bb.207:
	s_mov_b32 s28, 0
	s_mov_b32 s25, exec_lo
	v_cmpx_lt_u32_e64 v179, v241
; %bb.208:
	v_mov_b32_e32 v180, 0xcccd
	v_mul_u32_u24_sdwa v181, v208, v180 dst_sel:DWORD dst_unused:UNUSED_PAD src0_sel:WORD_0 src1_sel:DWORD
	v_mul_u32_u24_sdwa v180, v57, v180 dst_sel:DWORD dst_unused:UNUSED_PAD src0_sel:WORD_0 src1_sel:DWORD
	v_lshrrev_b32_e32 v181, 19, v181
	v_lshrrev_b32_e32 v180, 19, v180
	v_cmp_ge_u16_e32 vcc_lo, v181, v180
	s_and_b32 s28, vcc_lo, exec_lo
; %bb.209:
	s_or_b32 exec_lo, exec_lo, s25
	s_orn2_b32 s25, s28, exec_lo
.LBB240_210:
	s_or_b32 exec_lo, exec_lo, s27
	v_cndmask_b32_e64 v180, v177, v179, s25
	v_cndmask_b32_e64 v181, v242, v241, s25
	s_mov_b32 s27, exec_lo
	v_add_nc_u32_e32 v180, 1, v180
	v_add_nc_u32_e32 v181, -1, v181
	v_cndmask_b32_e64 v177, v180, v177, s25
	v_min_u32_e32 v181, v180, v181
	v_cndmask_b32_e64 v179, v179, v180, s25
	v_lshl_add_u32 v181, v181, 1, v102
	ds_read_u16 v181, v181
	s_waitcnt lgkmcnt(0)
	v_cndmask_b32_e64 v199, v181, v208, s25
	v_cndmask_b32_e64 v58, v57, v181, s25
	v_cmpx_lt_u32_e64 v177, v242
	s_cbranch_execz .LBB240_214
; %bb.211:
	s_mov_b32 s28, 0
	s_mov_b32 s26, exec_lo
	v_cmpx_lt_u32_e64 v179, v241
; %bb.212:
	v_mov_b32_e32 v180, 0xcccd
	v_mul_u32_u24_sdwa v181, v199, v180 dst_sel:DWORD dst_unused:UNUSED_PAD src0_sel:WORD_0 src1_sel:DWORD
	v_mul_u32_u24_sdwa v180, v58, v180 dst_sel:DWORD dst_unused:UNUSED_PAD src0_sel:WORD_0 src1_sel:DWORD
	v_lshrrev_b32_e32 v181, 19, v181
	v_lshrrev_b32_e32 v180, 19, v180
	v_cmp_ge_u16_e32 vcc_lo, v181, v180
	s_and_b32 s28, vcc_lo, exec_lo
; %bb.213:
	s_or_b32 exec_lo, exec_lo, s26
	s_orn2_b32 s26, s28, exec_lo
.LBB240_214:
	s_or_b32 exec_lo, exec_lo, s27
	v_cndmask_b32_e64 v180, v177, v179, s26
	v_cndmask_b32_e64 v181, v242, v241, s26
	s_mov_b32 s28, -1
	s_mov_b32 s27, -1
	s_mov_b32 s29, exec_lo
	v_add_nc_u32_e32 v180, 1, v180
	v_add_nc_u32_e32 v181, -1, v181
	v_cndmask_b32_e64 v177, v180, v177, s26
	v_min_u32_e32 v181, v180, v181
	v_cndmask_b32_e64 v179, v179, v180, s26
	v_lshl_add_u32 v181, v181, 1, v102
	ds_read_u16 v181, v181
	s_waitcnt lgkmcnt(0)
	v_cndmask_b32_e64 v210, v181, v199, s26
	v_cndmask_b32_e64 v59, v58, v181, s26
	v_cmpx_lt_u32_e64 v177, v242
	s_cbranch_execz .LBB240_218
; %bb.215:
	s_mov_b32 s40, 0
	s_mov_b32 s27, exec_lo
	v_cmpx_lt_u32_e64 v179, v241
; %bb.216:
	v_mov_b32_e32 v180, 0xcccd
	v_mul_u32_u24_sdwa v181, v210, v180 dst_sel:DWORD dst_unused:UNUSED_PAD src0_sel:WORD_0 src1_sel:DWORD
	v_mul_u32_u24_sdwa v180, v59, v180 dst_sel:DWORD dst_unused:UNUSED_PAD src0_sel:WORD_0 src1_sel:DWORD
	v_lshrrev_b32_e32 v181, 19, v181
	v_lshrrev_b32_e32 v180, 19, v180
	v_cmp_ge_u16_e32 vcc_lo, v181, v180
	s_and_b32 s40, vcc_lo, exec_lo
; %bb.217:
	s_or_b32 exec_lo, exec_lo, s27
	s_orn2_b32 s27, s40, exec_lo
.LBB240_218:
	s_or_b32 exec_lo, exec_lo, s29
	v_cndmask_b32_e64 v180, v177, v179, s27
	v_cndmask_b32_e64 v181, v242, v241, s27
	s_mov_b32 s29, exec_lo
	v_add_nc_u32_e32 v180, 1, v180
	v_add_nc_u32_e32 v181, -1, v181
	v_cndmask_b32_e64 v177, v180, v177, s27
	v_min_u32_e32 v181, v180, v181
	v_cndmask_b32_e64 v179, v179, v180, s27
	v_lshl_add_u32 v181, v181, 1, v102
	ds_read_u16 v181, v181
	s_waitcnt lgkmcnt(0)
	v_cndmask_b32_e64 v193, v181, v210, s27
	v_cndmask_b32_e64 v60, v59, v181, s27
	v_cmpx_lt_u32_e64 v177, v242
	s_cbranch_execz .LBB240_222
; %bb.219:
	s_mov_b32 s40, 0
	s_mov_b32 s28, exec_lo
	v_cmpx_lt_u32_e64 v179, v241
; %bb.220:
	v_mov_b32_e32 v180, 0xcccd
	v_mul_u32_u24_sdwa v181, v193, v180 dst_sel:DWORD dst_unused:UNUSED_PAD src0_sel:WORD_0 src1_sel:DWORD
	v_mul_u32_u24_sdwa v180, v60, v180 dst_sel:DWORD dst_unused:UNUSED_PAD src0_sel:WORD_0 src1_sel:DWORD
	v_lshrrev_b32_e32 v181, 19, v181
	v_lshrrev_b32_e32 v180, 19, v180
	v_cmp_ge_u16_e32 vcc_lo, v181, v180
	s_and_b32 s40, vcc_lo, exec_lo
; %bb.221:
	s_or_b32 exec_lo, exec_lo, s28
	s_orn2_b32 s28, s40, exec_lo
.LBB240_222:
	s_or_b32 exec_lo, exec_lo, s29
	v_cndmask_b32_e64 v180, v177, v179, s28
	v_cndmask_b32_e64 v181, v242, v241, s28
	s_mov_b32 s40, -1
	s_mov_b32 s29, -1
	s_mov_b32 s41, exec_lo
	v_add_nc_u32_e32 v180, 1, v180
	v_add_nc_u32_e32 v181, -1, v181
	v_cndmask_b32_e64 v177, v180, v177, s28
	v_min_u32_e32 v181, v180, v181
	v_cndmask_b32_e64 v179, v179, v180, s28
	v_lshl_add_u32 v181, v181, 1, v102
	ds_read_u16 v181, v181
	s_waitcnt lgkmcnt(0)
	v_cndmask_b32_e64 v197, v181, v193, s28
	v_cndmask_b32_e64 v61, v60, v181, s28
	v_cmpx_lt_u32_e64 v177, v242
	s_cbranch_execz .LBB240_226
; %bb.223:
	s_mov_b32 s42, 0
	s_mov_b32 s29, exec_lo
	v_cmpx_lt_u32_e64 v179, v241
; %bb.224:
	v_mov_b32_e32 v180, 0xcccd
	v_mul_u32_u24_sdwa v181, v197, v180 dst_sel:DWORD dst_unused:UNUSED_PAD src0_sel:WORD_0 src1_sel:DWORD
	v_mul_u32_u24_sdwa v180, v61, v180 dst_sel:DWORD dst_unused:UNUSED_PAD src0_sel:WORD_0 src1_sel:DWORD
	v_lshrrev_b32_e32 v181, 19, v181
	v_lshrrev_b32_e32 v180, 19, v180
	v_cmp_ge_u16_e32 vcc_lo, v181, v180
	s_and_b32 s42, vcc_lo, exec_lo
; %bb.225:
	s_or_b32 exec_lo, exec_lo, s29
	s_orn2_b32 s29, s42, exec_lo
.LBB240_226:
	s_or_b32 exec_lo, exec_lo, s41
	v_cndmask_b32_e64 v180, v177, v179, s29
	v_cndmask_b32_e64 v181, v242, v241, s29
	s_mov_b32 s41, exec_lo
	v_add_nc_u32_e32 v180, 1, v180
	v_add_nc_u32_e32 v181, -1, v181
	v_cndmask_b32_e64 v177, v180, v177, s29
	v_min_u32_e32 v181, v180, v181
	v_cndmask_b32_e64 v179, v179, v180, s29
	v_lshl_add_u32 v181, v181, 1, v102
	ds_read_u16 v181, v181
	s_waitcnt lgkmcnt(0)
	v_cndmask_b32_e64 v195, v181, v197, s29
	v_cndmask_b32_e64 v62, v61, v181, s29
	v_cmpx_lt_u32_e64 v177, v242
	s_cbranch_execz .LBB240_230
; %bb.227:
	s_mov_b32 s42, 0
	s_mov_b32 s40, exec_lo
	v_cmpx_lt_u32_e64 v179, v241
; %bb.228:
	v_mov_b32_e32 v180, 0xcccd
	v_mul_u32_u24_sdwa v181, v195, v180 dst_sel:DWORD dst_unused:UNUSED_PAD src0_sel:WORD_0 src1_sel:DWORD
	v_mul_u32_u24_sdwa v180, v62, v180 dst_sel:DWORD dst_unused:UNUSED_PAD src0_sel:WORD_0 src1_sel:DWORD
	v_lshrrev_b32_e32 v181, 19, v181
	v_lshrrev_b32_e32 v180, 19, v180
	v_cmp_ge_u16_e32 vcc_lo, v181, v180
	s_and_b32 s42, vcc_lo, exec_lo
; %bb.229:
	s_or_b32 exec_lo, exec_lo, s40
	s_orn2_b32 s40, s42, exec_lo
.LBB240_230:
	s_or_b32 exec_lo, exec_lo, s41
	v_cndmask_b32_e64 v180, v177, v179, s40
	v_cndmask_b32_e64 v181, v242, v241, s40
	s_mov_b32 s42, -1
	s_mov_b32 s41, -1
	s_mov_b32 s43, exec_lo
	v_add_nc_u32_e32 v180, 1, v180
	v_add_nc_u32_e32 v181, -1, v181
	v_cndmask_b32_e64 v177, v180, v177, s40
	v_min_u32_e32 v181, v180, v181
	v_cndmask_b32_e64 v179, v179, v180, s40
	v_lshl_add_u32 v181, v181, 1, v102
	ds_read_u16 v181, v181
	s_waitcnt lgkmcnt(0)
	v_cndmask_b32_e64 v196, v181, v195, s40
	v_cndmask_b32_e64 v63, v62, v181, s40
	v_cmpx_lt_u32_e64 v177, v242
	s_cbranch_execz .LBB240_234
; %bb.231:
	s_mov_b32 s44, 0
	s_mov_b32 s41, exec_lo
	v_cmpx_lt_u32_e64 v179, v241
; %bb.232:
	v_mov_b32_e32 v180, 0xcccd
	v_mul_u32_u24_sdwa v181, v196, v180 dst_sel:DWORD dst_unused:UNUSED_PAD src0_sel:WORD_0 src1_sel:DWORD
	v_mul_u32_u24_sdwa v180, v63, v180 dst_sel:DWORD dst_unused:UNUSED_PAD src0_sel:WORD_0 src1_sel:DWORD
	v_lshrrev_b32_e32 v181, 19, v181
	v_lshrrev_b32_e32 v180, 19, v180
	v_cmp_ge_u16_e32 vcc_lo, v181, v180
	s_and_b32 s44, vcc_lo, exec_lo
; %bb.233:
	s_or_b32 exec_lo, exec_lo, s41
	s_orn2_b32 s41, s44, exec_lo
.LBB240_234:
	s_or_b32 exec_lo, exec_lo, s43
	v_cndmask_b32_e64 v180, v177, v179, s41
	v_cndmask_b32_e64 v181, v242, v241, s41
	s_mov_b32 s43, exec_lo
	v_add_nc_u32_e32 v180, 1, v180
	v_add_nc_u32_e32 v181, -1, v181
	v_cndmask_b32_e64 v177, v180, v177, s41
	v_min_u32_e32 v181, v180, v181
	v_cndmask_b32_e64 v179, v179, v180, s41
	v_lshl_add_u32 v181, v181, 1, v102
	ds_read_u16 v181, v181
	s_waitcnt lgkmcnt(0)
	v_cndmask_b32_e64 v194, v181, v196, s41
	v_cndmask_b32_e64 v72, v63, v181, s41
	v_cmpx_lt_u32_e64 v177, v242
	s_cbranch_execz .LBB240_238
; %bb.235:
	s_mov_b32 s44, 0
	s_mov_b32 s42, exec_lo
	v_cmpx_lt_u32_e64 v179, v241
; %bb.236:
	v_mov_b32_e32 v180, 0xcccd
	v_mul_u32_u24_sdwa v181, v194, v180 dst_sel:DWORD dst_unused:UNUSED_PAD src0_sel:WORD_0 src1_sel:DWORD
	v_mul_u32_u24_sdwa v180, v72, v180 dst_sel:DWORD dst_unused:UNUSED_PAD src0_sel:WORD_0 src1_sel:DWORD
	v_lshrrev_b32_e32 v181, 19, v181
	v_lshrrev_b32_e32 v180, 19, v180
	v_cmp_ge_u16_e32 vcc_lo, v181, v180
	s_and_b32 s44, vcc_lo, exec_lo
; %bb.237:
	s_or_b32 exec_lo, exec_lo, s42
	s_orn2_b32 s42, s44, exec_lo
.LBB240_238:
	s_or_b32 exec_lo, exec_lo, s43
	v_cndmask_b32_e64 v180, v177, v179, s42
	v_cndmask_b32_e64 v181, v242, v241, s42
	s_mov_b32 s44, -1
	s_mov_b32 s43, -1
	s_mov_b32 s45, exec_lo
	v_add_nc_u32_e32 v180, 1, v180
	v_add_nc_u32_e32 v181, -1, v181
	v_cndmask_b32_e64 v177, v180, v177, s42
	v_min_u32_e32 v181, v180, v181
	v_cndmask_b32_e64 v179, v179, v180, s42
	v_lshl_add_u32 v181, v181, 1, v102
	ds_read_u16 v181, v181
	s_waitcnt lgkmcnt(0)
	v_cndmask_b32_e64 v198, v181, v194, s42
	v_cndmask_b32_e64 v73, v72, v181, s42
	v_cmpx_lt_u32_e64 v177, v242
	s_cbranch_execz .LBB240_242
; %bb.239:
	s_mov_b32 s46, 0
	s_mov_b32 s43, exec_lo
	v_cmpx_lt_u32_e64 v179, v241
; %bb.240:
	v_mov_b32_e32 v180, 0xcccd
	v_mul_u32_u24_sdwa v181, v198, v180 dst_sel:DWORD dst_unused:UNUSED_PAD src0_sel:WORD_0 src1_sel:DWORD
	v_mul_u32_u24_sdwa v180, v73, v180 dst_sel:DWORD dst_unused:UNUSED_PAD src0_sel:WORD_0 src1_sel:DWORD
	v_lshrrev_b32_e32 v181, 19, v181
	v_lshrrev_b32_e32 v180, 19, v180
	v_cmp_ge_u16_e32 vcc_lo, v181, v180
	s_and_b32 s46, vcc_lo, exec_lo
; %bb.241:
	s_or_b32 exec_lo, exec_lo, s43
	s_orn2_b32 s43, s46, exec_lo
.LBB240_242:
	s_or_b32 exec_lo, exec_lo, s45
	v_cndmask_b32_e64 v180, v177, v179, s43
	v_cndmask_b32_e64 v181, v242, v241, s43
	s_mov_b32 s45, exec_lo
	v_add_nc_u32_e32 v180, 1, v180
	v_add_nc_u32_e32 v181, -1, v181
	v_cndmask_b32_e64 v177, v180, v177, s43
	v_min_u32_e32 v181, v180, v181
	v_cndmask_b32_e64 v179, v179, v180, s43
	v_lshl_add_u32 v181, v181, 1, v102
	ds_read_u16 v182, v181
	s_waitcnt lgkmcnt(0)
	v_cndmask_b32_e64 v181, v182, v198, s43
	v_cndmask_b32_e64 v74, v73, v182, s43
	v_cmpx_lt_u32_e64 v177, v242
	s_cbranch_execz .LBB240_246
; %bb.243:
	s_mov_b32 s46, 0
	s_mov_b32 s44, exec_lo
	v_cmpx_lt_u32_e64 v179, v241
; %bb.244:
	v_mov_b32_e32 v180, 0xcccd
	v_mul_u32_u24_sdwa v182, v181, v180 dst_sel:DWORD dst_unused:UNUSED_PAD src0_sel:WORD_0 src1_sel:DWORD
	v_mul_u32_u24_sdwa v180, v74, v180 dst_sel:DWORD dst_unused:UNUSED_PAD src0_sel:WORD_0 src1_sel:DWORD
	v_lshrrev_b32_e32 v182, 19, v182
	v_lshrrev_b32_e32 v180, 19, v180
	v_cmp_ge_u16_e32 vcc_lo, v182, v180
	s_and_b32 s46, vcc_lo, exec_lo
; %bb.245:
	s_or_b32 exec_lo, exec_lo, s44
	s_orn2_b32 s44, s46, exec_lo
.LBB240_246:
	s_or_b32 exec_lo, exec_lo, s45
	v_cndmask_b32_e64 v180, v177, v179, s44
	v_cndmask_b32_e64 v182, v242, v241, s44
	s_mov_b32 s46, -1
	s_mov_b32 s45, -1
	s_mov_b32 s47, exec_lo
	v_add_nc_u32_e32 v180, 1, v180
	v_add_nc_u32_e32 v182, -1, v182
	v_cndmask_b32_e64 v177, v180, v177, s44
	v_min_u32_e32 v182, v180, v182
	v_cndmask_b32_e64 v179, v179, v180, s44
	v_lshl_add_u32 v182, v182, 1, v102
	ds_read_u16 v182, v182
	s_waitcnt lgkmcnt(0)
	v_cndmask_b32_e64 v192, v182, v181, s44
	v_cndmask_b32_e64 v75, v74, v182, s44
	v_cmpx_lt_u32_e64 v177, v242
	s_cbranch_execz .LBB240_250
; %bb.247:
	s_mov_b32 s56, 0
	s_mov_b32 s45, exec_lo
	v_cmpx_lt_u32_e64 v179, v241
; %bb.248:
	v_mov_b32_e32 v180, 0xcccd
	v_mul_u32_u24_sdwa v182, v192, v180 dst_sel:DWORD dst_unused:UNUSED_PAD src0_sel:WORD_0 src1_sel:DWORD
	v_mul_u32_u24_sdwa v180, v75, v180 dst_sel:DWORD dst_unused:UNUSED_PAD src0_sel:WORD_0 src1_sel:DWORD
	v_lshrrev_b32_e32 v182, 19, v182
	v_lshrrev_b32_e32 v180, 19, v180
	v_cmp_ge_u16_e32 vcc_lo, v182, v180
	s_and_b32 s56, vcc_lo, exec_lo
; %bb.249:
	s_or_b32 exec_lo, exec_lo, s45
	s_orn2_b32 s45, s56, exec_lo
.LBB240_250:
	s_or_b32 exec_lo, exec_lo, s47
	v_cndmask_b32_e64 v180, v177, v179, s45
	v_cndmask_b32_e64 v182, v242, v241, s45
	s_mov_b32 s47, exec_lo
	v_add_nc_u32_e32 v180, 1, v180
	v_add_nc_u32_e32 v182, -1, v182
	v_cndmask_b32_e64 v177, v180, v177, s45
	v_min_u32_e32 v182, v180, v182
	v_cndmask_b32_e64 v179, v179, v180, s45
	v_lshl_add_u32 v182, v182, 1, v102
	ds_read_u16 v182, v182
	s_waitcnt lgkmcnt(0)
	v_cndmask_b32_e64 v183, v182, v192, s45
	v_cndmask_b32_e64 v76, v75, v182, s45
	v_cmpx_lt_u32_e64 v177, v242
	s_cbranch_execz .LBB240_254
; %bb.251:
	s_mov_b32 s56, 0
	s_mov_b32 s46, exec_lo
	v_cmpx_lt_u32_e64 v179, v241
; %bb.252:
	v_mov_b32_e32 v180, 0xcccd
	v_mul_u32_u24_sdwa v182, v183, v180 dst_sel:DWORD dst_unused:UNUSED_PAD src0_sel:WORD_0 src1_sel:DWORD
	v_mul_u32_u24_sdwa v180, v76, v180 dst_sel:DWORD dst_unused:UNUSED_PAD src0_sel:WORD_0 src1_sel:DWORD
	v_lshrrev_b32_e32 v182, 19, v182
	v_lshrrev_b32_e32 v180, 19, v180
	v_cmp_ge_u16_e32 vcc_lo, v182, v180
	s_and_b32 s56, vcc_lo, exec_lo
; %bb.253:
	s_or_b32 exec_lo, exec_lo, s46
	s_orn2_b32 s46, s56, exec_lo
.LBB240_254:
	s_or_b32 exec_lo, exec_lo, s47
	v_cndmask_b32_e64 v180, v177, v179, s46
	v_cndmask_b32_e64 v182, v242, v241, s46
	s_mov_b32 s56, -1
	s_mov_b32 s47, -1
	s_mov_b32 s57, exec_lo
	v_add_nc_u32_e32 v180, 1, v180
	v_add_nc_u32_e32 v182, -1, v182
	v_cndmask_b32_e64 v177, v180, v177, s46
	v_min_u32_e32 v182, v180, v182
	v_cndmask_b32_e64 v179, v179, v180, s46
	v_lshl_add_u32 v182, v182, 1, v102
	ds_read_u16 v77, v182
	s_waitcnt lgkmcnt(0)
	v_cndmask_b32_e64 v182, v77, v183, s46
	v_cndmask_b32_e64 v77, v76, v77, s46
	v_cmpx_lt_u32_e64 v177, v242
	s_cbranch_execz .LBB240_258
; %bb.255:
	s_mov_b32 s58, 0
	s_mov_b32 s47, exec_lo
	v_cmpx_lt_u32_e64 v179, v241
; %bb.256:
	v_mov_b32_e32 v180, 0xcccd
	v_mul_u32_u24_sdwa v78, v182, v180 dst_sel:DWORD dst_unused:UNUSED_PAD src0_sel:WORD_0 src1_sel:DWORD
	v_mul_u32_u24_sdwa v180, v77, v180 dst_sel:DWORD dst_unused:UNUSED_PAD src0_sel:WORD_0 src1_sel:DWORD
	v_lshrrev_b32_e32 v78, 19, v78
	v_lshrrev_b32_e32 v180, 19, v180
	v_cmp_ge_u16_e32 vcc_lo, v78, v180
	s_and_b32 s58, vcc_lo, exec_lo
; %bb.257:
	s_or_b32 exec_lo, exec_lo, s47
	s_orn2_b32 s47, s58, exec_lo
.LBB240_258:
	s_or_b32 exec_lo, exec_lo, s57
	v_cndmask_b32_e64 v180, v177, v179, s47
	v_cndmask_b32_e64 v78, v242, v241, s47
	s_mov_b32 s57, exec_lo
	v_add_nc_u32_e32 v180, 1, v180
	v_add_nc_u32_e32 v78, -1, v78
	v_cndmask_b32_e64 v177, v180, v177, s47
	v_min_u32_e32 v78, v180, v78
	v_cndmask_b32_e64 v179, v179, v180, s47
	v_lshl_add_u32 v78, v78, 1, v102
	ds_read_u16 v78, v78
	s_waitcnt lgkmcnt(0)
	v_cndmask_b32_e64 v180, v78, v182, s47
	v_cndmask_b32_e64 v78, v77, v78, s47
	v_cmpx_lt_u32_e64 v177, v242
	s_cbranch_execz .LBB240_262
; %bb.259:
	s_mov_b32 s58, 0
	s_mov_b32 s56, exec_lo
	v_cmpx_lt_u32_e64 v179, v241
; %bb.260:
	v_mov_b32_e32 v79, 0xcccd
	v_mul_u32_u24_sdwa v88, v180, v79 dst_sel:DWORD dst_unused:UNUSED_PAD src0_sel:WORD_0 src1_sel:DWORD
	v_mul_u32_u24_sdwa v79, v78, v79 dst_sel:DWORD dst_unused:UNUSED_PAD src0_sel:WORD_0 src1_sel:DWORD
	v_lshrrev_b32_e32 v88, 19, v88
	v_lshrrev_b32_e32 v79, 19, v79
	v_cmp_ge_u16_e32 vcc_lo, v88, v79
	s_and_b32 s58, vcc_lo, exec_lo
; %bb.261:
	s_or_b32 exec_lo, exec_lo, s56
	s_orn2_b32 s56, s58, exec_lo
.LBB240_262:
	s_or_b32 exec_lo, exec_lo, s57
	v_cndmask_b32_e64 v79, v177, v179, s56
	v_cndmask_b32_e64 v88, v242, v241, s56
	s_mov_b32 s57, -1
	s_mov_b32 s58, -1
	s_mov_b32 s59, exec_lo
	v_add_nc_u32_e32 v79, 1, v79
	v_add_nc_u32_e32 v88, -1, v88
	v_cndmask_b32_e64 v177, v79, v177, s56
	v_min_u32_e32 v88, v79, v88
	v_lshl_add_u32 v88, v88, 1, v102
	ds_read_u16 v89, v88
	v_cndmask_b32_e64 v88, v179, v79, s56
	s_waitcnt lgkmcnt(0)
	v_cndmask_b32_e64 v179, v89, v180, s56
	v_cndmask_b32_e64 v79, v78, v89, s56
	v_cmpx_lt_u32_e64 v177, v242
	s_cbranch_execz .LBB240_266
; %bb.263:
	s_mov_b32 s60, 0
	s_mov_b32 s58, exec_lo
	v_cmpx_lt_u32_e64 v88, v241
; %bb.264:
	v_mov_b32_e32 v89, 0xcccd
	v_mul_u32_u24_sdwa v90, v179, v89 dst_sel:DWORD dst_unused:UNUSED_PAD src0_sel:WORD_0 src1_sel:DWORD
	v_mul_u32_u24_sdwa v89, v79, v89 dst_sel:DWORD dst_unused:UNUSED_PAD src0_sel:WORD_0 src1_sel:DWORD
	v_lshrrev_b32_e32 v90, 19, v90
	v_lshrrev_b32_e32 v89, 19, v89
	v_cmp_ge_u16_e32 vcc_lo, v90, v89
	s_and_b32 s60, vcc_lo, exec_lo
; %bb.265:
	s_or_b32 exec_lo, exec_lo, s58
	s_orn2_b32 s58, s60, exec_lo
.LBB240_266:
	s_or_b32 exec_lo, exec_lo, s59
	v_cndmask_b32_e64 v89, v177, v88, s58
	v_cndmask_b32_e64 v90, v242, v241, s58
	s_mov_b32 s59, exec_lo
	v_add_nc_u32_e32 v89, 1, v89
	v_add_nc_u32_e32 v90, -1, v90
	v_cndmask_b32_e64 v177, v89, v177, s58
	v_min_u32_e32 v90, v89, v90
	v_lshl_add_u32 v90, v90, 1, v102
	ds_read_u16 v91, v90
	v_cndmask_b32_e64 v90, v88, v89, s58
	s_waitcnt lgkmcnt(0)
	v_cndmask_b32_e64 v88, v91, v179, s58
	v_cndmask_b32_e64 v89, v79, v91, s58
	v_cmpx_lt_u32_e64 v177, v242
	s_cbranch_execz .LBB240_270
; %bb.267:
	s_mov_b32 s60, 0
	s_mov_b32 s57, exec_lo
	v_cmpx_lt_u32_e64 v90, v241
; %bb.268:
	v_mov_b32_e32 v91, 0xcccd
	v_mul_u32_u24_sdwa v92, v88, v91 dst_sel:DWORD dst_unused:UNUSED_PAD src0_sel:WORD_0 src1_sel:DWORD
	v_mul_u32_u24_sdwa v91, v89, v91 dst_sel:DWORD dst_unused:UNUSED_PAD src0_sel:WORD_0 src1_sel:DWORD
	v_lshrrev_b32_e32 v92, 19, v92
	v_lshrrev_b32_e32 v91, 19, v91
	v_cmp_ge_u16_e32 vcc_lo, v92, v91
	s_and_b32 s60, vcc_lo, exec_lo
; %bb.269:
	s_or_b32 exec_lo, exec_lo, s57
	s_orn2_b32 s57, s60, exec_lo
.LBB240_270:
	s_or_b32 exec_lo, exec_lo, s59
	v_cndmask_b32_e64 v91, v177, v90, s57
	v_cndmask_b32_e64 v92, v242, v241, s57
	s_mov_b32 s59, exec_lo
	v_add_nc_u32_e32 v91, 1, v91
	v_add_nc_u32_e32 v92, -1, v92
	v_cndmask_b32_e64 v93, v91, v177, s57
	v_min_u32_e32 v92, v91, v92
	v_lshl_add_u32 v92, v92, 1, v102
	ds_read_u16 v92, v92
	s_waitcnt lgkmcnt(0)
	v_cndmask_b32_e64 v177, v89, v92, s57
	v_cmpx_lt_u32_e64 v93, v242
	s_cbranch_execz .LBB240_274
; %bb.271:
	v_cndmask_b32_e64 v90, v90, v91, s57
	v_cndmask_b32_e64 v242, v92, v88, s57
	s_mov_b32 s60, exec_lo
	v_cmpx_lt_u32_e64 v90, v241
	s_cbranch_execz .LBB240_273
; %bb.272:
	v_mov_b32_e32 v241, 0xcccd
	v_mul_u32_u24_sdwa v90, v242, v241 dst_sel:DWORD dst_unused:UNUSED_PAD src0_sel:WORD_0 src1_sel:DWORD
	v_mul_u32_u24_sdwa v241, v177, v241 dst_sel:DWORD dst_unused:UNUSED_PAD src0_sel:WORD_0 src1_sel:DWORD
	v_lshrrev_b32_e32 v90, 19, v90
	v_lshrrev_b32_e32 v241, 19, v241
	v_cmp_lt_u16_e32 vcc_lo, v90, v241
	v_cndmask_b32_e32 v242, v177, v242, vcc_lo
.LBB240_273:
	s_or_b32 exec_lo, exec_lo, s60
	v_mov_b32_e32 v177, v242
.LBB240_274:
	s_or_b32 exec_lo, exec_lo, s59
	v_cndmask_b32_e64 v179, v179, v79, s58
	v_cndmask_b32_e64 v180, v180, v78, s56
	;; [unrolled: 1-line block ×31, first 2 shown]
.LBB240_275:
	s_or_b32 exec_lo, exec_lo, s5
	v_and_b32_e32 v243, 0x300, v112
	v_and_b32_e32 v244, 0xe0, v112
	s_mov_b32 s4, exec_lo
	; wave barrier
	v_or_b32_e32 v241, 0x80, v243
	v_min_u32_e32 v244, v103, v244
	ds_write_b16 v113, v178
	ds_write_b16 v165, v231
	ds_write_b16 v166, v228
	ds_write_b16 v167, v229
	ds_write_b16 v176, v227
	ds_write_b16 v161, v240
	ds_write_b16 v162, v224
	ds_write_b16 v163, v226
	ds_write_b16 v164, v214
	ds_write_b16 v149, v215
	ds_write_b16 v150, v213
	ds_write_b16 v151, v225
	ds_write_b16 v160, v211
	v_min_u32_e32 v241, v103, v241
	ds_write_b16 v145, v212
	ds_write_b16 v146, v209
	;; [unrolled: 1-line block ×13, first 2 shown]
	v_add_nc_u32_e32 v242, 0x80, v241
	v_sub_nc_u32_e32 v246, v241, v243
	ds_write_b16 v116, v183
	ds_write_b16 v117, v182
	;; [unrolled: 1-line block ×6, first 2 shown]
	; wave barrier
	v_min_u32_e32 v242, v103, v242
	v_min_u32_e32 v246, v244, v246
	v_sub_nc_u32_e32 v245, v242, v241
	v_sub_nc_u32_e64 v245, v244, v245 clamp
	v_cmpx_lt_u32_e64 v245, v246
	s_cbranch_execz .LBB240_279
; %bb.276:
	v_lshlrev_b32_e32 v247, 1, v243
	v_lshlrev_b32_e32 v40, 1, v241
	s_mov_b32 s5, 0
	v_add_co_u32 v247, null, v102, v247
	v_add_co_u32 v40, null, v102, v40
	.p2align	6
.LBB240_277:                            ; =>This Inner Loop Header: Depth=1
	v_add_nc_u32_e32 v41, v246, v245
	v_lshrrev_b32_e32 v42, 1, v41
	v_and_b32_e32 v41, -2, v41
	v_xad_u32 v43, v42, -1, v244
	v_add_nc_u32_e32 v41, v247, v41
	v_add_nc_u32_e32 v44, 1, v42
	v_lshl_add_u32 v43, v43, 1, v40
	ds_read_u16 v41, v41
	ds_read_u16 v43, v43
	s_waitcnt lgkmcnt(1)
	v_mul_u32_u24_e32 v41, 0xcccd, v41
	s_waitcnt lgkmcnt(0)
	v_mul_u32_u24_e32 v43, 0xcccd, v43
	v_lshrrev_b32_e32 v41, 19, v41
	v_lshrrev_b32_e32 v43, 19, v43
	v_cmp_lt_u16_e32 vcc_lo, v43, v41
	v_cndmask_b32_e32 v246, v246, v42, vcc_lo
	v_cndmask_b32_e32 v245, v44, v245, vcc_lo
	v_cmp_ge_u32_e32 vcc_lo, v245, v246
	s_or_b32 s5, vcc_lo, s5
	s_andn2_b32 exec_lo, exec_lo, s5
	s_cbranch_execnz .LBB240_277
; %bb.278:
	s_or_b32 exec_lo, exec_lo, s5
.LBB240_279:
	s_or_b32 exec_lo, exec_lo, s4
	v_add_nc_u32_e32 v244, v241, v244
	v_add_nc_u32_e32 v243, v245, v243
	v_sub_nc_u32_e32 v244, v244, v245
	v_cmp_le_u32_e32 vcc_lo, v243, v241
	v_cmp_le_u32_e64 s4, v244, v242
	s_or_b32 s4, vcc_lo, s4
	s_and_saveexec_b32 s5, s4
	s_cbranch_execz .LBB240_411
; %bb.280:
	s_mov_b32 s7, exec_lo
	v_cmp_ge_u32_e32 vcc_lo, v243, v241
                                        ; implicit-def: $vgpr178
	v_cmpx_lt_u32_e64 v243, v241
; %bb.281:
	v_lshl_add_u32 v177, v243, 1, v102
	ds_read_u16 v178, v177
; %bb.282:
	s_or_b32 exec_lo, exec_lo, s7
	v_cmp_ge_u32_e64 s7, v244, v242
	s_mov_b32 s10, exec_lo
                                        ; implicit-def: $vgpr230
	v_cmpx_lt_u32_e64 v244, v242
; %bb.283:
	v_lshl_add_u32 v177, v244, 1, v102
	ds_read_u16 v230, v177
; %bb.284:
	s_or_b32 exec_lo, exec_lo, s10
	s_nor_b32 s10, vcc_lo, s7
	s_and_saveexec_b32 s4, s10
	s_cbranch_execz .LBB240_286
; %bb.285:
	v_mov_b32_e32 v177, 0xcccd
	s_andn2_b32 s7, s7, exec_lo
	s_waitcnt lgkmcnt(0)
	v_mul_u32_u24_sdwa v179, v230, v177 dst_sel:DWORD dst_unused:UNUSED_PAD src0_sel:WORD_0 src1_sel:DWORD
	v_mul_u32_u24_sdwa v177, v178, v177 dst_sel:DWORD dst_unused:UNUSED_PAD src0_sel:WORD_0 src1_sel:DWORD
	v_lshrrev_b32_e32 v179, 19, v179
	v_lshrrev_b32_e32 v177, 19, v177
	v_cmp_ge_u16_e32 vcc_lo, v179, v177
	s_and_b32 s10, vcc_lo, exec_lo
	s_or_b32 s7, s7, s10
.LBB240_286:
	s_or_b32 exec_lo, exec_lo, s4
	v_cndmask_b32_e64 v177, v244, v243, s7
	v_cndmask_b32_e64 v179, v242, v241, s7
	s_mov_b32 s10, -1
	s_mov_b32 s4, -1
	s_mov_b32 s11, exec_lo
	v_add_nc_u32_e32 v180, 1, v177
	v_add_nc_u32_e32 v177, -1, v179
	v_cndmask_b32_e64 v179, v243, v180, s7
	v_min_u32_e32 v177, v180, v177
	v_lshl_add_u32 v177, v177, 1, v102
	ds_read_u16 v181, v177
	v_cndmask_b32_e64 v177, v180, v244, s7
	s_waitcnt lgkmcnt(0)
	v_cndmask_b32_e64 v231, v181, v230, s7
	v_cndmask_b32_e64 v243, v178, v181, s7
	v_cmpx_lt_u32_e64 v177, v242
	s_cbranch_execz .LBB240_290
; %bb.287:
	s_mov_b32 s14, 0
	s_mov_b32 s4, exec_lo
	v_cmpx_lt_u32_e64 v179, v241
; %bb.288:
	v_mov_b32_e32 v180, 0xcccd
	v_mul_u32_u24_sdwa v181, v231, v180 dst_sel:DWORD dst_unused:UNUSED_PAD src0_sel:WORD_0 src1_sel:DWORD
	v_mul_u32_u24_sdwa v180, v243, v180 dst_sel:DWORD dst_unused:UNUSED_PAD src0_sel:WORD_0 src1_sel:DWORD
	v_lshrrev_b32_e32 v181, 19, v181
	v_lshrrev_b32_e32 v180, 19, v180
	v_cmp_ge_u16_e32 vcc_lo, v181, v180
	s_and_b32 s14, vcc_lo, exec_lo
; %bb.289:
	s_or_b32 exec_lo, exec_lo, s4
	s_orn2_b32 s4, s14, exec_lo
.LBB240_290:
	s_or_b32 exec_lo, exec_lo, s11
	v_cndmask_b32_e64 v180, v177, v179, s4
	v_cndmask_b32_e64 v181, v242, v241, s4
	s_mov_b32 s11, exec_lo
	v_add_nc_u32_e32 v180, 1, v180
	v_add_nc_u32_e32 v181, -1, v181
	v_cndmask_b32_e64 v177, v180, v177, s4
	v_min_u32_e32 v181, v180, v181
	v_cndmask_b32_e64 v179, v179, v180, s4
	v_lshl_add_u32 v181, v181, 1, v102
	ds_read_u16 v181, v181
	s_waitcnt lgkmcnt(0)
	v_cndmask_b32_e64 v228, v181, v231, s4
	v_cndmask_b32_e64 v244, v243, v181, s4
	v_cmpx_lt_u32_e64 v177, v242
	s_cbranch_execz .LBB240_294
; %bb.291:
	s_mov_b32 s14, 0
	s_mov_b32 s10, exec_lo
	v_cmpx_lt_u32_e64 v179, v241
; %bb.292:
	v_mov_b32_e32 v180, 0xcccd
	v_mul_u32_u24_sdwa v181, v228, v180 dst_sel:DWORD dst_unused:UNUSED_PAD src0_sel:WORD_0 src1_sel:DWORD
	v_mul_u32_u24_sdwa v180, v244, v180 dst_sel:DWORD dst_unused:UNUSED_PAD src0_sel:WORD_0 src1_sel:DWORD
	v_lshrrev_b32_e32 v181, 19, v181
	v_lshrrev_b32_e32 v180, 19, v180
	v_cmp_ge_u16_e32 vcc_lo, v181, v180
	s_and_b32 s14, vcc_lo, exec_lo
; %bb.293:
	s_or_b32 exec_lo, exec_lo, s10
	s_orn2_b32 s10, s14, exec_lo
.LBB240_294:
	s_or_b32 exec_lo, exec_lo, s11
	v_cndmask_b32_e64 v180, v177, v179, s10
	v_cndmask_b32_e64 v181, v242, v241, s10
	s_mov_b32 s14, -1
	s_mov_b32 s11, -1
	s_mov_b32 s15, exec_lo
	v_add_nc_u32_e32 v180, 1, v180
	v_add_nc_u32_e32 v181, -1, v181
	v_cndmask_b32_e64 v177, v180, v177, s10
	v_min_u32_e32 v181, v180, v181
	v_cndmask_b32_e64 v179, v179, v180, s10
	v_lshl_add_u32 v181, v181, 1, v102
	ds_read_u16 v181, v181
	s_waitcnt lgkmcnt(0)
	v_cndmask_b32_e64 v229, v181, v228, s10
	v_cndmask_b32_e64 v245, v244, v181, s10
	v_cmpx_lt_u32_e64 v177, v242
	s_cbranch_execz .LBB240_298
; %bb.295:
	s_mov_b32 s16, 0
	s_mov_b32 s11, exec_lo
	v_cmpx_lt_u32_e64 v179, v241
; %bb.296:
	v_mov_b32_e32 v180, 0xcccd
	v_mul_u32_u24_sdwa v181, v229, v180 dst_sel:DWORD dst_unused:UNUSED_PAD src0_sel:WORD_0 src1_sel:DWORD
	v_mul_u32_u24_sdwa v180, v245, v180 dst_sel:DWORD dst_unused:UNUSED_PAD src0_sel:WORD_0 src1_sel:DWORD
	v_lshrrev_b32_e32 v181, 19, v181
	v_lshrrev_b32_e32 v180, 19, v180
	v_cmp_ge_u16_e32 vcc_lo, v181, v180
	s_and_b32 s16, vcc_lo, exec_lo
; %bb.297:
	s_or_b32 exec_lo, exec_lo, s11
	s_orn2_b32 s11, s16, exec_lo
.LBB240_298:
	s_or_b32 exec_lo, exec_lo, s15
	v_cndmask_b32_e64 v180, v177, v179, s11
	v_cndmask_b32_e64 v181, v242, v241, s11
	s_mov_b32 s15, exec_lo
	v_add_nc_u32_e32 v180, 1, v180
	v_add_nc_u32_e32 v181, -1, v181
	v_cndmask_b32_e64 v177, v180, v177, s11
	v_min_u32_e32 v181, v180, v181
	v_cndmask_b32_e64 v179, v179, v180, s11
	v_lshl_add_u32 v181, v181, 1, v102
	ds_read_u16 v181, v181
	s_waitcnt lgkmcnt(0)
	v_cndmask_b32_e64 v227, v181, v229, s11
	v_cndmask_b32_e64 v246, v245, v181, s11
	v_cmpx_lt_u32_e64 v177, v242
	s_cbranch_execz .LBB240_302
; %bb.299:
	s_mov_b32 s16, 0
	s_mov_b32 s14, exec_lo
	v_cmpx_lt_u32_e64 v179, v241
; %bb.300:
	v_mov_b32_e32 v180, 0xcccd
	v_mul_u32_u24_sdwa v181, v227, v180 dst_sel:DWORD dst_unused:UNUSED_PAD src0_sel:WORD_0 src1_sel:DWORD
	v_mul_u32_u24_sdwa v180, v246, v180 dst_sel:DWORD dst_unused:UNUSED_PAD src0_sel:WORD_0 src1_sel:DWORD
	v_lshrrev_b32_e32 v181, 19, v181
	v_lshrrev_b32_e32 v180, 19, v180
	v_cmp_ge_u16_e32 vcc_lo, v181, v180
	s_and_b32 s16, vcc_lo, exec_lo
; %bb.301:
	s_or_b32 exec_lo, exec_lo, s14
	s_orn2_b32 s14, s16, exec_lo
.LBB240_302:
	s_or_b32 exec_lo, exec_lo, s15
	v_cndmask_b32_e64 v180, v177, v179, s14
	v_cndmask_b32_e64 v181, v242, v241, s14
	s_mov_b32 s16, -1
	s_mov_b32 s15, -1
	s_mov_b32 s17, exec_lo
	v_add_nc_u32_e32 v180, 1, v180
	v_add_nc_u32_e32 v181, -1, v181
	v_cndmask_b32_e64 v177, v180, v177, s14
	v_min_u32_e32 v181, v180, v181
	v_cndmask_b32_e64 v179, v179, v180, s14
	v_lshl_add_u32 v181, v181, 1, v102
	ds_read_u16 v181, v181
	s_waitcnt lgkmcnt(0)
	v_cndmask_b32_e64 v240, v181, v227, s14
	v_cndmask_b32_e64 v247, v246, v181, s14
	v_cmpx_lt_u32_e64 v177, v242
	s_cbranch_execz .LBB240_306
; %bb.303:
	s_mov_b32 s18, 0
	s_mov_b32 s15, exec_lo
	v_cmpx_lt_u32_e64 v179, v241
; %bb.304:
	v_mov_b32_e32 v180, 0xcccd
	v_mul_u32_u24_sdwa v181, v240, v180 dst_sel:DWORD dst_unused:UNUSED_PAD src0_sel:WORD_0 src1_sel:DWORD
	v_mul_u32_u24_sdwa v180, v247, v180 dst_sel:DWORD dst_unused:UNUSED_PAD src0_sel:WORD_0 src1_sel:DWORD
	v_lshrrev_b32_e32 v181, 19, v181
	v_lshrrev_b32_e32 v180, 19, v180
	v_cmp_ge_u16_e32 vcc_lo, v181, v180
	s_and_b32 s18, vcc_lo, exec_lo
; %bb.305:
	s_or_b32 exec_lo, exec_lo, s15
	s_orn2_b32 s15, s18, exec_lo
.LBB240_306:
	s_or_b32 exec_lo, exec_lo, s17
	v_cndmask_b32_e64 v180, v177, v179, s15
	v_cndmask_b32_e64 v181, v242, v241, s15
	s_mov_b32 s17, exec_lo
	v_add_nc_u32_e32 v180, 1, v180
	v_add_nc_u32_e32 v181, -1, v181
	v_cndmask_b32_e64 v177, v180, v177, s15
	v_min_u32_e32 v181, v180, v181
	v_cndmask_b32_e64 v179, v179, v180, s15
	v_lshl_add_u32 v181, v181, 1, v102
	ds_read_u16 v181, v181
	s_waitcnt lgkmcnt(0)
	v_cndmask_b32_e64 v224, v181, v240, s15
	v_cndmask_b32_e64 v40, v247, v181, s15
	v_cmpx_lt_u32_e64 v177, v242
	s_cbranch_execz .LBB240_310
; %bb.307:
	s_mov_b32 s18, 0
	s_mov_b32 s16, exec_lo
	v_cmpx_lt_u32_e64 v179, v241
; %bb.308:
	v_mov_b32_e32 v180, 0xcccd
	v_mul_u32_u24_sdwa v181, v224, v180 dst_sel:DWORD dst_unused:UNUSED_PAD src0_sel:WORD_0 src1_sel:DWORD
	v_mul_u32_u24_sdwa v180, v40, v180 dst_sel:DWORD dst_unused:UNUSED_PAD src0_sel:WORD_0 src1_sel:DWORD
	v_lshrrev_b32_e32 v181, 19, v181
	v_lshrrev_b32_e32 v180, 19, v180
	v_cmp_ge_u16_e32 vcc_lo, v181, v180
	s_and_b32 s18, vcc_lo, exec_lo
; %bb.309:
	s_or_b32 exec_lo, exec_lo, s16
	s_orn2_b32 s16, s18, exec_lo
.LBB240_310:
	s_or_b32 exec_lo, exec_lo, s17
	v_cndmask_b32_e64 v180, v177, v179, s16
	v_cndmask_b32_e64 v181, v242, v241, s16
	s_mov_b32 s18, -1
	s_mov_b32 s17, -1
	s_mov_b32 s19, exec_lo
	v_add_nc_u32_e32 v180, 1, v180
	v_add_nc_u32_e32 v181, -1, v181
	v_cndmask_b32_e64 v177, v180, v177, s16
	v_min_u32_e32 v181, v180, v181
	v_cndmask_b32_e64 v179, v179, v180, s16
	v_lshl_add_u32 v181, v181, 1, v102
	ds_read_u16 v181, v181
	s_waitcnt lgkmcnt(0)
	v_cndmask_b32_e64 v226, v181, v224, s16
	v_cndmask_b32_e64 v41, v40, v181, s16
	v_cmpx_lt_u32_e64 v177, v242
	s_cbranch_execz .LBB240_314
; %bb.311:
	s_mov_b32 s20, 0
	s_mov_b32 s17, exec_lo
	v_cmpx_lt_u32_e64 v179, v241
; %bb.312:
	v_mov_b32_e32 v180, 0xcccd
	v_mul_u32_u24_sdwa v181, v226, v180 dst_sel:DWORD dst_unused:UNUSED_PAD src0_sel:WORD_0 src1_sel:DWORD
	v_mul_u32_u24_sdwa v180, v41, v180 dst_sel:DWORD dst_unused:UNUSED_PAD src0_sel:WORD_0 src1_sel:DWORD
	v_lshrrev_b32_e32 v181, 19, v181
	v_lshrrev_b32_e32 v180, 19, v180
	v_cmp_ge_u16_e32 vcc_lo, v181, v180
	s_and_b32 s20, vcc_lo, exec_lo
; %bb.313:
	s_or_b32 exec_lo, exec_lo, s17
	s_orn2_b32 s17, s20, exec_lo
.LBB240_314:
	s_or_b32 exec_lo, exec_lo, s19
	v_cndmask_b32_e64 v180, v177, v179, s17
	v_cndmask_b32_e64 v181, v242, v241, s17
	s_mov_b32 s19, exec_lo
	v_add_nc_u32_e32 v180, 1, v180
	v_add_nc_u32_e32 v181, -1, v181
	v_cndmask_b32_e64 v177, v180, v177, s17
	v_min_u32_e32 v181, v180, v181
	v_cndmask_b32_e64 v179, v179, v180, s17
	v_lshl_add_u32 v181, v181, 1, v102
	ds_read_u16 v181, v181
	s_waitcnt lgkmcnt(0)
	v_cndmask_b32_e64 v214, v181, v226, s17
	v_cndmask_b32_e64 v42, v41, v181, s17
	v_cmpx_lt_u32_e64 v177, v242
	s_cbranch_execz .LBB240_318
; %bb.315:
	s_mov_b32 s20, 0
	s_mov_b32 s18, exec_lo
	v_cmpx_lt_u32_e64 v179, v241
; %bb.316:
	v_mov_b32_e32 v180, 0xcccd
	v_mul_u32_u24_sdwa v181, v214, v180 dst_sel:DWORD dst_unused:UNUSED_PAD src0_sel:WORD_0 src1_sel:DWORD
	v_mul_u32_u24_sdwa v180, v42, v180 dst_sel:DWORD dst_unused:UNUSED_PAD src0_sel:WORD_0 src1_sel:DWORD
	v_lshrrev_b32_e32 v181, 19, v181
	v_lshrrev_b32_e32 v180, 19, v180
	v_cmp_ge_u16_e32 vcc_lo, v181, v180
	s_and_b32 s20, vcc_lo, exec_lo
; %bb.317:
	s_or_b32 exec_lo, exec_lo, s18
	s_orn2_b32 s18, s20, exec_lo
.LBB240_318:
	s_or_b32 exec_lo, exec_lo, s19
	v_cndmask_b32_e64 v180, v177, v179, s18
	v_cndmask_b32_e64 v181, v242, v241, s18
	s_mov_b32 s20, -1
	s_mov_b32 s19, -1
	s_mov_b32 s21, exec_lo
	v_add_nc_u32_e32 v180, 1, v180
	v_add_nc_u32_e32 v181, -1, v181
	v_cndmask_b32_e64 v177, v180, v177, s18
	v_min_u32_e32 v181, v180, v181
	v_cndmask_b32_e64 v179, v179, v180, s18
	v_lshl_add_u32 v181, v181, 1, v102
	ds_read_u16 v181, v181
	s_waitcnt lgkmcnt(0)
	v_cndmask_b32_e64 v215, v181, v214, s18
	v_cndmask_b32_e64 v43, v42, v181, s18
	v_cmpx_lt_u32_e64 v177, v242
	s_cbranch_execz .LBB240_322
; %bb.319:
	s_mov_b32 s22, 0
	s_mov_b32 s19, exec_lo
	v_cmpx_lt_u32_e64 v179, v241
; %bb.320:
	v_mov_b32_e32 v180, 0xcccd
	v_mul_u32_u24_sdwa v181, v215, v180 dst_sel:DWORD dst_unused:UNUSED_PAD src0_sel:WORD_0 src1_sel:DWORD
	v_mul_u32_u24_sdwa v180, v43, v180 dst_sel:DWORD dst_unused:UNUSED_PAD src0_sel:WORD_0 src1_sel:DWORD
	v_lshrrev_b32_e32 v181, 19, v181
	v_lshrrev_b32_e32 v180, 19, v180
	v_cmp_ge_u16_e32 vcc_lo, v181, v180
	s_and_b32 s22, vcc_lo, exec_lo
; %bb.321:
	s_or_b32 exec_lo, exec_lo, s19
	s_orn2_b32 s19, s22, exec_lo
.LBB240_322:
	s_or_b32 exec_lo, exec_lo, s21
	v_cndmask_b32_e64 v180, v177, v179, s19
	v_cndmask_b32_e64 v181, v242, v241, s19
	s_mov_b32 s21, exec_lo
	v_add_nc_u32_e32 v180, 1, v180
	v_add_nc_u32_e32 v181, -1, v181
	v_cndmask_b32_e64 v177, v180, v177, s19
	v_min_u32_e32 v181, v180, v181
	v_cndmask_b32_e64 v179, v179, v180, s19
	v_lshl_add_u32 v181, v181, 1, v102
	ds_read_u16 v181, v181
	s_waitcnt lgkmcnt(0)
	v_cndmask_b32_e64 v213, v181, v215, s19
	v_cndmask_b32_e64 v44, v43, v181, s19
	v_cmpx_lt_u32_e64 v177, v242
	s_cbranch_execz .LBB240_326
; %bb.323:
	s_mov_b32 s22, 0
	s_mov_b32 s20, exec_lo
	v_cmpx_lt_u32_e64 v179, v241
; %bb.324:
	v_mov_b32_e32 v180, 0xcccd
	v_mul_u32_u24_sdwa v181, v213, v180 dst_sel:DWORD dst_unused:UNUSED_PAD src0_sel:WORD_0 src1_sel:DWORD
	v_mul_u32_u24_sdwa v180, v44, v180 dst_sel:DWORD dst_unused:UNUSED_PAD src0_sel:WORD_0 src1_sel:DWORD
	v_lshrrev_b32_e32 v181, 19, v181
	v_lshrrev_b32_e32 v180, 19, v180
	v_cmp_ge_u16_e32 vcc_lo, v181, v180
	s_and_b32 s22, vcc_lo, exec_lo
; %bb.325:
	s_or_b32 exec_lo, exec_lo, s20
	s_orn2_b32 s20, s22, exec_lo
.LBB240_326:
	s_or_b32 exec_lo, exec_lo, s21
	v_cndmask_b32_e64 v180, v177, v179, s20
	v_cndmask_b32_e64 v181, v242, v241, s20
	s_mov_b32 s22, -1
	s_mov_b32 s21, -1
	s_mov_b32 s23, exec_lo
	v_add_nc_u32_e32 v180, 1, v180
	v_add_nc_u32_e32 v181, -1, v181
	v_cndmask_b32_e64 v177, v180, v177, s20
	v_min_u32_e32 v181, v180, v181
	v_cndmask_b32_e64 v179, v179, v180, s20
	v_lshl_add_u32 v181, v181, 1, v102
	ds_read_u16 v181, v181
	s_waitcnt lgkmcnt(0)
	v_cndmask_b32_e64 v225, v181, v213, s20
	v_cndmask_b32_e64 v45, v44, v181, s20
	v_cmpx_lt_u32_e64 v177, v242
	s_cbranch_execz .LBB240_330
; %bb.327:
	s_mov_b32 s24, 0
	s_mov_b32 s21, exec_lo
	v_cmpx_lt_u32_e64 v179, v241
; %bb.328:
	v_mov_b32_e32 v180, 0xcccd
	v_mul_u32_u24_sdwa v181, v225, v180 dst_sel:DWORD dst_unused:UNUSED_PAD src0_sel:WORD_0 src1_sel:DWORD
	v_mul_u32_u24_sdwa v180, v45, v180 dst_sel:DWORD dst_unused:UNUSED_PAD src0_sel:WORD_0 src1_sel:DWORD
	v_lshrrev_b32_e32 v181, 19, v181
	v_lshrrev_b32_e32 v180, 19, v180
	v_cmp_ge_u16_e32 vcc_lo, v181, v180
	s_and_b32 s24, vcc_lo, exec_lo
; %bb.329:
	s_or_b32 exec_lo, exec_lo, s21
	s_orn2_b32 s21, s24, exec_lo
.LBB240_330:
	s_or_b32 exec_lo, exec_lo, s23
	v_cndmask_b32_e64 v180, v177, v179, s21
	v_cndmask_b32_e64 v181, v242, v241, s21
	s_mov_b32 s23, exec_lo
	v_add_nc_u32_e32 v180, 1, v180
	v_add_nc_u32_e32 v181, -1, v181
	v_cndmask_b32_e64 v177, v180, v177, s21
	v_min_u32_e32 v181, v180, v181
	v_cndmask_b32_e64 v179, v179, v180, s21
	v_lshl_add_u32 v181, v181, 1, v102
	ds_read_u16 v181, v181
	s_waitcnt lgkmcnt(0)
	v_cndmask_b32_e64 v211, v181, v225, s21
	v_cndmask_b32_e64 v46, v45, v181, s21
	v_cmpx_lt_u32_e64 v177, v242
	s_cbranch_execz .LBB240_334
; %bb.331:
	s_mov_b32 s24, 0
	s_mov_b32 s22, exec_lo
	v_cmpx_lt_u32_e64 v179, v241
; %bb.332:
	v_mov_b32_e32 v180, 0xcccd
	v_mul_u32_u24_sdwa v181, v211, v180 dst_sel:DWORD dst_unused:UNUSED_PAD src0_sel:WORD_0 src1_sel:DWORD
	v_mul_u32_u24_sdwa v180, v46, v180 dst_sel:DWORD dst_unused:UNUSED_PAD src0_sel:WORD_0 src1_sel:DWORD
	v_lshrrev_b32_e32 v181, 19, v181
	v_lshrrev_b32_e32 v180, 19, v180
	v_cmp_ge_u16_e32 vcc_lo, v181, v180
	s_and_b32 s24, vcc_lo, exec_lo
; %bb.333:
	s_or_b32 exec_lo, exec_lo, s22
	s_orn2_b32 s22, s24, exec_lo
.LBB240_334:
	s_or_b32 exec_lo, exec_lo, s23
	v_cndmask_b32_e64 v180, v177, v179, s22
	v_cndmask_b32_e64 v181, v242, v241, s22
	s_mov_b32 s24, -1
	s_mov_b32 s23, -1
	s_mov_b32 s25, exec_lo
	v_add_nc_u32_e32 v180, 1, v180
	v_add_nc_u32_e32 v181, -1, v181
	v_cndmask_b32_e64 v177, v180, v177, s22
	v_min_u32_e32 v181, v180, v181
	v_cndmask_b32_e64 v179, v179, v180, s22
	v_lshl_add_u32 v181, v181, 1, v102
	ds_read_u16 v181, v181
	s_waitcnt lgkmcnt(0)
	v_cndmask_b32_e64 v212, v181, v211, s22
	v_cndmask_b32_e64 v47, v46, v181, s22
	v_cmpx_lt_u32_e64 v177, v242
	s_cbranch_execz .LBB240_338
; %bb.335:
	s_mov_b32 s26, 0
	s_mov_b32 s23, exec_lo
	v_cmpx_lt_u32_e64 v179, v241
; %bb.336:
	v_mov_b32_e32 v180, 0xcccd
	v_mul_u32_u24_sdwa v181, v212, v180 dst_sel:DWORD dst_unused:UNUSED_PAD src0_sel:WORD_0 src1_sel:DWORD
	v_mul_u32_u24_sdwa v180, v47, v180 dst_sel:DWORD dst_unused:UNUSED_PAD src0_sel:WORD_0 src1_sel:DWORD
	v_lshrrev_b32_e32 v181, 19, v181
	v_lshrrev_b32_e32 v180, 19, v180
	v_cmp_ge_u16_e32 vcc_lo, v181, v180
	s_and_b32 s26, vcc_lo, exec_lo
; %bb.337:
	s_or_b32 exec_lo, exec_lo, s23
	s_orn2_b32 s23, s26, exec_lo
.LBB240_338:
	s_or_b32 exec_lo, exec_lo, s25
	v_cndmask_b32_e64 v180, v177, v179, s23
	v_cndmask_b32_e64 v181, v242, v241, s23
	s_mov_b32 s25, exec_lo
	v_add_nc_u32_e32 v180, 1, v180
	v_add_nc_u32_e32 v181, -1, v181
	v_cndmask_b32_e64 v177, v180, v177, s23
	v_min_u32_e32 v181, v180, v181
	v_cndmask_b32_e64 v179, v179, v180, s23
	v_lshl_add_u32 v181, v181, 1, v102
	ds_read_u16 v181, v181
	s_waitcnt lgkmcnt(0)
	v_cndmask_b32_e64 v209, v181, v212, s23
	v_cndmask_b32_e64 v56, v47, v181, s23
	v_cmpx_lt_u32_e64 v177, v242
	s_cbranch_execz .LBB240_342
; %bb.339:
	s_mov_b32 s26, 0
	s_mov_b32 s24, exec_lo
	v_cmpx_lt_u32_e64 v179, v241
; %bb.340:
	v_mov_b32_e32 v180, 0xcccd
	v_mul_u32_u24_sdwa v181, v209, v180 dst_sel:DWORD dst_unused:UNUSED_PAD src0_sel:WORD_0 src1_sel:DWORD
	v_mul_u32_u24_sdwa v180, v56, v180 dst_sel:DWORD dst_unused:UNUSED_PAD src0_sel:WORD_0 src1_sel:DWORD
	v_lshrrev_b32_e32 v181, 19, v181
	v_lshrrev_b32_e32 v180, 19, v180
	v_cmp_ge_u16_e32 vcc_lo, v181, v180
	s_and_b32 s26, vcc_lo, exec_lo
; %bb.341:
	s_or_b32 exec_lo, exec_lo, s24
	s_orn2_b32 s24, s26, exec_lo
.LBB240_342:
	s_or_b32 exec_lo, exec_lo, s25
	v_cndmask_b32_e64 v180, v177, v179, s24
	v_cndmask_b32_e64 v181, v242, v241, s24
	s_mov_b32 s26, -1
	s_mov_b32 s25, -1
	s_mov_b32 s27, exec_lo
	v_add_nc_u32_e32 v180, 1, v180
	v_add_nc_u32_e32 v181, -1, v181
	v_cndmask_b32_e64 v177, v180, v177, s24
	v_min_u32_e32 v181, v180, v181
	v_cndmask_b32_e64 v179, v179, v180, s24
	v_lshl_add_u32 v181, v181, 1, v102
	ds_read_u16 v181, v181
	s_waitcnt lgkmcnt(0)
	v_cndmask_b32_e64 v208, v181, v209, s24
	v_cndmask_b32_e64 v57, v56, v181, s24
	v_cmpx_lt_u32_e64 v177, v242
	s_cbranch_execz .LBB240_346
; %bb.343:
	s_mov_b32 s28, 0
	s_mov_b32 s25, exec_lo
	v_cmpx_lt_u32_e64 v179, v241
; %bb.344:
	v_mov_b32_e32 v180, 0xcccd
	v_mul_u32_u24_sdwa v181, v208, v180 dst_sel:DWORD dst_unused:UNUSED_PAD src0_sel:WORD_0 src1_sel:DWORD
	v_mul_u32_u24_sdwa v180, v57, v180 dst_sel:DWORD dst_unused:UNUSED_PAD src0_sel:WORD_0 src1_sel:DWORD
	v_lshrrev_b32_e32 v181, 19, v181
	v_lshrrev_b32_e32 v180, 19, v180
	v_cmp_ge_u16_e32 vcc_lo, v181, v180
	s_and_b32 s28, vcc_lo, exec_lo
; %bb.345:
	s_or_b32 exec_lo, exec_lo, s25
	s_orn2_b32 s25, s28, exec_lo
.LBB240_346:
	s_or_b32 exec_lo, exec_lo, s27
	v_cndmask_b32_e64 v180, v177, v179, s25
	v_cndmask_b32_e64 v181, v242, v241, s25
	s_mov_b32 s27, exec_lo
	v_add_nc_u32_e32 v180, 1, v180
	v_add_nc_u32_e32 v181, -1, v181
	v_cndmask_b32_e64 v177, v180, v177, s25
	v_min_u32_e32 v181, v180, v181
	v_cndmask_b32_e64 v179, v179, v180, s25
	v_lshl_add_u32 v181, v181, 1, v102
	ds_read_u16 v181, v181
	s_waitcnt lgkmcnt(0)
	v_cndmask_b32_e64 v199, v181, v208, s25
	v_cndmask_b32_e64 v58, v57, v181, s25
	v_cmpx_lt_u32_e64 v177, v242
	s_cbranch_execz .LBB240_350
; %bb.347:
	s_mov_b32 s28, 0
	s_mov_b32 s26, exec_lo
	v_cmpx_lt_u32_e64 v179, v241
; %bb.348:
	v_mov_b32_e32 v180, 0xcccd
	v_mul_u32_u24_sdwa v181, v199, v180 dst_sel:DWORD dst_unused:UNUSED_PAD src0_sel:WORD_0 src1_sel:DWORD
	v_mul_u32_u24_sdwa v180, v58, v180 dst_sel:DWORD dst_unused:UNUSED_PAD src0_sel:WORD_0 src1_sel:DWORD
	v_lshrrev_b32_e32 v181, 19, v181
	v_lshrrev_b32_e32 v180, 19, v180
	v_cmp_ge_u16_e32 vcc_lo, v181, v180
	s_and_b32 s28, vcc_lo, exec_lo
; %bb.349:
	s_or_b32 exec_lo, exec_lo, s26
	s_orn2_b32 s26, s28, exec_lo
.LBB240_350:
	s_or_b32 exec_lo, exec_lo, s27
	v_cndmask_b32_e64 v180, v177, v179, s26
	v_cndmask_b32_e64 v181, v242, v241, s26
	s_mov_b32 s28, -1
	s_mov_b32 s27, -1
	s_mov_b32 s29, exec_lo
	v_add_nc_u32_e32 v180, 1, v180
	v_add_nc_u32_e32 v181, -1, v181
	v_cndmask_b32_e64 v177, v180, v177, s26
	v_min_u32_e32 v181, v180, v181
	v_cndmask_b32_e64 v179, v179, v180, s26
	v_lshl_add_u32 v181, v181, 1, v102
	ds_read_u16 v181, v181
	s_waitcnt lgkmcnt(0)
	v_cndmask_b32_e64 v210, v181, v199, s26
	v_cndmask_b32_e64 v59, v58, v181, s26
	v_cmpx_lt_u32_e64 v177, v242
	s_cbranch_execz .LBB240_354
; %bb.351:
	s_mov_b32 s40, 0
	s_mov_b32 s27, exec_lo
	v_cmpx_lt_u32_e64 v179, v241
; %bb.352:
	v_mov_b32_e32 v180, 0xcccd
	v_mul_u32_u24_sdwa v181, v210, v180 dst_sel:DWORD dst_unused:UNUSED_PAD src0_sel:WORD_0 src1_sel:DWORD
	v_mul_u32_u24_sdwa v180, v59, v180 dst_sel:DWORD dst_unused:UNUSED_PAD src0_sel:WORD_0 src1_sel:DWORD
	v_lshrrev_b32_e32 v181, 19, v181
	v_lshrrev_b32_e32 v180, 19, v180
	v_cmp_ge_u16_e32 vcc_lo, v181, v180
	s_and_b32 s40, vcc_lo, exec_lo
; %bb.353:
	s_or_b32 exec_lo, exec_lo, s27
	s_orn2_b32 s27, s40, exec_lo
.LBB240_354:
	s_or_b32 exec_lo, exec_lo, s29
	v_cndmask_b32_e64 v180, v177, v179, s27
	v_cndmask_b32_e64 v181, v242, v241, s27
	s_mov_b32 s29, exec_lo
	v_add_nc_u32_e32 v180, 1, v180
	v_add_nc_u32_e32 v181, -1, v181
	v_cndmask_b32_e64 v177, v180, v177, s27
	v_min_u32_e32 v181, v180, v181
	v_cndmask_b32_e64 v179, v179, v180, s27
	v_lshl_add_u32 v181, v181, 1, v102
	ds_read_u16 v181, v181
	s_waitcnt lgkmcnt(0)
	v_cndmask_b32_e64 v193, v181, v210, s27
	v_cndmask_b32_e64 v60, v59, v181, s27
	v_cmpx_lt_u32_e64 v177, v242
	s_cbranch_execz .LBB240_358
; %bb.355:
	s_mov_b32 s40, 0
	s_mov_b32 s28, exec_lo
	v_cmpx_lt_u32_e64 v179, v241
; %bb.356:
	v_mov_b32_e32 v180, 0xcccd
	v_mul_u32_u24_sdwa v181, v193, v180 dst_sel:DWORD dst_unused:UNUSED_PAD src0_sel:WORD_0 src1_sel:DWORD
	v_mul_u32_u24_sdwa v180, v60, v180 dst_sel:DWORD dst_unused:UNUSED_PAD src0_sel:WORD_0 src1_sel:DWORD
	v_lshrrev_b32_e32 v181, 19, v181
	v_lshrrev_b32_e32 v180, 19, v180
	v_cmp_ge_u16_e32 vcc_lo, v181, v180
	s_and_b32 s40, vcc_lo, exec_lo
; %bb.357:
	s_or_b32 exec_lo, exec_lo, s28
	s_orn2_b32 s28, s40, exec_lo
.LBB240_358:
	s_or_b32 exec_lo, exec_lo, s29
	v_cndmask_b32_e64 v180, v177, v179, s28
	v_cndmask_b32_e64 v181, v242, v241, s28
	s_mov_b32 s40, -1
	s_mov_b32 s29, -1
	s_mov_b32 s41, exec_lo
	v_add_nc_u32_e32 v180, 1, v180
	v_add_nc_u32_e32 v181, -1, v181
	v_cndmask_b32_e64 v177, v180, v177, s28
	v_min_u32_e32 v181, v180, v181
	v_cndmask_b32_e64 v179, v179, v180, s28
	v_lshl_add_u32 v181, v181, 1, v102
	ds_read_u16 v181, v181
	s_waitcnt lgkmcnt(0)
	v_cndmask_b32_e64 v197, v181, v193, s28
	v_cndmask_b32_e64 v61, v60, v181, s28
	v_cmpx_lt_u32_e64 v177, v242
	s_cbranch_execz .LBB240_362
; %bb.359:
	s_mov_b32 s42, 0
	s_mov_b32 s29, exec_lo
	v_cmpx_lt_u32_e64 v179, v241
; %bb.360:
	v_mov_b32_e32 v180, 0xcccd
	v_mul_u32_u24_sdwa v181, v197, v180 dst_sel:DWORD dst_unused:UNUSED_PAD src0_sel:WORD_0 src1_sel:DWORD
	v_mul_u32_u24_sdwa v180, v61, v180 dst_sel:DWORD dst_unused:UNUSED_PAD src0_sel:WORD_0 src1_sel:DWORD
	v_lshrrev_b32_e32 v181, 19, v181
	v_lshrrev_b32_e32 v180, 19, v180
	v_cmp_ge_u16_e32 vcc_lo, v181, v180
	s_and_b32 s42, vcc_lo, exec_lo
; %bb.361:
	s_or_b32 exec_lo, exec_lo, s29
	s_orn2_b32 s29, s42, exec_lo
.LBB240_362:
	s_or_b32 exec_lo, exec_lo, s41
	v_cndmask_b32_e64 v180, v177, v179, s29
	v_cndmask_b32_e64 v181, v242, v241, s29
	s_mov_b32 s41, exec_lo
	v_add_nc_u32_e32 v180, 1, v180
	v_add_nc_u32_e32 v181, -1, v181
	v_cndmask_b32_e64 v177, v180, v177, s29
	v_min_u32_e32 v181, v180, v181
	v_cndmask_b32_e64 v179, v179, v180, s29
	v_lshl_add_u32 v181, v181, 1, v102
	ds_read_u16 v181, v181
	s_waitcnt lgkmcnt(0)
	v_cndmask_b32_e64 v195, v181, v197, s29
	v_cndmask_b32_e64 v62, v61, v181, s29
	v_cmpx_lt_u32_e64 v177, v242
	s_cbranch_execz .LBB240_366
; %bb.363:
	s_mov_b32 s42, 0
	s_mov_b32 s40, exec_lo
	v_cmpx_lt_u32_e64 v179, v241
; %bb.364:
	v_mov_b32_e32 v180, 0xcccd
	v_mul_u32_u24_sdwa v181, v195, v180 dst_sel:DWORD dst_unused:UNUSED_PAD src0_sel:WORD_0 src1_sel:DWORD
	v_mul_u32_u24_sdwa v180, v62, v180 dst_sel:DWORD dst_unused:UNUSED_PAD src0_sel:WORD_0 src1_sel:DWORD
	v_lshrrev_b32_e32 v181, 19, v181
	v_lshrrev_b32_e32 v180, 19, v180
	v_cmp_ge_u16_e32 vcc_lo, v181, v180
	s_and_b32 s42, vcc_lo, exec_lo
; %bb.365:
	s_or_b32 exec_lo, exec_lo, s40
	s_orn2_b32 s40, s42, exec_lo
.LBB240_366:
	s_or_b32 exec_lo, exec_lo, s41
	v_cndmask_b32_e64 v180, v177, v179, s40
	v_cndmask_b32_e64 v181, v242, v241, s40
	s_mov_b32 s42, -1
	s_mov_b32 s41, -1
	s_mov_b32 s43, exec_lo
	v_add_nc_u32_e32 v180, 1, v180
	v_add_nc_u32_e32 v181, -1, v181
	v_cndmask_b32_e64 v177, v180, v177, s40
	v_min_u32_e32 v181, v180, v181
	v_cndmask_b32_e64 v179, v179, v180, s40
	v_lshl_add_u32 v181, v181, 1, v102
	ds_read_u16 v181, v181
	s_waitcnt lgkmcnt(0)
	v_cndmask_b32_e64 v196, v181, v195, s40
	v_cndmask_b32_e64 v63, v62, v181, s40
	v_cmpx_lt_u32_e64 v177, v242
	s_cbranch_execz .LBB240_370
; %bb.367:
	s_mov_b32 s44, 0
	s_mov_b32 s41, exec_lo
	v_cmpx_lt_u32_e64 v179, v241
; %bb.368:
	v_mov_b32_e32 v180, 0xcccd
	v_mul_u32_u24_sdwa v181, v196, v180 dst_sel:DWORD dst_unused:UNUSED_PAD src0_sel:WORD_0 src1_sel:DWORD
	v_mul_u32_u24_sdwa v180, v63, v180 dst_sel:DWORD dst_unused:UNUSED_PAD src0_sel:WORD_0 src1_sel:DWORD
	v_lshrrev_b32_e32 v181, 19, v181
	v_lshrrev_b32_e32 v180, 19, v180
	v_cmp_ge_u16_e32 vcc_lo, v181, v180
	s_and_b32 s44, vcc_lo, exec_lo
; %bb.369:
	s_or_b32 exec_lo, exec_lo, s41
	s_orn2_b32 s41, s44, exec_lo
.LBB240_370:
	s_or_b32 exec_lo, exec_lo, s43
	v_cndmask_b32_e64 v180, v177, v179, s41
	v_cndmask_b32_e64 v181, v242, v241, s41
	s_mov_b32 s43, exec_lo
	v_add_nc_u32_e32 v180, 1, v180
	v_add_nc_u32_e32 v181, -1, v181
	v_cndmask_b32_e64 v177, v180, v177, s41
	v_min_u32_e32 v181, v180, v181
	v_cndmask_b32_e64 v179, v179, v180, s41
	v_lshl_add_u32 v181, v181, 1, v102
	ds_read_u16 v181, v181
	s_waitcnt lgkmcnt(0)
	v_cndmask_b32_e64 v194, v181, v196, s41
	v_cndmask_b32_e64 v72, v63, v181, s41
	v_cmpx_lt_u32_e64 v177, v242
	s_cbranch_execz .LBB240_374
; %bb.371:
	s_mov_b32 s44, 0
	s_mov_b32 s42, exec_lo
	v_cmpx_lt_u32_e64 v179, v241
; %bb.372:
	v_mov_b32_e32 v180, 0xcccd
	v_mul_u32_u24_sdwa v181, v194, v180 dst_sel:DWORD dst_unused:UNUSED_PAD src0_sel:WORD_0 src1_sel:DWORD
	v_mul_u32_u24_sdwa v180, v72, v180 dst_sel:DWORD dst_unused:UNUSED_PAD src0_sel:WORD_0 src1_sel:DWORD
	v_lshrrev_b32_e32 v181, 19, v181
	v_lshrrev_b32_e32 v180, 19, v180
	v_cmp_ge_u16_e32 vcc_lo, v181, v180
	s_and_b32 s44, vcc_lo, exec_lo
; %bb.373:
	s_or_b32 exec_lo, exec_lo, s42
	s_orn2_b32 s42, s44, exec_lo
.LBB240_374:
	s_or_b32 exec_lo, exec_lo, s43
	v_cndmask_b32_e64 v180, v177, v179, s42
	v_cndmask_b32_e64 v181, v242, v241, s42
	s_mov_b32 s44, -1
	s_mov_b32 s43, -1
	s_mov_b32 s45, exec_lo
	v_add_nc_u32_e32 v180, 1, v180
	v_add_nc_u32_e32 v181, -1, v181
	v_cndmask_b32_e64 v177, v180, v177, s42
	v_min_u32_e32 v181, v180, v181
	v_cndmask_b32_e64 v179, v179, v180, s42
	v_lshl_add_u32 v181, v181, 1, v102
	ds_read_u16 v181, v181
	s_waitcnt lgkmcnt(0)
	v_cndmask_b32_e64 v198, v181, v194, s42
	v_cndmask_b32_e64 v73, v72, v181, s42
	v_cmpx_lt_u32_e64 v177, v242
	s_cbranch_execz .LBB240_378
; %bb.375:
	s_mov_b32 s46, 0
	s_mov_b32 s43, exec_lo
	v_cmpx_lt_u32_e64 v179, v241
; %bb.376:
	v_mov_b32_e32 v180, 0xcccd
	v_mul_u32_u24_sdwa v181, v198, v180 dst_sel:DWORD dst_unused:UNUSED_PAD src0_sel:WORD_0 src1_sel:DWORD
	v_mul_u32_u24_sdwa v180, v73, v180 dst_sel:DWORD dst_unused:UNUSED_PAD src0_sel:WORD_0 src1_sel:DWORD
	v_lshrrev_b32_e32 v181, 19, v181
	v_lshrrev_b32_e32 v180, 19, v180
	v_cmp_ge_u16_e32 vcc_lo, v181, v180
	s_and_b32 s46, vcc_lo, exec_lo
; %bb.377:
	s_or_b32 exec_lo, exec_lo, s43
	s_orn2_b32 s43, s46, exec_lo
.LBB240_378:
	s_or_b32 exec_lo, exec_lo, s45
	v_cndmask_b32_e64 v180, v177, v179, s43
	v_cndmask_b32_e64 v181, v242, v241, s43
	s_mov_b32 s45, exec_lo
	v_add_nc_u32_e32 v180, 1, v180
	v_add_nc_u32_e32 v181, -1, v181
	v_cndmask_b32_e64 v177, v180, v177, s43
	v_min_u32_e32 v181, v180, v181
	v_cndmask_b32_e64 v179, v179, v180, s43
	v_lshl_add_u32 v181, v181, 1, v102
	ds_read_u16 v182, v181
	s_waitcnt lgkmcnt(0)
	v_cndmask_b32_e64 v181, v182, v198, s43
	v_cndmask_b32_e64 v74, v73, v182, s43
	v_cmpx_lt_u32_e64 v177, v242
	s_cbranch_execz .LBB240_382
; %bb.379:
	s_mov_b32 s46, 0
	s_mov_b32 s44, exec_lo
	v_cmpx_lt_u32_e64 v179, v241
; %bb.380:
	v_mov_b32_e32 v180, 0xcccd
	v_mul_u32_u24_sdwa v182, v181, v180 dst_sel:DWORD dst_unused:UNUSED_PAD src0_sel:WORD_0 src1_sel:DWORD
	v_mul_u32_u24_sdwa v180, v74, v180 dst_sel:DWORD dst_unused:UNUSED_PAD src0_sel:WORD_0 src1_sel:DWORD
	v_lshrrev_b32_e32 v182, 19, v182
	v_lshrrev_b32_e32 v180, 19, v180
	v_cmp_ge_u16_e32 vcc_lo, v182, v180
	s_and_b32 s46, vcc_lo, exec_lo
; %bb.381:
	s_or_b32 exec_lo, exec_lo, s44
	s_orn2_b32 s44, s46, exec_lo
.LBB240_382:
	s_or_b32 exec_lo, exec_lo, s45
	v_cndmask_b32_e64 v180, v177, v179, s44
	v_cndmask_b32_e64 v182, v242, v241, s44
	s_mov_b32 s46, -1
	s_mov_b32 s45, -1
	s_mov_b32 s47, exec_lo
	v_add_nc_u32_e32 v180, 1, v180
	v_add_nc_u32_e32 v182, -1, v182
	v_cndmask_b32_e64 v177, v180, v177, s44
	v_min_u32_e32 v182, v180, v182
	v_cndmask_b32_e64 v179, v179, v180, s44
	v_lshl_add_u32 v182, v182, 1, v102
	ds_read_u16 v182, v182
	s_waitcnt lgkmcnt(0)
	v_cndmask_b32_e64 v192, v182, v181, s44
	v_cndmask_b32_e64 v75, v74, v182, s44
	v_cmpx_lt_u32_e64 v177, v242
	s_cbranch_execz .LBB240_386
; %bb.383:
	s_mov_b32 s56, 0
	s_mov_b32 s45, exec_lo
	v_cmpx_lt_u32_e64 v179, v241
; %bb.384:
	v_mov_b32_e32 v180, 0xcccd
	v_mul_u32_u24_sdwa v182, v192, v180 dst_sel:DWORD dst_unused:UNUSED_PAD src0_sel:WORD_0 src1_sel:DWORD
	v_mul_u32_u24_sdwa v180, v75, v180 dst_sel:DWORD dst_unused:UNUSED_PAD src0_sel:WORD_0 src1_sel:DWORD
	v_lshrrev_b32_e32 v182, 19, v182
	v_lshrrev_b32_e32 v180, 19, v180
	v_cmp_ge_u16_e32 vcc_lo, v182, v180
	s_and_b32 s56, vcc_lo, exec_lo
; %bb.385:
	s_or_b32 exec_lo, exec_lo, s45
	s_orn2_b32 s45, s56, exec_lo
.LBB240_386:
	s_or_b32 exec_lo, exec_lo, s47
	v_cndmask_b32_e64 v180, v177, v179, s45
	v_cndmask_b32_e64 v182, v242, v241, s45
	s_mov_b32 s47, exec_lo
	v_add_nc_u32_e32 v180, 1, v180
	v_add_nc_u32_e32 v182, -1, v182
	v_cndmask_b32_e64 v177, v180, v177, s45
	v_min_u32_e32 v182, v180, v182
	v_cndmask_b32_e64 v179, v179, v180, s45
	v_lshl_add_u32 v182, v182, 1, v102
	ds_read_u16 v182, v182
	s_waitcnt lgkmcnt(0)
	v_cndmask_b32_e64 v183, v182, v192, s45
	v_cndmask_b32_e64 v76, v75, v182, s45
	v_cmpx_lt_u32_e64 v177, v242
	s_cbranch_execz .LBB240_390
; %bb.387:
	s_mov_b32 s56, 0
	s_mov_b32 s46, exec_lo
	v_cmpx_lt_u32_e64 v179, v241
; %bb.388:
	v_mov_b32_e32 v180, 0xcccd
	v_mul_u32_u24_sdwa v182, v183, v180 dst_sel:DWORD dst_unused:UNUSED_PAD src0_sel:WORD_0 src1_sel:DWORD
	v_mul_u32_u24_sdwa v180, v76, v180 dst_sel:DWORD dst_unused:UNUSED_PAD src0_sel:WORD_0 src1_sel:DWORD
	v_lshrrev_b32_e32 v182, 19, v182
	v_lshrrev_b32_e32 v180, 19, v180
	v_cmp_ge_u16_e32 vcc_lo, v182, v180
	s_and_b32 s56, vcc_lo, exec_lo
; %bb.389:
	s_or_b32 exec_lo, exec_lo, s46
	s_orn2_b32 s46, s56, exec_lo
.LBB240_390:
	s_or_b32 exec_lo, exec_lo, s47
	v_cndmask_b32_e64 v180, v177, v179, s46
	v_cndmask_b32_e64 v182, v242, v241, s46
	s_mov_b32 s56, -1
	s_mov_b32 s47, -1
	s_mov_b32 s57, exec_lo
	v_add_nc_u32_e32 v180, 1, v180
	v_add_nc_u32_e32 v182, -1, v182
	v_cndmask_b32_e64 v177, v180, v177, s46
	v_min_u32_e32 v182, v180, v182
	v_cndmask_b32_e64 v179, v179, v180, s46
	v_lshl_add_u32 v182, v182, 1, v102
	ds_read_u16 v77, v182
	s_waitcnt lgkmcnt(0)
	v_cndmask_b32_e64 v182, v77, v183, s46
	v_cndmask_b32_e64 v77, v76, v77, s46
	v_cmpx_lt_u32_e64 v177, v242
	s_cbranch_execz .LBB240_394
; %bb.391:
	s_mov_b32 s58, 0
	s_mov_b32 s47, exec_lo
	v_cmpx_lt_u32_e64 v179, v241
; %bb.392:
	v_mov_b32_e32 v180, 0xcccd
	v_mul_u32_u24_sdwa v78, v182, v180 dst_sel:DWORD dst_unused:UNUSED_PAD src0_sel:WORD_0 src1_sel:DWORD
	v_mul_u32_u24_sdwa v180, v77, v180 dst_sel:DWORD dst_unused:UNUSED_PAD src0_sel:WORD_0 src1_sel:DWORD
	v_lshrrev_b32_e32 v78, 19, v78
	v_lshrrev_b32_e32 v180, 19, v180
	v_cmp_ge_u16_e32 vcc_lo, v78, v180
	s_and_b32 s58, vcc_lo, exec_lo
; %bb.393:
	s_or_b32 exec_lo, exec_lo, s47
	s_orn2_b32 s47, s58, exec_lo
.LBB240_394:
	s_or_b32 exec_lo, exec_lo, s57
	v_cndmask_b32_e64 v180, v177, v179, s47
	v_cndmask_b32_e64 v78, v242, v241, s47
	s_mov_b32 s57, exec_lo
	v_add_nc_u32_e32 v180, 1, v180
	v_add_nc_u32_e32 v78, -1, v78
	v_cndmask_b32_e64 v177, v180, v177, s47
	v_min_u32_e32 v78, v180, v78
	v_cndmask_b32_e64 v179, v179, v180, s47
	v_lshl_add_u32 v78, v78, 1, v102
	ds_read_u16 v78, v78
	s_waitcnt lgkmcnt(0)
	v_cndmask_b32_e64 v180, v78, v182, s47
	v_cndmask_b32_e64 v78, v77, v78, s47
	v_cmpx_lt_u32_e64 v177, v242
	s_cbranch_execz .LBB240_398
; %bb.395:
	s_mov_b32 s58, 0
	s_mov_b32 s56, exec_lo
	v_cmpx_lt_u32_e64 v179, v241
; %bb.396:
	v_mov_b32_e32 v79, 0xcccd
	v_mul_u32_u24_sdwa v88, v180, v79 dst_sel:DWORD dst_unused:UNUSED_PAD src0_sel:WORD_0 src1_sel:DWORD
	v_mul_u32_u24_sdwa v79, v78, v79 dst_sel:DWORD dst_unused:UNUSED_PAD src0_sel:WORD_0 src1_sel:DWORD
	v_lshrrev_b32_e32 v88, 19, v88
	v_lshrrev_b32_e32 v79, 19, v79
	v_cmp_ge_u16_e32 vcc_lo, v88, v79
	s_and_b32 s58, vcc_lo, exec_lo
; %bb.397:
	s_or_b32 exec_lo, exec_lo, s56
	s_orn2_b32 s56, s58, exec_lo
.LBB240_398:
	s_or_b32 exec_lo, exec_lo, s57
	v_cndmask_b32_e64 v79, v177, v179, s56
	v_cndmask_b32_e64 v88, v242, v241, s56
	s_mov_b32 s57, -1
	s_mov_b32 s58, -1
	s_mov_b32 s59, exec_lo
	v_add_nc_u32_e32 v79, 1, v79
	v_add_nc_u32_e32 v88, -1, v88
	v_cndmask_b32_e64 v177, v79, v177, s56
	v_min_u32_e32 v88, v79, v88
	v_lshl_add_u32 v88, v88, 1, v102
	ds_read_u16 v89, v88
	v_cndmask_b32_e64 v88, v179, v79, s56
	s_waitcnt lgkmcnt(0)
	v_cndmask_b32_e64 v179, v89, v180, s56
	v_cndmask_b32_e64 v79, v78, v89, s56
	v_cmpx_lt_u32_e64 v177, v242
	s_cbranch_execz .LBB240_402
; %bb.399:
	s_mov_b32 s60, 0
	s_mov_b32 s58, exec_lo
	v_cmpx_lt_u32_e64 v88, v241
; %bb.400:
	v_mov_b32_e32 v89, 0xcccd
	v_mul_u32_u24_sdwa v90, v179, v89 dst_sel:DWORD dst_unused:UNUSED_PAD src0_sel:WORD_0 src1_sel:DWORD
	v_mul_u32_u24_sdwa v89, v79, v89 dst_sel:DWORD dst_unused:UNUSED_PAD src0_sel:WORD_0 src1_sel:DWORD
	v_lshrrev_b32_e32 v90, 19, v90
	v_lshrrev_b32_e32 v89, 19, v89
	v_cmp_ge_u16_e32 vcc_lo, v90, v89
	s_and_b32 s60, vcc_lo, exec_lo
; %bb.401:
	s_or_b32 exec_lo, exec_lo, s58
	s_orn2_b32 s58, s60, exec_lo
.LBB240_402:
	s_or_b32 exec_lo, exec_lo, s59
	v_cndmask_b32_e64 v89, v177, v88, s58
	v_cndmask_b32_e64 v90, v242, v241, s58
	s_mov_b32 s59, exec_lo
	v_add_nc_u32_e32 v89, 1, v89
	v_add_nc_u32_e32 v90, -1, v90
	v_cndmask_b32_e64 v177, v89, v177, s58
	v_min_u32_e32 v90, v89, v90
	v_lshl_add_u32 v90, v90, 1, v102
	ds_read_u16 v91, v90
	v_cndmask_b32_e64 v90, v88, v89, s58
	s_waitcnt lgkmcnt(0)
	v_cndmask_b32_e64 v88, v91, v179, s58
	v_cndmask_b32_e64 v89, v79, v91, s58
	v_cmpx_lt_u32_e64 v177, v242
	s_cbranch_execz .LBB240_406
; %bb.403:
	s_mov_b32 s60, 0
	s_mov_b32 s57, exec_lo
	v_cmpx_lt_u32_e64 v90, v241
; %bb.404:
	v_mov_b32_e32 v91, 0xcccd
	v_mul_u32_u24_sdwa v92, v88, v91 dst_sel:DWORD dst_unused:UNUSED_PAD src0_sel:WORD_0 src1_sel:DWORD
	v_mul_u32_u24_sdwa v91, v89, v91 dst_sel:DWORD dst_unused:UNUSED_PAD src0_sel:WORD_0 src1_sel:DWORD
	v_lshrrev_b32_e32 v92, 19, v92
	v_lshrrev_b32_e32 v91, 19, v91
	v_cmp_ge_u16_e32 vcc_lo, v92, v91
	s_and_b32 s60, vcc_lo, exec_lo
; %bb.405:
	s_or_b32 exec_lo, exec_lo, s57
	s_orn2_b32 s57, s60, exec_lo
.LBB240_406:
	s_or_b32 exec_lo, exec_lo, s59
	v_cndmask_b32_e64 v91, v177, v90, s57
	v_cndmask_b32_e64 v92, v242, v241, s57
	s_mov_b32 s59, exec_lo
	v_add_nc_u32_e32 v91, 1, v91
	v_add_nc_u32_e32 v92, -1, v92
	v_cndmask_b32_e64 v93, v91, v177, s57
	v_min_u32_e32 v92, v91, v92
	v_lshl_add_u32 v92, v92, 1, v102
	ds_read_u16 v92, v92
	s_waitcnt lgkmcnt(0)
	v_cndmask_b32_e64 v177, v89, v92, s57
	v_cmpx_lt_u32_e64 v93, v242
	s_cbranch_execz .LBB240_410
; %bb.407:
	v_cndmask_b32_e64 v90, v90, v91, s57
	v_cndmask_b32_e64 v242, v92, v88, s57
	s_mov_b32 s60, exec_lo
	v_cmpx_lt_u32_e64 v90, v241
	s_cbranch_execz .LBB240_409
; %bb.408:
	v_mov_b32_e32 v241, 0xcccd
	v_mul_u32_u24_sdwa v90, v242, v241 dst_sel:DWORD dst_unused:UNUSED_PAD src0_sel:WORD_0 src1_sel:DWORD
	v_mul_u32_u24_sdwa v241, v177, v241 dst_sel:DWORD dst_unused:UNUSED_PAD src0_sel:WORD_0 src1_sel:DWORD
	v_lshrrev_b32_e32 v90, 19, v90
	v_lshrrev_b32_e32 v241, 19, v241
	v_cmp_lt_u16_e32 vcc_lo, v90, v241
	v_cndmask_b32_e32 v242, v177, v242, vcc_lo
.LBB240_409:
	s_or_b32 exec_lo, exec_lo, s60
	v_mov_b32_e32 v177, v242
.LBB240_410:
	s_or_b32 exec_lo, exec_lo, s59
	v_cndmask_b32_e64 v179, v179, v79, s58
	v_cndmask_b32_e64 v180, v180, v78, s56
	;; [unrolled: 1-line block ×31, first 2 shown]
.LBB240_411:
	s_or_b32 exec_lo, exec_lo, s5
	; wave barrier
	ds_write_b16 v113, v178
	ds_write_b16 v165, v231
	;; [unrolled: 1-line block ×5, first 2 shown]
	v_and_b32_e32 v165, 0x200, v112
	ds_write_b16 v161, v240
	ds_write_b16 v162, v224
	;; [unrolled: 1-line block ×15, first 2 shown]
	v_or_b32_e32 v113, 0x100, v165
	v_and_b32_e32 v134, 0x1e0, v112
	ds_write_b16 v131, v195
	ds_write_b16 v132, v196
	ds_write_b16 v133, v194
	ds_write_b16 v128, v198
	ds_write_b16 v129, v181
	ds_write_b16 v130, v192
	s_mov_b32 s4, exec_lo
	v_min_u32_e32 v113, v103, v113
	ds_write_b16 v116, v183
	ds_write_b16 v117, v182
	;; [unrolled: 1-line block ×6, first 2 shown]
	; wave barrier
	v_add_nc_u32_e32 v145, 0x100, v113
	v_sub_nc_u32_e32 v132, v113, v165
	v_min_u32_e32 v112, v103, v145
	v_min_u32_e32 v103, v103, v134
	v_sub_nc_u32_e32 v131, v112, v113
	v_min_u32_e32 v129, v103, v132
	v_sub_nc_u32_e64 v128, v103, v131 clamp
	v_cmpx_lt_u32_e64 v128, v129
	s_cbranch_execz .LBB240_415
; %bb.412:
	v_lshlrev_b32_e32 v114, 1, v165
	v_lshlrev_b32_e32 v115, 1, v113
	s_mov_b32 s5, 0
	v_add_co_u32 v114, null, v102, v114
	v_add_co_u32 v115, null, v102, v115
	.p2align	6
.LBB240_413:                            ; =>This Inner Loop Header: Depth=1
	v_add_nc_u32_e32 v116, v129, v128
	v_lshrrev_b32_e32 v117, 1, v116
	v_and_b32_e32 v116, -2, v116
	v_xad_u32 v118, v117, -1, v103
	v_add_nc_u32_e32 v116, v114, v116
	v_add_nc_u32_e32 v119, 1, v117
	v_lshl_add_u32 v118, v118, 1, v115
	ds_read_u16 v116, v116
	ds_read_u16 v118, v118
	s_waitcnt lgkmcnt(1)
	v_mul_u32_u24_e32 v116, 0xcccd, v116
	s_waitcnt lgkmcnt(0)
	v_mul_u32_u24_e32 v118, 0xcccd, v118
	v_lshrrev_b32_e32 v116, 19, v116
	v_lshrrev_b32_e32 v118, 19, v118
	v_cmp_lt_u16_e32 vcc_lo, v118, v116
	v_cndmask_b32_e32 v129, v129, v117, vcc_lo
	v_cndmask_b32_e32 v128, v119, v128, vcc_lo
	v_cmp_ge_u32_e32 vcc_lo, v128, v129
	s_or_b32 s5, vcc_lo, s5
	s_andn2_b32 exec_lo, exec_lo, s5
	s_cbranch_execnz .LBB240_413
; %bb.414:
	s_or_b32 exec_lo, exec_lo, s5
.LBB240_415:
	s_or_b32 exec_lo, exec_lo, s4
	v_add_nc_u32_e32 v103, v113, v103
	v_add_nc_u32_e32 v115, v128, v165
	v_sub_nc_u32_e32 v116, v103, v128
	v_cmp_le_u32_e32 vcc_lo, v115, v113
	v_cmp_le_u32_e64 s4, v116, v112
	s_or_b32 s4, vcc_lo, s4
	s_and_saveexec_b32 s5, s4
	s_cbranch_execz .LBB240_547
; %bb.416:
	s_mov_b32 s7, exec_lo
	v_cmp_ge_u32_e32 vcc_lo, v115, v113
                                        ; implicit-def: $vgpr103
	v_cmpx_lt_u32_e64 v115, v113
; %bb.417:
	v_lshl_add_u32 v103, v115, 1, v102
	ds_read_u16 v103, v103
; %bb.418:
	s_or_b32 exec_lo, exec_lo, s7
	v_cmp_ge_u32_e64 s7, v116, v112
	s_mov_b32 s10, exec_lo
                                        ; implicit-def: $vgpr114
	v_cmpx_lt_u32_e64 v116, v112
; %bb.419:
	v_lshl_add_u32 v114, v116, 1, v102
	ds_read_u16 v114, v114
; %bb.420:
	s_or_b32 exec_lo, exec_lo, s10
	s_nor_b32 s10, vcc_lo, s7
	s_and_saveexec_b32 s4, s10
	s_cbranch_execz .LBB240_422
; %bb.421:
	v_mov_b32_e32 v117, 0xcccd
	s_andn2_b32 s7, s7, exec_lo
	s_waitcnt lgkmcnt(0)
	v_mul_u32_u24_sdwa v118, v114, v117 dst_sel:DWORD dst_unused:UNUSED_PAD src0_sel:WORD_0 src1_sel:DWORD
	v_mul_u32_u24_sdwa v117, v103, v117 dst_sel:DWORD dst_unused:UNUSED_PAD src0_sel:WORD_0 src1_sel:DWORD
	v_lshrrev_b32_e32 v118, 19, v118
	v_lshrrev_b32_e32 v117, 19, v117
	v_cmp_ge_u16_e32 vcc_lo, v118, v117
	s_and_b32 s10, vcc_lo, exec_lo
	s_or_b32 s7, s7, s10
.LBB240_422:
	s_or_b32 exec_lo, exec_lo, s4
	v_cndmask_b32_e64 v117, v116, v115, s7
	v_cndmask_b32_e64 v118, v112, v113, s7
	s_mov_b32 s10, -1
	s_mov_b32 s4, -1
	s_mov_b32 s11, exec_lo
	v_add_nc_u32_e32 v119, 1, v117
	v_add_nc_u32_e32 v117, -1, v118
	v_cndmask_b32_e64 v118, v115, v119, s7
	v_min_u32_e32 v117, v119, v117
	v_lshl_add_u32 v117, v117, 1, v102
	ds_read_u16 v128, v117
	v_cndmask_b32_e64 v117, v119, v116, s7
	s_waitcnt lgkmcnt(0)
	v_cndmask_b32_e64 v115, v128, v114, s7
	v_cndmask_b32_e64 v116, v103, v128, s7
	v_cmpx_lt_u32_e64 v117, v112
	s_cbranch_execz .LBB240_426
; %bb.423:
	s_mov_b32 s14, 0
	s_mov_b32 s4, exec_lo
	v_cmpx_lt_u32_e64 v118, v113
; %bb.424:
	v_mov_b32_e32 v119, 0xcccd
	v_mul_u32_u24_sdwa v128, v115, v119 dst_sel:DWORD dst_unused:UNUSED_PAD src0_sel:WORD_0 src1_sel:DWORD
	v_mul_u32_u24_sdwa v119, v116, v119 dst_sel:DWORD dst_unused:UNUSED_PAD src0_sel:WORD_0 src1_sel:DWORD
	v_lshrrev_b32_e32 v128, 19, v128
	v_lshrrev_b32_e32 v119, 19, v119
	v_cmp_ge_u16_e32 vcc_lo, v128, v119
	s_and_b32 s14, vcc_lo, exec_lo
; %bb.425:
	s_or_b32 exec_lo, exec_lo, s4
	s_orn2_b32 s4, s14, exec_lo
.LBB240_426:
	s_or_b32 exec_lo, exec_lo, s11
	v_cndmask_b32_e64 v119, v117, v118, s4
	v_cndmask_b32_e64 v128, v112, v113, s4
	s_mov_b32 s11, exec_lo
	v_add_nc_u32_e32 v129, 1, v119
	v_add_nc_u32_e32 v119, -1, v128
	v_cndmask_b32_e64 v128, v118, v129, s4
	v_min_u32_e32 v119, v129, v119
	v_lshl_add_u32 v119, v119, 1, v102
	ds_read_u16 v130, v119
	v_cndmask_b32_e64 v119, v129, v117, s4
	s_waitcnt lgkmcnt(0)
	v_cndmask_b32_e64 v117, v130, v115, s4
	v_cndmask_b32_e64 v118, v116, v130, s4
	v_cmpx_lt_u32_e64 v119, v112
	s_cbranch_execz .LBB240_430
; %bb.427:
	s_mov_b32 s14, 0
	s_mov_b32 s10, exec_lo
	v_cmpx_lt_u32_e64 v128, v113
; %bb.428:
	v_mov_b32_e32 v129, 0xcccd
	v_mul_u32_u24_sdwa v130, v117, v129 dst_sel:DWORD dst_unused:UNUSED_PAD src0_sel:WORD_0 src1_sel:DWORD
	v_mul_u32_u24_sdwa v129, v118, v129 dst_sel:DWORD dst_unused:UNUSED_PAD src0_sel:WORD_0 src1_sel:DWORD
	v_lshrrev_b32_e32 v130, 19, v130
	v_lshrrev_b32_e32 v129, 19, v129
	v_cmp_ge_u16_e32 vcc_lo, v130, v129
	s_and_b32 s14, vcc_lo, exec_lo
; %bb.429:
	s_or_b32 exec_lo, exec_lo, s10
	s_orn2_b32 s10, s14, exec_lo
.LBB240_430:
	s_or_b32 exec_lo, exec_lo, s11
	v_cndmask_b32_e64 v129, v119, v128, s10
	v_cndmask_b32_e64 v130, v112, v113, s10
	s_mov_b32 s14, -1
	s_mov_b32 s11, -1
	s_mov_b32 s15, exec_lo
	v_add_nc_u32_e32 v131, 1, v129
	v_add_nc_u32_e32 v129, -1, v130
	v_cndmask_b32_e64 v130, v128, v131, s10
	v_min_u32_e32 v129, v131, v129
	v_lshl_add_u32 v129, v129, 1, v102
	ds_read_u16 v132, v129
	v_cndmask_b32_e64 v129, v131, v119, s10
	s_waitcnt lgkmcnt(0)
	v_cndmask_b32_e64 v119, v132, v117, s10
	v_cndmask_b32_e64 v128, v118, v132, s10
	v_cmpx_lt_u32_e64 v129, v112
	s_cbranch_execz .LBB240_434
; %bb.431:
	s_mov_b32 s16, 0
	s_mov_b32 s11, exec_lo
	v_cmpx_lt_u32_e64 v130, v113
; %bb.432:
	v_mov_b32_e32 v131, 0xcccd
	v_mul_u32_u24_sdwa v132, v119, v131 dst_sel:DWORD dst_unused:UNUSED_PAD src0_sel:WORD_0 src1_sel:DWORD
	v_mul_u32_u24_sdwa v131, v128, v131 dst_sel:DWORD dst_unused:UNUSED_PAD src0_sel:WORD_0 src1_sel:DWORD
	v_lshrrev_b32_e32 v132, 19, v132
	v_lshrrev_b32_e32 v131, 19, v131
	v_cmp_ge_u16_e32 vcc_lo, v132, v131
	s_and_b32 s16, vcc_lo, exec_lo
; %bb.433:
	s_or_b32 exec_lo, exec_lo, s11
	s_orn2_b32 s11, s16, exec_lo
.LBB240_434:
	s_or_b32 exec_lo, exec_lo, s15
	v_cndmask_b32_e64 v131, v129, v130, s11
	v_cndmask_b32_e64 v132, v112, v113, s11
	s_mov_b32 s15, exec_lo
	v_add_nc_u32_e32 v133, 1, v131
	v_add_nc_u32_e32 v131, -1, v132
	v_cndmask_b32_e64 v132, v130, v133, s11
	v_min_u32_e32 v131, v133, v131
	v_lshl_add_u32 v131, v131, 1, v102
	ds_read_u16 v134, v131
	v_cndmask_b32_e64 v131, v133, v129, s11
	s_waitcnt lgkmcnt(0)
	v_cndmask_b32_e64 v129, v134, v119, s11
	v_cndmask_b32_e64 v130, v128, v134, s11
	v_cmpx_lt_u32_e64 v131, v112
	s_cbranch_execz .LBB240_438
; %bb.435:
	s_mov_b32 s16, 0
	s_mov_b32 s14, exec_lo
	v_cmpx_lt_u32_e64 v132, v113
; %bb.436:
	v_mov_b32_e32 v133, 0xcccd
	v_mul_u32_u24_sdwa v134, v129, v133 dst_sel:DWORD dst_unused:UNUSED_PAD src0_sel:WORD_0 src1_sel:DWORD
	v_mul_u32_u24_sdwa v133, v130, v133 dst_sel:DWORD dst_unused:UNUSED_PAD src0_sel:WORD_0 src1_sel:DWORD
	v_lshrrev_b32_e32 v134, 19, v134
	v_lshrrev_b32_e32 v133, 19, v133
	v_cmp_ge_u16_e32 vcc_lo, v134, v133
	s_and_b32 s16, vcc_lo, exec_lo
; %bb.437:
	s_or_b32 exec_lo, exec_lo, s14
	s_orn2_b32 s14, s16, exec_lo
.LBB240_438:
	s_or_b32 exec_lo, exec_lo, s15
	v_cndmask_b32_e64 v133, v131, v132, s14
	v_cndmask_b32_e64 v134, v112, v113, s14
	s_mov_b32 s16, -1
	s_mov_b32 s15, -1
	s_mov_b32 s17, exec_lo
	v_add_nc_u32_e32 v135, 1, v133
	v_add_nc_u32_e32 v133, -1, v134
	v_cndmask_b32_e64 v134, v132, v135, s14
	v_min_u32_e32 v133, v135, v133
	v_lshl_add_u32 v133, v133, 1, v102
	ds_read_u16 v144, v133
	v_cndmask_b32_e64 v133, v135, v131, s14
	s_waitcnt lgkmcnt(0)
	v_cndmask_b32_e64 v131, v144, v129, s14
	v_cndmask_b32_e64 v132, v130, v144, s14
	v_cmpx_lt_u32_e64 v133, v112
	s_cbranch_execz .LBB240_442
; %bb.439:
	s_mov_b32 s18, 0
	s_mov_b32 s15, exec_lo
	v_cmpx_lt_u32_e64 v134, v113
; %bb.440:
	v_mov_b32_e32 v135, 0xcccd
	v_mul_u32_u24_sdwa v144, v131, v135 dst_sel:DWORD dst_unused:UNUSED_PAD src0_sel:WORD_0 src1_sel:DWORD
	v_mul_u32_u24_sdwa v135, v132, v135 dst_sel:DWORD dst_unused:UNUSED_PAD src0_sel:WORD_0 src1_sel:DWORD
	v_lshrrev_b32_e32 v144, 19, v144
	v_lshrrev_b32_e32 v135, 19, v135
	v_cmp_ge_u16_e32 vcc_lo, v144, v135
	s_and_b32 s18, vcc_lo, exec_lo
; %bb.441:
	s_or_b32 exec_lo, exec_lo, s15
	s_orn2_b32 s15, s18, exec_lo
.LBB240_442:
	s_or_b32 exec_lo, exec_lo, s17
	v_cndmask_b32_e64 v135, v133, v134, s15
	v_cndmask_b32_e64 v144, v112, v113, s15
	s_mov_b32 s17, exec_lo
	v_add_nc_u32_e32 v145, 1, v135
	v_add_nc_u32_e32 v135, -1, v144
	v_cndmask_b32_e64 v144, v134, v145, s15
	v_min_u32_e32 v135, v145, v135
	v_lshl_add_u32 v135, v135, 1, v102
	ds_read_u16 v146, v135
	v_cndmask_b32_e64 v135, v145, v133, s15
	s_waitcnt lgkmcnt(0)
	v_cndmask_b32_e64 v133, v146, v131, s15
	v_cndmask_b32_e64 v134, v132, v146, s15
	v_cmpx_lt_u32_e64 v135, v112
	s_cbranch_execz .LBB240_446
; %bb.443:
	s_mov_b32 s18, 0
	s_mov_b32 s16, exec_lo
	v_cmpx_lt_u32_e64 v144, v113
; %bb.444:
	v_mov_b32_e32 v145, 0xcccd
	v_mul_u32_u24_sdwa v146, v133, v145 dst_sel:DWORD dst_unused:UNUSED_PAD src0_sel:WORD_0 src1_sel:DWORD
	v_mul_u32_u24_sdwa v145, v134, v145 dst_sel:DWORD dst_unused:UNUSED_PAD src0_sel:WORD_0 src1_sel:DWORD
	v_lshrrev_b32_e32 v146, 19, v146
	v_lshrrev_b32_e32 v145, 19, v145
	v_cmp_ge_u16_e32 vcc_lo, v146, v145
	s_and_b32 s18, vcc_lo, exec_lo
; %bb.445:
	s_or_b32 exec_lo, exec_lo, s16
	s_orn2_b32 s16, s18, exec_lo
.LBB240_446:
	s_or_b32 exec_lo, exec_lo, s17
	v_cndmask_b32_e64 v145, v135, v144, s16
	v_cndmask_b32_e64 v146, v112, v113, s16
	s_mov_b32 s18, -1
	s_mov_b32 s17, -1
	s_mov_b32 s19, exec_lo
	v_add_nc_u32_e32 v147, 1, v145
	v_add_nc_u32_e32 v145, -1, v146
	v_cndmask_b32_e64 v146, v144, v147, s16
	v_min_u32_e32 v145, v147, v145
	v_lshl_add_u32 v145, v145, 1, v102
	ds_read_u16 v148, v145
	v_cndmask_b32_e64 v145, v147, v135, s16
	s_waitcnt lgkmcnt(0)
	v_cndmask_b32_e64 v135, v148, v133, s16
	v_cndmask_b32_e64 v144, v134, v148, s16
	v_cmpx_lt_u32_e64 v145, v112
	s_cbranch_execz .LBB240_450
; %bb.447:
	s_mov_b32 s20, 0
	s_mov_b32 s17, exec_lo
	v_cmpx_lt_u32_e64 v146, v113
; %bb.448:
	v_mov_b32_e32 v147, 0xcccd
	v_mul_u32_u24_sdwa v148, v135, v147 dst_sel:DWORD dst_unused:UNUSED_PAD src0_sel:WORD_0 src1_sel:DWORD
	v_mul_u32_u24_sdwa v147, v144, v147 dst_sel:DWORD dst_unused:UNUSED_PAD src0_sel:WORD_0 src1_sel:DWORD
	v_lshrrev_b32_e32 v148, 19, v148
	v_lshrrev_b32_e32 v147, 19, v147
	v_cmp_ge_u16_e32 vcc_lo, v148, v147
	s_and_b32 s20, vcc_lo, exec_lo
; %bb.449:
	s_or_b32 exec_lo, exec_lo, s17
	s_orn2_b32 s17, s20, exec_lo
.LBB240_450:
	s_or_b32 exec_lo, exec_lo, s19
	v_cndmask_b32_e64 v147, v145, v146, s17
	v_cndmask_b32_e64 v148, v112, v113, s17
	s_mov_b32 s19, exec_lo
	v_add_nc_u32_e32 v149, 1, v147
	v_add_nc_u32_e32 v147, -1, v148
	v_cndmask_b32_e64 v148, v146, v149, s17
	v_min_u32_e32 v147, v149, v147
	v_lshl_add_u32 v147, v147, 1, v102
	ds_read_u16 v150, v147
	v_cndmask_b32_e64 v147, v149, v145, s17
	s_waitcnt lgkmcnt(0)
	v_cndmask_b32_e64 v145, v150, v135, s17
	v_cndmask_b32_e64 v146, v144, v150, s17
	v_cmpx_lt_u32_e64 v147, v112
	s_cbranch_execz .LBB240_454
; %bb.451:
	s_mov_b32 s20, 0
	s_mov_b32 s18, exec_lo
	v_cmpx_lt_u32_e64 v148, v113
; %bb.452:
	v_mov_b32_e32 v149, 0xcccd
	v_mul_u32_u24_sdwa v150, v145, v149 dst_sel:DWORD dst_unused:UNUSED_PAD src0_sel:WORD_0 src1_sel:DWORD
	v_mul_u32_u24_sdwa v149, v146, v149 dst_sel:DWORD dst_unused:UNUSED_PAD src0_sel:WORD_0 src1_sel:DWORD
	v_lshrrev_b32_e32 v150, 19, v150
	v_lshrrev_b32_e32 v149, 19, v149
	v_cmp_ge_u16_e32 vcc_lo, v150, v149
	s_and_b32 s20, vcc_lo, exec_lo
; %bb.453:
	s_or_b32 exec_lo, exec_lo, s18
	s_orn2_b32 s18, s20, exec_lo
.LBB240_454:
	s_or_b32 exec_lo, exec_lo, s19
	v_cndmask_b32_e64 v149, v147, v148, s18
	v_cndmask_b32_e64 v150, v112, v113, s18
	s_mov_b32 s20, -1
	s_mov_b32 s19, -1
	s_mov_b32 s21, exec_lo
	v_add_nc_u32_e32 v151, 1, v149
	v_add_nc_u32_e32 v149, -1, v150
	v_cndmask_b32_e64 v150, v148, v151, s18
	v_min_u32_e32 v149, v151, v149
	v_lshl_add_u32 v149, v149, 1, v102
	ds_read_u16 v160, v149
	v_cndmask_b32_e64 v149, v151, v147, s18
	s_waitcnt lgkmcnt(0)
	v_cndmask_b32_e64 v147, v160, v145, s18
	v_cndmask_b32_e64 v148, v146, v160, s18
	v_cmpx_lt_u32_e64 v149, v112
	s_cbranch_execz .LBB240_458
; %bb.455:
	s_mov_b32 s22, 0
	s_mov_b32 s19, exec_lo
	v_cmpx_lt_u32_e64 v150, v113
; %bb.456:
	v_mov_b32_e32 v151, 0xcccd
	v_mul_u32_u24_sdwa v160, v147, v151 dst_sel:DWORD dst_unused:UNUSED_PAD src0_sel:WORD_0 src1_sel:DWORD
	v_mul_u32_u24_sdwa v151, v148, v151 dst_sel:DWORD dst_unused:UNUSED_PAD src0_sel:WORD_0 src1_sel:DWORD
	v_lshrrev_b32_e32 v160, 19, v160
	v_lshrrev_b32_e32 v151, 19, v151
	v_cmp_ge_u16_e32 vcc_lo, v160, v151
	s_and_b32 s22, vcc_lo, exec_lo
; %bb.457:
	s_or_b32 exec_lo, exec_lo, s19
	s_orn2_b32 s19, s22, exec_lo
.LBB240_458:
	s_or_b32 exec_lo, exec_lo, s21
	v_cndmask_b32_e64 v151, v149, v150, s19
	v_cndmask_b32_e64 v160, v112, v113, s19
	s_mov_b32 s21, exec_lo
	v_add_nc_u32_e32 v161, 1, v151
	v_add_nc_u32_e32 v151, -1, v160
	v_cndmask_b32_e64 v160, v150, v161, s19
	v_min_u32_e32 v151, v161, v151
	v_lshl_add_u32 v151, v151, 1, v102
	ds_read_u16 v162, v151
	v_cndmask_b32_e64 v151, v161, v149, s19
	s_waitcnt lgkmcnt(0)
	v_cndmask_b32_e64 v149, v162, v147, s19
	v_cndmask_b32_e64 v150, v148, v162, s19
	v_cmpx_lt_u32_e64 v151, v112
	s_cbranch_execz .LBB240_462
; %bb.459:
	s_mov_b32 s22, 0
	s_mov_b32 s20, exec_lo
	v_cmpx_lt_u32_e64 v160, v113
; %bb.460:
	v_mov_b32_e32 v161, 0xcccd
	v_mul_u32_u24_sdwa v162, v149, v161 dst_sel:DWORD dst_unused:UNUSED_PAD src0_sel:WORD_0 src1_sel:DWORD
	v_mul_u32_u24_sdwa v161, v150, v161 dst_sel:DWORD dst_unused:UNUSED_PAD src0_sel:WORD_0 src1_sel:DWORD
	v_lshrrev_b32_e32 v162, 19, v162
	v_lshrrev_b32_e32 v161, 19, v161
	v_cmp_ge_u16_e32 vcc_lo, v162, v161
	s_and_b32 s22, vcc_lo, exec_lo
; %bb.461:
	s_or_b32 exec_lo, exec_lo, s20
	s_orn2_b32 s20, s22, exec_lo
.LBB240_462:
	s_or_b32 exec_lo, exec_lo, s21
	v_cndmask_b32_e64 v161, v151, v160, s20
	v_cndmask_b32_e64 v162, v112, v113, s20
	s_mov_b32 s22, -1
	s_mov_b32 s21, -1
	s_mov_b32 s23, exec_lo
	v_add_nc_u32_e32 v163, 1, v161
	v_add_nc_u32_e32 v161, -1, v162
	v_cndmask_b32_e64 v162, v160, v163, s20
	v_min_u32_e32 v161, v163, v161
	v_lshl_add_u32 v161, v161, 1, v102
	ds_read_u16 v164, v161
	v_cndmask_b32_e64 v161, v163, v151, s20
	s_waitcnt lgkmcnt(0)
	v_cndmask_b32_e64 v151, v164, v149, s20
	v_cndmask_b32_e64 v160, v150, v164, s20
	v_cmpx_lt_u32_e64 v161, v112
	s_cbranch_execz .LBB240_466
; %bb.463:
	s_mov_b32 s24, 0
	s_mov_b32 s21, exec_lo
	v_cmpx_lt_u32_e64 v162, v113
; %bb.464:
	v_mov_b32_e32 v163, 0xcccd
	v_mul_u32_u24_sdwa v164, v151, v163 dst_sel:DWORD dst_unused:UNUSED_PAD src0_sel:WORD_0 src1_sel:DWORD
	v_mul_u32_u24_sdwa v163, v160, v163 dst_sel:DWORD dst_unused:UNUSED_PAD src0_sel:WORD_0 src1_sel:DWORD
	v_lshrrev_b32_e32 v164, 19, v164
	v_lshrrev_b32_e32 v163, 19, v163
	v_cmp_ge_u16_e32 vcc_lo, v164, v163
	s_and_b32 s24, vcc_lo, exec_lo
; %bb.465:
	s_or_b32 exec_lo, exec_lo, s21
	s_orn2_b32 s21, s24, exec_lo
.LBB240_466:
	s_or_b32 exec_lo, exec_lo, s23
	v_cndmask_b32_e64 v163, v161, v162, s21
	v_cndmask_b32_e64 v164, v112, v113, s21
	s_mov_b32 s23, exec_lo
	v_add_nc_u32_e32 v165, 1, v163
	v_add_nc_u32_e32 v163, -1, v164
	v_cndmask_b32_e64 v164, v162, v165, s21
	v_min_u32_e32 v163, v165, v163
	v_lshl_add_u32 v163, v163, 1, v102
	ds_read_u16 v166, v163
	v_cndmask_b32_e64 v163, v165, v161, s21
	s_waitcnt lgkmcnt(0)
	v_cndmask_b32_e64 v161, v166, v151, s21
	v_cndmask_b32_e64 v162, v160, v166, s21
	v_cmpx_lt_u32_e64 v163, v112
	s_cbranch_execz .LBB240_470
; %bb.467:
	s_mov_b32 s24, 0
	s_mov_b32 s22, exec_lo
	v_cmpx_lt_u32_e64 v164, v113
; %bb.468:
	v_mov_b32_e32 v165, 0xcccd
	v_mul_u32_u24_sdwa v166, v161, v165 dst_sel:DWORD dst_unused:UNUSED_PAD src0_sel:WORD_0 src1_sel:DWORD
	v_mul_u32_u24_sdwa v165, v162, v165 dst_sel:DWORD dst_unused:UNUSED_PAD src0_sel:WORD_0 src1_sel:DWORD
	v_lshrrev_b32_e32 v166, 19, v166
	v_lshrrev_b32_e32 v165, 19, v165
	v_cmp_ge_u16_e32 vcc_lo, v166, v165
	s_and_b32 s24, vcc_lo, exec_lo
; %bb.469:
	s_or_b32 exec_lo, exec_lo, s22
	s_orn2_b32 s22, s24, exec_lo
.LBB240_470:
	s_or_b32 exec_lo, exec_lo, s23
	v_cndmask_b32_e64 v165, v163, v164, s22
	v_cndmask_b32_e64 v166, v112, v113, s22
	s_mov_b32 s24, -1
	s_mov_b32 s23, -1
	s_mov_b32 s25, exec_lo
	v_add_nc_u32_e32 v167, 1, v165
	v_add_nc_u32_e32 v165, -1, v166
	v_cndmask_b32_e64 v166, v164, v167, s22
	v_min_u32_e32 v165, v167, v165
	v_lshl_add_u32 v165, v165, 1, v102
	ds_read_u16 v176, v165
	v_cndmask_b32_e64 v165, v167, v163, s22
	s_waitcnt lgkmcnt(0)
	v_cndmask_b32_e64 v163, v176, v161, s22
	v_cndmask_b32_e64 v164, v162, v176, s22
	v_cmpx_lt_u32_e64 v165, v112
	s_cbranch_execz .LBB240_474
; %bb.471:
	s_mov_b32 s26, 0
	s_mov_b32 s23, exec_lo
	v_cmpx_lt_u32_e64 v166, v113
; %bb.472:
	v_mov_b32_e32 v167, 0xcccd
	v_mul_u32_u24_sdwa v176, v163, v167 dst_sel:DWORD dst_unused:UNUSED_PAD src0_sel:WORD_0 src1_sel:DWORD
	v_mul_u32_u24_sdwa v167, v164, v167 dst_sel:DWORD dst_unused:UNUSED_PAD src0_sel:WORD_0 src1_sel:DWORD
	v_lshrrev_b32_e32 v176, 19, v176
	v_lshrrev_b32_e32 v167, 19, v167
	v_cmp_ge_u16_e32 vcc_lo, v176, v167
	s_and_b32 s26, vcc_lo, exec_lo
; %bb.473:
	s_or_b32 exec_lo, exec_lo, s23
	s_orn2_b32 s23, s26, exec_lo
.LBB240_474:
	s_or_b32 exec_lo, exec_lo, s25
	v_cndmask_b32_e64 v167, v165, v166, s23
	v_cndmask_b32_e64 v176, v112, v113, s23
	s_mov_b32 s25, exec_lo
	v_add_nc_u32_e32 v177, 1, v167
	v_add_nc_u32_e32 v167, -1, v176
	v_cndmask_b32_e64 v176, v166, v177, s23
	v_min_u32_e32 v167, v177, v167
	v_lshl_add_u32 v167, v167, 1, v102
	ds_read_u16 v178, v167
	v_cndmask_b32_e64 v167, v177, v165, s23
	s_waitcnt lgkmcnt(0)
	v_cndmask_b32_e64 v165, v178, v163, s23
	v_cndmask_b32_e64 v166, v164, v178, s23
	v_cmpx_lt_u32_e64 v167, v112
	s_cbranch_execz .LBB240_478
; %bb.475:
	s_mov_b32 s26, 0
	s_mov_b32 s24, exec_lo
	v_cmpx_lt_u32_e64 v176, v113
; %bb.476:
	v_mov_b32_e32 v177, 0xcccd
	v_mul_u32_u24_sdwa v178, v165, v177 dst_sel:DWORD dst_unused:UNUSED_PAD src0_sel:WORD_0 src1_sel:DWORD
	v_mul_u32_u24_sdwa v177, v166, v177 dst_sel:DWORD dst_unused:UNUSED_PAD src0_sel:WORD_0 src1_sel:DWORD
	v_lshrrev_b32_e32 v178, 19, v178
	v_lshrrev_b32_e32 v177, 19, v177
	v_cmp_ge_u16_e32 vcc_lo, v178, v177
	s_and_b32 s26, vcc_lo, exec_lo
; %bb.477:
	s_or_b32 exec_lo, exec_lo, s24
	s_orn2_b32 s24, s26, exec_lo
.LBB240_478:
	s_or_b32 exec_lo, exec_lo, s25
	v_cndmask_b32_e64 v177, v167, v176, s24
	v_cndmask_b32_e64 v178, v112, v113, s24
	s_mov_b32 s26, -1
	s_mov_b32 s25, -1
	s_mov_b32 s27, exec_lo
	v_add_nc_u32_e32 v179, 1, v177
	v_add_nc_u32_e32 v177, -1, v178
	v_cndmask_b32_e64 v178, v176, v179, s24
	v_min_u32_e32 v177, v179, v177
	v_lshl_add_u32 v177, v177, 1, v102
	ds_read_u16 v180, v177
	v_cndmask_b32_e64 v177, v179, v167, s24
	s_waitcnt lgkmcnt(0)
	v_cndmask_b32_e64 v167, v180, v165, s24
	v_cndmask_b32_e64 v176, v166, v180, s24
	v_cmpx_lt_u32_e64 v177, v112
	s_cbranch_execz .LBB240_482
; %bb.479:
	s_mov_b32 s28, 0
	s_mov_b32 s25, exec_lo
	v_cmpx_lt_u32_e64 v178, v113
; %bb.480:
	v_mov_b32_e32 v179, 0xcccd
	v_mul_u32_u24_sdwa v180, v167, v179 dst_sel:DWORD dst_unused:UNUSED_PAD src0_sel:WORD_0 src1_sel:DWORD
	v_mul_u32_u24_sdwa v179, v176, v179 dst_sel:DWORD dst_unused:UNUSED_PAD src0_sel:WORD_0 src1_sel:DWORD
	v_lshrrev_b32_e32 v180, 19, v180
	v_lshrrev_b32_e32 v179, 19, v179
	v_cmp_ge_u16_e32 vcc_lo, v180, v179
	s_and_b32 s28, vcc_lo, exec_lo
; %bb.481:
	s_or_b32 exec_lo, exec_lo, s25
	s_orn2_b32 s25, s28, exec_lo
.LBB240_482:
	s_or_b32 exec_lo, exec_lo, s27
	v_cndmask_b32_e64 v179, v177, v178, s25
	v_cndmask_b32_e64 v180, v112, v113, s25
	s_mov_b32 s27, exec_lo
	v_add_nc_u32_e32 v179, 1, v179
	v_add_nc_u32_e32 v180, -1, v180
	v_cndmask_b32_e64 v177, v179, v177, s25
	v_min_u32_e32 v180, v179, v180
	v_cndmask_b32_e64 v179, v178, v179, s25
	v_lshl_add_u32 v180, v180, 1, v102
	ds_read_u16 v180, v180
	s_waitcnt lgkmcnt(0)
	v_cndmask_b32_e64 v178, v180, v167, s25
	v_cndmask_b32_e64 v199, v176, v180, s25
	v_cmpx_lt_u32_e64 v177, v112
	s_cbranch_execz .LBB240_486
; %bb.483:
	s_mov_b32 s28, 0
	s_mov_b32 s26, exec_lo
	v_cmpx_lt_u32_e64 v179, v113
; %bb.484:
	v_mov_b32_e32 v180, 0xcccd
	v_mul_u32_u24_sdwa v181, v178, v180 dst_sel:DWORD dst_unused:UNUSED_PAD src0_sel:WORD_0 src1_sel:DWORD
	v_mul_u32_u24_sdwa v180, v199, v180 dst_sel:DWORD dst_unused:UNUSED_PAD src0_sel:WORD_0 src1_sel:DWORD
	v_lshrrev_b32_e32 v181, 19, v181
	v_lshrrev_b32_e32 v180, 19, v180
	v_cmp_ge_u16_e32 vcc_lo, v181, v180
	s_and_b32 s28, vcc_lo, exec_lo
; %bb.485:
	s_or_b32 exec_lo, exec_lo, s26
	s_orn2_b32 s26, s28, exec_lo
.LBB240_486:
	s_or_b32 exec_lo, exec_lo, s27
	v_cndmask_b32_e64 v180, v177, v179, s26
	v_cndmask_b32_e64 v181, v112, v113, s26
	s_mov_b32 s28, -1
	s_mov_b32 s27, -1
	s_mov_b32 s29, exec_lo
	v_add_nc_u32_e32 v180, 1, v180
	v_add_nc_u32_e32 v181, -1, v181
	v_cndmask_b32_e64 v177, v180, v177, s26
	v_min_u32_e32 v181, v180, v181
	v_cndmask_b32_e64 v179, v179, v180, s26
	v_lshl_add_u32 v181, v181, 1, v102
	ds_read_u16 v181, v181
	s_waitcnt lgkmcnt(0)
	v_cndmask_b32_e64 v208, v181, v178, s26
	v_cndmask_b32_e64 v209, v199, v181, s26
	v_cmpx_lt_u32_e64 v177, v112
	s_cbranch_execz .LBB240_490
; %bb.487:
	s_mov_b32 s40, 0
	s_mov_b32 s27, exec_lo
	v_cmpx_lt_u32_e64 v179, v113
; %bb.488:
	v_mov_b32_e32 v180, 0xcccd
	v_mul_u32_u24_sdwa v181, v208, v180 dst_sel:DWORD dst_unused:UNUSED_PAD src0_sel:WORD_0 src1_sel:DWORD
	v_mul_u32_u24_sdwa v180, v209, v180 dst_sel:DWORD dst_unused:UNUSED_PAD src0_sel:WORD_0 src1_sel:DWORD
	v_lshrrev_b32_e32 v181, 19, v181
	v_lshrrev_b32_e32 v180, 19, v180
	v_cmp_ge_u16_e32 vcc_lo, v181, v180
	s_and_b32 s40, vcc_lo, exec_lo
; %bb.489:
	s_or_b32 exec_lo, exec_lo, s27
	s_orn2_b32 s27, s40, exec_lo
.LBB240_490:
	s_or_b32 exec_lo, exec_lo, s29
	v_cndmask_b32_e64 v180, v177, v179, s27
	v_cndmask_b32_e64 v181, v112, v113, s27
	s_mov_b32 s29, exec_lo
	v_add_nc_u32_e32 v180, 1, v180
	v_add_nc_u32_e32 v181, -1, v181
	v_cndmask_b32_e64 v177, v180, v177, s27
	v_min_u32_e32 v181, v180, v181
	v_cndmask_b32_e64 v179, v179, v180, s27
	v_lshl_add_u32 v181, v181, 1, v102
	ds_read_u16 v181, v181
	s_waitcnt lgkmcnt(0)
	v_cndmask_b32_e64 v193, v181, v208, s27
	v_cndmask_b32_e64 v210, v209, v181, s27
	v_cmpx_lt_u32_e64 v177, v112
	s_cbranch_execz .LBB240_494
; %bb.491:
	s_mov_b32 s40, 0
	s_mov_b32 s28, exec_lo
	v_cmpx_lt_u32_e64 v179, v113
; %bb.492:
	v_mov_b32_e32 v180, 0xcccd
	v_mul_u32_u24_sdwa v181, v193, v180 dst_sel:DWORD dst_unused:UNUSED_PAD src0_sel:WORD_0 src1_sel:DWORD
	v_mul_u32_u24_sdwa v180, v210, v180 dst_sel:DWORD dst_unused:UNUSED_PAD src0_sel:WORD_0 src1_sel:DWORD
	v_lshrrev_b32_e32 v181, 19, v181
	v_lshrrev_b32_e32 v180, 19, v180
	v_cmp_ge_u16_e32 vcc_lo, v181, v180
	s_and_b32 s40, vcc_lo, exec_lo
; %bb.493:
	s_or_b32 exec_lo, exec_lo, s28
	s_orn2_b32 s28, s40, exec_lo
.LBB240_494:
	s_or_b32 exec_lo, exec_lo, s29
	v_cndmask_b32_e64 v180, v177, v179, s28
	v_cndmask_b32_e64 v181, v112, v113, s28
	s_mov_b32 s40, -1
	s_mov_b32 s29, -1
	s_mov_b32 s41, exec_lo
	v_add_nc_u32_e32 v180, 1, v180
	v_add_nc_u32_e32 v181, -1, v181
	v_cndmask_b32_e64 v177, v180, v177, s28
	v_min_u32_e32 v181, v180, v181
	v_cndmask_b32_e64 v179, v179, v180, s28
	v_lshl_add_u32 v181, v181, 1, v102
	ds_read_u16 v181, v181
	s_waitcnt lgkmcnt(0)
	v_cndmask_b32_e64 v197, v181, v193, s28
	v_cndmask_b32_e64 v211, v210, v181, s28
	v_cmpx_lt_u32_e64 v177, v112
	s_cbranch_execz .LBB240_498
; %bb.495:
	s_mov_b32 s42, 0
	s_mov_b32 s29, exec_lo
	v_cmpx_lt_u32_e64 v179, v113
; %bb.496:
	v_mov_b32_e32 v180, 0xcccd
	v_mul_u32_u24_sdwa v181, v197, v180 dst_sel:DWORD dst_unused:UNUSED_PAD src0_sel:WORD_0 src1_sel:DWORD
	v_mul_u32_u24_sdwa v180, v211, v180 dst_sel:DWORD dst_unused:UNUSED_PAD src0_sel:WORD_0 src1_sel:DWORD
	v_lshrrev_b32_e32 v181, 19, v181
	v_lshrrev_b32_e32 v180, 19, v180
	v_cmp_ge_u16_e32 vcc_lo, v181, v180
	s_and_b32 s42, vcc_lo, exec_lo
; %bb.497:
	s_or_b32 exec_lo, exec_lo, s29
	s_orn2_b32 s29, s42, exec_lo
.LBB240_498:
	s_or_b32 exec_lo, exec_lo, s41
	v_cndmask_b32_e64 v180, v177, v179, s29
	v_cndmask_b32_e64 v181, v112, v113, s29
	s_mov_b32 s41, exec_lo
	v_add_nc_u32_e32 v180, 1, v180
	v_add_nc_u32_e32 v181, -1, v181
	v_cndmask_b32_e64 v177, v180, v177, s29
	v_min_u32_e32 v181, v180, v181
	v_cndmask_b32_e64 v179, v179, v180, s29
	v_lshl_add_u32 v181, v181, 1, v102
	ds_read_u16 v181, v181
	s_waitcnt lgkmcnt(0)
	v_cndmask_b32_e64 v195, v181, v197, s29
	v_cndmask_b32_e64 v212, v211, v181, s29
	v_cmpx_lt_u32_e64 v177, v112
	s_cbranch_execz .LBB240_502
; %bb.499:
	s_mov_b32 s42, 0
	s_mov_b32 s40, exec_lo
	v_cmpx_lt_u32_e64 v179, v113
; %bb.500:
	v_mov_b32_e32 v180, 0xcccd
	v_mul_u32_u24_sdwa v181, v195, v180 dst_sel:DWORD dst_unused:UNUSED_PAD src0_sel:WORD_0 src1_sel:DWORD
	v_mul_u32_u24_sdwa v180, v212, v180 dst_sel:DWORD dst_unused:UNUSED_PAD src0_sel:WORD_0 src1_sel:DWORD
	v_lshrrev_b32_e32 v181, 19, v181
	v_lshrrev_b32_e32 v180, 19, v180
	v_cmp_ge_u16_e32 vcc_lo, v181, v180
	s_and_b32 s42, vcc_lo, exec_lo
; %bb.501:
	s_or_b32 exec_lo, exec_lo, s40
	s_orn2_b32 s40, s42, exec_lo
.LBB240_502:
	s_or_b32 exec_lo, exec_lo, s41
	v_cndmask_b32_e64 v180, v177, v179, s40
	v_cndmask_b32_e64 v181, v112, v113, s40
	s_mov_b32 s42, -1
	s_mov_b32 s41, -1
	s_mov_b32 s43, exec_lo
	v_add_nc_u32_e32 v180, 1, v180
	v_add_nc_u32_e32 v181, -1, v181
	v_cndmask_b32_e64 v177, v180, v177, s40
	v_min_u32_e32 v181, v180, v181
	v_cndmask_b32_e64 v179, v179, v180, s40
	v_lshl_add_u32 v181, v181, 1, v102
	ds_read_u16 v181, v181
	s_waitcnt lgkmcnt(0)
	v_cndmask_b32_e64 v196, v181, v195, s40
	v_cndmask_b32_e64 v213, v212, v181, s40
	v_cmpx_lt_u32_e64 v177, v112
	s_cbranch_execz .LBB240_506
; %bb.503:
	s_mov_b32 s44, 0
	s_mov_b32 s41, exec_lo
	v_cmpx_lt_u32_e64 v179, v113
; %bb.504:
	v_mov_b32_e32 v180, 0xcccd
	v_mul_u32_u24_sdwa v181, v196, v180 dst_sel:DWORD dst_unused:UNUSED_PAD src0_sel:WORD_0 src1_sel:DWORD
	v_mul_u32_u24_sdwa v180, v213, v180 dst_sel:DWORD dst_unused:UNUSED_PAD src0_sel:WORD_0 src1_sel:DWORD
	v_lshrrev_b32_e32 v181, 19, v181
	v_lshrrev_b32_e32 v180, 19, v180
	v_cmp_ge_u16_e32 vcc_lo, v181, v180
	s_and_b32 s44, vcc_lo, exec_lo
; %bb.505:
	s_or_b32 exec_lo, exec_lo, s41
	s_orn2_b32 s41, s44, exec_lo
.LBB240_506:
	s_or_b32 exec_lo, exec_lo, s43
	v_cndmask_b32_e64 v180, v177, v179, s41
	v_cndmask_b32_e64 v181, v112, v113, s41
	s_mov_b32 s43, exec_lo
	v_add_nc_u32_e32 v180, 1, v180
	v_add_nc_u32_e32 v181, -1, v181
	v_cndmask_b32_e64 v177, v180, v177, s41
	v_min_u32_e32 v181, v180, v181
	v_cndmask_b32_e64 v179, v179, v180, s41
	v_lshl_add_u32 v181, v181, 1, v102
	ds_read_u16 v181, v181
	s_waitcnt lgkmcnt(0)
	v_cndmask_b32_e64 v194, v181, v196, s41
	v_cndmask_b32_e64 v214, v213, v181, s41
	v_cmpx_lt_u32_e64 v177, v112
	s_cbranch_execz .LBB240_510
; %bb.507:
	s_mov_b32 s44, 0
	s_mov_b32 s42, exec_lo
	v_cmpx_lt_u32_e64 v179, v113
; %bb.508:
	v_mov_b32_e32 v180, 0xcccd
	v_mul_u32_u24_sdwa v181, v194, v180 dst_sel:DWORD dst_unused:UNUSED_PAD src0_sel:WORD_0 src1_sel:DWORD
	v_mul_u32_u24_sdwa v180, v214, v180 dst_sel:DWORD dst_unused:UNUSED_PAD src0_sel:WORD_0 src1_sel:DWORD
	v_lshrrev_b32_e32 v181, 19, v181
	v_lshrrev_b32_e32 v180, 19, v180
	v_cmp_ge_u16_e32 vcc_lo, v181, v180
	s_and_b32 s44, vcc_lo, exec_lo
; %bb.509:
	s_or_b32 exec_lo, exec_lo, s42
	s_orn2_b32 s42, s44, exec_lo
.LBB240_510:
	s_or_b32 exec_lo, exec_lo, s43
	v_cndmask_b32_e64 v180, v177, v179, s42
	v_cndmask_b32_e64 v181, v112, v113, s42
	s_mov_b32 s44, -1
	s_mov_b32 s43, -1
	s_mov_b32 s45, exec_lo
	v_add_nc_u32_e32 v180, 1, v180
	v_add_nc_u32_e32 v181, -1, v181
	v_cndmask_b32_e64 v177, v180, v177, s42
	v_min_u32_e32 v181, v180, v181
	v_cndmask_b32_e64 v179, v179, v180, s42
	v_lshl_add_u32 v181, v181, 1, v102
	ds_read_u16 v181, v181
	s_waitcnt lgkmcnt(0)
	v_cndmask_b32_e64 v198, v181, v194, s42
	v_cndmask_b32_e64 v215, v214, v181, s42
	v_cmpx_lt_u32_e64 v177, v112
	s_cbranch_execz .LBB240_514
; %bb.511:
	s_mov_b32 s46, 0
	s_mov_b32 s43, exec_lo
	v_cmpx_lt_u32_e64 v179, v113
; %bb.512:
	v_mov_b32_e32 v180, 0xcccd
	v_mul_u32_u24_sdwa v181, v198, v180 dst_sel:DWORD dst_unused:UNUSED_PAD src0_sel:WORD_0 src1_sel:DWORD
	v_mul_u32_u24_sdwa v180, v215, v180 dst_sel:DWORD dst_unused:UNUSED_PAD src0_sel:WORD_0 src1_sel:DWORD
	v_lshrrev_b32_e32 v181, 19, v181
	v_lshrrev_b32_e32 v180, 19, v180
	v_cmp_ge_u16_e32 vcc_lo, v181, v180
	s_and_b32 s46, vcc_lo, exec_lo
; %bb.513:
	s_or_b32 exec_lo, exec_lo, s43
	s_orn2_b32 s43, s46, exec_lo
.LBB240_514:
	s_or_b32 exec_lo, exec_lo, s45
	v_cndmask_b32_e64 v180, v177, v179, s43
	v_cndmask_b32_e64 v181, v112, v113, s43
	s_mov_b32 s45, exec_lo
	v_add_nc_u32_e32 v180, 1, v180
	v_add_nc_u32_e32 v181, -1, v181
	v_cndmask_b32_e64 v177, v180, v177, s43
	v_min_u32_e32 v181, v180, v181
	v_cndmask_b32_e64 v179, v179, v180, s43
	v_lshl_add_u32 v181, v181, 1, v102
	ds_read_u16 v182, v181
	s_waitcnt lgkmcnt(0)
	v_cndmask_b32_e64 v181, v182, v198, s43
	v_cndmask_b32_e64 v224, v215, v182, s43
	v_cmpx_lt_u32_e64 v177, v112
	s_cbranch_execz .LBB240_518
; %bb.515:
	s_mov_b32 s46, 0
	s_mov_b32 s44, exec_lo
	v_cmpx_lt_u32_e64 v179, v113
; %bb.516:
	v_mov_b32_e32 v180, 0xcccd
	v_mul_u32_u24_sdwa v182, v181, v180 dst_sel:DWORD dst_unused:UNUSED_PAD src0_sel:WORD_0 src1_sel:DWORD
	v_mul_u32_u24_sdwa v180, v224, v180 dst_sel:DWORD dst_unused:UNUSED_PAD src0_sel:WORD_0 src1_sel:DWORD
	v_lshrrev_b32_e32 v182, 19, v182
	v_lshrrev_b32_e32 v180, 19, v180
	v_cmp_ge_u16_e32 vcc_lo, v182, v180
	s_and_b32 s46, vcc_lo, exec_lo
; %bb.517:
	s_or_b32 exec_lo, exec_lo, s44
	s_orn2_b32 s44, s46, exec_lo
.LBB240_518:
	s_or_b32 exec_lo, exec_lo, s45
	v_cndmask_b32_e64 v180, v177, v179, s44
	v_cndmask_b32_e64 v182, v112, v113, s44
	s_mov_b32 s46, -1
	s_mov_b32 s45, -1
	s_mov_b32 s47, exec_lo
	v_add_nc_u32_e32 v180, 1, v180
	v_add_nc_u32_e32 v182, -1, v182
	v_cndmask_b32_e64 v177, v180, v177, s44
	v_min_u32_e32 v182, v180, v182
	v_cndmask_b32_e64 v179, v179, v180, s44
	v_lshl_add_u32 v182, v182, 1, v102
	ds_read_u16 v182, v182
	s_waitcnt lgkmcnt(0)
	v_cndmask_b32_e64 v192, v182, v181, s44
	v_cndmask_b32_e64 v225, v224, v182, s44
	v_cmpx_lt_u32_e64 v177, v112
	s_cbranch_execz .LBB240_522
; %bb.519:
	s_mov_b32 s56, 0
	s_mov_b32 s45, exec_lo
	v_cmpx_lt_u32_e64 v179, v113
; %bb.520:
	v_mov_b32_e32 v180, 0xcccd
	v_mul_u32_u24_sdwa v182, v192, v180 dst_sel:DWORD dst_unused:UNUSED_PAD src0_sel:WORD_0 src1_sel:DWORD
	v_mul_u32_u24_sdwa v180, v225, v180 dst_sel:DWORD dst_unused:UNUSED_PAD src0_sel:WORD_0 src1_sel:DWORD
	v_lshrrev_b32_e32 v182, 19, v182
	v_lshrrev_b32_e32 v180, 19, v180
	v_cmp_ge_u16_e32 vcc_lo, v182, v180
	s_and_b32 s56, vcc_lo, exec_lo
; %bb.521:
	s_or_b32 exec_lo, exec_lo, s45
	s_orn2_b32 s45, s56, exec_lo
.LBB240_522:
	s_or_b32 exec_lo, exec_lo, s47
	v_cndmask_b32_e64 v180, v177, v179, s45
	v_cndmask_b32_e64 v182, v112, v113, s45
	s_mov_b32 s47, exec_lo
	v_add_nc_u32_e32 v180, 1, v180
	v_add_nc_u32_e32 v182, -1, v182
	v_cndmask_b32_e64 v177, v180, v177, s45
	v_min_u32_e32 v182, v180, v182
	v_cndmask_b32_e64 v179, v179, v180, s45
	v_lshl_add_u32 v182, v182, 1, v102
	ds_read_u16 v182, v182
	s_waitcnt lgkmcnt(0)
	v_cndmask_b32_e64 v183, v182, v192, s45
	v_cndmask_b32_e64 v226, v225, v182, s45
	v_cmpx_lt_u32_e64 v177, v112
	s_cbranch_execz .LBB240_526
; %bb.523:
	s_mov_b32 s56, 0
	s_mov_b32 s46, exec_lo
	v_cmpx_lt_u32_e64 v179, v113
; %bb.524:
	v_mov_b32_e32 v180, 0xcccd
	v_mul_u32_u24_sdwa v182, v183, v180 dst_sel:DWORD dst_unused:UNUSED_PAD src0_sel:WORD_0 src1_sel:DWORD
	v_mul_u32_u24_sdwa v180, v226, v180 dst_sel:DWORD dst_unused:UNUSED_PAD src0_sel:WORD_0 src1_sel:DWORD
	v_lshrrev_b32_e32 v182, 19, v182
	v_lshrrev_b32_e32 v180, 19, v180
	v_cmp_ge_u16_e32 vcc_lo, v182, v180
	s_and_b32 s56, vcc_lo, exec_lo
; %bb.525:
	s_or_b32 exec_lo, exec_lo, s46
	s_orn2_b32 s46, s56, exec_lo
.LBB240_526:
	s_or_b32 exec_lo, exec_lo, s47
	v_cndmask_b32_e64 v180, v177, v179, s46
	v_cndmask_b32_e64 v182, v112, v113, s46
	s_mov_b32 s56, -1
	s_mov_b32 s47, -1
	s_mov_b32 s57, exec_lo
	v_add_nc_u32_e32 v180, 1, v180
	v_add_nc_u32_e32 v182, -1, v182
	v_cndmask_b32_e64 v177, v180, v177, s46
	v_min_u32_e32 v182, v180, v182
	v_cndmask_b32_e64 v179, v179, v180, s46
	v_lshl_add_u32 v182, v182, 1, v102
	ds_read_u16 v227, v182
	s_waitcnt lgkmcnt(0)
	v_cndmask_b32_e64 v182, v227, v183, s46
	v_cndmask_b32_e64 v227, v226, v227, s46
	v_cmpx_lt_u32_e64 v177, v112
	s_cbranch_execz .LBB240_530
; %bb.527:
	s_mov_b32 s58, 0
	s_mov_b32 s47, exec_lo
	v_cmpx_lt_u32_e64 v179, v113
; %bb.528:
	v_mov_b32_e32 v180, 0xcccd
	v_mul_u32_u24_sdwa v228, v182, v180 dst_sel:DWORD dst_unused:UNUSED_PAD src0_sel:WORD_0 src1_sel:DWORD
	v_mul_u32_u24_sdwa v180, v227, v180 dst_sel:DWORD dst_unused:UNUSED_PAD src0_sel:WORD_0 src1_sel:DWORD
	v_lshrrev_b32_e32 v228, 19, v228
	v_lshrrev_b32_e32 v180, 19, v180
	v_cmp_ge_u16_e32 vcc_lo, v228, v180
	s_and_b32 s58, vcc_lo, exec_lo
; %bb.529:
	s_or_b32 exec_lo, exec_lo, s47
	s_orn2_b32 s47, s58, exec_lo
.LBB240_530:
	s_or_b32 exec_lo, exec_lo, s57
	v_cndmask_b32_e64 v180, v177, v179, s47
	v_cndmask_b32_e64 v228, v112, v113, s47
	s_mov_b32 s57, exec_lo
	v_add_nc_u32_e32 v180, 1, v180
	v_add_nc_u32_e32 v228, -1, v228
	v_cndmask_b32_e64 v177, v180, v177, s47
	v_min_u32_e32 v228, v180, v228
	v_cndmask_b32_e64 v179, v179, v180, s47
	v_lshl_add_u32 v228, v228, 1, v102
	ds_read_u16 v228, v228
	s_waitcnt lgkmcnt(0)
	v_cndmask_b32_e64 v180, v228, v182, s47
	v_cndmask_b32_e64 v228, v227, v228, s47
	v_cmpx_lt_u32_e64 v177, v112
	s_cbranch_execz .LBB240_534
; %bb.531:
	s_mov_b32 s58, 0
	s_mov_b32 s56, exec_lo
	v_cmpx_lt_u32_e64 v179, v113
; %bb.532:
	v_mov_b32_e32 v229, 0xcccd
	v_mul_u32_u24_sdwa v230, v180, v229 dst_sel:DWORD dst_unused:UNUSED_PAD src0_sel:WORD_0 src1_sel:DWORD
	v_mul_u32_u24_sdwa v229, v228, v229 dst_sel:DWORD dst_unused:UNUSED_PAD src0_sel:WORD_0 src1_sel:DWORD
	v_lshrrev_b32_e32 v230, 19, v230
	v_lshrrev_b32_e32 v229, 19, v229
	v_cmp_ge_u16_e32 vcc_lo, v230, v229
	s_and_b32 s58, vcc_lo, exec_lo
; %bb.533:
	s_or_b32 exec_lo, exec_lo, s56
	s_orn2_b32 s56, s58, exec_lo
.LBB240_534:
	s_or_b32 exec_lo, exec_lo, s57
	v_cndmask_b32_e64 v229, v177, v179, s56
	v_cndmask_b32_e64 v230, v112, v113, s56
	s_mov_b32 s57, -1
	s_mov_b32 s58, -1
	s_mov_b32 s59, exec_lo
	v_add_nc_u32_e32 v229, 1, v229
	v_add_nc_u32_e32 v230, -1, v230
	v_cndmask_b32_e64 v177, v229, v177, s56
	v_min_u32_e32 v230, v229, v230
	v_lshl_add_u32 v230, v230, 1, v102
	ds_read_u16 v231, v230
	v_cndmask_b32_e64 v230, v179, v229, s56
	s_waitcnt lgkmcnt(0)
	v_cndmask_b32_e64 v179, v231, v180, s56
	v_cndmask_b32_e64 v229, v228, v231, s56
	v_cmpx_lt_u32_e64 v177, v112
	s_cbranch_execz .LBB240_538
; %bb.535:
	s_mov_b32 s60, 0
	s_mov_b32 s58, exec_lo
	v_cmpx_lt_u32_e64 v230, v113
; %bb.536:
	v_mov_b32_e32 v231, 0xcccd
	v_mul_u32_u24_sdwa v240, v179, v231 dst_sel:DWORD dst_unused:UNUSED_PAD src0_sel:WORD_0 src1_sel:DWORD
	v_mul_u32_u24_sdwa v231, v229, v231 dst_sel:DWORD dst_unused:UNUSED_PAD src0_sel:WORD_0 src1_sel:DWORD
	v_lshrrev_b32_e32 v240, 19, v240
	v_lshrrev_b32_e32 v231, 19, v231
	v_cmp_ge_u16_e32 vcc_lo, v240, v231
	s_and_b32 s60, vcc_lo, exec_lo
; %bb.537:
	s_or_b32 exec_lo, exec_lo, s58
	s_orn2_b32 s58, s60, exec_lo
.LBB240_538:
	s_or_b32 exec_lo, exec_lo, s59
	v_cndmask_b32_e64 v231, v177, v230, s58
	v_cndmask_b32_e64 v240, v112, v113, s58
	s_mov_b32 s59, exec_lo
	v_add_nc_u32_e32 v231, 1, v231
	v_add_nc_u32_e32 v240, -1, v240
	v_cndmask_b32_e64 v177, v231, v177, s58
	v_min_u32_e32 v240, v231, v240
	v_cndmask_b32_e64 v231, v230, v231, s58
	v_lshl_add_u32 v240, v240, 1, v102
	ds_read_u16 v240, v240
	s_waitcnt lgkmcnt(0)
	v_cndmask_b32_e64 v230, v240, v179, s58
	v_cndmask_b32_e64 v241, v229, v240, s58
	v_cmpx_lt_u32_e64 v177, v112
	s_cbranch_execz .LBB240_542
; %bb.539:
	s_mov_b32 s60, 0
	s_mov_b32 s57, exec_lo
	v_cmpx_lt_u32_e64 v231, v113
; %bb.540:
	v_mov_b32_e32 v240, 0xcccd
	v_mul_u32_u24_sdwa v242, v230, v240 dst_sel:DWORD dst_unused:UNUSED_PAD src0_sel:WORD_0 src1_sel:DWORD
	v_mul_u32_u24_sdwa v240, v241, v240 dst_sel:DWORD dst_unused:UNUSED_PAD src0_sel:WORD_0 src1_sel:DWORD
	v_lshrrev_b32_e32 v242, 19, v242
	v_lshrrev_b32_e32 v240, 19, v240
	v_cmp_ge_u16_e32 vcc_lo, v242, v240
	s_and_b32 s60, vcc_lo, exec_lo
; %bb.541:
	s_or_b32 exec_lo, exec_lo, s57
	s_orn2_b32 s57, s60, exec_lo
.LBB240_542:
	s_or_b32 exec_lo, exec_lo, s59
	v_cndmask_b32_e64 v240, v177, v231, s57
	v_cndmask_b32_e64 v242, v112, v113, s57
	s_mov_b32 s59, exec_lo
	v_add_nc_u32_e32 v240, 1, v240
	v_add_nc_u32_e32 v242, -1, v242
	v_min_u32_e32 v242, v240, v242
	v_lshl_add_u32 v102, v242, 1, v102
	v_cndmask_b32_e64 v242, v240, v177, s57
	ds_read_u16 v102, v102
	s_waitcnt lgkmcnt(0)
	v_cndmask_b32_e64 v177, v241, v102, s57
	v_cmpx_lt_u32_e64 v242, v112
	s_cbranch_execz .LBB240_546
; %bb.543:
	v_cndmask_b32_e64 v112, v231, v240, s57
	v_cndmask_b32_e64 v102, v102, v230, s57
	s_mov_b32 s60, exec_lo
	v_cmpx_lt_u32_e64 v112, v113
	s_cbranch_execz .LBB240_545
; %bb.544:
	v_mov_b32_e32 v112, 0xcccd
	v_mul_u32_u24_sdwa v113, v102, v112 dst_sel:DWORD dst_unused:UNUSED_PAD src0_sel:WORD_0 src1_sel:DWORD
	v_mul_u32_u24_sdwa v112, v177, v112 dst_sel:DWORD dst_unused:UNUSED_PAD src0_sel:WORD_0 src1_sel:DWORD
	v_lshrrev_b32_e32 v113, 19, v113
	v_lshrrev_b32_e32 v112, 19, v112
	v_cmp_lt_u16_e32 vcc_lo, v113, v112
	v_cndmask_b32_e32 v102, v177, v102, vcc_lo
.LBB240_545:
	s_or_b32 exec_lo, exec_lo, s60
	v_mov_b32_e32 v177, v102
.LBB240_546:
	s_or_b32 exec_lo, exec_lo, s59
	v_cndmask_b32_e64 v179, v179, v229, s58
	v_cndmask_b32_e64 v180, v180, v228, s56
	;; [unrolled: 1-line block ×31, first 2 shown]
.LBB240_547:
	s_or_b32 exec_lo, exec_lo, s5
	v_lshlrev_b32_e32 v102, 1, v9
	v_mov_b32_e32 v166, 0xcccd
	s_movk_i32 s5, 0x200
	; wave barrier
	v_add_nc_u32_e32 v103, 2, v102
	v_add_nc_u32_e32 v112, 4, v102
	;; [unrolled: 1-line block ×31, first 2 shown]
	s_waitcnt lgkmcnt(0)
	s_barrier
	buffer_gl0_inv
.LBB240_548:                            ; =>This Loop Header: Depth=1
                                        ;     Child Loop BB240_550 Depth 2
	s_lshl_b32 s7, s5, 1
	ds_write_b16 v102, v178
	ds_write_b16 v103, v231
	;; [unrolled: 1-line block ×5, first 2 shown]
	s_sub_i32 s4, 0, s7
	ds_write_b16 v115, v240
	v_and_b32_e32 v241, s4, v9
	s_add_i32 s4, s7, -1
	ds_write_b16 v116, v224
	v_and_b32_e32 v242, s4, v9
	s_mov_b32 s4, exec_lo
	v_add_nc_u32_e32 v167, s5, v241
	ds_write_b16 v117, v226
	ds_write_b16 v118, v214
	;; [unrolled: 1-line block ×8, first 2 shown]
	v_min_u32_e32 v242, 0x2000, v242
	ds_write_b16 v133, v208
	ds_write_b16 v134, v199
	;; [unrolled: 1-line block ×4, first 2 shown]
	v_min_u32_e32 v167, 0x2000, v167
	ds_write_b16 v145, v197
	ds_write_b16 v146, v195
	;; [unrolled: 1-line block ×8, first 2 shown]
	v_add_nc_u32_e32 v176, s5, v167
	v_sub_nc_u32_e32 v244, v167, v241
	ds_write_b16 v161, v182
	ds_write_b16 v162, v180
	;; [unrolled: 1-line block ×5, first 2 shown]
	s_waitcnt lgkmcnt(0)
	s_barrier
	v_min_u32_e32 v176, 0x2000, v176
	v_min_u32_e32 v244, v242, v244
	buffer_gl0_inv
	v_sub_nc_u32_e32 v243, v176, v167
	v_sub_nc_u32_e64 v243, v242, v243 clamp
	v_cmpx_lt_u32_e64 v243, v244
	s_cbranch_execz .LBB240_552
; %bb.549:                              ;   in Loop: Header=BB240_548 Depth=1
	v_lshlrev_b32_e32 v245, 1, v241
	v_lshlrev_b32_e32 v246, 1, v167
	s_mov_b32 s10, 0
	.p2align	6
.LBB240_550:                            ;   Parent Loop BB240_548 Depth=1
                                        ; =>  This Inner Loop Header: Depth=2
	v_add_nc_u32_e32 v247, v244, v243
	v_lshrrev_b32_e32 v40, 1, v247
	v_and_b32_e32 v247, -2, v247
	v_xad_u32 v41, v40, -1, v242
	v_add_nc_u32_e32 v247, v245, v247
	v_add_nc_u32_e32 v42, 1, v40
	v_lshl_add_u32 v41, v41, 1, v246
	ds_read_u16 v247, v247
	ds_read_u16 v41, v41
	s_waitcnt lgkmcnt(1)
	v_mul_u32_u24_e32 v247, 0xcccd, v247
	s_waitcnt lgkmcnt(0)
	v_mul_u32_u24_e32 v41, 0xcccd, v41
	v_lshrrev_b32_e32 v247, 19, v247
	v_lshrrev_b32_e32 v41, 19, v41
	v_cmp_lt_u16_e32 vcc_lo, v41, v247
	v_cndmask_b32_e32 v244, v244, v40, vcc_lo
	v_cndmask_b32_e32 v243, v42, v243, vcc_lo
	v_cmp_ge_u32_e32 vcc_lo, v243, v244
	s_or_b32 s10, vcc_lo, s10
	s_andn2_b32 exec_lo, exec_lo, s10
	s_cbranch_execnz .LBB240_550
; %bb.551:                              ;   in Loop: Header=BB240_548 Depth=1
	s_or_b32 exec_lo, exec_lo, s10
.LBB240_552:                            ;   in Loop: Header=BB240_548 Depth=1
	s_or_b32 exec_lo, exec_lo, s4
	v_sub_nc_u32_e32 v242, v242, v243
	v_add_nc_u32_e32 v241, v243, v241
	v_add_nc_u32_e32 v242, v242, v167
	v_cmp_le_u32_e32 vcc_lo, v241, v167
	v_cmp_le_u32_e64 s4, v242, v176
	s_or_b32 s4, vcc_lo, s4
	s_and_saveexec_b32 s10, s4
	s_cbranch_execz .LBB240_684
; %bb.553:                              ;   in Loop: Header=BB240_548 Depth=1
	s_mov_b32 s11, exec_lo
	v_cmp_ge_u32_e32 vcc_lo, v241, v167
                                        ; implicit-def: $vgpr178
	v_cmpx_lt_u32_e64 v241, v167
; %bb.554:                              ;   in Loop: Header=BB240_548 Depth=1
	v_lshlrev_b32_e32 v177, 1, v241
	ds_read_u16 v178, v177
; %bb.555:                              ;   in Loop: Header=BB240_548 Depth=1
	s_or_b32 exec_lo, exec_lo, s11
	v_cmp_ge_u32_e64 s11, v242, v176
	s_mov_b32 s14, exec_lo
                                        ; implicit-def: $vgpr230
	v_cmpx_lt_u32_e64 v242, v176
; %bb.556:                              ;   in Loop: Header=BB240_548 Depth=1
	v_lshlrev_b32_e32 v177, 1, v242
	ds_read_u16 v230, v177
; %bb.557:                              ;   in Loop: Header=BB240_548 Depth=1
	s_or_b32 exec_lo, exec_lo, s14
	s_nor_b32 s14, vcc_lo, s11
	s_and_saveexec_b32 s4, s14
	s_cbranch_execz .LBB240_559
; %bb.558:                              ;   in Loop: Header=BB240_548 Depth=1
	s_waitcnt lgkmcnt(0)
	v_mul_u32_u24_sdwa v177, v230, v166 dst_sel:DWORD dst_unused:UNUSED_PAD src0_sel:WORD_0 src1_sel:DWORD
	v_mul_u32_u24_sdwa v179, v178, v166 dst_sel:DWORD dst_unused:UNUSED_PAD src0_sel:WORD_0 src1_sel:DWORD
	s_andn2_b32 s11, s11, exec_lo
	v_lshrrev_b32_e32 v177, 19, v177
	v_lshrrev_b32_e32 v179, 19, v179
	v_cmp_ge_u16_e32 vcc_lo, v177, v179
	s_and_b32 s14, vcc_lo, exec_lo
	s_or_b32 s11, s11, s14
.LBB240_559:                            ;   in Loop: Header=BB240_548 Depth=1
	s_or_b32 exec_lo, exec_lo, s4
	v_cndmask_b32_e64 v177, v242, v241, s11
	v_cndmask_b32_e64 v179, v176, v167, s11
	s_mov_b32 s14, -1
	s_mov_b32 s4, -1
	s_mov_b32 s15, exec_lo
	v_add_nc_u32_e32 v180, 1, v177
	v_add_nc_u32_e32 v177, -1, v179
	v_cndmask_b32_e64 v179, v241, v180, s11
	v_min_u32_e32 v177, v180, v177
	v_lshlrev_b32_e32 v177, 1, v177
	ds_read_u16 v181, v177
	v_cndmask_b32_e64 v177, v180, v242, s11
	s_waitcnt lgkmcnt(0)
	v_cndmask_b32_e64 v231, v181, v230, s11
	v_cndmask_b32_e64 v241, v178, v181, s11
	v_cmpx_lt_u32_e64 v177, v176
	s_cbranch_execz .LBB240_563
; %bb.560:                              ;   in Loop: Header=BB240_548 Depth=1
	s_mov_b32 s16, 0
	s_mov_b32 s4, exec_lo
	v_cmpx_lt_u32_e64 v179, v167
; %bb.561:                              ;   in Loop: Header=BB240_548 Depth=1
	v_mul_u32_u24_sdwa v180, v231, v166 dst_sel:DWORD dst_unused:UNUSED_PAD src0_sel:WORD_0 src1_sel:DWORD
	v_mul_u32_u24_sdwa v181, v241, v166 dst_sel:DWORD dst_unused:UNUSED_PAD src0_sel:WORD_0 src1_sel:DWORD
	v_lshrrev_b32_e32 v180, 19, v180
	v_lshrrev_b32_e32 v181, 19, v181
	v_cmp_ge_u16_e32 vcc_lo, v180, v181
	s_and_b32 s16, vcc_lo, exec_lo
; %bb.562:                              ;   in Loop: Header=BB240_548 Depth=1
	s_or_b32 exec_lo, exec_lo, s4
	s_orn2_b32 s4, s16, exec_lo
.LBB240_563:                            ;   in Loop: Header=BB240_548 Depth=1
	s_or_b32 exec_lo, exec_lo, s15
	v_cndmask_b32_e64 v180, v177, v179, s4
	v_cndmask_b32_e64 v181, v176, v167, s4
	s_mov_b32 s15, exec_lo
	v_add_nc_u32_e32 v180, 1, v180
	v_add_nc_u32_e32 v181, -1, v181
	v_cndmask_b32_e64 v177, v180, v177, s4
	v_min_u32_e32 v181, v180, v181
	v_cndmask_b32_e64 v179, v179, v180, s4
	v_lshlrev_b32_e32 v181, 1, v181
	ds_read_u16 v181, v181
	s_waitcnt lgkmcnt(0)
	v_cndmask_b32_e64 v228, v181, v231, s4
	v_cndmask_b32_e64 v242, v241, v181, s4
	v_cmpx_lt_u32_e64 v177, v176
	s_cbranch_execz .LBB240_567
; %bb.564:                              ;   in Loop: Header=BB240_548 Depth=1
	s_mov_b32 s16, 0
	s_mov_b32 s14, exec_lo
	v_cmpx_lt_u32_e64 v179, v167
; %bb.565:                              ;   in Loop: Header=BB240_548 Depth=1
	v_mul_u32_u24_sdwa v180, v228, v166 dst_sel:DWORD dst_unused:UNUSED_PAD src0_sel:WORD_0 src1_sel:DWORD
	v_mul_u32_u24_sdwa v181, v242, v166 dst_sel:DWORD dst_unused:UNUSED_PAD src0_sel:WORD_0 src1_sel:DWORD
	v_lshrrev_b32_e32 v180, 19, v180
	v_lshrrev_b32_e32 v181, 19, v181
	v_cmp_ge_u16_e32 vcc_lo, v180, v181
	s_and_b32 s16, vcc_lo, exec_lo
; %bb.566:                              ;   in Loop: Header=BB240_548 Depth=1
	s_or_b32 exec_lo, exec_lo, s14
	s_orn2_b32 s14, s16, exec_lo
.LBB240_567:                            ;   in Loop: Header=BB240_548 Depth=1
	s_or_b32 exec_lo, exec_lo, s15
	v_cndmask_b32_e64 v180, v177, v179, s14
	v_cndmask_b32_e64 v181, v176, v167, s14
	s_mov_b32 s16, -1
	s_mov_b32 s15, -1
	s_mov_b32 s17, exec_lo
	v_add_nc_u32_e32 v180, 1, v180
	v_add_nc_u32_e32 v181, -1, v181
	v_cndmask_b32_e64 v177, v180, v177, s14
	v_min_u32_e32 v181, v180, v181
	v_cndmask_b32_e64 v179, v179, v180, s14
	v_lshlrev_b32_e32 v181, 1, v181
	ds_read_u16 v181, v181
	s_waitcnt lgkmcnt(0)
	v_cndmask_b32_e64 v229, v181, v228, s14
	v_cndmask_b32_e64 v243, v242, v181, s14
	v_cmpx_lt_u32_e64 v177, v176
	s_cbranch_execz .LBB240_571
; %bb.568:                              ;   in Loop: Header=BB240_548 Depth=1
	s_mov_b32 s18, 0
	s_mov_b32 s15, exec_lo
	v_cmpx_lt_u32_e64 v179, v167
; %bb.569:                              ;   in Loop: Header=BB240_548 Depth=1
	v_mul_u32_u24_sdwa v180, v229, v166 dst_sel:DWORD dst_unused:UNUSED_PAD src0_sel:WORD_0 src1_sel:DWORD
	v_mul_u32_u24_sdwa v181, v243, v166 dst_sel:DWORD dst_unused:UNUSED_PAD src0_sel:WORD_0 src1_sel:DWORD
	v_lshrrev_b32_e32 v180, 19, v180
	v_lshrrev_b32_e32 v181, 19, v181
	v_cmp_ge_u16_e32 vcc_lo, v180, v181
	s_and_b32 s18, vcc_lo, exec_lo
; %bb.570:                              ;   in Loop: Header=BB240_548 Depth=1
	s_or_b32 exec_lo, exec_lo, s15
	s_orn2_b32 s15, s18, exec_lo
.LBB240_571:                            ;   in Loop: Header=BB240_548 Depth=1
	s_or_b32 exec_lo, exec_lo, s17
	v_cndmask_b32_e64 v180, v177, v179, s15
	v_cndmask_b32_e64 v181, v176, v167, s15
	s_mov_b32 s17, exec_lo
	v_add_nc_u32_e32 v180, 1, v180
	v_add_nc_u32_e32 v181, -1, v181
	v_cndmask_b32_e64 v177, v180, v177, s15
	v_min_u32_e32 v181, v180, v181
	v_cndmask_b32_e64 v179, v179, v180, s15
	v_lshlrev_b32_e32 v181, 1, v181
	ds_read_u16 v181, v181
	s_waitcnt lgkmcnt(0)
	v_cndmask_b32_e64 v227, v181, v229, s15
	v_cndmask_b32_e64 v244, v243, v181, s15
	v_cmpx_lt_u32_e64 v177, v176
	s_cbranch_execz .LBB240_575
; %bb.572:                              ;   in Loop: Header=BB240_548 Depth=1
	s_mov_b32 s18, 0
	s_mov_b32 s16, exec_lo
	v_cmpx_lt_u32_e64 v179, v167
; %bb.573:                              ;   in Loop: Header=BB240_548 Depth=1
	v_mul_u32_u24_sdwa v180, v227, v166 dst_sel:DWORD dst_unused:UNUSED_PAD src0_sel:WORD_0 src1_sel:DWORD
	v_mul_u32_u24_sdwa v181, v244, v166 dst_sel:DWORD dst_unused:UNUSED_PAD src0_sel:WORD_0 src1_sel:DWORD
	v_lshrrev_b32_e32 v180, 19, v180
	v_lshrrev_b32_e32 v181, 19, v181
	v_cmp_ge_u16_e32 vcc_lo, v180, v181
	s_and_b32 s18, vcc_lo, exec_lo
; %bb.574:                              ;   in Loop: Header=BB240_548 Depth=1
	s_or_b32 exec_lo, exec_lo, s16
	s_orn2_b32 s16, s18, exec_lo
.LBB240_575:                            ;   in Loop: Header=BB240_548 Depth=1
	s_or_b32 exec_lo, exec_lo, s17
	v_cndmask_b32_e64 v180, v177, v179, s16
	v_cndmask_b32_e64 v181, v176, v167, s16
	s_mov_b32 s18, -1
	s_mov_b32 s17, -1
	s_mov_b32 s19, exec_lo
	v_add_nc_u32_e32 v180, 1, v180
	v_add_nc_u32_e32 v181, -1, v181
	v_cndmask_b32_e64 v177, v180, v177, s16
	v_min_u32_e32 v181, v180, v181
	v_cndmask_b32_e64 v179, v179, v180, s16
	v_lshlrev_b32_e32 v181, 1, v181
	ds_read_u16 v181, v181
	;; [unrolled: 64-line block ×13, first 2 shown]
	s_waitcnt lgkmcnt(0)
	v_cndmask_b32_e64 v182, v75, v183, s56
	v_cndmask_b32_e64 v75, v74, v75, s56
	v_cmpx_lt_u32_e64 v177, v176
	s_cbranch_execz .LBB240_667
; %bb.664:                              ;   in Loop: Header=BB240_548 Depth=1
	s_mov_b32 s60, 0
	s_mov_b32 s57, exec_lo
	v_cmpx_lt_u32_e64 v179, v167
; %bb.665:                              ;   in Loop: Header=BB240_548 Depth=1
	v_mul_u32_u24_sdwa v180, v182, v166 dst_sel:DWORD dst_unused:UNUSED_PAD src0_sel:WORD_0 src1_sel:DWORD
	v_mul_u32_u24_sdwa v76, v75, v166 dst_sel:DWORD dst_unused:UNUSED_PAD src0_sel:WORD_0 src1_sel:DWORD
	v_lshrrev_b32_e32 v180, 19, v180
	v_lshrrev_b32_e32 v76, 19, v76
	v_cmp_ge_u16_e32 vcc_lo, v180, v76
	s_and_b32 s60, vcc_lo, exec_lo
; %bb.666:                              ;   in Loop: Header=BB240_548 Depth=1
	s_or_b32 exec_lo, exec_lo, s57
	s_orn2_b32 s57, s60, exec_lo
.LBB240_667:                            ;   in Loop: Header=BB240_548 Depth=1
	s_or_b32 exec_lo, exec_lo, s59
	v_cndmask_b32_e64 v180, v177, v179, s57
	v_cndmask_b32_e64 v76, v176, v167, s57
	s_mov_b32 s59, exec_lo
	v_add_nc_u32_e32 v180, 1, v180
	v_add_nc_u32_e32 v76, -1, v76
	v_cndmask_b32_e64 v177, v180, v177, s57
	v_min_u32_e32 v76, v180, v76
	v_cndmask_b32_e64 v179, v179, v180, s57
	v_lshlrev_b32_e32 v76, 1, v76
	ds_read_u16 v76, v76
	s_waitcnt lgkmcnt(0)
	v_cndmask_b32_e64 v180, v76, v182, s57
	v_cndmask_b32_e64 v76, v75, v76, s57
	v_cmpx_lt_u32_e64 v177, v176
	s_cbranch_execz .LBB240_671
; %bb.668:                              ;   in Loop: Header=BB240_548 Depth=1
	s_mov_b32 s60, 0
	s_mov_b32 s58, exec_lo
	v_cmpx_lt_u32_e64 v179, v167
; %bb.669:                              ;   in Loop: Header=BB240_548 Depth=1
	v_mul_u32_u24_sdwa v77, v180, v166 dst_sel:DWORD dst_unused:UNUSED_PAD src0_sel:WORD_0 src1_sel:DWORD
	v_mul_u32_u24_sdwa v78, v76, v166 dst_sel:DWORD dst_unused:UNUSED_PAD src0_sel:WORD_0 src1_sel:DWORD
	v_lshrrev_b32_e32 v77, 19, v77
	v_lshrrev_b32_e32 v78, 19, v78
	v_cmp_ge_u16_e32 vcc_lo, v77, v78
	s_and_b32 s60, vcc_lo, exec_lo
; %bb.670:                              ;   in Loop: Header=BB240_548 Depth=1
	s_or_b32 exec_lo, exec_lo, s58
	s_orn2_b32 s58, s60, exec_lo
.LBB240_671:                            ;   in Loop: Header=BB240_548 Depth=1
	s_or_b32 exec_lo, exec_lo, s59
	v_cndmask_b32_e64 v77, v177, v179, s58
	v_cndmask_b32_e64 v78, v176, v167, s58
	s_mov_b32 s59, -1
	s_mov_b32 s60, -1
	s_mov_b32 s61, exec_lo
	v_add_nc_u32_e32 v77, 1, v77
	v_add_nc_u32_e32 v78, -1, v78
	v_cndmask_b32_e64 v177, v77, v177, s58
	v_min_u32_e32 v78, v77, v78
	v_lshlrev_b32_e32 v78, 1, v78
	ds_read_u16 v79, v78
	v_cndmask_b32_e64 v78, v179, v77, s58
	s_waitcnt lgkmcnt(0)
	v_cndmask_b32_e64 v179, v79, v180, s58
	v_cndmask_b32_e64 v77, v76, v79, s58
	v_cmpx_lt_u32_e64 v177, v176
	s_cbranch_execz .LBB240_675
; %bb.672:                              ;   in Loop: Header=BB240_548 Depth=1
	s_mov_b32 s62, 0
	s_mov_b32 s60, exec_lo
	v_cmpx_lt_u32_e64 v78, v167
; %bb.673:                              ;   in Loop: Header=BB240_548 Depth=1
	v_mul_u32_u24_sdwa v79, v179, v166 dst_sel:DWORD dst_unused:UNUSED_PAD src0_sel:WORD_0 src1_sel:DWORD
	v_mul_u32_u24_sdwa v88, v77, v166 dst_sel:DWORD dst_unused:UNUSED_PAD src0_sel:WORD_0 src1_sel:DWORD
	v_lshrrev_b32_e32 v79, 19, v79
	v_lshrrev_b32_e32 v88, 19, v88
	v_cmp_ge_u16_e32 vcc_lo, v79, v88
	s_and_b32 s62, vcc_lo, exec_lo
; %bb.674:                              ;   in Loop: Header=BB240_548 Depth=1
	s_or_b32 exec_lo, exec_lo, s60
	s_orn2_b32 s60, s62, exec_lo
.LBB240_675:                            ;   in Loop: Header=BB240_548 Depth=1
	s_or_b32 exec_lo, exec_lo, s61
	v_cndmask_b32_e64 v79, v177, v78, s60
	v_cndmask_b32_e64 v88, v176, v167, s60
	s_mov_b32 s61, exec_lo
	v_add_nc_u32_e32 v79, 1, v79
	v_add_nc_u32_e32 v88, -1, v88
	v_cndmask_b32_e64 v177, v79, v177, s60
	v_min_u32_e32 v88, v79, v88
	v_lshlrev_b32_e32 v88, 1, v88
	ds_read_u16 v89, v88
	v_cndmask_b32_e64 v88, v78, v79, s60
	s_waitcnt lgkmcnt(0)
	v_cndmask_b32_e64 v78, v89, v179, s60
	v_cndmask_b32_e64 v79, v77, v89, s60
	v_cmpx_lt_u32_e64 v177, v176
	s_cbranch_execz .LBB240_679
; %bb.676:                              ;   in Loop: Header=BB240_548 Depth=1
	s_mov_b32 s62, 0
	s_mov_b32 s59, exec_lo
	v_cmpx_lt_u32_e64 v88, v167
; %bb.677:                              ;   in Loop: Header=BB240_548 Depth=1
	v_mul_u32_u24_sdwa v89, v78, v166 dst_sel:DWORD dst_unused:UNUSED_PAD src0_sel:WORD_0 src1_sel:DWORD
	v_mul_u32_u24_sdwa v90, v79, v166 dst_sel:DWORD dst_unused:UNUSED_PAD src0_sel:WORD_0 src1_sel:DWORD
	v_lshrrev_b32_e32 v89, 19, v89
	v_lshrrev_b32_e32 v90, 19, v90
	v_cmp_ge_u16_e32 vcc_lo, v89, v90
	s_and_b32 s62, vcc_lo, exec_lo
; %bb.678:                              ;   in Loop: Header=BB240_548 Depth=1
	s_or_b32 exec_lo, exec_lo, s59
	s_orn2_b32 s59, s62, exec_lo
.LBB240_679:                            ;   in Loop: Header=BB240_548 Depth=1
	s_or_b32 exec_lo, exec_lo, s61
	v_cndmask_b32_e64 v89, v177, v88, s59
	v_cndmask_b32_e64 v90, v176, v167, s59
	s_mov_b32 s61, exec_lo
	v_add_nc_u32_e32 v89, 1, v89
	v_add_nc_u32_e32 v90, -1, v90
	v_cndmask_b32_e64 v91, v89, v177, s59
	v_min_u32_e32 v90, v89, v90
	v_lshlrev_b32_e32 v90, 1, v90
	ds_read_u16 v90, v90
	s_waitcnt lgkmcnt(0)
	v_cndmask_b32_e64 v177, v79, v90, s59
	v_cmpx_lt_u32_e64 v91, v176
	s_cbranch_execz .LBB240_683
; %bb.680:                              ;   in Loop: Header=BB240_548 Depth=1
	v_cndmask_b32_e64 v88, v88, v89, s59
	v_cndmask_b32_e64 v176, v90, v78, s59
	s_mov_b32 s62, exec_lo
	v_cmpx_lt_u32_e64 v88, v167
; %bb.681:                              ;   in Loop: Header=BB240_548 Depth=1
	v_mul_u32_u24_sdwa v167, v176, v166 dst_sel:DWORD dst_unused:UNUSED_PAD src0_sel:WORD_0 src1_sel:DWORD
	v_mul_u32_u24_sdwa v88, v177, v166 dst_sel:DWORD dst_unused:UNUSED_PAD src0_sel:WORD_0 src1_sel:DWORD
	v_lshrrev_b32_e32 v167, 19, v167
	v_lshrrev_b32_e32 v88, 19, v88
	v_cmp_lt_u16_e32 vcc_lo, v167, v88
	v_cndmask_b32_e32 v176, v177, v176, vcc_lo
; %bb.682:                              ;   in Loop: Header=BB240_548 Depth=1
	s_or_b32 exec_lo, exec_lo, s62
	v_mov_b32_e32 v177, v176
.LBB240_683:                            ;   in Loop: Header=BB240_548 Depth=1
	s_or_b32 exec_lo, exec_lo, s61
	v_cndmask_b32_e64 v179, v179, v77, s60
	v_cndmask_b32_e64 v180, v180, v76, s58
	;; [unrolled: 1-line block ×31, first 2 shown]
.LBB240_684:                            ;   in Loop: Header=BB240_548 Depth=1
	s_or_b32 exec_lo, exec_lo, s10
	s_cmpk_lt_u32 s5, 0x1000
	s_barrier
	buffer_gl0_inv
	s_cbranch_scc0 .LBB240_767
; %bb.685:                              ;   in Loop: Header=BB240_548 Depth=1
	s_mov_b32 s5, s7
	s_branch .LBB240_548
.LBB240_686:
	s_andn2_saveexec_b32 s37, s6
	s_cbranch_execz .LBB240_768
.LBB240_687:
	v_cmp_lt_u32_e32 vcc_lo, v6, v0
                                        ; implicit-def: $vgpr7
	s_and_saveexec_b32 s5, vcc_lo
	s_cbranch_execz .LBB240_689
; %bb.688:
	s_waitcnt lgkmcnt(31)
	v_add_co_u32 v50, s4, v2, v8
	v_add_co_ci_u32_e64 v51, null, 0, v3, s4
	flat_load_ushort v7, v[50:51]
.LBB240_689:
	s_or_b32 exec_lo, exec_lo, s5
	v_cmp_lt_u32_e64 s4, v38, v0
                                        ; implicit-def: $vgpr50
	s_and_saveexec_b32 s6, s4
	s_cbranch_execz .LBB240_691
; %bb.690:
	s_waitcnt lgkmcnt(31)
	v_add_co_u32 v50, s5, v2, v8
	v_add_co_ci_u32_e64 v51, null, 0, v3, s5
	flat_load_ushort v50, v[50:51] offset:512
.LBB240_691:
	s_or_b32 exec_lo, exec_lo, s6
	v_cmp_lt_u32_e64 s5, v35, v0
                                        ; implicit-def: $vgpr51
	s_and_saveexec_b32 s7, s5
	s_cbranch_execz .LBB240_693
; %bb.692:
	v_add_co_u32 v51, s6, v2, v8
	v_add_co_ci_u32_e64 v52, null, 0, v3, s6
	flat_load_ushort v51, v[51:52] offset:1024
.LBB240_693:
	s_or_b32 exec_lo, exec_lo, s7
	v_cmp_lt_u32_e64 s6, v1, v0
                                        ; implicit-def: $vgpr52
	s_and_saveexec_b32 s10, s6
	s_cbranch_execz .LBB240_695
; %bb.694:
	v_add_co_u32 v52, s7, v2, v8
	v_add_co_ci_u32_e64 v53, null, 0, v3, s7
	flat_load_ushort v52, v[52:53] offset:1536
.LBB240_695:
	s_or_b32 exec_lo, exec_lo, s10
	v_cmp_lt_u32_e64 s7, v10, v0
                                        ; implicit-def: $vgpr53
	s_and_saveexec_b32 s11, s7
	s_cbranch_execz .LBB240_697
; %bb.696:
	v_lshlrev_b32_e32 v53, 1, v10
	v_add_co_u32 v53, s10, v2, v53
	v_add_co_ci_u32_e64 v54, null, 0, v3, s10
	flat_load_ushort v53, v[53:54]
.LBB240_697:
	s_or_b32 exec_lo, exec_lo, s11
	v_cmp_lt_u32_e64 s10, v49, v0
                                        ; implicit-def: $vgpr54
	s_and_saveexec_b32 s14, s10
	s_cbranch_execz .LBB240_699
; %bb.698:
	v_lshlrev_b32_e32 v54, 1, v49
	v_add_co_u32 v54, s11, v2, v54
	v_add_co_ci_u32_e64 v55, null, 0, v3, s11
	flat_load_ushort v54, v[54:55]
.LBB240_699:
	s_or_b32 exec_lo, exec_lo, s14
	v_cmp_lt_u32_e64 s11, v11, v0
                                        ; implicit-def: $vgpr64
	s_and_saveexec_b32 s15, s11
	s_cbranch_execz .LBB240_701
; %bb.700:
	v_lshlrev_b32_e32 v55, 1, v11
	v_add_co_u32 v64, s14, v2, v55
	v_add_co_ci_u32_e64 v65, null, 0, v3, s14
	flat_load_ushort v64, v[64:65]
.LBB240_701:
	s_or_b32 exec_lo, exec_lo, s15
	v_cmp_lt_u32_e64 s47, v12, v0
                                        ; implicit-def: $vgpr55
	s_and_saveexec_b32 s15, s47
	s_cbranch_execz .LBB240_703
; %bb.702:
	v_lshlrev_b32_e32 v55, 1, v12
	v_add_co_u32 v65, s14, v2, v55
	v_add_co_ci_u32_e64 v66, null, 0, v3, s14
	flat_load_ushort v55, v[65:66]
.LBB240_703:
	s_or_b32 exec_lo, exec_lo, s15
	v_cmp_lt_u32_e64 s56, v13, v0
                                        ; implicit-def: $vgpr65
	s_and_saveexec_b32 s15, s56
	s_cbranch_execz .LBB240_705
; %bb.704:
	v_lshlrev_b32_e32 v65, 1, v13
	v_add_co_u32 v65, s14, v2, v65
	v_add_co_ci_u32_e64 v66, null, 0, v3, s14
	flat_load_ushort v65, v[65:66]
.LBB240_705:
	s_or_b32 exec_lo, exec_lo, s15
	v_cmp_lt_u32_e64 s14, v14, v0
                                        ; implicit-def: $vgpr66
	s_and_saveexec_b32 s16, s14
	s_cbranch_execz .LBB240_707
; %bb.706:
	v_lshlrev_b32_e32 v66, 1, v14
	v_add_co_u32 v66, s15, v2, v66
	v_add_co_ci_u32_e64 v67, null, 0, v3, s15
	flat_load_ushort v66, v[66:67]
.LBB240_707:
	s_or_b32 exec_lo, exec_lo, s16
	v_cmp_lt_u32_e64 s15, v15, v0
                                        ; implicit-def: $vgpr67
	s_and_saveexec_b32 s17, s15
	s_cbranch_execz .LBB240_709
; %bb.708:
	v_lshlrev_b32_e32 v67, 1, v15
	v_add_co_u32 v67, s16, v2, v67
	v_add_co_ci_u32_e64 v68, null, 0, v3, s16
	flat_load_ushort v67, v[67:68]
.LBB240_709:
	s_or_b32 exec_lo, exec_lo, s17
	v_cmp_lt_u32_e64 s16, v16, v0
                                        ; implicit-def: $vgpr69
	s_and_saveexec_b32 s18, s16
	s_cbranch_execz .LBB240_711
; %bb.710:
	v_lshlrev_b32_e32 v68, 1, v16
	v_add_co_u32 v68, s17, v2, v68
	v_add_co_ci_u32_e64 v69, null, 0, v3, s17
	flat_load_ushort v69, v[68:69]
.LBB240_711:
	s_or_b32 exec_lo, exec_lo, s18
	v_cmp_lt_u32_e64 s17, v17, v0
                                        ; implicit-def: $vgpr68
	s_and_saveexec_b32 s19, s17
	s_cbranch_execz .LBB240_713
; %bb.712:
	v_lshlrev_b32_e32 v68, 1, v17
	v_add_co_u32 v70, s18, v2, v68
	v_add_co_ci_u32_e64 v71, null, 0, v3, s18
	flat_load_ushort v68, v[70:71]
.LBB240_713:
	s_or_b32 exec_lo, exec_lo, s19
	v_cmp_lt_u32_e64 s18, v18, v0
                                        ; implicit-def: $vgpr70
	s_and_saveexec_b32 s20, s18
	s_cbranch_execz .LBB240_715
; %bb.714:
	v_lshlrev_b32_e32 v70, 1, v18
	v_add_co_u32 v70, s19, v2, v70
	v_add_co_ci_u32_e64 v71, null, 0, v3, s19
	flat_load_ushort v70, v[70:71]
.LBB240_715:
	s_or_b32 exec_lo, exec_lo, s20
	v_cmp_lt_u32_e64 s19, v19, v0
                                        ; implicit-def: $vgpr71
	s_and_saveexec_b32 s21, s19
	s_cbranch_execz .LBB240_717
; %bb.716:
	v_lshlrev_b32_e32 v71, 1, v19
	v_add_co_u32 v80, s20, v2, v71
	v_add_co_ci_u32_e64 v81, null, 0, v3, s20
	flat_load_ushort v71, v[80:81]
.LBB240_717:
	s_or_b32 exec_lo, exec_lo, s21
	v_cmp_lt_u32_e64 s20, v20, v0
                                        ; implicit-def: $vgpr80
	s_and_saveexec_b32 s22, s20
	s_cbranch_execz .LBB240_719
; %bb.718:
	v_lshlrev_b32_e32 v80, 1, v20
	v_add_co_u32 v80, s21, v2, v80
	v_add_co_ci_u32_e64 v81, null, 0, v3, s21
	flat_load_ushort v80, v[80:81]
.LBB240_719:
	s_or_b32 exec_lo, exec_lo, s22
	v_cmp_lt_u32_e64 s21, v21, v0
                                        ; implicit-def: $vgpr82
	s_and_saveexec_b32 s23, s21
	s_cbranch_execz .LBB240_721
; %bb.720:
	v_lshlrev_b32_e32 v81, 1, v21
	v_add_co_u32 v81, s22, v2, v81
	v_add_co_ci_u32_e64 v82, null, 0, v3, s22
	flat_load_ushort v82, v[81:82]
.LBB240_721:
	s_or_b32 exec_lo, exec_lo, s23
	v_cmp_lt_u32_e64 s22, v22, v0
                                        ; implicit-def: $vgpr81
	s_and_saveexec_b32 s24, s22
	s_cbranch_execz .LBB240_723
; %bb.722:
	v_lshlrev_b32_e32 v81, 1, v22
	v_add_co_u32 v83, s23, v2, v81
	v_add_co_ci_u32_e64 v84, null, 0, v3, s23
	flat_load_ushort v81, v[83:84]
.LBB240_723:
	s_or_b32 exec_lo, exec_lo, s24
	v_cmp_lt_u32_e64 s23, v23, v0
                                        ; implicit-def: $vgpr83
	s_and_saveexec_b32 s25, s23
	s_cbranch_execz .LBB240_725
; %bb.724:
	v_lshlrev_b32_e32 v83, 1, v23
	v_add_co_u32 v83, s24, v2, v83
	v_add_co_ci_u32_e64 v84, null, 0, v3, s24
	flat_load_ushort v83, v[83:84]
.LBB240_725:
	s_or_b32 exec_lo, exec_lo, s25
	v_cmp_lt_u32_e64 s24, v24, v0
                                        ; implicit-def: $vgpr84
	s_and_saveexec_b32 s26, s24
	s_cbranch_execz .LBB240_727
; %bb.726:
	v_lshlrev_b32_e32 v84, 1, v24
	v_add_co_u32 v84, s25, v2, v84
	v_add_co_ci_u32_e64 v85, null, 0, v3, s25
	flat_load_ushort v84, v[84:85]
.LBB240_727:
	s_or_b32 exec_lo, exec_lo, s26
	v_cmp_lt_u32_e64 s25, v25, v0
                                        ; implicit-def: $vgpr85
	s_and_saveexec_b32 s27, s25
	s_cbranch_execz .LBB240_729
; %bb.728:
	v_lshlrev_b32_e32 v85, 1, v25
	v_add_co_u32 v85, s26, v2, v85
	v_add_co_ci_u32_e64 v86, null, 0, v3, s26
	flat_load_ushort v85, v[85:86]
.LBB240_729:
	s_or_b32 exec_lo, exec_lo, s27
	v_cmp_lt_u32_e64 s26, v26, v0
                                        ; implicit-def: $vgpr87
	s_and_saveexec_b32 s28, s26
	s_cbranch_execz .LBB240_731
; %bb.730:
	v_lshlrev_b32_e32 v86, 1, v26
	v_add_co_u32 v86, s27, v2, v86
	v_add_co_ci_u32_e64 v87, null, 0, v3, s27
	flat_load_ushort v87, v[86:87]
.LBB240_731:
	s_or_b32 exec_lo, exec_lo, s28
	v_cmp_lt_u32_e64 s27, v27, v0
                                        ; implicit-def: $vgpr86
	s_and_saveexec_b32 s29, s27
	s_cbranch_execz .LBB240_733
; %bb.732:
	v_lshlrev_b32_e32 v86, 1, v27
	v_add_co_u32 v96, s28, v2, v86
	v_add_co_ci_u32_e64 v97, null, 0, v3, s28
	flat_load_ushort v86, v[96:97]
.LBB240_733:
	s_or_b32 exec_lo, exec_lo, s29
	v_cmp_lt_u32_e64 s28, v28, v0
                                        ; implicit-def: $vgpr96
	s_and_saveexec_b32 s40, s28
	s_cbranch_execz .LBB240_735
; %bb.734:
	v_lshlrev_b32_e32 v96, 1, v28
	v_add_co_u32 v96, s29, v2, v96
	v_add_co_ci_u32_e64 v97, null, 0, v3, s29
	flat_load_ushort v96, v[96:97]
.LBB240_735:
	s_or_b32 exec_lo, exec_lo, s40
	v_cmp_lt_u32_e64 s29, v29, v0
                                        ; implicit-def: $vgpr97
	s_and_saveexec_b32 s41, s29
	s_cbranch_execz .LBB240_737
; %bb.736:
	v_lshlrev_b32_e32 v97, 1, v29
	v_add_co_u32 v97, s40, v2, v97
	v_add_co_ci_u32_e64 v98, null, 0, v3, s40
	flat_load_ushort v97, v[97:98]
.LBB240_737:
	s_or_b32 exec_lo, exec_lo, s41
	v_cmp_lt_u32_e64 s40, v30, v0
                                        ; implicit-def: $vgpr98
	s_and_saveexec_b32 s42, s40
	s_cbranch_execz .LBB240_739
; %bb.738:
	v_lshlrev_b32_e32 v98, 1, v30
	v_add_co_u32 v98, s41, v2, v98
	v_add_co_ci_u32_e64 v99, null, 0, v3, s41
	flat_load_ushort v98, v[98:99]
.LBB240_739:
	s_or_b32 exec_lo, exec_lo, s42
	v_cmp_lt_u32_e64 s41, v31, v0
                                        ; implicit-def: $vgpr100
	s_and_saveexec_b32 s43, s41
	s_cbranch_execz .LBB240_741
; %bb.740:
	v_lshlrev_b32_e32 v99, 1, v31
	v_add_co_u32 v99, s42, v2, v99
	v_add_co_ci_u32_e64 v100, null, 0, v3, s42
	flat_load_ushort v100, v[99:100]
.LBB240_741:
	s_or_b32 exec_lo, exec_lo, s43
	v_cmp_lt_u32_e64 s42, v32, v0
                                        ; implicit-def: $vgpr99
	s_and_saveexec_b32 s44, s42
	s_cbranch_execz .LBB240_743
; %bb.742:
	v_lshlrev_b32_e32 v99, 1, v32
	v_add_co_u32 v101, s43, v2, v99
	v_add_co_ci_u32_e64 v102, null, 0, v3, s43
	flat_load_ushort v99, v[101:102]
.LBB240_743:
	s_or_b32 exec_lo, exec_lo, s44
	v_cmp_lt_u32_e64 s43, v33, v0
                                        ; implicit-def: $vgpr101
	s_and_saveexec_b32 s45, s43
	s_cbranch_execz .LBB240_745
; %bb.744:
	v_lshlrev_b32_e32 v101, 1, v33
	v_add_co_u32 v101, s44, v2, v101
	v_add_co_ci_u32_e64 v102, null, 0, v3, s44
	flat_load_ushort v101, v[101:102]
.LBB240_745:
	s_or_b32 exec_lo, exec_lo, s45
	v_cmp_lt_u32_e64 s44, v34, v0
                                        ; implicit-def: $vgpr113
	s_and_saveexec_b32 s46, s44
	s_cbranch_execz .LBB240_747
; %bb.746:
	v_lshlrev_b32_e32 v102, 1, v34
	v_add_co_u32 v113, s45, v2, v102
	v_add_co_ci_u32_e64 v114, null, 0, v3, s45
	flat_load_ushort v113, v[113:114]
.LBB240_747:
	s_or_b32 exec_lo, exec_lo, s46
	v_cmp_lt_u32_e64 s45, v48, v0
                                        ; implicit-def: $vgpr114
	s_and_saveexec_b32 s57, s45
	s_cbranch_execz .LBB240_749
; %bb.748:
	v_lshlrev_b32_e32 v102, 1, v48
	v_add_co_u32 v114, s46, v2, v102
	v_add_co_ci_u32_e64 v115, null, 0, v3, s46
	flat_load_ushort v114, v[114:115]
.LBB240_749:
	s_or_b32 exec_lo, exec_lo, s57
	v_cmp_lt_u32_e64 s46, v39, v0
                                        ; implicit-def: $vgpr115
	s_and_saveexec_b32 s58, s46
	s_cbranch_execz .LBB240_751
; %bb.750:
	v_lshlrev_b32_e32 v102, 1, v39
	v_add_co_u32 v2, s57, v2, v102
	v_add_co_ci_u32_e64 v3, null, 0, v3, s57
	flat_load_ushort v115, v[2:3]
.LBB240_751:
	s_or_b32 exec_lo, exec_lo, s58
	v_lshrrev_b32_e32 v2, 5, v38
	v_lshrrev_b32_e32 v35, 5, v35
	v_and_b32_e32 v3, 30, v36
	v_lshrrev_b32_e32 v36, 5, v1
	v_lshrrev_b32_e32 v102, 5, v11
	v_and_b32_e32 v1, 62, v2
	v_lshrrev_b32_e32 v2, 5, v49
	v_and_b32_e32 v35, 62, v35
	v_add_lshl_u32 v3, v3, v6, 1
	v_lshrrev_b32_e32 v38, 5, v10
	v_add_lshl_u32 v1, v1, v6, 1
	v_and_b32_e32 v116, 0x7e, v2
	v_add_lshl_u32 v2, v35, v6, 1
	v_and_b32_e32 v35, 0x7e, v102
	s_waitcnt vmcnt(0) lgkmcnt(0)
	ds_write_b16 v3, v7
	ds_write_b16 v1, v50 offset:512
	v_lshrrev_b32_e32 v50, 5, v16
	v_and_b32_e32 v36, 62, v36
	v_and_b32_e32 v38, 62, v38
	v_add_lshl_u32 v11, v35, v11, 1
	v_lshrrev_b32_e32 v35, 5, v12
	v_add_lshl_u32 v37, v37, v9, 1
	v_add_lshl_u32 v102, v36, v6, 1
	v_lshrrev_b32_e32 v36, 5, v13
	v_add_lshl_u32 v7, v38, v10, 1
	v_and_b32_e32 v35, 0x7e, v35
	v_lshrrev_b32_e32 v38, 5, v14
	v_add_lshl_u32 v10, v116, v49, 1
	v_lshrrev_b32_e32 v49, 5, v15
	v_and_b32_e32 v36, 0x5e, v36
	v_add_lshl_u32 v12, v35, v12, 1
	v_and_b32_e32 v35, 0x7e, v50
	v_lshrrev_b32_e32 v50, 5, v21
	v_and_b32_e32 v38, 0x7e, v38
	v_and_b32_e32 v49, 0x7e, v49
	v_add_lshl_u32 v13, v36, v13, 1
	v_add_lshl_u32 v16, v35, v16, 1
	v_lshrrev_b32_e32 v35, 5, v17
	v_lshrrev_b32_e32 v36, 5, v18
	v_add_lshl_u32 v14, v38, v14, 1
	v_lshrrev_b32_e32 v38, 5, v19
	v_add_lshl_u32 v15, v49, v15, 1
	v_and_b32_e32 v35, 0x7e, v35
	v_lshrrev_b32_e32 v49, 5, v20
	v_and_b32_e32 v36, 0xfe, v36
	v_and_b32_e32 v38, 0xfe, v38
	ds_write_b16 v2, v51 offset:1024
	v_add_lshl_u32 v17, v35, v17, 1
	v_and_b32_e32 v35, 0x9e, v50
	v_lshrrev_b32_e32 v50, 5, v26
	v_and_b32_e32 v49, 0xfe, v49
	v_add_lshl_u32 v18, v36, v18, 1
	v_lshrrev_b32_e32 v36, 5, v23
	v_add_lshl_u32 v21, v35, v21, 1
	v_lshrrev_b32_e32 v35, 5, v22
	;; [unrolled: 2-line block ×4, first 2 shown]
	v_and_b32_e32 v35, 0xbe, v35
	v_and_b32_e32 v36, 0xbe, v36
	;; [unrolled: 1-line block ×3, first 2 shown]
	ds_write_b16 v102, v52 offset:1536
	ds_write_b16 v7, v53
	ds_write_b16 v10, v54
	v_and_b32_e32 v49, 0xbe, v49
	v_add_lshl_u32 v22, v35, v22, 1
	v_and_b32_e32 v35, 0xfe, v50
	v_add_lshl_u32 v23, v36, v23, 1
	v_lshrrev_b32_e32 v36, 5, v28
	v_lshrrev_b32_e32 v50, 5, v31
	v_add_lshl_u32 v24, v38, v24, 1
	v_add_lshl_u32 v26, v35, v26, 1
	v_lshrrev_b32_e32 v35, 5, v27
	v_lshrrev_b32_e32 v38, 5, v29
	v_add_lshl_u32 v25, v49, v25, 1
	v_lshrrev_b32_e32 v49, 5, v30
	v_and_b32_e32 v36, 0xfe, v36
	v_and_b32_e32 v35, 0xfe, v35
	;; [unrolled: 1-line block ×3, first 2 shown]
	ds_write_b16 v11, v64
	v_and_b32_e32 v49, 0xfe, v49
	v_add_lshl_u32 v28, v36, v28, 1
	v_add_lshl_u32 v27, v35, v27, 1
	v_and_b32_e32 v35, 0xfe, v50
	v_lshrrev_b32_e32 v36, 5, v33
	v_lshrrev_b32_e32 v50, 5, v39
	v_add_lshl_u32 v29, v38, v29, 1
	v_lshrrev_b32_e32 v38, 5, v34
	v_add_lshl_u32 v31, v35, v31, 1
	v_lshrrev_b32_e32 v35, 5, v32
	v_add_lshl_u32 v30, v49, v30, 1
	v_lshrrev_b32_e32 v49, 5, v48
	v_and_b32_e32 v36, 0xfe, v36
	v_and_b32_e32 v50, 0x1fe, v50
	;; [unrolled: 1-line block ×5, first 2 shown]
	v_add_lshl_u32 v33, v36, v33, 1
	v_add_lshl_u32 v36, v50, v39, 1
	;; [unrolled: 1-line block ×5, first 2 shown]
	ds_write_b16 v12, v55
	ds_write_b16 v13, v65
	;; [unrolled: 1-line block ×25, first 2 shown]
	s_waitcnt lgkmcnt(0)
	s_waitcnt_vscnt null, 0x0
	s_barrier
	buffer_gl0_inv
	ds_read_u16 v97, v37
	ds_read_u16 v100, v37 offset:2
	ds_read_u16 v99, v37 offset:4
	;; [unrolled: 1-line block ×31, first 2 shown]
	s_waitcnt lgkmcnt(0)
	s_barrier
	buffer_gl0_inv
	s_load_dwordx2 s[58:59], s[8:9], 0x0
	v_mov_b32_e32 v113, 0
	s_waitcnt lgkmcnt(0)
	s_cmp_lt_u32 s13, s59
	s_cselect_b32 s13, 14, 20
	s_add_u32 s60, s8, s13
	s_addc_u32 s61, s9, 0
	s_cmp_lt_u32 s12, s58
	global_load_ushort v114, v113, s[60:61]
	s_cselect_b32 s12, 12, 18
	s_add_u32 s8, s8, s12
	s_addc_u32 s9, s9, 0
	global_load_ushort v113, v113, s[8:9]
	s_waitcnt vmcnt(1)
	v_mad_u32_u24 v103, v112, v114, v103
	s_waitcnt vmcnt(0)
	v_mul_lo_u32 v103, v103, v113
	v_add_lshl_u32 v103, v103, v6, 5
	v_sub_nc_u32_e64 v112, v0, v103 clamp
	v_cmp_lt_u32_e64 s8, 1, v112
	s_and_saveexec_b32 s12, s8
	s_cbranch_execz .LBB240_771
; %bb.752:
	v_mov_b32_e32 v113, 0xcccd
	v_mul_u32_u24_sdwa v114, v100, v113 dst_sel:DWORD dst_unused:UNUSED_PAD src0_sel:WORD_0 src1_sel:DWORD
	v_mul_u32_u24_sdwa v113, v97, v113 dst_sel:DWORD dst_unused:UNUSED_PAD src0_sel:WORD_0 src1_sel:DWORD
	v_lshrrev_b32_e32 v114, 19, v114
	v_lshrrev_b32_e32 v113, 19, v113
	v_cmp_lt_u16_e64 s9, v114, v113
	v_cndmask_b32_e64 v113, v100, v97, s9
	v_cndmask_b32_e64 v97, v97, v100, s9
	v_mov_b32_e32 v100, v113
	s_or_b32 exec_lo, exec_lo, s12
	v_cmp_lt_u32_e64 s9, 3, v112
	s_and_saveexec_b32 s13, s9
	s_cbranch_execnz .LBB240_772
.LBB240_753:
	s_or_b32 exec_lo, exec_lo, s13
	v_cmp_lt_u32_e64 s12, 5, v112
	s_and_saveexec_b32 s57, s12
	s_cbranch_execz .LBB240_773
.LBB240_754:
	v_mov_b32_e32 v113, 0xcccd
	v_mul_u32_u24_sdwa v114, v87, v113 dst_sel:DWORD dst_unused:UNUSED_PAD src0_sel:WORD_0 src1_sel:DWORD
	v_mul_u32_u24_sdwa v113, v96, v113 dst_sel:DWORD dst_unused:UNUSED_PAD src0_sel:WORD_0 src1_sel:DWORD
	v_lshrrev_b32_e32 v114, 19, v114
	v_lshrrev_b32_e32 v113, 19, v113
	v_cmp_lt_u16_e64 s13, v114, v113
	v_cndmask_b32_e64 v113, v87, v96, s13
	v_cndmask_b32_e64 v96, v96, v87, s13
	v_mov_b32_e32 v87, v113
	s_or_b32 exec_lo, exec_lo, s57
	v_cmp_lt_u32_e64 s13, 7, v112
	s_and_saveexec_b32 s58, s13
	s_cbranch_execnz .LBB240_774
.LBB240_755:
	s_or_b32 exec_lo, exec_lo, s58
	v_cmp_lt_u32_e64 s57, 9, v112
	s_and_saveexec_b32 s59, s57
	s_cbranch_execz .LBB240_775
.LBB240_756:
	v_mov_b32_e32 v113, 0xcccd
	v_mul_u32_u24_sdwa v114, v83, v113 dst_sel:DWORD dst_unused:UNUSED_PAD src0_sel:WORD_0 src1_sel:DWORD
	v_mul_u32_u24_sdwa v113, v84, v113 dst_sel:DWORD dst_unused:UNUSED_PAD src0_sel:WORD_0 src1_sel:DWORD
	v_lshrrev_b32_e32 v114, 19, v114
	v_lshrrev_b32_e32 v113, 19, v113
	v_cmp_lt_u16_e64 s58, v114, v113
	v_cndmask_b32_e64 v113, v83, v84, s58
	v_cndmask_b32_e64 v84, v84, v83, s58
	v_mov_b32_e32 v83, v113
	s_or_b32 exec_lo, exec_lo, s59
	v_cmp_lt_u32_e64 s58, 11, v112
	s_and_saveexec_b32 s60, s58
	s_cbranch_execnz .LBB240_776
.LBB240_757:
	s_or_b32 exec_lo, exec_lo, s60
	v_cmp_lt_u32_e64 s59, 13, v112
	s_and_saveexec_b32 s61, s59
	s_cbranch_execz .LBB240_777
.LBB240_758:
	v_mov_b32_e32 v113, 0xcccd
	v_mul_u32_u24_sdwa v114, v71, v113 dst_sel:DWORD dst_unused:UNUSED_PAD src0_sel:WORD_0 src1_sel:DWORD
	v_mul_u32_u24_sdwa v113, v80, v113 dst_sel:DWORD dst_unused:UNUSED_PAD src0_sel:WORD_0 src1_sel:DWORD
	v_lshrrev_b32_e32 v114, 19, v114
	v_lshrrev_b32_e32 v113, 19, v113
	v_cmp_lt_u16_e64 s60, v114, v113
	v_cndmask_b32_e64 v113, v71, v80, s60
	v_cndmask_b32_e64 v80, v80, v71, s60
	v_mov_b32_e32 v71, v113
	s_or_b32 exec_lo, exec_lo, s61
	v_cmp_lt_u32_e64 s60, 15, v112
	s_and_saveexec_b32 s62, s60
	s_cbranch_execnz .LBB240_778
.LBB240_759:
	s_or_b32 exec_lo, exec_lo, s62
	v_cmp_lt_u32_e64 s61, 17, v112
	s_and_saveexec_b32 s63, s61
	s_cbranch_execz .LBB240_779
.LBB240_760:
	v_mov_b32_e32 v113, 0xcccd
	v_mul_u32_u24_sdwa v114, v67, v113 dst_sel:DWORD dst_unused:UNUSED_PAD src0_sel:WORD_0 src1_sel:DWORD
	v_mul_u32_u24_sdwa v113, v68, v113 dst_sel:DWORD dst_unused:UNUSED_PAD src0_sel:WORD_0 src1_sel:DWORD
	v_lshrrev_b32_e32 v114, 19, v114
	v_lshrrev_b32_e32 v113, 19, v113
	v_cmp_lt_u16_e64 s62, v114, v113
	v_cndmask_b32_e64 v113, v67, v68, s62
	v_cndmask_b32_e64 v68, v68, v67, s62
	v_mov_b32_e32 v67, v113
	s_or_b32 exec_lo, exec_lo, s63
	v_cmp_lt_u32_e64 s62, 19, v112
	s_and_saveexec_b32 s72, s62
	s_cbranch_execnz .LBB240_780
.LBB240_761:
	s_or_b32 exec_lo, exec_lo, s72
	v_cmp_lt_u32_e64 s63, 21, v112
	s_and_saveexec_b32 s73, s63
	s_cbranch_execz .LBB240_781
.LBB240_762:
	v_mov_b32_e32 v113, 0xcccd
	v_mul_u32_u24_sdwa v114, v55, v113 dst_sel:DWORD dst_unused:UNUSED_PAD src0_sel:WORD_0 src1_sel:DWORD
	v_mul_u32_u24_sdwa v113, v64, v113 dst_sel:DWORD dst_unused:UNUSED_PAD src0_sel:WORD_0 src1_sel:DWORD
	v_lshrrev_b32_e32 v114, 19, v114
	v_lshrrev_b32_e32 v113, 19, v113
	v_cmp_lt_u16_e64 s72, v114, v113
	v_cndmask_b32_e64 v113, v55, v64, s72
	v_cndmask_b32_e64 v64, v64, v55, s72
	v_mov_b32_e32 v55, v113
	s_or_b32 exec_lo, exec_lo, s73
	v_cmp_lt_u32_e64 s72, 23, v112
	s_and_saveexec_b32 s74, s72
	s_cbranch_execnz .LBB240_782
.LBB240_763:
	s_or_b32 exec_lo, exec_lo, s74
	v_cmp_lt_u32_e64 s73, 25, v112
	s_and_saveexec_b32 s75, s73
	s_cbranch_execz .LBB240_783
.LBB240_764:
	v_mov_b32_e32 v113, 0xcccd
	v_mul_u32_u24_sdwa v114, v54, v113 dst_sel:DWORD dst_unused:UNUSED_PAD src0_sel:WORD_0 src1_sel:DWORD
	v_mul_u32_u24_sdwa v113, v51, v113 dst_sel:DWORD dst_unused:UNUSED_PAD src0_sel:WORD_0 src1_sel:DWORD
	v_lshrrev_b32_e32 v114, 19, v114
	v_lshrrev_b32_e32 v113, 19, v113
	v_cmp_lt_u16_e64 s74, v114, v113
	v_cndmask_b32_e64 v113, v54, v51, s74
	v_cndmask_b32_e64 v51, v51, v54, s74
	v_mov_b32_e32 v54, v113
	s_or_b32 exec_lo, exec_lo, s75
	v_cmp_lt_u32_e64 s74, 27, v112
	s_and_saveexec_b32 s76, s74
	s_cbranch_execnz .LBB240_784
.LBB240_765:
	s_or_b32 exec_lo, exec_lo, s76
	v_cmp_lt_u32_e64 s75, 29, v112
	s_and_saveexec_b32 s77, s75
	s_cbranch_execz .LBB240_785
.LBB240_766:
	v_mov_b32_e32 v113, 0xcccd
	v_mul_u32_u24_sdwa v114, v39, v113 dst_sel:DWORD dst_unused:UNUSED_PAD src0_sel:WORD_0 src1_sel:DWORD
	v_mul_u32_u24_sdwa v113, v48, v113 dst_sel:DWORD dst_unused:UNUSED_PAD src0_sel:WORD_0 src1_sel:DWORD
	v_lshrrev_b32_e32 v114, 19, v114
	v_lshrrev_b32_e32 v113, 19, v113
	v_cmp_lt_u16_e64 s76, v114, v113
	v_cndmask_b32_e64 v113, v48, v39, s76
	v_cndmask_b32_e64 v39, v39, v48, s76
	v_mov_b32_e32 v48, v113
	s_or_b32 exec_lo, exec_lo, s77
	v_cmp_lt_u32_e64 s76, 31, v112
	s_and_saveexec_b32 s78, s76
	s_cbranch_execnz .LBB240_786
	s_branch .LBB240_787
.LBB240_767:
	s_barrier
	buffer_gl0_inv
	ds_write_b16 v35, v178
	ds_write_b16 v39, v231
	;; [unrolled: 1-line block ×32, first 2 shown]
	s_waitcnt lgkmcnt(0)
	s_barrier
	buffer_gl0_inv
	ds_read_u16 v9, v0
	ds_read_u16 v35, v36
	ds_read_u16 v36, v37
	ds_read_u16 v37, v38
	ds_read_u16 v38, v2
	ds_read_u16 v39, v3
	ds_read_u16 v10, v10
	ds_read_u16 v11, v11
	ds_read_u16 v12, v12
	ds_read_u16 v13, v13
	ds_read_u16 v14, v14
	ds_read_u16 v15, v15
	ds_read_u16 v16, v16
	ds_read_u16 v17, v17
	ds_read_u16 v18, v18
	ds_read_u16 v19, v19
	ds_read_u16 v20, v20
	ds_read_u16 v21, v21
	ds_read_u16 v22, v22
	ds_read_u16 v23, v23
	ds_read_u16 v24, v24
	ds_read_u16 v25, v25
	ds_read_u16 v26, v26
	ds_read_u16 v27, v27
	ds_read_u16 v28, v28
	ds_read_u16 v29, v29
	ds_read_u16 v30, v30
	ds_read_u16 v31, v31
	ds_read_u16 v32, v32
	ds_read_u16 v33, v33
	ds_read_u16 v34, v34
	v_add_co_u32 v2, vcc_lo, v4, v8
	v_add_co_ci_u32_e64 v3, null, 0, v5, vcc_lo
	ds_read_u16 v50, v1
	v_add_co_u32 v0, vcc_lo, 0x800, v2
	v_add_co_ci_u32_e64 v1, null, 0, v3, vcc_lo
	s_waitcnt lgkmcnt(31)
	flat_store_short v[2:3], v9
	s_waitcnt lgkmcnt(31)
	flat_store_short v[2:3], v35 offset:512
	s_waitcnt lgkmcnt(31)
	flat_store_short v[2:3], v36 offset:1024
	s_waitcnt lgkmcnt(31)
	flat_store_short v[2:3], v37 offset:1536
	s_waitcnt lgkmcnt(31)
	flat_store_short v[0:1], v38
	s_waitcnt lgkmcnt(31)
	flat_store_short v[0:1], v39 offset:512
	s_waitcnt lgkmcnt(31)
	flat_store_short v[0:1], v10 offset:1024
	s_waitcnt lgkmcnt(31)
	flat_store_short v[0:1], v11 offset:1536
	v_add_co_u32 v0, vcc_lo, 0x1000, v2
	v_add_co_ci_u32_e64 v1, null, 0, v3, vcc_lo
	v_add_co_u32 v8, vcc_lo, 0x1800, v2
	v_add_co_ci_u32_e64 v9, null, 0, v3, vcc_lo
	s_waitcnt lgkmcnt(31)
	flat_store_short v[0:1], v12
	s_waitcnt lgkmcnt(31)
	flat_store_short v[0:1], v13 offset:512
	s_waitcnt lgkmcnt(31)
	flat_store_short v[0:1], v14 offset:1024
	s_waitcnt lgkmcnt(31)
	flat_store_short v[0:1], v15 offset:1536
	s_waitcnt lgkmcnt(31)
	flat_store_short v[8:9], v16
	s_waitcnt lgkmcnt(31)
	flat_store_short v[8:9], v17 offset:512
	s_waitcnt lgkmcnt(31)
	flat_store_short v[8:9], v18 offset:1024
	s_waitcnt lgkmcnt(31)
	flat_store_short v[8:9], v19 offset:1536
	v_add_co_u32 v0, vcc_lo, 0x2000, v2
	v_add_co_ci_u32_e64 v1, null, 0, v3, vcc_lo
	;; [unrolled: 20-line block ×3, first 2 shown]
	v_add_co_u32 v2, vcc_lo, 0x3800, v2
	s_mov_b32 s36, exec_lo
	v_add_co_ci_u32_e64 v3, null, 0, v3, vcc_lo
	s_waitcnt lgkmcnt(31)
	flat_store_short v[0:1], v28
	s_waitcnt lgkmcnt(31)
	flat_store_short v[0:1], v29 offset:512
	s_waitcnt lgkmcnt(31)
	flat_store_short v[0:1], v30 offset:1024
	;; [unrolled: 2-line block ×3, first 2 shown]
	s_waitcnt lgkmcnt(31)
	flat_store_short v[2:3], v32
	s_waitcnt lgkmcnt(31)
	flat_store_short v[2:3], v33 offset:512
	s_waitcnt lgkmcnt(31)
	flat_store_short v[2:3], v34 offset:1024
                                        ; implicit-def: $vgpr0
                                        ; implicit-def: $vgpr2
                                        ; implicit-def: $vgpr3
                                        ; implicit-def: $vgpr103
                                        ; implicit-def: $vgpr112
                                        ; implicit-def: $vgpr8
                                        ; implicit-def: $vgpr36
                                        ; implicit-def: $vgpr38
                                        ; implicit-def: $vgpr35
                                        ; implicit-def: $vgpr1
                                        ; implicit-def: $vgpr10
                                        ; implicit-def: $vgpr49
                                        ; implicit-def: $vgpr11
                                        ; implicit-def: $vgpr12
                                        ; implicit-def: $vgpr13
                                        ; implicit-def: $vgpr14
                                        ; implicit-def: $vgpr15
                                        ; implicit-def: $vgpr16
                                        ; implicit-def: $vgpr17
                                        ; implicit-def: $vgpr18
                                        ; implicit-def: $vgpr19
                                        ; implicit-def: $vgpr20
                                        ; implicit-def: $vgpr21
                                        ; implicit-def: $vgpr22
                                        ; implicit-def: $vgpr23
                                        ; implicit-def: $vgpr24
                                        ; implicit-def: $vgpr25
                                        ; implicit-def: $vgpr26
                                        ; implicit-def: $vgpr27
                                        ; implicit-def: $vgpr28
                                        ; implicit-def: $vgpr29
                                        ; implicit-def: $vgpr30
                                        ; implicit-def: $vgpr31
                                        ; implicit-def: $vgpr32
                                        ; implicit-def: $vgpr33
                                        ; implicit-def: $vgpr34
                                        ; implicit-def: $vgpr48
                                        ; implicit-def: $vgpr39
                                        ; implicit-def: $vgpr9
                                        ; implicit-def: $vgpr37
	s_andn2_saveexec_b32 s37, s6
	s_cbranch_execnz .LBB240_687
.LBB240_768:
	s_or_b32 exec_lo, exec_lo, s37
	s_and_saveexec_b32 s4, s36
	s_cbranch_execz .LBB240_770
.LBB240_769:
	v_lshlrev_b64 v[0:1], 1, v[6:7]
	v_add_co_u32 v0, vcc_lo, v4, v0
	v_add_co_ci_u32_e64 v1, null, v5, v1, vcc_lo
	v_add_co_u32 v0, vcc_lo, 0x3800, v0
	v_add_co_ci_u32_e64 v1, null, 0, v1, vcc_lo
	s_waitcnt lgkmcnt(0)
	flat_store_short v[0:1], v50 offset:1536
.LBB240_770:
	s_or_b32 exec_lo, exec_lo, s4
	s_clause 0x1d
	buffer_load_dword v93, off, s[0:3], s32
	buffer_load_dword v92, off, s[0:3], s32 offset:4
	buffer_load_dword v91, off, s[0:3], s32 offset:8
	;; [unrolled: 1-line block ×29, first 2 shown]
	v_readlane_b32 s30, v94, 10
	v_readlane_b32 s31, v94, 11
	;; [unrolled: 1-line block ×12, first 2 shown]
	s_or_saveexec_b32 s4, -1
	buffer_load_dword v94, off, s[0:3], s32 offset:120 ; 4-byte Folded Reload
	s_mov_b32 exec_lo, s4
	s_waitcnt vmcnt(0) lgkmcnt(0)
	s_setpc_b64 s[30:31]
.LBB240_771:
	s_or_b32 exec_lo, exec_lo, s12
	v_cmp_lt_u32_e64 s9, 3, v112
	s_and_saveexec_b32 s13, s9
	s_cbranch_execz .LBB240_753
.LBB240_772:
	v_mov_b32_e32 v113, 0xcccd
	v_mul_u32_u24_sdwa v114, v98, v113 dst_sel:DWORD dst_unused:UNUSED_PAD src0_sel:WORD_0 src1_sel:DWORD
	v_mul_u32_u24_sdwa v113, v99, v113 dst_sel:DWORD dst_unused:UNUSED_PAD src0_sel:WORD_0 src1_sel:DWORD
	v_lshrrev_b32_e32 v114, 19, v114
	v_lshrrev_b32_e32 v113, 19, v113
	v_cmp_lt_u16_e64 s12, v114, v113
	v_cndmask_b32_e64 v113, v98, v99, s12
	v_cndmask_b32_e64 v99, v99, v98, s12
	v_mov_b32_e32 v98, v113
	s_or_b32 exec_lo, exec_lo, s13
	v_cmp_lt_u32_e64 s12, 5, v112
	s_and_saveexec_b32 s57, s12
	s_cbranch_execnz .LBB240_754
.LBB240_773:
	s_or_b32 exec_lo, exec_lo, s57
	v_cmp_lt_u32_e64 s13, 7, v112
	s_and_saveexec_b32 s58, s13
	s_cbranch_execz .LBB240_755
.LBB240_774:
	v_mov_b32_e32 v113, 0xcccd
	v_mul_u32_u24_sdwa v114, v85, v113 dst_sel:DWORD dst_unused:UNUSED_PAD src0_sel:WORD_0 src1_sel:DWORD
	v_mul_u32_u24_sdwa v113, v86, v113 dst_sel:DWORD dst_unused:UNUSED_PAD src0_sel:WORD_0 src1_sel:DWORD
	v_lshrrev_b32_e32 v114, 19, v114
	v_lshrrev_b32_e32 v113, 19, v113
	v_cmp_lt_u16_e64 s57, v114, v113
	v_cndmask_b32_e64 v113, v85, v86, s57
	v_cndmask_b32_e64 v86, v86, v85, s57
	v_mov_b32_e32 v85, v113
	s_or_b32 exec_lo, exec_lo, s58
	v_cmp_lt_u32_e64 s57, 9, v112
	s_and_saveexec_b32 s59, s57
	s_cbranch_execnz .LBB240_756
.LBB240_775:
	s_or_b32 exec_lo, exec_lo, s59
	v_cmp_lt_u32_e64 s58, 11, v112
	s_and_saveexec_b32 s60, s58
	s_cbranch_execz .LBB240_757
.LBB240_776:
	v_mov_b32_e32 v113, 0xcccd
	v_mul_u32_u24_sdwa v114, v81, v113 dst_sel:DWORD dst_unused:UNUSED_PAD src0_sel:WORD_0 src1_sel:DWORD
	v_mul_u32_u24_sdwa v113, v82, v113 dst_sel:DWORD dst_unused:UNUSED_PAD src0_sel:WORD_0 src1_sel:DWORD
	v_lshrrev_b32_e32 v114, 19, v114
	v_lshrrev_b32_e32 v113, 19, v113
	v_cmp_lt_u16_e64 s59, v114, v113
	v_cndmask_b32_e64 v113, v81, v82, s59
	v_cndmask_b32_e64 v82, v82, v81, s59
	v_mov_b32_e32 v81, v113
	s_or_b32 exec_lo, exec_lo, s60
	v_cmp_lt_u32_e64 s59, 13, v112
	s_and_saveexec_b32 s61, s59
	s_cbranch_execnz .LBB240_758
.LBB240_777:
	s_or_b32 exec_lo, exec_lo, s61
	v_cmp_lt_u32_e64 s60, 15, v112
	s_and_saveexec_b32 s62, s60
	s_cbranch_execz .LBB240_759
.LBB240_778:
	v_mov_b32_e32 v113, 0xcccd
	v_mul_u32_u24_sdwa v114, v69, v113 dst_sel:DWORD dst_unused:UNUSED_PAD src0_sel:WORD_0 src1_sel:DWORD
	v_mul_u32_u24_sdwa v113, v70, v113 dst_sel:DWORD dst_unused:UNUSED_PAD src0_sel:WORD_0 src1_sel:DWORD
	v_lshrrev_b32_e32 v114, 19, v114
	v_lshrrev_b32_e32 v113, 19, v113
	v_cmp_lt_u16_e64 s61, v114, v113
	v_cndmask_b32_e64 v113, v69, v70, s61
	v_cndmask_b32_e64 v70, v70, v69, s61
	v_mov_b32_e32 v69, v113
	s_or_b32 exec_lo, exec_lo, s62
	v_cmp_lt_u32_e64 s61, 17, v112
	s_and_saveexec_b32 s63, s61
	s_cbranch_execnz .LBB240_760
.LBB240_779:
	s_or_b32 exec_lo, exec_lo, s63
	v_cmp_lt_u32_e64 s62, 19, v112
	s_and_saveexec_b32 s72, s62
	s_cbranch_execz .LBB240_761
.LBB240_780:
	v_mov_b32_e32 v113, 0xcccd
	v_mul_u32_u24_sdwa v114, v65, v113 dst_sel:DWORD dst_unused:UNUSED_PAD src0_sel:WORD_0 src1_sel:DWORD
	v_mul_u32_u24_sdwa v113, v66, v113 dst_sel:DWORD dst_unused:UNUSED_PAD src0_sel:WORD_0 src1_sel:DWORD
	v_lshrrev_b32_e32 v114, 19, v114
	v_lshrrev_b32_e32 v113, 19, v113
	v_cmp_lt_u16_e64 s63, v114, v113
	v_cndmask_b32_e64 v113, v65, v66, s63
	v_cndmask_b32_e64 v66, v66, v65, s63
	v_mov_b32_e32 v65, v113
	s_or_b32 exec_lo, exec_lo, s72
	v_cmp_lt_u32_e64 s63, 21, v112
	s_and_saveexec_b32 s73, s63
	s_cbranch_execnz .LBB240_762
.LBB240_781:
	s_or_b32 exec_lo, exec_lo, s73
	v_cmp_lt_u32_e64 s72, 23, v112
	s_and_saveexec_b32 s74, s72
	s_cbranch_execz .LBB240_763
.LBB240_782:
	v_mov_b32_e32 v113, 0xcccd
	v_mul_u32_u24_sdwa v114, v52, v113 dst_sel:DWORD dst_unused:UNUSED_PAD src0_sel:WORD_0 src1_sel:DWORD
	v_mul_u32_u24_sdwa v113, v53, v113 dst_sel:DWORD dst_unused:UNUSED_PAD src0_sel:WORD_0 src1_sel:DWORD
	v_lshrrev_b32_e32 v114, 19, v114
	v_lshrrev_b32_e32 v113, 19, v113
	v_cmp_lt_u16_e64 s73, v114, v113
	v_cndmask_b32_e64 v113, v52, v53, s73
	v_cndmask_b32_e64 v53, v53, v52, s73
	v_mov_b32_e32 v52, v113
	s_or_b32 exec_lo, exec_lo, s74
	v_cmp_lt_u32_e64 s73, 25, v112
	s_and_saveexec_b32 s75, s73
	s_cbranch_execnz .LBB240_764
.LBB240_783:
	s_or_b32 exec_lo, exec_lo, s75
	v_cmp_lt_u32_e64 s74, 27, v112
	s_and_saveexec_b32 s76, s74
	s_cbranch_execz .LBB240_765
.LBB240_784:
	v_mov_b32_e32 v113, 0xcccd
	v_mul_u32_u24_sdwa v114, v49, v113 dst_sel:DWORD dst_unused:UNUSED_PAD src0_sel:WORD_0 src1_sel:DWORD
	v_mul_u32_u24_sdwa v113, v50, v113 dst_sel:DWORD dst_unused:UNUSED_PAD src0_sel:WORD_0 src1_sel:DWORD
	v_lshrrev_b32_e32 v114, 19, v114
	v_lshrrev_b32_e32 v113, 19, v113
	v_cmp_lt_u16_e64 s75, v114, v113
	v_cndmask_b32_e64 v113, v50, v49, s75
	v_cndmask_b32_e64 v49, v49, v50, s75
	v_mov_b32_e32 v50, v113
	s_or_b32 exec_lo, exec_lo, s76
	v_cmp_lt_u32_e64 s75, 29, v112
	s_and_saveexec_b32 s77, s75
	s_cbranch_execnz .LBB240_766
.LBB240_785:
	s_or_b32 exec_lo, exec_lo, s77
	v_cmp_lt_u32_e64 s76, 31, v112
	s_and_saveexec_b32 s78, s76
	s_cbranch_execz .LBB240_787
.LBB240_786:
	v_mov_b32_e32 v113, 0xcccd
	v_mul_u32_u24_sdwa v114, v38, v113 dst_sel:DWORD dst_unused:UNUSED_PAD src0_sel:WORD_0 src1_sel:DWORD
	v_mul_u32_u24_sdwa v113, v101, v113 dst_sel:DWORD dst_unused:UNUSED_PAD src0_sel:WORD_0 src1_sel:DWORD
	v_lshrrev_b32_e32 v114, 19, v114
	v_lshrrev_b32_e32 v113, 19, v113
	v_cmp_lt_u16_e64 s77, v114, v113
	v_cndmask_b32_e64 v113, v101, v38, s77
	v_cndmask_b32_e64 v38, v38, v101, s77
	v_mov_b32_e32 v101, v113
.LBB240_787:
	s_or_b32 exec_lo, exec_lo, s78
	v_cmp_lt_u32_e64 s77, 2, v112
	s_and_saveexec_b32 s78, s77
	s_xor_b32 s79, exec_lo, s78
	s_cbranch_execz .LBB240_1267
; %bb.788:
	v_mov_b32_e32 v113, 0xcccd
	v_mul_u32_u24_sdwa v114, v99, v113 dst_sel:DWORD dst_unused:UNUSED_PAD src0_sel:WORD_0 src1_sel:DWORD
	v_mul_u32_u24_sdwa v113, v100, v113 dst_sel:DWORD dst_unused:UNUSED_PAD src0_sel:WORD_0 src1_sel:DWORD
	v_lshrrev_b32_e32 v114, 19, v114
	v_lshrrev_b32_e32 v113, 19, v113
	v_cmp_lt_u16_e64 s78, v114, v113
	v_cndmask_b32_e64 v113, v99, v100, s78
	v_cndmask_b32_e64 v100, v100, v99, s78
	v_mov_b32_e32 v99, v113
	s_or_b32 exec_lo, exec_lo, s79
	v_cmp_lt_u32_e64 s78, 4, v112
	s_and_saveexec_b32 s88, s78
	s_cbranch_execnz .LBB240_1268
.LBB240_789:
	s_or_b32 exec_lo, exec_lo, s88
	v_cmp_lt_u32_e64 s79, 6, v112
	s_and_saveexec_b32 s89, s79
	s_cbranch_execz .LBB240_1269
.LBB240_790:
	v_mov_b32_e32 v113, 0xcccd
	v_mul_u32_u24_sdwa v114, v86, v113 dst_sel:DWORD dst_unused:UNUSED_PAD src0_sel:WORD_0 src1_sel:DWORD
	v_mul_u32_u24_sdwa v113, v87, v113 dst_sel:DWORD dst_unused:UNUSED_PAD src0_sel:WORD_0 src1_sel:DWORD
	v_lshrrev_b32_e32 v114, 19, v114
	v_lshrrev_b32_e32 v113, 19, v113
	v_cmp_lt_u16_e64 s88, v114, v113
	v_cndmask_b32_e64 v113, v86, v87, s88
	v_cndmask_b32_e64 v87, v87, v86, s88
	v_mov_b32_e32 v86, v113
	s_or_b32 exec_lo, exec_lo, s89
	v_cmp_lt_u32_e64 s88, 8, v112
	s_and_saveexec_b32 s90, s88
	s_cbranch_execnz .LBB240_1270
.LBB240_791:
	s_or_b32 exec_lo, exec_lo, s90
	v_cmp_lt_u32_e64 s89, 10, v112
	s_and_saveexec_b32 s91, s89
	s_cbranch_execz .LBB240_1271
.LBB240_792:
	v_mov_b32_e32 v113, 0xcccd
	v_mul_u32_u24_sdwa v114, v82, v113 dst_sel:DWORD dst_unused:UNUSED_PAD src0_sel:WORD_0 src1_sel:DWORD
	v_mul_u32_u24_sdwa v113, v83, v113 dst_sel:DWORD dst_unused:UNUSED_PAD src0_sel:WORD_0 src1_sel:DWORD
	v_lshrrev_b32_e32 v114, 19, v114
	v_lshrrev_b32_e32 v113, 19, v113
	v_cmp_lt_u16_e64 s90, v114, v113
	v_cndmask_b32_e64 v113, v82, v83, s90
	v_cndmask_b32_e64 v83, v83, v82, s90
	v_mov_b32_e32 v82, v113
	s_or_b32 exec_lo, exec_lo, s91
	v_cmp_lt_u32_e64 s90, 12, v112
	s_and_saveexec_b32 s92, s90
	s_cbranch_execnz .LBB240_1272
.LBB240_793:
	s_or_b32 exec_lo, exec_lo, s92
	v_cmp_lt_u32_e64 s91, 14, v112
	s_and_saveexec_b32 s93, s91
	s_cbranch_execz .LBB240_1273
.LBB240_794:
	v_mov_b32_e32 v113, 0xcccd
	v_mul_u32_u24_sdwa v114, v70, v113 dst_sel:DWORD dst_unused:UNUSED_PAD src0_sel:WORD_0 src1_sel:DWORD
	v_mul_u32_u24_sdwa v113, v71, v113 dst_sel:DWORD dst_unused:UNUSED_PAD src0_sel:WORD_0 src1_sel:DWORD
	v_lshrrev_b32_e32 v114, 19, v114
	v_lshrrev_b32_e32 v113, 19, v113
	v_cmp_lt_u16_e64 s92, v114, v113
	v_cndmask_b32_e64 v113, v70, v71, s92
	v_cndmask_b32_e64 v71, v71, v70, s92
	v_mov_b32_e32 v70, v113
	s_or_b32 exec_lo, exec_lo, s93
	v_cmp_lt_u32_e64 s92, 16, v112
	s_and_saveexec_b32 s94, s92
	s_cbranch_execnz .LBB240_1274
.LBB240_795:
	s_or_b32 exec_lo, exec_lo, s94
	v_cmp_lt_u32_e64 s93, 18, v112
	s_and_saveexec_b32 s95, s93
	s_cbranch_execz .LBB240_1275
.LBB240_796:
	v_mov_b32_e32 v113, 0xcccd
	v_mul_u32_u24_sdwa v114, v66, v113 dst_sel:DWORD dst_unused:UNUSED_PAD src0_sel:WORD_0 src1_sel:DWORD
	v_mul_u32_u24_sdwa v113, v67, v113 dst_sel:DWORD dst_unused:UNUSED_PAD src0_sel:WORD_0 src1_sel:DWORD
	v_lshrrev_b32_e32 v114, 19, v114
	v_lshrrev_b32_e32 v113, 19, v113
	v_cmp_lt_u16_e64 s94, v114, v113
	v_cndmask_b32_e64 v113, v66, v67, s94
	v_cndmask_b32_e64 v67, v67, v66, s94
	v_mov_b32_e32 v66, v113
	s_or_b32 exec_lo, exec_lo, s95
	v_cmp_lt_u32_e64 s94, 20, v112
	s_and_saveexec_b32 vcc_hi, s94
	s_cbranch_execnz .LBB240_1276
.LBB240_797:
	s_or_b32 exec_lo, exec_lo, vcc_hi
	v_cmp_lt_u32_e64 s95, 22, v112
	s_and_saveexec_b32 s30, s95
	s_cbranch_execz .LBB240_1277
.LBB240_798:
	v_mov_b32_e32 v113, 0xcccd
	v_mul_u32_u24_sdwa v114, v53, v113 dst_sel:DWORD dst_unused:UNUSED_PAD src0_sel:WORD_0 src1_sel:DWORD
	v_mul_u32_u24_sdwa v113, v55, v113 dst_sel:DWORD dst_unused:UNUSED_PAD src0_sel:WORD_0 src1_sel:DWORD
	v_lshrrev_b32_e32 v114, 19, v114
	v_lshrrev_b32_e32 v113, 19, v113
	v_cmp_lt_u16_e64 vcc_hi, v114, v113
	v_cndmask_b32_e64 v113, v53, v55, vcc_hi
	v_cndmask_b32_e64 v55, v55, v53, vcc_hi
	v_mov_b32_e32 v53, v113
	s_or_b32 exec_lo, exec_lo, s30
	v_cmp_lt_u32_e64 vcc_hi, 24, v112
	s_and_saveexec_b32 s31, vcc_hi
	s_cbranch_execnz .LBB240_1278
.LBB240_799:
	s_or_b32 exec_lo, exec_lo, s31
	v_cmp_lt_u32_e64 s30, 26, v112
	s_and_saveexec_b32 s34, s30
	s_cbranch_execz .LBB240_1279
.LBB240_800:
	v_mov_b32_e32 v113, 0xcccd
	v_mul_u32_u24_sdwa v114, v50, v113 dst_sel:DWORD dst_unused:UNUSED_PAD src0_sel:WORD_0 src1_sel:DWORD
	v_mul_u32_u24_sdwa v113, v54, v113 dst_sel:DWORD dst_unused:UNUSED_PAD src0_sel:WORD_0 src1_sel:DWORD
	v_lshrrev_b32_e32 v114, 19, v114
	v_lshrrev_b32_e32 v113, 19, v113
	v_cmp_lt_u16_e64 s31, v114, v113
	v_cndmask_b32_e64 v113, v54, v50, s31
	v_cndmask_b32_e64 v50, v50, v54, s31
	v_mov_b32_e32 v54, v113
	s_or_b32 exec_lo, exec_lo, s34
	v_cmp_lt_u32_e64 s31, 28, v112
	s_and_saveexec_b32 s35, s31
	s_cbranch_execnz .LBB240_1280
.LBB240_801:
	s_or_b32 exec_lo, exec_lo, s35
	v_cmp_lt_u32_e64 s34, 30, v112
	s_and_saveexec_b32 s38, s34
	s_cbranch_execz .LBB240_1281
.LBB240_802:
	v_mov_b32_e32 v112, 0xcccd
	v_mul_u32_u24_sdwa v113, v101, v112 dst_sel:DWORD dst_unused:UNUSED_PAD src0_sel:WORD_0 src1_sel:DWORD
	v_mul_u32_u24_sdwa v112, v39, v112 dst_sel:DWORD dst_unused:UNUSED_PAD src0_sel:WORD_0 src1_sel:DWORD
	v_lshrrev_b32_e32 v113, 19, v113
	v_lshrrev_b32_e32 v112, 19, v112
	v_cmp_lt_u16_e64 s35, v113, v112
	v_cndmask_b32_e64 v112, v39, v101, s35
	v_cndmask_b32_e64 v101, v101, v39, s35
	v_mov_b32_e32 v39, v112
	s_or_b32 exec_lo, exec_lo, s38
	s_and_saveexec_b32 s38, s8
	s_cbranch_execnz .LBB240_1282
.LBB240_803:
	s_or_b32 exec_lo, exec_lo, s38
	s_and_saveexec_b32 s38, s9
	s_cbranch_execz .LBB240_1283
.LBB240_804:
	v_mov_b32_e32 v112, 0xcccd
	v_mul_u32_u24_sdwa v113, v98, v112 dst_sel:DWORD dst_unused:UNUSED_PAD src0_sel:WORD_0 src1_sel:DWORD
	v_mul_u32_u24_sdwa v112, v99, v112 dst_sel:DWORD dst_unused:UNUSED_PAD src0_sel:WORD_0 src1_sel:DWORD
	v_lshrrev_b32_e32 v113, 19, v113
	v_lshrrev_b32_e32 v112, 19, v112
	v_cmp_lt_u16_e64 s35, v113, v112
	v_cndmask_b32_e64 v112, v98, v99, s35
	v_cndmask_b32_e64 v99, v99, v98, s35
	v_mov_b32_e32 v98, v112
	s_or_b32 exec_lo, exec_lo, s38
	s_and_saveexec_b32 s38, s12
	s_cbranch_execnz .LBB240_1284
.LBB240_805:
	s_or_b32 exec_lo, exec_lo, s38
	s_and_saveexec_b32 s38, s13
	s_cbranch_execz .LBB240_1285
.LBB240_806:
	v_mov_b32_e32 v112, 0xcccd
	v_mul_u32_u24_sdwa v113, v85, v112 dst_sel:DWORD dst_unused:UNUSED_PAD src0_sel:WORD_0 src1_sel:DWORD
	v_mul_u32_u24_sdwa v112, v86, v112 dst_sel:DWORD dst_unused:UNUSED_PAD src0_sel:WORD_0 src1_sel:DWORD
	v_lshrrev_b32_e32 v113, 19, v113
	v_lshrrev_b32_e32 v112, 19, v112
	v_cmp_lt_u16_e64 s35, v113, v112
	v_cndmask_b32_e64 v112, v85, v86, s35
	v_cndmask_b32_e64 v86, v86, v85, s35
	v_mov_b32_e32 v85, v112
	s_or_b32 exec_lo, exec_lo, s38
	s_and_saveexec_b32 s38, s57
	s_cbranch_execnz .LBB240_1286
.LBB240_807:
	s_or_b32 exec_lo, exec_lo, s38
	s_and_saveexec_b32 s38, s58
	s_cbranch_execz .LBB240_1287
.LBB240_808:
	v_mov_b32_e32 v112, 0xcccd
	v_mul_u32_u24_sdwa v113, v81, v112 dst_sel:DWORD dst_unused:UNUSED_PAD src0_sel:WORD_0 src1_sel:DWORD
	v_mul_u32_u24_sdwa v112, v82, v112 dst_sel:DWORD dst_unused:UNUSED_PAD src0_sel:WORD_0 src1_sel:DWORD
	v_lshrrev_b32_e32 v113, 19, v113
	v_lshrrev_b32_e32 v112, 19, v112
	v_cmp_lt_u16_e64 s35, v113, v112
	v_cndmask_b32_e64 v112, v81, v82, s35
	v_cndmask_b32_e64 v82, v82, v81, s35
	v_mov_b32_e32 v81, v112
	s_or_b32 exec_lo, exec_lo, s38
	s_and_saveexec_b32 s38, s59
	s_cbranch_execnz .LBB240_1288
.LBB240_809:
	s_or_b32 exec_lo, exec_lo, s38
	s_and_saveexec_b32 s38, s60
	s_cbranch_execz .LBB240_1289
.LBB240_810:
	v_mov_b32_e32 v112, 0xcccd
	v_mul_u32_u24_sdwa v113, v69, v112 dst_sel:DWORD dst_unused:UNUSED_PAD src0_sel:WORD_0 src1_sel:DWORD
	v_mul_u32_u24_sdwa v112, v70, v112 dst_sel:DWORD dst_unused:UNUSED_PAD src0_sel:WORD_0 src1_sel:DWORD
	v_lshrrev_b32_e32 v113, 19, v113
	v_lshrrev_b32_e32 v112, 19, v112
	v_cmp_lt_u16_e64 s35, v113, v112
	v_cndmask_b32_e64 v112, v69, v70, s35
	v_cndmask_b32_e64 v70, v70, v69, s35
	v_mov_b32_e32 v69, v112
	s_or_b32 exec_lo, exec_lo, s38
	s_and_saveexec_b32 s38, s61
	s_cbranch_execnz .LBB240_1290
.LBB240_811:
	s_or_b32 exec_lo, exec_lo, s38
	s_and_saveexec_b32 s38, s62
	s_cbranch_execz .LBB240_1291
.LBB240_812:
	v_mov_b32_e32 v112, 0xcccd
	v_mul_u32_u24_sdwa v113, v65, v112 dst_sel:DWORD dst_unused:UNUSED_PAD src0_sel:WORD_0 src1_sel:DWORD
	v_mul_u32_u24_sdwa v112, v66, v112 dst_sel:DWORD dst_unused:UNUSED_PAD src0_sel:WORD_0 src1_sel:DWORD
	v_lshrrev_b32_e32 v113, 19, v113
	v_lshrrev_b32_e32 v112, 19, v112
	v_cmp_lt_u16_e64 s35, v113, v112
	v_cndmask_b32_e64 v112, v65, v66, s35
	v_cndmask_b32_e64 v66, v66, v65, s35
	v_mov_b32_e32 v65, v112
	s_or_b32 exec_lo, exec_lo, s38
	s_and_saveexec_b32 s38, s63
	s_cbranch_execnz .LBB240_1292
.LBB240_813:
	s_or_b32 exec_lo, exec_lo, s38
	s_and_saveexec_b32 s38, s72
	s_cbranch_execz .LBB240_1293
.LBB240_814:
	v_mov_b32_e32 v112, 0xcccd
	v_mul_u32_u24_sdwa v113, v52, v112 dst_sel:DWORD dst_unused:UNUSED_PAD src0_sel:WORD_0 src1_sel:DWORD
	v_mul_u32_u24_sdwa v112, v53, v112 dst_sel:DWORD dst_unused:UNUSED_PAD src0_sel:WORD_0 src1_sel:DWORD
	v_lshrrev_b32_e32 v113, 19, v113
	v_lshrrev_b32_e32 v112, 19, v112
	v_cmp_lt_u16_e64 s35, v113, v112
	v_cndmask_b32_e64 v112, v52, v53, s35
	v_cndmask_b32_e64 v53, v53, v52, s35
	v_mov_b32_e32 v52, v112
	s_or_b32 exec_lo, exec_lo, s38
	s_and_saveexec_b32 s38, s73
	s_cbranch_execnz .LBB240_1294
.LBB240_815:
	s_or_b32 exec_lo, exec_lo, s38
	s_and_saveexec_b32 s38, s74
	s_cbranch_execz .LBB240_1295
.LBB240_816:
	v_mov_b32_e32 v112, 0xcccd
	v_mul_u32_u24_sdwa v113, v49, v112 dst_sel:DWORD dst_unused:UNUSED_PAD src0_sel:WORD_0 src1_sel:DWORD
	v_mul_u32_u24_sdwa v112, v50, v112 dst_sel:DWORD dst_unused:UNUSED_PAD src0_sel:WORD_0 src1_sel:DWORD
	v_lshrrev_b32_e32 v113, 19, v113
	v_lshrrev_b32_e32 v112, 19, v112
	v_cmp_lt_u16_e64 s35, v113, v112
	v_cndmask_b32_e64 v112, v50, v49, s35
	v_cndmask_b32_e64 v49, v49, v50, s35
	v_mov_b32_e32 v50, v112
	s_or_b32 exec_lo, exec_lo, s38
	s_and_saveexec_b32 s38, s75
	s_cbranch_execnz .LBB240_1296
.LBB240_817:
	s_or_b32 exec_lo, exec_lo, s38
	s_and_saveexec_b32 s38, s76
	s_cbranch_execz .LBB240_1297
.LBB240_818:
	v_mov_b32_e32 v112, 0xcccd
	v_mul_u32_u24_sdwa v113, v38, v112 dst_sel:DWORD dst_unused:UNUSED_PAD src0_sel:WORD_0 src1_sel:DWORD
	v_mul_u32_u24_sdwa v112, v101, v112 dst_sel:DWORD dst_unused:UNUSED_PAD src0_sel:WORD_0 src1_sel:DWORD
	v_lshrrev_b32_e32 v113, 19, v113
	v_lshrrev_b32_e32 v112, 19, v112
	v_cmp_lt_u16_e64 s35, v113, v112
	v_cndmask_b32_e64 v112, v101, v38, s35
	v_cndmask_b32_e64 v38, v38, v101, s35
	v_mov_b32_e32 v101, v112
	s_or_b32 exec_lo, exec_lo, s38
	s_and_saveexec_b32 s38, s77
	s_cbranch_execnz .LBB240_1298
.LBB240_819:
	s_or_b32 exec_lo, exec_lo, s38
	s_and_saveexec_b32 s38, s78
	s_cbranch_execz .LBB240_1299
.LBB240_820:
	v_mov_b32_e32 v112, 0xcccd
	v_mul_u32_u24_sdwa v113, v96, v112 dst_sel:DWORD dst_unused:UNUSED_PAD src0_sel:WORD_0 src1_sel:DWORD
	v_mul_u32_u24_sdwa v112, v98, v112 dst_sel:DWORD dst_unused:UNUSED_PAD src0_sel:WORD_0 src1_sel:DWORD
	v_lshrrev_b32_e32 v113, 19, v113
	v_lshrrev_b32_e32 v112, 19, v112
	v_cmp_lt_u16_e64 s35, v113, v112
	v_cndmask_b32_e64 v112, v96, v98, s35
	v_cndmask_b32_e64 v98, v98, v96, s35
	v_mov_b32_e32 v96, v112
	s_or_b32 exec_lo, exec_lo, s38
	s_and_saveexec_b32 s38, s79
	s_cbranch_execnz .LBB240_1300
.LBB240_821:
	s_or_b32 exec_lo, exec_lo, s38
	s_and_saveexec_b32 s38, s88
	s_cbranch_execz .LBB240_1301
.LBB240_822:
	v_mov_b32_e32 v112, 0xcccd
	v_mul_u32_u24_sdwa v113, v84, v112 dst_sel:DWORD dst_unused:UNUSED_PAD src0_sel:WORD_0 src1_sel:DWORD
	v_mul_u32_u24_sdwa v112, v85, v112 dst_sel:DWORD dst_unused:UNUSED_PAD src0_sel:WORD_0 src1_sel:DWORD
	v_lshrrev_b32_e32 v113, 19, v113
	v_lshrrev_b32_e32 v112, 19, v112
	v_cmp_lt_u16_e64 s35, v113, v112
	v_cndmask_b32_e64 v112, v84, v85, s35
	v_cndmask_b32_e64 v85, v85, v84, s35
	v_mov_b32_e32 v84, v112
	s_or_b32 exec_lo, exec_lo, s38
	s_and_saveexec_b32 s38, s89
	s_cbranch_execnz .LBB240_1302
.LBB240_823:
	s_or_b32 exec_lo, exec_lo, s38
	s_and_saveexec_b32 s38, s90
	s_cbranch_execz .LBB240_1303
.LBB240_824:
	v_mov_b32_e32 v112, 0xcccd
	v_mul_u32_u24_sdwa v113, v80, v112 dst_sel:DWORD dst_unused:UNUSED_PAD src0_sel:WORD_0 src1_sel:DWORD
	v_mul_u32_u24_sdwa v112, v81, v112 dst_sel:DWORD dst_unused:UNUSED_PAD src0_sel:WORD_0 src1_sel:DWORD
	v_lshrrev_b32_e32 v113, 19, v113
	v_lshrrev_b32_e32 v112, 19, v112
	v_cmp_lt_u16_e64 s35, v113, v112
	v_cndmask_b32_e64 v112, v80, v81, s35
	v_cndmask_b32_e64 v81, v81, v80, s35
	v_mov_b32_e32 v80, v112
	s_or_b32 exec_lo, exec_lo, s38
	s_and_saveexec_b32 s38, s91
	s_cbranch_execnz .LBB240_1304
.LBB240_825:
	s_or_b32 exec_lo, exec_lo, s38
	s_and_saveexec_b32 s38, s92
	s_cbranch_execz .LBB240_1305
.LBB240_826:
	v_mov_b32_e32 v112, 0xcccd
	v_mul_u32_u24_sdwa v113, v68, v112 dst_sel:DWORD dst_unused:UNUSED_PAD src0_sel:WORD_0 src1_sel:DWORD
	v_mul_u32_u24_sdwa v112, v69, v112 dst_sel:DWORD dst_unused:UNUSED_PAD src0_sel:WORD_0 src1_sel:DWORD
	v_lshrrev_b32_e32 v113, 19, v113
	v_lshrrev_b32_e32 v112, 19, v112
	v_cmp_lt_u16_e64 s35, v113, v112
	v_cndmask_b32_e64 v112, v68, v69, s35
	v_cndmask_b32_e64 v69, v69, v68, s35
	v_mov_b32_e32 v68, v112
	s_or_b32 exec_lo, exec_lo, s38
	s_and_saveexec_b32 s38, s93
	s_cbranch_execnz .LBB240_1306
.LBB240_827:
	s_or_b32 exec_lo, exec_lo, s38
	s_and_saveexec_b32 s38, s94
	s_cbranch_execz .LBB240_1307
.LBB240_828:
	v_mov_b32_e32 v112, 0xcccd
	v_mul_u32_u24_sdwa v113, v64, v112 dst_sel:DWORD dst_unused:UNUSED_PAD src0_sel:WORD_0 src1_sel:DWORD
	v_mul_u32_u24_sdwa v112, v65, v112 dst_sel:DWORD dst_unused:UNUSED_PAD src0_sel:WORD_0 src1_sel:DWORD
	v_lshrrev_b32_e32 v113, 19, v113
	v_lshrrev_b32_e32 v112, 19, v112
	v_cmp_lt_u16_e64 s35, v113, v112
	v_cndmask_b32_e64 v112, v64, v65, s35
	v_cndmask_b32_e64 v65, v65, v64, s35
	v_mov_b32_e32 v64, v112
	s_or_b32 exec_lo, exec_lo, s38
	s_and_saveexec_b32 s38, s95
	s_cbranch_execnz .LBB240_1308
.LBB240_829:
	s_or_b32 exec_lo, exec_lo, s38
	s_and_saveexec_b32 s38, vcc_hi
	s_cbranch_execz .LBB240_1309
.LBB240_830:
	v_mov_b32_e32 v112, 0xcccd
	v_mul_u32_u24_sdwa v113, v51, v112 dst_sel:DWORD dst_unused:UNUSED_PAD src0_sel:WORD_0 src1_sel:DWORD
	v_mul_u32_u24_sdwa v112, v52, v112 dst_sel:DWORD dst_unused:UNUSED_PAD src0_sel:WORD_0 src1_sel:DWORD
	v_lshrrev_b32_e32 v113, 19, v113
	v_lshrrev_b32_e32 v112, 19, v112
	v_cmp_lt_u16_e64 s35, v113, v112
	v_cndmask_b32_e64 v112, v51, v52, s35
	v_cndmask_b32_e64 v52, v52, v51, s35
	v_mov_b32_e32 v51, v112
	s_or_b32 exec_lo, exec_lo, s38
	s_and_saveexec_b32 s38, s30
	s_cbranch_execnz .LBB240_1310
.LBB240_831:
	s_or_b32 exec_lo, exec_lo, s38
	s_and_saveexec_b32 s38, s31
	s_cbranch_execz .LBB240_1311
.LBB240_832:
	v_mov_b32_e32 v112, 0xcccd
	v_mul_u32_u24_sdwa v113, v48, v112 dst_sel:DWORD dst_unused:UNUSED_PAD src0_sel:WORD_0 src1_sel:DWORD
	v_mul_u32_u24_sdwa v112, v49, v112 dst_sel:DWORD dst_unused:UNUSED_PAD src0_sel:WORD_0 src1_sel:DWORD
	v_lshrrev_b32_e32 v113, 19, v113
	v_lshrrev_b32_e32 v112, 19, v112
	v_cmp_lt_u16_e64 s35, v113, v112
	v_cndmask_b32_e64 v112, v49, v48, s35
	v_cndmask_b32_e64 v48, v48, v49, s35
	v_mov_b32_e32 v49, v112
	s_or_b32 exec_lo, exec_lo, s38
	s_and_saveexec_b32 s38, s34
	s_cbranch_execnz .LBB240_1312
.LBB240_833:
	s_or_b32 exec_lo, exec_lo, s38
	s_and_saveexec_b32 s38, s8
	s_cbranch_execz .LBB240_1313
.LBB240_834:
	v_mov_b32_e32 v112, 0xcccd
	v_mul_u32_u24_sdwa v113, v100, v112 dst_sel:DWORD dst_unused:UNUSED_PAD src0_sel:WORD_0 src1_sel:DWORD
	v_mul_u32_u24_sdwa v112, v97, v112 dst_sel:DWORD dst_unused:UNUSED_PAD src0_sel:WORD_0 src1_sel:DWORD
	v_lshrrev_b32_e32 v113, 19, v113
	v_lshrrev_b32_e32 v112, 19, v112
	v_cmp_lt_u16_e64 s35, v113, v112
	v_cndmask_b32_e64 v112, v100, v97, s35
	v_cndmask_b32_e64 v97, v97, v100, s35
	v_mov_b32_e32 v100, v112
	s_or_b32 exec_lo, exec_lo, s38
	s_and_saveexec_b32 s38, s9
	s_cbranch_execnz .LBB240_1314
.LBB240_835:
	s_or_b32 exec_lo, exec_lo, s38
	s_and_saveexec_b32 s38, s12
	s_cbranch_execz .LBB240_1315
.LBB240_836:
	v_mov_b32_e32 v112, 0xcccd
	v_mul_u32_u24_sdwa v113, v87, v112 dst_sel:DWORD dst_unused:UNUSED_PAD src0_sel:WORD_0 src1_sel:DWORD
	v_mul_u32_u24_sdwa v112, v96, v112 dst_sel:DWORD dst_unused:UNUSED_PAD src0_sel:WORD_0 src1_sel:DWORD
	v_lshrrev_b32_e32 v113, 19, v113
	v_lshrrev_b32_e32 v112, 19, v112
	v_cmp_lt_u16_e64 s35, v113, v112
	v_cndmask_b32_e64 v112, v87, v96, s35
	v_cndmask_b32_e64 v96, v96, v87, s35
	v_mov_b32_e32 v87, v112
	s_or_b32 exec_lo, exec_lo, s38
	s_and_saveexec_b32 s38, s13
	s_cbranch_execnz .LBB240_1316
.LBB240_837:
	s_or_b32 exec_lo, exec_lo, s38
	s_and_saveexec_b32 s38, s57
	s_cbranch_execz .LBB240_1317
.LBB240_838:
	v_mov_b32_e32 v112, 0xcccd
	v_mul_u32_u24_sdwa v113, v83, v112 dst_sel:DWORD dst_unused:UNUSED_PAD src0_sel:WORD_0 src1_sel:DWORD
	v_mul_u32_u24_sdwa v112, v84, v112 dst_sel:DWORD dst_unused:UNUSED_PAD src0_sel:WORD_0 src1_sel:DWORD
	v_lshrrev_b32_e32 v113, 19, v113
	v_lshrrev_b32_e32 v112, 19, v112
	v_cmp_lt_u16_e64 s35, v113, v112
	v_cndmask_b32_e64 v112, v83, v84, s35
	v_cndmask_b32_e64 v84, v84, v83, s35
	v_mov_b32_e32 v83, v112
	s_or_b32 exec_lo, exec_lo, s38
	s_and_saveexec_b32 s38, s58
	s_cbranch_execnz .LBB240_1318
.LBB240_839:
	s_or_b32 exec_lo, exec_lo, s38
	s_and_saveexec_b32 s38, s59
	s_cbranch_execz .LBB240_1319
.LBB240_840:
	v_mov_b32_e32 v112, 0xcccd
	v_mul_u32_u24_sdwa v113, v71, v112 dst_sel:DWORD dst_unused:UNUSED_PAD src0_sel:WORD_0 src1_sel:DWORD
	v_mul_u32_u24_sdwa v112, v80, v112 dst_sel:DWORD dst_unused:UNUSED_PAD src0_sel:WORD_0 src1_sel:DWORD
	v_lshrrev_b32_e32 v113, 19, v113
	v_lshrrev_b32_e32 v112, 19, v112
	v_cmp_lt_u16_e64 s35, v113, v112
	v_cndmask_b32_e64 v112, v71, v80, s35
	v_cndmask_b32_e64 v80, v80, v71, s35
	v_mov_b32_e32 v71, v112
	s_or_b32 exec_lo, exec_lo, s38
	s_and_saveexec_b32 s38, s60
	s_cbranch_execnz .LBB240_1320
.LBB240_841:
	s_or_b32 exec_lo, exec_lo, s38
	s_and_saveexec_b32 s38, s61
	s_cbranch_execz .LBB240_1321
.LBB240_842:
	v_mov_b32_e32 v112, 0xcccd
	v_mul_u32_u24_sdwa v113, v67, v112 dst_sel:DWORD dst_unused:UNUSED_PAD src0_sel:WORD_0 src1_sel:DWORD
	v_mul_u32_u24_sdwa v112, v68, v112 dst_sel:DWORD dst_unused:UNUSED_PAD src0_sel:WORD_0 src1_sel:DWORD
	v_lshrrev_b32_e32 v113, 19, v113
	v_lshrrev_b32_e32 v112, 19, v112
	v_cmp_lt_u16_e64 s35, v113, v112
	v_cndmask_b32_e64 v112, v67, v68, s35
	v_cndmask_b32_e64 v68, v68, v67, s35
	v_mov_b32_e32 v67, v112
	s_or_b32 exec_lo, exec_lo, s38
	s_and_saveexec_b32 s38, s62
	s_cbranch_execnz .LBB240_1322
.LBB240_843:
	s_or_b32 exec_lo, exec_lo, s38
	s_and_saveexec_b32 s38, s63
	s_cbranch_execz .LBB240_1323
.LBB240_844:
	v_mov_b32_e32 v112, 0xcccd
	v_mul_u32_u24_sdwa v113, v55, v112 dst_sel:DWORD dst_unused:UNUSED_PAD src0_sel:WORD_0 src1_sel:DWORD
	v_mul_u32_u24_sdwa v112, v64, v112 dst_sel:DWORD dst_unused:UNUSED_PAD src0_sel:WORD_0 src1_sel:DWORD
	v_lshrrev_b32_e32 v113, 19, v113
	v_lshrrev_b32_e32 v112, 19, v112
	v_cmp_lt_u16_e64 s35, v113, v112
	v_cndmask_b32_e64 v112, v55, v64, s35
	v_cndmask_b32_e64 v64, v64, v55, s35
	v_mov_b32_e32 v55, v112
	s_or_b32 exec_lo, exec_lo, s38
	s_and_saveexec_b32 s38, s72
	s_cbranch_execnz .LBB240_1324
.LBB240_845:
	s_or_b32 exec_lo, exec_lo, s38
	s_and_saveexec_b32 s38, s73
	s_cbranch_execz .LBB240_1325
.LBB240_846:
	v_mov_b32_e32 v112, 0xcccd
	v_mul_u32_u24_sdwa v113, v54, v112 dst_sel:DWORD dst_unused:UNUSED_PAD src0_sel:WORD_0 src1_sel:DWORD
	v_mul_u32_u24_sdwa v112, v51, v112 dst_sel:DWORD dst_unused:UNUSED_PAD src0_sel:WORD_0 src1_sel:DWORD
	v_lshrrev_b32_e32 v113, 19, v113
	v_lshrrev_b32_e32 v112, 19, v112
	v_cmp_lt_u16_e64 s35, v113, v112
	v_cndmask_b32_e64 v112, v54, v51, s35
	v_cndmask_b32_e64 v51, v51, v54, s35
	v_mov_b32_e32 v54, v112
	s_or_b32 exec_lo, exec_lo, s38
	s_and_saveexec_b32 s38, s74
	s_cbranch_execnz .LBB240_1326
.LBB240_847:
	s_or_b32 exec_lo, exec_lo, s38
	s_and_saveexec_b32 s38, s75
	s_cbranch_execz .LBB240_1327
.LBB240_848:
	v_mov_b32_e32 v112, 0xcccd
	v_mul_u32_u24_sdwa v113, v39, v112 dst_sel:DWORD dst_unused:UNUSED_PAD src0_sel:WORD_0 src1_sel:DWORD
	v_mul_u32_u24_sdwa v112, v48, v112 dst_sel:DWORD dst_unused:UNUSED_PAD src0_sel:WORD_0 src1_sel:DWORD
	v_lshrrev_b32_e32 v113, 19, v113
	v_lshrrev_b32_e32 v112, 19, v112
	v_cmp_lt_u16_e64 s35, v113, v112
	v_cndmask_b32_e64 v112, v48, v39, s35
	v_cndmask_b32_e64 v39, v39, v48, s35
	v_mov_b32_e32 v48, v112
	s_or_b32 exec_lo, exec_lo, s38
	s_and_saveexec_b32 s38, s76
	s_cbranch_execnz .LBB240_1328
.LBB240_849:
	s_or_b32 exec_lo, exec_lo, s38
	s_and_saveexec_b32 s38, s77
	s_cbranch_execz .LBB240_1329
.LBB240_850:
	v_mov_b32_e32 v112, 0xcccd
	v_mul_u32_u24_sdwa v113, v99, v112 dst_sel:DWORD dst_unused:UNUSED_PAD src0_sel:WORD_0 src1_sel:DWORD
	v_mul_u32_u24_sdwa v112, v100, v112 dst_sel:DWORD dst_unused:UNUSED_PAD src0_sel:WORD_0 src1_sel:DWORD
	v_lshrrev_b32_e32 v113, 19, v113
	v_lshrrev_b32_e32 v112, 19, v112
	v_cmp_lt_u16_e64 s35, v113, v112
	v_cndmask_b32_e64 v112, v99, v100, s35
	v_cndmask_b32_e64 v100, v100, v99, s35
	v_mov_b32_e32 v99, v112
	s_or_b32 exec_lo, exec_lo, s38
	s_and_saveexec_b32 s38, s78
	s_cbranch_execnz .LBB240_1330
.LBB240_851:
	s_or_b32 exec_lo, exec_lo, s38
	s_and_saveexec_b32 s38, s79
	s_cbranch_execz .LBB240_1331
.LBB240_852:
	v_mov_b32_e32 v112, 0xcccd
	v_mul_u32_u24_sdwa v113, v86, v112 dst_sel:DWORD dst_unused:UNUSED_PAD src0_sel:WORD_0 src1_sel:DWORD
	v_mul_u32_u24_sdwa v112, v87, v112 dst_sel:DWORD dst_unused:UNUSED_PAD src0_sel:WORD_0 src1_sel:DWORD
	v_lshrrev_b32_e32 v113, 19, v113
	v_lshrrev_b32_e32 v112, 19, v112
	v_cmp_lt_u16_e64 s35, v113, v112
	v_cndmask_b32_e64 v112, v86, v87, s35
	v_cndmask_b32_e64 v87, v87, v86, s35
	v_mov_b32_e32 v86, v112
	s_or_b32 exec_lo, exec_lo, s38
	s_and_saveexec_b32 s38, s88
	s_cbranch_execnz .LBB240_1332
.LBB240_853:
	s_or_b32 exec_lo, exec_lo, s38
	s_and_saveexec_b32 s38, s89
	s_cbranch_execz .LBB240_1333
.LBB240_854:
	v_mov_b32_e32 v112, 0xcccd
	v_mul_u32_u24_sdwa v113, v82, v112 dst_sel:DWORD dst_unused:UNUSED_PAD src0_sel:WORD_0 src1_sel:DWORD
	v_mul_u32_u24_sdwa v112, v83, v112 dst_sel:DWORD dst_unused:UNUSED_PAD src0_sel:WORD_0 src1_sel:DWORD
	v_lshrrev_b32_e32 v113, 19, v113
	v_lshrrev_b32_e32 v112, 19, v112
	v_cmp_lt_u16_e64 s35, v113, v112
	v_cndmask_b32_e64 v112, v82, v83, s35
	v_cndmask_b32_e64 v83, v83, v82, s35
	v_mov_b32_e32 v82, v112
	s_or_b32 exec_lo, exec_lo, s38
	s_and_saveexec_b32 s38, s90
	s_cbranch_execnz .LBB240_1334
.LBB240_855:
	s_or_b32 exec_lo, exec_lo, s38
	s_and_saveexec_b32 s38, s91
	s_cbranch_execz .LBB240_1335
.LBB240_856:
	v_mov_b32_e32 v112, 0xcccd
	v_mul_u32_u24_sdwa v113, v70, v112 dst_sel:DWORD dst_unused:UNUSED_PAD src0_sel:WORD_0 src1_sel:DWORD
	v_mul_u32_u24_sdwa v112, v71, v112 dst_sel:DWORD dst_unused:UNUSED_PAD src0_sel:WORD_0 src1_sel:DWORD
	v_lshrrev_b32_e32 v113, 19, v113
	v_lshrrev_b32_e32 v112, 19, v112
	v_cmp_lt_u16_e64 s35, v113, v112
	v_cndmask_b32_e64 v112, v70, v71, s35
	v_cndmask_b32_e64 v71, v71, v70, s35
	v_mov_b32_e32 v70, v112
	s_or_b32 exec_lo, exec_lo, s38
	s_and_saveexec_b32 s38, s92
	s_cbranch_execnz .LBB240_1336
.LBB240_857:
	s_or_b32 exec_lo, exec_lo, s38
	s_and_saveexec_b32 s38, s93
	s_cbranch_execz .LBB240_1337
.LBB240_858:
	v_mov_b32_e32 v112, 0xcccd
	v_mul_u32_u24_sdwa v113, v66, v112 dst_sel:DWORD dst_unused:UNUSED_PAD src0_sel:WORD_0 src1_sel:DWORD
	v_mul_u32_u24_sdwa v112, v67, v112 dst_sel:DWORD dst_unused:UNUSED_PAD src0_sel:WORD_0 src1_sel:DWORD
	v_lshrrev_b32_e32 v113, 19, v113
	v_lshrrev_b32_e32 v112, 19, v112
	v_cmp_lt_u16_e64 s35, v113, v112
	v_cndmask_b32_e64 v112, v66, v67, s35
	v_cndmask_b32_e64 v67, v67, v66, s35
	v_mov_b32_e32 v66, v112
	s_or_b32 exec_lo, exec_lo, s38
	s_and_saveexec_b32 s38, s94
	s_cbranch_execnz .LBB240_1338
.LBB240_859:
	s_or_b32 exec_lo, exec_lo, s38
	s_and_saveexec_b32 s38, s95
	s_cbranch_execz .LBB240_1339
.LBB240_860:
	v_mov_b32_e32 v112, 0xcccd
	v_mul_u32_u24_sdwa v113, v53, v112 dst_sel:DWORD dst_unused:UNUSED_PAD src0_sel:WORD_0 src1_sel:DWORD
	v_mul_u32_u24_sdwa v112, v55, v112 dst_sel:DWORD dst_unused:UNUSED_PAD src0_sel:WORD_0 src1_sel:DWORD
	v_lshrrev_b32_e32 v113, 19, v113
	v_lshrrev_b32_e32 v112, 19, v112
	v_cmp_lt_u16_e64 s35, v113, v112
	v_cndmask_b32_e64 v112, v53, v55, s35
	v_cndmask_b32_e64 v55, v55, v53, s35
	v_mov_b32_e32 v53, v112
	s_or_b32 exec_lo, exec_lo, s38
	s_and_saveexec_b32 s38, vcc_hi
	s_cbranch_execnz .LBB240_1340
.LBB240_861:
	s_or_b32 exec_lo, exec_lo, s38
	s_and_saveexec_b32 s38, s30
	s_cbranch_execz .LBB240_1341
.LBB240_862:
	v_mov_b32_e32 v112, 0xcccd
	v_mul_u32_u24_sdwa v113, v50, v112 dst_sel:DWORD dst_unused:UNUSED_PAD src0_sel:WORD_0 src1_sel:DWORD
	v_mul_u32_u24_sdwa v112, v54, v112 dst_sel:DWORD dst_unused:UNUSED_PAD src0_sel:WORD_0 src1_sel:DWORD
	v_lshrrev_b32_e32 v113, 19, v113
	v_lshrrev_b32_e32 v112, 19, v112
	v_cmp_lt_u16_e64 s35, v113, v112
	v_cndmask_b32_e64 v112, v54, v50, s35
	v_cndmask_b32_e64 v50, v50, v54, s35
	v_mov_b32_e32 v54, v112
	s_or_b32 exec_lo, exec_lo, s38
	s_and_saveexec_b32 s38, s31
	s_cbranch_execnz .LBB240_1342
.LBB240_863:
	s_or_b32 exec_lo, exec_lo, s38
	s_and_saveexec_b32 s38, s34
	s_cbranch_execz .LBB240_1343
.LBB240_864:
	v_mov_b32_e32 v112, 0xcccd
	v_mul_u32_u24_sdwa v113, v101, v112 dst_sel:DWORD dst_unused:UNUSED_PAD src0_sel:WORD_0 src1_sel:DWORD
	v_mul_u32_u24_sdwa v112, v39, v112 dst_sel:DWORD dst_unused:UNUSED_PAD src0_sel:WORD_0 src1_sel:DWORD
	v_lshrrev_b32_e32 v113, 19, v113
	v_lshrrev_b32_e32 v112, 19, v112
	v_cmp_lt_u16_e64 s35, v113, v112
	v_cndmask_b32_e64 v112, v39, v101, s35
	v_cndmask_b32_e64 v101, v101, v39, s35
	v_mov_b32_e32 v39, v112
	s_or_b32 exec_lo, exec_lo, s38
	s_and_saveexec_b32 s38, s8
	s_cbranch_execnz .LBB240_1344
.LBB240_865:
	s_or_b32 exec_lo, exec_lo, s38
	s_and_saveexec_b32 s38, s9
	s_cbranch_execz .LBB240_1345
.LBB240_866:
	v_mov_b32_e32 v112, 0xcccd
	v_mul_u32_u24_sdwa v113, v98, v112 dst_sel:DWORD dst_unused:UNUSED_PAD src0_sel:WORD_0 src1_sel:DWORD
	v_mul_u32_u24_sdwa v112, v99, v112 dst_sel:DWORD dst_unused:UNUSED_PAD src0_sel:WORD_0 src1_sel:DWORD
	v_lshrrev_b32_e32 v113, 19, v113
	v_lshrrev_b32_e32 v112, 19, v112
	v_cmp_lt_u16_e64 s35, v113, v112
	v_cndmask_b32_e64 v112, v98, v99, s35
	v_cndmask_b32_e64 v99, v99, v98, s35
	v_mov_b32_e32 v98, v112
	s_or_b32 exec_lo, exec_lo, s38
	s_and_saveexec_b32 s38, s12
	s_cbranch_execnz .LBB240_1346
.LBB240_867:
	s_or_b32 exec_lo, exec_lo, s38
	s_and_saveexec_b32 s38, s13
	s_cbranch_execz .LBB240_1347
.LBB240_868:
	v_mov_b32_e32 v112, 0xcccd
	v_mul_u32_u24_sdwa v113, v85, v112 dst_sel:DWORD dst_unused:UNUSED_PAD src0_sel:WORD_0 src1_sel:DWORD
	v_mul_u32_u24_sdwa v112, v86, v112 dst_sel:DWORD dst_unused:UNUSED_PAD src0_sel:WORD_0 src1_sel:DWORD
	v_lshrrev_b32_e32 v113, 19, v113
	v_lshrrev_b32_e32 v112, 19, v112
	v_cmp_lt_u16_e64 s35, v113, v112
	v_cndmask_b32_e64 v112, v85, v86, s35
	v_cndmask_b32_e64 v86, v86, v85, s35
	v_mov_b32_e32 v85, v112
	s_or_b32 exec_lo, exec_lo, s38
	s_and_saveexec_b32 s38, s57
	s_cbranch_execnz .LBB240_1348
.LBB240_869:
	s_or_b32 exec_lo, exec_lo, s38
	s_and_saveexec_b32 s38, s58
	s_cbranch_execz .LBB240_1349
.LBB240_870:
	v_mov_b32_e32 v112, 0xcccd
	v_mul_u32_u24_sdwa v113, v81, v112 dst_sel:DWORD dst_unused:UNUSED_PAD src0_sel:WORD_0 src1_sel:DWORD
	v_mul_u32_u24_sdwa v112, v82, v112 dst_sel:DWORD dst_unused:UNUSED_PAD src0_sel:WORD_0 src1_sel:DWORD
	v_lshrrev_b32_e32 v113, 19, v113
	v_lshrrev_b32_e32 v112, 19, v112
	v_cmp_lt_u16_e64 s35, v113, v112
	v_cndmask_b32_e64 v112, v81, v82, s35
	v_cndmask_b32_e64 v82, v82, v81, s35
	v_mov_b32_e32 v81, v112
	s_or_b32 exec_lo, exec_lo, s38
	s_and_saveexec_b32 s38, s59
	s_cbranch_execnz .LBB240_1350
.LBB240_871:
	s_or_b32 exec_lo, exec_lo, s38
	s_and_saveexec_b32 s38, s60
	s_cbranch_execz .LBB240_1351
.LBB240_872:
	v_mov_b32_e32 v112, 0xcccd
	v_mul_u32_u24_sdwa v113, v69, v112 dst_sel:DWORD dst_unused:UNUSED_PAD src0_sel:WORD_0 src1_sel:DWORD
	v_mul_u32_u24_sdwa v112, v70, v112 dst_sel:DWORD dst_unused:UNUSED_PAD src0_sel:WORD_0 src1_sel:DWORD
	v_lshrrev_b32_e32 v113, 19, v113
	v_lshrrev_b32_e32 v112, 19, v112
	v_cmp_lt_u16_e64 s35, v113, v112
	v_cndmask_b32_e64 v112, v69, v70, s35
	v_cndmask_b32_e64 v70, v70, v69, s35
	v_mov_b32_e32 v69, v112
	s_or_b32 exec_lo, exec_lo, s38
	s_and_saveexec_b32 s38, s61
	s_cbranch_execnz .LBB240_1352
.LBB240_873:
	s_or_b32 exec_lo, exec_lo, s38
	s_and_saveexec_b32 s38, s62
	s_cbranch_execz .LBB240_1353
.LBB240_874:
	v_mov_b32_e32 v112, 0xcccd
	v_mul_u32_u24_sdwa v113, v65, v112 dst_sel:DWORD dst_unused:UNUSED_PAD src0_sel:WORD_0 src1_sel:DWORD
	v_mul_u32_u24_sdwa v112, v66, v112 dst_sel:DWORD dst_unused:UNUSED_PAD src0_sel:WORD_0 src1_sel:DWORD
	v_lshrrev_b32_e32 v113, 19, v113
	v_lshrrev_b32_e32 v112, 19, v112
	v_cmp_lt_u16_e64 s35, v113, v112
	v_cndmask_b32_e64 v112, v65, v66, s35
	v_cndmask_b32_e64 v66, v66, v65, s35
	v_mov_b32_e32 v65, v112
	s_or_b32 exec_lo, exec_lo, s38
	s_and_saveexec_b32 s38, s63
	s_cbranch_execnz .LBB240_1354
.LBB240_875:
	s_or_b32 exec_lo, exec_lo, s38
	s_and_saveexec_b32 s38, s72
	s_cbranch_execz .LBB240_1355
.LBB240_876:
	v_mov_b32_e32 v112, 0xcccd
	v_mul_u32_u24_sdwa v113, v52, v112 dst_sel:DWORD dst_unused:UNUSED_PAD src0_sel:WORD_0 src1_sel:DWORD
	v_mul_u32_u24_sdwa v112, v53, v112 dst_sel:DWORD dst_unused:UNUSED_PAD src0_sel:WORD_0 src1_sel:DWORD
	v_lshrrev_b32_e32 v113, 19, v113
	v_lshrrev_b32_e32 v112, 19, v112
	v_cmp_lt_u16_e64 s35, v113, v112
	v_cndmask_b32_e64 v112, v52, v53, s35
	v_cndmask_b32_e64 v53, v53, v52, s35
	v_mov_b32_e32 v52, v112
	s_or_b32 exec_lo, exec_lo, s38
	s_and_saveexec_b32 s38, s73
	s_cbranch_execnz .LBB240_1356
.LBB240_877:
	s_or_b32 exec_lo, exec_lo, s38
	s_and_saveexec_b32 s38, s74
	s_cbranch_execz .LBB240_1357
.LBB240_878:
	v_mov_b32_e32 v112, 0xcccd
	v_mul_u32_u24_sdwa v113, v49, v112 dst_sel:DWORD dst_unused:UNUSED_PAD src0_sel:WORD_0 src1_sel:DWORD
	v_mul_u32_u24_sdwa v112, v50, v112 dst_sel:DWORD dst_unused:UNUSED_PAD src0_sel:WORD_0 src1_sel:DWORD
	v_lshrrev_b32_e32 v113, 19, v113
	v_lshrrev_b32_e32 v112, 19, v112
	v_cmp_lt_u16_e64 s35, v113, v112
	v_cndmask_b32_e64 v112, v50, v49, s35
	v_cndmask_b32_e64 v49, v49, v50, s35
	v_mov_b32_e32 v50, v112
	s_or_b32 exec_lo, exec_lo, s38
	s_and_saveexec_b32 s38, s75
	s_cbranch_execnz .LBB240_1358
.LBB240_879:
	s_or_b32 exec_lo, exec_lo, s38
	s_and_saveexec_b32 s38, s76
	s_cbranch_execz .LBB240_1359
.LBB240_880:
	v_mov_b32_e32 v112, 0xcccd
	v_mul_u32_u24_sdwa v113, v38, v112 dst_sel:DWORD dst_unused:UNUSED_PAD src0_sel:WORD_0 src1_sel:DWORD
	v_mul_u32_u24_sdwa v112, v101, v112 dst_sel:DWORD dst_unused:UNUSED_PAD src0_sel:WORD_0 src1_sel:DWORD
	v_lshrrev_b32_e32 v113, 19, v113
	v_lshrrev_b32_e32 v112, 19, v112
	v_cmp_lt_u16_e64 s35, v113, v112
	v_cndmask_b32_e64 v112, v101, v38, s35
	v_cndmask_b32_e64 v38, v38, v101, s35
	v_mov_b32_e32 v101, v112
	s_or_b32 exec_lo, exec_lo, s38
	s_and_saveexec_b32 s38, s77
	s_cbranch_execnz .LBB240_1360
.LBB240_881:
	s_or_b32 exec_lo, exec_lo, s38
	s_and_saveexec_b32 s38, s78
	s_cbranch_execz .LBB240_1361
.LBB240_882:
	v_mov_b32_e32 v112, 0xcccd
	v_mul_u32_u24_sdwa v113, v96, v112 dst_sel:DWORD dst_unused:UNUSED_PAD src0_sel:WORD_0 src1_sel:DWORD
	v_mul_u32_u24_sdwa v112, v98, v112 dst_sel:DWORD dst_unused:UNUSED_PAD src0_sel:WORD_0 src1_sel:DWORD
	v_lshrrev_b32_e32 v113, 19, v113
	v_lshrrev_b32_e32 v112, 19, v112
	v_cmp_lt_u16_e64 s35, v113, v112
	v_cndmask_b32_e64 v112, v96, v98, s35
	v_cndmask_b32_e64 v98, v98, v96, s35
	v_mov_b32_e32 v96, v112
	s_or_b32 exec_lo, exec_lo, s38
	s_and_saveexec_b32 s38, s79
	s_cbranch_execnz .LBB240_1362
.LBB240_883:
	s_or_b32 exec_lo, exec_lo, s38
	s_and_saveexec_b32 s38, s88
	s_cbranch_execz .LBB240_1363
.LBB240_884:
	v_mov_b32_e32 v112, 0xcccd
	v_mul_u32_u24_sdwa v113, v84, v112 dst_sel:DWORD dst_unused:UNUSED_PAD src0_sel:WORD_0 src1_sel:DWORD
	v_mul_u32_u24_sdwa v112, v85, v112 dst_sel:DWORD dst_unused:UNUSED_PAD src0_sel:WORD_0 src1_sel:DWORD
	v_lshrrev_b32_e32 v113, 19, v113
	v_lshrrev_b32_e32 v112, 19, v112
	v_cmp_lt_u16_e64 s35, v113, v112
	v_cndmask_b32_e64 v112, v84, v85, s35
	v_cndmask_b32_e64 v85, v85, v84, s35
	v_mov_b32_e32 v84, v112
	s_or_b32 exec_lo, exec_lo, s38
	s_and_saveexec_b32 s38, s89
	s_cbranch_execnz .LBB240_1364
.LBB240_885:
	s_or_b32 exec_lo, exec_lo, s38
	s_and_saveexec_b32 s38, s90
	s_cbranch_execz .LBB240_1365
.LBB240_886:
	v_mov_b32_e32 v112, 0xcccd
	v_mul_u32_u24_sdwa v113, v80, v112 dst_sel:DWORD dst_unused:UNUSED_PAD src0_sel:WORD_0 src1_sel:DWORD
	v_mul_u32_u24_sdwa v112, v81, v112 dst_sel:DWORD dst_unused:UNUSED_PAD src0_sel:WORD_0 src1_sel:DWORD
	v_lshrrev_b32_e32 v113, 19, v113
	v_lshrrev_b32_e32 v112, 19, v112
	v_cmp_lt_u16_e64 s35, v113, v112
	v_cndmask_b32_e64 v112, v80, v81, s35
	v_cndmask_b32_e64 v81, v81, v80, s35
	v_mov_b32_e32 v80, v112
	s_or_b32 exec_lo, exec_lo, s38
	s_and_saveexec_b32 s38, s91
	s_cbranch_execnz .LBB240_1366
.LBB240_887:
	s_or_b32 exec_lo, exec_lo, s38
	s_and_saveexec_b32 s38, s92
	s_cbranch_execz .LBB240_1367
.LBB240_888:
	v_mov_b32_e32 v112, 0xcccd
	v_mul_u32_u24_sdwa v113, v68, v112 dst_sel:DWORD dst_unused:UNUSED_PAD src0_sel:WORD_0 src1_sel:DWORD
	v_mul_u32_u24_sdwa v112, v69, v112 dst_sel:DWORD dst_unused:UNUSED_PAD src0_sel:WORD_0 src1_sel:DWORD
	v_lshrrev_b32_e32 v113, 19, v113
	v_lshrrev_b32_e32 v112, 19, v112
	v_cmp_lt_u16_e64 s35, v113, v112
	v_cndmask_b32_e64 v112, v68, v69, s35
	v_cndmask_b32_e64 v69, v69, v68, s35
	v_mov_b32_e32 v68, v112
	s_or_b32 exec_lo, exec_lo, s38
	s_and_saveexec_b32 s38, s93
	s_cbranch_execnz .LBB240_1368
.LBB240_889:
	s_or_b32 exec_lo, exec_lo, s38
	s_and_saveexec_b32 s38, s94
	s_cbranch_execz .LBB240_1369
.LBB240_890:
	v_mov_b32_e32 v112, 0xcccd
	v_mul_u32_u24_sdwa v113, v64, v112 dst_sel:DWORD dst_unused:UNUSED_PAD src0_sel:WORD_0 src1_sel:DWORD
	v_mul_u32_u24_sdwa v112, v65, v112 dst_sel:DWORD dst_unused:UNUSED_PAD src0_sel:WORD_0 src1_sel:DWORD
	v_lshrrev_b32_e32 v113, 19, v113
	v_lshrrev_b32_e32 v112, 19, v112
	v_cmp_lt_u16_e64 s35, v113, v112
	v_cndmask_b32_e64 v112, v64, v65, s35
	v_cndmask_b32_e64 v65, v65, v64, s35
	v_mov_b32_e32 v64, v112
	s_or_b32 exec_lo, exec_lo, s38
	s_and_saveexec_b32 s38, s95
	s_cbranch_execnz .LBB240_1370
.LBB240_891:
	s_or_b32 exec_lo, exec_lo, s38
	s_and_saveexec_b32 s38, vcc_hi
	s_cbranch_execz .LBB240_1371
.LBB240_892:
	v_mov_b32_e32 v112, 0xcccd
	v_mul_u32_u24_sdwa v113, v51, v112 dst_sel:DWORD dst_unused:UNUSED_PAD src0_sel:WORD_0 src1_sel:DWORD
	v_mul_u32_u24_sdwa v112, v52, v112 dst_sel:DWORD dst_unused:UNUSED_PAD src0_sel:WORD_0 src1_sel:DWORD
	v_lshrrev_b32_e32 v113, 19, v113
	v_lshrrev_b32_e32 v112, 19, v112
	v_cmp_lt_u16_e64 s35, v113, v112
	v_cndmask_b32_e64 v112, v51, v52, s35
	v_cndmask_b32_e64 v52, v52, v51, s35
	v_mov_b32_e32 v51, v112
	s_or_b32 exec_lo, exec_lo, s38
	s_and_saveexec_b32 s38, s30
	s_cbranch_execnz .LBB240_1372
.LBB240_893:
	s_or_b32 exec_lo, exec_lo, s38
	s_and_saveexec_b32 s38, s31
	s_cbranch_execz .LBB240_1373
.LBB240_894:
	v_mov_b32_e32 v112, 0xcccd
	v_mul_u32_u24_sdwa v113, v48, v112 dst_sel:DWORD dst_unused:UNUSED_PAD src0_sel:WORD_0 src1_sel:DWORD
	v_mul_u32_u24_sdwa v112, v49, v112 dst_sel:DWORD dst_unused:UNUSED_PAD src0_sel:WORD_0 src1_sel:DWORD
	v_lshrrev_b32_e32 v113, 19, v113
	v_lshrrev_b32_e32 v112, 19, v112
	v_cmp_lt_u16_e64 s35, v113, v112
	v_cndmask_b32_e64 v112, v49, v48, s35
	v_cndmask_b32_e64 v48, v48, v49, s35
	v_mov_b32_e32 v49, v112
	s_or_b32 exec_lo, exec_lo, s38
	s_and_saveexec_b32 s38, s34
	s_cbranch_execnz .LBB240_1374
.LBB240_895:
	s_or_b32 exec_lo, exec_lo, s38
	s_and_saveexec_b32 s38, s8
	s_cbranch_execz .LBB240_1375
.LBB240_896:
	v_mov_b32_e32 v112, 0xcccd
	v_mul_u32_u24_sdwa v113, v100, v112 dst_sel:DWORD dst_unused:UNUSED_PAD src0_sel:WORD_0 src1_sel:DWORD
	v_mul_u32_u24_sdwa v112, v97, v112 dst_sel:DWORD dst_unused:UNUSED_PAD src0_sel:WORD_0 src1_sel:DWORD
	v_lshrrev_b32_e32 v113, 19, v113
	v_lshrrev_b32_e32 v112, 19, v112
	v_cmp_lt_u16_e64 s35, v113, v112
	v_cndmask_b32_e64 v112, v100, v97, s35
	v_cndmask_b32_e64 v97, v97, v100, s35
	v_mov_b32_e32 v100, v112
	s_or_b32 exec_lo, exec_lo, s38
	s_and_saveexec_b32 s38, s9
	s_cbranch_execnz .LBB240_1376
.LBB240_897:
	s_or_b32 exec_lo, exec_lo, s38
	s_and_saveexec_b32 s38, s12
	s_cbranch_execz .LBB240_1377
.LBB240_898:
	v_mov_b32_e32 v112, 0xcccd
	v_mul_u32_u24_sdwa v113, v87, v112 dst_sel:DWORD dst_unused:UNUSED_PAD src0_sel:WORD_0 src1_sel:DWORD
	v_mul_u32_u24_sdwa v112, v96, v112 dst_sel:DWORD dst_unused:UNUSED_PAD src0_sel:WORD_0 src1_sel:DWORD
	v_lshrrev_b32_e32 v113, 19, v113
	v_lshrrev_b32_e32 v112, 19, v112
	v_cmp_lt_u16_e64 s35, v113, v112
	v_cndmask_b32_e64 v112, v87, v96, s35
	v_cndmask_b32_e64 v96, v96, v87, s35
	v_mov_b32_e32 v87, v112
	s_or_b32 exec_lo, exec_lo, s38
	s_and_saveexec_b32 s38, s13
	s_cbranch_execnz .LBB240_1378
.LBB240_899:
	s_or_b32 exec_lo, exec_lo, s38
	s_and_saveexec_b32 s38, s57
	s_cbranch_execz .LBB240_1379
.LBB240_900:
	v_mov_b32_e32 v112, 0xcccd
	v_mul_u32_u24_sdwa v113, v83, v112 dst_sel:DWORD dst_unused:UNUSED_PAD src0_sel:WORD_0 src1_sel:DWORD
	v_mul_u32_u24_sdwa v112, v84, v112 dst_sel:DWORD dst_unused:UNUSED_PAD src0_sel:WORD_0 src1_sel:DWORD
	v_lshrrev_b32_e32 v113, 19, v113
	v_lshrrev_b32_e32 v112, 19, v112
	v_cmp_lt_u16_e64 s35, v113, v112
	v_cndmask_b32_e64 v112, v83, v84, s35
	v_cndmask_b32_e64 v84, v84, v83, s35
	v_mov_b32_e32 v83, v112
	s_or_b32 exec_lo, exec_lo, s38
	s_and_saveexec_b32 s38, s58
	s_cbranch_execnz .LBB240_1380
.LBB240_901:
	s_or_b32 exec_lo, exec_lo, s38
	s_and_saveexec_b32 s38, s59
	s_cbranch_execz .LBB240_1381
.LBB240_902:
	v_mov_b32_e32 v112, 0xcccd
	v_mul_u32_u24_sdwa v113, v71, v112 dst_sel:DWORD dst_unused:UNUSED_PAD src0_sel:WORD_0 src1_sel:DWORD
	v_mul_u32_u24_sdwa v112, v80, v112 dst_sel:DWORD dst_unused:UNUSED_PAD src0_sel:WORD_0 src1_sel:DWORD
	v_lshrrev_b32_e32 v113, 19, v113
	v_lshrrev_b32_e32 v112, 19, v112
	v_cmp_lt_u16_e64 s35, v113, v112
	v_cndmask_b32_e64 v112, v71, v80, s35
	v_cndmask_b32_e64 v80, v80, v71, s35
	v_mov_b32_e32 v71, v112
	s_or_b32 exec_lo, exec_lo, s38
	s_and_saveexec_b32 s38, s60
	s_cbranch_execnz .LBB240_1382
.LBB240_903:
	s_or_b32 exec_lo, exec_lo, s38
	s_and_saveexec_b32 s38, s61
	s_cbranch_execz .LBB240_1383
.LBB240_904:
	v_mov_b32_e32 v112, 0xcccd
	v_mul_u32_u24_sdwa v113, v67, v112 dst_sel:DWORD dst_unused:UNUSED_PAD src0_sel:WORD_0 src1_sel:DWORD
	v_mul_u32_u24_sdwa v112, v68, v112 dst_sel:DWORD dst_unused:UNUSED_PAD src0_sel:WORD_0 src1_sel:DWORD
	v_lshrrev_b32_e32 v113, 19, v113
	v_lshrrev_b32_e32 v112, 19, v112
	v_cmp_lt_u16_e64 s35, v113, v112
	v_cndmask_b32_e64 v112, v67, v68, s35
	v_cndmask_b32_e64 v68, v68, v67, s35
	v_mov_b32_e32 v67, v112
	s_or_b32 exec_lo, exec_lo, s38
	s_and_saveexec_b32 s38, s62
	s_cbranch_execnz .LBB240_1384
.LBB240_905:
	s_or_b32 exec_lo, exec_lo, s38
	s_and_saveexec_b32 s38, s63
	s_cbranch_execz .LBB240_1385
.LBB240_906:
	v_mov_b32_e32 v112, 0xcccd
	v_mul_u32_u24_sdwa v113, v55, v112 dst_sel:DWORD dst_unused:UNUSED_PAD src0_sel:WORD_0 src1_sel:DWORD
	v_mul_u32_u24_sdwa v112, v64, v112 dst_sel:DWORD dst_unused:UNUSED_PAD src0_sel:WORD_0 src1_sel:DWORD
	v_lshrrev_b32_e32 v113, 19, v113
	v_lshrrev_b32_e32 v112, 19, v112
	v_cmp_lt_u16_e64 s35, v113, v112
	v_cndmask_b32_e64 v112, v55, v64, s35
	v_cndmask_b32_e64 v64, v64, v55, s35
	v_mov_b32_e32 v55, v112
	s_or_b32 exec_lo, exec_lo, s38
	s_and_saveexec_b32 s38, s72
	s_cbranch_execnz .LBB240_1386
.LBB240_907:
	s_or_b32 exec_lo, exec_lo, s38
	s_and_saveexec_b32 s38, s73
	s_cbranch_execz .LBB240_1387
.LBB240_908:
	v_mov_b32_e32 v112, 0xcccd
	v_mul_u32_u24_sdwa v113, v54, v112 dst_sel:DWORD dst_unused:UNUSED_PAD src0_sel:WORD_0 src1_sel:DWORD
	v_mul_u32_u24_sdwa v112, v51, v112 dst_sel:DWORD dst_unused:UNUSED_PAD src0_sel:WORD_0 src1_sel:DWORD
	v_lshrrev_b32_e32 v113, 19, v113
	v_lshrrev_b32_e32 v112, 19, v112
	v_cmp_lt_u16_e64 s35, v113, v112
	v_cndmask_b32_e64 v112, v54, v51, s35
	v_cndmask_b32_e64 v51, v51, v54, s35
	v_mov_b32_e32 v54, v112
	s_or_b32 exec_lo, exec_lo, s38
	s_and_saveexec_b32 s38, s74
	s_cbranch_execnz .LBB240_1388
.LBB240_909:
	s_or_b32 exec_lo, exec_lo, s38
	s_and_saveexec_b32 s38, s75
	s_cbranch_execz .LBB240_1389
.LBB240_910:
	v_mov_b32_e32 v112, 0xcccd
	v_mul_u32_u24_sdwa v113, v39, v112 dst_sel:DWORD dst_unused:UNUSED_PAD src0_sel:WORD_0 src1_sel:DWORD
	v_mul_u32_u24_sdwa v112, v48, v112 dst_sel:DWORD dst_unused:UNUSED_PAD src0_sel:WORD_0 src1_sel:DWORD
	v_lshrrev_b32_e32 v113, 19, v113
	v_lshrrev_b32_e32 v112, 19, v112
	v_cmp_lt_u16_e64 s35, v113, v112
	v_cndmask_b32_e64 v112, v48, v39, s35
	v_cndmask_b32_e64 v39, v39, v48, s35
	v_mov_b32_e32 v48, v112
	s_or_b32 exec_lo, exec_lo, s38
	s_and_saveexec_b32 s38, s76
	s_cbranch_execnz .LBB240_1390
.LBB240_911:
	s_or_b32 exec_lo, exec_lo, s38
	s_and_saveexec_b32 s38, s77
	s_cbranch_execz .LBB240_1391
.LBB240_912:
	v_mov_b32_e32 v112, 0xcccd
	v_mul_u32_u24_sdwa v113, v99, v112 dst_sel:DWORD dst_unused:UNUSED_PAD src0_sel:WORD_0 src1_sel:DWORD
	v_mul_u32_u24_sdwa v112, v100, v112 dst_sel:DWORD dst_unused:UNUSED_PAD src0_sel:WORD_0 src1_sel:DWORD
	v_lshrrev_b32_e32 v113, 19, v113
	v_lshrrev_b32_e32 v112, 19, v112
	v_cmp_lt_u16_e64 s35, v113, v112
	v_cndmask_b32_e64 v112, v99, v100, s35
	v_cndmask_b32_e64 v100, v100, v99, s35
	v_mov_b32_e32 v99, v112
	s_or_b32 exec_lo, exec_lo, s38
	s_and_saveexec_b32 s38, s78
	s_cbranch_execnz .LBB240_1392
.LBB240_913:
	s_or_b32 exec_lo, exec_lo, s38
	s_and_saveexec_b32 s38, s79
	s_cbranch_execz .LBB240_1393
.LBB240_914:
	v_mov_b32_e32 v112, 0xcccd
	v_mul_u32_u24_sdwa v113, v86, v112 dst_sel:DWORD dst_unused:UNUSED_PAD src0_sel:WORD_0 src1_sel:DWORD
	v_mul_u32_u24_sdwa v112, v87, v112 dst_sel:DWORD dst_unused:UNUSED_PAD src0_sel:WORD_0 src1_sel:DWORD
	v_lshrrev_b32_e32 v113, 19, v113
	v_lshrrev_b32_e32 v112, 19, v112
	v_cmp_lt_u16_e64 s35, v113, v112
	v_cndmask_b32_e64 v112, v86, v87, s35
	v_cndmask_b32_e64 v87, v87, v86, s35
	v_mov_b32_e32 v86, v112
	s_or_b32 exec_lo, exec_lo, s38
	s_and_saveexec_b32 s38, s88
	s_cbranch_execnz .LBB240_1394
.LBB240_915:
	s_or_b32 exec_lo, exec_lo, s38
	s_and_saveexec_b32 s38, s89
	s_cbranch_execz .LBB240_1395
.LBB240_916:
	v_mov_b32_e32 v112, 0xcccd
	v_mul_u32_u24_sdwa v113, v82, v112 dst_sel:DWORD dst_unused:UNUSED_PAD src0_sel:WORD_0 src1_sel:DWORD
	v_mul_u32_u24_sdwa v112, v83, v112 dst_sel:DWORD dst_unused:UNUSED_PAD src0_sel:WORD_0 src1_sel:DWORD
	v_lshrrev_b32_e32 v113, 19, v113
	v_lshrrev_b32_e32 v112, 19, v112
	v_cmp_lt_u16_e64 s35, v113, v112
	v_cndmask_b32_e64 v112, v82, v83, s35
	v_cndmask_b32_e64 v83, v83, v82, s35
	v_mov_b32_e32 v82, v112
	s_or_b32 exec_lo, exec_lo, s38
	s_and_saveexec_b32 s38, s90
	s_cbranch_execnz .LBB240_1396
.LBB240_917:
	s_or_b32 exec_lo, exec_lo, s38
	s_and_saveexec_b32 s38, s91
	s_cbranch_execz .LBB240_1397
.LBB240_918:
	v_mov_b32_e32 v112, 0xcccd
	v_mul_u32_u24_sdwa v113, v70, v112 dst_sel:DWORD dst_unused:UNUSED_PAD src0_sel:WORD_0 src1_sel:DWORD
	v_mul_u32_u24_sdwa v112, v71, v112 dst_sel:DWORD dst_unused:UNUSED_PAD src0_sel:WORD_0 src1_sel:DWORD
	v_lshrrev_b32_e32 v113, 19, v113
	v_lshrrev_b32_e32 v112, 19, v112
	v_cmp_lt_u16_e64 s35, v113, v112
	v_cndmask_b32_e64 v112, v70, v71, s35
	v_cndmask_b32_e64 v71, v71, v70, s35
	v_mov_b32_e32 v70, v112
	s_or_b32 exec_lo, exec_lo, s38
	s_and_saveexec_b32 s38, s92
	s_cbranch_execnz .LBB240_1398
.LBB240_919:
	s_or_b32 exec_lo, exec_lo, s38
	s_and_saveexec_b32 s38, s93
	s_cbranch_execz .LBB240_1399
.LBB240_920:
	v_mov_b32_e32 v112, 0xcccd
	v_mul_u32_u24_sdwa v113, v66, v112 dst_sel:DWORD dst_unused:UNUSED_PAD src0_sel:WORD_0 src1_sel:DWORD
	v_mul_u32_u24_sdwa v112, v67, v112 dst_sel:DWORD dst_unused:UNUSED_PAD src0_sel:WORD_0 src1_sel:DWORD
	v_lshrrev_b32_e32 v113, 19, v113
	v_lshrrev_b32_e32 v112, 19, v112
	v_cmp_lt_u16_e64 s35, v113, v112
	v_cndmask_b32_e64 v112, v66, v67, s35
	v_cndmask_b32_e64 v67, v67, v66, s35
	v_mov_b32_e32 v66, v112
	s_or_b32 exec_lo, exec_lo, s38
	s_and_saveexec_b32 s38, s94
	s_cbranch_execnz .LBB240_1400
.LBB240_921:
	s_or_b32 exec_lo, exec_lo, s38
	s_and_saveexec_b32 s38, s95
	s_cbranch_execz .LBB240_1401
.LBB240_922:
	v_mov_b32_e32 v112, 0xcccd
	v_mul_u32_u24_sdwa v113, v53, v112 dst_sel:DWORD dst_unused:UNUSED_PAD src0_sel:WORD_0 src1_sel:DWORD
	v_mul_u32_u24_sdwa v112, v55, v112 dst_sel:DWORD dst_unused:UNUSED_PAD src0_sel:WORD_0 src1_sel:DWORD
	v_lshrrev_b32_e32 v113, 19, v113
	v_lshrrev_b32_e32 v112, 19, v112
	v_cmp_lt_u16_e64 s35, v113, v112
	v_cndmask_b32_e64 v112, v53, v55, s35
	v_cndmask_b32_e64 v55, v55, v53, s35
	v_mov_b32_e32 v53, v112
	s_or_b32 exec_lo, exec_lo, s38
	s_and_saveexec_b32 s38, vcc_hi
	s_cbranch_execnz .LBB240_1402
.LBB240_923:
	s_or_b32 exec_lo, exec_lo, s38
	s_and_saveexec_b32 s38, s30
	s_cbranch_execz .LBB240_1403
.LBB240_924:
	v_mov_b32_e32 v112, 0xcccd
	v_mul_u32_u24_sdwa v113, v50, v112 dst_sel:DWORD dst_unused:UNUSED_PAD src0_sel:WORD_0 src1_sel:DWORD
	v_mul_u32_u24_sdwa v112, v54, v112 dst_sel:DWORD dst_unused:UNUSED_PAD src0_sel:WORD_0 src1_sel:DWORD
	v_lshrrev_b32_e32 v113, 19, v113
	v_lshrrev_b32_e32 v112, 19, v112
	v_cmp_lt_u16_e64 s35, v113, v112
	v_cndmask_b32_e64 v112, v54, v50, s35
	v_cndmask_b32_e64 v50, v50, v54, s35
	v_mov_b32_e32 v54, v112
	s_or_b32 exec_lo, exec_lo, s38
	s_and_saveexec_b32 s38, s31
	s_cbranch_execnz .LBB240_1404
.LBB240_925:
	s_or_b32 exec_lo, exec_lo, s38
	s_and_saveexec_b32 s38, s34
	s_cbranch_execz .LBB240_1405
.LBB240_926:
	v_mov_b32_e32 v112, 0xcccd
	v_mul_u32_u24_sdwa v113, v101, v112 dst_sel:DWORD dst_unused:UNUSED_PAD src0_sel:WORD_0 src1_sel:DWORD
	v_mul_u32_u24_sdwa v112, v39, v112 dst_sel:DWORD dst_unused:UNUSED_PAD src0_sel:WORD_0 src1_sel:DWORD
	v_lshrrev_b32_e32 v113, 19, v113
	v_lshrrev_b32_e32 v112, 19, v112
	v_cmp_lt_u16_e64 s35, v113, v112
	v_cndmask_b32_e64 v112, v39, v101, s35
	v_cndmask_b32_e64 v101, v101, v39, s35
	v_mov_b32_e32 v39, v112
	s_or_b32 exec_lo, exec_lo, s38
	s_and_saveexec_b32 s38, s8
	s_cbranch_execnz .LBB240_1406
.LBB240_927:
	s_or_b32 exec_lo, exec_lo, s38
	s_and_saveexec_b32 s38, s9
	s_cbranch_execz .LBB240_1407
.LBB240_928:
	v_mov_b32_e32 v112, 0xcccd
	v_mul_u32_u24_sdwa v113, v98, v112 dst_sel:DWORD dst_unused:UNUSED_PAD src0_sel:WORD_0 src1_sel:DWORD
	v_mul_u32_u24_sdwa v112, v99, v112 dst_sel:DWORD dst_unused:UNUSED_PAD src0_sel:WORD_0 src1_sel:DWORD
	v_lshrrev_b32_e32 v113, 19, v113
	v_lshrrev_b32_e32 v112, 19, v112
	v_cmp_lt_u16_e64 s35, v113, v112
	v_cndmask_b32_e64 v112, v98, v99, s35
	v_cndmask_b32_e64 v99, v99, v98, s35
	v_mov_b32_e32 v98, v112
	s_or_b32 exec_lo, exec_lo, s38
	s_and_saveexec_b32 s38, s12
	s_cbranch_execnz .LBB240_1408
.LBB240_929:
	s_or_b32 exec_lo, exec_lo, s38
	s_and_saveexec_b32 s38, s13
	s_cbranch_execz .LBB240_1409
.LBB240_930:
	v_mov_b32_e32 v112, 0xcccd
	v_mul_u32_u24_sdwa v113, v85, v112 dst_sel:DWORD dst_unused:UNUSED_PAD src0_sel:WORD_0 src1_sel:DWORD
	v_mul_u32_u24_sdwa v112, v86, v112 dst_sel:DWORD dst_unused:UNUSED_PAD src0_sel:WORD_0 src1_sel:DWORD
	v_lshrrev_b32_e32 v113, 19, v113
	v_lshrrev_b32_e32 v112, 19, v112
	v_cmp_lt_u16_e64 s35, v113, v112
	v_cndmask_b32_e64 v112, v85, v86, s35
	v_cndmask_b32_e64 v86, v86, v85, s35
	v_mov_b32_e32 v85, v112
	s_or_b32 exec_lo, exec_lo, s38
	s_and_saveexec_b32 s38, s57
	s_cbranch_execnz .LBB240_1410
.LBB240_931:
	s_or_b32 exec_lo, exec_lo, s38
	s_and_saveexec_b32 s38, s58
	s_cbranch_execz .LBB240_1411
.LBB240_932:
	v_mov_b32_e32 v112, 0xcccd
	v_mul_u32_u24_sdwa v113, v81, v112 dst_sel:DWORD dst_unused:UNUSED_PAD src0_sel:WORD_0 src1_sel:DWORD
	v_mul_u32_u24_sdwa v112, v82, v112 dst_sel:DWORD dst_unused:UNUSED_PAD src0_sel:WORD_0 src1_sel:DWORD
	v_lshrrev_b32_e32 v113, 19, v113
	v_lshrrev_b32_e32 v112, 19, v112
	v_cmp_lt_u16_e64 s35, v113, v112
	v_cndmask_b32_e64 v112, v81, v82, s35
	v_cndmask_b32_e64 v82, v82, v81, s35
	v_mov_b32_e32 v81, v112
	s_or_b32 exec_lo, exec_lo, s38
	s_and_saveexec_b32 s38, s59
	s_cbranch_execnz .LBB240_1412
.LBB240_933:
	s_or_b32 exec_lo, exec_lo, s38
	s_and_saveexec_b32 s38, s60
	s_cbranch_execz .LBB240_1413
.LBB240_934:
	v_mov_b32_e32 v112, 0xcccd
	v_mul_u32_u24_sdwa v113, v69, v112 dst_sel:DWORD dst_unused:UNUSED_PAD src0_sel:WORD_0 src1_sel:DWORD
	v_mul_u32_u24_sdwa v112, v70, v112 dst_sel:DWORD dst_unused:UNUSED_PAD src0_sel:WORD_0 src1_sel:DWORD
	v_lshrrev_b32_e32 v113, 19, v113
	v_lshrrev_b32_e32 v112, 19, v112
	v_cmp_lt_u16_e64 s35, v113, v112
	v_cndmask_b32_e64 v112, v69, v70, s35
	v_cndmask_b32_e64 v70, v70, v69, s35
	v_mov_b32_e32 v69, v112
	s_or_b32 exec_lo, exec_lo, s38
	s_and_saveexec_b32 s38, s61
	s_cbranch_execnz .LBB240_1414
.LBB240_935:
	s_or_b32 exec_lo, exec_lo, s38
	s_and_saveexec_b32 s38, s62
	s_cbranch_execz .LBB240_1415
.LBB240_936:
	v_mov_b32_e32 v112, 0xcccd
	v_mul_u32_u24_sdwa v113, v65, v112 dst_sel:DWORD dst_unused:UNUSED_PAD src0_sel:WORD_0 src1_sel:DWORD
	v_mul_u32_u24_sdwa v112, v66, v112 dst_sel:DWORD dst_unused:UNUSED_PAD src0_sel:WORD_0 src1_sel:DWORD
	v_lshrrev_b32_e32 v113, 19, v113
	v_lshrrev_b32_e32 v112, 19, v112
	v_cmp_lt_u16_e64 s35, v113, v112
	v_cndmask_b32_e64 v112, v65, v66, s35
	v_cndmask_b32_e64 v66, v66, v65, s35
	v_mov_b32_e32 v65, v112
	s_or_b32 exec_lo, exec_lo, s38
	s_and_saveexec_b32 s38, s63
	s_cbranch_execnz .LBB240_1416
.LBB240_937:
	s_or_b32 exec_lo, exec_lo, s38
	s_and_saveexec_b32 s38, s72
	s_cbranch_execz .LBB240_1417
.LBB240_938:
	v_mov_b32_e32 v112, 0xcccd
	v_mul_u32_u24_sdwa v113, v52, v112 dst_sel:DWORD dst_unused:UNUSED_PAD src0_sel:WORD_0 src1_sel:DWORD
	v_mul_u32_u24_sdwa v112, v53, v112 dst_sel:DWORD dst_unused:UNUSED_PAD src0_sel:WORD_0 src1_sel:DWORD
	v_lshrrev_b32_e32 v113, 19, v113
	v_lshrrev_b32_e32 v112, 19, v112
	v_cmp_lt_u16_e64 s35, v113, v112
	v_cndmask_b32_e64 v112, v52, v53, s35
	v_cndmask_b32_e64 v53, v53, v52, s35
	v_mov_b32_e32 v52, v112
	s_or_b32 exec_lo, exec_lo, s38
	s_and_saveexec_b32 s38, s73
	s_cbranch_execnz .LBB240_1418
.LBB240_939:
	s_or_b32 exec_lo, exec_lo, s38
	s_and_saveexec_b32 s38, s74
	s_cbranch_execz .LBB240_1419
.LBB240_940:
	v_mov_b32_e32 v112, 0xcccd
	v_mul_u32_u24_sdwa v113, v49, v112 dst_sel:DWORD dst_unused:UNUSED_PAD src0_sel:WORD_0 src1_sel:DWORD
	v_mul_u32_u24_sdwa v112, v50, v112 dst_sel:DWORD dst_unused:UNUSED_PAD src0_sel:WORD_0 src1_sel:DWORD
	v_lshrrev_b32_e32 v113, 19, v113
	v_lshrrev_b32_e32 v112, 19, v112
	v_cmp_lt_u16_e64 s35, v113, v112
	v_cndmask_b32_e64 v112, v50, v49, s35
	v_cndmask_b32_e64 v49, v49, v50, s35
	v_mov_b32_e32 v50, v112
	s_or_b32 exec_lo, exec_lo, s38
	s_and_saveexec_b32 s38, s75
	s_cbranch_execnz .LBB240_1420
.LBB240_941:
	s_or_b32 exec_lo, exec_lo, s38
	s_and_saveexec_b32 s38, s76
	s_cbranch_execz .LBB240_1421
.LBB240_942:
	v_mov_b32_e32 v112, 0xcccd
	v_mul_u32_u24_sdwa v113, v38, v112 dst_sel:DWORD dst_unused:UNUSED_PAD src0_sel:WORD_0 src1_sel:DWORD
	v_mul_u32_u24_sdwa v112, v101, v112 dst_sel:DWORD dst_unused:UNUSED_PAD src0_sel:WORD_0 src1_sel:DWORD
	v_lshrrev_b32_e32 v113, 19, v113
	v_lshrrev_b32_e32 v112, 19, v112
	v_cmp_lt_u16_e64 s35, v113, v112
	v_cndmask_b32_e64 v112, v101, v38, s35
	v_cndmask_b32_e64 v38, v38, v101, s35
	v_mov_b32_e32 v101, v112
	s_or_b32 exec_lo, exec_lo, s38
	s_and_saveexec_b32 s38, s77
	s_cbranch_execnz .LBB240_1422
.LBB240_943:
	s_or_b32 exec_lo, exec_lo, s38
	s_and_saveexec_b32 s38, s78
	s_cbranch_execz .LBB240_1423
.LBB240_944:
	v_mov_b32_e32 v112, 0xcccd
	v_mul_u32_u24_sdwa v113, v96, v112 dst_sel:DWORD dst_unused:UNUSED_PAD src0_sel:WORD_0 src1_sel:DWORD
	v_mul_u32_u24_sdwa v112, v98, v112 dst_sel:DWORD dst_unused:UNUSED_PAD src0_sel:WORD_0 src1_sel:DWORD
	v_lshrrev_b32_e32 v113, 19, v113
	v_lshrrev_b32_e32 v112, 19, v112
	v_cmp_lt_u16_e64 s35, v113, v112
	v_cndmask_b32_e64 v112, v96, v98, s35
	v_cndmask_b32_e64 v98, v98, v96, s35
	v_mov_b32_e32 v96, v112
	s_or_b32 exec_lo, exec_lo, s38
	s_and_saveexec_b32 s38, s79
	s_cbranch_execnz .LBB240_1424
.LBB240_945:
	s_or_b32 exec_lo, exec_lo, s38
	s_and_saveexec_b32 s38, s88
	s_cbranch_execz .LBB240_1425
.LBB240_946:
	v_mov_b32_e32 v112, 0xcccd
	v_mul_u32_u24_sdwa v113, v84, v112 dst_sel:DWORD dst_unused:UNUSED_PAD src0_sel:WORD_0 src1_sel:DWORD
	v_mul_u32_u24_sdwa v112, v85, v112 dst_sel:DWORD dst_unused:UNUSED_PAD src0_sel:WORD_0 src1_sel:DWORD
	v_lshrrev_b32_e32 v113, 19, v113
	v_lshrrev_b32_e32 v112, 19, v112
	v_cmp_lt_u16_e64 s35, v113, v112
	v_cndmask_b32_e64 v112, v84, v85, s35
	v_cndmask_b32_e64 v85, v85, v84, s35
	v_mov_b32_e32 v84, v112
	s_or_b32 exec_lo, exec_lo, s38
	s_and_saveexec_b32 s38, s89
	s_cbranch_execnz .LBB240_1426
.LBB240_947:
	s_or_b32 exec_lo, exec_lo, s38
	s_and_saveexec_b32 s38, s90
	s_cbranch_execz .LBB240_1427
.LBB240_948:
	v_mov_b32_e32 v112, 0xcccd
	v_mul_u32_u24_sdwa v113, v80, v112 dst_sel:DWORD dst_unused:UNUSED_PAD src0_sel:WORD_0 src1_sel:DWORD
	v_mul_u32_u24_sdwa v112, v81, v112 dst_sel:DWORD dst_unused:UNUSED_PAD src0_sel:WORD_0 src1_sel:DWORD
	v_lshrrev_b32_e32 v113, 19, v113
	v_lshrrev_b32_e32 v112, 19, v112
	v_cmp_lt_u16_e64 s35, v113, v112
	v_cndmask_b32_e64 v112, v80, v81, s35
	v_cndmask_b32_e64 v81, v81, v80, s35
	v_mov_b32_e32 v80, v112
	s_or_b32 exec_lo, exec_lo, s38
	s_and_saveexec_b32 s38, s91
	s_cbranch_execnz .LBB240_1428
.LBB240_949:
	s_or_b32 exec_lo, exec_lo, s38
	s_and_saveexec_b32 s38, s92
	s_cbranch_execz .LBB240_1429
.LBB240_950:
	v_mov_b32_e32 v112, 0xcccd
	v_mul_u32_u24_sdwa v113, v68, v112 dst_sel:DWORD dst_unused:UNUSED_PAD src0_sel:WORD_0 src1_sel:DWORD
	v_mul_u32_u24_sdwa v112, v69, v112 dst_sel:DWORD dst_unused:UNUSED_PAD src0_sel:WORD_0 src1_sel:DWORD
	v_lshrrev_b32_e32 v113, 19, v113
	v_lshrrev_b32_e32 v112, 19, v112
	v_cmp_lt_u16_e64 s35, v113, v112
	v_cndmask_b32_e64 v112, v68, v69, s35
	v_cndmask_b32_e64 v69, v69, v68, s35
	v_mov_b32_e32 v68, v112
	s_or_b32 exec_lo, exec_lo, s38
	s_and_saveexec_b32 s38, s93
	s_cbranch_execnz .LBB240_1430
.LBB240_951:
	s_or_b32 exec_lo, exec_lo, s38
	s_and_saveexec_b32 s38, s94
	s_cbranch_execz .LBB240_1431
.LBB240_952:
	v_mov_b32_e32 v112, 0xcccd
	v_mul_u32_u24_sdwa v113, v64, v112 dst_sel:DWORD dst_unused:UNUSED_PAD src0_sel:WORD_0 src1_sel:DWORD
	v_mul_u32_u24_sdwa v112, v65, v112 dst_sel:DWORD dst_unused:UNUSED_PAD src0_sel:WORD_0 src1_sel:DWORD
	v_lshrrev_b32_e32 v113, 19, v113
	v_lshrrev_b32_e32 v112, 19, v112
	v_cmp_lt_u16_e64 s35, v113, v112
	v_cndmask_b32_e64 v112, v64, v65, s35
	v_cndmask_b32_e64 v65, v65, v64, s35
	v_mov_b32_e32 v64, v112
	s_or_b32 exec_lo, exec_lo, s38
	s_and_saveexec_b32 s38, s95
	s_cbranch_execnz .LBB240_1432
.LBB240_953:
	s_or_b32 exec_lo, exec_lo, s38
	s_and_saveexec_b32 s38, vcc_hi
	s_cbranch_execz .LBB240_1433
.LBB240_954:
	v_mov_b32_e32 v112, 0xcccd
	v_mul_u32_u24_sdwa v113, v51, v112 dst_sel:DWORD dst_unused:UNUSED_PAD src0_sel:WORD_0 src1_sel:DWORD
	v_mul_u32_u24_sdwa v112, v52, v112 dst_sel:DWORD dst_unused:UNUSED_PAD src0_sel:WORD_0 src1_sel:DWORD
	v_lshrrev_b32_e32 v113, 19, v113
	v_lshrrev_b32_e32 v112, 19, v112
	v_cmp_lt_u16_e64 s35, v113, v112
	v_cndmask_b32_e64 v112, v51, v52, s35
	v_cndmask_b32_e64 v52, v52, v51, s35
	v_mov_b32_e32 v51, v112
	s_or_b32 exec_lo, exec_lo, s38
	s_and_saveexec_b32 s38, s30
	s_cbranch_execnz .LBB240_1434
.LBB240_955:
	s_or_b32 exec_lo, exec_lo, s38
	s_and_saveexec_b32 s38, s31
	s_cbranch_execz .LBB240_1435
.LBB240_956:
	v_mov_b32_e32 v112, 0xcccd
	v_mul_u32_u24_sdwa v113, v48, v112 dst_sel:DWORD dst_unused:UNUSED_PAD src0_sel:WORD_0 src1_sel:DWORD
	v_mul_u32_u24_sdwa v112, v49, v112 dst_sel:DWORD dst_unused:UNUSED_PAD src0_sel:WORD_0 src1_sel:DWORD
	v_lshrrev_b32_e32 v113, 19, v113
	v_lshrrev_b32_e32 v112, 19, v112
	v_cmp_lt_u16_e64 s35, v113, v112
	v_cndmask_b32_e64 v112, v49, v48, s35
	v_cndmask_b32_e64 v48, v48, v49, s35
	v_mov_b32_e32 v49, v112
	s_or_b32 exec_lo, exec_lo, s38
	s_and_saveexec_b32 s38, s34
	s_cbranch_execnz .LBB240_1436
.LBB240_957:
	s_or_b32 exec_lo, exec_lo, s38
	s_and_saveexec_b32 s38, s8
	s_cbranch_execz .LBB240_1437
.LBB240_958:
	v_mov_b32_e32 v112, 0xcccd
	v_mul_u32_u24_sdwa v113, v100, v112 dst_sel:DWORD dst_unused:UNUSED_PAD src0_sel:WORD_0 src1_sel:DWORD
	v_mul_u32_u24_sdwa v112, v97, v112 dst_sel:DWORD dst_unused:UNUSED_PAD src0_sel:WORD_0 src1_sel:DWORD
	v_lshrrev_b32_e32 v113, 19, v113
	v_lshrrev_b32_e32 v112, 19, v112
	v_cmp_lt_u16_e64 s35, v113, v112
	v_cndmask_b32_e64 v112, v100, v97, s35
	v_cndmask_b32_e64 v97, v97, v100, s35
	v_mov_b32_e32 v100, v112
	s_or_b32 exec_lo, exec_lo, s38
	s_and_saveexec_b32 s38, s9
	s_cbranch_execnz .LBB240_1438
.LBB240_959:
	s_or_b32 exec_lo, exec_lo, s38
	s_and_saveexec_b32 s38, s12
	s_cbranch_execz .LBB240_1439
.LBB240_960:
	v_mov_b32_e32 v112, 0xcccd
	v_mul_u32_u24_sdwa v113, v87, v112 dst_sel:DWORD dst_unused:UNUSED_PAD src0_sel:WORD_0 src1_sel:DWORD
	v_mul_u32_u24_sdwa v112, v96, v112 dst_sel:DWORD dst_unused:UNUSED_PAD src0_sel:WORD_0 src1_sel:DWORD
	v_lshrrev_b32_e32 v113, 19, v113
	v_lshrrev_b32_e32 v112, 19, v112
	v_cmp_lt_u16_e64 s35, v113, v112
	v_cndmask_b32_e64 v112, v87, v96, s35
	v_cndmask_b32_e64 v96, v96, v87, s35
	v_mov_b32_e32 v87, v112
	s_or_b32 exec_lo, exec_lo, s38
	s_and_saveexec_b32 s38, s13
	s_cbranch_execnz .LBB240_1440
.LBB240_961:
	s_or_b32 exec_lo, exec_lo, s38
	s_and_saveexec_b32 s38, s57
	s_cbranch_execz .LBB240_1441
.LBB240_962:
	v_mov_b32_e32 v112, 0xcccd
	v_mul_u32_u24_sdwa v113, v83, v112 dst_sel:DWORD dst_unused:UNUSED_PAD src0_sel:WORD_0 src1_sel:DWORD
	v_mul_u32_u24_sdwa v112, v84, v112 dst_sel:DWORD dst_unused:UNUSED_PAD src0_sel:WORD_0 src1_sel:DWORD
	v_lshrrev_b32_e32 v113, 19, v113
	v_lshrrev_b32_e32 v112, 19, v112
	v_cmp_lt_u16_e64 s35, v113, v112
	v_cndmask_b32_e64 v112, v83, v84, s35
	v_cndmask_b32_e64 v84, v84, v83, s35
	v_mov_b32_e32 v83, v112
	s_or_b32 exec_lo, exec_lo, s38
	s_and_saveexec_b32 s38, s58
	s_cbranch_execnz .LBB240_1442
.LBB240_963:
	s_or_b32 exec_lo, exec_lo, s38
	s_and_saveexec_b32 s38, s59
	s_cbranch_execz .LBB240_1443
.LBB240_964:
	v_mov_b32_e32 v112, 0xcccd
	v_mul_u32_u24_sdwa v113, v71, v112 dst_sel:DWORD dst_unused:UNUSED_PAD src0_sel:WORD_0 src1_sel:DWORD
	v_mul_u32_u24_sdwa v112, v80, v112 dst_sel:DWORD dst_unused:UNUSED_PAD src0_sel:WORD_0 src1_sel:DWORD
	v_lshrrev_b32_e32 v113, 19, v113
	v_lshrrev_b32_e32 v112, 19, v112
	v_cmp_lt_u16_e64 s35, v113, v112
	v_cndmask_b32_e64 v112, v71, v80, s35
	v_cndmask_b32_e64 v80, v80, v71, s35
	v_mov_b32_e32 v71, v112
	s_or_b32 exec_lo, exec_lo, s38
	s_and_saveexec_b32 s38, s60
	s_cbranch_execnz .LBB240_1444
.LBB240_965:
	s_or_b32 exec_lo, exec_lo, s38
	s_and_saveexec_b32 s38, s61
	s_cbranch_execz .LBB240_1445
.LBB240_966:
	v_mov_b32_e32 v112, 0xcccd
	v_mul_u32_u24_sdwa v113, v67, v112 dst_sel:DWORD dst_unused:UNUSED_PAD src0_sel:WORD_0 src1_sel:DWORD
	v_mul_u32_u24_sdwa v112, v68, v112 dst_sel:DWORD dst_unused:UNUSED_PAD src0_sel:WORD_0 src1_sel:DWORD
	v_lshrrev_b32_e32 v113, 19, v113
	v_lshrrev_b32_e32 v112, 19, v112
	v_cmp_lt_u16_e64 s35, v113, v112
	v_cndmask_b32_e64 v112, v67, v68, s35
	v_cndmask_b32_e64 v68, v68, v67, s35
	v_mov_b32_e32 v67, v112
	s_or_b32 exec_lo, exec_lo, s38
	s_and_saveexec_b32 s38, s62
	s_cbranch_execnz .LBB240_1446
.LBB240_967:
	s_or_b32 exec_lo, exec_lo, s38
	s_and_saveexec_b32 s38, s63
	s_cbranch_execz .LBB240_1447
.LBB240_968:
	v_mov_b32_e32 v112, 0xcccd
	v_mul_u32_u24_sdwa v113, v55, v112 dst_sel:DWORD dst_unused:UNUSED_PAD src0_sel:WORD_0 src1_sel:DWORD
	v_mul_u32_u24_sdwa v112, v64, v112 dst_sel:DWORD dst_unused:UNUSED_PAD src0_sel:WORD_0 src1_sel:DWORD
	v_lshrrev_b32_e32 v113, 19, v113
	v_lshrrev_b32_e32 v112, 19, v112
	v_cmp_lt_u16_e64 s35, v113, v112
	v_cndmask_b32_e64 v112, v55, v64, s35
	v_cndmask_b32_e64 v64, v64, v55, s35
	v_mov_b32_e32 v55, v112
	s_or_b32 exec_lo, exec_lo, s38
	s_and_saveexec_b32 s38, s72
	s_cbranch_execnz .LBB240_1448
.LBB240_969:
	s_or_b32 exec_lo, exec_lo, s38
	s_and_saveexec_b32 s38, s73
	s_cbranch_execz .LBB240_1449
.LBB240_970:
	v_mov_b32_e32 v112, 0xcccd
	v_mul_u32_u24_sdwa v113, v54, v112 dst_sel:DWORD dst_unused:UNUSED_PAD src0_sel:WORD_0 src1_sel:DWORD
	v_mul_u32_u24_sdwa v112, v51, v112 dst_sel:DWORD dst_unused:UNUSED_PAD src0_sel:WORD_0 src1_sel:DWORD
	v_lshrrev_b32_e32 v113, 19, v113
	v_lshrrev_b32_e32 v112, 19, v112
	v_cmp_lt_u16_e64 s35, v113, v112
	v_cndmask_b32_e64 v112, v54, v51, s35
	v_cndmask_b32_e64 v51, v51, v54, s35
	v_mov_b32_e32 v54, v112
	s_or_b32 exec_lo, exec_lo, s38
	s_and_saveexec_b32 s38, s74
	s_cbranch_execnz .LBB240_1450
.LBB240_971:
	s_or_b32 exec_lo, exec_lo, s38
	s_and_saveexec_b32 s38, s75
	s_cbranch_execz .LBB240_1451
.LBB240_972:
	v_mov_b32_e32 v112, 0xcccd
	v_mul_u32_u24_sdwa v113, v39, v112 dst_sel:DWORD dst_unused:UNUSED_PAD src0_sel:WORD_0 src1_sel:DWORD
	v_mul_u32_u24_sdwa v112, v48, v112 dst_sel:DWORD dst_unused:UNUSED_PAD src0_sel:WORD_0 src1_sel:DWORD
	v_lshrrev_b32_e32 v113, 19, v113
	v_lshrrev_b32_e32 v112, 19, v112
	v_cmp_lt_u16_e64 s35, v113, v112
	v_cndmask_b32_e64 v112, v48, v39, s35
	v_cndmask_b32_e64 v39, v39, v48, s35
	v_mov_b32_e32 v48, v112
	s_or_b32 exec_lo, exec_lo, s38
	s_and_saveexec_b32 s38, s76
	s_cbranch_execnz .LBB240_1452
.LBB240_973:
	s_or_b32 exec_lo, exec_lo, s38
	s_and_saveexec_b32 s38, s77
	s_cbranch_execz .LBB240_1453
.LBB240_974:
	v_mov_b32_e32 v112, 0xcccd
	v_mul_u32_u24_sdwa v113, v99, v112 dst_sel:DWORD dst_unused:UNUSED_PAD src0_sel:WORD_0 src1_sel:DWORD
	v_mul_u32_u24_sdwa v112, v100, v112 dst_sel:DWORD dst_unused:UNUSED_PAD src0_sel:WORD_0 src1_sel:DWORD
	v_lshrrev_b32_e32 v113, 19, v113
	v_lshrrev_b32_e32 v112, 19, v112
	v_cmp_lt_u16_e64 s35, v113, v112
	v_cndmask_b32_e64 v112, v99, v100, s35
	v_cndmask_b32_e64 v100, v100, v99, s35
	v_mov_b32_e32 v99, v112
	s_or_b32 exec_lo, exec_lo, s38
	s_and_saveexec_b32 s38, s78
	s_cbranch_execnz .LBB240_1454
.LBB240_975:
	s_or_b32 exec_lo, exec_lo, s38
	s_and_saveexec_b32 s38, s79
	s_cbranch_execz .LBB240_1455
.LBB240_976:
	v_mov_b32_e32 v112, 0xcccd
	v_mul_u32_u24_sdwa v113, v86, v112 dst_sel:DWORD dst_unused:UNUSED_PAD src0_sel:WORD_0 src1_sel:DWORD
	v_mul_u32_u24_sdwa v112, v87, v112 dst_sel:DWORD dst_unused:UNUSED_PAD src0_sel:WORD_0 src1_sel:DWORD
	v_lshrrev_b32_e32 v113, 19, v113
	v_lshrrev_b32_e32 v112, 19, v112
	v_cmp_lt_u16_e64 s35, v113, v112
	v_cndmask_b32_e64 v112, v86, v87, s35
	v_cndmask_b32_e64 v87, v87, v86, s35
	v_mov_b32_e32 v86, v112
	s_or_b32 exec_lo, exec_lo, s38
	s_and_saveexec_b32 s38, s88
	s_cbranch_execnz .LBB240_1456
.LBB240_977:
	s_or_b32 exec_lo, exec_lo, s38
	s_and_saveexec_b32 s38, s89
	s_cbranch_execz .LBB240_1457
.LBB240_978:
	v_mov_b32_e32 v112, 0xcccd
	v_mul_u32_u24_sdwa v113, v82, v112 dst_sel:DWORD dst_unused:UNUSED_PAD src0_sel:WORD_0 src1_sel:DWORD
	v_mul_u32_u24_sdwa v112, v83, v112 dst_sel:DWORD dst_unused:UNUSED_PAD src0_sel:WORD_0 src1_sel:DWORD
	v_lshrrev_b32_e32 v113, 19, v113
	v_lshrrev_b32_e32 v112, 19, v112
	v_cmp_lt_u16_e64 s35, v113, v112
	v_cndmask_b32_e64 v112, v82, v83, s35
	v_cndmask_b32_e64 v83, v83, v82, s35
	v_mov_b32_e32 v82, v112
	s_or_b32 exec_lo, exec_lo, s38
	s_and_saveexec_b32 s38, s90
	s_cbranch_execnz .LBB240_1458
.LBB240_979:
	s_or_b32 exec_lo, exec_lo, s38
	s_and_saveexec_b32 s38, s91
	s_cbranch_execz .LBB240_1459
.LBB240_980:
	v_mov_b32_e32 v112, 0xcccd
	v_mul_u32_u24_sdwa v113, v70, v112 dst_sel:DWORD dst_unused:UNUSED_PAD src0_sel:WORD_0 src1_sel:DWORD
	v_mul_u32_u24_sdwa v112, v71, v112 dst_sel:DWORD dst_unused:UNUSED_PAD src0_sel:WORD_0 src1_sel:DWORD
	v_lshrrev_b32_e32 v113, 19, v113
	v_lshrrev_b32_e32 v112, 19, v112
	v_cmp_lt_u16_e64 s35, v113, v112
	v_cndmask_b32_e64 v112, v70, v71, s35
	v_cndmask_b32_e64 v71, v71, v70, s35
	v_mov_b32_e32 v70, v112
	s_or_b32 exec_lo, exec_lo, s38
	s_and_saveexec_b32 s38, s92
	s_cbranch_execnz .LBB240_1460
.LBB240_981:
	s_or_b32 exec_lo, exec_lo, s38
	s_and_saveexec_b32 s38, s93
	s_cbranch_execz .LBB240_1461
.LBB240_982:
	v_mov_b32_e32 v112, 0xcccd
	v_mul_u32_u24_sdwa v113, v66, v112 dst_sel:DWORD dst_unused:UNUSED_PAD src0_sel:WORD_0 src1_sel:DWORD
	v_mul_u32_u24_sdwa v112, v67, v112 dst_sel:DWORD dst_unused:UNUSED_PAD src0_sel:WORD_0 src1_sel:DWORD
	v_lshrrev_b32_e32 v113, 19, v113
	v_lshrrev_b32_e32 v112, 19, v112
	v_cmp_lt_u16_e64 s35, v113, v112
	v_cndmask_b32_e64 v112, v66, v67, s35
	v_cndmask_b32_e64 v67, v67, v66, s35
	v_mov_b32_e32 v66, v112
	s_or_b32 exec_lo, exec_lo, s38
	s_and_saveexec_b32 s38, s94
	s_cbranch_execnz .LBB240_1462
.LBB240_983:
	s_or_b32 exec_lo, exec_lo, s38
	s_and_saveexec_b32 s38, s95
	s_cbranch_execz .LBB240_1463
.LBB240_984:
	v_mov_b32_e32 v112, 0xcccd
	v_mul_u32_u24_sdwa v113, v53, v112 dst_sel:DWORD dst_unused:UNUSED_PAD src0_sel:WORD_0 src1_sel:DWORD
	v_mul_u32_u24_sdwa v112, v55, v112 dst_sel:DWORD dst_unused:UNUSED_PAD src0_sel:WORD_0 src1_sel:DWORD
	v_lshrrev_b32_e32 v113, 19, v113
	v_lshrrev_b32_e32 v112, 19, v112
	v_cmp_lt_u16_e64 s35, v113, v112
	v_cndmask_b32_e64 v112, v53, v55, s35
	v_cndmask_b32_e64 v55, v55, v53, s35
	v_mov_b32_e32 v53, v112
	s_or_b32 exec_lo, exec_lo, s38
	s_and_saveexec_b32 s38, vcc_hi
	s_cbranch_execnz .LBB240_1464
.LBB240_985:
	s_or_b32 exec_lo, exec_lo, s38
	s_and_saveexec_b32 s38, s30
	s_cbranch_execz .LBB240_1465
.LBB240_986:
	v_mov_b32_e32 v112, 0xcccd
	v_mul_u32_u24_sdwa v113, v50, v112 dst_sel:DWORD dst_unused:UNUSED_PAD src0_sel:WORD_0 src1_sel:DWORD
	v_mul_u32_u24_sdwa v112, v54, v112 dst_sel:DWORD dst_unused:UNUSED_PAD src0_sel:WORD_0 src1_sel:DWORD
	v_lshrrev_b32_e32 v113, 19, v113
	v_lshrrev_b32_e32 v112, 19, v112
	v_cmp_lt_u16_e64 s35, v113, v112
	v_cndmask_b32_e64 v112, v54, v50, s35
	v_cndmask_b32_e64 v50, v50, v54, s35
	v_mov_b32_e32 v54, v112
	s_or_b32 exec_lo, exec_lo, s38
	s_and_saveexec_b32 s38, s31
	s_cbranch_execnz .LBB240_1466
.LBB240_987:
	s_or_b32 exec_lo, exec_lo, s38
	s_and_saveexec_b32 s38, s34
	s_cbranch_execz .LBB240_1467
.LBB240_988:
	v_mov_b32_e32 v112, 0xcccd
	v_mul_u32_u24_sdwa v113, v101, v112 dst_sel:DWORD dst_unused:UNUSED_PAD src0_sel:WORD_0 src1_sel:DWORD
	v_mul_u32_u24_sdwa v112, v39, v112 dst_sel:DWORD dst_unused:UNUSED_PAD src0_sel:WORD_0 src1_sel:DWORD
	v_lshrrev_b32_e32 v113, 19, v113
	v_lshrrev_b32_e32 v112, 19, v112
	v_cmp_lt_u16_e64 s35, v113, v112
	v_cndmask_b32_e64 v112, v39, v101, s35
	v_cndmask_b32_e64 v101, v101, v39, s35
	v_mov_b32_e32 v39, v112
	s_or_b32 exec_lo, exec_lo, s38
	s_and_saveexec_b32 s38, s8
	s_cbranch_execnz .LBB240_1468
.LBB240_989:
	s_or_b32 exec_lo, exec_lo, s38
	s_and_saveexec_b32 s38, s9
	s_cbranch_execz .LBB240_1469
.LBB240_990:
	v_mov_b32_e32 v112, 0xcccd
	v_mul_u32_u24_sdwa v113, v98, v112 dst_sel:DWORD dst_unused:UNUSED_PAD src0_sel:WORD_0 src1_sel:DWORD
	v_mul_u32_u24_sdwa v112, v99, v112 dst_sel:DWORD dst_unused:UNUSED_PAD src0_sel:WORD_0 src1_sel:DWORD
	v_lshrrev_b32_e32 v113, 19, v113
	v_lshrrev_b32_e32 v112, 19, v112
	v_cmp_lt_u16_e64 s35, v113, v112
	v_cndmask_b32_e64 v112, v98, v99, s35
	v_cndmask_b32_e64 v99, v99, v98, s35
	v_mov_b32_e32 v98, v112
	s_or_b32 exec_lo, exec_lo, s38
	s_and_saveexec_b32 s38, s12
	s_cbranch_execnz .LBB240_1470
.LBB240_991:
	s_or_b32 exec_lo, exec_lo, s38
	s_and_saveexec_b32 s38, s13
	s_cbranch_execz .LBB240_1471
.LBB240_992:
	v_mov_b32_e32 v112, 0xcccd
	v_mul_u32_u24_sdwa v113, v85, v112 dst_sel:DWORD dst_unused:UNUSED_PAD src0_sel:WORD_0 src1_sel:DWORD
	v_mul_u32_u24_sdwa v112, v86, v112 dst_sel:DWORD dst_unused:UNUSED_PAD src0_sel:WORD_0 src1_sel:DWORD
	v_lshrrev_b32_e32 v113, 19, v113
	v_lshrrev_b32_e32 v112, 19, v112
	v_cmp_lt_u16_e64 s35, v113, v112
	v_cndmask_b32_e64 v112, v85, v86, s35
	v_cndmask_b32_e64 v86, v86, v85, s35
	v_mov_b32_e32 v85, v112
	s_or_b32 exec_lo, exec_lo, s38
	s_and_saveexec_b32 s38, s57
	s_cbranch_execnz .LBB240_1472
.LBB240_993:
	s_or_b32 exec_lo, exec_lo, s38
	s_and_saveexec_b32 s38, s58
	s_cbranch_execz .LBB240_1473
.LBB240_994:
	v_mov_b32_e32 v112, 0xcccd
	v_mul_u32_u24_sdwa v113, v81, v112 dst_sel:DWORD dst_unused:UNUSED_PAD src0_sel:WORD_0 src1_sel:DWORD
	v_mul_u32_u24_sdwa v112, v82, v112 dst_sel:DWORD dst_unused:UNUSED_PAD src0_sel:WORD_0 src1_sel:DWORD
	v_lshrrev_b32_e32 v113, 19, v113
	v_lshrrev_b32_e32 v112, 19, v112
	v_cmp_lt_u16_e64 s35, v113, v112
	v_cndmask_b32_e64 v112, v81, v82, s35
	v_cndmask_b32_e64 v82, v82, v81, s35
	v_mov_b32_e32 v81, v112
	s_or_b32 exec_lo, exec_lo, s38
	s_and_saveexec_b32 s38, s59
	s_cbranch_execnz .LBB240_1474
.LBB240_995:
	s_or_b32 exec_lo, exec_lo, s38
	s_and_saveexec_b32 s38, s60
	s_cbranch_execz .LBB240_1475
.LBB240_996:
	v_mov_b32_e32 v112, 0xcccd
	v_mul_u32_u24_sdwa v113, v69, v112 dst_sel:DWORD dst_unused:UNUSED_PAD src0_sel:WORD_0 src1_sel:DWORD
	v_mul_u32_u24_sdwa v112, v70, v112 dst_sel:DWORD dst_unused:UNUSED_PAD src0_sel:WORD_0 src1_sel:DWORD
	v_lshrrev_b32_e32 v113, 19, v113
	v_lshrrev_b32_e32 v112, 19, v112
	v_cmp_lt_u16_e64 s35, v113, v112
	v_cndmask_b32_e64 v112, v69, v70, s35
	v_cndmask_b32_e64 v70, v70, v69, s35
	v_mov_b32_e32 v69, v112
	s_or_b32 exec_lo, exec_lo, s38
	s_and_saveexec_b32 s38, s61
	s_cbranch_execnz .LBB240_1476
.LBB240_997:
	s_or_b32 exec_lo, exec_lo, s38
	s_and_saveexec_b32 s38, s62
	s_cbranch_execz .LBB240_1477
.LBB240_998:
	v_mov_b32_e32 v112, 0xcccd
	v_mul_u32_u24_sdwa v113, v65, v112 dst_sel:DWORD dst_unused:UNUSED_PAD src0_sel:WORD_0 src1_sel:DWORD
	v_mul_u32_u24_sdwa v112, v66, v112 dst_sel:DWORD dst_unused:UNUSED_PAD src0_sel:WORD_0 src1_sel:DWORD
	v_lshrrev_b32_e32 v113, 19, v113
	v_lshrrev_b32_e32 v112, 19, v112
	v_cmp_lt_u16_e64 s35, v113, v112
	v_cndmask_b32_e64 v112, v65, v66, s35
	v_cndmask_b32_e64 v66, v66, v65, s35
	v_mov_b32_e32 v65, v112
	s_or_b32 exec_lo, exec_lo, s38
	s_and_saveexec_b32 s38, s63
	s_cbranch_execnz .LBB240_1478
.LBB240_999:
	s_or_b32 exec_lo, exec_lo, s38
	s_and_saveexec_b32 s38, s72
	s_cbranch_execz .LBB240_1479
.LBB240_1000:
	v_mov_b32_e32 v112, 0xcccd
	v_mul_u32_u24_sdwa v113, v52, v112 dst_sel:DWORD dst_unused:UNUSED_PAD src0_sel:WORD_0 src1_sel:DWORD
	v_mul_u32_u24_sdwa v112, v53, v112 dst_sel:DWORD dst_unused:UNUSED_PAD src0_sel:WORD_0 src1_sel:DWORD
	v_lshrrev_b32_e32 v113, 19, v113
	v_lshrrev_b32_e32 v112, 19, v112
	v_cmp_lt_u16_e64 s35, v113, v112
	v_cndmask_b32_e64 v112, v52, v53, s35
	v_cndmask_b32_e64 v53, v53, v52, s35
	v_mov_b32_e32 v52, v112
	s_or_b32 exec_lo, exec_lo, s38
	s_and_saveexec_b32 s38, s73
	s_cbranch_execnz .LBB240_1480
.LBB240_1001:
	s_or_b32 exec_lo, exec_lo, s38
	s_and_saveexec_b32 s38, s74
	s_cbranch_execz .LBB240_1481
.LBB240_1002:
	v_mov_b32_e32 v112, 0xcccd
	v_mul_u32_u24_sdwa v113, v49, v112 dst_sel:DWORD dst_unused:UNUSED_PAD src0_sel:WORD_0 src1_sel:DWORD
	v_mul_u32_u24_sdwa v112, v50, v112 dst_sel:DWORD dst_unused:UNUSED_PAD src0_sel:WORD_0 src1_sel:DWORD
	v_lshrrev_b32_e32 v113, 19, v113
	v_lshrrev_b32_e32 v112, 19, v112
	v_cmp_lt_u16_e64 s35, v113, v112
	v_cndmask_b32_e64 v112, v50, v49, s35
	v_cndmask_b32_e64 v49, v49, v50, s35
	v_mov_b32_e32 v50, v112
	s_or_b32 exec_lo, exec_lo, s38
	s_and_saveexec_b32 s38, s75
	s_cbranch_execnz .LBB240_1482
.LBB240_1003:
	s_or_b32 exec_lo, exec_lo, s38
	s_and_saveexec_b32 s38, s76
	s_cbranch_execz .LBB240_1483
.LBB240_1004:
	v_mov_b32_e32 v112, 0xcccd
	v_mul_u32_u24_sdwa v113, v38, v112 dst_sel:DWORD dst_unused:UNUSED_PAD src0_sel:WORD_0 src1_sel:DWORD
	v_mul_u32_u24_sdwa v112, v101, v112 dst_sel:DWORD dst_unused:UNUSED_PAD src0_sel:WORD_0 src1_sel:DWORD
	v_lshrrev_b32_e32 v113, 19, v113
	v_lshrrev_b32_e32 v112, 19, v112
	v_cmp_lt_u16_e64 s35, v113, v112
	v_cndmask_b32_e64 v112, v101, v38, s35
	v_cndmask_b32_e64 v38, v38, v101, s35
	v_mov_b32_e32 v101, v112
	s_or_b32 exec_lo, exec_lo, s38
	s_and_saveexec_b32 s38, s77
	s_cbranch_execnz .LBB240_1484
.LBB240_1005:
	s_or_b32 exec_lo, exec_lo, s38
	s_and_saveexec_b32 s38, s78
	s_cbranch_execz .LBB240_1485
.LBB240_1006:
	v_mov_b32_e32 v112, 0xcccd
	v_mul_u32_u24_sdwa v113, v96, v112 dst_sel:DWORD dst_unused:UNUSED_PAD src0_sel:WORD_0 src1_sel:DWORD
	v_mul_u32_u24_sdwa v112, v98, v112 dst_sel:DWORD dst_unused:UNUSED_PAD src0_sel:WORD_0 src1_sel:DWORD
	v_lshrrev_b32_e32 v113, 19, v113
	v_lshrrev_b32_e32 v112, 19, v112
	v_cmp_lt_u16_e64 s35, v113, v112
	v_cndmask_b32_e64 v112, v96, v98, s35
	v_cndmask_b32_e64 v98, v98, v96, s35
	v_mov_b32_e32 v96, v112
	s_or_b32 exec_lo, exec_lo, s38
	s_and_saveexec_b32 s38, s79
	s_cbranch_execnz .LBB240_1486
.LBB240_1007:
	s_or_b32 exec_lo, exec_lo, s38
	s_and_saveexec_b32 s38, s88
	s_cbranch_execz .LBB240_1487
.LBB240_1008:
	v_mov_b32_e32 v112, 0xcccd
	v_mul_u32_u24_sdwa v113, v84, v112 dst_sel:DWORD dst_unused:UNUSED_PAD src0_sel:WORD_0 src1_sel:DWORD
	v_mul_u32_u24_sdwa v112, v85, v112 dst_sel:DWORD dst_unused:UNUSED_PAD src0_sel:WORD_0 src1_sel:DWORD
	v_lshrrev_b32_e32 v113, 19, v113
	v_lshrrev_b32_e32 v112, 19, v112
	v_cmp_lt_u16_e64 s35, v113, v112
	v_cndmask_b32_e64 v112, v84, v85, s35
	v_cndmask_b32_e64 v85, v85, v84, s35
	v_mov_b32_e32 v84, v112
	s_or_b32 exec_lo, exec_lo, s38
	s_and_saveexec_b32 s38, s89
	s_cbranch_execnz .LBB240_1488
.LBB240_1009:
	s_or_b32 exec_lo, exec_lo, s38
	s_and_saveexec_b32 s38, s90
	s_cbranch_execz .LBB240_1489
.LBB240_1010:
	v_mov_b32_e32 v112, 0xcccd
	v_mul_u32_u24_sdwa v113, v80, v112 dst_sel:DWORD dst_unused:UNUSED_PAD src0_sel:WORD_0 src1_sel:DWORD
	v_mul_u32_u24_sdwa v112, v81, v112 dst_sel:DWORD dst_unused:UNUSED_PAD src0_sel:WORD_0 src1_sel:DWORD
	v_lshrrev_b32_e32 v113, 19, v113
	v_lshrrev_b32_e32 v112, 19, v112
	v_cmp_lt_u16_e64 s35, v113, v112
	v_cndmask_b32_e64 v112, v80, v81, s35
	v_cndmask_b32_e64 v81, v81, v80, s35
	v_mov_b32_e32 v80, v112
	s_or_b32 exec_lo, exec_lo, s38
	s_and_saveexec_b32 s38, s91
	s_cbranch_execnz .LBB240_1490
.LBB240_1011:
	s_or_b32 exec_lo, exec_lo, s38
	s_and_saveexec_b32 s38, s92
	s_cbranch_execz .LBB240_1491
.LBB240_1012:
	v_mov_b32_e32 v112, 0xcccd
	v_mul_u32_u24_sdwa v113, v68, v112 dst_sel:DWORD dst_unused:UNUSED_PAD src0_sel:WORD_0 src1_sel:DWORD
	v_mul_u32_u24_sdwa v112, v69, v112 dst_sel:DWORD dst_unused:UNUSED_PAD src0_sel:WORD_0 src1_sel:DWORD
	v_lshrrev_b32_e32 v113, 19, v113
	v_lshrrev_b32_e32 v112, 19, v112
	v_cmp_lt_u16_e64 s35, v113, v112
	v_cndmask_b32_e64 v112, v68, v69, s35
	v_cndmask_b32_e64 v69, v69, v68, s35
	v_mov_b32_e32 v68, v112
	s_or_b32 exec_lo, exec_lo, s38
	s_and_saveexec_b32 s38, s93
	s_cbranch_execnz .LBB240_1492
.LBB240_1013:
	s_or_b32 exec_lo, exec_lo, s38
	s_and_saveexec_b32 s38, s94
	s_cbranch_execz .LBB240_1493
.LBB240_1014:
	v_mov_b32_e32 v112, 0xcccd
	v_mul_u32_u24_sdwa v113, v64, v112 dst_sel:DWORD dst_unused:UNUSED_PAD src0_sel:WORD_0 src1_sel:DWORD
	v_mul_u32_u24_sdwa v112, v65, v112 dst_sel:DWORD dst_unused:UNUSED_PAD src0_sel:WORD_0 src1_sel:DWORD
	v_lshrrev_b32_e32 v113, 19, v113
	v_lshrrev_b32_e32 v112, 19, v112
	v_cmp_lt_u16_e64 s35, v113, v112
	v_cndmask_b32_e64 v112, v64, v65, s35
	v_cndmask_b32_e64 v65, v65, v64, s35
	v_mov_b32_e32 v64, v112
	s_or_b32 exec_lo, exec_lo, s38
	s_and_saveexec_b32 s38, s95
	s_cbranch_execnz .LBB240_1494
.LBB240_1015:
	s_or_b32 exec_lo, exec_lo, s38
	s_and_saveexec_b32 s38, vcc_hi
	s_cbranch_execz .LBB240_1495
.LBB240_1016:
	v_mov_b32_e32 v112, 0xcccd
	v_mul_u32_u24_sdwa v113, v51, v112 dst_sel:DWORD dst_unused:UNUSED_PAD src0_sel:WORD_0 src1_sel:DWORD
	v_mul_u32_u24_sdwa v112, v52, v112 dst_sel:DWORD dst_unused:UNUSED_PAD src0_sel:WORD_0 src1_sel:DWORD
	v_lshrrev_b32_e32 v113, 19, v113
	v_lshrrev_b32_e32 v112, 19, v112
	v_cmp_lt_u16_e64 s35, v113, v112
	v_cndmask_b32_e64 v112, v51, v52, s35
	v_cndmask_b32_e64 v52, v52, v51, s35
	v_mov_b32_e32 v51, v112
	s_or_b32 exec_lo, exec_lo, s38
	s_and_saveexec_b32 s38, s30
	s_cbranch_execnz .LBB240_1496
.LBB240_1017:
	s_or_b32 exec_lo, exec_lo, s38
	s_and_saveexec_b32 s38, s31
	s_cbranch_execz .LBB240_1497
.LBB240_1018:
	v_mov_b32_e32 v112, 0xcccd
	v_mul_u32_u24_sdwa v113, v48, v112 dst_sel:DWORD dst_unused:UNUSED_PAD src0_sel:WORD_0 src1_sel:DWORD
	v_mul_u32_u24_sdwa v112, v49, v112 dst_sel:DWORD dst_unused:UNUSED_PAD src0_sel:WORD_0 src1_sel:DWORD
	v_lshrrev_b32_e32 v113, 19, v113
	v_lshrrev_b32_e32 v112, 19, v112
	v_cmp_lt_u16_e64 s35, v113, v112
	v_cndmask_b32_e64 v112, v49, v48, s35
	v_cndmask_b32_e64 v48, v48, v49, s35
	v_mov_b32_e32 v49, v112
	s_or_b32 exec_lo, exec_lo, s38
	s_and_saveexec_b32 s38, s34
	s_cbranch_execnz .LBB240_1498
.LBB240_1019:
	s_or_b32 exec_lo, exec_lo, s38
	s_and_saveexec_b32 s38, s8
	s_cbranch_execz .LBB240_1499
.LBB240_1020:
	v_mov_b32_e32 v112, 0xcccd
	v_mul_u32_u24_sdwa v113, v100, v112 dst_sel:DWORD dst_unused:UNUSED_PAD src0_sel:WORD_0 src1_sel:DWORD
	v_mul_u32_u24_sdwa v112, v97, v112 dst_sel:DWORD dst_unused:UNUSED_PAD src0_sel:WORD_0 src1_sel:DWORD
	v_lshrrev_b32_e32 v113, 19, v113
	v_lshrrev_b32_e32 v112, 19, v112
	v_cmp_lt_u16_e64 s35, v113, v112
	v_cndmask_b32_e64 v112, v100, v97, s35
	v_cndmask_b32_e64 v97, v97, v100, s35
	v_mov_b32_e32 v100, v112
	s_or_b32 exec_lo, exec_lo, s38
	s_and_saveexec_b32 s38, s9
	s_cbranch_execnz .LBB240_1500
.LBB240_1021:
	s_or_b32 exec_lo, exec_lo, s38
	s_and_saveexec_b32 s38, s12
	s_cbranch_execz .LBB240_1501
.LBB240_1022:
	v_mov_b32_e32 v112, 0xcccd
	v_mul_u32_u24_sdwa v113, v87, v112 dst_sel:DWORD dst_unused:UNUSED_PAD src0_sel:WORD_0 src1_sel:DWORD
	v_mul_u32_u24_sdwa v112, v96, v112 dst_sel:DWORD dst_unused:UNUSED_PAD src0_sel:WORD_0 src1_sel:DWORD
	v_lshrrev_b32_e32 v113, 19, v113
	v_lshrrev_b32_e32 v112, 19, v112
	v_cmp_lt_u16_e64 s35, v113, v112
	v_cndmask_b32_e64 v112, v87, v96, s35
	v_cndmask_b32_e64 v96, v96, v87, s35
	v_mov_b32_e32 v87, v112
	s_or_b32 exec_lo, exec_lo, s38
	s_and_saveexec_b32 s38, s13
	s_cbranch_execnz .LBB240_1502
.LBB240_1023:
	s_or_b32 exec_lo, exec_lo, s38
	s_and_saveexec_b32 s38, s57
	s_cbranch_execz .LBB240_1503
.LBB240_1024:
	v_mov_b32_e32 v112, 0xcccd
	v_mul_u32_u24_sdwa v113, v83, v112 dst_sel:DWORD dst_unused:UNUSED_PAD src0_sel:WORD_0 src1_sel:DWORD
	v_mul_u32_u24_sdwa v112, v84, v112 dst_sel:DWORD dst_unused:UNUSED_PAD src0_sel:WORD_0 src1_sel:DWORD
	v_lshrrev_b32_e32 v113, 19, v113
	v_lshrrev_b32_e32 v112, 19, v112
	v_cmp_lt_u16_e64 s35, v113, v112
	v_cndmask_b32_e64 v112, v83, v84, s35
	v_cndmask_b32_e64 v84, v84, v83, s35
	v_mov_b32_e32 v83, v112
	s_or_b32 exec_lo, exec_lo, s38
	s_and_saveexec_b32 s38, s58
	s_cbranch_execnz .LBB240_1504
.LBB240_1025:
	s_or_b32 exec_lo, exec_lo, s38
	s_and_saveexec_b32 s38, s59
	s_cbranch_execz .LBB240_1505
.LBB240_1026:
	v_mov_b32_e32 v112, 0xcccd
	v_mul_u32_u24_sdwa v113, v71, v112 dst_sel:DWORD dst_unused:UNUSED_PAD src0_sel:WORD_0 src1_sel:DWORD
	v_mul_u32_u24_sdwa v112, v80, v112 dst_sel:DWORD dst_unused:UNUSED_PAD src0_sel:WORD_0 src1_sel:DWORD
	v_lshrrev_b32_e32 v113, 19, v113
	v_lshrrev_b32_e32 v112, 19, v112
	v_cmp_lt_u16_e64 s35, v113, v112
	v_cndmask_b32_e64 v112, v71, v80, s35
	v_cndmask_b32_e64 v80, v80, v71, s35
	v_mov_b32_e32 v71, v112
	s_or_b32 exec_lo, exec_lo, s38
	s_and_saveexec_b32 s38, s60
	s_cbranch_execnz .LBB240_1506
.LBB240_1027:
	s_or_b32 exec_lo, exec_lo, s38
	s_and_saveexec_b32 s38, s61
	s_cbranch_execz .LBB240_1507
.LBB240_1028:
	v_mov_b32_e32 v112, 0xcccd
	v_mul_u32_u24_sdwa v113, v67, v112 dst_sel:DWORD dst_unused:UNUSED_PAD src0_sel:WORD_0 src1_sel:DWORD
	v_mul_u32_u24_sdwa v112, v68, v112 dst_sel:DWORD dst_unused:UNUSED_PAD src0_sel:WORD_0 src1_sel:DWORD
	v_lshrrev_b32_e32 v113, 19, v113
	v_lshrrev_b32_e32 v112, 19, v112
	v_cmp_lt_u16_e64 s35, v113, v112
	v_cndmask_b32_e64 v112, v67, v68, s35
	v_cndmask_b32_e64 v68, v68, v67, s35
	v_mov_b32_e32 v67, v112
	s_or_b32 exec_lo, exec_lo, s38
	s_and_saveexec_b32 s38, s62
	s_cbranch_execnz .LBB240_1508
.LBB240_1029:
	s_or_b32 exec_lo, exec_lo, s38
	s_and_saveexec_b32 s38, s63
	s_cbranch_execz .LBB240_1509
.LBB240_1030:
	v_mov_b32_e32 v112, 0xcccd
	v_mul_u32_u24_sdwa v113, v55, v112 dst_sel:DWORD dst_unused:UNUSED_PAD src0_sel:WORD_0 src1_sel:DWORD
	v_mul_u32_u24_sdwa v112, v64, v112 dst_sel:DWORD dst_unused:UNUSED_PAD src0_sel:WORD_0 src1_sel:DWORD
	v_lshrrev_b32_e32 v113, 19, v113
	v_lshrrev_b32_e32 v112, 19, v112
	v_cmp_lt_u16_e64 s35, v113, v112
	v_cndmask_b32_e64 v112, v55, v64, s35
	v_cndmask_b32_e64 v64, v64, v55, s35
	v_mov_b32_e32 v55, v112
	s_or_b32 exec_lo, exec_lo, s38
	s_and_saveexec_b32 s38, s72
	s_cbranch_execnz .LBB240_1510
.LBB240_1031:
	s_or_b32 exec_lo, exec_lo, s38
	s_and_saveexec_b32 s38, s73
	s_cbranch_execz .LBB240_1511
.LBB240_1032:
	v_mov_b32_e32 v112, 0xcccd
	v_mul_u32_u24_sdwa v113, v54, v112 dst_sel:DWORD dst_unused:UNUSED_PAD src0_sel:WORD_0 src1_sel:DWORD
	v_mul_u32_u24_sdwa v112, v51, v112 dst_sel:DWORD dst_unused:UNUSED_PAD src0_sel:WORD_0 src1_sel:DWORD
	v_lshrrev_b32_e32 v113, 19, v113
	v_lshrrev_b32_e32 v112, 19, v112
	v_cmp_lt_u16_e64 s35, v113, v112
	v_cndmask_b32_e64 v112, v54, v51, s35
	v_cndmask_b32_e64 v51, v51, v54, s35
	v_mov_b32_e32 v54, v112
	s_or_b32 exec_lo, exec_lo, s38
	s_and_saveexec_b32 s38, s74
	s_cbranch_execnz .LBB240_1512
.LBB240_1033:
	s_or_b32 exec_lo, exec_lo, s38
	s_and_saveexec_b32 s38, s75
	s_cbranch_execz .LBB240_1513
.LBB240_1034:
	v_mov_b32_e32 v112, 0xcccd
	v_mul_u32_u24_sdwa v113, v39, v112 dst_sel:DWORD dst_unused:UNUSED_PAD src0_sel:WORD_0 src1_sel:DWORD
	v_mul_u32_u24_sdwa v112, v48, v112 dst_sel:DWORD dst_unused:UNUSED_PAD src0_sel:WORD_0 src1_sel:DWORD
	v_lshrrev_b32_e32 v113, 19, v113
	v_lshrrev_b32_e32 v112, 19, v112
	v_cmp_lt_u16_e64 s35, v113, v112
	v_cndmask_b32_e64 v112, v48, v39, s35
	v_cndmask_b32_e64 v39, v39, v48, s35
	v_mov_b32_e32 v48, v112
	s_or_b32 exec_lo, exec_lo, s38
	s_and_saveexec_b32 s38, s76
	s_cbranch_execnz .LBB240_1514
.LBB240_1035:
	s_or_b32 exec_lo, exec_lo, s38
	s_and_saveexec_b32 s38, s77
	s_cbranch_execz .LBB240_1515
.LBB240_1036:
	v_mov_b32_e32 v112, 0xcccd
	v_mul_u32_u24_sdwa v113, v99, v112 dst_sel:DWORD dst_unused:UNUSED_PAD src0_sel:WORD_0 src1_sel:DWORD
	v_mul_u32_u24_sdwa v112, v100, v112 dst_sel:DWORD dst_unused:UNUSED_PAD src0_sel:WORD_0 src1_sel:DWORD
	v_lshrrev_b32_e32 v113, 19, v113
	v_lshrrev_b32_e32 v112, 19, v112
	v_cmp_lt_u16_e64 s35, v113, v112
	v_cndmask_b32_e64 v112, v99, v100, s35
	v_cndmask_b32_e64 v100, v100, v99, s35
	v_mov_b32_e32 v99, v112
	s_or_b32 exec_lo, exec_lo, s38
	s_and_saveexec_b32 s38, s78
	s_cbranch_execnz .LBB240_1516
.LBB240_1037:
	s_or_b32 exec_lo, exec_lo, s38
	s_and_saveexec_b32 s38, s79
	s_cbranch_execz .LBB240_1517
.LBB240_1038:
	v_mov_b32_e32 v112, 0xcccd
	v_mul_u32_u24_sdwa v113, v86, v112 dst_sel:DWORD dst_unused:UNUSED_PAD src0_sel:WORD_0 src1_sel:DWORD
	v_mul_u32_u24_sdwa v112, v87, v112 dst_sel:DWORD dst_unused:UNUSED_PAD src0_sel:WORD_0 src1_sel:DWORD
	v_lshrrev_b32_e32 v113, 19, v113
	v_lshrrev_b32_e32 v112, 19, v112
	v_cmp_lt_u16_e64 s35, v113, v112
	v_cndmask_b32_e64 v112, v86, v87, s35
	v_cndmask_b32_e64 v87, v87, v86, s35
	v_mov_b32_e32 v86, v112
	s_or_b32 exec_lo, exec_lo, s38
	s_and_saveexec_b32 s38, s88
	s_cbranch_execnz .LBB240_1518
.LBB240_1039:
	s_or_b32 exec_lo, exec_lo, s38
	s_and_saveexec_b32 s38, s89
	s_cbranch_execz .LBB240_1519
.LBB240_1040:
	v_mov_b32_e32 v112, 0xcccd
	v_mul_u32_u24_sdwa v113, v82, v112 dst_sel:DWORD dst_unused:UNUSED_PAD src0_sel:WORD_0 src1_sel:DWORD
	v_mul_u32_u24_sdwa v112, v83, v112 dst_sel:DWORD dst_unused:UNUSED_PAD src0_sel:WORD_0 src1_sel:DWORD
	v_lshrrev_b32_e32 v113, 19, v113
	v_lshrrev_b32_e32 v112, 19, v112
	v_cmp_lt_u16_e64 s35, v113, v112
	v_cndmask_b32_e64 v112, v82, v83, s35
	v_cndmask_b32_e64 v83, v83, v82, s35
	v_mov_b32_e32 v82, v112
	s_or_b32 exec_lo, exec_lo, s38
	s_and_saveexec_b32 s38, s90
	s_cbranch_execnz .LBB240_1520
.LBB240_1041:
	s_or_b32 exec_lo, exec_lo, s38
	s_and_saveexec_b32 s38, s91
	s_cbranch_execz .LBB240_1521
.LBB240_1042:
	v_mov_b32_e32 v112, 0xcccd
	v_mul_u32_u24_sdwa v113, v70, v112 dst_sel:DWORD dst_unused:UNUSED_PAD src0_sel:WORD_0 src1_sel:DWORD
	v_mul_u32_u24_sdwa v112, v71, v112 dst_sel:DWORD dst_unused:UNUSED_PAD src0_sel:WORD_0 src1_sel:DWORD
	v_lshrrev_b32_e32 v113, 19, v113
	v_lshrrev_b32_e32 v112, 19, v112
	v_cmp_lt_u16_e64 s35, v113, v112
	v_cndmask_b32_e64 v112, v70, v71, s35
	v_cndmask_b32_e64 v71, v71, v70, s35
	v_mov_b32_e32 v70, v112
	s_or_b32 exec_lo, exec_lo, s38
	s_and_saveexec_b32 s38, s92
	s_cbranch_execnz .LBB240_1522
.LBB240_1043:
	s_or_b32 exec_lo, exec_lo, s38
	s_and_saveexec_b32 s38, s93
	s_cbranch_execz .LBB240_1523
.LBB240_1044:
	v_mov_b32_e32 v112, 0xcccd
	v_mul_u32_u24_sdwa v113, v66, v112 dst_sel:DWORD dst_unused:UNUSED_PAD src0_sel:WORD_0 src1_sel:DWORD
	v_mul_u32_u24_sdwa v112, v67, v112 dst_sel:DWORD dst_unused:UNUSED_PAD src0_sel:WORD_0 src1_sel:DWORD
	v_lshrrev_b32_e32 v113, 19, v113
	v_lshrrev_b32_e32 v112, 19, v112
	v_cmp_lt_u16_e64 s35, v113, v112
	v_cndmask_b32_e64 v112, v66, v67, s35
	v_cndmask_b32_e64 v67, v67, v66, s35
	v_mov_b32_e32 v66, v112
	s_or_b32 exec_lo, exec_lo, s38
	s_and_saveexec_b32 s38, s94
	s_cbranch_execnz .LBB240_1524
.LBB240_1045:
	s_or_b32 exec_lo, exec_lo, s38
	s_and_saveexec_b32 s38, s95
	s_cbranch_execz .LBB240_1525
.LBB240_1046:
	v_mov_b32_e32 v112, 0xcccd
	v_mul_u32_u24_sdwa v113, v53, v112 dst_sel:DWORD dst_unused:UNUSED_PAD src0_sel:WORD_0 src1_sel:DWORD
	v_mul_u32_u24_sdwa v112, v55, v112 dst_sel:DWORD dst_unused:UNUSED_PAD src0_sel:WORD_0 src1_sel:DWORD
	v_lshrrev_b32_e32 v113, 19, v113
	v_lshrrev_b32_e32 v112, 19, v112
	v_cmp_lt_u16_e64 s35, v113, v112
	v_cndmask_b32_e64 v112, v53, v55, s35
	v_cndmask_b32_e64 v55, v55, v53, s35
	v_mov_b32_e32 v53, v112
	s_or_b32 exec_lo, exec_lo, s38
	s_and_saveexec_b32 s38, vcc_hi
	s_cbranch_execnz .LBB240_1526
.LBB240_1047:
	s_or_b32 exec_lo, exec_lo, s38
	s_and_saveexec_b32 s38, s30
	s_cbranch_execz .LBB240_1527
.LBB240_1048:
	v_mov_b32_e32 v112, 0xcccd
	v_mul_u32_u24_sdwa v113, v50, v112 dst_sel:DWORD dst_unused:UNUSED_PAD src0_sel:WORD_0 src1_sel:DWORD
	v_mul_u32_u24_sdwa v112, v54, v112 dst_sel:DWORD dst_unused:UNUSED_PAD src0_sel:WORD_0 src1_sel:DWORD
	v_lshrrev_b32_e32 v113, 19, v113
	v_lshrrev_b32_e32 v112, 19, v112
	v_cmp_lt_u16_e64 s35, v113, v112
	v_cndmask_b32_e64 v112, v54, v50, s35
	v_cndmask_b32_e64 v50, v50, v54, s35
	v_mov_b32_e32 v54, v112
	s_or_b32 exec_lo, exec_lo, s38
	s_and_saveexec_b32 s38, s31
	s_cbranch_execnz .LBB240_1528
.LBB240_1049:
	s_or_b32 exec_lo, exec_lo, s38
	s_and_saveexec_b32 s38, s34
	s_cbranch_execz .LBB240_1529
.LBB240_1050:
	v_mov_b32_e32 v112, 0xcccd
	v_mul_u32_u24_sdwa v113, v101, v112 dst_sel:DWORD dst_unused:UNUSED_PAD src0_sel:WORD_0 src1_sel:DWORD
	v_mul_u32_u24_sdwa v112, v39, v112 dst_sel:DWORD dst_unused:UNUSED_PAD src0_sel:WORD_0 src1_sel:DWORD
	v_lshrrev_b32_e32 v113, 19, v113
	v_lshrrev_b32_e32 v112, 19, v112
	v_cmp_lt_u16_e64 s35, v113, v112
	v_cndmask_b32_e64 v112, v39, v101, s35
	v_cndmask_b32_e64 v101, v101, v39, s35
	v_mov_b32_e32 v39, v112
	s_or_b32 exec_lo, exec_lo, s38
	s_and_saveexec_b32 s38, s8
	s_cbranch_execnz .LBB240_1530
.LBB240_1051:
	s_or_b32 exec_lo, exec_lo, s38
	s_and_saveexec_b32 s38, s9
	s_cbranch_execz .LBB240_1531
.LBB240_1052:
	v_mov_b32_e32 v112, 0xcccd
	v_mul_u32_u24_sdwa v113, v98, v112 dst_sel:DWORD dst_unused:UNUSED_PAD src0_sel:WORD_0 src1_sel:DWORD
	v_mul_u32_u24_sdwa v112, v99, v112 dst_sel:DWORD dst_unused:UNUSED_PAD src0_sel:WORD_0 src1_sel:DWORD
	v_lshrrev_b32_e32 v113, 19, v113
	v_lshrrev_b32_e32 v112, 19, v112
	v_cmp_lt_u16_e64 s35, v113, v112
	v_cndmask_b32_e64 v112, v98, v99, s35
	v_cndmask_b32_e64 v99, v99, v98, s35
	v_mov_b32_e32 v98, v112
	s_or_b32 exec_lo, exec_lo, s38
	s_and_saveexec_b32 s38, s12
	s_cbranch_execnz .LBB240_1532
.LBB240_1053:
	s_or_b32 exec_lo, exec_lo, s38
	s_and_saveexec_b32 s38, s13
	s_cbranch_execz .LBB240_1533
.LBB240_1054:
	v_mov_b32_e32 v112, 0xcccd
	v_mul_u32_u24_sdwa v113, v85, v112 dst_sel:DWORD dst_unused:UNUSED_PAD src0_sel:WORD_0 src1_sel:DWORD
	v_mul_u32_u24_sdwa v112, v86, v112 dst_sel:DWORD dst_unused:UNUSED_PAD src0_sel:WORD_0 src1_sel:DWORD
	v_lshrrev_b32_e32 v113, 19, v113
	v_lshrrev_b32_e32 v112, 19, v112
	v_cmp_lt_u16_e64 s35, v113, v112
	v_cndmask_b32_e64 v112, v85, v86, s35
	v_cndmask_b32_e64 v86, v86, v85, s35
	v_mov_b32_e32 v85, v112
	s_or_b32 exec_lo, exec_lo, s38
	s_and_saveexec_b32 s38, s57
	s_cbranch_execnz .LBB240_1534
.LBB240_1055:
	s_or_b32 exec_lo, exec_lo, s38
	s_and_saveexec_b32 s38, s58
	s_cbranch_execz .LBB240_1535
.LBB240_1056:
	v_mov_b32_e32 v112, 0xcccd
	v_mul_u32_u24_sdwa v113, v81, v112 dst_sel:DWORD dst_unused:UNUSED_PAD src0_sel:WORD_0 src1_sel:DWORD
	v_mul_u32_u24_sdwa v112, v82, v112 dst_sel:DWORD dst_unused:UNUSED_PAD src0_sel:WORD_0 src1_sel:DWORD
	v_lshrrev_b32_e32 v113, 19, v113
	v_lshrrev_b32_e32 v112, 19, v112
	v_cmp_lt_u16_e64 s35, v113, v112
	v_cndmask_b32_e64 v112, v81, v82, s35
	v_cndmask_b32_e64 v82, v82, v81, s35
	v_mov_b32_e32 v81, v112
	s_or_b32 exec_lo, exec_lo, s38
	s_and_saveexec_b32 s38, s59
	s_cbranch_execnz .LBB240_1536
.LBB240_1057:
	s_or_b32 exec_lo, exec_lo, s38
	s_and_saveexec_b32 s38, s60
	s_cbranch_execz .LBB240_1537
.LBB240_1058:
	v_mov_b32_e32 v112, 0xcccd
	v_mul_u32_u24_sdwa v113, v69, v112 dst_sel:DWORD dst_unused:UNUSED_PAD src0_sel:WORD_0 src1_sel:DWORD
	v_mul_u32_u24_sdwa v112, v70, v112 dst_sel:DWORD dst_unused:UNUSED_PAD src0_sel:WORD_0 src1_sel:DWORD
	v_lshrrev_b32_e32 v113, 19, v113
	v_lshrrev_b32_e32 v112, 19, v112
	v_cmp_lt_u16_e64 s35, v113, v112
	v_cndmask_b32_e64 v112, v69, v70, s35
	v_cndmask_b32_e64 v70, v70, v69, s35
	v_mov_b32_e32 v69, v112
	s_or_b32 exec_lo, exec_lo, s38
	s_and_saveexec_b32 s38, s61
	s_cbranch_execnz .LBB240_1538
.LBB240_1059:
	s_or_b32 exec_lo, exec_lo, s38
	s_and_saveexec_b32 s38, s62
	s_cbranch_execz .LBB240_1539
.LBB240_1060:
	v_mov_b32_e32 v112, 0xcccd
	v_mul_u32_u24_sdwa v113, v65, v112 dst_sel:DWORD dst_unused:UNUSED_PAD src0_sel:WORD_0 src1_sel:DWORD
	v_mul_u32_u24_sdwa v112, v66, v112 dst_sel:DWORD dst_unused:UNUSED_PAD src0_sel:WORD_0 src1_sel:DWORD
	v_lshrrev_b32_e32 v113, 19, v113
	v_lshrrev_b32_e32 v112, 19, v112
	v_cmp_lt_u16_e64 s35, v113, v112
	v_cndmask_b32_e64 v112, v65, v66, s35
	v_cndmask_b32_e64 v66, v66, v65, s35
	v_mov_b32_e32 v65, v112
	s_or_b32 exec_lo, exec_lo, s38
	s_and_saveexec_b32 s38, s63
	s_cbranch_execnz .LBB240_1540
.LBB240_1061:
	s_or_b32 exec_lo, exec_lo, s38
	s_and_saveexec_b32 s38, s72
	s_cbranch_execz .LBB240_1541
.LBB240_1062:
	v_mov_b32_e32 v112, 0xcccd
	v_mul_u32_u24_sdwa v113, v52, v112 dst_sel:DWORD dst_unused:UNUSED_PAD src0_sel:WORD_0 src1_sel:DWORD
	v_mul_u32_u24_sdwa v112, v53, v112 dst_sel:DWORD dst_unused:UNUSED_PAD src0_sel:WORD_0 src1_sel:DWORD
	v_lshrrev_b32_e32 v113, 19, v113
	v_lshrrev_b32_e32 v112, 19, v112
	v_cmp_lt_u16_e64 s35, v113, v112
	v_cndmask_b32_e64 v112, v52, v53, s35
	v_cndmask_b32_e64 v53, v53, v52, s35
	v_mov_b32_e32 v52, v112
	s_or_b32 exec_lo, exec_lo, s38
	s_and_saveexec_b32 s38, s73
	s_cbranch_execnz .LBB240_1542
.LBB240_1063:
	s_or_b32 exec_lo, exec_lo, s38
	s_and_saveexec_b32 s38, s74
	s_cbranch_execz .LBB240_1543
.LBB240_1064:
	v_mov_b32_e32 v112, 0xcccd
	v_mul_u32_u24_sdwa v113, v49, v112 dst_sel:DWORD dst_unused:UNUSED_PAD src0_sel:WORD_0 src1_sel:DWORD
	v_mul_u32_u24_sdwa v112, v50, v112 dst_sel:DWORD dst_unused:UNUSED_PAD src0_sel:WORD_0 src1_sel:DWORD
	v_lshrrev_b32_e32 v113, 19, v113
	v_lshrrev_b32_e32 v112, 19, v112
	v_cmp_lt_u16_e64 s35, v113, v112
	v_cndmask_b32_e64 v112, v50, v49, s35
	v_cndmask_b32_e64 v49, v49, v50, s35
	v_mov_b32_e32 v50, v112
	s_or_b32 exec_lo, exec_lo, s38
	s_and_saveexec_b32 s38, s75
	s_cbranch_execnz .LBB240_1544
.LBB240_1065:
	s_or_b32 exec_lo, exec_lo, s38
	s_and_saveexec_b32 s38, s76
	s_cbranch_execz .LBB240_1545
.LBB240_1066:
	v_mov_b32_e32 v112, 0xcccd
	v_mul_u32_u24_sdwa v113, v38, v112 dst_sel:DWORD dst_unused:UNUSED_PAD src0_sel:WORD_0 src1_sel:DWORD
	v_mul_u32_u24_sdwa v112, v101, v112 dst_sel:DWORD dst_unused:UNUSED_PAD src0_sel:WORD_0 src1_sel:DWORD
	v_lshrrev_b32_e32 v113, 19, v113
	v_lshrrev_b32_e32 v112, 19, v112
	v_cmp_lt_u16_e64 s35, v113, v112
	v_cndmask_b32_e64 v112, v101, v38, s35
	v_cndmask_b32_e64 v38, v38, v101, s35
	v_mov_b32_e32 v101, v112
	s_or_b32 exec_lo, exec_lo, s38
	s_and_saveexec_b32 s38, s77
	s_cbranch_execnz .LBB240_1546
.LBB240_1067:
	s_or_b32 exec_lo, exec_lo, s38
	s_and_saveexec_b32 s38, s78
	s_cbranch_execz .LBB240_1547
.LBB240_1068:
	v_mov_b32_e32 v112, 0xcccd
	v_mul_u32_u24_sdwa v113, v96, v112 dst_sel:DWORD dst_unused:UNUSED_PAD src0_sel:WORD_0 src1_sel:DWORD
	v_mul_u32_u24_sdwa v112, v98, v112 dst_sel:DWORD dst_unused:UNUSED_PAD src0_sel:WORD_0 src1_sel:DWORD
	v_lshrrev_b32_e32 v113, 19, v113
	v_lshrrev_b32_e32 v112, 19, v112
	v_cmp_lt_u16_e64 s35, v113, v112
	v_cndmask_b32_e64 v112, v96, v98, s35
	v_cndmask_b32_e64 v98, v98, v96, s35
	v_mov_b32_e32 v96, v112
	s_or_b32 exec_lo, exec_lo, s38
	s_and_saveexec_b32 s38, s79
	s_cbranch_execnz .LBB240_1548
.LBB240_1069:
	s_or_b32 exec_lo, exec_lo, s38
	s_and_saveexec_b32 s38, s88
	s_cbranch_execz .LBB240_1549
.LBB240_1070:
	v_mov_b32_e32 v112, 0xcccd
	v_mul_u32_u24_sdwa v113, v84, v112 dst_sel:DWORD dst_unused:UNUSED_PAD src0_sel:WORD_0 src1_sel:DWORD
	v_mul_u32_u24_sdwa v112, v85, v112 dst_sel:DWORD dst_unused:UNUSED_PAD src0_sel:WORD_0 src1_sel:DWORD
	v_lshrrev_b32_e32 v113, 19, v113
	v_lshrrev_b32_e32 v112, 19, v112
	v_cmp_lt_u16_e64 s35, v113, v112
	v_cndmask_b32_e64 v112, v84, v85, s35
	v_cndmask_b32_e64 v85, v85, v84, s35
	v_mov_b32_e32 v84, v112
	s_or_b32 exec_lo, exec_lo, s38
	s_and_saveexec_b32 s38, s89
	s_cbranch_execnz .LBB240_1550
.LBB240_1071:
	s_or_b32 exec_lo, exec_lo, s38
	s_and_saveexec_b32 s38, s90
	s_cbranch_execz .LBB240_1551
.LBB240_1072:
	v_mov_b32_e32 v112, 0xcccd
	v_mul_u32_u24_sdwa v113, v80, v112 dst_sel:DWORD dst_unused:UNUSED_PAD src0_sel:WORD_0 src1_sel:DWORD
	v_mul_u32_u24_sdwa v112, v81, v112 dst_sel:DWORD dst_unused:UNUSED_PAD src0_sel:WORD_0 src1_sel:DWORD
	v_lshrrev_b32_e32 v113, 19, v113
	v_lshrrev_b32_e32 v112, 19, v112
	v_cmp_lt_u16_e64 s35, v113, v112
	v_cndmask_b32_e64 v112, v80, v81, s35
	v_cndmask_b32_e64 v81, v81, v80, s35
	v_mov_b32_e32 v80, v112
	s_or_b32 exec_lo, exec_lo, s38
	s_and_saveexec_b32 s38, s91
	s_cbranch_execnz .LBB240_1552
.LBB240_1073:
	s_or_b32 exec_lo, exec_lo, s38
	s_and_saveexec_b32 s38, s92
	s_cbranch_execz .LBB240_1553
.LBB240_1074:
	v_mov_b32_e32 v112, 0xcccd
	v_mul_u32_u24_sdwa v113, v68, v112 dst_sel:DWORD dst_unused:UNUSED_PAD src0_sel:WORD_0 src1_sel:DWORD
	v_mul_u32_u24_sdwa v112, v69, v112 dst_sel:DWORD dst_unused:UNUSED_PAD src0_sel:WORD_0 src1_sel:DWORD
	v_lshrrev_b32_e32 v113, 19, v113
	v_lshrrev_b32_e32 v112, 19, v112
	v_cmp_lt_u16_e64 s35, v113, v112
	v_cndmask_b32_e64 v112, v68, v69, s35
	v_cndmask_b32_e64 v69, v69, v68, s35
	v_mov_b32_e32 v68, v112
	s_or_b32 exec_lo, exec_lo, s38
	s_and_saveexec_b32 s38, s93
	s_cbranch_execnz .LBB240_1554
.LBB240_1075:
	s_or_b32 exec_lo, exec_lo, s38
	s_and_saveexec_b32 s38, s94
	s_cbranch_execz .LBB240_1555
.LBB240_1076:
	v_mov_b32_e32 v112, 0xcccd
	v_mul_u32_u24_sdwa v113, v64, v112 dst_sel:DWORD dst_unused:UNUSED_PAD src0_sel:WORD_0 src1_sel:DWORD
	v_mul_u32_u24_sdwa v112, v65, v112 dst_sel:DWORD dst_unused:UNUSED_PAD src0_sel:WORD_0 src1_sel:DWORD
	v_lshrrev_b32_e32 v113, 19, v113
	v_lshrrev_b32_e32 v112, 19, v112
	v_cmp_lt_u16_e64 s35, v113, v112
	v_cndmask_b32_e64 v112, v64, v65, s35
	v_cndmask_b32_e64 v65, v65, v64, s35
	v_mov_b32_e32 v64, v112
	s_or_b32 exec_lo, exec_lo, s38
	s_and_saveexec_b32 s38, s95
	s_cbranch_execnz .LBB240_1556
.LBB240_1077:
	s_or_b32 exec_lo, exec_lo, s38
	s_and_saveexec_b32 s38, vcc_hi
	s_cbranch_execz .LBB240_1557
.LBB240_1078:
	v_mov_b32_e32 v112, 0xcccd
	v_mul_u32_u24_sdwa v113, v51, v112 dst_sel:DWORD dst_unused:UNUSED_PAD src0_sel:WORD_0 src1_sel:DWORD
	v_mul_u32_u24_sdwa v112, v52, v112 dst_sel:DWORD dst_unused:UNUSED_PAD src0_sel:WORD_0 src1_sel:DWORD
	v_lshrrev_b32_e32 v113, 19, v113
	v_lshrrev_b32_e32 v112, 19, v112
	v_cmp_lt_u16_e64 s35, v113, v112
	v_cndmask_b32_e64 v112, v51, v52, s35
	v_cndmask_b32_e64 v52, v52, v51, s35
	v_mov_b32_e32 v51, v112
	s_or_b32 exec_lo, exec_lo, s38
	s_and_saveexec_b32 s38, s30
	s_cbranch_execnz .LBB240_1558
.LBB240_1079:
	s_or_b32 exec_lo, exec_lo, s38
	s_and_saveexec_b32 s38, s31
	s_cbranch_execz .LBB240_1559
.LBB240_1080:
	v_mov_b32_e32 v112, 0xcccd
	v_mul_u32_u24_sdwa v113, v48, v112 dst_sel:DWORD dst_unused:UNUSED_PAD src0_sel:WORD_0 src1_sel:DWORD
	v_mul_u32_u24_sdwa v112, v49, v112 dst_sel:DWORD dst_unused:UNUSED_PAD src0_sel:WORD_0 src1_sel:DWORD
	v_lshrrev_b32_e32 v113, 19, v113
	v_lshrrev_b32_e32 v112, 19, v112
	v_cmp_lt_u16_e64 s35, v113, v112
	v_cndmask_b32_e64 v112, v49, v48, s35
	v_cndmask_b32_e64 v48, v48, v49, s35
	v_mov_b32_e32 v49, v112
	s_or_b32 exec_lo, exec_lo, s38
	s_and_saveexec_b32 s38, s34
	s_cbranch_execnz .LBB240_1560
.LBB240_1081:
	s_or_b32 exec_lo, exec_lo, s38
	s_and_saveexec_b32 s38, s8
	s_cbranch_execz .LBB240_1561
.LBB240_1082:
	v_mov_b32_e32 v112, 0xcccd
	v_mul_u32_u24_sdwa v113, v100, v112 dst_sel:DWORD dst_unused:UNUSED_PAD src0_sel:WORD_0 src1_sel:DWORD
	v_mul_u32_u24_sdwa v112, v97, v112 dst_sel:DWORD dst_unused:UNUSED_PAD src0_sel:WORD_0 src1_sel:DWORD
	v_lshrrev_b32_e32 v113, 19, v113
	v_lshrrev_b32_e32 v112, 19, v112
	v_cmp_lt_u16_e64 s35, v113, v112
	v_cndmask_b32_e64 v112, v100, v97, s35
	v_cndmask_b32_e64 v97, v97, v100, s35
	v_mov_b32_e32 v100, v112
	s_or_b32 exec_lo, exec_lo, s38
	s_and_saveexec_b32 s38, s9
	s_cbranch_execnz .LBB240_1562
.LBB240_1083:
	s_or_b32 exec_lo, exec_lo, s38
	s_and_saveexec_b32 s38, s12
	s_cbranch_execz .LBB240_1563
.LBB240_1084:
	v_mov_b32_e32 v112, 0xcccd
	v_mul_u32_u24_sdwa v113, v87, v112 dst_sel:DWORD dst_unused:UNUSED_PAD src0_sel:WORD_0 src1_sel:DWORD
	v_mul_u32_u24_sdwa v112, v96, v112 dst_sel:DWORD dst_unused:UNUSED_PAD src0_sel:WORD_0 src1_sel:DWORD
	v_lshrrev_b32_e32 v113, 19, v113
	v_lshrrev_b32_e32 v112, 19, v112
	v_cmp_lt_u16_e64 s35, v113, v112
	v_cndmask_b32_e64 v112, v87, v96, s35
	v_cndmask_b32_e64 v96, v96, v87, s35
	v_mov_b32_e32 v87, v112
	s_or_b32 exec_lo, exec_lo, s38
	s_and_saveexec_b32 s38, s13
	s_cbranch_execnz .LBB240_1564
.LBB240_1085:
	s_or_b32 exec_lo, exec_lo, s38
	s_and_saveexec_b32 s38, s57
	s_cbranch_execz .LBB240_1565
.LBB240_1086:
	v_mov_b32_e32 v112, 0xcccd
	v_mul_u32_u24_sdwa v113, v83, v112 dst_sel:DWORD dst_unused:UNUSED_PAD src0_sel:WORD_0 src1_sel:DWORD
	v_mul_u32_u24_sdwa v112, v84, v112 dst_sel:DWORD dst_unused:UNUSED_PAD src0_sel:WORD_0 src1_sel:DWORD
	v_lshrrev_b32_e32 v113, 19, v113
	v_lshrrev_b32_e32 v112, 19, v112
	v_cmp_lt_u16_e64 s35, v113, v112
	v_cndmask_b32_e64 v112, v83, v84, s35
	v_cndmask_b32_e64 v84, v84, v83, s35
	v_mov_b32_e32 v83, v112
	s_or_b32 exec_lo, exec_lo, s38
	s_and_saveexec_b32 s38, s58
	s_cbranch_execnz .LBB240_1566
.LBB240_1087:
	s_or_b32 exec_lo, exec_lo, s38
	s_and_saveexec_b32 s38, s59
	s_cbranch_execz .LBB240_1567
.LBB240_1088:
	v_mov_b32_e32 v112, 0xcccd
	v_mul_u32_u24_sdwa v113, v71, v112 dst_sel:DWORD dst_unused:UNUSED_PAD src0_sel:WORD_0 src1_sel:DWORD
	v_mul_u32_u24_sdwa v112, v80, v112 dst_sel:DWORD dst_unused:UNUSED_PAD src0_sel:WORD_0 src1_sel:DWORD
	v_lshrrev_b32_e32 v113, 19, v113
	v_lshrrev_b32_e32 v112, 19, v112
	v_cmp_lt_u16_e64 s35, v113, v112
	v_cndmask_b32_e64 v112, v71, v80, s35
	v_cndmask_b32_e64 v80, v80, v71, s35
	v_mov_b32_e32 v71, v112
	s_or_b32 exec_lo, exec_lo, s38
	s_and_saveexec_b32 s38, s60
	s_cbranch_execnz .LBB240_1568
.LBB240_1089:
	s_or_b32 exec_lo, exec_lo, s38
	s_and_saveexec_b32 s38, s61
	s_cbranch_execz .LBB240_1569
.LBB240_1090:
	v_mov_b32_e32 v112, 0xcccd
	v_mul_u32_u24_sdwa v113, v67, v112 dst_sel:DWORD dst_unused:UNUSED_PAD src0_sel:WORD_0 src1_sel:DWORD
	v_mul_u32_u24_sdwa v112, v68, v112 dst_sel:DWORD dst_unused:UNUSED_PAD src0_sel:WORD_0 src1_sel:DWORD
	v_lshrrev_b32_e32 v113, 19, v113
	v_lshrrev_b32_e32 v112, 19, v112
	v_cmp_lt_u16_e64 s35, v113, v112
	v_cndmask_b32_e64 v112, v67, v68, s35
	v_cndmask_b32_e64 v68, v68, v67, s35
	v_mov_b32_e32 v67, v112
	s_or_b32 exec_lo, exec_lo, s38
	s_and_saveexec_b32 s38, s62
	s_cbranch_execnz .LBB240_1570
.LBB240_1091:
	s_or_b32 exec_lo, exec_lo, s38
	s_and_saveexec_b32 s38, s63
	s_cbranch_execz .LBB240_1571
.LBB240_1092:
	v_mov_b32_e32 v112, 0xcccd
	v_mul_u32_u24_sdwa v113, v55, v112 dst_sel:DWORD dst_unused:UNUSED_PAD src0_sel:WORD_0 src1_sel:DWORD
	v_mul_u32_u24_sdwa v112, v64, v112 dst_sel:DWORD dst_unused:UNUSED_PAD src0_sel:WORD_0 src1_sel:DWORD
	v_lshrrev_b32_e32 v113, 19, v113
	v_lshrrev_b32_e32 v112, 19, v112
	v_cmp_lt_u16_e64 s35, v113, v112
	v_cndmask_b32_e64 v112, v55, v64, s35
	v_cndmask_b32_e64 v64, v64, v55, s35
	v_mov_b32_e32 v55, v112
	s_or_b32 exec_lo, exec_lo, s38
	s_and_saveexec_b32 s38, s72
	s_cbranch_execnz .LBB240_1572
.LBB240_1093:
	s_or_b32 exec_lo, exec_lo, s38
	s_and_saveexec_b32 s38, s73
	s_cbranch_execz .LBB240_1573
.LBB240_1094:
	v_mov_b32_e32 v112, 0xcccd
	v_mul_u32_u24_sdwa v113, v54, v112 dst_sel:DWORD dst_unused:UNUSED_PAD src0_sel:WORD_0 src1_sel:DWORD
	v_mul_u32_u24_sdwa v112, v51, v112 dst_sel:DWORD dst_unused:UNUSED_PAD src0_sel:WORD_0 src1_sel:DWORD
	v_lshrrev_b32_e32 v113, 19, v113
	v_lshrrev_b32_e32 v112, 19, v112
	v_cmp_lt_u16_e64 s35, v113, v112
	v_cndmask_b32_e64 v112, v54, v51, s35
	v_cndmask_b32_e64 v51, v51, v54, s35
	v_mov_b32_e32 v54, v112
	s_or_b32 exec_lo, exec_lo, s38
	s_and_saveexec_b32 s38, s74
	s_cbranch_execnz .LBB240_1574
.LBB240_1095:
	s_or_b32 exec_lo, exec_lo, s38
	s_and_saveexec_b32 s38, s75
	s_cbranch_execz .LBB240_1575
.LBB240_1096:
	v_mov_b32_e32 v112, 0xcccd
	v_mul_u32_u24_sdwa v113, v39, v112 dst_sel:DWORD dst_unused:UNUSED_PAD src0_sel:WORD_0 src1_sel:DWORD
	v_mul_u32_u24_sdwa v112, v48, v112 dst_sel:DWORD dst_unused:UNUSED_PAD src0_sel:WORD_0 src1_sel:DWORD
	v_lshrrev_b32_e32 v113, 19, v113
	v_lshrrev_b32_e32 v112, 19, v112
	v_cmp_lt_u16_e64 s35, v113, v112
	v_cndmask_b32_e64 v112, v48, v39, s35
	v_cndmask_b32_e64 v39, v39, v48, s35
	v_mov_b32_e32 v48, v112
	s_or_b32 exec_lo, exec_lo, s38
	s_and_saveexec_b32 s38, s76
	s_cbranch_execnz .LBB240_1576
.LBB240_1097:
	s_or_b32 exec_lo, exec_lo, s38
	s_and_saveexec_b32 s38, s77
	s_cbranch_execz .LBB240_1577
.LBB240_1098:
	v_mov_b32_e32 v112, 0xcccd
	v_mul_u32_u24_sdwa v113, v99, v112 dst_sel:DWORD dst_unused:UNUSED_PAD src0_sel:WORD_0 src1_sel:DWORD
	v_mul_u32_u24_sdwa v112, v100, v112 dst_sel:DWORD dst_unused:UNUSED_PAD src0_sel:WORD_0 src1_sel:DWORD
	v_lshrrev_b32_e32 v113, 19, v113
	v_lshrrev_b32_e32 v112, 19, v112
	v_cmp_lt_u16_e64 s35, v113, v112
	v_cndmask_b32_e64 v112, v99, v100, s35
	v_cndmask_b32_e64 v100, v100, v99, s35
	v_mov_b32_e32 v99, v112
	s_or_b32 exec_lo, exec_lo, s38
	s_and_saveexec_b32 s38, s78
	s_cbranch_execnz .LBB240_1578
.LBB240_1099:
	s_or_b32 exec_lo, exec_lo, s38
	s_and_saveexec_b32 s38, s79
	s_cbranch_execz .LBB240_1579
.LBB240_1100:
	v_mov_b32_e32 v112, 0xcccd
	v_mul_u32_u24_sdwa v113, v86, v112 dst_sel:DWORD dst_unused:UNUSED_PAD src0_sel:WORD_0 src1_sel:DWORD
	v_mul_u32_u24_sdwa v112, v87, v112 dst_sel:DWORD dst_unused:UNUSED_PAD src0_sel:WORD_0 src1_sel:DWORD
	v_lshrrev_b32_e32 v113, 19, v113
	v_lshrrev_b32_e32 v112, 19, v112
	v_cmp_lt_u16_e64 s35, v113, v112
	v_cndmask_b32_e64 v112, v86, v87, s35
	v_cndmask_b32_e64 v87, v87, v86, s35
	v_mov_b32_e32 v86, v112
	s_or_b32 exec_lo, exec_lo, s38
	s_and_saveexec_b32 s38, s88
	s_cbranch_execnz .LBB240_1580
.LBB240_1101:
	s_or_b32 exec_lo, exec_lo, s38
	s_and_saveexec_b32 s38, s89
	s_cbranch_execz .LBB240_1581
.LBB240_1102:
	v_mov_b32_e32 v112, 0xcccd
	v_mul_u32_u24_sdwa v113, v82, v112 dst_sel:DWORD dst_unused:UNUSED_PAD src0_sel:WORD_0 src1_sel:DWORD
	v_mul_u32_u24_sdwa v112, v83, v112 dst_sel:DWORD dst_unused:UNUSED_PAD src0_sel:WORD_0 src1_sel:DWORD
	v_lshrrev_b32_e32 v113, 19, v113
	v_lshrrev_b32_e32 v112, 19, v112
	v_cmp_lt_u16_e64 s35, v113, v112
	v_cndmask_b32_e64 v112, v82, v83, s35
	v_cndmask_b32_e64 v83, v83, v82, s35
	v_mov_b32_e32 v82, v112
	s_or_b32 exec_lo, exec_lo, s38
	s_and_saveexec_b32 s38, s90
	s_cbranch_execnz .LBB240_1582
.LBB240_1103:
	s_or_b32 exec_lo, exec_lo, s38
	s_and_saveexec_b32 s38, s91
	s_cbranch_execz .LBB240_1583
.LBB240_1104:
	v_mov_b32_e32 v112, 0xcccd
	v_mul_u32_u24_sdwa v113, v70, v112 dst_sel:DWORD dst_unused:UNUSED_PAD src0_sel:WORD_0 src1_sel:DWORD
	v_mul_u32_u24_sdwa v112, v71, v112 dst_sel:DWORD dst_unused:UNUSED_PAD src0_sel:WORD_0 src1_sel:DWORD
	v_lshrrev_b32_e32 v113, 19, v113
	v_lshrrev_b32_e32 v112, 19, v112
	v_cmp_lt_u16_e64 s35, v113, v112
	v_cndmask_b32_e64 v112, v70, v71, s35
	v_cndmask_b32_e64 v71, v71, v70, s35
	v_mov_b32_e32 v70, v112
	s_or_b32 exec_lo, exec_lo, s38
	s_and_saveexec_b32 s38, s92
	s_cbranch_execnz .LBB240_1584
.LBB240_1105:
	s_or_b32 exec_lo, exec_lo, s38
	s_and_saveexec_b32 s38, s93
	s_cbranch_execz .LBB240_1585
.LBB240_1106:
	v_mov_b32_e32 v112, 0xcccd
	v_mul_u32_u24_sdwa v113, v66, v112 dst_sel:DWORD dst_unused:UNUSED_PAD src0_sel:WORD_0 src1_sel:DWORD
	v_mul_u32_u24_sdwa v112, v67, v112 dst_sel:DWORD dst_unused:UNUSED_PAD src0_sel:WORD_0 src1_sel:DWORD
	v_lshrrev_b32_e32 v113, 19, v113
	v_lshrrev_b32_e32 v112, 19, v112
	v_cmp_lt_u16_e64 s35, v113, v112
	v_cndmask_b32_e64 v112, v66, v67, s35
	v_cndmask_b32_e64 v67, v67, v66, s35
	v_mov_b32_e32 v66, v112
	s_or_b32 exec_lo, exec_lo, s38
	s_and_saveexec_b32 s38, s94
	s_cbranch_execnz .LBB240_1586
.LBB240_1107:
	s_or_b32 exec_lo, exec_lo, s38
	s_and_saveexec_b32 s38, s95
	s_cbranch_execz .LBB240_1587
.LBB240_1108:
	v_mov_b32_e32 v112, 0xcccd
	v_mul_u32_u24_sdwa v113, v53, v112 dst_sel:DWORD dst_unused:UNUSED_PAD src0_sel:WORD_0 src1_sel:DWORD
	v_mul_u32_u24_sdwa v112, v55, v112 dst_sel:DWORD dst_unused:UNUSED_PAD src0_sel:WORD_0 src1_sel:DWORD
	v_lshrrev_b32_e32 v113, 19, v113
	v_lshrrev_b32_e32 v112, 19, v112
	v_cmp_lt_u16_e64 s35, v113, v112
	v_cndmask_b32_e64 v112, v53, v55, s35
	v_cndmask_b32_e64 v55, v55, v53, s35
	v_mov_b32_e32 v53, v112
	s_or_b32 exec_lo, exec_lo, s38
	s_and_saveexec_b32 s38, vcc_hi
	s_cbranch_execnz .LBB240_1588
.LBB240_1109:
	s_or_b32 exec_lo, exec_lo, s38
	s_and_saveexec_b32 s38, s30
	s_cbranch_execz .LBB240_1589
.LBB240_1110:
	v_mov_b32_e32 v112, 0xcccd
	v_mul_u32_u24_sdwa v113, v50, v112 dst_sel:DWORD dst_unused:UNUSED_PAD src0_sel:WORD_0 src1_sel:DWORD
	v_mul_u32_u24_sdwa v112, v54, v112 dst_sel:DWORD dst_unused:UNUSED_PAD src0_sel:WORD_0 src1_sel:DWORD
	v_lshrrev_b32_e32 v113, 19, v113
	v_lshrrev_b32_e32 v112, 19, v112
	v_cmp_lt_u16_e64 s35, v113, v112
	v_cndmask_b32_e64 v112, v54, v50, s35
	v_cndmask_b32_e64 v50, v50, v54, s35
	v_mov_b32_e32 v54, v112
	s_or_b32 exec_lo, exec_lo, s38
	s_and_saveexec_b32 s38, s31
	s_cbranch_execnz .LBB240_1590
.LBB240_1111:
	s_or_b32 exec_lo, exec_lo, s38
	s_and_saveexec_b32 s38, s34
	s_cbranch_execz .LBB240_1591
.LBB240_1112:
	v_mov_b32_e32 v112, 0xcccd
	v_mul_u32_u24_sdwa v113, v101, v112 dst_sel:DWORD dst_unused:UNUSED_PAD src0_sel:WORD_0 src1_sel:DWORD
	v_mul_u32_u24_sdwa v112, v39, v112 dst_sel:DWORD dst_unused:UNUSED_PAD src0_sel:WORD_0 src1_sel:DWORD
	v_lshrrev_b32_e32 v113, 19, v113
	v_lshrrev_b32_e32 v112, 19, v112
	v_cmp_lt_u16_e64 s35, v113, v112
	v_cndmask_b32_e64 v112, v39, v101, s35
	v_cndmask_b32_e64 v101, v101, v39, s35
	v_mov_b32_e32 v39, v112
	s_or_b32 exec_lo, exec_lo, s38
	s_and_saveexec_b32 s38, s8
	s_cbranch_execnz .LBB240_1592
.LBB240_1113:
	s_or_b32 exec_lo, exec_lo, s38
	s_and_saveexec_b32 s38, s9
	s_cbranch_execz .LBB240_1593
.LBB240_1114:
	v_mov_b32_e32 v112, 0xcccd
	v_mul_u32_u24_sdwa v113, v98, v112 dst_sel:DWORD dst_unused:UNUSED_PAD src0_sel:WORD_0 src1_sel:DWORD
	v_mul_u32_u24_sdwa v112, v99, v112 dst_sel:DWORD dst_unused:UNUSED_PAD src0_sel:WORD_0 src1_sel:DWORD
	v_lshrrev_b32_e32 v113, 19, v113
	v_lshrrev_b32_e32 v112, 19, v112
	v_cmp_lt_u16_e64 s35, v113, v112
	v_cndmask_b32_e64 v112, v98, v99, s35
	v_cndmask_b32_e64 v99, v99, v98, s35
	v_mov_b32_e32 v98, v112
	s_or_b32 exec_lo, exec_lo, s38
	s_and_saveexec_b32 s38, s12
	s_cbranch_execnz .LBB240_1594
.LBB240_1115:
	s_or_b32 exec_lo, exec_lo, s38
	s_and_saveexec_b32 s38, s13
	s_cbranch_execz .LBB240_1595
.LBB240_1116:
	v_mov_b32_e32 v112, 0xcccd
	v_mul_u32_u24_sdwa v113, v85, v112 dst_sel:DWORD dst_unused:UNUSED_PAD src0_sel:WORD_0 src1_sel:DWORD
	v_mul_u32_u24_sdwa v112, v86, v112 dst_sel:DWORD dst_unused:UNUSED_PAD src0_sel:WORD_0 src1_sel:DWORD
	v_lshrrev_b32_e32 v113, 19, v113
	v_lshrrev_b32_e32 v112, 19, v112
	v_cmp_lt_u16_e64 s35, v113, v112
	v_cndmask_b32_e64 v112, v85, v86, s35
	v_cndmask_b32_e64 v86, v86, v85, s35
	v_mov_b32_e32 v85, v112
	s_or_b32 exec_lo, exec_lo, s38
	s_and_saveexec_b32 s38, s57
	s_cbranch_execnz .LBB240_1596
.LBB240_1117:
	s_or_b32 exec_lo, exec_lo, s38
	s_and_saveexec_b32 s38, s58
	s_cbranch_execz .LBB240_1597
.LBB240_1118:
	v_mov_b32_e32 v112, 0xcccd
	v_mul_u32_u24_sdwa v113, v81, v112 dst_sel:DWORD dst_unused:UNUSED_PAD src0_sel:WORD_0 src1_sel:DWORD
	v_mul_u32_u24_sdwa v112, v82, v112 dst_sel:DWORD dst_unused:UNUSED_PAD src0_sel:WORD_0 src1_sel:DWORD
	v_lshrrev_b32_e32 v113, 19, v113
	v_lshrrev_b32_e32 v112, 19, v112
	v_cmp_lt_u16_e64 s35, v113, v112
	v_cndmask_b32_e64 v112, v81, v82, s35
	v_cndmask_b32_e64 v82, v82, v81, s35
	v_mov_b32_e32 v81, v112
	s_or_b32 exec_lo, exec_lo, s38
	s_and_saveexec_b32 s38, s59
	s_cbranch_execnz .LBB240_1598
.LBB240_1119:
	s_or_b32 exec_lo, exec_lo, s38
	s_and_saveexec_b32 s38, s60
	s_cbranch_execz .LBB240_1599
.LBB240_1120:
	v_mov_b32_e32 v112, 0xcccd
	v_mul_u32_u24_sdwa v113, v69, v112 dst_sel:DWORD dst_unused:UNUSED_PAD src0_sel:WORD_0 src1_sel:DWORD
	v_mul_u32_u24_sdwa v112, v70, v112 dst_sel:DWORD dst_unused:UNUSED_PAD src0_sel:WORD_0 src1_sel:DWORD
	v_lshrrev_b32_e32 v113, 19, v113
	v_lshrrev_b32_e32 v112, 19, v112
	v_cmp_lt_u16_e64 s35, v113, v112
	v_cndmask_b32_e64 v112, v69, v70, s35
	v_cndmask_b32_e64 v70, v70, v69, s35
	v_mov_b32_e32 v69, v112
	s_or_b32 exec_lo, exec_lo, s38
	s_and_saveexec_b32 s38, s61
	s_cbranch_execnz .LBB240_1600
.LBB240_1121:
	s_or_b32 exec_lo, exec_lo, s38
	s_and_saveexec_b32 s38, s62
	s_cbranch_execz .LBB240_1601
.LBB240_1122:
	v_mov_b32_e32 v112, 0xcccd
	v_mul_u32_u24_sdwa v113, v65, v112 dst_sel:DWORD dst_unused:UNUSED_PAD src0_sel:WORD_0 src1_sel:DWORD
	v_mul_u32_u24_sdwa v112, v66, v112 dst_sel:DWORD dst_unused:UNUSED_PAD src0_sel:WORD_0 src1_sel:DWORD
	v_lshrrev_b32_e32 v113, 19, v113
	v_lshrrev_b32_e32 v112, 19, v112
	v_cmp_lt_u16_e64 s35, v113, v112
	v_cndmask_b32_e64 v112, v65, v66, s35
	v_cndmask_b32_e64 v66, v66, v65, s35
	v_mov_b32_e32 v65, v112
	s_or_b32 exec_lo, exec_lo, s38
	s_and_saveexec_b32 s38, s63
	s_cbranch_execnz .LBB240_1602
.LBB240_1123:
	s_or_b32 exec_lo, exec_lo, s38
	s_and_saveexec_b32 s38, s72
	s_cbranch_execz .LBB240_1603
.LBB240_1124:
	v_mov_b32_e32 v112, 0xcccd
	v_mul_u32_u24_sdwa v113, v52, v112 dst_sel:DWORD dst_unused:UNUSED_PAD src0_sel:WORD_0 src1_sel:DWORD
	v_mul_u32_u24_sdwa v112, v53, v112 dst_sel:DWORD dst_unused:UNUSED_PAD src0_sel:WORD_0 src1_sel:DWORD
	v_lshrrev_b32_e32 v113, 19, v113
	v_lshrrev_b32_e32 v112, 19, v112
	v_cmp_lt_u16_e64 s35, v113, v112
	v_cndmask_b32_e64 v112, v52, v53, s35
	v_cndmask_b32_e64 v53, v53, v52, s35
	v_mov_b32_e32 v52, v112
	s_or_b32 exec_lo, exec_lo, s38
	s_and_saveexec_b32 s38, s73
	s_cbranch_execnz .LBB240_1604
.LBB240_1125:
	s_or_b32 exec_lo, exec_lo, s38
	s_and_saveexec_b32 s38, s74
	s_cbranch_execz .LBB240_1605
.LBB240_1126:
	v_mov_b32_e32 v112, 0xcccd
	v_mul_u32_u24_sdwa v113, v49, v112 dst_sel:DWORD dst_unused:UNUSED_PAD src0_sel:WORD_0 src1_sel:DWORD
	v_mul_u32_u24_sdwa v112, v50, v112 dst_sel:DWORD dst_unused:UNUSED_PAD src0_sel:WORD_0 src1_sel:DWORD
	v_lshrrev_b32_e32 v113, 19, v113
	v_lshrrev_b32_e32 v112, 19, v112
	v_cmp_lt_u16_e64 s35, v113, v112
	v_cndmask_b32_e64 v112, v50, v49, s35
	v_cndmask_b32_e64 v49, v49, v50, s35
	v_mov_b32_e32 v50, v112
	s_or_b32 exec_lo, exec_lo, s38
	s_and_saveexec_b32 s38, s75
	s_cbranch_execnz .LBB240_1606
.LBB240_1127:
	s_or_b32 exec_lo, exec_lo, s38
	s_and_saveexec_b32 s38, s76
	s_cbranch_execz .LBB240_1607
.LBB240_1128:
	v_mov_b32_e32 v112, 0xcccd
	v_mul_u32_u24_sdwa v113, v38, v112 dst_sel:DWORD dst_unused:UNUSED_PAD src0_sel:WORD_0 src1_sel:DWORD
	v_mul_u32_u24_sdwa v112, v101, v112 dst_sel:DWORD dst_unused:UNUSED_PAD src0_sel:WORD_0 src1_sel:DWORD
	v_lshrrev_b32_e32 v113, 19, v113
	v_lshrrev_b32_e32 v112, 19, v112
	v_cmp_lt_u16_e64 s35, v113, v112
	v_cndmask_b32_e64 v112, v101, v38, s35
	v_cndmask_b32_e64 v38, v38, v101, s35
	v_mov_b32_e32 v101, v112
	s_or_b32 exec_lo, exec_lo, s38
	s_and_saveexec_b32 s38, s77
	s_cbranch_execnz .LBB240_1608
.LBB240_1129:
	s_or_b32 exec_lo, exec_lo, s38
	s_and_saveexec_b32 s38, s78
	s_cbranch_execz .LBB240_1609
.LBB240_1130:
	v_mov_b32_e32 v112, 0xcccd
	v_mul_u32_u24_sdwa v113, v96, v112 dst_sel:DWORD dst_unused:UNUSED_PAD src0_sel:WORD_0 src1_sel:DWORD
	v_mul_u32_u24_sdwa v112, v98, v112 dst_sel:DWORD dst_unused:UNUSED_PAD src0_sel:WORD_0 src1_sel:DWORD
	v_lshrrev_b32_e32 v113, 19, v113
	v_lshrrev_b32_e32 v112, 19, v112
	v_cmp_lt_u16_e64 s35, v113, v112
	v_cndmask_b32_e64 v112, v96, v98, s35
	v_cndmask_b32_e64 v98, v98, v96, s35
	v_mov_b32_e32 v96, v112
	s_or_b32 exec_lo, exec_lo, s38
	s_and_saveexec_b32 s38, s79
	s_cbranch_execnz .LBB240_1610
.LBB240_1131:
	s_or_b32 exec_lo, exec_lo, s38
	s_and_saveexec_b32 s38, s88
	s_cbranch_execz .LBB240_1611
.LBB240_1132:
	v_mov_b32_e32 v112, 0xcccd
	v_mul_u32_u24_sdwa v113, v84, v112 dst_sel:DWORD dst_unused:UNUSED_PAD src0_sel:WORD_0 src1_sel:DWORD
	v_mul_u32_u24_sdwa v112, v85, v112 dst_sel:DWORD dst_unused:UNUSED_PAD src0_sel:WORD_0 src1_sel:DWORD
	v_lshrrev_b32_e32 v113, 19, v113
	v_lshrrev_b32_e32 v112, 19, v112
	v_cmp_lt_u16_e64 s35, v113, v112
	v_cndmask_b32_e64 v112, v84, v85, s35
	v_cndmask_b32_e64 v85, v85, v84, s35
	v_mov_b32_e32 v84, v112
	s_or_b32 exec_lo, exec_lo, s38
	s_and_saveexec_b32 s38, s89
	s_cbranch_execnz .LBB240_1612
.LBB240_1133:
	s_or_b32 exec_lo, exec_lo, s38
	s_and_saveexec_b32 s38, s90
	s_cbranch_execz .LBB240_1613
.LBB240_1134:
	v_mov_b32_e32 v112, 0xcccd
	v_mul_u32_u24_sdwa v113, v80, v112 dst_sel:DWORD dst_unused:UNUSED_PAD src0_sel:WORD_0 src1_sel:DWORD
	v_mul_u32_u24_sdwa v112, v81, v112 dst_sel:DWORD dst_unused:UNUSED_PAD src0_sel:WORD_0 src1_sel:DWORD
	v_lshrrev_b32_e32 v113, 19, v113
	v_lshrrev_b32_e32 v112, 19, v112
	v_cmp_lt_u16_e64 s35, v113, v112
	v_cndmask_b32_e64 v112, v80, v81, s35
	v_cndmask_b32_e64 v81, v81, v80, s35
	v_mov_b32_e32 v80, v112
	s_or_b32 exec_lo, exec_lo, s38
	s_and_saveexec_b32 s38, s91
	s_cbranch_execnz .LBB240_1614
.LBB240_1135:
	s_or_b32 exec_lo, exec_lo, s38
	s_and_saveexec_b32 s38, s92
	s_cbranch_execz .LBB240_1615
.LBB240_1136:
	v_mov_b32_e32 v112, 0xcccd
	v_mul_u32_u24_sdwa v113, v68, v112 dst_sel:DWORD dst_unused:UNUSED_PAD src0_sel:WORD_0 src1_sel:DWORD
	v_mul_u32_u24_sdwa v112, v69, v112 dst_sel:DWORD dst_unused:UNUSED_PAD src0_sel:WORD_0 src1_sel:DWORD
	v_lshrrev_b32_e32 v113, 19, v113
	v_lshrrev_b32_e32 v112, 19, v112
	v_cmp_lt_u16_e64 s35, v113, v112
	v_cndmask_b32_e64 v112, v68, v69, s35
	v_cndmask_b32_e64 v69, v69, v68, s35
	v_mov_b32_e32 v68, v112
	s_or_b32 exec_lo, exec_lo, s38
	s_and_saveexec_b32 s38, s93
	s_cbranch_execnz .LBB240_1616
.LBB240_1137:
	s_or_b32 exec_lo, exec_lo, s38
	s_and_saveexec_b32 s38, s94
	s_cbranch_execz .LBB240_1617
.LBB240_1138:
	v_mov_b32_e32 v112, 0xcccd
	v_mul_u32_u24_sdwa v113, v64, v112 dst_sel:DWORD dst_unused:UNUSED_PAD src0_sel:WORD_0 src1_sel:DWORD
	v_mul_u32_u24_sdwa v112, v65, v112 dst_sel:DWORD dst_unused:UNUSED_PAD src0_sel:WORD_0 src1_sel:DWORD
	v_lshrrev_b32_e32 v113, 19, v113
	v_lshrrev_b32_e32 v112, 19, v112
	v_cmp_lt_u16_e64 s35, v113, v112
	v_cndmask_b32_e64 v112, v64, v65, s35
	v_cndmask_b32_e64 v65, v65, v64, s35
	v_mov_b32_e32 v64, v112
	s_or_b32 exec_lo, exec_lo, s38
	s_and_saveexec_b32 s38, s95
	s_cbranch_execnz .LBB240_1618
.LBB240_1139:
	s_or_b32 exec_lo, exec_lo, s38
	s_and_saveexec_b32 s38, vcc_hi
	s_cbranch_execz .LBB240_1619
.LBB240_1140:
	v_mov_b32_e32 v112, 0xcccd
	v_mul_u32_u24_sdwa v113, v51, v112 dst_sel:DWORD dst_unused:UNUSED_PAD src0_sel:WORD_0 src1_sel:DWORD
	v_mul_u32_u24_sdwa v112, v52, v112 dst_sel:DWORD dst_unused:UNUSED_PAD src0_sel:WORD_0 src1_sel:DWORD
	v_lshrrev_b32_e32 v113, 19, v113
	v_lshrrev_b32_e32 v112, 19, v112
	v_cmp_lt_u16_e64 s35, v113, v112
	v_cndmask_b32_e64 v112, v51, v52, s35
	v_cndmask_b32_e64 v52, v52, v51, s35
	v_mov_b32_e32 v51, v112
	s_or_b32 exec_lo, exec_lo, s38
	s_and_saveexec_b32 s38, s30
	s_cbranch_execnz .LBB240_1620
.LBB240_1141:
	s_or_b32 exec_lo, exec_lo, s38
	s_and_saveexec_b32 s38, s31
	s_cbranch_execz .LBB240_1621
.LBB240_1142:
	v_mov_b32_e32 v112, 0xcccd
	v_mul_u32_u24_sdwa v113, v48, v112 dst_sel:DWORD dst_unused:UNUSED_PAD src0_sel:WORD_0 src1_sel:DWORD
	v_mul_u32_u24_sdwa v112, v49, v112 dst_sel:DWORD dst_unused:UNUSED_PAD src0_sel:WORD_0 src1_sel:DWORD
	v_lshrrev_b32_e32 v113, 19, v113
	v_lshrrev_b32_e32 v112, 19, v112
	v_cmp_lt_u16_e64 s35, v113, v112
	v_cndmask_b32_e64 v112, v49, v48, s35
	v_cndmask_b32_e64 v48, v48, v49, s35
	v_mov_b32_e32 v49, v112
	s_or_b32 exec_lo, exec_lo, s38
	s_and_saveexec_b32 s38, s34
	s_cbranch_execnz .LBB240_1622
.LBB240_1143:
	s_or_b32 exec_lo, exec_lo, s38
	s_and_saveexec_b32 s38, s8
	s_cbranch_execz .LBB240_1623
.LBB240_1144:
	v_mov_b32_e32 v112, 0xcccd
	v_mul_u32_u24_sdwa v113, v100, v112 dst_sel:DWORD dst_unused:UNUSED_PAD src0_sel:WORD_0 src1_sel:DWORD
	v_mul_u32_u24_sdwa v112, v97, v112 dst_sel:DWORD dst_unused:UNUSED_PAD src0_sel:WORD_0 src1_sel:DWORD
	v_lshrrev_b32_e32 v113, 19, v113
	v_lshrrev_b32_e32 v112, 19, v112
	v_cmp_lt_u16_e64 s35, v113, v112
	v_cndmask_b32_e64 v112, v100, v97, s35
	v_cndmask_b32_e64 v97, v97, v100, s35
	v_mov_b32_e32 v100, v112
	s_or_b32 exec_lo, exec_lo, s38
	s_and_saveexec_b32 s38, s9
	s_cbranch_execnz .LBB240_1624
.LBB240_1145:
	s_or_b32 exec_lo, exec_lo, s38
	s_and_saveexec_b32 s38, s12
	s_cbranch_execz .LBB240_1625
.LBB240_1146:
	v_mov_b32_e32 v112, 0xcccd
	v_mul_u32_u24_sdwa v113, v87, v112 dst_sel:DWORD dst_unused:UNUSED_PAD src0_sel:WORD_0 src1_sel:DWORD
	v_mul_u32_u24_sdwa v112, v96, v112 dst_sel:DWORD dst_unused:UNUSED_PAD src0_sel:WORD_0 src1_sel:DWORD
	v_lshrrev_b32_e32 v113, 19, v113
	v_lshrrev_b32_e32 v112, 19, v112
	v_cmp_lt_u16_e64 s35, v113, v112
	v_cndmask_b32_e64 v112, v87, v96, s35
	v_cndmask_b32_e64 v96, v96, v87, s35
	v_mov_b32_e32 v87, v112
	s_or_b32 exec_lo, exec_lo, s38
	s_and_saveexec_b32 s38, s13
	s_cbranch_execnz .LBB240_1626
.LBB240_1147:
	s_or_b32 exec_lo, exec_lo, s38
	s_and_saveexec_b32 s38, s57
	s_cbranch_execz .LBB240_1627
.LBB240_1148:
	v_mov_b32_e32 v112, 0xcccd
	v_mul_u32_u24_sdwa v113, v83, v112 dst_sel:DWORD dst_unused:UNUSED_PAD src0_sel:WORD_0 src1_sel:DWORD
	v_mul_u32_u24_sdwa v112, v84, v112 dst_sel:DWORD dst_unused:UNUSED_PAD src0_sel:WORD_0 src1_sel:DWORD
	v_lshrrev_b32_e32 v113, 19, v113
	v_lshrrev_b32_e32 v112, 19, v112
	v_cmp_lt_u16_e64 s35, v113, v112
	v_cndmask_b32_e64 v112, v83, v84, s35
	v_cndmask_b32_e64 v84, v84, v83, s35
	v_mov_b32_e32 v83, v112
	s_or_b32 exec_lo, exec_lo, s38
	s_and_saveexec_b32 s38, s58
	s_cbranch_execnz .LBB240_1628
.LBB240_1149:
	s_or_b32 exec_lo, exec_lo, s38
	s_and_saveexec_b32 s38, s59
	s_cbranch_execz .LBB240_1629
.LBB240_1150:
	v_mov_b32_e32 v112, 0xcccd
	v_mul_u32_u24_sdwa v113, v71, v112 dst_sel:DWORD dst_unused:UNUSED_PAD src0_sel:WORD_0 src1_sel:DWORD
	v_mul_u32_u24_sdwa v112, v80, v112 dst_sel:DWORD dst_unused:UNUSED_PAD src0_sel:WORD_0 src1_sel:DWORD
	v_lshrrev_b32_e32 v113, 19, v113
	v_lshrrev_b32_e32 v112, 19, v112
	v_cmp_lt_u16_e64 s35, v113, v112
	v_cndmask_b32_e64 v112, v71, v80, s35
	v_cndmask_b32_e64 v80, v80, v71, s35
	v_mov_b32_e32 v71, v112
	s_or_b32 exec_lo, exec_lo, s38
	s_and_saveexec_b32 s38, s60
	s_cbranch_execnz .LBB240_1630
.LBB240_1151:
	s_or_b32 exec_lo, exec_lo, s38
	s_and_saveexec_b32 s38, s61
	s_cbranch_execz .LBB240_1631
.LBB240_1152:
	v_mov_b32_e32 v112, 0xcccd
	v_mul_u32_u24_sdwa v113, v67, v112 dst_sel:DWORD dst_unused:UNUSED_PAD src0_sel:WORD_0 src1_sel:DWORD
	v_mul_u32_u24_sdwa v112, v68, v112 dst_sel:DWORD dst_unused:UNUSED_PAD src0_sel:WORD_0 src1_sel:DWORD
	v_lshrrev_b32_e32 v113, 19, v113
	v_lshrrev_b32_e32 v112, 19, v112
	v_cmp_lt_u16_e64 s35, v113, v112
	v_cndmask_b32_e64 v112, v67, v68, s35
	v_cndmask_b32_e64 v68, v68, v67, s35
	v_mov_b32_e32 v67, v112
	s_or_b32 exec_lo, exec_lo, s38
	s_and_saveexec_b32 s38, s62
	s_cbranch_execnz .LBB240_1632
.LBB240_1153:
	s_or_b32 exec_lo, exec_lo, s38
	s_and_saveexec_b32 s38, s63
	s_cbranch_execz .LBB240_1633
.LBB240_1154:
	v_mov_b32_e32 v112, 0xcccd
	v_mul_u32_u24_sdwa v113, v55, v112 dst_sel:DWORD dst_unused:UNUSED_PAD src0_sel:WORD_0 src1_sel:DWORD
	v_mul_u32_u24_sdwa v112, v64, v112 dst_sel:DWORD dst_unused:UNUSED_PAD src0_sel:WORD_0 src1_sel:DWORD
	v_lshrrev_b32_e32 v113, 19, v113
	v_lshrrev_b32_e32 v112, 19, v112
	v_cmp_lt_u16_e64 s35, v113, v112
	v_cndmask_b32_e64 v112, v55, v64, s35
	v_cndmask_b32_e64 v64, v64, v55, s35
	v_mov_b32_e32 v55, v112
	s_or_b32 exec_lo, exec_lo, s38
	s_and_saveexec_b32 s38, s72
	s_cbranch_execnz .LBB240_1634
.LBB240_1155:
	s_or_b32 exec_lo, exec_lo, s38
	s_and_saveexec_b32 s38, s73
	s_cbranch_execz .LBB240_1635
.LBB240_1156:
	v_mov_b32_e32 v112, 0xcccd
	v_mul_u32_u24_sdwa v113, v54, v112 dst_sel:DWORD dst_unused:UNUSED_PAD src0_sel:WORD_0 src1_sel:DWORD
	v_mul_u32_u24_sdwa v112, v51, v112 dst_sel:DWORD dst_unused:UNUSED_PAD src0_sel:WORD_0 src1_sel:DWORD
	v_lshrrev_b32_e32 v113, 19, v113
	v_lshrrev_b32_e32 v112, 19, v112
	v_cmp_lt_u16_e64 s35, v113, v112
	v_cndmask_b32_e64 v112, v54, v51, s35
	v_cndmask_b32_e64 v51, v51, v54, s35
	v_mov_b32_e32 v54, v112
	s_or_b32 exec_lo, exec_lo, s38
	s_and_saveexec_b32 s38, s74
	s_cbranch_execnz .LBB240_1636
.LBB240_1157:
	s_or_b32 exec_lo, exec_lo, s38
	s_and_saveexec_b32 s38, s75
	s_cbranch_execz .LBB240_1637
.LBB240_1158:
	v_mov_b32_e32 v112, 0xcccd
	v_mul_u32_u24_sdwa v113, v39, v112 dst_sel:DWORD dst_unused:UNUSED_PAD src0_sel:WORD_0 src1_sel:DWORD
	v_mul_u32_u24_sdwa v112, v48, v112 dst_sel:DWORD dst_unused:UNUSED_PAD src0_sel:WORD_0 src1_sel:DWORD
	v_lshrrev_b32_e32 v113, 19, v113
	v_lshrrev_b32_e32 v112, 19, v112
	v_cmp_lt_u16_e64 s35, v113, v112
	v_cndmask_b32_e64 v112, v48, v39, s35
	v_cndmask_b32_e64 v39, v39, v48, s35
	v_mov_b32_e32 v48, v112
	s_or_b32 exec_lo, exec_lo, s38
	s_and_saveexec_b32 s38, s76
	s_cbranch_execnz .LBB240_1638
.LBB240_1159:
	s_or_b32 exec_lo, exec_lo, s38
	s_and_saveexec_b32 s38, s77
	s_cbranch_execz .LBB240_1639
.LBB240_1160:
	v_mov_b32_e32 v112, 0xcccd
	v_mul_u32_u24_sdwa v113, v99, v112 dst_sel:DWORD dst_unused:UNUSED_PAD src0_sel:WORD_0 src1_sel:DWORD
	v_mul_u32_u24_sdwa v112, v100, v112 dst_sel:DWORD dst_unused:UNUSED_PAD src0_sel:WORD_0 src1_sel:DWORD
	v_lshrrev_b32_e32 v113, 19, v113
	v_lshrrev_b32_e32 v112, 19, v112
	v_cmp_lt_u16_e64 s35, v113, v112
	v_cndmask_b32_e64 v112, v99, v100, s35
	v_cndmask_b32_e64 v100, v100, v99, s35
	v_mov_b32_e32 v99, v112
	s_or_b32 exec_lo, exec_lo, s38
	s_and_saveexec_b32 s38, s78
	s_cbranch_execnz .LBB240_1640
.LBB240_1161:
	s_or_b32 exec_lo, exec_lo, s38
	s_and_saveexec_b32 s38, s79
	s_cbranch_execz .LBB240_1641
.LBB240_1162:
	v_mov_b32_e32 v112, 0xcccd
	v_mul_u32_u24_sdwa v113, v86, v112 dst_sel:DWORD dst_unused:UNUSED_PAD src0_sel:WORD_0 src1_sel:DWORD
	v_mul_u32_u24_sdwa v112, v87, v112 dst_sel:DWORD dst_unused:UNUSED_PAD src0_sel:WORD_0 src1_sel:DWORD
	v_lshrrev_b32_e32 v113, 19, v113
	v_lshrrev_b32_e32 v112, 19, v112
	v_cmp_lt_u16_e64 s35, v113, v112
	v_cndmask_b32_e64 v112, v86, v87, s35
	v_cndmask_b32_e64 v87, v87, v86, s35
	v_mov_b32_e32 v86, v112
	s_or_b32 exec_lo, exec_lo, s38
	s_and_saveexec_b32 s38, s88
	s_cbranch_execnz .LBB240_1642
.LBB240_1163:
	s_or_b32 exec_lo, exec_lo, s38
	s_and_saveexec_b32 s38, s89
	s_cbranch_execz .LBB240_1643
.LBB240_1164:
	v_mov_b32_e32 v112, 0xcccd
	v_mul_u32_u24_sdwa v113, v82, v112 dst_sel:DWORD dst_unused:UNUSED_PAD src0_sel:WORD_0 src1_sel:DWORD
	v_mul_u32_u24_sdwa v112, v83, v112 dst_sel:DWORD dst_unused:UNUSED_PAD src0_sel:WORD_0 src1_sel:DWORD
	v_lshrrev_b32_e32 v113, 19, v113
	v_lshrrev_b32_e32 v112, 19, v112
	v_cmp_lt_u16_e64 s35, v113, v112
	v_cndmask_b32_e64 v112, v82, v83, s35
	v_cndmask_b32_e64 v83, v83, v82, s35
	v_mov_b32_e32 v82, v112
	s_or_b32 exec_lo, exec_lo, s38
	s_and_saveexec_b32 s38, s90
	s_cbranch_execnz .LBB240_1644
.LBB240_1165:
	s_or_b32 exec_lo, exec_lo, s38
	s_and_saveexec_b32 s38, s91
	s_cbranch_execz .LBB240_1645
.LBB240_1166:
	v_mov_b32_e32 v112, 0xcccd
	v_mul_u32_u24_sdwa v113, v70, v112 dst_sel:DWORD dst_unused:UNUSED_PAD src0_sel:WORD_0 src1_sel:DWORD
	v_mul_u32_u24_sdwa v112, v71, v112 dst_sel:DWORD dst_unused:UNUSED_PAD src0_sel:WORD_0 src1_sel:DWORD
	v_lshrrev_b32_e32 v113, 19, v113
	v_lshrrev_b32_e32 v112, 19, v112
	v_cmp_lt_u16_e64 s35, v113, v112
	v_cndmask_b32_e64 v112, v70, v71, s35
	v_cndmask_b32_e64 v71, v71, v70, s35
	v_mov_b32_e32 v70, v112
	s_or_b32 exec_lo, exec_lo, s38
	s_and_saveexec_b32 s38, s92
	s_cbranch_execnz .LBB240_1646
.LBB240_1167:
	s_or_b32 exec_lo, exec_lo, s38
	s_and_saveexec_b32 s38, s93
	s_cbranch_execz .LBB240_1647
.LBB240_1168:
	v_mov_b32_e32 v112, 0xcccd
	v_mul_u32_u24_sdwa v113, v66, v112 dst_sel:DWORD dst_unused:UNUSED_PAD src0_sel:WORD_0 src1_sel:DWORD
	v_mul_u32_u24_sdwa v112, v67, v112 dst_sel:DWORD dst_unused:UNUSED_PAD src0_sel:WORD_0 src1_sel:DWORD
	v_lshrrev_b32_e32 v113, 19, v113
	v_lshrrev_b32_e32 v112, 19, v112
	v_cmp_lt_u16_e64 s35, v113, v112
	v_cndmask_b32_e64 v112, v66, v67, s35
	v_cndmask_b32_e64 v67, v67, v66, s35
	v_mov_b32_e32 v66, v112
	s_or_b32 exec_lo, exec_lo, s38
	s_and_saveexec_b32 s38, s94
	s_cbranch_execnz .LBB240_1648
.LBB240_1169:
	s_or_b32 exec_lo, exec_lo, s38
	s_and_saveexec_b32 s38, s95
	s_cbranch_execz .LBB240_1649
.LBB240_1170:
	v_mov_b32_e32 v112, 0xcccd
	v_mul_u32_u24_sdwa v113, v53, v112 dst_sel:DWORD dst_unused:UNUSED_PAD src0_sel:WORD_0 src1_sel:DWORD
	v_mul_u32_u24_sdwa v112, v55, v112 dst_sel:DWORD dst_unused:UNUSED_PAD src0_sel:WORD_0 src1_sel:DWORD
	v_lshrrev_b32_e32 v113, 19, v113
	v_lshrrev_b32_e32 v112, 19, v112
	v_cmp_lt_u16_e64 s35, v113, v112
	v_cndmask_b32_e64 v112, v53, v55, s35
	v_cndmask_b32_e64 v55, v55, v53, s35
	v_mov_b32_e32 v53, v112
	s_or_b32 exec_lo, exec_lo, s38
	s_and_saveexec_b32 s38, vcc_hi
	s_cbranch_execnz .LBB240_1650
.LBB240_1171:
	s_or_b32 exec_lo, exec_lo, s38
	s_and_saveexec_b32 s38, s30
	s_cbranch_execz .LBB240_1651
.LBB240_1172:
	v_mov_b32_e32 v112, 0xcccd
	v_mul_u32_u24_sdwa v113, v50, v112 dst_sel:DWORD dst_unused:UNUSED_PAD src0_sel:WORD_0 src1_sel:DWORD
	v_mul_u32_u24_sdwa v112, v54, v112 dst_sel:DWORD dst_unused:UNUSED_PAD src0_sel:WORD_0 src1_sel:DWORD
	v_lshrrev_b32_e32 v113, 19, v113
	v_lshrrev_b32_e32 v112, 19, v112
	v_cmp_lt_u16_e64 s35, v113, v112
	v_cndmask_b32_e64 v112, v54, v50, s35
	v_cndmask_b32_e64 v50, v50, v54, s35
	v_mov_b32_e32 v54, v112
	s_or_b32 exec_lo, exec_lo, s38
	s_and_saveexec_b32 s38, s31
	s_cbranch_execnz .LBB240_1652
.LBB240_1173:
	s_or_b32 exec_lo, exec_lo, s38
	s_and_saveexec_b32 s38, s34
	s_cbranch_execz .LBB240_1653
.LBB240_1174:
	v_mov_b32_e32 v112, 0xcccd
	v_mul_u32_u24_sdwa v113, v101, v112 dst_sel:DWORD dst_unused:UNUSED_PAD src0_sel:WORD_0 src1_sel:DWORD
	v_mul_u32_u24_sdwa v112, v39, v112 dst_sel:DWORD dst_unused:UNUSED_PAD src0_sel:WORD_0 src1_sel:DWORD
	v_lshrrev_b32_e32 v113, 19, v113
	v_lshrrev_b32_e32 v112, 19, v112
	v_cmp_lt_u16_e64 s35, v113, v112
	v_cndmask_b32_e64 v112, v39, v101, s35
	v_cndmask_b32_e64 v101, v101, v39, s35
	v_mov_b32_e32 v39, v112
	s_or_b32 exec_lo, exec_lo, s38
	s_and_saveexec_b32 s38, s8
	s_cbranch_execnz .LBB240_1654
.LBB240_1175:
	s_or_b32 exec_lo, exec_lo, s38
	s_and_saveexec_b32 s38, s9
	s_cbranch_execz .LBB240_1655
.LBB240_1176:
	v_mov_b32_e32 v112, 0xcccd
	v_mul_u32_u24_sdwa v113, v98, v112 dst_sel:DWORD dst_unused:UNUSED_PAD src0_sel:WORD_0 src1_sel:DWORD
	v_mul_u32_u24_sdwa v112, v99, v112 dst_sel:DWORD dst_unused:UNUSED_PAD src0_sel:WORD_0 src1_sel:DWORD
	v_lshrrev_b32_e32 v113, 19, v113
	v_lshrrev_b32_e32 v112, 19, v112
	v_cmp_lt_u16_e64 s35, v113, v112
	v_cndmask_b32_e64 v112, v98, v99, s35
	v_cndmask_b32_e64 v99, v99, v98, s35
	v_mov_b32_e32 v98, v112
	s_or_b32 exec_lo, exec_lo, s38
	s_and_saveexec_b32 s38, s12
	s_cbranch_execnz .LBB240_1656
.LBB240_1177:
	s_or_b32 exec_lo, exec_lo, s38
	s_and_saveexec_b32 s38, s13
	s_cbranch_execz .LBB240_1657
.LBB240_1178:
	v_mov_b32_e32 v112, 0xcccd
	v_mul_u32_u24_sdwa v113, v85, v112 dst_sel:DWORD dst_unused:UNUSED_PAD src0_sel:WORD_0 src1_sel:DWORD
	v_mul_u32_u24_sdwa v112, v86, v112 dst_sel:DWORD dst_unused:UNUSED_PAD src0_sel:WORD_0 src1_sel:DWORD
	v_lshrrev_b32_e32 v113, 19, v113
	v_lshrrev_b32_e32 v112, 19, v112
	v_cmp_lt_u16_e64 s35, v113, v112
	v_cndmask_b32_e64 v112, v85, v86, s35
	v_cndmask_b32_e64 v86, v86, v85, s35
	v_mov_b32_e32 v85, v112
	s_or_b32 exec_lo, exec_lo, s38
	s_and_saveexec_b32 s38, s57
	s_cbranch_execnz .LBB240_1658
.LBB240_1179:
	s_or_b32 exec_lo, exec_lo, s38
	s_and_saveexec_b32 s38, s58
	s_cbranch_execz .LBB240_1659
.LBB240_1180:
	v_mov_b32_e32 v112, 0xcccd
	v_mul_u32_u24_sdwa v113, v81, v112 dst_sel:DWORD dst_unused:UNUSED_PAD src0_sel:WORD_0 src1_sel:DWORD
	v_mul_u32_u24_sdwa v112, v82, v112 dst_sel:DWORD dst_unused:UNUSED_PAD src0_sel:WORD_0 src1_sel:DWORD
	v_lshrrev_b32_e32 v113, 19, v113
	v_lshrrev_b32_e32 v112, 19, v112
	v_cmp_lt_u16_e64 s35, v113, v112
	v_cndmask_b32_e64 v112, v81, v82, s35
	v_cndmask_b32_e64 v82, v82, v81, s35
	v_mov_b32_e32 v81, v112
	s_or_b32 exec_lo, exec_lo, s38
	s_and_saveexec_b32 s38, s59
	s_cbranch_execnz .LBB240_1660
.LBB240_1181:
	s_or_b32 exec_lo, exec_lo, s38
	s_and_saveexec_b32 s38, s60
	s_cbranch_execz .LBB240_1661
.LBB240_1182:
	v_mov_b32_e32 v112, 0xcccd
	v_mul_u32_u24_sdwa v113, v69, v112 dst_sel:DWORD dst_unused:UNUSED_PAD src0_sel:WORD_0 src1_sel:DWORD
	v_mul_u32_u24_sdwa v112, v70, v112 dst_sel:DWORD dst_unused:UNUSED_PAD src0_sel:WORD_0 src1_sel:DWORD
	v_lshrrev_b32_e32 v113, 19, v113
	v_lshrrev_b32_e32 v112, 19, v112
	v_cmp_lt_u16_e64 s35, v113, v112
	v_cndmask_b32_e64 v112, v69, v70, s35
	v_cndmask_b32_e64 v70, v70, v69, s35
	v_mov_b32_e32 v69, v112
	s_or_b32 exec_lo, exec_lo, s38
	s_and_saveexec_b32 s38, s61
	s_cbranch_execnz .LBB240_1662
.LBB240_1183:
	s_or_b32 exec_lo, exec_lo, s38
	s_and_saveexec_b32 s38, s62
	s_cbranch_execz .LBB240_1663
.LBB240_1184:
	v_mov_b32_e32 v112, 0xcccd
	v_mul_u32_u24_sdwa v113, v65, v112 dst_sel:DWORD dst_unused:UNUSED_PAD src0_sel:WORD_0 src1_sel:DWORD
	v_mul_u32_u24_sdwa v112, v66, v112 dst_sel:DWORD dst_unused:UNUSED_PAD src0_sel:WORD_0 src1_sel:DWORD
	v_lshrrev_b32_e32 v113, 19, v113
	v_lshrrev_b32_e32 v112, 19, v112
	v_cmp_lt_u16_e64 s35, v113, v112
	v_cndmask_b32_e64 v112, v65, v66, s35
	v_cndmask_b32_e64 v66, v66, v65, s35
	v_mov_b32_e32 v65, v112
	s_or_b32 exec_lo, exec_lo, s38
	s_and_saveexec_b32 s38, s63
	s_cbranch_execnz .LBB240_1664
.LBB240_1185:
	s_or_b32 exec_lo, exec_lo, s38
	s_and_saveexec_b32 s38, s72
	s_cbranch_execz .LBB240_1665
.LBB240_1186:
	v_mov_b32_e32 v112, 0xcccd
	v_mul_u32_u24_sdwa v113, v52, v112 dst_sel:DWORD dst_unused:UNUSED_PAD src0_sel:WORD_0 src1_sel:DWORD
	v_mul_u32_u24_sdwa v112, v53, v112 dst_sel:DWORD dst_unused:UNUSED_PAD src0_sel:WORD_0 src1_sel:DWORD
	v_lshrrev_b32_e32 v113, 19, v113
	v_lshrrev_b32_e32 v112, 19, v112
	v_cmp_lt_u16_e64 s35, v113, v112
	v_cndmask_b32_e64 v112, v52, v53, s35
	v_cndmask_b32_e64 v53, v53, v52, s35
	v_mov_b32_e32 v52, v112
	s_or_b32 exec_lo, exec_lo, s38
	s_and_saveexec_b32 s38, s73
	s_cbranch_execnz .LBB240_1666
.LBB240_1187:
	s_or_b32 exec_lo, exec_lo, s38
	s_and_saveexec_b32 s38, s74
	s_cbranch_execz .LBB240_1667
.LBB240_1188:
	v_mov_b32_e32 v112, 0xcccd
	v_mul_u32_u24_sdwa v113, v49, v112 dst_sel:DWORD dst_unused:UNUSED_PAD src0_sel:WORD_0 src1_sel:DWORD
	v_mul_u32_u24_sdwa v112, v50, v112 dst_sel:DWORD dst_unused:UNUSED_PAD src0_sel:WORD_0 src1_sel:DWORD
	v_lshrrev_b32_e32 v113, 19, v113
	v_lshrrev_b32_e32 v112, 19, v112
	v_cmp_lt_u16_e64 s35, v113, v112
	v_cndmask_b32_e64 v112, v50, v49, s35
	v_cndmask_b32_e64 v49, v49, v50, s35
	v_mov_b32_e32 v50, v112
	s_or_b32 exec_lo, exec_lo, s38
	s_and_saveexec_b32 s38, s75
	s_cbranch_execnz .LBB240_1668
.LBB240_1189:
	s_or_b32 exec_lo, exec_lo, s38
	s_and_saveexec_b32 s38, s76
	s_cbranch_execz .LBB240_1669
.LBB240_1190:
	v_mov_b32_e32 v112, 0xcccd
	v_mul_u32_u24_sdwa v113, v38, v112 dst_sel:DWORD dst_unused:UNUSED_PAD src0_sel:WORD_0 src1_sel:DWORD
	v_mul_u32_u24_sdwa v112, v101, v112 dst_sel:DWORD dst_unused:UNUSED_PAD src0_sel:WORD_0 src1_sel:DWORD
	v_lshrrev_b32_e32 v113, 19, v113
	v_lshrrev_b32_e32 v112, 19, v112
	v_cmp_lt_u16_e64 s35, v113, v112
	v_cndmask_b32_e64 v112, v101, v38, s35
	v_cndmask_b32_e64 v38, v38, v101, s35
	v_mov_b32_e32 v101, v112
	s_or_b32 exec_lo, exec_lo, s38
	s_and_saveexec_b32 s38, s77
	s_cbranch_execnz .LBB240_1670
.LBB240_1191:
	s_or_b32 exec_lo, exec_lo, s38
	s_and_saveexec_b32 s38, s78
	s_cbranch_execz .LBB240_1671
.LBB240_1192:
	v_mov_b32_e32 v112, 0xcccd
	v_mul_u32_u24_sdwa v113, v96, v112 dst_sel:DWORD dst_unused:UNUSED_PAD src0_sel:WORD_0 src1_sel:DWORD
	v_mul_u32_u24_sdwa v112, v98, v112 dst_sel:DWORD dst_unused:UNUSED_PAD src0_sel:WORD_0 src1_sel:DWORD
	v_lshrrev_b32_e32 v113, 19, v113
	v_lshrrev_b32_e32 v112, 19, v112
	v_cmp_lt_u16_e64 s35, v113, v112
	v_cndmask_b32_e64 v112, v96, v98, s35
	v_cndmask_b32_e64 v98, v98, v96, s35
	v_mov_b32_e32 v96, v112
	s_or_b32 exec_lo, exec_lo, s38
	s_and_saveexec_b32 s38, s79
	s_cbranch_execnz .LBB240_1672
.LBB240_1193:
	s_or_b32 exec_lo, exec_lo, s38
	s_and_saveexec_b32 s38, s88
	s_cbranch_execz .LBB240_1673
.LBB240_1194:
	v_mov_b32_e32 v112, 0xcccd
	v_mul_u32_u24_sdwa v113, v84, v112 dst_sel:DWORD dst_unused:UNUSED_PAD src0_sel:WORD_0 src1_sel:DWORD
	v_mul_u32_u24_sdwa v112, v85, v112 dst_sel:DWORD dst_unused:UNUSED_PAD src0_sel:WORD_0 src1_sel:DWORD
	v_lshrrev_b32_e32 v113, 19, v113
	v_lshrrev_b32_e32 v112, 19, v112
	v_cmp_lt_u16_e64 s35, v113, v112
	v_cndmask_b32_e64 v112, v84, v85, s35
	v_cndmask_b32_e64 v85, v85, v84, s35
	v_mov_b32_e32 v84, v112
	s_or_b32 exec_lo, exec_lo, s38
	s_and_saveexec_b32 s38, s89
	s_cbranch_execnz .LBB240_1674
.LBB240_1195:
	s_or_b32 exec_lo, exec_lo, s38
	s_and_saveexec_b32 s38, s90
	s_cbranch_execz .LBB240_1675
.LBB240_1196:
	v_mov_b32_e32 v112, 0xcccd
	v_mul_u32_u24_sdwa v113, v80, v112 dst_sel:DWORD dst_unused:UNUSED_PAD src0_sel:WORD_0 src1_sel:DWORD
	v_mul_u32_u24_sdwa v112, v81, v112 dst_sel:DWORD dst_unused:UNUSED_PAD src0_sel:WORD_0 src1_sel:DWORD
	v_lshrrev_b32_e32 v113, 19, v113
	v_lshrrev_b32_e32 v112, 19, v112
	v_cmp_lt_u16_e64 s35, v113, v112
	v_cndmask_b32_e64 v112, v80, v81, s35
	v_cndmask_b32_e64 v81, v81, v80, s35
	v_mov_b32_e32 v80, v112
	s_or_b32 exec_lo, exec_lo, s38
	s_and_saveexec_b32 s38, s91
	s_cbranch_execnz .LBB240_1676
.LBB240_1197:
	s_or_b32 exec_lo, exec_lo, s38
	s_and_saveexec_b32 s38, s92
	s_cbranch_execz .LBB240_1677
.LBB240_1198:
	v_mov_b32_e32 v112, 0xcccd
	v_mul_u32_u24_sdwa v113, v68, v112 dst_sel:DWORD dst_unused:UNUSED_PAD src0_sel:WORD_0 src1_sel:DWORD
	v_mul_u32_u24_sdwa v112, v69, v112 dst_sel:DWORD dst_unused:UNUSED_PAD src0_sel:WORD_0 src1_sel:DWORD
	v_lshrrev_b32_e32 v113, 19, v113
	v_lshrrev_b32_e32 v112, 19, v112
	v_cmp_lt_u16_e64 s35, v113, v112
	v_cndmask_b32_e64 v112, v68, v69, s35
	v_cndmask_b32_e64 v69, v69, v68, s35
	v_mov_b32_e32 v68, v112
	s_or_b32 exec_lo, exec_lo, s38
	s_and_saveexec_b32 s38, s93
	s_cbranch_execnz .LBB240_1678
.LBB240_1199:
	s_or_b32 exec_lo, exec_lo, s38
	s_and_saveexec_b32 s38, s94
	s_cbranch_execz .LBB240_1679
.LBB240_1200:
	v_mov_b32_e32 v112, 0xcccd
	v_mul_u32_u24_sdwa v113, v64, v112 dst_sel:DWORD dst_unused:UNUSED_PAD src0_sel:WORD_0 src1_sel:DWORD
	v_mul_u32_u24_sdwa v112, v65, v112 dst_sel:DWORD dst_unused:UNUSED_PAD src0_sel:WORD_0 src1_sel:DWORD
	v_lshrrev_b32_e32 v113, 19, v113
	v_lshrrev_b32_e32 v112, 19, v112
	v_cmp_lt_u16_e64 s35, v113, v112
	v_cndmask_b32_e64 v112, v64, v65, s35
	v_cndmask_b32_e64 v65, v65, v64, s35
	v_mov_b32_e32 v64, v112
	s_or_b32 exec_lo, exec_lo, s38
	s_and_saveexec_b32 s38, s95
	s_cbranch_execnz .LBB240_1680
.LBB240_1201:
	s_or_b32 exec_lo, exec_lo, s38
	s_and_saveexec_b32 s38, vcc_hi
	s_cbranch_execz .LBB240_1681
.LBB240_1202:
	v_mov_b32_e32 v112, 0xcccd
	v_mul_u32_u24_sdwa v113, v51, v112 dst_sel:DWORD dst_unused:UNUSED_PAD src0_sel:WORD_0 src1_sel:DWORD
	v_mul_u32_u24_sdwa v112, v52, v112 dst_sel:DWORD dst_unused:UNUSED_PAD src0_sel:WORD_0 src1_sel:DWORD
	v_lshrrev_b32_e32 v113, 19, v113
	v_lshrrev_b32_e32 v112, 19, v112
	v_cmp_lt_u16_e64 s35, v113, v112
	v_cndmask_b32_e64 v112, v51, v52, s35
	v_cndmask_b32_e64 v52, v52, v51, s35
	v_mov_b32_e32 v51, v112
	s_or_b32 exec_lo, exec_lo, s38
	s_and_saveexec_b32 s38, s30
	s_cbranch_execnz .LBB240_1682
.LBB240_1203:
	s_or_b32 exec_lo, exec_lo, s38
	s_and_saveexec_b32 s38, s31
	s_cbranch_execz .LBB240_1683
.LBB240_1204:
	v_mov_b32_e32 v112, 0xcccd
	v_mul_u32_u24_sdwa v113, v48, v112 dst_sel:DWORD dst_unused:UNUSED_PAD src0_sel:WORD_0 src1_sel:DWORD
	v_mul_u32_u24_sdwa v112, v49, v112 dst_sel:DWORD dst_unused:UNUSED_PAD src0_sel:WORD_0 src1_sel:DWORD
	v_lshrrev_b32_e32 v113, 19, v113
	v_lshrrev_b32_e32 v112, 19, v112
	v_cmp_lt_u16_e64 s35, v113, v112
	v_cndmask_b32_e64 v112, v49, v48, s35
	v_cndmask_b32_e64 v48, v48, v49, s35
	v_mov_b32_e32 v49, v112
	s_or_b32 exec_lo, exec_lo, s38
	s_and_saveexec_b32 s38, s34
	s_cbranch_execnz .LBB240_1684
.LBB240_1205:
	s_or_b32 exec_lo, exec_lo, s38
	s_and_saveexec_b32 s38, s8
	s_cbranch_execz .LBB240_1685
.LBB240_1206:
	v_mov_b32_e32 v112, 0xcccd
	v_mul_u32_u24_sdwa v113, v100, v112 dst_sel:DWORD dst_unused:UNUSED_PAD src0_sel:WORD_0 src1_sel:DWORD
	v_mul_u32_u24_sdwa v112, v97, v112 dst_sel:DWORD dst_unused:UNUSED_PAD src0_sel:WORD_0 src1_sel:DWORD
	v_lshrrev_b32_e32 v113, 19, v113
	v_lshrrev_b32_e32 v112, 19, v112
	v_cmp_lt_u16_e64 s35, v113, v112
	v_cndmask_b32_e64 v112, v100, v97, s35
	v_cndmask_b32_e64 v97, v97, v100, s35
	v_mov_b32_e32 v100, v112
	s_or_b32 exec_lo, exec_lo, s38
	s_and_saveexec_b32 s38, s9
	s_cbranch_execnz .LBB240_1686
.LBB240_1207:
	s_or_b32 exec_lo, exec_lo, s38
	s_and_saveexec_b32 s38, s12
	s_cbranch_execz .LBB240_1687
.LBB240_1208:
	v_mov_b32_e32 v112, 0xcccd
	v_mul_u32_u24_sdwa v113, v87, v112 dst_sel:DWORD dst_unused:UNUSED_PAD src0_sel:WORD_0 src1_sel:DWORD
	v_mul_u32_u24_sdwa v112, v96, v112 dst_sel:DWORD dst_unused:UNUSED_PAD src0_sel:WORD_0 src1_sel:DWORD
	v_lshrrev_b32_e32 v113, 19, v113
	v_lshrrev_b32_e32 v112, 19, v112
	v_cmp_lt_u16_e64 s35, v113, v112
	v_cndmask_b32_e64 v112, v87, v96, s35
	v_cndmask_b32_e64 v96, v96, v87, s35
	v_mov_b32_e32 v87, v112
	s_or_b32 exec_lo, exec_lo, s38
	s_and_saveexec_b32 s38, s13
	s_cbranch_execnz .LBB240_1688
.LBB240_1209:
	s_or_b32 exec_lo, exec_lo, s38
	s_and_saveexec_b32 s38, s57
	s_cbranch_execz .LBB240_1689
.LBB240_1210:
	v_mov_b32_e32 v112, 0xcccd
	v_mul_u32_u24_sdwa v113, v83, v112 dst_sel:DWORD dst_unused:UNUSED_PAD src0_sel:WORD_0 src1_sel:DWORD
	v_mul_u32_u24_sdwa v112, v84, v112 dst_sel:DWORD dst_unused:UNUSED_PAD src0_sel:WORD_0 src1_sel:DWORD
	v_lshrrev_b32_e32 v113, 19, v113
	v_lshrrev_b32_e32 v112, 19, v112
	v_cmp_lt_u16_e64 s35, v113, v112
	v_cndmask_b32_e64 v112, v83, v84, s35
	v_cndmask_b32_e64 v84, v84, v83, s35
	v_mov_b32_e32 v83, v112
	s_or_b32 exec_lo, exec_lo, s38
	s_and_saveexec_b32 s38, s58
	s_cbranch_execnz .LBB240_1690
.LBB240_1211:
	s_or_b32 exec_lo, exec_lo, s38
	s_and_saveexec_b32 s38, s59
	s_cbranch_execz .LBB240_1691
.LBB240_1212:
	v_mov_b32_e32 v112, 0xcccd
	v_mul_u32_u24_sdwa v113, v71, v112 dst_sel:DWORD dst_unused:UNUSED_PAD src0_sel:WORD_0 src1_sel:DWORD
	v_mul_u32_u24_sdwa v112, v80, v112 dst_sel:DWORD dst_unused:UNUSED_PAD src0_sel:WORD_0 src1_sel:DWORD
	v_lshrrev_b32_e32 v113, 19, v113
	v_lshrrev_b32_e32 v112, 19, v112
	v_cmp_lt_u16_e64 s35, v113, v112
	v_cndmask_b32_e64 v112, v71, v80, s35
	v_cndmask_b32_e64 v80, v80, v71, s35
	v_mov_b32_e32 v71, v112
	s_or_b32 exec_lo, exec_lo, s38
	s_and_saveexec_b32 s38, s60
	s_cbranch_execnz .LBB240_1692
.LBB240_1213:
	s_or_b32 exec_lo, exec_lo, s38
	s_and_saveexec_b32 s38, s61
	s_cbranch_execz .LBB240_1693
.LBB240_1214:
	v_mov_b32_e32 v112, 0xcccd
	v_mul_u32_u24_sdwa v113, v67, v112 dst_sel:DWORD dst_unused:UNUSED_PAD src0_sel:WORD_0 src1_sel:DWORD
	v_mul_u32_u24_sdwa v112, v68, v112 dst_sel:DWORD dst_unused:UNUSED_PAD src0_sel:WORD_0 src1_sel:DWORD
	v_lshrrev_b32_e32 v113, 19, v113
	v_lshrrev_b32_e32 v112, 19, v112
	v_cmp_lt_u16_e64 s35, v113, v112
	v_cndmask_b32_e64 v112, v67, v68, s35
	v_cndmask_b32_e64 v68, v68, v67, s35
	v_mov_b32_e32 v67, v112
	s_or_b32 exec_lo, exec_lo, s38
	s_and_saveexec_b32 s38, s62
	s_cbranch_execnz .LBB240_1694
.LBB240_1215:
	s_or_b32 exec_lo, exec_lo, s38
	s_and_saveexec_b32 s38, s63
	s_cbranch_execz .LBB240_1695
.LBB240_1216:
	v_mov_b32_e32 v112, 0xcccd
	v_mul_u32_u24_sdwa v113, v55, v112 dst_sel:DWORD dst_unused:UNUSED_PAD src0_sel:WORD_0 src1_sel:DWORD
	v_mul_u32_u24_sdwa v112, v64, v112 dst_sel:DWORD dst_unused:UNUSED_PAD src0_sel:WORD_0 src1_sel:DWORD
	v_lshrrev_b32_e32 v113, 19, v113
	v_lshrrev_b32_e32 v112, 19, v112
	v_cmp_lt_u16_e64 s35, v113, v112
	v_cndmask_b32_e64 v112, v55, v64, s35
	v_cndmask_b32_e64 v64, v64, v55, s35
	v_mov_b32_e32 v55, v112
	s_or_b32 exec_lo, exec_lo, s38
	s_and_saveexec_b32 s38, s72
	s_cbranch_execnz .LBB240_1696
.LBB240_1217:
	s_or_b32 exec_lo, exec_lo, s38
	s_and_saveexec_b32 s38, s73
	s_cbranch_execz .LBB240_1697
.LBB240_1218:
	v_mov_b32_e32 v112, 0xcccd
	v_mul_u32_u24_sdwa v113, v54, v112 dst_sel:DWORD dst_unused:UNUSED_PAD src0_sel:WORD_0 src1_sel:DWORD
	v_mul_u32_u24_sdwa v112, v51, v112 dst_sel:DWORD dst_unused:UNUSED_PAD src0_sel:WORD_0 src1_sel:DWORD
	v_lshrrev_b32_e32 v113, 19, v113
	v_lshrrev_b32_e32 v112, 19, v112
	v_cmp_lt_u16_e64 s35, v113, v112
	v_cndmask_b32_e64 v112, v54, v51, s35
	v_cndmask_b32_e64 v51, v51, v54, s35
	v_mov_b32_e32 v54, v112
	s_or_b32 exec_lo, exec_lo, s38
	s_and_saveexec_b32 s38, s74
	s_cbranch_execnz .LBB240_1698
.LBB240_1219:
	s_or_b32 exec_lo, exec_lo, s38
	s_and_saveexec_b32 s38, s75
	s_cbranch_execz .LBB240_1699
.LBB240_1220:
	v_mov_b32_e32 v112, 0xcccd
	v_mul_u32_u24_sdwa v113, v39, v112 dst_sel:DWORD dst_unused:UNUSED_PAD src0_sel:WORD_0 src1_sel:DWORD
	v_mul_u32_u24_sdwa v112, v48, v112 dst_sel:DWORD dst_unused:UNUSED_PAD src0_sel:WORD_0 src1_sel:DWORD
	v_lshrrev_b32_e32 v113, 19, v113
	v_lshrrev_b32_e32 v112, 19, v112
	v_cmp_lt_u16_e64 s35, v113, v112
	v_cndmask_b32_e64 v112, v48, v39, s35
	v_cndmask_b32_e64 v39, v39, v48, s35
	v_mov_b32_e32 v48, v112
	s_or_b32 exec_lo, exec_lo, s38
	s_and_saveexec_b32 s38, s76
	s_cbranch_execnz .LBB240_1700
.LBB240_1221:
	s_or_b32 exec_lo, exec_lo, s38
	s_and_saveexec_b32 s38, s77
	s_cbranch_execz .LBB240_1701
.LBB240_1222:
	v_mov_b32_e32 v112, 0xcccd
	v_mul_u32_u24_sdwa v113, v99, v112 dst_sel:DWORD dst_unused:UNUSED_PAD src0_sel:WORD_0 src1_sel:DWORD
	v_mul_u32_u24_sdwa v112, v100, v112 dst_sel:DWORD dst_unused:UNUSED_PAD src0_sel:WORD_0 src1_sel:DWORD
	v_lshrrev_b32_e32 v113, 19, v113
	v_lshrrev_b32_e32 v112, 19, v112
	v_cmp_lt_u16_e64 s35, v113, v112
	v_cndmask_b32_e64 v112, v99, v100, s35
	v_cndmask_b32_e64 v100, v100, v99, s35
	v_mov_b32_e32 v99, v112
	s_or_b32 exec_lo, exec_lo, s38
	s_and_saveexec_b32 s38, s78
	s_cbranch_execnz .LBB240_1702
.LBB240_1223:
	s_or_b32 exec_lo, exec_lo, s38
	s_and_saveexec_b32 s38, s79
	s_cbranch_execz .LBB240_1703
.LBB240_1224:
	v_mov_b32_e32 v112, 0xcccd
	v_mul_u32_u24_sdwa v113, v86, v112 dst_sel:DWORD dst_unused:UNUSED_PAD src0_sel:WORD_0 src1_sel:DWORD
	v_mul_u32_u24_sdwa v112, v87, v112 dst_sel:DWORD dst_unused:UNUSED_PAD src0_sel:WORD_0 src1_sel:DWORD
	v_lshrrev_b32_e32 v113, 19, v113
	v_lshrrev_b32_e32 v112, 19, v112
	v_cmp_lt_u16_e64 s35, v113, v112
	v_cndmask_b32_e64 v112, v86, v87, s35
	v_cndmask_b32_e64 v87, v87, v86, s35
	v_mov_b32_e32 v86, v112
	s_or_b32 exec_lo, exec_lo, s38
	s_and_saveexec_b32 s38, s88
	s_cbranch_execnz .LBB240_1704
.LBB240_1225:
	s_or_b32 exec_lo, exec_lo, s38
	s_and_saveexec_b32 s38, s89
	s_cbranch_execz .LBB240_1705
.LBB240_1226:
	v_mov_b32_e32 v112, 0xcccd
	v_mul_u32_u24_sdwa v113, v82, v112 dst_sel:DWORD dst_unused:UNUSED_PAD src0_sel:WORD_0 src1_sel:DWORD
	v_mul_u32_u24_sdwa v112, v83, v112 dst_sel:DWORD dst_unused:UNUSED_PAD src0_sel:WORD_0 src1_sel:DWORD
	v_lshrrev_b32_e32 v113, 19, v113
	v_lshrrev_b32_e32 v112, 19, v112
	v_cmp_lt_u16_e64 s35, v113, v112
	v_cndmask_b32_e64 v112, v82, v83, s35
	v_cndmask_b32_e64 v83, v83, v82, s35
	v_mov_b32_e32 v82, v112
	s_or_b32 exec_lo, exec_lo, s38
	s_and_saveexec_b32 s38, s90
	s_cbranch_execnz .LBB240_1706
.LBB240_1227:
	s_or_b32 exec_lo, exec_lo, s38
	s_and_saveexec_b32 s38, s91
	s_cbranch_execz .LBB240_1707
.LBB240_1228:
	v_mov_b32_e32 v112, 0xcccd
	v_mul_u32_u24_sdwa v113, v70, v112 dst_sel:DWORD dst_unused:UNUSED_PAD src0_sel:WORD_0 src1_sel:DWORD
	v_mul_u32_u24_sdwa v112, v71, v112 dst_sel:DWORD dst_unused:UNUSED_PAD src0_sel:WORD_0 src1_sel:DWORD
	v_lshrrev_b32_e32 v113, 19, v113
	v_lshrrev_b32_e32 v112, 19, v112
	v_cmp_lt_u16_e64 s35, v113, v112
	v_cndmask_b32_e64 v112, v70, v71, s35
	v_cndmask_b32_e64 v71, v71, v70, s35
	v_mov_b32_e32 v70, v112
	s_or_b32 exec_lo, exec_lo, s38
	s_and_saveexec_b32 s38, s92
	s_cbranch_execnz .LBB240_1708
.LBB240_1229:
	s_or_b32 exec_lo, exec_lo, s38
	s_and_saveexec_b32 s38, s93
	s_cbranch_execz .LBB240_1709
.LBB240_1230:
	v_mov_b32_e32 v112, 0xcccd
	v_mul_u32_u24_sdwa v113, v66, v112 dst_sel:DWORD dst_unused:UNUSED_PAD src0_sel:WORD_0 src1_sel:DWORD
	v_mul_u32_u24_sdwa v112, v67, v112 dst_sel:DWORD dst_unused:UNUSED_PAD src0_sel:WORD_0 src1_sel:DWORD
	v_lshrrev_b32_e32 v113, 19, v113
	v_lshrrev_b32_e32 v112, 19, v112
	v_cmp_lt_u16_e64 s35, v113, v112
	v_cndmask_b32_e64 v112, v66, v67, s35
	v_cndmask_b32_e64 v67, v67, v66, s35
	v_mov_b32_e32 v66, v112
	s_or_b32 exec_lo, exec_lo, s38
	s_and_saveexec_b32 s38, s94
	s_cbranch_execnz .LBB240_1710
.LBB240_1231:
	s_or_b32 exec_lo, exec_lo, s38
	s_and_saveexec_b32 s38, s95
	s_cbranch_execz .LBB240_1711
.LBB240_1232:
	v_mov_b32_e32 v112, 0xcccd
	v_mul_u32_u24_sdwa v113, v53, v112 dst_sel:DWORD dst_unused:UNUSED_PAD src0_sel:WORD_0 src1_sel:DWORD
	v_mul_u32_u24_sdwa v112, v55, v112 dst_sel:DWORD dst_unused:UNUSED_PAD src0_sel:WORD_0 src1_sel:DWORD
	v_lshrrev_b32_e32 v113, 19, v113
	v_lshrrev_b32_e32 v112, 19, v112
	v_cmp_lt_u16_e64 s35, v113, v112
	v_cndmask_b32_e64 v112, v53, v55, s35
	v_cndmask_b32_e64 v55, v55, v53, s35
	v_mov_b32_e32 v53, v112
	s_or_b32 exec_lo, exec_lo, s38
	s_and_saveexec_b32 s38, vcc_hi
	s_cbranch_execnz .LBB240_1712
.LBB240_1233:
	s_or_b32 exec_lo, exec_lo, s38
	s_and_saveexec_b32 s38, s30
	s_cbranch_execz .LBB240_1713
.LBB240_1234:
	v_mov_b32_e32 v112, 0xcccd
	v_mul_u32_u24_sdwa v113, v50, v112 dst_sel:DWORD dst_unused:UNUSED_PAD src0_sel:WORD_0 src1_sel:DWORD
	v_mul_u32_u24_sdwa v112, v54, v112 dst_sel:DWORD dst_unused:UNUSED_PAD src0_sel:WORD_0 src1_sel:DWORD
	v_lshrrev_b32_e32 v113, 19, v113
	v_lshrrev_b32_e32 v112, 19, v112
	v_cmp_lt_u16_e64 s35, v113, v112
	v_cndmask_b32_e64 v112, v54, v50, s35
	v_cndmask_b32_e64 v50, v50, v54, s35
	v_mov_b32_e32 v54, v112
	s_or_b32 exec_lo, exec_lo, s38
	s_and_saveexec_b32 s38, s31
	s_cbranch_execnz .LBB240_1714
.LBB240_1235:
	s_or_b32 exec_lo, exec_lo, s38
	s_and_saveexec_b32 s38, s34
	s_cbranch_execz .LBB240_1715
.LBB240_1236:
	v_mov_b32_e32 v112, 0xcccd
	v_mul_u32_u24_sdwa v113, v101, v112 dst_sel:DWORD dst_unused:UNUSED_PAD src0_sel:WORD_0 src1_sel:DWORD
	v_mul_u32_u24_sdwa v112, v39, v112 dst_sel:DWORD dst_unused:UNUSED_PAD src0_sel:WORD_0 src1_sel:DWORD
	v_lshrrev_b32_e32 v113, 19, v113
	v_lshrrev_b32_e32 v112, 19, v112
	v_cmp_lt_u16_e64 s35, v113, v112
	v_cndmask_b32_e64 v112, v39, v101, s35
	v_cndmask_b32_e64 v101, v101, v39, s35
	v_mov_b32_e32 v39, v112
	s_or_b32 exec_lo, exec_lo, s38
	s_and_saveexec_b32 s35, s8
	s_cbranch_execnz .LBB240_1716
.LBB240_1237:
	s_or_b32 exec_lo, exec_lo, s35
	s_and_saveexec_b32 s35, s9
	s_cbranch_execz .LBB240_1717
.LBB240_1238:
	v_mov_b32_e32 v112, 0xcccd
	v_mul_u32_u24_sdwa v113, v98, v112 dst_sel:DWORD dst_unused:UNUSED_PAD src0_sel:WORD_0 src1_sel:DWORD
	v_mul_u32_u24_sdwa v112, v99, v112 dst_sel:DWORD dst_unused:UNUSED_PAD src0_sel:WORD_0 src1_sel:DWORD
	v_lshrrev_b32_e32 v113, 19, v113
	v_lshrrev_b32_e32 v112, 19, v112
	v_cmp_lt_u16_e64 s8, v113, v112
	v_cndmask_b32_e64 v112, v98, v99, s8
	v_cndmask_b32_e64 v99, v99, v98, s8
	v_mov_b32_e32 v98, v112
	s_or_b32 exec_lo, exec_lo, s35
	s_and_saveexec_b32 s9, s12
	s_cbranch_execnz .LBB240_1718
.LBB240_1239:
	s_or_b32 exec_lo, exec_lo, s9
	s_and_saveexec_b32 s9, s13
	s_cbranch_execz .LBB240_1719
.LBB240_1240:
	v_mov_b32_e32 v112, 0xcccd
	v_mul_u32_u24_sdwa v113, v85, v112 dst_sel:DWORD dst_unused:UNUSED_PAD src0_sel:WORD_0 src1_sel:DWORD
	v_mul_u32_u24_sdwa v112, v86, v112 dst_sel:DWORD dst_unused:UNUSED_PAD src0_sel:WORD_0 src1_sel:DWORD
	v_lshrrev_b32_e32 v113, 19, v113
	v_lshrrev_b32_e32 v112, 19, v112
	v_cmp_lt_u16_e64 s8, v113, v112
	v_cndmask_b32_e64 v112, v85, v86, s8
	v_cndmask_b32_e64 v86, v86, v85, s8
	v_mov_b32_e32 v85, v112
	s_or_b32 exec_lo, exec_lo, s9
	s_and_saveexec_b32 s9, s57
	s_cbranch_execnz .LBB240_1720
.LBB240_1241:
	s_or_b32 exec_lo, exec_lo, s9
	s_and_saveexec_b32 s9, s58
	s_cbranch_execz .LBB240_1721
.LBB240_1242:
	v_mov_b32_e32 v112, 0xcccd
	v_mul_u32_u24_sdwa v113, v81, v112 dst_sel:DWORD dst_unused:UNUSED_PAD src0_sel:WORD_0 src1_sel:DWORD
	v_mul_u32_u24_sdwa v112, v82, v112 dst_sel:DWORD dst_unused:UNUSED_PAD src0_sel:WORD_0 src1_sel:DWORD
	v_lshrrev_b32_e32 v113, 19, v113
	v_lshrrev_b32_e32 v112, 19, v112
	v_cmp_lt_u16_e64 s8, v113, v112
	v_cndmask_b32_e64 v112, v81, v82, s8
	v_cndmask_b32_e64 v82, v82, v81, s8
	v_mov_b32_e32 v81, v112
	s_or_b32 exec_lo, exec_lo, s9
	s_and_saveexec_b32 s9, s59
	s_cbranch_execnz .LBB240_1722
.LBB240_1243:
	s_or_b32 exec_lo, exec_lo, s9
	s_and_saveexec_b32 s9, s60
	s_cbranch_execz .LBB240_1723
.LBB240_1244:
	v_mov_b32_e32 v112, 0xcccd
	v_mul_u32_u24_sdwa v113, v69, v112 dst_sel:DWORD dst_unused:UNUSED_PAD src0_sel:WORD_0 src1_sel:DWORD
	v_mul_u32_u24_sdwa v112, v70, v112 dst_sel:DWORD dst_unused:UNUSED_PAD src0_sel:WORD_0 src1_sel:DWORD
	v_lshrrev_b32_e32 v113, 19, v113
	v_lshrrev_b32_e32 v112, 19, v112
	v_cmp_lt_u16_e64 s8, v113, v112
	v_cndmask_b32_e64 v112, v69, v70, s8
	v_cndmask_b32_e64 v70, v70, v69, s8
	v_mov_b32_e32 v69, v112
	s_or_b32 exec_lo, exec_lo, s9
	s_and_saveexec_b32 s9, s61
	s_cbranch_execnz .LBB240_1724
.LBB240_1245:
	s_or_b32 exec_lo, exec_lo, s9
	s_and_saveexec_b32 s9, s62
	s_cbranch_execz .LBB240_1725
.LBB240_1246:
	v_mov_b32_e32 v112, 0xcccd
	v_mul_u32_u24_sdwa v113, v65, v112 dst_sel:DWORD dst_unused:UNUSED_PAD src0_sel:WORD_0 src1_sel:DWORD
	v_mul_u32_u24_sdwa v112, v66, v112 dst_sel:DWORD dst_unused:UNUSED_PAD src0_sel:WORD_0 src1_sel:DWORD
	v_lshrrev_b32_e32 v113, 19, v113
	v_lshrrev_b32_e32 v112, 19, v112
	v_cmp_lt_u16_e64 s8, v113, v112
	v_cndmask_b32_e64 v112, v65, v66, s8
	v_cndmask_b32_e64 v66, v66, v65, s8
	v_mov_b32_e32 v65, v112
	s_or_b32 exec_lo, exec_lo, s9
	s_and_saveexec_b32 s9, s63
	s_cbranch_execnz .LBB240_1726
.LBB240_1247:
	s_or_b32 exec_lo, exec_lo, s9
	s_and_saveexec_b32 s9, s72
	s_cbranch_execz .LBB240_1727
.LBB240_1248:
	v_mov_b32_e32 v112, 0xcccd
	v_mul_u32_u24_sdwa v113, v52, v112 dst_sel:DWORD dst_unused:UNUSED_PAD src0_sel:WORD_0 src1_sel:DWORD
	v_mul_u32_u24_sdwa v112, v53, v112 dst_sel:DWORD dst_unused:UNUSED_PAD src0_sel:WORD_0 src1_sel:DWORD
	v_lshrrev_b32_e32 v113, 19, v113
	v_lshrrev_b32_e32 v112, 19, v112
	v_cmp_lt_u16_e64 s8, v113, v112
	v_cndmask_b32_e64 v112, v52, v53, s8
	v_cndmask_b32_e64 v53, v53, v52, s8
	v_mov_b32_e32 v52, v112
	s_or_b32 exec_lo, exec_lo, s9
	s_and_saveexec_b32 s9, s73
	s_cbranch_execnz .LBB240_1728
.LBB240_1249:
	s_or_b32 exec_lo, exec_lo, s9
	s_and_saveexec_b32 s9, s74
	s_cbranch_execz .LBB240_1729
.LBB240_1250:
	v_mov_b32_e32 v112, 0xcccd
	v_mul_u32_u24_sdwa v113, v49, v112 dst_sel:DWORD dst_unused:UNUSED_PAD src0_sel:WORD_0 src1_sel:DWORD
	v_mul_u32_u24_sdwa v112, v50, v112 dst_sel:DWORD dst_unused:UNUSED_PAD src0_sel:WORD_0 src1_sel:DWORD
	v_lshrrev_b32_e32 v113, 19, v113
	v_lshrrev_b32_e32 v112, 19, v112
	v_cmp_lt_u16_e64 s8, v113, v112
	v_cndmask_b32_e64 v112, v50, v49, s8
	v_cndmask_b32_e64 v49, v49, v50, s8
	v_mov_b32_e32 v50, v112
	s_or_b32 exec_lo, exec_lo, s9
	s_and_saveexec_b32 s9, s75
	s_cbranch_execnz .LBB240_1730
.LBB240_1251:
	s_or_b32 exec_lo, exec_lo, s9
	s_and_saveexec_b32 s9, s76
	s_cbranch_execz .LBB240_1731
.LBB240_1252:
	v_mov_b32_e32 v112, 0xcccd
	v_mul_u32_u24_sdwa v113, v38, v112 dst_sel:DWORD dst_unused:UNUSED_PAD src0_sel:WORD_0 src1_sel:DWORD
	v_mul_u32_u24_sdwa v112, v101, v112 dst_sel:DWORD dst_unused:UNUSED_PAD src0_sel:WORD_0 src1_sel:DWORD
	v_lshrrev_b32_e32 v113, 19, v113
	v_lshrrev_b32_e32 v112, 19, v112
	v_cmp_lt_u16_e64 s8, v113, v112
	v_cndmask_b32_e64 v112, v101, v38, s8
	v_cndmask_b32_e64 v38, v38, v101, s8
	v_mov_b32_e32 v101, v112
	s_or_b32 exec_lo, exec_lo, s9
	s_and_saveexec_b32 s9, s77
	s_cbranch_execnz .LBB240_1732
.LBB240_1253:
	s_or_b32 exec_lo, exec_lo, s9
	s_and_saveexec_b32 s9, s78
	s_cbranch_execz .LBB240_1733
.LBB240_1254:
	v_mov_b32_e32 v112, 0xcccd
	v_mul_u32_u24_sdwa v113, v96, v112 dst_sel:DWORD dst_unused:UNUSED_PAD src0_sel:WORD_0 src1_sel:DWORD
	v_mul_u32_u24_sdwa v112, v98, v112 dst_sel:DWORD dst_unused:UNUSED_PAD src0_sel:WORD_0 src1_sel:DWORD
	v_lshrrev_b32_e32 v113, 19, v113
	v_lshrrev_b32_e32 v112, 19, v112
	v_cmp_lt_u16_e64 s8, v113, v112
	v_cndmask_b32_e64 v112, v96, v98, s8
	v_cndmask_b32_e64 v98, v98, v96, s8
	v_mov_b32_e32 v96, v112
	s_or_b32 exec_lo, exec_lo, s9
	s_and_saveexec_b32 s9, s79
	s_cbranch_execnz .LBB240_1734
.LBB240_1255:
	s_or_b32 exec_lo, exec_lo, s9
	s_and_saveexec_b32 s9, s88
	s_cbranch_execz .LBB240_1735
.LBB240_1256:
	v_mov_b32_e32 v112, 0xcccd
	v_mul_u32_u24_sdwa v113, v84, v112 dst_sel:DWORD dst_unused:UNUSED_PAD src0_sel:WORD_0 src1_sel:DWORD
	v_mul_u32_u24_sdwa v112, v85, v112 dst_sel:DWORD dst_unused:UNUSED_PAD src0_sel:WORD_0 src1_sel:DWORD
	v_lshrrev_b32_e32 v113, 19, v113
	v_lshrrev_b32_e32 v112, 19, v112
	v_cmp_lt_u16_e64 s8, v113, v112
	v_cndmask_b32_e64 v112, v84, v85, s8
	v_cndmask_b32_e64 v85, v85, v84, s8
	v_mov_b32_e32 v84, v112
	s_or_b32 exec_lo, exec_lo, s9
	s_and_saveexec_b32 s9, s89
	s_cbranch_execnz .LBB240_1736
.LBB240_1257:
	s_or_b32 exec_lo, exec_lo, s9
	s_and_saveexec_b32 s9, s90
	s_cbranch_execz .LBB240_1737
.LBB240_1258:
	v_mov_b32_e32 v112, 0xcccd
	v_mul_u32_u24_sdwa v113, v80, v112 dst_sel:DWORD dst_unused:UNUSED_PAD src0_sel:WORD_0 src1_sel:DWORD
	v_mul_u32_u24_sdwa v112, v81, v112 dst_sel:DWORD dst_unused:UNUSED_PAD src0_sel:WORD_0 src1_sel:DWORD
	v_lshrrev_b32_e32 v113, 19, v113
	v_lshrrev_b32_e32 v112, 19, v112
	v_cmp_lt_u16_e64 s8, v113, v112
	v_cndmask_b32_e64 v112, v80, v81, s8
	v_cndmask_b32_e64 v81, v81, v80, s8
	v_mov_b32_e32 v80, v112
	s_or_b32 exec_lo, exec_lo, s9
	s_and_saveexec_b32 s9, s91
	s_cbranch_execnz .LBB240_1738
.LBB240_1259:
	s_or_b32 exec_lo, exec_lo, s9
	s_and_saveexec_b32 s9, s92
	s_cbranch_execz .LBB240_1739
.LBB240_1260:
	v_mov_b32_e32 v112, 0xcccd
	v_mul_u32_u24_sdwa v113, v68, v112 dst_sel:DWORD dst_unused:UNUSED_PAD src0_sel:WORD_0 src1_sel:DWORD
	v_mul_u32_u24_sdwa v112, v69, v112 dst_sel:DWORD dst_unused:UNUSED_PAD src0_sel:WORD_0 src1_sel:DWORD
	v_lshrrev_b32_e32 v113, 19, v113
	v_lshrrev_b32_e32 v112, 19, v112
	v_cmp_lt_u16_e64 s8, v113, v112
	v_cndmask_b32_e64 v112, v68, v69, s8
	v_cndmask_b32_e64 v69, v69, v68, s8
	v_mov_b32_e32 v68, v112
	s_or_b32 exec_lo, exec_lo, s9
	s_and_saveexec_b32 s9, s93
	s_cbranch_execnz .LBB240_1740
.LBB240_1261:
	s_or_b32 exec_lo, exec_lo, s9
	s_and_saveexec_b32 s9, s94
	s_cbranch_execz .LBB240_1741
.LBB240_1262:
	v_mov_b32_e32 v112, 0xcccd
	v_mul_u32_u24_sdwa v113, v64, v112 dst_sel:DWORD dst_unused:UNUSED_PAD src0_sel:WORD_0 src1_sel:DWORD
	v_mul_u32_u24_sdwa v112, v65, v112 dst_sel:DWORD dst_unused:UNUSED_PAD src0_sel:WORD_0 src1_sel:DWORD
	v_lshrrev_b32_e32 v113, 19, v113
	v_lshrrev_b32_e32 v112, 19, v112
	v_cmp_lt_u16_e64 s8, v113, v112
	v_cndmask_b32_e64 v112, v64, v65, s8
	v_cndmask_b32_e64 v65, v65, v64, s8
	v_mov_b32_e32 v64, v112
	s_or_b32 exec_lo, exec_lo, s9
	s_and_saveexec_b32 s9, s95
	s_cbranch_execnz .LBB240_1742
.LBB240_1263:
	s_or_b32 exec_lo, exec_lo, s9
	s_and_saveexec_b32 s9, vcc_hi
	s_cbranch_execz .LBB240_1743
.LBB240_1264:
	v_mov_b32_e32 v112, 0xcccd
	v_mul_u32_u24_sdwa v113, v51, v112 dst_sel:DWORD dst_unused:UNUSED_PAD src0_sel:WORD_0 src1_sel:DWORD
	v_mul_u32_u24_sdwa v112, v52, v112 dst_sel:DWORD dst_unused:UNUSED_PAD src0_sel:WORD_0 src1_sel:DWORD
	v_lshrrev_b32_e32 v113, 19, v113
	v_lshrrev_b32_e32 v112, 19, v112
	v_cmp_lt_u16_e64 s8, v113, v112
	v_cndmask_b32_e64 v112, v51, v52, s8
	v_cndmask_b32_e64 v52, v52, v51, s8
	v_mov_b32_e32 v51, v112
	s_or_b32 exec_lo, exec_lo, s9
	s_and_saveexec_b32 s9, s30
	s_cbranch_execnz .LBB240_1744
.LBB240_1265:
	s_or_b32 exec_lo, exec_lo, s9
	s_and_saveexec_b32 s9, s31
	s_cbranch_execz .LBB240_1745
.LBB240_1266:
	v_mov_b32_e32 v112, 0xcccd
	v_mul_u32_u24_sdwa v113, v48, v112 dst_sel:DWORD dst_unused:UNUSED_PAD src0_sel:WORD_0 src1_sel:DWORD
	v_mul_u32_u24_sdwa v112, v49, v112 dst_sel:DWORD dst_unused:UNUSED_PAD src0_sel:WORD_0 src1_sel:DWORD
	v_lshrrev_b32_e32 v113, 19, v113
	v_lshrrev_b32_e32 v112, 19, v112
	v_cmp_lt_u16_e64 s8, v113, v112
	v_cndmask_b32_e64 v112, v49, v48, s8
	v_cndmask_b32_e64 v48, v48, v49, s8
	v_mov_b32_e32 v49, v112
	s_or_b32 exec_lo, exec_lo, s9
	s_and_saveexec_b32 s9, s34
	s_cbranch_execnz .LBB240_1746
	s_branch .LBB240_1747
.LBB240_1267:
	s_or_b32 exec_lo, exec_lo, s79
	v_cmp_lt_u32_e64 s78, 4, v112
	s_and_saveexec_b32 s88, s78
	s_cbranch_execz .LBB240_789
.LBB240_1268:
	v_mov_b32_e32 v113, 0xcccd
	v_mul_u32_u24_sdwa v114, v96, v113 dst_sel:DWORD dst_unused:UNUSED_PAD src0_sel:WORD_0 src1_sel:DWORD
	v_mul_u32_u24_sdwa v113, v98, v113 dst_sel:DWORD dst_unused:UNUSED_PAD src0_sel:WORD_0 src1_sel:DWORD
	v_lshrrev_b32_e32 v114, 19, v114
	v_lshrrev_b32_e32 v113, 19, v113
	v_cmp_lt_u16_e64 s79, v114, v113
	v_cndmask_b32_e64 v113, v96, v98, s79
	v_cndmask_b32_e64 v98, v98, v96, s79
	v_mov_b32_e32 v96, v113
	s_or_b32 exec_lo, exec_lo, s88
	v_cmp_lt_u32_e64 s79, 6, v112
	s_and_saveexec_b32 s89, s79
	s_cbranch_execnz .LBB240_790
.LBB240_1269:
	s_or_b32 exec_lo, exec_lo, s89
	v_cmp_lt_u32_e64 s88, 8, v112
	s_and_saveexec_b32 s90, s88
	s_cbranch_execz .LBB240_791
.LBB240_1270:
	v_mov_b32_e32 v113, 0xcccd
	v_mul_u32_u24_sdwa v114, v84, v113 dst_sel:DWORD dst_unused:UNUSED_PAD src0_sel:WORD_0 src1_sel:DWORD
	v_mul_u32_u24_sdwa v113, v85, v113 dst_sel:DWORD dst_unused:UNUSED_PAD src0_sel:WORD_0 src1_sel:DWORD
	v_lshrrev_b32_e32 v114, 19, v114
	v_lshrrev_b32_e32 v113, 19, v113
	v_cmp_lt_u16_e64 s89, v114, v113
	v_cndmask_b32_e64 v113, v84, v85, s89
	v_cndmask_b32_e64 v85, v85, v84, s89
	v_mov_b32_e32 v84, v113
	s_or_b32 exec_lo, exec_lo, s90
	v_cmp_lt_u32_e64 s89, 10, v112
	s_and_saveexec_b32 s91, s89
	s_cbranch_execnz .LBB240_792
.LBB240_1271:
	s_or_b32 exec_lo, exec_lo, s91
	v_cmp_lt_u32_e64 s90, 12, v112
	s_and_saveexec_b32 s92, s90
	s_cbranch_execz .LBB240_793
.LBB240_1272:
	v_mov_b32_e32 v113, 0xcccd
	v_mul_u32_u24_sdwa v114, v80, v113 dst_sel:DWORD dst_unused:UNUSED_PAD src0_sel:WORD_0 src1_sel:DWORD
	v_mul_u32_u24_sdwa v113, v81, v113 dst_sel:DWORD dst_unused:UNUSED_PAD src0_sel:WORD_0 src1_sel:DWORD
	v_lshrrev_b32_e32 v114, 19, v114
	v_lshrrev_b32_e32 v113, 19, v113
	v_cmp_lt_u16_e64 s91, v114, v113
	v_cndmask_b32_e64 v113, v80, v81, s91
	v_cndmask_b32_e64 v81, v81, v80, s91
	v_mov_b32_e32 v80, v113
	s_or_b32 exec_lo, exec_lo, s92
	v_cmp_lt_u32_e64 s91, 14, v112
	s_and_saveexec_b32 s93, s91
	s_cbranch_execnz .LBB240_794
.LBB240_1273:
	s_or_b32 exec_lo, exec_lo, s93
	v_cmp_lt_u32_e64 s92, 16, v112
	s_and_saveexec_b32 s94, s92
	s_cbranch_execz .LBB240_795
.LBB240_1274:
	v_mov_b32_e32 v113, 0xcccd
	v_mul_u32_u24_sdwa v114, v68, v113 dst_sel:DWORD dst_unused:UNUSED_PAD src0_sel:WORD_0 src1_sel:DWORD
	v_mul_u32_u24_sdwa v113, v69, v113 dst_sel:DWORD dst_unused:UNUSED_PAD src0_sel:WORD_0 src1_sel:DWORD
	v_lshrrev_b32_e32 v114, 19, v114
	v_lshrrev_b32_e32 v113, 19, v113
	v_cmp_lt_u16_e64 s93, v114, v113
	v_cndmask_b32_e64 v113, v68, v69, s93
	v_cndmask_b32_e64 v69, v69, v68, s93
	v_mov_b32_e32 v68, v113
	s_or_b32 exec_lo, exec_lo, s94
	v_cmp_lt_u32_e64 s93, 18, v112
	s_and_saveexec_b32 s95, s93
	s_cbranch_execnz .LBB240_796
.LBB240_1275:
	s_or_b32 exec_lo, exec_lo, s95
	v_cmp_lt_u32_e64 s94, 20, v112
	s_and_saveexec_b32 vcc_hi, s94
	s_cbranch_execz .LBB240_797
.LBB240_1276:
	v_mov_b32_e32 v113, 0xcccd
	v_mul_u32_u24_sdwa v114, v64, v113 dst_sel:DWORD dst_unused:UNUSED_PAD src0_sel:WORD_0 src1_sel:DWORD
	v_mul_u32_u24_sdwa v113, v65, v113 dst_sel:DWORD dst_unused:UNUSED_PAD src0_sel:WORD_0 src1_sel:DWORD
	v_lshrrev_b32_e32 v114, 19, v114
	v_lshrrev_b32_e32 v113, 19, v113
	v_cmp_lt_u16_e64 s95, v114, v113
	v_cndmask_b32_e64 v113, v64, v65, s95
	v_cndmask_b32_e64 v65, v65, v64, s95
	v_mov_b32_e32 v64, v113
	s_or_b32 exec_lo, exec_lo, vcc_hi
	v_cmp_lt_u32_e64 s95, 22, v112
	s_and_saveexec_b32 s30, s95
	s_cbranch_execnz .LBB240_798
.LBB240_1277:
	s_or_b32 exec_lo, exec_lo, s30
	v_cmp_lt_u32_e64 vcc_hi, 24, v112
	s_and_saveexec_b32 s31, vcc_hi
	s_cbranch_execz .LBB240_799
.LBB240_1278:
	v_mov_b32_e32 v113, 0xcccd
	v_mul_u32_u24_sdwa v114, v51, v113 dst_sel:DWORD dst_unused:UNUSED_PAD src0_sel:WORD_0 src1_sel:DWORD
	v_mul_u32_u24_sdwa v113, v52, v113 dst_sel:DWORD dst_unused:UNUSED_PAD src0_sel:WORD_0 src1_sel:DWORD
	v_lshrrev_b32_e32 v114, 19, v114
	v_lshrrev_b32_e32 v113, 19, v113
	v_cmp_lt_u16_e64 s30, v114, v113
	v_cndmask_b32_e64 v113, v51, v52, s30
	v_cndmask_b32_e64 v52, v52, v51, s30
	v_mov_b32_e32 v51, v113
	s_or_b32 exec_lo, exec_lo, s31
	v_cmp_lt_u32_e64 s30, 26, v112
	s_and_saveexec_b32 s34, s30
	s_cbranch_execnz .LBB240_800
.LBB240_1279:
	s_or_b32 exec_lo, exec_lo, s34
	v_cmp_lt_u32_e64 s31, 28, v112
	s_and_saveexec_b32 s35, s31
	s_cbranch_execz .LBB240_801
.LBB240_1280:
	v_mov_b32_e32 v113, 0xcccd
	v_mul_u32_u24_sdwa v114, v48, v113 dst_sel:DWORD dst_unused:UNUSED_PAD src0_sel:WORD_0 src1_sel:DWORD
	v_mul_u32_u24_sdwa v113, v49, v113 dst_sel:DWORD dst_unused:UNUSED_PAD src0_sel:WORD_0 src1_sel:DWORD
	v_lshrrev_b32_e32 v114, 19, v114
	v_lshrrev_b32_e32 v113, 19, v113
	v_cmp_lt_u16_e64 s34, v114, v113
	v_cndmask_b32_e64 v113, v49, v48, s34
	v_cndmask_b32_e64 v48, v48, v49, s34
	v_mov_b32_e32 v49, v113
	s_or_b32 exec_lo, exec_lo, s35
	v_cmp_lt_u32_e64 s34, 30, v112
	s_and_saveexec_b32 s38, s34
	s_cbranch_execnz .LBB240_802
.LBB240_1281:
	s_or_b32 exec_lo, exec_lo, s38
	s_and_saveexec_b32 s38, s8
	s_cbranch_execz .LBB240_803
.LBB240_1282:
	v_mov_b32_e32 v112, 0xcccd
	v_mul_u32_u24_sdwa v113, v100, v112 dst_sel:DWORD dst_unused:UNUSED_PAD src0_sel:WORD_0 src1_sel:DWORD
	v_mul_u32_u24_sdwa v112, v97, v112 dst_sel:DWORD dst_unused:UNUSED_PAD src0_sel:WORD_0 src1_sel:DWORD
	v_lshrrev_b32_e32 v113, 19, v113
	v_lshrrev_b32_e32 v112, 19, v112
	v_cmp_lt_u16_e64 s35, v113, v112
	v_cndmask_b32_e64 v112, v100, v97, s35
	v_cndmask_b32_e64 v97, v97, v100, s35
	v_mov_b32_e32 v100, v112
	s_or_b32 exec_lo, exec_lo, s38
	s_and_saveexec_b32 s38, s9
	s_cbranch_execnz .LBB240_804
.LBB240_1283:
	s_or_b32 exec_lo, exec_lo, s38
	s_and_saveexec_b32 s38, s12
	s_cbranch_execz .LBB240_805
.LBB240_1284:
	v_mov_b32_e32 v112, 0xcccd
	v_mul_u32_u24_sdwa v113, v87, v112 dst_sel:DWORD dst_unused:UNUSED_PAD src0_sel:WORD_0 src1_sel:DWORD
	v_mul_u32_u24_sdwa v112, v96, v112 dst_sel:DWORD dst_unused:UNUSED_PAD src0_sel:WORD_0 src1_sel:DWORD
	v_lshrrev_b32_e32 v113, 19, v113
	v_lshrrev_b32_e32 v112, 19, v112
	v_cmp_lt_u16_e64 s35, v113, v112
	v_cndmask_b32_e64 v112, v87, v96, s35
	v_cndmask_b32_e64 v96, v96, v87, s35
	v_mov_b32_e32 v87, v112
	s_or_b32 exec_lo, exec_lo, s38
	s_and_saveexec_b32 s38, s13
	s_cbranch_execnz .LBB240_806
.LBB240_1285:
	s_or_b32 exec_lo, exec_lo, s38
	s_and_saveexec_b32 s38, s57
	s_cbranch_execz .LBB240_807
.LBB240_1286:
	v_mov_b32_e32 v112, 0xcccd
	v_mul_u32_u24_sdwa v113, v83, v112 dst_sel:DWORD dst_unused:UNUSED_PAD src0_sel:WORD_0 src1_sel:DWORD
	v_mul_u32_u24_sdwa v112, v84, v112 dst_sel:DWORD dst_unused:UNUSED_PAD src0_sel:WORD_0 src1_sel:DWORD
	v_lshrrev_b32_e32 v113, 19, v113
	v_lshrrev_b32_e32 v112, 19, v112
	v_cmp_lt_u16_e64 s35, v113, v112
	v_cndmask_b32_e64 v112, v83, v84, s35
	v_cndmask_b32_e64 v84, v84, v83, s35
	v_mov_b32_e32 v83, v112
	s_or_b32 exec_lo, exec_lo, s38
	s_and_saveexec_b32 s38, s58
	s_cbranch_execnz .LBB240_808
.LBB240_1287:
	s_or_b32 exec_lo, exec_lo, s38
	s_and_saveexec_b32 s38, s59
	s_cbranch_execz .LBB240_809
.LBB240_1288:
	v_mov_b32_e32 v112, 0xcccd
	v_mul_u32_u24_sdwa v113, v71, v112 dst_sel:DWORD dst_unused:UNUSED_PAD src0_sel:WORD_0 src1_sel:DWORD
	v_mul_u32_u24_sdwa v112, v80, v112 dst_sel:DWORD dst_unused:UNUSED_PAD src0_sel:WORD_0 src1_sel:DWORD
	v_lshrrev_b32_e32 v113, 19, v113
	v_lshrrev_b32_e32 v112, 19, v112
	v_cmp_lt_u16_e64 s35, v113, v112
	v_cndmask_b32_e64 v112, v71, v80, s35
	v_cndmask_b32_e64 v80, v80, v71, s35
	v_mov_b32_e32 v71, v112
	s_or_b32 exec_lo, exec_lo, s38
	s_and_saveexec_b32 s38, s60
	s_cbranch_execnz .LBB240_810
.LBB240_1289:
	s_or_b32 exec_lo, exec_lo, s38
	s_and_saveexec_b32 s38, s61
	s_cbranch_execz .LBB240_811
.LBB240_1290:
	v_mov_b32_e32 v112, 0xcccd
	v_mul_u32_u24_sdwa v113, v67, v112 dst_sel:DWORD dst_unused:UNUSED_PAD src0_sel:WORD_0 src1_sel:DWORD
	v_mul_u32_u24_sdwa v112, v68, v112 dst_sel:DWORD dst_unused:UNUSED_PAD src0_sel:WORD_0 src1_sel:DWORD
	v_lshrrev_b32_e32 v113, 19, v113
	v_lshrrev_b32_e32 v112, 19, v112
	v_cmp_lt_u16_e64 s35, v113, v112
	v_cndmask_b32_e64 v112, v67, v68, s35
	v_cndmask_b32_e64 v68, v68, v67, s35
	v_mov_b32_e32 v67, v112
	s_or_b32 exec_lo, exec_lo, s38
	s_and_saveexec_b32 s38, s62
	s_cbranch_execnz .LBB240_812
.LBB240_1291:
	s_or_b32 exec_lo, exec_lo, s38
	s_and_saveexec_b32 s38, s63
	s_cbranch_execz .LBB240_813
.LBB240_1292:
	v_mov_b32_e32 v112, 0xcccd
	v_mul_u32_u24_sdwa v113, v55, v112 dst_sel:DWORD dst_unused:UNUSED_PAD src0_sel:WORD_0 src1_sel:DWORD
	v_mul_u32_u24_sdwa v112, v64, v112 dst_sel:DWORD dst_unused:UNUSED_PAD src0_sel:WORD_0 src1_sel:DWORD
	v_lshrrev_b32_e32 v113, 19, v113
	v_lshrrev_b32_e32 v112, 19, v112
	v_cmp_lt_u16_e64 s35, v113, v112
	v_cndmask_b32_e64 v112, v55, v64, s35
	v_cndmask_b32_e64 v64, v64, v55, s35
	v_mov_b32_e32 v55, v112
	s_or_b32 exec_lo, exec_lo, s38
	s_and_saveexec_b32 s38, s72
	s_cbranch_execnz .LBB240_814
.LBB240_1293:
	s_or_b32 exec_lo, exec_lo, s38
	s_and_saveexec_b32 s38, s73
	s_cbranch_execz .LBB240_815
.LBB240_1294:
	v_mov_b32_e32 v112, 0xcccd
	v_mul_u32_u24_sdwa v113, v54, v112 dst_sel:DWORD dst_unused:UNUSED_PAD src0_sel:WORD_0 src1_sel:DWORD
	v_mul_u32_u24_sdwa v112, v51, v112 dst_sel:DWORD dst_unused:UNUSED_PAD src0_sel:WORD_0 src1_sel:DWORD
	v_lshrrev_b32_e32 v113, 19, v113
	v_lshrrev_b32_e32 v112, 19, v112
	v_cmp_lt_u16_e64 s35, v113, v112
	v_cndmask_b32_e64 v112, v54, v51, s35
	v_cndmask_b32_e64 v51, v51, v54, s35
	v_mov_b32_e32 v54, v112
	s_or_b32 exec_lo, exec_lo, s38
	s_and_saveexec_b32 s38, s74
	s_cbranch_execnz .LBB240_816
.LBB240_1295:
	s_or_b32 exec_lo, exec_lo, s38
	s_and_saveexec_b32 s38, s75
	s_cbranch_execz .LBB240_817
.LBB240_1296:
	v_mov_b32_e32 v112, 0xcccd
	v_mul_u32_u24_sdwa v113, v39, v112 dst_sel:DWORD dst_unused:UNUSED_PAD src0_sel:WORD_0 src1_sel:DWORD
	v_mul_u32_u24_sdwa v112, v48, v112 dst_sel:DWORD dst_unused:UNUSED_PAD src0_sel:WORD_0 src1_sel:DWORD
	v_lshrrev_b32_e32 v113, 19, v113
	v_lshrrev_b32_e32 v112, 19, v112
	v_cmp_lt_u16_e64 s35, v113, v112
	v_cndmask_b32_e64 v112, v48, v39, s35
	v_cndmask_b32_e64 v39, v39, v48, s35
	v_mov_b32_e32 v48, v112
	s_or_b32 exec_lo, exec_lo, s38
	s_and_saveexec_b32 s38, s76
	s_cbranch_execnz .LBB240_818
.LBB240_1297:
	s_or_b32 exec_lo, exec_lo, s38
	s_and_saveexec_b32 s38, s77
	s_cbranch_execz .LBB240_819
.LBB240_1298:
	v_mov_b32_e32 v112, 0xcccd
	v_mul_u32_u24_sdwa v113, v99, v112 dst_sel:DWORD dst_unused:UNUSED_PAD src0_sel:WORD_0 src1_sel:DWORD
	v_mul_u32_u24_sdwa v112, v100, v112 dst_sel:DWORD dst_unused:UNUSED_PAD src0_sel:WORD_0 src1_sel:DWORD
	v_lshrrev_b32_e32 v113, 19, v113
	v_lshrrev_b32_e32 v112, 19, v112
	v_cmp_lt_u16_e64 s35, v113, v112
	v_cndmask_b32_e64 v112, v99, v100, s35
	v_cndmask_b32_e64 v100, v100, v99, s35
	v_mov_b32_e32 v99, v112
	s_or_b32 exec_lo, exec_lo, s38
	s_and_saveexec_b32 s38, s78
	s_cbranch_execnz .LBB240_820
.LBB240_1299:
	s_or_b32 exec_lo, exec_lo, s38
	s_and_saveexec_b32 s38, s79
	s_cbranch_execz .LBB240_821
.LBB240_1300:
	v_mov_b32_e32 v112, 0xcccd
	v_mul_u32_u24_sdwa v113, v86, v112 dst_sel:DWORD dst_unused:UNUSED_PAD src0_sel:WORD_0 src1_sel:DWORD
	v_mul_u32_u24_sdwa v112, v87, v112 dst_sel:DWORD dst_unused:UNUSED_PAD src0_sel:WORD_0 src1_sel:DWORD
	v_lshrrev_b32_e32 v113, 19, v113
	v_lshrrev_b32_e32 v112, 19, v112
	v_cmp_lt_u16_e64 s35, v113, v112
	v_cndmask_b32_e64 v112, v86, v87, s35
	v_cndmask_b32_e64 v87, v87, v86, s35
	v_mov_b32_e32 v86, v112
	s_or_b32 exec_lo, exec_lo, s38
	s_and_saveexec_b32 s38, s88
	s_cbranch_execnz .LBB240_822
.LBB240_1301:
	s_or_b32 exec_lo, exec_lo, s38
	s_and_saveexec_b32 s38, s89
	s_cbranch_execz .LBB240_823
.LBB240_1302:
	v_mov_b32_e32 v112, 0xcccd
	v_mul_u32_u24_sdwa v113, v82, v112 dst_sel:DWORD dst_unused:UNUSED_PAD src0_sel:WORD_0 src1_sel:DWORD
	v_mul_u32_u24_sdwa v112, v83, v112 dst_sel:DWORD dst_unused:UNUSED_PAD src0_sel:WORD_0 src1_sel:DWORD
	v_lshrrev_b32_e32 v113, 19, v113
	v_lshrrev_b32_e32 v112, 19, v112
	v_cmp_lt_u16_e64 s35, v113, v112
	v_cndmask_b32_e64 v112, v82, v83, s35
	v_cndmask_b32_e64 v83, v83, v82, s35
	v_mov_b32_e32 v82, v112
	s_or_b32 exec_lo, exec_lo, s38
	s_and_saveexec_b32 s38, s90
	s_cbranch_execnz .LBB240_824
.LBB240_1303:
	s_or_b32 exec_lo, exec_lo, s38
	s_and_saveexec_b32 s38, s91
	s_cbranch_execz .LBB240_825
.LBB240_1304:
	v_mov_b32_e32 v112, 0xcccd
	v_mul_u32_u24_sdwa v113, v70, v112 dst_sel:DWORD dst_unused:UNUSED_PAD src0_sel:WORD_0 src1_sel:DWORD
	v_mul_u32_u24_sdwa v112, v71, v112 dst_sel:DWORD dst_unused:UNUSED_PAD src0_sel:WORD_0 src1_sel:DWORD
	v_lshrrev_b32_e32 v113, 19, v113
	v_lshrrev_b32_e32 v112, 19, v112
	v_cmp_lt_u16_e64 s35, v113, v112
	v_cndmask_b32_e64 v112, v70, v71, s35
	v_cndmask_b32_e64 v71, v71, v70, s35
	v_mov_b32_e32 v70, v112
	s_or_b32 exec_lo, exec_lo, s38
	s_and_saveexec_b32 s38, s92
	s_cbranch_execnz .LBB240_826
.LBB240_1305:
	s_or_b32 exec_lo, exec_lo, s38
	s_and_saveexec_b32 s38, s93
	s_cbranch_execz .LBB240_827
.LBB240_1306:
	v_mov_b32_e32 v112, 0xcccd
	v_mul_u32_u24_sdwa v113, v66, v112 dst_sel:DWORD dst_unused:UNUSED_PAD src0_sel:WORD_0 src1_sel:DWORD
	v_mul_u32_u24_sdwa v112, v67, v112 dst_sel:DWORD dst_unused:UNUSED_PAD src0_sel:WORD_0 src1_sel:DWORD
	v_lshrrev_b32_e32 v113, 19, v113
	v_lshrrev_b32_e32 v112, 19, v112
	v_cmp_lt_u16_e64 s35, v113, v112
	v_cndmask_b32_e64 v112, v66, v67, s35
	v_cndmask_b32_e64 v67, v67, v66, s35
	v_mov_b32_e32 v66, v112
	s_or_b32 exec_lo, exec_lo, s38
	s_and_saveexec_b32 s38, s94
	s_cbranch_execnz .LBB240_828
.LBB240_1307:
	s_or_b32 exec_lo, exec_lo, s38
	s_and_saveexec_b32 s38, s95
	s_cbranch_execz .LBB240_829
.LBB240_1308:
	v_mov_b32_e32 v112, 0xcccd
	v_mul_u32_u24_sdwa v113, v53, v112 dst_sel:DWORD dst_unused:UNUSED_PAD src0_sel:WORD_0 src1_sel:DWORD
	v_mul_u32_u24_sdwa v112, v55, v112 dst_sel:DWORD dst_unused:UNUSED_PAD src0_sel:WORD_0 src1_sel:DWORD
	v_lshrrev_b32_e32 v113, 19, v113
	v_lshrrev_b32_e32 v112, 19, v112
	v_cmp_lt_u16_e64 s35, v113, v112
	v_cndmask_b32_e64 v112, v53, v55, s35
	v_cndmask_b32_e64 v55, v55, v53, s35
	v_mov_b32_e32 v53, v112
	s_or_b32 exec_lo, exec_lo, s38
	s_and_saveexec_b32 s38, vcc_hi
	s_cbranch_execnz .LBB240_830
.LBB240_1309:
	s_or_b32 exec_lo, exec_lo, s38
	s_and_saveexec_b32 s38, s30
	s_cbranch_execz .LBB240_831
.LBB240_1310:
	v_mov_b32_e32 v112, 0xcccd
	v_mul_u32_u24_sdwa v113, v50, v112 dst_sel:DWORD dst_unused:UNUSED_PAD src0_sel:WORD_0 src1_sel:DWORD
	v_mul_u32_u24_sdwa v112, v54, v112 dst_sel:DWORD dst_unused:UNUSED_PAD src0_sel:WORD_0 src1_sel:DWORD
	v_lshrrev_b32_e32 v113, 19, v113
	v_lshrrev_b32_e32 v112, 19, v112
	v_cmp_lt_u16_e64 s35, v113, v112
	v_cndmask_b32_e64 v112, v54, v50, s35
	v_cndmask_b32_e64 v50, v50, v54, s35
	v_mov_b32_e32 v54, v112
	s_or_b32 exec_lo, exec_lo, s38
	s_and_saveexec_b32 s38, s31
	s_cbranch_execnz .LBB240_832
.LBB240_1311:
	s_or_b32 exec_lo, exec_lo, s38
	s_and_saveexec_b32 s38, s34
	s_cbranch_execz .LBB240_833
.LBB240_1312:
	v_mov_b32_e32 v112, 0xcccd
	v_mul_u32_u24_sdwa v113, v101, v112 dst_sel:DWORD dst_unused:UNUSED_PAD src0_sel:WORD_0 src1_sel:DWORD
	v_mul_u32_u24_sdwa v112, v39, v112 dst_sel:DWORD dst_unused:UNUSED_PAD src0_sel:WORD_0 src1_sel:DWORD
	v_lshrrev_b32_e32 v113, 19, v113
	v_lshrrev_b32_e32 v112, 19, v112
	v_cmp_lt_u16_e64 s35, v113, v112
	v_cndmask_b32_e64 v112, v39, v101, s35
	v_cndmask_b32_e64 v101, v101, v39, s35
	v_mov_b32_e32 v39, v112
	s_or_b32 exec_lo, exec_lo, s38
	s_and_saveexec_b32 s38, s8
	s_cbranch_execnz .LBB240_834
.LBB240_1313:
	s_or_b32 exec_lo, exec_lo, s38
	s_and_saveexec_b32 s38, s9
	s_cbranch_execz .LBB240_835
.LBB240_1314:
	v_mov_b32_e32 v112, 0xcccd
	v_mul_u32_u24_sdwa v113, v98, v112 dst_sel:DWORD dst_unused:UNUSED_PAD src0_sel:WORD_0 src1_sel:DWORD
	v_mul_u32_u24_sdwa v112, v99, v112 dst_sel:DWORD dst_unused:UNUSED_PAD src0_sel:WORD_0 src1_sel:DWORD
	v_lshrrev_b32_e32 v113, 19, v113
	v_lshrrev_b32_e32 v112, 19, v112
	v_cmp_lt_u16_e64 s35, v113, v112
	v_cndmask_b32_e64 v112, v98, v99, s35
	v_cndmask_b32_e64 v99, v99, v98, s35
	v_mov_b32_e32 v98, v112
	s_or_b32 exec_lo, exec_lo, s38
	s_and_saveexec_b32 s38, s12
	s_cbranch_execnz .LBB240_836
.LBB240_1315:
	s_or_b32 exec_lo, exec_lo, s38
	s_and_saveexec_b32 s38, s13
	s_cbranch_execz .LBB240_837
.LBB240_1316:
	v_mov_b32_e32 v112, 0xcccd
	v_mul_u32_u24_sdwa v113, v85, v112 dst_sel:DWORD dst_unused:UNUSED_PAD src0_sel:WORD_0 src1_sel:DWORD
	v_mul_u32_u24_sdwa v112, v86, v112 dst_sel:DWORD dst_unused:UNUSED_PAD src0_sel:WORD_0 src1_sel:DWORD
	v_lshrrev_b32_e32 v113, 19, v113
	v_lshrrev_b32_e32 v112, 19, v112
	v_cmp_lt_u16_e64 s35, v113, v112
	v_cndmask_b32_e64 v112, v85, v86, s35
	v_cndmask_b32_e64 v86, v86, v85, s35
	v_mov_b32_e32 v85, v112
	s_or_b32 exec_lo, exec_lo, s38
	s_and_saveexec_b32 s38, s57
	s_cbranch_execnz .LBB240_838
.LBB240_1317:
	s_or_b32 exec_lo, exec_lo, s38
	s_and_saveexec_b32 s38, s58
	s_cbranch_execz .LBB240_839
.LBB240_1318:
	v_mov_b32_e32 v112, 0xcccd
	v_mul_u32_u24_sdwa v113, v81, v112 dst_sel:DWORD dst_unused:UNUSED_PAD src0_sel:WORD_0 src1_sel:DWORD
	v_mul_u32_u24_sdwa v112, v82, v112 dst_sel:DWORD dst_unused:UNUSED_PAD src0_sel:WORD_0 src1_sel:DWORD
	v_lshrrev_b32_e32 v113, 19, v113
	v_lshrrev_b32_e32 v112, 19, v112
	v_cmp_lt_u16_e64 s35, v113, v112
	v_cndmask_b32_e64 v112, v81, v82, s35
	v_cndmask_b32_e64 v82, v82, v81, s35
	v_mov_b32_e32 v81, v112
	s_or_b32 exec_lo, exec_lo, s38
	s_and_saveexec_b32 s38, s59
	s_cbranch_execnz .LBB240_840
.LBB240_1319:
	s_or_b32 exec_lo, exec_lo, s38
	s_and_saveexec_b32 s38, s60
	s_cbranch_execz .LBB240_841
.LBB240_1320:
	v_mov_b32_e32 v112, 0xcccd
	v_mul_u32_u24_sdwa v113, v69, v112 dst_sel:DWORD dst_unused:UNUSED_PAD src0_sel:WORD_0 src1_sel:DWORD
	v_mul_u32_u24_sdwa v112, v70, v112 dst_sel:DWORD dst_unused:UNUSED_PAD src0_sel:WORD_0 src1_sel:DWORD
	v_lshrrev_b32_e32 v113, 19, v113
	v_lshrrev_b32_e32 v112, 19, v112
	v_cmp_lt_u16_e64 s35, v113, v112
	v_cndmask_b32_e64 v112, v69, v70, s35
	v_cndmask_b32_e64 v70, v70, v69, s35
	v_mov_b32_e32 v69, v112
	s_or_b32 exec_lo, exec_lo, s38
	s_and_saveexec_b32 s38, s61
	s_cbranch_execnz .LBB240_842
.LBB240_1321:
	s_or_b32 exec_lo, exec_lo, s38
	s_and_saveexec_b32 s38, s62
	s_cbranch_execz .LBB240_843
.LBB240_1322:
	v_mov_b32_e32 v112, 0xcccd
	v_mul_u32_u24_sdwa v113, v65, v112 dst_sel:DWORD dst_unused:UNUSED_PAD src0_sel:WORD_0 src1_sel:DWORD
	v_mul_u32_u24_sdwa v112, v66, v112 dst_sel:DWORD dst_unused:UNUSED_PAD src0_sel:WORD_0 src1_sel:DWORD
	v_lshrrev_b32_e32 v113, 19, v113
	v_lshrrev_b32_e32 v112, 19, v112
	v_cmp_lt_u16_e64 s35, v113, v112
	v_cndmask_b32_e64 v112, v65, v66, s35
	v_cndmask_b32_e64 v66, v66, v65, s35
	v_mov_b32_e32 v65, v112
	s_or_b32 exec_lo, exec_lo, s38
	s_and_saveexec_b32 s38, s63
	s_cbranch_execnz .LBB240_844
.LBB240_1323:
	s_or_b32 exec_lo, exec_lo, s38
	s_and_saveexec_b32 s38, s72
	s_cbranch_execz .LBB240_845
.LBB240_1324:
	v_mov_b32_e32 v112, 0xcccd
	v_mul_u32_u24_sdwa v113, v52, v112 dst_sel:DWORD dst_unused:UNUSED_PAD src0_sel:WORD_0 src1_sel:DWORD
	v_mul_u32_u24_sdwa v112, v53, v112 dst_sel:DWORD dst_unused:UNUSED_PAD src0_sel:WORD_0 src1_sel:DWORD
	v_lshrrev_b32_e32 v113, 19, v113
	v_lshrrev_b32_e32 v112, 19, v112
	v_cmp_lt_u16_e64 s35, v113, v112
	v_cndmask_b32_e64 v112, v52, v53, s35
	v_cndmask_b32_e64 v53, v53, v52, s35
	v_mov_b32_e32 v52, v112
	s_or_b32 exec_lo, exec_lo, s38
	s_and_saveexec_b32 s38, s73
	s_cbranch_execnz .LBB240_846
.LBB240_1325:
	s_or_b32 exec_lo, exec_lo, s38
	s_and_saveexec_b32 s38, s74
	s_cbranch_execz .LBB240_847
.LBB240_1326:
	v_mov_b32_e32 v112, 0xcccd
	v_mul_u32_u24_sdwa v113, v49, v112 dst_sel:DWORD dst_unused:UNUSED_PAD src0_sel:WORD_0 src1_sel:DWORD
	v_mul_u32_u24_sdwa v112, v50, v112 dst_sel:DWORD dst_unused:UNUSED_PAD src0_sel:WORD_0 src1_sel:DWORD
	v_lshrrev_b32_e32 v113, 19, v113
	v_lshrrev_b32_e32 v112, 19, v112
	v_cmp_lt_u16_e64 s35, v113, v112
	v_cndmask_b32_e64 v112, v50, v49, s35
	v_cndmask_b32_e64 v49, v49, v50, s35
	v_mov_b32_e32 v50, v112
	s_or_b32 exec_lo, exec_lo, s38
	s_and_saveexec_b32 s38, s75
	s_cbranch_execnz .LBB240_848
.LBB240_1327:
	s_or_b32 exec_lo, exec_lo, s38
	s_and_saveexec_b32 s38, s76
	s_cbranch_execz .LBB240_849
.LBB240_1328:
	v_mov_b32_e32 v112, 0xcccd
	v_mul_u32_u24_sdwa v113, v38, v112 dst_sel:DWORD dst_unused:UNUSED_PAD src0_sel:WORD_0 src1_sel:DWORD
	v_mul_u32_u24_sdwa v112, v101, v112 dst_sel:DWORD dst_unused:UNUSED_PAD src0_sel:WORD_0 src1_sel:DWORD
	v_lshrrev_b32_e32 v113, 19, v113
	v_lshrrev_b32_e32 v112, 19, v112
	v_cmp_lt_u16_e64 s35, v113, v112
	v_cndmask_b32_e64 v112, v101, v38, s35
	v_cndmask_b32_e64 v38, v38, v101, s35
	v_mov_b32_e32 v101, v112
	s_or_b32 exec_lo, exec_lo, s38
	s_and_saveexec_b32 s38, s77
	s_cbranch_execnz .LBB240_850
.LBB240_1329:
	s_or_b32 exec_lo, exec_lo, s38
	s_and_saveexec_b32 s38, s78
	s_cbranch_execz .LBB240_851
.LBB240_1330:
	v_mov_b32_e32 v112, 0xcccd
	v_mul_u32_u24_sdwa v113, v96, v112 dst_sel:DWORD dst_unused:UNUSED_PAD src0_sel:WORD_0 src1_sel:DWORD
	v_mul_u32_u24_sdwa v112, v98, v112 dst_sel:DWORD dst_unused:UNUSED_PAD src0_sel:WORD_0 src1_sel:DWORD
	v_lshrrev_b32_e32 v113, 19, v113
	v_lshrrev_b32_e32 v112, 19, v112
	v_cmp_lt_u16_e64 s35, v113, v112
	v_cndmask_b32_e64 v112, v96, v98, s35
	v_cndmask_b32_e64 v98, v98, v96, s35
	v_mov_b32_e32 v96, v112
	s_or_b32 exec_lo, exec_lo, s38
	s_and_saveexec_b32 s38, s79
	s_cbranch_execnz .LBB240_852
.LBB240_1331:
	s_or_b32 exec_lo, exec_lo, s38
	s_and_saveexec_b32 s38, s88
	s_cbranch_execz .LBB240_853
.LBB240_1332:
	v_mov_b32_e32 v112, 0xcccd
	v_mul_u32_u24_sdwa v113, v84, v112 dst_sel:DWORD dst_unused:UNUSED_PAD src0_sel:WORD_0 src1_sel:DWORD
	v_mul_u32_u24_sdwa v112, v85, v112 dst_sel:DWORD dst_unused:UNUSED_PAD src0_sel:WORD_0 src1_sel:DWORD
	v_lshrrev_b32_e32 v113, 19, v113
	v_lshrrev_b32_e32 v112, 19, v112
	v_cmp_lt_u16_e64 s35, v113, v112
	v_cndmask_b32_e64 v112, v84, v85, s35
	v_cndmask_b32_e64 v85, v85, v84, s35
	v_mov_b32_e32 v84, v112
	s_or_b32 exec_lo, exec_lo, s38
	s_and_saveexec_b32 s38, s89
	s_cbranch_execnz .LBB240_854
.LBB240_1333:
	s_or_b32 exec_lo, exec_lo, s38
	s_and_saveexec_b32 s38, s90
	s_cbranch_execz .LBB240_855
.LBB240_1334:
	v_mov_b32_e32 v112, 0xcccd
	v_mul_u32_u24_sdwa v113, v80, v112 dst_sel:DWORD dst_unused:UNUSED_PAD src0_sel:WORD_0 src1_sel:DWORD
	v_mul_u32_u24_sdwa v112, v81, v112 dst_sel:DWORD dst_unused:UNUSED_PAD src0_sel:WORD_0 src1_sel:DWORD
	v_lshrrev_b32_e32 v113, 19, v113
	v_lshrrev_b32_e32 v112, 19, v112
	v_cmp_lt_u16_e64 s35, v113, v112
	v_cndmask_b32_e64 v112, v80, v81, s35
	v_cndmask_b32_e64 v81, v81, v80, s35
	v_mov_b32_e32 v80, v112
	s_or_b32 exec_lo, exec_lo, s38
	s_and_saveexec_b32 s38, s91
	s_cbranch_execnz .LBB240_856
.LBB240_1335:
	s_or_b32 exec_lo, exec_lo, s38
	s_and_saveexec_b32 s38, s92
	s_cbranch_execz .LBB240_857
.LBB240_1336:
	v_mov_b32_e32 v112, 0xcccd
	v_mul_u32_u24_sdwa v113, v68, v112 dst_sel:DWORD dst_unused:UNUSED_PAD src0_sel:WORD_0 src1_sel:DWORD
	v_mul_u32_u24_sdwa v112, v69, v112 dst_sel:DWORD dst_unused:UNUSED_PAD src0_sel:WORD_0 src1_sel:DWORD
	v_lshrrev_b32_e32 v113, 19, v113
	v_lshrrev_b32_e32 v112, 19, v112
	v_cmp_lt_u16_e64 s35, v113, v112
	v_cndmask_b32_e64 v112, v68, v69, s35
	v_cndmask_b32_e64 v69, v69, v68, s35
	v_mov_b32_e32 v68, v112
	s_or_b32 exec_lo, exec_lo, s38
	s_and_saveexec_b32 s38, s93
	s_cbranch_execnz .LBB240_858
.LBB240_1337:
	s_or_b32 exec_lo, exec_lo, s38
	s_and_saveexec_b32 s38, s94
	s_cbranch_execz .LBB240_859
.LBB240_1338:
	v_mov_b32_e32 v112, 0xcccd
	v_mul_u32_u24_sdwa v113, v64, v112 dst_sel:DWORD dst_unused:UNUSED_PAD src0_sel:WORD_0 src1_sel:DWORD
	v_mul_u32_u24_sdwa v112, v65, v112 dst_sel:DWORD dst_unused:UNUSED_PAD src0_sel:WORD_0 src1_sel:DWORD
	v_lshrrev_b32_e32 v113, 19, v113
	v_lshrrev_b32_e32 v112, 19, v112
	v_cmp_lt_u16_e64 s35, v113, v112
	v_cndmask_b32_e64 v112, v64, v65, s35
	v_cndmask_b32_e64 v65, v65, v64, s35
	v_mov_b32_e32 v64, v112
	s_or_b32 exec_lo, exec_lo, s38
	s_and_saveexec_b32 s38, s95
	s_cbranch_execnz .LBB240_860
.LBB240_1339:
	s_or_b32 exec_lo, exec_lo, s38
	s_and_saveexec_b32 s38, vcc_hi
	s_cbranch_execz .LBB240_861
.LBB240_1340:
	v_mov_b32_e32 v112, 0xcccd
	v_mul_u32_u24_sdwa v113, v51, v112 dst_sel:DWORD dst_unused:UNUSED_PAD src0_sel:WORD_0 src1_sel:DWORD
	v_mul_u32_u24_sdwa v112, v52, v112 dst_sel:DWORD dst_unused:UNUSED_PAD src0_sel:WORD_0 src1_sel:DWORD
	v_lshrrev_b32_e32 v113, 19, v113
	v_lshrrev_b32_e32 v112, 19, v112
	v_cmp_lt_u16_e64 s35, v113, v112
	v_cndmask_b32_e64 v112, v51, v52, s35
	v_cndmask_b32_e64 v52, v52, v51, s35
	v_mov_b32_e32 v51, v112
	s_or_b32 exec_lo, exec_lo, s38
	s_and_saveexec_b32 s38, s30
	s_cbranch_execnz .LBB240_862
.LBB240_1341:
	s_or_b32 exec_lo, exec_lo, s38
	s_and_saveexec_b32 s38, s31
	s_cbranch_execz .LBB240_863
.LBB240_1342:
	v_mov_b32_e32 v112, 0xcccd
	v_mul_u32_u24_sdwa v113, v48, v112 dst_sel:DWORD dst_unused:UNUSED_PAD src0_sel:WORD_0 src1_sel:DWORD
	v_mul_u32_u24_sdwa v112, v49, v112 dst_sel:DWORD dst_unused:UNUSED_PAD src0_sel:WORD_0 src1_sel:DWORD
	v_lshrrev_b32_e32 v113, 19, v113
	v_lshrrev_b32_e32 v112, 19, v112
	v_cmp_lt_u16_e64 s35, v113, v112
	v_cndmask_b32_e64 v112, v49, v48, s35
	v_cndmask_b32_e64 v48, v48, v49, s35
	v_mov_b32_e32 v49, v112
	s_or_b32 exec_lo, exec_lo, s38
	s_and_saveexec_b32 s38, s34
	s_cbranch_execnz .LBB240_864
.LBB240_1343:
	s_or_b32 exec_lo, exec_lo, s38
	s_and_saveexec_b32 s38, s8
	s_cbranch_execz .LBB240_865
.LBB240_1344:
	v_mov_b32_e32 v112, 0xcccd
	v_mul_u32_u24_sdwa v113, v100, v112 dst_sel:DWORD dst_unused:UNUSED_PAD src0_sel:WORD_0 src1_sel:DWORD
	v_mul_u32_u24_sdwa v112, v97, v112 dst_sel:DWORD dst_unused:UNUSED_PAD src0_sel:WORD_0 src1_sel:DWORD
	v_lshrrev_b32_e32 v113, 19, v113
	v_lshrrev_b32_e32 v112, 19, v112
	v_cmp_lt_u16_e64 s35, v113, v112
	v_cndmask_b32_e64 v112, v100, v97, s35
	v_cndmask_b32_e64 v97, v97, v100, s35
	v_mov_b32_e32 v100, v112
	s_or_b32 exec_lo, exec_lo, s38
	s_and_saveexec_b32 s38, s9
	s_cbranch_execnz .LBB240_866
.LBB240_1345:
	s_or_b32 exec_lo, exec_lo, s38
	s_and_saveexec_b32 s38, s12
	s_cbranch_execz .LBB240_867
.LBB240_1346:
	v_mov_b32_e32 v112, 0xcccd
	v_mul_u32_u24_sdwa v113, v87, v112 dst_sel:DWORD dst_unused:UNUSED_PAD src0_sel:WORD_0 src1_sel:DWORD
	v_mul_u32_u24_sdwa v112, v96, v112 dst_sel:DWORD dst_unused:UNUSED_PAD src0_sel:WORD_0 src1_sel:DWORD
	v_lshrrev_b32_e32 v113, 19, v113
	v_lshrrev_b32_e32 v112, 19, v112
	v_cmp_lt_u16_e64 s35, v113, v112
	v_cndmask_b32_e64 v112, v87, v96, s35
	v_cndmask_b32_e64 v96, v96, v87, s35
	v_mov_b32_e32 v87, v112
	s_or_b32 exec_lo, exec_lo, s38
	s_and_saveexec_b32 s38, s13
	s_cbranch_execnz .LBB240_868
.LBB240_1347:
	s_or_b32 exec_lo, exec_lo, s38
	s_and_saveexec_b32 s38, s57
	s_cbranch_execz .LBB240_869
.LBB240_1348:
	v_mov_b32_e32 v112, 0xcccd
	v_mul_u32_u24_sdwa v113, v83, v112 dst_sel:DWORD dst_unused:UNUSED_PAD src0_sel:WORD_0 src1_sel:DWORD
	v_mul_u32_u24_sdwa v112, v84, v112 dst_sel:DWORD dst_unused:UNUSED_PAD src0_sel:WORD_0 src1_sel:DWORD
	v_lshrrev_b32_e32 v113, 19, v113
	v_lshrrev_b32_e32 v112, 19, v112
	v_cmp_lt_u16_e64 s35, v113, v112
	v_cndmask_b32_e64 v112, v83, v84, s35
	v_cndmask_b32_e64 v84, v84, v83, s35
	v_mov_b32_e32 v83, v112
	s_or_b32 exec_lo, exec_lo, s38
	s_and_saveexec_b32 s38, s58
	s_cbranch_execnz .LBB240_870
.LBB240_1349:
	s_or_b32 exec_lo, exec_lo, s38
	s_and_saveexec_b32 s38, s59
	s_cbranch_execz .LBB240_871
.LBB240_1350:
	v_mov_b32_e32 v112, 0xcccd
	v_mul_u32_u24_sdwa v113, v71, v112 dst_sel:DWORD dst_unused:UNUSED_PAD src0_sel:WORD_0 src1_sel:DWORD
	v_mul_u32_u24_sdwa v112, v80, v112 dst_sel:DWORD dst_unused:UNUSED_PAD src0_sel:WORD_0 src1_sel:DWORD
	v_lshrrev_b32_e32 v113, 19, v113
	v_lshrrev_b32_e32 v112, 19, v112
	v_cmp_lt_u16_e64 s35, v113, v112
	v_cndmask_b32_e64 v112, v71, v80, s35
	v_cndmask_b32_e64 v80, v80, v71, s35
	v_mov_b32_e32 v71, v112
	s_or_b32 exec_lo, exec_lo, s38
	s_and_saveexec_b32 s38, s60
	s_cbranch_execnz .LBB240_872
.LBB240_1351:
	s_or_b32 exec_lo, exec_lo, s38
	s_and_saveexec_b32 s38, s61
	s_cbranch_execz .LBB240_873
.LBB240_1352:
	v_mov_b32_e32 v112, 0xcccd
	v_mul_u32_u24_sdwa v113, v67, v112 dst_sel:DWORD dst_unused:UNUSED_PAD src0_sel:WORD_0 src1_sel:DWORD
	v_mul_u32_u24_sdwa v112, v68, v112 dst_sel:DWORD dst_unused:UNUSED_PAD src0_sel:WORD_0 src1_sel:DWORD
	v_lshrrev_b32_e32 v113, 19, v113
	v_lshrrev_b32_e32 v112, 19, v112
	v_cmp_lt_u16_e64 s35, v113, v112
	v_cndmask_b32_e64 v112, v67, v68, s35
	v_cndmask_b32_e64 v68, v68, v67, s35
	v_mov_b32_e32 v67, v112
	s_or_b32 exec_lo, exec_lo, s38
	s_and_saveexec_b32 s38, s62
	s_cbranch_execnz .LBB240_874
.LBB240_1353:
	s_or_b32 exec_lo, exec_lo, s38
	s_and_saveexec_b32 s38, s63
	s_cbranch_execz .LBB240_875
.LBB240_1354:
	v_mov_b32_e32 v112, 0xcccd
	v_mul_u32_u24_sdwa v113, v55, v112 dst_sel:DWORD dst_unused:UNUSED_PAD src0_sel:WORD_0 src1_sel:DWORD
	v_mul_u32_u24_sdwa v112, v64, v112 dst_sel:DWORD dst_unused:UNUSED_PAD src0_sel:WORD_0 src1_sel:DWORD
	v_lshrrev_b32_e32 v113, 19, v113
	v_lshrrev_b32_e32 v112, 19, v112
	v_cmp_lt_u16_e64 s35, v113, v112
	v_cndmask_b32_e64 v112, v55, v64, s35
	v_cndmask_b32_e64 v64, v64, v55, s35
	v_mov_b32_e32 v55, v112
	s_or_b32 exec_lo, exec_lo, s38
	s_and_saveexec_b32 s38, s72
	s_cbranch_execnz .LBB240_876
.LBB240_1355:
	s_or_b32 exec_lo, exec_lo, s38
	s_and_saveexec_b32 s38, s73
	s_cbranch_execz .LBB240_877
.LBB240_1356:
	v_mov_b32_e32 v112, 0xcccd
	v_mul_u32_u24_sdwa v113, v54, v112 dst_sel:DWORD dst_unused:UNUSED_PAD src0_sel:WORD_0 src1_sel:DWORD
	v_mul_u32_u24_sdwa v112, v51, v112 dst_sel:DWORD dst_unused:UNUSED_PAD src0_sel:WORD_0 src1_sel:DWORD
	v_lshrrev_b32_e32 v113, 19, v113
	v_lshrrev_b32_e32 v112, 19, v112
	v_cmp_lt_u16_e64 s35, v113, v112
	v_cndmask_b32_e64 v112, v54, v51, s35
	v_cndmask_b32_e64 v51, v51, v54, s35
	v_mov_b32_e32 v54, v112
	s_or_b32 exec_lo, exec_lo, s38
	s_and_saveexec_b32 s38, s74
	s_cbranch_execnz .LBB240_878
.LBB240_1357:
	s_or_b32 exec_lo, exec_lo, s38
	s_and_saveexec_b32 s38, s75
	s_cbranch_execz .LBB240_879
.LBB240_1358:
	v_mov_b32_e32 v112, 0xcccd
	v_mul_u32_u24_sdwa v113, v39, v112 dst_sel:DWORD dst_unused:UNUSED_PAD src0_sel:WORD_0 src1_sel:DWORD
	v_mul_u32_u24_sdwa v112, v48, v112 dst_sel:DWORD dst_unused:UNUSED_PAD src0_sel:WORD_0 src1_sel:DWORD
	v_lshrrev_b32_e32 v113, 19, v113
	v_lshrrev_b32_e32 v112, 19, v112
	v_cmp_lt_u16_e64 s35, v113, v112
	v_cndmask_b32_e64 v112, v48, v39, s35
	v_cndmask_b32_e64 v39, v39, v48, s35
	v_mov_b32_e32 v48, v112
	s_or_b32 exec_lo, exec_lo, s38
	s_and_saveexec_b32 s38, s76
	s_cbranch_execnz .LBB240_880
.LBB240_1359:
	s_or_b32 exec_lo, exec_lo, s38
	s_and_saveexec_b32 s38, s77
	s_cbranch_execz .LBB240_881
.LBB240_1360:
	v_mov_b32_e32 v112, 0xcccd
	v_mul_u32_u24_sdwa v113, v99, v112 dst_sel:DWORD dst_unused:UNUSED_PAD src0_sel:WORD_0 src1_sel:DWORD
	v_mul_u32_u24_sdwa v112, v100, v112 dst_sel:DWORD dst_unused:UNUSED_PAD src0_sel:WORD_0 src1_sel:DWORD
	v_lshrrev_b32_e32 v113, 19, v113
	v_lshrrev_b32_e32 v112, 19, v112
	v_cmp_lt_u16_e64 s35, v113, v112
	v_cndmask_b32_e64 v112, v99, v100, s35
	v_cndmask_b32_e64 v100, v100, v99, s35
	v_mov_b32_e32 v99, v112
	s_or_b32 exec_lo, exec_lo, s38
	s_and_saveexec_b32 s38, s78
	s_cbranch_execnz .LBB240_882
.LBB240_1361:
	s_or_b32 exec_lo, exec_lo, s38
	s_and_saveexec_b32 s38, s79
	s_cbranch_execz .LBB240_883
.LBB240_1362:
	v_mov_b32_e32 v112, 0xcccd
	v_mul_u32_u24_sdwa v113, v86, v112 dst_sel:DWORD dst_unused:UNUSED_PAD src0_sel:WORD_0 src1_sel:DWORD
	v_mul_u32_u24_sdwa v112, v87, v112 dst_sel:DWORD dst_unused:UNUSED_PAD src0_sel:WORD_0 src1_sel:DWORD
	v_lshrrev_b32_e32 v113, 19, v113
	v_lshrrev_b32_e32 v112, 19, v112
	v_cmp_lt_u16_e64 s35, v113, v112
	v_cndmask_b32_e64 v112, v86, v87, s35
	v_cndmask_b32_e64 v87, v87, v86, s35
	v_mov_b32_e32 v86, v112
	s_or_b32 exec_lo, exec_lo, s38
	s_and_saveexec_b32 s38, s88
	s_cbranch_execnz .LBB240_884
.LBB240_1363:
	s_or_b32 exec_lo, exec_lo, s38
	s_and_saveexec_b32 s38, s89
	s_cbranch_execz .LBB240_885
.LBB240_1364:
	v_mov_b32_e32 v112, 0xcccd
	v_mul_u32_u24_sdwa v113, v82, v112 dst_sel:DWORD dst_unused:UNUSED_PAD src0_sel:WORD_0 src1_sel:DWORD
	v_mul_u32_u24_sdwa v112, v83, v112 dst_sel:DWORD dst_unused:UNUSED_PAD src0_sel:WORD_0 src1_sel:DWORD
	v_lshrrev_b32_e32 v113, 19, v113
	v_lshrrev_b32_e32 v112, 19, v112
	v_cmp_lt_u16_e64 s35, v113, v112
	v_cndmask_b32_e64 v112, v82, v83, s35
	v_cndmask_b32_e64 v83, v83, v82, s35
	v_mov_b32_e32 v82, v112
	s_or_b32 exec_lo, exec_lo, s38
	s_and_saveexec_b32 s38, s90
	s_cbranch_execnz .LBB240_886
.LBB240_1365:
	s_or_b32 exec_lo, exec_lo, s38
	s_and_saveexec_b32 s38, s91
	s_cbranch_execz .LBB240_887
.LBB240_1366:
	v_mov_b32_e32 v112, 0xcccd
	v_mul_u32_u24_sdwa v113, v70, v112 dst_sel:DWORD dst_unused:UNUSED_PAD src0_sel:WORD_0 src1_sel:DWORD
	v_mul_u32_u24_sdwa v112, v71, v112 dst_sel:DWORD dst_unused:UNUSED_PAD src0_sel:WORD_0 src1_sel:DWORD
	v_lshrrev_b32_e32 v113, 19, v113
	v_lshrrev_b32_e32 v112, 19, v112
	v_cmp_lt_u16_e64 s35, v113, v112
	v_cndmask_b32_e64 v112, v70, v71, s35
	v_cndmask_b32_e64 v71, v71, v70, s35
	v_mov_b32_e32 v70, v112
	s_or_b32 exec_lo, exec_lo, s38
	s_and_saveexec_b32 s38, s92
	s_cbranch_execnz .LBB240_888
.LBB240_1367:
	s_or_b32 exec_lo, exec_lo, s38
	s_and_saveexec_b32 s38, s93
	s_cbranch_execz .LBB240_889
.LBB240_1368:
	v_mov_b32_e32 v112, 0xcccd
	v_mul_u32_u24_sdwa v113, v66, v112 dst_sel:DWORD dst_unused:UNUSED_PAD src0_sel:WORD_0 src1_sel:DWORD
	v_mul_u32_u24_sdwa v112, v67, v112 dst_sel:DWORD dst_unused:UNUSED_PAD src0_sel:WORD_0 src1_sel:DWORD
	v_lshrrev_b32_e32 v113, 19, v113
	v_lshrrev_b32_e32 v112, 19, v112
	v_cmp_lt_u16_e64 s35, v113, v112
	v_cndmask_b32_e64 v112, v66, v67, s35
	v_cndmask_b32_e64 v67, v67, v66, s35
	v_mov_b32_e32 v66, v112
	s_or_b32 exec_lo, exec_lo, s38
	s_and_saveexec_b32 s38, s94
	s_cbranch_execnz .LBB240_890
.LBB240_1369:
	s_or_b32 exec_lo, exec_lo, s38
	s_and_saveexec_b32 s38, s95
	s_cbranch_execz .LBB240_891
.LBB240_1370:
	v_mov_b32_e32 v112, 0xcccd
	v_mul_u32_u24_sdwa v113, v53, v112 dst_sel:DWORD dst_unused:UNUSED_PAD src0_sel:WORD_0 src1_sel:DWORD
	v_mul_u32_u24_sdwa v112, v55, v112 dst_sel:DWORD dst_unused:UNUSED_PAD src0_sel:WORD_0 src1_sel:DWORD
	v_lshrrev_b32_e32 v113, 19, v113
	v_lshrrev_b32_e32 v112, 19, v112
	v_cmp_lt_u16_e64 s35, v113, v112
	v_cndmask_b32_e64 v112, v53, v55, s35
	v_cndmask_b32_e64 v55, v55, v53, s35
	v_mov_b32_e32 v53, v112
	s_or_b32 exec_lo, exec_lo, s38
	s_and_saveexec_b32 s38, vcc_hi
	s_cbranch_execnz .LBB240_892
.LBB240_1371:
	s_or_b32 exec_lo, exec_lo, s38
	s_and_saveexec_b32 s38, s30
	s_cbranch_execz .LBB240_893
.LBB240_1372:
	v_mov_b32_e32 v112, 0xcccd
	v_mul_u32_u24_sdwa v113, v50, v112 dst_sel:DWORD dst_unused:UNUSED_PAD src0_sel:WORD_0 src1_sel:DWORD
	v_mul_u32_u24_sdwa v112, v54, v112 dst_sel:DWORD dst_unused:UNUSED_PAD src0_sel:WORD_0 src1_sel:DWORD
	v_lshrrev_b32_e32 v113, 19, v113
	v_lshrrev_b32_e32 v112, 19, v112
	v_cmp_lt_u16_e64 s35, v113, v112
	v_cndmask_b32_e64 v112, v54, v50, s35
	v_cndmask_b32_e64 v50, v50, v54, s35
	v_mov_b32_e32 v54, v112
	s_or_b32 exec_lo, exec_lo, s38
	s_and_saveexec_b32 s38, s31
	s_cbranch_execnz .LBB240_894
.LBB240_1373:
	s_or_b32 exec_lo, exec_lo, s38
	s_and_saveexec_b32 s38, s34
	s_cbranch_execz .LBB240_895
.LBB240_1374:
	v_mov_b32_e32 v112, 0xcccd
	v_mul_u32_u24_sdwa v113, v101, v112 dst_sel:DWORD dst_unused:UNUSED_PAD src0_sel:WORD_0 src1_sel:DWORD
	v_mul_u32_u24_sdwa v112, v39, v112 dst_sel:DWORD dst_unused:UNUSED_PAD src0_sel:WORD_0 src1_sel:DWORD
	v_lshrrev_b32_e32 v113, 19, v113
	v_lshrrev_b32_e32 v112, 19, v112
	v_cmp_lt_u16_e64 s35, v113, v112
	v_cndmask_b32_e64 v112, v39, v101, s35
	v_cndmask_b32_e64 v101, v101, v39, s35
	v_mov_b32_e32 v39, v112
	s_or_b32 exec_lo, exec_lo, s38
	s_and_saveexec_b32 s38, s8
	s_cbranch_execnz .LBB240_896
.LBB240_1375:
	s_or_b32 exec_lo, exec_lo, s38
	s_and_saveexec_b32 s38, s9
	s_cbranch_execz .LBB240_897
.LBB240_1376:
	v_mov_b32_e32 v112, 0xcccd
	v_mul_u32_u24_sdwa v113, v98, v112 dst_sel:DWORD dst_unused:UNUSED_PAD src0_sel:WORD_0 src1_sel:DWORD
	v_mul_u32_u24_sdwa v112, v99, v112 dst_sel:DWORD dst_unused:UNUSED_PAD src0_sel:WORD_0 src1_sel:DWORD
	v_lshrrev_b32_e32 v113, 19, v113
	v_lshrrev_b32_e32 v112, 19, v112
	v_cmp_lt_u16_e64 s35, v113, v112
	v_cndmask_b32_e64 v112, v98, v99, s35
	v_cndmask_b32_e64 v99, v99, v98, s35
	v_mov_b32_e32 v98, v112
	s_or_b32 exec_lo, exec_lo, s38
	s_and_saveexec_b32 s38, s12
	s_cbranch_execnz .LBB240_898
.LBB240_1377:
	s_or_b32 exec_lo, exec_lo, s38
	s_and_saveexec_b32 s38, s13
	s_cbranch_execz .LBB240_899
.LBB240_1378:
	v_mov_b32_e32 v112, 0xcccd
	v_mul_u32_u24_sdwa v113, v85, v112 dst_sel:DWORD dst_unused:UNUSED_PAD src0_sel:WORD_0 src1_sel:DWORD
	v_mul_u32_u24_sdwa v112, v86, v112 dst_sel:DWORD dst_unused:UNUSED_PAD src0_sel:WORD_0 src1_sel:DWORD
	v_lshrrev_b32_e32 v113, 19, v113
	v_lshrrev_b32_e32 v112, 19, v112
	v_cmp_lt_u16_e64 s35, v113, v112
	v_cndmask_b32_e64 v112, v85, v86, s35
	v_cndmask_b32_e64 v86, v86, v85, s35
	v_mov_b32_e32 v85, v112
	s_or_b32 exec_lo, exec_lo, s38
	s_and_saveexec_b32 s38, s57
	s_cbranch_execnz .LBB240_900
.LBB240_1379:
	s_or_b32 exec_lo, exec_lo, s38
	s_and_saveexec_b32 s38, s58
	s_cbranch_execz .LBB240_901
.LBB240_1380:
	v_mov_b32_e32 v112, 0xcccd
	v_mul_u32_u24_sdwa v113, v81, v112 dst_sel:DWORD dst_unused:UNUSED_PAD src0_sel:WORD_0 src1_sel:DWORD
	v_mul_u32_u24_sdwa v112, v82, v112 dst_sel:DWORD dst_unused:UNUSED_PAD src0_sel:WORD_0 src1_sel:DWORD
	v_lshrrev_b32_e32 v113, 19, v113
	v_lshrrev_b32_e32 v112, 19, v112
	v_cmp_lt_u16_e64 s35, v113, v112
	v_cndmask_b32_e64 v112, v81, v82, s35
	v_cndmask_b32_e64 v82, v82, v81, s35
	v_mov_b32_e32 v81, v112
	s_or_b32 exec_lo, exec_lo, s38
	s_and_saveexec_b32 s38, s59
	s_cbranch_execnz .LBB240_902
.LBB240_1381:
	s_or_b32 exec_lo, exec_lo, s38
	s_and_saveexec_b32 s38, s60
	s_cbranch_execz .LBB240_903
.LBB240_1382:
	v_mov_b32_e32 v112, 0xcccd
	v_mul_u32_u24_sdwa v113, v69, v112 dst_sel:DWORD dst_unused:UNUSED_PAD src0_sel:WORD_0 src1_sel:DWORD
	v_mul_u32_u24_sdwa v112, v70, v112 dst_sel:DWORD dst_unused:UNUSED_PAD src0_sel:WORD_0 src1_sel:DWORD
	v_lshrrev_b32_e32 v113, 19, v113
	v_lshrrev_b32_e32 v112, 19, v112
	v_cmp_lt_u16_e64 s35, v113, v112
	v_cndmask_b32_e64 v112, v69, v70, s35
	v_cndmask_b32_e64 v70, v70, v69, s35
	v_mov_b32_e32 v69, v112
	s_or_b32 exec_lo, exec_lo, s38
	s_and_saveexec_b32 s38, s61
	s_cbranch_execnz .LBB240_904
.LBB240_1383:
	s_or_b32 exec_lo, exec_lo, s38
	s_and_saveexec_b32 s38, s62
	s_cbranch_execz .LBB240_905
.LBB240_1384:
	v_mov_b32_e32 v112, 0xcccd
	v_mul_u32_u24_sdwa v113, v65, v112 dst_sel:DWORD dst_unused:UNUSED_PAD src0_sel:WORD_0 src1_sel:DWORD
	v_mul_u32_u24_sdwa v112, v66, v112 dst_sel:DWORD dst_unused:UNUSED_PAD src0_sel:WORD_0 src1_sel:DWORD
	v_lshrrev_b32_e32 v113, 19, v113
	v_lshrrev_b32_e32 v112, 19, v112
	v_cmp_lt_u16_e64 s35, v113, v112
	v_cndmask_b32_e64 v112, v65, v66, s35
	v_cndmask_b32_e64 v66, v66, v65, s35
	v_mov_b32_e32 v65, v112
	s_or_b32 exec_lo, exec_lo, s38
	s_and_saveexec_b32 s38, s63
	s_cbranch_execnz .LBB240_906
.LBB240_1385:
	s_or_b32 exec_lo, exec_lo, s38
	s_and_saveexec_b32 s38, s72
	s_cbranch_execz .LBB240_907
.LBB240_1386:
	v_mov_b32_e32 v112, 0xcccd
	v_mul_u32_u24_sdwa v113, v52, v112 dst_sel:DWORD dst_unused:UNUSED_PAD src0_sel:WORD_0 src1_sel:DWORD
	v_mul_u32_u24_sdwa v112, v53, v112 dst_sel:DWORD dst_unused:UNUSED_PAD src0_sel:WORD_0 src1_sel:DWORD
	v_lshrrev_b32_e32 v113, 19, v113
	v_lshrrev_b32_e32 v112, 19, v112
	v_cmp_lt_u16_e64 s35, v113, v112
	v_cndmask_b32_e64 v112, v52, v53, s35
	v_cndmask_b32_e64 v53, v53, v52, s35
	v_mov_b32_e32 v52, v112
	s_or_b32 exec_lo, exec_lo, s38
	s_and_saveexec_b32 s38, s73
	s_cbranch_execnz .LBB240_908
.LBB240_1387:
	s_or_b32 exec_lo, exec_lo, s38
	s_and_saveexec_b32 s38, s74
	s_cbranch_execz .LBB240_909
.LBB240_1388:
	v_mov_b32_e32 v112, 0xcccd
	v_mul_u32_u24_sdwa v113, v49, v112 dst_sel:DWORD dst_unused:UNUSED_PAD src0_sel:WORD_0 src1_sel:DWORD
	v_mul_u32_u24_sdwa v112, v50, v112 dst_sel:DWORD dst_unused:UNUSED_PAD src0_sel:WORD_0 src1_sel:DWORD
	v_lshrrev_b32_e32 v113, 19, v113
	v_lshrrev_b32_e32 v112, 19, v112
	v_cmp_lt_u16_e64 s35, v113, v112
	v_cndmask_b32_e64 v112, v50, v49, s35
	v_cndmask_b32_e64 v49, v49, v50, s35
	v_mov_b32_e32 v50, v112
	s_or_b32 exec_lo, exec_lo, s38
	s_and_saveexec_b32 s38, s75
	s_cbranch_execnz .LBB240_910
.LBB240_1389:
	s_or_b32 exec_lo, exec_lo, s38
	s_and_saveexec_b32 s38, s76
	s_cbranch_execz .LBB240_911
.LBB240_1390:
	v_mov_b32_e32 v112, 0xcccd
	v_mul_u32_u24_sdwa v113, v38, v112 dst_sel:DWORD dst_unused:UNUSED_PAD src0_sel:WORD_0 src1_sel:DWORD
	v_mul_u32_u24_sdwa v112, v101, v112 dst_sel:DWORD dst_unused:UNUSED_PAD src0_sel:WORD_0 src1_sel:DWORD
	v_lshrrev_b32_e32 v113, 19, v113
	v_lshrrev_b32_e32 v112, 19, v112
	v_cmp_lt_u16_e64 s35, v113, v112
	v_cndmask_b32_e64 v112, v101, v38, s35
	v_cndmask_b32_e64 v38, v38, v101, s35
	v_mov_b32_e32 v101, v112
	s_or_b32 exec_lo, exec_lo, s38
	s_and_saveexec_b32 s38, s77
	s_cbranch_execnz .LBB240_912
.LBB240_1391:
	s_or_b32 exec_lo, exec_lo, s38
	s_and_saveexec_b32 s38, s78
	s_cbranch_execz .LBB240_913
.LBB240_1392:
	v_mov_b32_e32 v112, 0xcccd
	v_mul_u32_u24_sdwa v113, v96, v112 dst_sel:DWORD dst_unused:UNUSED_PAD src0_sel:WORD_0 src1_sel:DWORD
	v_mul_u32_u24_sdwa v112, v98, v112 dst_sel:DWORD dst_unused:UNUSED_PAD src0_sel:WORD_0 src1_sel:DWORD
	v_lshrrev_b32_e32 v113, 19, v113
	v_lshrrev_b32_e32 v112, 19, v112
	v_cmp_lt_u16_e64 s35, v113, v112
	v_cndmask_b32_e64 v112, v96, v98, s35
	v_cndmask_b32_e64 v98, v98, v96, s35
	v_mov_b32_e32 v96, v112
	s_or_b32 exec_lo, exec_lo, s38
	s_and_saveexec_b32 s38, s79
	s_cbranch_execnz .LBB240_914
.LBB240_1393:
	s_or_b32 exec_lo, exec_lo, s38
	s_and_saveexec_b32 s38, s88
	s_cbranch_execz .LBB240_915
.LBB240_1394:
	v_mov_b32_e32 v112, 0xcccd
	v_mul_u32_u24_sdwa v113, v84, v112 dst_sel:DWORD dst_unused:UNUSED_PAD src0_sel:WORD_0 src1_sel:DWORD
	v_mul_u32_u24_sdwa v112, v85, v112 dst_sel:DWORD dst_unused:UNUSED_PAD src0_sel:WORD_0 src1_sel:DWORD
	v_lshrrev_b32_e32 v113, 19, v113
	v_lshrrev_b32_e32 v112, 19, v112
	v_cmp_lt_u16_e64 s35, v113, v112
	v_cndmask_b32_e64 v112, v84, v85, s35
	v_cndmask_b32_e64 v85, v85, v84, s35
	v_mov_b32_e32 v84, v112
	s_or_b32 exec_lo, exec_lo, s38
	s_and_saveexec_b32 s38, s89
	s_cbranch_execnz .LBB240_916
.LBB240_1395:
	s_or_b32 exec_lo, exec_lo, s38
	s_and_saveexec_b32 s38, s90
	s_cbranch_execz .LBB240_917
.LBB240_1396:
	v_mov_b32_e32 v112, 0xcccd
	v_mul_u32_u24_sdwa v113, v80, v112 dst_sel:DWORD dst_unused:UNUSED_PAD src0_sel:WORD_0 src1_sel:DWORD
	v_mul_u32_u24_sdwa v112, v81, v112 dst_sel:DWORD dst_unused:UNUSED_PAD src0_sel:WORD_0 src1_sel:DWORD
	v_lshrrev_b32_e32 v113, 19, v113
	v_lshrrev_b32_e32 v112, 19, v112
	v_cmp_lt_u16_e64 s35, v113, v112
	v_cndmask_b32_e64 v112, v80, v81, s35
	v_cndmask_b32_e64 v81, v81, v80, s35
	v_mov_b32_e32 v80, v112
	s_or_b32 exec_lo, exec_lo, s38
	s_and_saveexec_b32 s38, s91
	s_cbranch_execnz .LBB240_918
.LBB240_1397:
	s_or_b32 exec_lo, exec_lo, s38
	s_and_saveexec_b32 s38, s92
	s_cbranch_execz .LBB240_919
.LBB240_1398:
	v_mov_b32_e32 v112, 0xcccd
	v_mul_u32_u24_sdwa v113, v68, v112 dst_sel:DWORD dst_unused:UNUSED_PAD src0_sel:WORD_0 src1_sel:DWORD
	v_mul_u32_u24_sdwa v112, v69, v112 dst_sel:DWORD dst_unused:UNUSED_PAD src0_sel:WORD_0 src1_sel:DWORD
	v_lshrrev_b32_e32 v113, 19, v113
	v_lshrrev_b32_e32 v112, 19, v112
	v_cmp_lt_u16_e64 s35, v113, v112
	v_cndmask_b32_e64 v112, v68, v69, s35
	v_cndmask_b32_e64 v69, v69, v68, s35
	v_mov_b32_e32 v68, v112
	s_or_b32 exec_lo, exec_lo, s38
	s_and_saveexec_b32 s38, s93
	s_cbranch_execnz .LBB240_920
.LBB240_1399:
	s_or_b32 exec_lo, exec_lo, s38
	s_and_saveexec_b32 s38, s94
	s_cbranch_execz .LBB240_921
.LBB240_1400:
	v_mov_b32_e32 v112, 0xcccd
	v_mul_u32_u24_sdwa v113, v64, v112 dst_sel:DWORD dst_unused:UNUSED_PAD src0_sel:WORD_0 src1_sel:DWORD
	v_mul_u32_u24_sdwa v112, v65, v112 dst_sel:DWORD dst_unused:UNUSED_PAD src0_sel:WORD_0 src1_sel:DWORD
	v_lshrrev_b32_e32 v113, 19, v113
	v_lshrrev_b32_e32 v112, 19, v112
	v_cmp_lt_u16_e64 s35, v113, v112
	v_cndmask_b32_e64 v112, v64, v65, s35
	v_cndmask_b32_e64 v65, v65, v64, s35
	v_mov_b32_e32 v64, v112
	s_or_b32 exec_lo, exec_lo, s38
	s_and_saveexec_b32 s38, s95
	s_cbranch_execnz .LBB240_922
.LBB240_1401:
	s_or_b32 exec_lo, exec_lo, s38
	s_and_saveexec_b32 s38, vcc_hi
	s_cbranch_execz .LBB240_923
.LBB240_1402:
	v_mov_b32_e32 v112, 0xcccd
	v_mul_u32_u24_sdwa v113, v51, v112 dst_sel:DWORD dst_unused:UNUSED_PAD src0_sel:WORD_0 src1_sel:DWORD
	v_mul_u32_u24_sdwa v112, v52, v112 dst_sel:DWORD dst_unused:UNUSED_PAD src0_sel:WORD_0 src1_sel:DWORD
	v_lshrrev_b32_e32 v113, 19, v113
	v_lshrrev_b32_e32 v112, 19, v112
	v_cmp_lt_u16_e64 s35, v113, v112
	v_cndmask_b32_e64 v112, v51, v52, s35
	v_cndmask_b32_e64 v52, v52, v51, s35
	v_mov_b32_e32 v51, v112
	s_or_b32 exec_lo, exec_lo, s38
	s_and_saveexec_b32 s38, s30
	s_cbranch_execnz .LBB240_924
.LBB240_1403:
	s_or_b32 exec_lo, exec_lo, s38
	s_and_saveexec_b32 s38, s31
	s_cbranch_execz .LBB240_925
.LBB240_1404:
	v_mov_b32_e32 v112, 0xcccd
	v_mul_u32_u24_sdwa v113, v48, v112 dst_sel:DWORD dst_unused:UNUSED_PAD src0_sel:WORD_0 src1_sel:DWORD
	v_mul_u32_u24_sdwa v112, v49, v112 dst_sel:DWORD dst_unused:UNUSED_PAD src0_sel:WORD_0 src1_sel:DWORD
	v_lshrrev_b32_e32 v113, 19, v113
	v_lshrrev_b32_e32 v112, 19, v112
	v_cmp_lt_u16_e64 s35, v113, v112
	v_cndmask_b32_e64 v112, v49, v48, s35
	v_cndmask_b32_e64 v48, v48, v49, s35
	v_mov_b32_e32 v49, v112
	s_or_b32 exec_lo, exec_lo, s38
	s_and_saveexec_b32 s38, s34
	s_cbranch_execnz .LBB240_926
.LBB240_1405:
	s_or_b32 exec_lo, exec_lo, s38
	s_and_saveexec_b32 s38, s8
	s_cbranch_execz .LBB240_927
.LBB240_1406:
	v_mov_b32_e32 v112, 0xcccd
	v_mul_u32_u24_sdwa v113, v100, v112 dst_sel:DWORD dst_unused:UNUSED_PAD src0_sel:WORD_0 src1_sel:DWORD
	v_mul_u32_u24_sdwa v112, v97, v112 dst_sel:DWORD dst_unused:UNUSED_PAD src0_sel:WORD_0 src1_sel:DWORD
	v_lshrrev_b32_e32 v113, 19, v113
	v_lshrrev_b32_e32 v112, 19, v112
	v_cmp_lt_u16_e64 s35, v113, v112
	v_cndmask_b32_e64 v112, v100, v97, s35
	v_cndmask_b32_e64 v97, v97, v100, s35
	v_mov_b32_e32 v100, v112
	s_or_b32 exec_lo, exec_lo, s38
	s_and_saveexec_b32 s38, s9
	s_cbranch_execnz .LBB240_928
.LBB240_1407:
	s_or_b32 exec_lo, exec_lo, s38
	s_and_saveexec_b32 s38, s12
	s_cbranch_execz .LBB240_929
.LBB240_1408:
	v_mov_b32_e32 v112, 0xcccd
	v_mul_u32_u24_sdwa v113, v87, v112 dst_sel:DWORD dst_unused:UNUSED_PAD src0_sel:WORD_0 src1_sel:DWORD
	v_mul_u32_u24_sdwa v112, v96, v112 dst_sel:DWORD dst_unused:UNUSED_PAD src0_sel:WORD_0 src1_sel:DWORD
	v_lshrrev_b32_e32 v113, 19, v113
	v_lshrrev_b32_e32 v112, 19, v112
	v_cmp_lt_u16_e64 s35, v113, v112
	v_cndmask_b32_e64 v112, v87, v96, s35
	v_cndmask_b32_e64 v96, v96, v87, s35
	v_mov_b32_e32 v87, v112
	s_or_b32 exec_lo, exec_lo, s38
	s_and_saveexec_b32 s38, s13
	s_cbranch_execnz .LBB240_930
.LBB240_1409:
	s_or_b32 exec_lo, exec_lo, s38
	s_and_saveexec_b32 s38, s57
	s_cbranch_execz .LBB240_931
.LBB240_1410:
	v_mov_b32_e32 v112, 0xcccd
	v_mul_u32_u24_sdwa v113, v83, v112 dst_sel:DWORD dst_unused:UNUSED_PAD src0_sel:WORD_0 src1_sel:DWORD
	v_mul_u32_u24_sdwa v112, v84, v112 dst_sel:DWORD dst_unused:UNUSED_PAD src0_sel:WORD_0 src1_sel:DWORD
	v_lshrrev_b32_e32 v113, 19, v113
	v_lshrrev_b32_e32 v112, 19, v112
	v_cmp_lt_u16_e64 s35, v113, v112
	v_cndmask_b32_e64 v112, v83, v84, s35
	v_cndmask_b32_e64 v84, v84, v83, s35
	v_mov_b32_e32 v83, v112
	s_or_b32 exec_lo, exec_lo, s38
	s_and_saveexec_b32 s38, s58
	s_cbranch_execnz .LBB240_932
.LBB240_1411:
	s_or_b32 exec_lo, exec_lo, s38
	s_and_saveexec_b32 s38, s59
	s_cbranch_execz .LBB240_933
.LBB240_1412:
	v_mov_b32_e32 v112, 0xcccd
	v_mul_u32_u24_sdwa v113, v71, v112 dst_sel:DWORD dst_unused:UNUSED_PAD src0_sel:WORD_0 src1_sel:DWORD
	v_mul_u32_u24_sdwa v112, v80, v112 dst_sel:DWORD dst_unused:UNUSED_PAD src0_sel:WORD_0 src1_sel:DWORD
	v_lshrrev_b32_e32 v113, 19, v113
	v_lshrrev_b32_e32 v112, 19, v112
	v_cmp_lt_u16_e64 s35, v113, v112
	v_cndmask_b32_e64 v112, v71, v80, s35
	v_cndmask_b32_e64 v80, v80, v71, s35
	v_mov_b32_e32 v71, v112
	s_or_b32 exec_lo, exec_lo, s38
	s_and_saveexec_b32 s38, s60
	s_cbranch_execnz .LBB240_934
.LBB240_1413:
	s_or_b32 exec_lo, exec_lo, s38
	s_and_saveexec_b32 s38, s61
	s_cbranch_execz .LBB240_935
.LBB240_1414:
	v_mov_b32_e32 v112, 0xcccd
	v_mul_u32_u24_sdwa v113, v67, v112 dst_sel:DWORD dst_unused:UNUSED_PAD src0_sel:WORD_0 src1_sel:DWORD
	v_mul_u32_u24_sdwa v112, v68, v112 dst_sel:DWORD dst_unused:UNUSED_PAD src0_sel:WORD_0 src1_sel:DWORD
	v_lshrrev_b32_e32 v113, 19, v113
	v_lshrrev_b32_e32 v112, 19, v112
	v_cmp_lt_u16_e64 s35, v113, v112
	v_cndmask_b32_e64 v112, v67, v68, s35
	v_cndmask_b32_e64 v68, v68, v67, s35
	v_mov_b32_e32 v67, v112
	s_or_b32 exec_lo, exec_lo, s38
	s_and_saveexec_b32 s38, s62
	s_cbranch_execnz .LBB240_936
.LBB240_1415:
	s_or_b32 exec_lo, exec_lo, s38
	s_and_saveexec_b32 s38, s63
	s_cbranch_execz .LBB240_937
.LBB240_1416:
	v_mov_b32_e32 v112, 0xcccd
	v_mul_u32_u24_sdwa v113, v55, v112 dst_sel:DWORD dst_unused:UNUSED_PAD src0_sel:WORD_0 src1_sel:DWORD
	v_mul_u32_u24_sdwa v112, v64, v112 dst_sel:DWORD dst_unused:UNUSED_PAD src0_sel:WORD_0 src1_sel:DWORD
	v_lshrrev_b32_e32 v113, 19, v113
	v_lshrrev_b32_e32 v112, 19, v112
	v_cmp_lt_u16_e64 s35, v113, v112
	v_cndmask_b32_e64 v112, v55, v64, s35
	v_cndmask_b32_e64 v64, v64, v55, s35
	v_mov_b32_e32 v55, v112
	s_or_b32 exec_lo, exec_lo, s38
	s_and_saveexec_b32 s38, s72
	s_cbranch_execnz .LBB240_938
.LBB240_1417:
	s_or_b32 exec_lo, exec_lo, s38
	s_and_saveexec_b32 s38, s73
	s_cbranch_execz .LBB240_939
.LBB240_1418:
	v_mov_b32_e32 v112, 0xcccd
	v_mul_u32_u24_sdwa v113, v54, v112 dst_sel:DWORD dst_unused:UNUSED_PAD src0_sel:WORD_0 src1_sel:DWORD
	v_mul_u32_u24_sdwa v112, v51, v112 dst_sel:DWORD dst_unused:UNUSED_PAD src0_sel:WORD_0 src1_sel:DWORD
	v_lshrrev_b32_e32 v113, 19, v113
	v_lshrrev_b32_e32 v112, 19, v112
	v_cmp_lt_u16_e64 s35, v113, v112
	v_cndmask_b32_e64 v112, v54, v51, s35
	v_cndmask_b32_e64 v51, v51, v54, s35
	v_mov_b32_e32 v54, v112
	s_or_b32 exec_lo, exec_lo, s38
	s_and_saveexec_b32 s38, s74
	s_cbranch_execnz .LBB240_940
.LBB240_1419:
	s_or_b32 exec_lo, exec_lo, s38
	s_and_saveexec_b32 s38, s75
	s_cbranch_execz .LBB240_941
.LBB240_1420:
	v_mov_b32_e32 v112, 0xcccd
	v_mul_u32_u24_sdwa v113, v39, v112 dst_sel:DWORD dst_unused:UNUSED_PAD src0_sel:WORD_0 src1_sel:DWORD
	v_mul_u32_u24_sdwa v112, v48, v112 dst_sel:DWORD dst_unused:UNUSED_PAD src0_sel:WORD_0 src1_sel:DWORD
	v_lshrrev_b32_e32 v113, 19, v113
	v_lshrrev_b32_e32 v112, 19, v112
	v_cmp_lt_u16_e64 s35, v113, v112
	v_cndmask_b32_e64 v112, v48, v39, s35
	v_cndmask_b32_e64 v39, v39, v48, s35
	v_mov_b32_e32 v48, v112
	s_or_b32 exec_lo, exec_lo, s38
	s_and_saveexec_b32 s38, s76
	s_cbranch_execnz .LBB240_942
.LBB240_1421:
	s_or_b32 exec_lo, exec_lo, s38
	s_and_saveexec_b32 s38, s77
	s_cbranch_execz .LBB240_943
.LBB240_1422:
	v_mov_b32_e32 v112, 0xcccd
	v_mul_u32_u24_sdwa v113, v99, v112 dst_sel:DWORD dst_unused:UNUSED_PAD src0_sel:WORD_0 src1_sel:DWORD
	v_mul_u32_u24_sdwa v112, v100, v112 dst_sel:DWORD dst_unused:UNUSED_PAD src0_sel:WORD_0 src1_sel:DWORD
	v_lshrrev_b32_e32 v113, 19, v113
	v_lshrrev_b32_e32 v112, 19, v112
	v_cmp_lt_u16_e64 s35, v113, v112
	v_cndmask_b32_e64 v112, v99, v100, s35
	v_cndmask_b32_e64 v100, v100, v99, s35
	v_mov_b32_e32 v99, v112
	s_or_b32 exec_lo, exec_lo, s38
	s_and_saveexec_b32 s38, s78
	s_cbranch_execnz .LBB240_944
.LBB240_1423:
	s_or_b32 exec_lo, exec_lo, s38
	s_and_saveexec_b32 s38, s79
	s_cbranch_execz .LBB240_945
.LBB240_1424:
	v_mov_b32_e32 v112, 0xcccd
	v_mul_u32_u24_sdwa v113, v86, v112 dst_sel:DWORD dst_unused:UNUSED_PAD src0_sel:WORD_0 src1_sel:DWORD
	v_mul_u32_u24_sdwa v112, v87, v112 dst_sel:DWORD dst_unused:UNUSED_PAD src0_sel:WORD_0 src1_sel:DWORD
	v_lshrrev_b32_e32 v113, 19, v113
	v_lshrrev_b32_e32 v112, 19, v112
	v_cmp_lt_u16_e64 s35, v113, v112
	v_cndmask_b32_e64 v112, v86, v87, s35
	v_cndmask_b32_e64 v87, v87, v86, s35
	v_mov_b32_e32 v86, v112
	s_or_b32 exec_lo, exec_lo, s38
	s_and_saveexec_b32 s38, s88
	s_cbranch_execnz .LBB240_946
.LBB240_1425:
	s_or_b32 exec_lo, exec_lo, s38
	s_and_saveexec_b32 s38, s89
	s_cbranch_execz .LBB240_947
.LBB240_1426:
	v_mov_b32_e32 v112, 0xcccd
	v_mul_u32_u24_sdwa v113, v82, v112 dst_sel:DWORD dst_unused:UNUSED_PAD src0_sel:WORD_0 src1_sel:DWORD
	v_mul_u32_u24_sdwa v112, v83, v112 dst_sel:DWORD dst_unused:UNUSED_PAD src0_sel:WORD_0 src1_sel:DWORD
	v_lshrrev_b32_e32 v113, 19, v113
	v_lshrrev_b32_e32 v112, 19, v112
	v_cmp_lt_u16_e64 s35, v113, v112
	v_cndmask_b32_e64 v112, v82, v83, s35
	v_cndmask_b32_e64 v83, v83, v82, s35
	v_mov_b32_e32 v82, v112
	s_or_b32 exec_lo, exec_lo, s38
	s_and_saveexec_b32 s38, s90
	s_cbranch_execnz .LBB240_948
.LBB240_1427:
	s_or_b32 exec_lo, exec_lo, s38
	s_and_saveexec_b32 s38, s91
	s_cbranch_execz .LBB240_949
.LBB240_1428:
	v_mov_b32_e32 v112, 0xcccd
	v_mul_u32_u24_sdwa v113, v70, v112 dst_sel:DWORD dst_unused:UNUSED_PAD src0_sel:WORD_0 src1_sel:DWORD
	v_mul_u32_u24_sdwa v112, v71, v112 dst_sel:DWORD dst_unused:UNUSED_PAD src0_sel:WORD_0 src1_sel:DWORD
	v_lshrrev_b32_e32 v113, 19, v113
	v_lshrrev_b32_e32 v112, 19, v112
	v_cmp_lt_u16_e64 s35, v113, v112
	v_cndmask_b32_e64 v112, v70, v71, s35
	v_cndmask_b32_e64 v71, v71, v70, s35
	v_mov_b32_e32 v70, v112
	s_or_b32 exec_lo, exec_lo, s38
	s_and_saveexec_b32 s38, s92
	s_cbranch_execnz .LBB240_950
.LBB240_1429:
	s_or_b32 exec_lo, exec_lo, s38
	s_and_saveexec_b32 s38, s93
	s_cbranch_execz .LBB240_951
.LBB240_1430:
	v_mov_b32_e32 v112, 0xcccd
	v_mul_u32_u24_sdwa v113, v66, v112 dst_sel:DWORD dst_unused:UNUSED_PAD src0_sel:WORD_0 src1_sel:DWORD
	v_mul_u32_u24_sdwa v112, v67, v112 dst_sel:DWORD dst_unused:UNUSED_PAD src0_sel:WORD_0 src1_sel:DWORD
	v_lshrrev_b32_e32 v113, 19, v113
	v_lshrrev_b32_e32 v112, 19, v112
	v_cmp_lt_u16_e64 s35, v113, v112
	v_cndmask_b32_e64 v112, v66, v67, s35
	v_cndmask_b32_e64 v67, v67, v66, s35
	v_mov_b32_e32 v66, v112
	s_or_b32 exec_lo, exec_lo, s38
	s_and_saveexec_b32 s38, s94
	s_cbranch_execnz .LBB240_952
.LBB240_1431:
	s_or_b32 exec_lo, exec_lo, s38
	s_and_saveexec_b32 s38, s95
	s_cbranch_execz .LBB240_953
.LBB240_1432:
	v_mov_b32_e32 v112, 0xcccd
	v_mul_u32_u24_sdwa v113, v53, v112 dst_sel:DWORD dst_unused:UNUSED_PAD src0_sel:WORD_0 src1_sel:DWORD
	v_mul_u32_u24_sdwa v112, v55, v112 dst_sel:DWORD dst_unused:UNUSED_PAD src0_sel:WORD_0 src1_sel:DWORD
	v_lshrrev_b32_e32 v113, 19, v113
	v_lshrrev_b32_e32 v112, 19, v112
	v_cmp_lt_u16_e64 s35, v113, v112
	v_cndmask_b32_e64 v112, v53, v55, s35
	v_cndmask_b32_e64 v55, v55, v53, s35
	v_mov_b32_e32 v53, v112
	s_or_b32 exec_lo, exec_lo, s38
	s_and_saveexec_b32 s38, vcc_hi
	s_cbranch_execnz .LBB240_954
.LBB240_1433:
	s_or_b32 exec_lo, exec_lo, s38
	s_and_saveexec_b32 s38, s30
	s_cbranch_execz .LBB240_955
.LBB240_1434:
	v_mov_b32_e32 v112, 0xcccd
	v_mul_u32_u24_sdwa v113, v50, v112 dst_sel:DWORD dst_unused:UNUSED_PAD src0_sel:WORD_0 src1_sel:DWORD
	v_mul_u32_u24_sdwa v112, v54, v112 dst_sel:DWORD dst_unused:UNUSED_PAD src0_sel:WORD_0 src1_sel:DWORD
	v_lshrrev_b32_e32 v113, 19, v113
	v_lshrrev_b32_e32 v112, 19, v112
	v_cmp_lt_u16_e64 s35, v113, v112
	v_cndmask_b32_e64 v112, v54, v50, s35
	v_cndmask_b32_e64 v50, v50, v54, s35
	v_mov_b32_e32 v54, v112
	s_or_b32 exec_lo, exec_lo, s38
	s_and_saveexec_b32 s38, s31
	s_cbranch_execnz .LBB240_956
.LBB240_1435:
	s_or_b32 exec_lo, exec_lo, s38
	s_and_saveexec_b32 s38, s34
	s_cbranch_execz .LBB240_957
.LBB240_1436:
	v_mov_b32_e32 v112, 0xcccd
	v_mul_u32_u24_sdwa v113, v101, v112 dst_sel:DWORD dst_unused:UNUSED_PAD src0_sel:WORD_0 src1_sel:DWORD
	v_mul_u32_u24_sdwa v112, v39, v112 dst_sel:DWORD dst_unused:UNUSED_PAD src0_sel:WORD_0 src1_sel:DWORD
	v_lshrrev_b32_e32 v113, 19, v113
	v_lshrrev_b32_e32 v112, 19, v112
	v_cmp_lt_u16_e64 s35, v113, v112
	v_cndmask_b32_e64 v112, v39, v101, s35
	v_cndmask_b32_e64 v101, v101, v39, s35
	v_mov_b32_e32 v39, v112
	s_or_b32 exec_lo, exec_lo, s38
	s_and_saveexec_b32 s38, s8
	s_cbranch_execnz .LBB240_958
.LBB240_1437:
	s_or_b32 exec_lo, exec_lo, s38
	s_and_saveexec_b32 s38, s9
	s_cbranch_execz .LBB240_959
.LBB240_1438:
	v_mov_b32_e32 v112, 0xcccd
	v_mul_u32_u24_sdwa v113, v98, v112 dst_sel:DWORD dst_unused:UNUSED_PAD src0_sel:WORD_0 src1_sel:DWORD
	v_mul_u32_u24_sdwa v112, v99, v112 dst_sel:DWORD dst_unused:UNUSED_PAD src0_sel:WORD_0 src1_sel:DWORD
	v_lshrrev_b32_e32 v113, 19, v113
	v_lshrrev_b32_e32 v112, 19, v112
	v_cmp_lt_u16_e64 s35, v113, v112
	v_cndmask_b32_e64 v112, v98, v99, s35
	v_cndmask_b32_e64 v99, v99, v98, s35
	v_mov_b32_e32 v98, v112
	s_or_b32 exec_lo, exec_lo, s38
	s_and_saveexec_b32 s38, s12
	s_cbranch_execnz .LBB240_960
.LBB240_1439:
	s_or_b32 exec_lo, exec_lo, s38
	s_and_saveexec_b32 s38, s13
	s_cbranch_execz .LBB240_961
.LBB240_1440:
	v_mov_b32_e32 v112, 0xcccd
	v_mul_u32_u24_sdwa v113, v85, v112 dst_sel:DWORD dst_unused:UNUSED_PAD src0_sel:WORD_0 src1_sel:DWORD
	v_mul_u32_u24_sdwa v112, v86, v112 dst_sel:DWORD dst_unused:UNUSED_PAD src0_sel:WORD_0 src1_sel:DWORD
	v_lshrrev_b32_e32 v113, 19, v113
	v_lshrrev_b32_e32 v112, 19, v112
	v_cmp_lt_u16_e64 s35, v113, v112
	v_cndmask_b32_e64 v112, v85, v86, s35
	v_cndmask_b32_e64 v86, v86, v85, s35
	v_mov_b32_e32 v85, v112
	s_or_b32 exec_lo, exec_lo, s38
	s_and_saveexec_b32 s38, s57
	s_cbranch_execnz .LBB240_962
.LBB240_1441:
	s_or_b32 exec_lo, exec_lo, s38
	s_and_saveexec_b32 s38, s58
	s_cbranch_execz .LBB240_963
.LBB240_1442:
	v_mov_b32_e32 v112, 0xcccd
	v_mul_u32_u24_sdwa v113, v81, v112 dst_sel:DWORD dst_unused:UNUSED_PAD src0_sel:WORD_0 src1_sel:DWORD
	v_mul_u32_u24_sdwa v112, v82, v112 dst_sel:DWORD dst_unused:UNUSED_PAD src0_sel:WORD_0 src1_sel:DWORD
	v_lshrrev_b32_e32 v113, 19, v113
	v_lshrrev_b32_e32 v112, 19, v112
	v_cmp_lt_u16_e64 s35, v113, v112
	v_cndmask_b32_e64 v112, v81, v82, s35
	v_cndmask_b32_e64 v82, v82, v81, s35
	v_mov_b32_e32 v81, v112
	s_or_b32 exec_lo, exec_lo, s38
	s_and_saveexec_b32 s38, s59
	s_cbranch_execnz .LBB240_964
.LBB240_1443:
	s_or_b32 exec_lo, exec_lo, s38
	s_and_saveexec_b32 s38, s60
	s_cbranch_execz .LBB240_965
.LBB240_1444:
	v_mov_b32_e32 v112, 0xcccd
	v_mul_u32_u24_sdwa v113, v69, v112 dst_sel:DWORD dst_unused:UNUSED_PAD src0_sel:WORD_0 src1_sel:DWORD
	v_mul_u32_u24_sdwa v112, v70, v112 dst_sel:DWORD dst_unused:UNUSED_PAD src0_sel:WORD_0 src1_sel:DWORD
	v_lshrrev_b32_e32 v113, 19, v113
	v_lshrrev_b32_e32 v112, 19, v112
	v_cmp_lt_u16_e64 s35, v113, v112
	v_cndmask_b32_e64 v112, v69, v70, s35
	v_cndmask_b32_e64 v70, v70, v69, s35
	v_mov_b32_e32 v69, v112
	s_or_b32 exec_lo, exec_lo, s38
	s_and_saveexec_b32 s38, s61
	s_cbranch_execnz .LBB240_966
.LBB240_1445:
	s_or_b32 exec_lo, exec_lo, s38
	s_and_saveexec_b32 s38, s62
	s_cbranch_execz .LBB240_967
.LBB240_1446:
	v_mov_b32_e32 v112, 0xcccd
	v_mul_u32_u24_sdwa v113, v65, v112 dst_sel:DWORD dst_unused:UNUSED_PAD src0_sel:WORD_0 src1_sel:DWORD
	v_mul_u32_u24_sdwa v112, v66, v112 dst_sel:DWORD dst_unused:UNUSED_PAD src0_sel:WORD_0 src1_sel:DWORD
	v_lshrrev_b32_e32 v113, 19, v113
	v_lshrrev_b32_e32 v112, 19, v112
	v_cmp_lt_u16_e64 s35, v113, v112
	v_cndmask_b32_e64 v112, v65, v66, s35
	v_cndmask_b32_e64 v66, v66, v65, s35
	v_mov_b32_e32 v65, v112
	s_or_b32 exec_lo, exec_lo, s38
	s_and_saveexec_b32 s38, s63
	s_cbranch_execnz .LBB240_968
.LBB240_1447:
	s_or_b32 exec_lo, exec_lo, s38
	s_and_saveexec_b32 s38, s72
	s_cbranch_execz .LBB240_969
.LBB240_1448:
	v_mov_b32_e32 v112, 0xcccd
	v_mul_u32_u24_sdwa v113, v52, v112 dst_sel:DWORD dst_unused:UNUSED_PAD src0_sel:WORD_0 src1_sel:DWORD
	v_mul_u32_u24_sdwa v112, v53, v112 dst_sel:DWORD dst_unused:UNUSED_PAD src0_sel:WORD_0 src1_sel:DWORD
	v_lshrrev_b32_e32 v113, 19, v113
	v_lshrrev_b32_e32 v112, 19, v112
	v_cmp_lt_u16_e64 s35, v113, v112
	v_cndmask_b32_e64 v112, v52, v53, s35
	v_cndmask_b32_e64 v53, v53, v52, s35
	v_mov_b32_e32 v52, v112
	s_or_b32 exec_lo, exec_lo, s38
	s_and_saveexec_b32 s38, s73
	s_cbranch_execnz .LBB240_970
.LBB240_1449:
	s_or_b32 exec_lo, exec_lo, s38
	s_and_saveexec_b32 s38, s74
	s_cbranch_execz .LBB240_971
.LBB240_1450:
	v_mov_b32_e32 v112, 0xcccd
	v_mul_u32_u24_sdwa v113, v49, v112 dst_sel:DWORD dst_unused:UNUSED_PAD src0_sel:WORD_0 src1_sel:DWORD
	v_mul_u32_u24_sdwa v112, v50, v112 dst_sel:DWORD dst_unused:UNUSED_PAD src0_sel:WORD_0 src1_sel:DWORD
	v_lshrrev_b32_e32 v113, 19, v113
	v_lshrrev_b32_e32 v112, 19, v112
	v_cmp_lt_u16_e64 s35, v113, v112
	v_cndmask_b32_e64 v112, v50, v49, s35
	v_cndmask_b32_e64 v49, v49, v50, s35
	v_mov_b32_e32 v50, v112
	s_or_b32 exec_lo, exec_lo, s38
	s_and_saveexec_b32 s38, s75
	s_cbranch_execnz .LBB240_972
.LBB240_1451:
	s_or_b32 exec_lo, exec_lo, s38
	s_and_saveexec_b32 s38, s76
	s_cbranch_execz .LBB240_973
.LBB240_1452:
	v_mov_b32_e32 v112, 0xcccd
	v_mul_u32_u24_sdwa v113, v38, v112 dst_sel:DWORD dst_unused:UNUSED_PAD src0_sel:WORD_0 src1_sel:DWORD
	v_mul_u32_u24_sdwa v112, v101, v112 dst_sel:DWORD dst_unused:UNUSED_PAD src0_sel:WORD_0 src1_sel:DWORD
	v_lshrrev_b32_e32 v113, 19, v113
	v_lshrrev_b32_e32 v112, 19, v112
	v_cmp_lt_u16_e64 s35, v113, v112
	v_cndmask_b32_e64 v112, v101, v38, s35
	v_cndmask_b32_e64 v38, v38, v101, s35
	v_mov_b32_e32 v101, v112
	s_or_b32 exec_lo, exec_lo, s38
	s_and_saveexec_b32 s38, s77
	s_cbranch_execnz .LBB240_974
.LBB240_1453:
	s_or_b32 exec_lo, exec_lo, s38
	s_and_saveexec_b32 s38, s78
	s_cbranch_execz .LBB240_975
.LBB240_1454:
	v_mov_b32_e32 v112, 0xcccd
	v_mul_u32_u24_sdwa v113, v96, v112 dst_sel:DWORD dst_unused:UNUSED_PAD src0_sel:WORD_0 src1_sel:DWORD
	v_mul_u32_u24_sdwa v112, v98, v112 dst_sel:DWORD dst_unused:UNUSED_PAD src0_sel:WORD_0 src1_sel:DWORD
	v_lshrrev_b32_e32 v113, 19, v113
	v_lshrrev_b32_e32 v112, 19, v112
	v_cmp_lt_u16_e64 s35, v113, v112
	v_cndmask_b32_e64 v112, v96, v98, s35
	v_cndmask_b32_e64 v98, v98, v96, s35
	v_mov_b32_e32 v96, v112
	s_or_b32 exec_lo, exec_lo, s38
	s_and_saveexec_b32 s38, s79
	s_cbranch_execnz .LBB240_976
.LBB240_1455:
	s_or_b32 exec_lo, exec_lo, s38
	s_and_saveexec_b32 s38, s88
	s_cbranch_execz .LBB240_977
.LBB240_1456:
	v_mov_b32_e32 v112, 0xcccd
	v_mul_u32_u24_sdwa v113, v84, v112 dst_sel:DWORD dst_unused:UNUSED_PAD src0_sel:WORD_0 src1_sel:DWORD
	v_mul_u32_u24_sdwa v112, v85, v112 dst_sel:DWORD dst_unused:UNUSED_PAD src0_sel:WORD_0 src1_sel:DWORD
	v_lshrrev_b32_e32 v113, 19, v113
	v_lshrrev_b32_e32 v112, 19, v112
	v_cmp_lt_u16_e64 s35, v113, v112
	v_cndmask_b32_e64 v112, v84, v85, s35
	v_cndmask_b32_e64 v85, v85, v84, s35
	v_mov_b32_e32 v84, v112
	s_or_b32 exec_lo, exec_lo, s38
	s_and_saveexec_b32 s38, s89
	s_cbranch_execnz .LBB240_978
.LBB240_1457:
	s_or_b32 exec_lo, exec_lo, s38
	s_and_saveexec_b32 s38, s90
	s_cbranch_execz .LBB240_979
.LBB240_1458:
	v_mov_b32_e32 v112, 0xcccd
	v_mul_u32_u24_sdwa v113, v80, v112 dst_sel:DWORD dst_unused:UNUSED_PAD src0_sel:WORD_0 src1_sel:DWORD
	v_mul_u32_u24_sdwa v112, v81, v112 dst_sel:DWORD dst_unused:UNUSED_PAD src0_sel:WORD_0 src1_sel:DWORD
	v_lshrrev_b32_e32 v113, 19, v113
	v_lshrrev_b32_e32 v112, 19, v112
	v_cmp_lt_u16_e64 s35, v113, v112
	v_cndmask_b32_e64 v112, v80, v81, s35
	v_cndmask_b32_e64 v81, v81, v80, s35
	v_mov_b32_e32 v80, v112
	s_or_b32 exec_lo, exec_lo, s38
	s_and_saveexec_b32 s38, s91
	s_cbranch_execnz .LBB240_980
.LBB240_1459:
	s_or_b32 exec_lo, exec_lo, s38
	s_and_saveexec_b32 s38, s92
	s_cbranch_execz .LBB240_981
.LBB240_1460:
	v_mov_b32_e32 v112, 0xcccd
	v_mul_u32_u24_sdwa v113, v68, v112 dst_sel:DWORD dst_unused:UNUSED_PAD src0_sel:WORD_0 src1_sel:DWORD
	v_mul_u32_u24_sdwa v112, v69, v112 dst_sel:DWORD dst_unused:UNUSED_PAD src0_sel:WORD_0 src1_sel:DWORD
	v_lshrrev_b32_e32 v113, 19, v113
	v_lshrrev_b32_e32 v112, 19, v112
	v_cmp_lt_u16_e64 s35, v113, v112
	v_cndmask_b32_e64 v112, v68, v69, s35
	v_cndmask_b32_e64 v69, v69, v68, s35
	v_mov_b32_e32 v68, v112
	s_or_b32 exec_lo, exec_lo, s38
	s_and_saveexec_b32 s38, s93
	s_cbranch_execnz .LBB240_982
.LBB240_1461:
	s_or_b32 exec_lo, exec_lo, s38
	s_and_saveexec_b32 s38, s94
	s_cbranch_execz .LBB240_983
.LBB240_1462:
	v_mov_b32_e32 v112, 0xcccd
	v_mul_u32_u24_sdwa v113, v64, v112 dst_sel:DWORD dst_unused:UNUSED_PAD src0_sel:WORD_0 src1_sel:DWORD
	v_mul_u32_u24_sdwa v112, v65, v112 dst_sel:DWORD dst_unused:UNUSED_PAD src0_sel:WORD_0 src1_sel:DWORD
	v_lshrrev_b32_e32 v113, 19, v113
	v_lshrrev_b32_e32 v112, 19, v112
	v_cmp_lt_u16_e64 s35, v113, v112
	v_cndmask_b32_e64 v112, v64, v65, s35
	v_cndmask_b32_e64 v65, v65, v64, s35
	v_mov_b32_e32 v64, v112
	s_or_b32 exec_lo, exec_lo, s38
	s_and_saveexec_b32 s38, s95
	s_cbranch_execnz .LBB240_984
.LBB240_1463:
	s_or_b32 exec_lo, exec_lo, s38
	s_and_saveexec_b32 s38, vcc_hi
	s_cbranch_execz .LBB240_985
.LBB240_1464:
	v_mov_b32_e32 v112, 0xcccd
	v_mul_u32_u24_sdwa v113, v51, v112 dst_sel:DWORD dst_unused:UNUSED_PAD src0_sel:WORD_0 src1_sel:DWORD
	v_mul_u32_u24_sdwa v112, v52, v112 dst_sel:DWORD dst_unused:UNUSED_PAD src0_sel:WORD_0 src1_sel:DWORD
	v_lshrrev_b32_e32 v113, 19, v113
	v_lshrrev_b32_e32 v112, 19, v112
	v_cmp_lt_u16_e64 s35, v113, v112
	v_cndmask_b32_e64 v112, v51, v52, s35
	v_cndmask_b32_e64 v52, v52, v51, s35
	v_mov_b32_e32 v51, v112
	s_or_b32 exec_lo, exec_lo, s38
	s_and_saveexec_b32 s38, s30
	s_cbranch_execnz .LBB240_986
.LBB240_1465:
	s_or_b32 exec_lo, exec_lo, s38
	s_and_saveexec_b32 s38, s31
	s_cbranch_execz .LBB240_987
.LBB240_1466:
	v_mov_b32_e32 v112, 0xcccd
	v_mul_u32_u24_sdwa v113, v48, v112 dst_sel:DWORD dst_unused:UNUSED_PAD src0_sel:WORD_0 src1_sel:DWORD
	v_mul_u32_u24_sdwa v112, v49, v112 dst_sel:DWORD dst_unused:UNUSED_PAD src0_sel:WORD_0 src1_sel:DWORD
	v_lshrrev_b32_e32 v113, 19, v113
	v_lshrrev_b32_e32 v112, 19, v112
	v_cmp_lt_u16_e64 s35, v113, v112
	v_cndmask_b32_e64 v112, v49, v48, s35
	v_cndmask_b32_e64 v48, v48, v49, s35
	v_mov_b32_e32 v49, v112
	s_or_b32 exec_lo, exec_lo, s38
	s_and_saveexec_b32 s38, s34
	s_cbranch_execnz .LBB240_988
.LBB240_1467:
	s_or_b32 exec_lo, exec_lo, s38
	s_and_saveexec_b32 s38, s8
	s_cbranch_execz .LBB240_989
.LBB240_1468:
	v_mov_b32_e32 v112, 0xcccd
	v_mul_u32_u24_sdwa v113, v100, v112 dst_sel:DWORD dst_unused:UNUSED_PAD src0_sel:WORD_0 src1_sel:DWORD
	v_mul_u32_u24_sdwa v112, v97, v112 dst_sel:DWORD dst_unused:UNUSED_PAD src0_sel:WORD_0 src1_sel:DWORD
	v_lshrrev_b32_e32 v113, 19, v113
	v_lshrrev_b32_e32 v112, 19, v112
	v_cmp_lt_u16_e64 s35, v113, v112
	v_cndmask_b32_e64 v112, v100, v97, s35
	v_cndmask_b32_e64 v97, v97, v100, s35
	v_mov_b32_e32 v100, v112
	s_or_b32 exec_lo, exec_lo, s38
	s_and_saveexec_b32 s38, s9
	s_cbranch_execnz .LBB240_990
.LBB240_1469:
	s_or_b32 exec_lo, exec_lo, s38
	s_and_saveexec_b32 s38, s12
	s_cbranch_execz .LBB240_991
.LBB240_1470:
	v_mov_b32_e32 v112, 0xcccd
	v_mul_u32_u24_sdwa v113, v87, v112 dst_sel:DWORD dst_unused:UNUSED_PAD src0_sel:WORD_0 src1_sel:DWORD
	v_mul_u32_u24_sdwa v112, v96, v112 dst_sel:DWORD dst_unused:UNUSED_PAD src0_sel:WORD_0 src1_sel:DWORD
	v_lshrrev_b32_e32 v113, 19, v113
	v_lshrrev_b32_e32 v112, 19, v112
	v_cmp_lt_u16_e64 s35, v113, v112
	v_cndmask_b32_e64 v112, v87, v96, s35
	v_cndmask_b32_e64 v96, v96, v87, s35
	v_mov_b32_e32 v87, v112
	s_or_b32 exec_lo, exec_lo, s38
	s_and_saveexec_b32 s38, s13
	s_cbranch_execnz .LBB240_992
.LBB240_1471:
	s_or_b32 exec_lo, exec_lo, s38
	s_and_saveexec_b32 s38, s57
	s_cbranch_execz .LBB240_993
.LBB240_1472:
	v_mov_b32_e32 v112, 0xcccd
	v_mul_u32_u24_sdwa v113, v83, v112 dst_sel:DWORD dst_unused:UNUSED_PAD src0_sel:WORD_0 src1_sel:DWORD
	v_mul_u32_u24_sdwa v112, v84, v112 dst_sel:DWORD dst_unused:UNUSED_PAD src0_sel:WORD_0 src1_sel:DWORD
	v_lshrrev_b32_e32 v113, 19, v113
	v_lshrrev_b32_e32 v112, 19, v112
	v_cmp_lt_u16_e64 s35, v113, v112
	v_cndmask_b32_e64 v112, v83, v84, s35
	v_cndmask_b32_e64 v84, v84, v83, s35
	v_mov_b32_e32 v83, v112
	s_or_b32 exec_lo, exec_lo, s38
	s_and_saveexec_b32 s38, s58
	s_cbranch_execnz .LBB240_994
.LBB240_1473:
	s_or_b32 exec_lo, exec_lo, s38
	s_and_saveexec_b32 s38, s59
	s_cbranch_execz .LBB240_995
.LBB240_1474:
	v_mov_b32_e32 v112, 0xcccd
	v_mul_u32_u24_sdwa v113, v71, v112 dst_sel:DWORD dst_unused:UNUSED_PAD src0_sel:WORD_0 src1_sel:DWORD
	v_mul_u32_u24_sdwa v112, v80, v112 dst_sel:DWORD dst_unused:UNUSED_PAD src0_sel:WORD_0 src1_sel:DWORD
	v_lshrrev_b32_e32 v113, 19, v113
	v_lshrrev_b32_e32 v112, 19, v112
	v_cmp_lt_u16_e64 s35, v113, v112
	v_cndmask_b32_e64 v112, v71, v80, s35
	v_cndmask_b32_e64 v80, v80, v71, s35
	v_mov_b32_e32 v71, v112
	s_or_b32 exec_lo, exec_lo, s38
	s_and_saveexec_b32 s38, s60
	s_cbranch_execnz .LBB240_996
.LBB240_1475:
	s_or_b32 exec_lo, exec_lo, s38
	s_and_saveexec_b32 s38, s61
	s_cbranch_execz .LBB240_997
.LBB240_1476:
	v_mov_b32_e32 v112, 0xcccd
	v_mul_u32_u24_sdwa v113, v67, v112 dst_sel:DWORD dst_unused:UNUSED_PAD src0_sel:WORD_0 src1_sel:DWORD
	v_mul_u32_u24_sdwa v112, v68, v112 dst_sel:DWORD dst_unused:UNUSED_PAD src0_sel:WORD_0 src1_sel:DWORD
	v_lshrrev_b32_e32 v113, 19, v113
	v_lshrrev_b32_e32 v112, 19, v112
	v_cmp_lt_u16_e64 s35, v113, v112
	v_cndmask_b32_e64 v112, v67, v68, s35
	v_cndmask_b32_e64 v68, v68, v67, s35
	v_mov_b32_e32 v67, v112
	s_or_b32 exec_lo, exec_lo, s38
	s_and_saveexec_b32 s38, s62
	s_cbranch_execnz .LBB240_998
.LBB240_1477:
	s_or_b32 exec_lo, exec_lo, s38
	s_and_saveexec_b32 s38, s63
	s_cbranch_execz .LBB240_999
.LBB240_1478:
	v_mov_b32_e32 v112, 0xcccd
	v_mul_u32_u24_sdwa v113, v55, v112 dst_sel:DWORD dst_unused:UNUSED_PAD src0_sel:WORD_0 src1_sel:DWORD
	v_mul_u32_u24_sdwa v112, v64, v112 dst_sel:DWORD dst_unused:UNUSED_PAD src0_sel:WORD_0 src1_sel:DWORD
	v_lshrrev_b32_e32 v113, 19, v113
	v_lshrrev_b32_e32 v112, 19, v112
	v_cmp_lt_u16_e64 s35, v113, v112
	v_cndmask_b32_e64 v112, v55, v64, s35
	v_cndmask_b32_e64 v64, v64, v55, s35
	v_mov_b32_e32 v55, v112
	s_or_b32 exec_lo, exec_lo, s38
	s_and_saveexec_b32 s38, s72
	s_cbranch_execnz .LBB240_1000
.LBB240_1479:
	s_or_b32 exec_lo, exec_lo, s38
	s_and_saveexec_b32 s38, s73
	s_cbranch_execz .LBB240_1001
.LBB240_1480:
	v_mov_b32_e32 v112, 0xcccd
	v_mul_u32_u24_sdwa v113, v54, v112 dst_sel:DWORD dst_unused:UNUSED_PAD src0_sel:WORD_0 src1_sel:DWORD
	v_mul_u32_u24_sdwa v112, v51, v112 dst_sel:DWORD dst_unused:UNUSED_PAD src0_sel:WORD_0 src1_sel:DWORD
	v_lshrrev_b32_e32 v113, 19, v113
	v_lshrrev_b32_e32 v112, 19, v112
	v_cmp_lt_u16_e64 s35, v113, v112
	v_cndmask_b32_e64 v112, v54, v51, s35
	v_cndmask_b32_e64 v51, v51, v54, s35
	v_mov_b32_e32 v54, v112
	s_or_b32 exec_lo, exec_lo, s38
	s_and_saveexec_b32 s38, s74
	s_cbranch_execnz .LBB240_1002
.LBB240_1481:
	s_or_b32 exec_lo, exec_lo, s38
	s_and_saveexec_b32 s38, s75
	s_cbranch_execz .LBB240_1003
.LBB240_1482:
	v_mov_b32_e32 v112, 0xcccd
	v_mul_u32_u24_sdwa v113, v39, v112 dst_sel:DWORD dst_unused:UNUSED_PAD src0_sel:WORD_0 src1_sel:DWORD
	v_mul_u32_u24_sdwa v112, v48, v112 dst_sel:DWORD dst_unused:UNUSED_PAD src0_sel:WORD_0 src1_sel:DWORD
	v_lshrrev_b32_e32 v113, 19, v113
	v_lshrrev_b32_e32 v112, 19, v112
	v_cmp_lt_u16_e64 s35, v113, v112
	v_cndmask_b32_e64 v112, v48, v39, s35
	v_cndmask_b32_e64 v39, v39, v48, s35
	v_mov_b32_e32 v48, v112
	s_or_b32 exec_lo, exec_lo, s38
	s_and_saveexec_b32 s38, s76
	s_cbranch_execnz .LBB240_1004
.LBB240_1483:
	s_or_b32 exec_lo, exec_lo, s38
	s_and_saveexec_b32 s38, s77
	s_cbranch_execz .LBB240_1005
.LBB240_1484:
	v_mov_b32_e32 v112, 0xcccd
	v_mul_u32_u24_sdwa v113, v99, v112 dst_sel:DWORD dst_unused:UNUSED_PAD src0_sel:WORD_0 src1_sel:DWORD
	v_mul_u32_u24_sdwa v112, v100, v112 dst_sel:DWORD dst_unused:UNUSED_PAD src0_sel:WORD_0 src1_sel:DWORD
	v_lshrrev_b32_e32 v113, 19, v113
	v_lshrrev_b32_e32 v112, 19, v112
	v_cmp_lt_u16_e64 s35, v113, v112
	v_cndmask_b32_e64 v112, v99, v100, s35
	v_cndmask_b32_e64 v100, v100, v99, s35
	v_mov_b32_e32 v99, v112
	s_or_b32 exec_lo, exec_lo, s38
	s_and_saveexec_b32 s38, s78
	s_cbranch_execnz .LBB240_1006
.LBB240_1485:
	s_or_b32 exec_lo, exec_lo, s38
	s_and_saveexec_b32 s38, s79
	s_cbranch_execz .LBB240_1007
.LBB240_1486:
	v_mov_b32_e32 v112, 0xcccd
	v_mul_u32_u24_sdwa v113, v86, v112 dst_sel:DWORD dst_unused:UNUSED_PAD src0_sel:WORD_0 src1_sel:DWORD
	v_mul_u32_u24_sdwa v112, v87, v112 dst_sel:DWORD dst_unused:UNUSED_PAD src0_sel:WORD_0 src1_sel:DWORD
	v_lshrrev_b32_e32 v113, 19, v113
	v_lshrrev_b32_e32 v112, 19, v112
	v_cmp_lt_u16_e64 s35, v113, v112
	v_cndmask_b32_e64 v112, v86, v87, s35
	v_cndmask_b32_e64 v87, v87, v86, s35
	v_mov_b32_e32 v86, v112
	s_or_b32 exec_lo, exec_lo, s38
	s_and_saveexec_b32 s38, s88
	s_cbranch_execnz .LBB240_1008
.LBB240_1487:
	s_or_b32 exec_lo, exec_lo, s38
	s_and_saveexec_b32 s38, s89
	s_cbranch_execz .LBB240_1009
.LBB240_1488:
	v_mov_b32_e32 v112, 0xcccd
	v_mul_u32_u24_sdwa v113, v82, v112 dst_sel:DWORD dst_unused:UNUSED_PAD src0_sel:WORD_0 src1_sel:DWORD
	v_mul_u32_u24_sdwa v112, v83, v112 dst_sel:DWORD dst_unused:UNUSED_PAD src0_sel:WORD_0 src1_sel:DWORD
	v_lshrrev_b32_e32 v113, 19, v113
	v_lshrrev_b32_e32 v112, 19, v112
	v_cmp_lt_u16_e64 s35, v113, v112
	v_cndmask_b32_e64 v112, v82, v83, s35
	v_cndmask_b32_e64 v83, v83, v82, s35
	v_mov_b32_e32 v82, v112
	s_or_b32 exec_lo, exec_lo, s38
	s_and_saveexec_b32 s38, s90
	s_cbranch_execnz .LBB240_1010
.LBB240_1489:
	s_or_b32 exec_lo, exec_lo, s38
	s_and_saveexec_b32 s38, s91
	s_cbranch_execz .LBB240_1011
.LBB240_1490:
	v_mov_b32_e32 v112, 0xcccd
	v_mul_u32_u24_sdwa v113, v70, v112 dst_sel:DWORD dst_unused:UNUSED_PAD src0_sel:WORD_0 src1_sel:DWORD
	v_mul_u32_u24_sdwa v112, v71, v112 dst_sel:DWORD dst_unused:UNUSED_PAD src0_sel:WORD_0 src1_sel:DWORD
	v_lshrrev_b32_e32 v113, 19, v113
	v_lshrrev_b32_e32 v112, 19, v112
	v_cmp_lt_u16_e64 s35, v113, v112
	v_cndmask_b32_e64 v112, v70, v71, s35
	v_cndmask_b32_e64 v71, v71, v70, s35
	v_mov_b32_e32 v70, v112
	s_or_b32 exec_lo, exec_lo, s38
	s_and_saveexec_b32 s38, s92
	s_cbranch_execnz .LBB240_1012
.LBB240_1491:
	s_or_b32 exec_lo, exec_lo, s38
	s_and_saveexec_b32 s38, s93
	s_cbranch_execz .LBB240_1013
.LBB240_1492:
	v_mov_b32_e32 v112, 0xcccd
	v_mul_u32_u24_sdwa v113, v66, v112 dst_sel:DWORD dst_unused:UNUSED_PAD src0_sel:WORD_0 src1_sel:DWORD
	v_mul_u32_u24_sdwa v112, v67, v112 dst_sel:DWORD dst_unused:UNUSED_PAD src0_sel:WORD_0 src1_sel:DWORD
	v_lshrrev_b32_e32 v113, 19, v113
	v_lshrrev_b32_e32 v112, 19, v112
	v_cmp_lt_u16_e64 s35, v113, v112
	v_cndmask_b32_e64 v112, v66, v67, s35
	v_cndmask_b32_e64 v67, v67, v66, s35
	v_mov_b32_e32 v66, v112
	s_or_b32 exec_lo, exec_lo, s38
	s_and_saveexec_b32 s38, s94
	s_cbranch_execnz .LBB240_1014
.LBB240_1493:
	s_or_b32 exec_lo, exec_lo, s38
	s_and_saveexec_b32 s38, s95
	s_cbranch_execz .LBB240_1015
.LBB240_1494:
	v_mov_b32_e32 v112, 0xcccd
	v_mul_u32_u24_sdwa v113, v53, v112 dst_sel:DWORD dst_unused:UNUSED_PAD src0_sel:WORD_0 src1_sel:DWORD
	v_mul_u32_u24_sdwa v112, v55, v112 dst_sel:DWORD dst_unused:UNUSED_PAD src0_sel:WORD_0 src1_sel:DWORD
	v_lshrrev_b32_e32 v113, 19, v113
	v_lshrrev_b32_e32 v112, 19, v112
	v_cmp_lt_u16_e64 s35, v113, v112
	v_cndmask_b32_e64 v112, v53, v55, s35
	v_cndmask_b32_e64 v55, v55, v53, s35
	v_mov_b32_e32 v53, v112
	s_or_b32 exec_lo, exec_lo, s38
	s_and_saveexec_b32 s38, vcc_hi
	s_cbranch_execnz .LBB240_1016
.LBB240_1495:
	s_or_b32 exec_lo, exec_lo, s38
	s_and_saveexec_b32 s38, s30
	s_cbranch_execz .LBB240_1017
.LBB240_1496:
	v_mov_b32_e32 v112, 0xcccd
	v_mul_u32_u24_sdwa v113, v50, v112 dst_sel:DWORD dst_unused:UNUSED_PAD src0_sel:WORD_0 src1_sel:DWORD
	v_mul_u32_u24_sdwa v112, v54, v112 dst_sel:DWORD dst_unused:UNUSED_PAD src0_sel:WORD_0 src1_sel:DWORD
	v_lshrrev_b32_e32 v113, 19, v113
	v_lshrrev_b32_e32 v112, 19, v112
	v_cmp_lt_u16_e64 s35, v113, v112
	v_cndmask_b32_e64 v112, v54, v50, s35
	v_cndmask_b32_e64 v50, v50, v54, s35
	v_mov_b32_e32 v54, v112
	s_or_b32 exec_lo, exec_lo, s38
	s_and_saveexec_b32 s38, s31
	s_cbranch_execnz .LBB240_1018
.LBB240_1497:
	s_or_b32 exec_lo, exec_lo, s38
	s_and_saveexec_b32 s38, s34
	s_cbranch_execz .LBB240_1019
.LBB240_1498:
	v_mov_b32_e32 v112, 0xcccd
	v_mul_u32_u24_sdwa v113, v101, v112 dst_sel:DWORD dst_unused:UNUSED_PAD src0_sel:WORD_0 src1_sel:DWORD
	v_mul_u32_u24_sdwa v112, v39, v112 dst_sel:DWORD dst_unused:UNUSED_PAD src0_sel:WORD_0 src1_sel:DWORD
	v_lshrrev_b32_e32 v113, 19, v113
	v_lshrrev_b32_e32 v112, 19, v112
	v_cmp_lt_u16_e64 s35, v113, v112
	v_cndmask_b32_e64 v112, v39, v101, s35
	v_cndmask_b32_e64 v101, v101, v39, s35
	v_mov_b32_e32 v39, v112
	s_or_b32 exec_lo, exec_lo, s38
	s_and_saveexec_b32 s38, s8
	s_cbranch_execnz .LBB240_1020
.LBB240_1499:
	s_or_b32 exec_lo, exec_lo, s38
	s_and_saveexec_b32 s38, s9
	s_cbranch_execz .LBB240_1021
.LBB240_1500:
	v_mov_b32_e32 v112, 0xcccd
	v_mul_u32_u24_sdwa v113, v98, v112 dst_sel:DWORD dst_unused:UNUSED_PAD src0_sel:WORD_0 src1_sel:DWORD
	v_mul_u32_u24_sdwa v112, v99, v112 dst_sel:DWORD dst_unused:UNUSED_PAD src0_sel:WORD_0 src1_sel:DWORD
	v_lshrrev_b32_e32 v113, 19, v113
	v_lshrrev_b32_e32 v112, 19, v112
	v_cmp_lt_u16_e64 s35, v113, v112
	v_cndmask_b32_e64 v112, v98, v99, s35
	v_cndmask_b32_e64 v99, v99, v98, s35
	v_mov_b32_e32 v98, v112
	s_or_b32 exec_lo, exec_lo, s38
	s_and_saveexec_b32 s38, s12
	s_cbranch_execnz .LBB240_1022
.LBB240_1501:
	s_or_b32 exec_lo, exec_lo, s38
	s_and_saveexec_b32 s38, s13
	s_cbranch_execz .LBB240_1023
.LBB240_1502:
	v_mov_b32_e32 v112, 0xcccd
	v_mul_u32_u24_sdwa v113, v85, v112 dst_sel:DWORD dst_unused:UNUSED_PAD src0_sel:WORD_0 src1_sel:DWORD
	v_mul_u32_u24_sdwa v112, v86, v112 dst_sel:DWORD dst_unused:UNUSED_PAD src0_sel:WORD_0 src1_sel:DWORD
	v_lshrrev_b32_e32 v113, 19, v113
	v_lshrrev_b32_e32 v112, 19, v112
	v_cmp_lt_u16_e64 s35, v113, v112
	v_cndmask_b32_e64 v112, v85, v86, s35
	v_cndmask_b32_e64 v86, v86, v85, s35
	v_mov_b32_e32 v85, v112
	s_or_b32 exec_lo, exec_lo, s38
	s_and_saveexec_b32 s38, s57
	s_cbranch_execnz .LBB240_1024
.LBB240_1503:
	s_or_b32 exec_lo, exec_lo, s38
	s_and_saveexec_b32 s38, s58
	s_cbranch_execz .LBB240_1025
.LBB240_1504:
	v_mov_b32_e32 v112, 0xcccd
	v_mul_u32_u24_sdwa v113, v81, v112 dst_sel:DWORD dst_unused:UNUSED_PAD src0_sel:WORD_0 src1_sel:DWORD
	v_mul_u32_u24_sdwa v112, v82, v112 dst_sel:DWORD dst_unused:UNUSED_PAD src0_sel:WORD_0 src1_sel:DWORD
	v_lshrrev_b32_e32 v113, 19, v113
	v_lshrrev_b32_e32 v112, 19, v112
	v_cmp_lt_u16_e64 s35, v113, v112
	v_cndmask_b32_e64 v112, v81, v82, s35
	v_cndmask_b32_e64 v82, v82, v81, s35
	v_mov_b32_e32 v81, v112
	s_or_b32 exec_lo, exec_lo, s38
	s_and_saveexec_b32 s38, s59
	s_cbranch_execnz .LBB240_1026
.LBB240_1505:
	s_or_b32 exec_lo, exec_lo, s38
	s_and_saveexec_b32 s38, s60
	s_cbranch_execz .LBB240_1027
.LBB240_1506:
	v_mov_b32_e32 v112, 0xcccd
	v_mul_u32_u24_sdwa v113, v69, v112 dst_sel:DWORD dst_unused:UNUSED_PAD src0_sel:WORD_0 src1_sel:DWORD
	v_mul_u32_u24_sdwa v112, v70, v112 dst_sel:DWORD dst_unused:UNUSED_PAD src0_sel:WORD_0 src1_sel:DWORD
	v_lshrrev_b32_e32 v113, 19, v113
	v_lshrrev_b32_e32 v112, 19, v112
	v_cmp_lt_u16_e64 s35, v113, v112
	v_cndmask_b32_e64 v112, v69, v70, s35
	v_cndmask_b32_e64 v70, v70, v69, s35
	v_mov_b32_e32 v69, v112
	s_or_b32 exec_lo, exec_lo, s38
	s_and_saveexec_b32 s38, s61
	s_cbranch_execnz .LBB240_1028
.LBB240_1507:
	s_or_b32 exec_lo, exec_lo, s38
	s_and_saveexec_b32 s38, s62
	s_cbranch_execz .LBB240_1029
.LBB240_1508:
	v_mov_b32_e32 v112, 0xcccd
	v_mul_u32_u24_sdwa v113, v65, v112 dst_sel:DWORD dst_unused:UNUSED_PAD src0_sel:WORD_0 src1_sel:DWORD
	v_mul_u32_u24_sdwa v112, v66, v112 dst_sel:DWORD dst_unused:UNUSED_PAD src0_sel:WORD_0 src1_sel:DWORD
	v_lshrrev_b32_e32 v113, 19, v113
	v_lshrrev_b32_e32 v112, 19, v112
	v_cmp_lt_u16_e64 s35, v113, v112
	v_cndmask_b32_e64 v112, v65, v66, s35
	v_cndmask_b32_e64 v66, v66, v65, s35
	v_mov_b32_e32 v65, v112
	s_or_b32 exec_lo, exec_lo, s38
	s_and_saveexec_b32 s38, s63
	s_cbranch_execnz .LBB240_1030
.LBB240_1509:
	s_or_b32 exec_lo, exec_lo, s38
	s_and_saveexec_b32 s38, s72
	s_cbranch_execz .LBB240_1031
.LBB240_1510:
	v_mov_b32_e32 v112, 0xcccd
	v_mul_u32_u24_sdwa v113, v52, v112 dst_sel:DWORD dst_unused:UNUSED_PAD src0_sel:WORD_0 src1_sel:DWORD
	v_mul_u32_u24_sdwa v112, v53, v112 dst_sel:DWORD dst_unused:UNUSED_PAD src0_sel:WORD_0 src1_sel:DWORD
	v_lshrrev_b32_e32 v113, 19, v113
	v_lshrrev_b32_e32 v112, 19, v112
	v_cmp_lt_u16_e64 s35, v113, v112
	v_cndmask_b32_e64 v112, v52, v53, s35
	v_cndmask_b32_e64 v53, v53, v52, s35
	v_mov_b32_e32 v52, v112
	s_or_b32 exec_lo, exec_lo, s38
	s_and_saveexec_b32 s38, s73
	s_cbranch_execnz .LBB240_1032
.LBB240_1511:
	s_or_b32 exec_lo, exec_lo, s38
	s_and_saveexec_b32 s38, s74
	s_cbranch_execz .LBB240_1033
.LBB240_1512:
	v_mov_b32_e32 v112, 0xcccd
	v_mul_u32_u24_sdwa v113, v49, v112 dst_sel:DWORD dst_unused:UNUSED_PAD src0_sel:WORD_0 src1_sel:DWORD
	v_mul_u32_u24_sdwa v112, v50, v112 dst_sel:DWORD dst_unused:UNUSED_PAD src0_sel:WORD_0 src1_sel:DWORD
	v_lshrrev_b32_e32 v113, 19, v113
	v_lshrrev_b32_e32 v112, 19, v112
	v_cmp_lt_u16_e64 s35, v113, v112
	v_cndmask_b32_e64 v112, v50, v49, s35
	v_cndmask_b32_e64 v49, v49, v50, s35
	v_mov_b32_e32 v50, v112
	s_or_b32 exec_lo, exec_lo, s38
	s_and_saveexec_b32 s38, s75
	s_cbranch_execnz .LBB240_1034
.LBB240_1513:
	s_or_b32 exec_lo, exec_lo, s38
	s_and_saveexec_b32 s38, s76
	s_cbranch_execz .LBB240_1035
.LBB240_1514:
	v_mov_b32_e32 v112, 0xcccd
	v_mul_u32_u24_sdwa v113, v38, v112 dst_sel:DWORD dst_unused:UNUSED_PAD src0_sel:WORD_0 src1_sel:DWORD
	v_mul_u32_u24_sdwa v112, v101, v112 dst_sel:DWORD dst_unused:UNUSED_PAD src0_sel:WORD_0 src1_sel:DWORD
	v_lshrrev_b32_e32 v113, 19, v113
	v_lshrrev_b32_e32 v112, 19, v112
	v_cmp_lt_u16_e64 s35, v113, v112
	v_cndmask_b32_e64 v112, v101, v38, s35
	v_cndmask_b32_e64 v38, v38, v101, s35
	v_mov_b32_e32 v101, v112
	s_or_b32 exec_lo, exec_lo, s38
	s_and_saveexec_b32 s38, s77
	s_cbranch_execnz .LBB240_1036
.LBB240_1515:
	s_or_b32 exec_lo, exec_lo, s38
	s_and_saveexec_b32 s38, s78
	s_cbranch_execz .LBB240_1037
.LBB240_1516:
	v_mov_b32_e32 v112, 0xcccd
	v_mul_u32_u24_sdwa v113, v96, v112 dst_sel:DWORD dst_unused:UNUSED_PAD src0_sel:WORD_0 src1_sel:DWORD
	v_mul_u32_u24_sdwa v112, v98, v112 dst_sel:DWORD dst_unused:UNUSED_PAD src0_sel:WORD_0 src1_sel:DWORD
	v_lshrrev_b32_e32 v113, 19, v113
	v_lshrrev_b32_e32 v112, 19, v112
	v_cmp_lt_u16_e64 s35, v113, v112
	v_cndmask_b32_e64 v112, v96, v98, s35
	v_cndmask_b32_e64 v98, v98, v96, s35
	v_mov_b32_e32 v96, v112
	s_or_b32 exec_lo, exec_lo, s38
	s_and_saveexec_b32 s38, s79
	s_cbranch_execnz .LBB240_1038
.LBB240_1517:
	s_or_b32 exec_lo, exec_lo, s38
	s_and_saveexec_b32 s38, s88
	s_cbranch_execz .LBB240_1039
.LBB240_1518:
	v_mov_b32_e32 v112, 0xcccd
	v_mul_u32_u24_sdwa v113, v84, v112 dst_sel:DWORD dst_unused:UNUSED_PAD src0_sel:WORD_0 src1_sel:DWORD
	v_mul_u32_u24_sdwa v112, v85, v112 dst_sel:DWORD dst_unused:UNUSED_PAD src0_sel:WORD_0 src1_sel:DWORD
	v_lshrrev_b32_e32 v113, 19, v113
	v_lshrrev_b32_e32 v112, 19, v112
	v_cmp_lt_u16_e64 s35, v113, v112
	v_cndmask_b32_e64 v112, v84, v85, s35
	v_cndmask_b32_e64 v85, v85, v84, s35
	v_mov_b32_e32 v84, v112
	s_or_b32 exec_lo, exec_lo, s38
	s_and_saveexec_b32 s38, s89
	s_cbranch_execnz .LBB240_1040
.LBB240_1519:
	s_or_b32 exec_lo, exec_lo, s38
	s_and_saveexec_b32 s38, s90
	s_cbranch_execz .LBB240_1041
.LBB240_1520:
	v_mov_b32_e32 v112, 0xcccd
	v_mul_u32_u24_sdwa v113, v80, v112 dst_sel:DWORD dst_unused:UNUSED_PAD src0_sel:WORD_0 src1_sel:DWORD
	v_mul_u32_u24_sdwa v112, v81, v112 dst_sel:DWORD dst_unused:UNUSED_PAD src0_sel:WORD_0 src1_sel:DWORD
	v_lshrrev_b32_e32 v113, 19, v113
	v_lshrrev_b32_e32 v112, 19, v112
	v_cmp_lt_u16_e64 s35, v113, v112
	v_cndmask_b32_e64 v112, v80, v81, s35
	v_cndmask_b32_e64 v81, v81, v80, s35
	v_mov_b32_e32 v80, v112
	s_or_b32 exec_lo, exec_lo, s38
	s_and_saveexec_b32 s38, s91
	s_cbranch_execnz .LBB240_1042
.LBB240_1521:
	s_or_b32 exec_lo, exec_lo, s38
	s_and_saveexec_b32 s38, s92
	s_cbranch_execz .LBB240_1043
.LBB240_1522:
	v_mov_b32_e32 v112, 0xcccd
	v_mul_u32_u24_sdwa v113, v68, v112 dst_sel:DWORD dst_unused:UNUSED_PAD src0_sel:WORD_0 src1_sel:DWORD
	v_mul_u32_u24_sdwa v112, v69, v112 dst_sel:DWORD dst_unused:UNUSED_PAD src0_sel:WORD_0 src1_sel:DWORD
	v_lshrrev_b32_e32 v113, 19, v113
	v_lshrrev_b32_e32 v112, 19, v112
	v_cmp_lt_u16_e64 s35, v113, v112
	v_cndmask_b32_e64 v112, v68, v69, s35
	v_cndmask_b32_e64 v69, v69, v68, s35
	v_mov_b32_e32 v68, v112
	s_or_b32 exec_lo, exec_lo, s38
	s_and_saveexec_b32 s38, s93
	s_cbranch_execnz .LBB240_1044
.LBB240_1523:
	s_or_b32 exec_lo, exec_lo, s38
	s_and_saveexec_b32 s38, s94
	s_cbranch_execz .LBB240_1045
.LBB240_1524:
	v_mov_b32_e32 v112, 0xcccd
	v_mul_u32_u24_sdwa v113, v64, v112 dst_sel:DWORD dst_unused:UNUSED_PAD src0_sel:WORD_0 src1_sel:DWORD
	v_mul_u32_u24_sdwa v112, v65, v112 dst_sel:DWORD dst_unused:UNUSED_PAD src0_sel:WORD_0 src1_sel:DWORD
	v_lshrrev_b32_e32 v113, 19, v113
	v_lshrrev_b32_e32 v112, 19, v112
	v_cmp_lt_u16_e64 s35, v113, v112
	v_cndmask_b32_e64 v112, v64, v65, s35
	v_cndmask_b32_e64 v65, v65, v64, s35
	v_mov_b32_e32 v64, v112
	s_or_b32 exec_lo, exec_lo, s38
	s_and_saveexec_b32 s38, s95
	s_cbranch_execnz .LBB240_1046
.LBB240_1525:
	s_or_b32 exec_lo, exec_lo, s38
	s_and_saveexec_b32 s38, vcc_hi
	s_cbranch_execz .LBB240_1047
.LBB240_1526:
	v_mov_b32_e32 v112, 0xcccd
	v_mul_u32_u24_sdwa v113, v51, v112 dst_sel:DWORD dst_unused:UNUSED_PAD src0_sel:WORD_0 src1_sel:DWORD
	v_mul_u32_u24_sdwa v112, v52, v112 dst_sel:DWORD dst_unused:UNUSED_PAD src0_sel:WORD_0 src1_sel:DWORD
	v_lshrrev_b32_e32 v113, 19, v113
	v_lshrrev_b32_e32 v112, 19, v112
	v_cmp_lt_u16_e64 s35, v113, v112
	v_cndmask_b32_e64 v112, v51, v52, s35
	v_cndmask_b32_e64 v52, v52, v51, s35
	v_mov_b32_e32 v51, v112
	s_or_b32 exec_lo, exec_lo, s38
	s_and_saveexec_b32 s38, s30
	s_cbranch_execnz .LBB240_1048
.LBB240_1527:
	s_or_b32 exec_lo, exec_lo, s38
	s_and_saveexec_b32 s38, s31
	s_cbranch_execz .LBB240_1049
.LBB240_1528:
	v_mov_b32_e32 v112, 0xcccd
	v_mul_u32_u24_sdwa v113, v48, v112 dst_sel:DWORD dst_unused:UNUSED_PAD src0_sel:WORD_0 src1_sel:DWORD
	v_mul_u32_u24_sdwa v112, v49, v112 dst_sel:DWORD dst_unused:UNUSED_PAD src0_sel:WORD_0 src1_sel:DWORD
	v_lshrrev_b32_e32 v113, 19, v113
	v_lshrrev_b32_e32 v112, 19, v112
	v_cmp_lt_u16_e64 s35, v113, v112
	v_cndmask_b32_e64 v112, v49, v48, s35
	v_cndmask_b32_e64 v48, v48, v49, s35
	v_mov_b32_e32 v49, v112
	s_or_b32 exec_lo, exec_lo, s38
	s_and_saveexec_b32 s38, s34
	s_cbranch_execnz .LBB240_1050
.LBB240_1529:
	s_or_b32 exec_lo, exec_lo, s38
	s_and_saveexec_b32 s38, s8
	s_cbranch_execz .LBB240_1051
.LBB240_1530:
	v_mov_b32_e32 v112, 0xcccd
	v_mul_u32_u24_sdwa v113, v100, v112 dst_sel:DWORD dst_unused:UNUSED_PAD src0_sel:WORD_0 src1_sel:DWORD
	v_mul_u32_u24_sdwa v112, v97, v112 dst_sel:DWORD dst_unused:UNUSED_PAD src0_sel:WORD_0 src1_sel:DWORD
	v_lshrrev_b32_e32 v113, 19, v113
	v_lshrrev_b32_e32 v112, 19, v112
	v_cmp_lt_u16_e64 s35, v113, v112
	v_cndmask_b32_e64 v112, v100, v97, s35
	v_cndmask_b32_e64 v97, v97, v100, s35
	v_mov_b32_e32 v100, v112
	s_or_b32 exec_lo, exec_lo, s38
	s_and_saveexec_b32 s38, s9
	s_cbranch_execnz .LBB240_1052
.LBB240_1531:
	s_or_b32 exec_lo, exec_lo, s38
	s_and_saveexec_b32 s38, s12
	s_cbranch_execz .LBB240_1053
.LBB240_1532:
	v_mov_b32_e32 v112, 0xcccd
	v_mul_u32_u24_sdwa v113, v87, v112 dst_sel:DWORD dst_unused:UNUSED_PAD src0_sel:WORD_0 src1_sel:DWORD
	v_mul_u32_u24_sdwa v112, v96, v112 dst_sel:DWORD dst_unused:UNUSED_PAD src0_sel:WORD_0 src1_sel:DWORD
	v_lshrrev_b32_e32 v113, 19, v113
	v_lshrrev_b32_e32 v112, 19, v112
	v_cmp_lt_u16_e64 s35, v113, v112
	v_cndmask_b32_e64 v112, v87, v96, s35
	v_cndmask_b32_e64 v96, v96, v87, s35
	v_mov_b32_e32 v87, v112
	s_or_b32 exec_lo, exec_lo, s38
	s_and_saveexec_b32 s38, s13
	s_cbranch_execnz .LBB240_1054
.LBB240_1533:
	s_or_b32 exec_lo, exec_lo, s38
	s_and_saveexec_b32 s38, s57
	s_cbranch_execz .LBB240_1055
.LBB240_1534:
	v_mov_b32_e32 v112, 0xcccd
	v_mul_u32_u24_sdwa v113, v83, v112 dst_sel:DWORD dst_unused:UNUSED_PAD src0_sel:WORD_0 src1_sel:DWORD
	v_mul_u32_u24_sdwa v112, v84, v112 dst_sel:DWORD dst_unused:UNUSED_PAD src0_sel:WORD_0 src1_sel:DWORD
	v_lshrrev_b32_e32 v113, 19, v113
	v_lshrrev_b32_e32 v112, 19, v112
	v_cmp_lt_u16_e64 s35, v113, v112
	v_cndmask_b32_e64 v112, v83, v84, s35
	v_cndmask_b32_e64 v84, v84, v83, s35
	v_mov_b32_e32 v83, v112
	s_or_b32 exec_lo, exec_lo, s38
	s_and_saveexec_b32 s38, s58
	s_cbranch_execnz .LBB240_1056
.LBB240_1535:
	s_or_b32 exec_lo, exec_lo, s38
	s_and_saveexec_b32 s38, s59
	s_cbranch_execz .LBB240_1057
.LBB240_1536:
	v_mov_b32_e32 v112, 0xcccd
	v_mul_u32_u24_sdwa v113, v71, v112 dst_sel:DWORD dst_unused:UNUSED_PAD src0_sel:WORD_0 src1_sel:DWORD
	v_mul_u32_u24_sdwa v112, v80, v112 dst_sel:DWORD dst_unused:UNUSED_PAD src0_sel:WORD_0 src1_sel:DWORD
	v_lshrrev_b32_e32 v113, 19, v113
	v_lshrrev_b32_e32 v112, 19, v112
	v_cmp_lt_u16_e64 s35, v113, v112
	v_cndmask_b32_e64 v112, v71, v80, s35
	v_cndmask_b32_e64 v80, v80, v71, s35
	v_mov_b32_e32 v71, v112
	s_or_b32 exec_lo, exec_lo, s38
	s_and_saveexec_b32 s38, s60
	s_cbranch_execnz .LBB240_1058
.LBB240_1537:
	s_or_b32 exec_lo, exec_lo, s38
	s_and_saveexec_b32 s38, s61
	s_cbranch_execz .LBB240_1059
.LBB240_1538:
	v_mov_b32_e32 v112, 0xcccd
	v_mul_u32_u24_sdwa v113, v67, v112 dst_sel:DWORD dst_unused:UNUSED_PAD src0_sel:WORD_0 src1_sel:DWORD
	v_mul_u32_u24_sdwa v112, v68, v112 dst_sel:DWORD dst_unused:UNUSED_PAD src0_sel:WORD_0 src1_sel:DWORD
	v_lshrrev_b32_e32 v113, 19, v113
	v_lshrrev_b32_e32 v112, 19, v112
	v_cmp_lt_u16_e64 s35, v113, v112
	v_cndmask_b32_e64 v112, v67, v68, s35
	v_cndmask_b32_e64 v68, v68, v67, s35
	v_mov_b32_e32 v67, v112
	s_or_b32 exec_lo, exec_lo, s38
	s_and_saveexec_b32 s38, s62
	s_cbranch_execnz .LBB240_1060
.LBB240_1539:
	s_or_b32 exec_lo, exec_lo, s38
	s_and_saveexec_b32 s38, s63
	s_cbranch_execz .LBB240_1061
.LBB240_1540:
	v_mov_b32_e32 v112, 0xcccd
	v_mul_u32_u24_sdwa v113, v55, v112 dst_sel:DWORD dst_unused:UNUSED_PAD src0_sel:WORD_0 src1_sel:DWORD
	v_mul_u32_u24_sdwa v112, v64, v112 dst_sel:DWORD dst_unused:UNUSED_PAD src0_sel:WORD_0 src1_sel:DWORD
	v_lshrrev_b32_e32 v113, 19, v113
	v_lshrrev_b32_e32 v112, 19, v112
	v_cmp_lt_u16_e64 s35, v113, v112
	v_cndmask_b32_e64 v112, v55, v64, s35
	v_cndmask_b32_e64 v64, v64, v55, s35
	v_mov_b32_e32 v55, v112
	s_or_b32 exec_lo, exec_lo, s38
	s_and_saveexec_b32 s38, s72
	s_cbranch_execnz .LBB240_1062
.LBB240_1541:
	s_or_b32 exec_lo, exec_lo, s38
	s_and_saveexec_b32 s38, s73
	s_cbranch_execz .LBB240_1063
.LBB240_1542:
	v_mov_b32_e32 v112, 0xcccd
	v_mul_u32_u24_sdwa v113, v54, v112 dst_sel:DWORD dst_unused:UNUSED_PAD src0_sel:WORD_0 src1_sel:DWORD
	v_mul_u32_u24_sdwa v112, v51, v112 dst_sel:DWORD dst_unused:UNUSED_PAD src0_sel:WORD_0 src1_sel:DWORD
	v_lshrrev_b32_e32 v113, 19, v113
	v_lshrrev_b32_e32 v112, 19, v112
	v_cmp_lt_u16_e64 s35, v113, v112
	v_cndmask_b32_e64 v112, v54, v51, s35
	v_cndmask_b32_e64 v51, v51, v54, s35
	v_mov_b32_e32 v54, v112
	s_or_b32 exec_lo, exec_lo, s38
	s_and_saveexec_b32 s38, s74
	s_cbranch_execnz .LBB240_1064
.LBB240_1543:
	s_or_b32 exec_lo, exec_lo, s38
	s_and_saveexec_b32 s38, s75
	s_cbranch_execz .LBB240_1065
.LBB240_1544:
	v_mov_b32_e32 v112, 0xcccd
	v_mul_u32_u24_sdwa v113, v39, v112 dst_sel:DWORD dst_unused:UNUSED_PAD src0_sel:WORD_0 src1_sel:DWORD
	v_mul_u32_u24_sdwa v112, v48, v112 dst_sel:DWORD dst_unused:UNUSED_PAD src0_sel:WORD_0 src1_sel:DWORD
	v_lshrrev_b32_e32 v113, 19, v113
	v_lshrrev_b32_e32 v112, 19, v112
	v_cmp_lt_u16_e64 s35, v113, v112
	v_cndmask_b32_e64 v112, v48, v39, s35
	v_cndmask_b32_e64 v39, v39, v48, s35
	v_mov_b32_e32 v48, v112
	s_or_b32 exec_lo, exec_lo, s38
	s_and_saveexec_b32 s38, s76
	s_cbranch_execnz .LBB240_1066
.LBB240_1545:
	s_or_b32 exec_lo, exec_lo, s38
	s_and_saveexec_b32 s38, s77
	s_cbranch_execz .LBB240_1067
.LBB240_1546:
	v_mov_b32_e32 v112, 0xcccd
	v_mul_u32_u24_sdwa v113, v99, v112 dst_sel:DWORD dst_unused:UNUSED_PAD src0_sel:WORD_0 src1_sel:DWORD
	v_mul_u32_u24_sdwa v112, v100, v112 dst_sel:DWORD dst_unused:UNUSED_PAD src0_sel:WORD_0 src1_sel:DWORD
	v_lshrrev_b32_e32 v113, 19, v113
	v_lshrrev_b32_e32 v112, 19, v112
	v_cmp_lt_u16_e64 s35, v113, v112
	v_cndmask_b32_e64 v112, v99, v100, s35
	v_cndmask_b32_e64 v100, v100, v99, s35
	v_mov_b32_e32 v99, v112
	s_or_b32 exec_lo, exec_lo, s38
	s_and_saveexec_b32 s38, s78
	s_cbranch_execnz .LBB240_1068
.LBB240_1547:
	s_or_b32 exec_lo, exec_lo, s38
	s_and_saveexec_b32 s38, s79
	s_cbranch_execz .LBB240_1069
.LBB240_1548:
	v_mov_b32_e32 v112, 0xcccd
	v_mul_u32_u24_sdwa v113, v86, v112 dst_sel:DWORD dst_unused:UNUSED_PAD src0_sel:WORD_0 src1_sel:DWORD
	v_mul_u32_u24_sdwa v112, v87, v112 dst_sel:DWORD dst_unused:UNUSED_PAD src0_sel:WORD_0 src1_sel:DWORD
	v_lshrrev_b32_e32 v113, 19, v113
	v_lshrrev_b32_e32 v112, 19, v112
	v_cmp_lt_u16_e64 s35, v113, v112
	v_cndmask_b32_e64 v112, v86, v87, s35
	v_cndmask_b32_e64 v87, v87, v86, s35
	v_mov_b32_e32 v86, v112
	s_or_b32 exec_lo, exec_lo, s38
	s_and_saveexec_b32 s38, s88
	s_cbranch_execnz .LBB240_1070
.LBB240_1549:
	s_or_b32 exec_lo, exec_lo, s38
	s_and_saveexec_b32 s38, s89
	s_cbranch_execz .LBB240_1071
.LBB240_1550:
	v_mov_b32_e32 v112, 0xcccd
	v_mul_u32_u24_sdwa v113, v82, v112 dst_sel:DWORD dst_unused:UNUSED_PAD src0_sel:WORD_0 src1_sel:DWORD
	v_mul_u32_u24_sdwa v112, v83, v112 dst_sel:DWORD dst_unused:UNUSED_PAD src0_sel:WORD_0 src1_sel:DWORD
	v_lshrrev_b32_e32 v113, 19, v113
	v_lshrrev_b32_e32 v112, 19, v112
	v_cmp_lt_u16_e64 s35, v113, v112
	v_cndmask_b32_e64 v112, v82, v83, s35
	v_cndmask_b32_e64 v83, v83, v82, s35
	v_mov_b32_e32 v82, v112
	s_or_b32 exec_lo, exec_lo, s38
	s_and_saveexec_b32 s38, s90
	s_cbranch_execnz .LBB240_1072
.LBB240_1551:
	s_or_b32 exec_lo, exec_lo, s38
	s_and_saveexec_b32 s38, s91
	s_cbranch_execz .LBB240_1073
.LBB240_1552:
	v_mov_b32_e32 v112, 0xcccd
	v_mul_u32_u24_sdwa v113, v70, v112 dst_sel:DWORD dst_unused:UNUSED_PAD src0_sel:WORD_0 src1_sel:DWORD
	v_mul_u32_u24_sdwa v112, v71, v112 dst_sel:DWORD dst_unused:UNUSED_PAD src0_sel:WORD_0 src1_sel:DWORD
	v_lshrrev_b32_e32 v113, 19, v113
	v_lshrrev_b32_e32 v112, 19, v112
	v_cmp_lt_u16_e64 s35, v113, v112
	v_cndmask_b32_e64 v112, v70, v71, s35
	v_cndmask_b32_e64 v71, v71, v70, s35
	v_mov_b32_e32 v70, v112
	s_or_b32 exec_lo, exec_lo, s38
	s_and_saveexec_b32 s38, s92
	s_cbranch_execnz .LBB240_1074
.LBB240_1553:
	s_or_b32 exec_lo, exec_lo, s38
	s_and_saveexec_b32 s38, s93
	s_cbranch_execz .LBB240_1075
.LBB240_1554:
	v_mov_b32_e32 v112, 0xcccd
	v_mul_u32_u24_sdwa v113, v66, v112 dst_sel:DWORD dst_unused:UNUSED_PAD src0_sel:WORD_0 src1_sel:DWORD
	v_mul_u32_u24_sdwa v112, v67, v112 dst_sel:DWORD dst_unused:UNUSED_PAD src0_sel:WORD_0 src1_sel:DWORD
	v_lshrrev_b32_e32 v113, 19, v113
	v_lshrrev_b32_e32 v112, 19, v112
	v_cmp_lt_u16_e64 s35, v113, v112
	v_cndmask_b32_e64 v112, v66, v67, s35
	v_cndmask_b32_e64 v67, v67, v66, s35
	v_mov_b32_e32 v66, v112
	s_or_b32 exec_lo, exec_lo, s38
	s_and_saveexec_b32 s38, s94
	s_cbranch_execnz .LBB240_1076
.LBB240_1555:
	s_or_b32 exec_lo, exec_lo, s38
	s_and_saveexec_b32 s38, s95
	s_cbranch_execz .LBB240_1077
.LBB240_1556:
	v_mov_b32_e32 v112, 0xcccd
	v_mul_u32_u24_sdwa v113, v53, v112 dst_sel:DWORD dst_unused:UNUSED_PAD src0_sel:WORD_0 src1_sel:DWORD
	v_mul_u32_u24_sdwa v112, v55, v112 dst_sel:DWORD dst_unused:UNUSED_PAD src0_sel:WORD_0 src1_sel:DWORD
	v_lshrrev_b32_e32 v113, 19, v113
	v_lshrrev_b32_e32 v112, 19, v112
	v_cmp_lt_u16_e64 s35, v113, v112
	v_cndmask_b32_e64 v112, v53, v55, s35
	v_cndmask_b32_e64 v55, v55, v53, s35
	v_mov_b32_e32 v53, v112
	s_or_b32 exec_lo, exec_lo, s38
	s_and_saveexec_b32 s38, vcc_hi
	s_cbranch_execnz .LBB240_1078
.LBB240_1557:
	s_or_b32 exec_lo, exec_lo, s38
	s_and_saveexec_b32 s38, s30
	s_cbranch_execz .LBB240_1079
.LBB240_1558:
	v_mov_b32_e32 v112, 0xcccd
	v_mul_u32_u24_sdwa v113, v50, v112 dst_sel:DWORD dst_unused:UNUSED_PAD src0_sel:WORD_0 src1_sel:DWORD
	v_mul_u32_u24_sdwa v112, v54, v112 dst_sel:DWORD dst_unused:UNUSED_PAD src0_sel:WORD_0 src1_sel:DWORD
	v_lshrrev_b32_e32 v113, 19, v113
	v_lshrrev_b32_e32 v112, 19, v112
	v_cmp_lt_u16_e64 s35, v113, v112
	v_cndmask_b32_e64 v112, v54, v50, s35
	v_cndmask_b32_e64 v50, v50, v54, s35
	v_mov_b32_e32 v54, v112
	s_or_b32 exec_lo, exec_lo, s38
	s_and_saveexec_b32 s38, s31
	s_cbranch_execnz .LBB240_1080
.LBB240_1559:
	s_or_b32 exec_lo, exec_lo, s38
	s_and_saveexec_b32 s38, s34
	s_cbranch_execz .LBB240_1081
.LBB240_1560:
	v_mov_b32_e32 v112, 0xcccd
	v_mul_u32_u24_sdwa v113, v101, v112 dst_sel:DWORD dst_unused:UNUSED_PAD src0_sel:WORD_0 src1_sel:DWORD
	v_mul_u32_u24_sdwa v112, v39, v112 dst_sel:DWORD dst_unused:UNUSED_PAD src0_sel:WORD_0 src1_sel:DWORD
	v_lshrrev_b32_e32 v113, 19, v113
	v_lshrrev_b32_e32 v112, 19, v112
	v_cmp_lt_u16_e64 s35, v113, v112
	v_cndmask_b32_e64 v112, v39, v101, s35
	v_cndmask_b32_e64 v101, v101, v39, s35
	v_mov_b32_e32 v39, v112
	s_or_b32 exec_lo, exec_lo, s38
	s_and_saveexec_b32 s38, s8
	s_cbranch_execnz .LBB240_1082
.LBB240_1561:
	s_or_b32 exec_lo, exec_lo, s38
	s_and_saveexec_b32 s38, s9
	s_cbranch_execz .LBB240_1083
.LBB240_1562:
	v_mov_b32_e32 v112, 0xcccd
	v_mul_u32_u24_sdwa v113, v98, v112 dst_sel:DWORD dst_unused:UNUSED_PAD src0_sel:WORD_0 src1_sel:DWORD
	v_mul_u32_u24_sdwa v112, v99, v112 dst_sel:DWORD dst_unused:UNUSED_PAD src0_sel:WORD_0 src1_sel:DWORD
	v_lshrrev_b32_e32 v113, 19, v113
	v_lshrrev_b32_e32 v112, 19, v112
	v_cmp_lt_u16_e64 s35, v113, v112
	v_cndmask_b32_e64 v112, v98, v99, s35
	v_cndmask_b32_e64 v99, v99, v98, s35
	v_mov_b32_e32 v98, v112
	s_or_b32 exec_lo, exec_lo, s38
	s_and_saveexec_b32 s38, s12
	s_cbranch_execnz .LBB240_1084
.LBB240_1563:
	s_or_b32 exec_lo, exec_lo, s38
	s_and_saveexec_b32 s38, s13
	s_cbranch_execz .LBB240_1085
.LBB240_1564:
	v_mov_b32_e32 v112, 0xcccd
	v_mul_u32_u24_sdwa v113, v85, v112 dst_sel:DWORD dst_unused:UNUSED_PAD src0_sel:WORD_0 src1_sel:DWORD
	v_mul_u32_u24_sdwa v112, v86, v112 dst_sel:DWORD dst_unused:UNUSED_PAD src0_sel:WORD_0 src1_sel:DWORD
	v_lshrrev_b32_e32 v113, 19, v113
	v_lshrrev_b32_e32 v112, 19, v112
	v_cmp_lt_u16_e64 s35, v113, v112
	v_cndmask_b32_e64 v112, v85, v86, s35
	v_cndmask_b32_e64 v86, v86, v85, s35
	v_mov_b32_e32 v85, v112
	s_or_b32 exec_lo, exec_lo, s38
	s_and_saveexec_b32 s38, s57
	s_cbranch_execnz .LBB240_1086
.LBB240_1565:
	s_or_b32 exec_lo, exec_lo, s38
	s_and_saveexec_b32 s38, s58
	s_cbranch_execz .LBB240_1087
.LBB240_1566:
	v_mov_b32_e32 v112, 0xcccd
	v_mul_u32_u24_sdwa v113, v81, v112 dst_sel:DWORD dst_unused:UNUSED_PAD src0_sel:WORD_0 src1_sel:DWORD
	v_mul_u32_u24_sdwa v112, v82, v112 dst_sel:DWORD dst_unused:UNUSED_PAD src0_sel:WORD_0 src1_sel:DWORD
	v_lshrrev_b32_e32 v113, 19, v113
	v_lshrrev_b32_e32 v112, 19, v112
	v_cmp_lt_u16_e64 s35, v113, v112
	v_cndmask_b32_e64 v112, v81, v82, s35
	v_cndmask_b32_e64 v82, v82, v81, s35
	v_mov_b32_e32 v81, v112
	s_or_b32 exec_lo, exec_lo, s38
	s_and_saveexec_b32 s38, s59
	s_cbranch_execnz .LBB240_1088
.LBB240_1567:
	s_or_b32 exec_lo, exec_lo, s38
	s_and_saveexec_b32 s38, s60
	s_cbranch_execz .LBB240_1089
.LBB240_1568:
	v_mov_b32_e32 v112, 0xcccd
	v_mul_u32_u24_sdwa v113, v69, v112 dst_sel:DWORD dst_unused:UNUSED_PAD src0_sel:WORD_0 src1_sel:DWORD
	v_mul_u32_u24_sdwa v112, v70, v112 dst_sel:DWORD dst_unused:UNUSED_PAD src0_sel:WORD_0 src1_sel:DWORD
	v_lshrrev_b32_e32 v113, 19, v113
	v_lshrrev_b32_e32 v112, 19, v112
	v_cmp_lt_u16_e64 s35, v113, v112
	v_cndmask_b32_e64 v112, v69, v70, s35
	v_cndmask_b32_e64 v70, v70, v69, s35
	v_mov_b32_e32 v69, v112
	s_or_b32 exec_lo, exec_lo, s38
	s_and_saveexec_b32 s38, s61
	s_cbranch_execnz .LBB240_1090
.LBB240_1569:
	s_or_b32 exec_lo, exec_lo, s38
	s_and_saveexec_b32 s38, s62
	s_cbranch_execz .LBB240_1091
.LBB240_1570:
	v_mov_b32_e32 v112, 0xcccd
	v_mul_u32_u24_sdwa v113, v65, v112 dst_sel:DWORD dst_unused:UNUSED_PAD src0_sel:WORD_0 src1_sel:DWORD
	v_mul_u32_u24_sdwa v112, v66, v112 dst_sel:DWORD dst_unused:UNUSED_PAD src0_sel:WORD_0 src1_sel:DWORD
	v_lshrrev_b32_e32 v113, 19, v113
	v_lshrrev_b32_e32 v112, 19, v112
	v_cmp_lt_u16_e64 s35, v113, v112
	v_cndmask_b32_e64 v112, v65, v66, s35
	v_cndmask_b32_e64 v66, v66, v65, s35
	v_mov_b32_e32 v65, v112
	s_or_b32 exec_lo, exec_lo, s38
	s_and_saveexec_b32 s38, s63
	s_cbranch_execnz .LBB240_1092
.LBB240_1571:
	s_or_b32 exec_lo, exec_lo, s38
	s_and_saveexec_b32 s38, s72
	s_cbranch_execz .LBB240_1093
.LBB240_1572:
	v_mov_b32_e32 v112, 0xcccd
	v_mul_u32_u24_sdwa v113, v52, v112 dst_sel:DWORD dst_unused:UNUSED_PAD src0_sel:WORD_0 src1_sel:DWORD
	v_mul_u32_u24_sdwa v112, v53, v112 dst_sel:DWORD dst_unused:UNUSED_PAD src0_sel:WORD_0 src1_sel:DWORD
	v_lshrrev_b32_e32 v113, 19, v113
	v_lshrrev_b32_e32 v112, 19, v112
	v_cmp_lt_u16_e64 s35, v113, v112
	v_cndmask_b32_e64 v112, v52, v53, s35
	v_cndmask_b32_e64 v53, v53, v52, s35
	v_mov_b32_e32 v52, v112
	s_or_b32 exec_lo, exec_lo, s38
	s_and_saveexec_b32 s38, s73
	s_cbranch_execnz .LBB240_1094
.LBB240_1573:
	s_or_b32 exec_lo, exec_lo, s38
	s_and_saveexec_b32 s38, s74
	s_cbranch_execz .LBB240_1095
.LBB240_1574:
	v_mov_b32_e32 v112, 0xcccd
	v_mul_u32_u24_sdwa v113, v49, v112 dst_sel:DWORD dst_unused:UNUSED_PAD src0_sel:WORD_0 src1_sel:DWORD
	v_mul_u32_u24_sdwa v112, v50, v112 dst_sel:DWORD dst_unused:UNUSED_PAD src0_sel:WORD_0 src1_sel:DWORD
	v_lshrrev_b32_e32 v113, 19, v113
	v_lshrrev_b32_e32 v112, 19, v112
	v_cmp_lt_u16_e64 s35, v113, v112
	v_cndmask_b32_e64 v112, v50, v49, s35
	v_cndmask_b32_e64 v49, v49, v50, s35
	v_mov_b32_e32 v50, v112
	s_or_b32 exec_lo, exec_lo, s38
	s_and_saveexec_b32 s38, s75
	s_cbranch_execnz .LBB240_1096
.LBB240_1575:
	s_or_b32 exec_lo, exec_lo, s38
	s_and_saveexec_b32 s38, s76
	s_cbranch_execz .LBB240_1097
.LBB240_1576:
	v_mov_b32_e32 v112, 0xcccd
	v_mul_u32_u24_sdwa v113, v38, v112 dst_sel:DWORD dst_unused:UNUSED_PAD src0_sel:WORD_0 src1_sel:DWORD
	v_mul_u32_u24_sdwa v112, v101, v112 dst_sel:DWORD dst_unused:UNUSED_PAD src0_sel:WORD_0 src1_sel:DWORD
	v_lshrrev_b32_e32 v113, 19, v113
	v_lshrrev_b32_e32 v112, 19, v112
	v_cmp_lt_u16_e64 s35, v113, v112
	v_cndmask_b32_e64 v112, v101, v38, s35
	v_cndmask_b32_e64 v38, v38, v101, s35
	v_mov_b32_e32 v101, v112
	s_or_b32 exec_lo, exec_lo, s38
	s_and_saveexec_b32 s38, s77
	s_cbranch_execnz .LBB240_1098
.LBB240_1577:
	s_or_b32 exec_lo, exec_lo, s38
	s_and_saveexec_b32 s38, s78
	s_cbranch_execz .LBB240_1099
.LBB240_1578:
	v_mov_b32_e32 v112, 0xcccd
	v_mul_u32_u24_sdwa v113, v96, v112 dst_sel:DWORD dst_unused:UNUSED_PAD src0_sel:WORD_0 src1_sel:DWORD
	v_mul_u32_u24_sdwa v112, v98, v112 dst_sel:DWORD dst_unused:UNUSED_PAD src0_sel:WORD_0 src1_sel:DWORD
	v_lshrrev_b32_e32 v113, 19, v113
	v_lshrrev_b32_e32 v112, 19, v112
	v_cmp_lt_u16_e64 s35, v113, v112
	v_cndmask_b32_e64 v112, v96, v98, s35
	v_cndmask_b32_e64 v98, v98, v96, s35
	v_mov_b32_e32 v96, v112
	s_or_b32 exec_lo, exec_lo, s38
	s_and_saveexec_b32 s38, s79
	s_cbranch_execnz .LBB240_1100
.LBB240_1579:
	s_or_b32 exec_lo, exec_lo, s38
	s_and_saveexec_b32 s38, s88
	s_cbranch_execz .LBB240_1101
.LBB240_1580:
	v_mov_b32_e32 v112, 0xcccd
	v_mul_u32_u24_sdwa v113, v84, v112 dst_sel:DWORD dst_unused:UNUSED_PAD src0_sel:WORD_0 src1_sel:DWORD
	v_mul_u32_u24_sdwa v112, v85, v112 dst_sel:DWORD dst_unused:UNUSED_PAD src0_sel:WORD_0 src1_sel:DWORD
	v_lshrrev_b32_e32 v113, 19, v113
	v_lshrrev_b32_e32 v112, 19, v112
	v_cmp_lt_u16_e64 s35, v113, v112
	v_cndmask_b32_e64 v112, v84, v85, s35
	v_cndmask_b32_e64 v85, v85, v84, s35
	v_mov_b32_e32 v84, v112
	s_or_b32 exec_lo, exec_lo, s38
	s_and_saveexec_b32 s38, s89
	s_cbranch_execnz .LBB240_1102
.LBB240_1581:
	s_or_b32 exec_lo, exec_lo, s38
	s_and_saveexec_b32 s38, s90
	s_cbranch_execz .LBB240_1103
.LBB240_1582:
	v_mov_b32_e32 v112, 0xcccd
	v_mul_u32_u24_sdwa v113, v80, v112 dst_sel:DWORD dst_unused:UNUSED_PAD src0_sel:WORD_0 src1_sel:DWORD
	v_mul_u32_u24_sdwa v112, v81, v112 dst_sel:DWORD dst_unused:UNUSED_PAD src0_sel:WORD_0 src1_sel:DWORD
	v_lshrrev_b32_e32 v113, 19, v113
	v_lshrrev_b32_e32 v112, 19, v112
	v_cmp_lt_u16_e64 s35, v113, v112
	v_cndmask_b32_e64 v112, v80, v81, s35
	v_cndmask_b32_e64 v81, v81, v80, s35
	v_mov_b32_e32 v80, v112
	s_or_b32 exec_lo, exec_lo, s38
	s_and_saveexec_b32 s38, s91
	s_cbranch_execnz .LBB240_1104
.LBB240_1583:
	s_or_b32 exec_lo, exec_lo, s38
	s_and_saveexec_b32 s38, s92
	s_cbranch_execz .LBB240_1105
.LBB240_1584:
	v_mov_b32_e32 v112, 0xcccd
	v_mul_u32_u24_sdwa v113, v68, v112 dst_sel:DWORD dst_unused:UNUSED_PAD src0_sel:WORD_0 src1_sel:DWORD
	v_mul_u32_u24_sdwa v112, v69, v112 dst_sel:DWORD dst_unused:UNUSED_PAD src0_sel:WORD_0 src1_sel:DWORD
	v_lshrrev_b32_e32 v113, 19, v113
	v_lshrrev_b32_e32 v112, 19, v112
	v_cmp_lt_u16_e64 s35, v113, v112
	v_cndmask_b32_e64 v112, v68, v69, s35
	v_cndmask_b32_e64 v69, v69, v68, s35
	v_mov_b32_e32 v68, v112
	s_or_b32 exec_lo, exec_lo, s38
	s_and_saveexec_b32 s38, s93
	s_cbranch_execnz .LBB240_1106
.LBB240_1585:
	s_or_b32 exec_lo, exec_lo, s38
	s_and_saveexec_b32 s38, s94
	s_cbranch_execz .LBB240_1107
.LBB240_1586:
	v_mov_b32_e32 v112, 0xcccd
	v_mul_u32_u24_sdwa v113, v64, v112 dst_sel:DWORD dst_unused:UNUSED_PAD src0_sel:WORD_0 src1_sel:DWORD
	v_mul_u32_u24_sdwa v112, v65, v112 dst_sel:DWORD dst_unused:UNUSED_PAD src0_sel:WORD_0 src1_sel:DWORD
	v_lshrrev_b32_e32 v113, 19, v113
	v_lshrrev_b32_e32 v112, 19, v112
	v_cmp_lt_u16_e64 s35, v113, v112
	v_cndmask_b32_e64 v112, v64, v65, s35
	v_cndmask_b32_e64 v65, v65, v64, s35
	v_mov_b32_e32 v64, v112
	s_or_b32 exec_lo, exec_lo, s38
	s_and_saveexec_b32 s38, s95
	s_cbranch_execnz .LBB240_1108
.LBB240_1587:
	s_or_b32 exec_lo, exec_lo, s38
	s_and_saveexec_b32 s38, vcc_hi
	s_cbranch_execz .LBB240_1109
.LBB240_1588:
	v_mov_b32_e32 v112, 0xcccd
	v_mul_u32_u24_sdwa v113, v51, v112 dst_sel:DWORD dst_unused:UNUSED_PAD src0_sel:WORD_0 src1_sel:DWORD
	v_mul_u32_u24_sdwa v112, v52, v112 dst_sel:DWORD dst_unused:UNUSED_PAD src0_sel:WORD_0 src1_sel:DWORD
	v_lshrrev_b32_e32 v113, 19, v113
	v_lshrrev_b32_e32 v112, 19, v112
	v_cmp_lt_u16_e64 s35, v113, v112
	v_cndmask_b32_e64 v112, v51, v52, s35
	v_cndmask_b32_e64 v52, v52, v51, s35
	v_mov_b32_e32 v51, v112
	s_or_b32 exec_lo, exec_lo, s38
	s_and_saveexec_b32 s38, s30
	s_cbranch_execnz .LBB240_1110
.LBB240_1589:
	s_or_b32 exec_lo, exec_lo, s38
	s_and_saveexec_b32 s38, s31
	s_cbranch_execz .LBB240_1111
.LBB240_1590:
	v_mov_b32_e32 v112, 0xcccd
	v_mul_u32_u24_sdwa v113, v48, v112 dst_sel:DWORD dst_unused:UNUSED_PAD src0_sel:WORD_0 src1_sel:DWORD
	v_mul_u32_u24_sdwa v112, v49, v112 dst_sel:DWORD dst_unused:UNUSED_PAD src0_sel:WORD_0 src1_sel:DWORD
	v_lshrrev_b32_e32 v113, 19, v113
	v_lshrrev_b32_e32 v112, 19, v112
	v_cmp_lt_u16_e64 s35, v113, v112
	v_cndmask_b32_e64 v112, v49, v48, s35
	v_cndmask_b32_e64 v48, v48, v49, s35
	v_mov_b32_e32 v49, v112
	s_or_b32 exec_lo, exec_lo, s38
	s_and_saveexec_b32 s38, s34
	s_cbranch_execnz .LBB240_1112
.LBB240_1591:
	s_or_b32 exec_lo, exec_lo, s38
	s_and_saveexec_b32 s38, s8
	s_cbranch_execz .LBB240_1113
.LBB240_1592:
	v_mov_b32_e32 v112, 0xcccd
	v_mul_u32_u24_sdwa v113, v100, v112 dst_sel:DWORD dst_unused:UNUSED_PAD src0_sel:WORD_0 src1_sel:DWORD
	v_mul_u32_u24_sdwa v112, v97, v112 dst_sel:DWORD dst_unused:UNUSED_PAD src0_sel:WORD_0 src1_sel:DWORD
	v_lshrrev_b32_e32 v113, 19, v113
	v_lshrrev_b32_e32 v112, 19, v112
	v_cmp_lt_u16_e64 s35, v113, v112
	v_cndmask_b32_e64 v112, v100, v97, s35
	v_cndmask_b32_e64 v97, v97, v100, s35
	v_mov_b32_e32 v100, v112
	s_or_b32 exec_lo, exec_lo, s38
	s_and_saveexec_b32 s38, s9
	s_cbranch_execnz .LBB240_1114
.LBB240_1593:
	s_or_b32 exec_lo, exec_lo, s38
	s_and_saveexec_b32 s38, s12
	s_cbranch_execz .LBB240_1115
.LBB240_1594:
	v_mov_b32_e32 v112, 0xcccd
	v_mul_u32_u24_sdwa v113, v87, v112 dst_sel:DWORD dst_unused:UNUSED_PAD src0_sel:WORD_0 src1_sel:DWORD
	v_mul_u32_u24_sdwa v112, v96, v112 dst_sel:DWORD dst_unused:UNUSED_PAD src0_sel:WORD_0 src1_sel:DWORD
	v_lshrrev_b32_e32 v113, 19, v113
	v_lshrrev_b32_e32 v112, 19, v112
	v_cmp_lt_u16_e64 s35, v113, v112
	v_cndmask_b32_e64 v112, v87, v96, s35
	v_cndmask_b32_e64 v96, v96, v87, s35
	v_mov_b32_e32 v87, v112
	s_or_b32 exec_lo, exec_lo, s38
	s_and_saveexec_b32 s38, s13
	s_cbranch_execnz .LBB240_1116
.LBB240_1595:
	s_or_b32 exec_lo, exec_lo, s38
	s_and_saveexec_b32 s38, s57
	s_cbranch_execz .LBB240_1117
.LBB240_1596:
	v_mov_b32_e32 v112, 0xcccd
	v_mul_u32_u24_sdwa v113, v83, v112 dst_sel:DWORD dst_unused:UNUSED_PAD src0_sel:WORD_0 src1_sel:DWORD
	v_mul_u32_u24_sdwa v112, v84, v112 dst_sel:DWORD dst_unused:UNUSED_PAD src0_sel:WORD_0 src1_sel:DWORD
	v_lshrrev_b32_e32 v113, 19, v113
	v_lshrrev_b32_e32 v112, 19, v112
	v_cmp_lt_u16_e64 s35, v113, v112
	v_cndmask_b32_e64 v112, v83, v84, s35
	v_cndmask_b32_e64 v84, v84, v83, s35
	v_mov_b32_e32 v83, v112
	s_or_b32 exec_lo, exec_lo, s38
	s_and_saveexec_b32 s38, s58
	s_cbranch_execnz .LBB240_1118
.LBB240_1597:
	s_or_b32 exec_lo, exec_lo, s38
	s_and_saveexec_b32 s38, s59
	s_cbranch_execz .LBB240_1119
.LBB240_1598:
	v_mov_b32_e32 v112, 0xcccd
	v_mul_u32_u24_sdwa v113, v71, v112 dst_sel:DWORD dst_unused:UNUSED_PAD src0_sel:WORD_0 src1_sel:DWORD
	v_mul_u32_u24_sdwa v112, v80, v112 dst_sel:DWORD dst_unused:UNUSED_PAD src0_sel:WORD_0 src1_sel:DWORD
	v_lshrrev_b32_e32 v113, 19, v113
	v_lshrrev_b32_e32 v112, 19, v112
	v_cmp_lt_u16_e64 s35, v113, v112
	v_cndmask_b32_e64 v112, v71, v80, s35
	v_cndmask_b32_e64 v80, v80, v71, s35
	v_mov_b32_e32 v71, v112
	s_or_b32 exec_lo, exec_lo, s38
	s_and_saveexec_b32 s38, s60
	s_cbranch_execnz .LBB240_1120
.LBB240_1599:
	s_or_b32 exec_lo, exec_lo, s38
	s_and_saveexec_b32 s38, s61
	s_cbranch_execz .LBB240_1121
.LBB240_1600:
	v_mov_b32_e32 v112, 0xcccd
	v_mul_u32_u24_sdwa v113, v67, v112 dst_sel:DWORD dst_unused:UNUSED_PAD src0_sel:WORD_0 src1_sel:DWORD
	v_mul_u32_u24_sdwa v112, v68, v112 dst_sel:DWORD dst_unused:UNUSED_PAD src0_sel:WORD_0 src1_sel:DWORD
	v_lshrrev_b32_e32 v113, 19, v113
	v_lshrrev_b32_e32 v112, 19, v112
	v_cmp_lt_u16_e64 s35, v113, v112
	v_cndmask_b32_e64 v112, v67, v68, s35
	v_cndmask_b32_e64 v68, v68, v67, s35
	v_mov_b32_e32 v67, v112
	s_or_b32 exec_lo, exec_lo, s38
	s_and_saveexec_b32 s38, s62
	s_cbranch_execnz .LBB240_1122
.LBB240_1601:
	s_or_b32 exec_lo, exec_lo, s38
	s_and_saveexec_b32 s38, s63
	s_cbranch_execz .LBB240_1123
.LBB240_1602:
	v_mov_b32_e32 v112, 0xcccd
	v_mul_u32_u24_sdwa v113, v55, v112 dst_sel:DWORD dst_unused:UNUSED_PAD src0_sel:WORD_0 src1_sel:DWORD
	v_mul_u32_u24_sdwa v112, v64, v112 dst_sel:DWORD dst_unused:UNUSED_PAD src0_sel:WORD_0 src1_sel:DWORD
	v_lshrrev_b32_e32 v113, 19, v113
	v_lshrrev_b32_e32 v112, 19, v112
	v_cmp_lt_u16_e64 s35, v113, v112
	v_cndmask_b32_e64 v112, v55, v64, s35
	v_cndmask_b32_e64 v64, v64, v55, s35
	v_mov_b32_e32 v55, v112
	s_or_b32 exec_lo, exec_lo, s38
	s_and_saveexec_b32 s38, s72
	s_cbranch_execnz .LBB240_1124
.LBB240_1603:
	s_or_b32 exec_lo, exec_lo, s38
	s_and_saveexec_b32 s38, s73
	s_cbranch_execz .LBB240_1125
.LBB240_1604:
	v_mov_b32_e32 v112, 0xcccd
	v_mul_u32_u24_sdwa v113, v54, v112 dst_sel:DWORD dst_unused:UNUSED_PAD src0_sel:WORD_0 src1_sel:DWORD
	v_mul_u32_u24_sdwa v112, v51, v112 dst_sel:DWORD dst_unused:UNUSED_PAD src0_sel:WORD_0 src1_sel:DWORD
	v_lshrrev_b32_e32 v113, 19, v113
	v_lshrrev_b32_e32 v112, 19, v112
	v_cmp_lt_u16_e64 s35, v113, v112
	v_cndmask_b32_e64 v112, v54, v51, s35
	v_cndmask_b32_e64 v51, v51, v54, s35
	v_mov_b32_e32 v54, v112
	s_or_b32 exec_lo, exec_lo, s38
	s_and_saveexec_b32 s38, s74
	s_cbranch_execnz .LBB240_1126
.LBB240_1605:
	s_or_b32 exec_lo, exec_lo, s38
	s_and_saveexec_b32 s38, s75
	s_cbranch_execz .LBB240_1127
.LBB240_1606:
	v_mov_b32_e32 v112, 0xcccd
	v_mul_u32_u24_sdwa v113, v39, v112 dst_sel:DWORD dst_unused:UNUSED_PAD src0_sel:WORD_0 src1_sel:DWORD
	v_mul_u32_u24_sdwa v112, v48, v112 dst_sel:DWORD dst_unused:UNUSED_PAD src0_sel:WORD_0 src1_sel:DWORD
	v_lshrrev_b32_e32 v113, 19, v113
	v_lshrrev_b32_e32 v112, 19, v112
	v_cmp_lt_u16_e64 s35, v113, v112
	v_cndmask_b32_e64 v112, v48, v39, s35
	v_cndmask_b32_e64 v39, v39, v48, s35
	v_mov_b32_e32 v48, v112
	s_or_b32 exec_lo, exec_lo, s38
	s_and_saveexec_b32 s38, s76
	s_cbranch_execnz .LBB240_1128
.LBB240_1607:
	s_or_b32 exec_lo, exec_lo, s38
	s_and_saveexec_b32 s38, s77
	s_cbranch_execz .LBB240_1129
.LBB240_1608:
	v_mov_b32_e32 v112, 0xcccd
	v_mul_u32_u24_sdwa v113, v99, v112 dst_sel:DWORD dst_unused:UNUSED_PAD src0_sel:WORD_0 src1_sel:DWORD
	v_mul_u32_u24_sdwa v112, v100, v112 dst_sel:DWORD dst_unused:UNUSED_PAD src0_sel:WORD_0 src1_sel:DWORD
	v_lshrrev_b32_e32 v113, 19, v113
	v_lshrrev_b32_e32 v112, 19, v112
	v_cmp_lt_u16_e64 s35, v113, v112
	v_cndmask_b32_e64 v112, v99, v100, s35
	v_cndmask_b32_e64 v100, v100, v99, s35
	v_mov_b32_e32 v99, v112
	s_or_b32 exec_lo, exec_lo, s38
	s_and_saveexec_b32 s38, s78
	s_cbranch_execnz .LBB240_1130
.LBB240_1609:
	s_or_b32 exec_lo, exec_lo, s38
	s_and_saveexec_b32 s38, s79
	s_cbranch_execz .LBB240_1131
.LBB240_1610:
	v_mov_b32_e32 v112, 0xcccd
	v_mul_u32_u24_sdwa v113, v86, v112 dst_sel:DWORD dst_unused:UNUSED_PAD src0_sel:WORD_0 src1_sel:DWORD
	v_mul_u32_u24_sdwa v112, v87, v112 dst_sel:DWORD dst_unused:UNUSED_PAD src0_sel:WORD_0 src1_sel:DWORD
	v_lshrrev_b32_e32 v113, 19, v113
	v_lshrrev_b32_e32 v112, 19, v112
	v_cmp_lt_u16_e64 s35, v113, v112
	v_cndmask_b32_e64 v112, v86, v87, s35
	v_cndmask_b32_e64 v87, v87, v86, s35
	v_mov_b32_e32 v86, v112
	s_or_b32 exec_lo, exec_lo, s38
	s_and_saveexec_b32 s38, s88
	s_cbranch_execnz .LBB240_1132
.LBB240_1611:
	s_or_b32 exec_lo, exec_lo, s38
	s_and_saveexec_b32 s38, s89
	s_cbranch_execz .LBB240_1133
.LBB240_1612:
	v_mov_b32_e32 v112, 0xcccd
	v_mul_u32_u24_sdwa v113, v82, v112 dst_sel:DWORD dst_unused:UNUSED_PAD src0_sel:WORD_0 src1_sel:DWORD
	v_mul_u32_u24_sdwa v112, v83, v112 dst_sel:DWORD dst_unused:UNUSED_PAD src0_sel:WORD_0 src1_sel:DWORD
	v_lshrrev_b32_e32 v113, 19, v113
	v_lshrrev_b32_e32 v112, 19, v112
	v_cmp_lt_u16_e64 s35, v113, v112
	v_cndmask_b32_e64 v112, v82, v83, s35
	v_cndmask_b32_e64 v83, v83, v82, s35
	v_mov_b32_e32 v82, v112
	s_or_b32 exec_lo, exec_lo, s38
	s_and_saveexec_b32 s38, s90
	s_cbranch_execnz .LBB240_1134
.LBB240_1613:
	s_or_b32 exec_lo, exec_lo, s38
	s_and_saveexec_b32 s38, s91
	s_cbranch_execz .LBB240_1135
.LBB240_1614:
	v_mov_b32_e32 v112, 0xcccd
	v_mul_u32_u24_sdwa v113, v70, v112 dst_sel:DWORD dst_unused:UNUSED_PAD src0_sel:WORD_0 src1_sel:DWORD
	v_mul_u32_u24_sdwa v112, v71, v112 dst_sel:DWORD dst_unused:UNUSED_PAD src0_sel:WORD_0 src1_sel:DWORD
	v_lshrrev_b32_e32 v113, 19, v113
	v_lshrrev_b32_e32 v112, 19, v112
	v_cmp_lt_u16_e64 s35, v113, v112
	v_cndmask_b32_e64 v112, v70, v71, s35
	v_cndmask_b32_e64 v71, v71, v70, s35
	v_mov_b32_e32 v70, v112
	s_or_b32 exec_lo, exec_lo, s38
	s_and_saveexec_b32 s38, s92
	s_cbranch_execnz .LBB240_1136
.LBB240_1615:
	s_or_b32 exec_lo, exec_lo, s38
	s_and_saveexec_b32 s38, s93
	s_cbranch_execz .LBB240_1137
.LBB240_1616:
	v_mov_b32_e32 v112, 0xcccd
	v_mul_u32_u24_sdwa v113, v66, v112 dst_sel:DWORD dst_unused:UNUSED_PAD src0_sel:WORD_0 src1_sel:DWORD
	v_mul_u32_u24_sdwa v112, v67, v112 dst_sel:DWORD dst_unused:UNUSED_PAD src0_sel:WORD_0 src1_sel:DWORD
	v_lshrrev_b32_e32 v113, 19, v113
	v_lshrrev_b32_e32 v112, 19, v112
	v_cmp_lt_u16_e64 s35, v113, v112
	v_cndmask_b32_e64 v112, v66, v67, s35
	v_cndmask_b32_e64 v67, v67, v66, s35
	v_mov_b32_e32 v66, v112
	s_or_b32 exec_lo, exec_lo, s38
	s_and_saveexec_b32 s38, s94
	s_cbranch_execnz .LBB240_1138
.LBB240_1617:
	s_or_b32 exec_lo, exec_lo, s38
	s_and_saveexec_b32 s38, s95
	s_cbranch_execz .LBB240_1139
.LBB240_1618:
	v_mov_b32_e32 v112, 0xcccd
	v_mul_u32_u24_sdwa v113, v53, v112 dst_sel:DWORD dst_unused:UNUSED_PAD src0_sel:WORD_0 src1_sel:DWORD
	v_mul_u32_u24_sdwa v112, v55, v112 dst_sel:DWORD dst_unused:UNUSED_PAD src0_sel:WORD_0 src1_sel:DWORD
	v_lshrrev_b32_e32 v113, 19, v113
	v_lshrrev_b32_e32 v112, 19, v112
	v_cmp_lt_u16_e64 s35, v113, v112
	v_cndmask_b32_e64 v112, v53, v55, s35
	v_cndmask_b32_e64 v55, v55, v53, s35
	v_mov_b32_e32 v53, v112
	s_or_b32 exec_lo, exec_lo, s38
	s_and_saveexec_b32 s38, vcc_hi
	s_cbranch_execnz .LBB240_1140
.LBB240_1619:
	s_or_b32 exec_lo, exec_lo, s38
	s_and_saveexec_b32 s38, s30
	s_cbranch_execz .LBB240_1141
.LBB240_1620:
	v_mov_b32_e32 v112, 0xcccd
	v_mul_u32_u24_sdwa v113, v50, v112 dst_sel:DWORD dst_unused:UNUSED_PAD src0_sel:WORD_0 src1_sel:DWORD
	v_mul_u32_u24_sdwa v112, v54, v112 dst_sel:DWORD dst_unused:UNUSED_PAD src0_sel:WORD_0 src1_sel:DWORD
	v_lshrrev_b32_e32 v113, 19, v113
	v_lshrrev_b32_e32 v112, 19, v112
	v_cmp_lt_u16_e64 s35, v113, v112
	v_cndmask_b32_e64 v112, v54, v50, s35
	v_cndmask_b32_e64 v50, v50, v54, s35
	v_mov_b32_e32 v54, v112
	s_or_b32 exec_lo, exec_lo, s38
	s_and_saveexec_b32 s38, s31
	s_cbranch_execnz .LBB240_1142
.LBB240_1621:
	s_or_b32 exec_lo, exec_lo, s38
	s_and_saveexec_b32 s38, s34
	s_cbranch_execz .LBB240_1143
.LBB240_1622:
	v_mov_b32_e32 v112, 0xcccd
	v_mul_u32_u24_sdwa v113, v101, v112 dst_sel:DWORD dst_unused:UNUSED_PAD src0_sel:WORD_0 src1_sel:DWORD
	v_mul_u32_u24_sdwa v112, v39, v112 dst_sel:DWORD dst_unused:UNUSED_PAD src0_sel:WORD_0 src1_sel:DWORD
	v_lshrrev_b32_e32 v113, 19, v113
	v_lshrrev_b32_e32 v112, 19, v112
	v_cmp_lt_u16_e64 s35, v113, v112
	v_cndmask_b32_e64 v112, v39, v101, s35
	v_cndmask_b32_e64 v101, v101, v39, s35
	v_mov_b32_e32 v39, v112
	s_or_b32 exec_lo, exec_lo, s38
	s_and_saveexec_b32 s38, s8
	s_cbranch_execnz .LBB240_1144
.LBB240_1623:
	s_or_b32 exec_lo, exec_lo, s38
	s_and_saveexec_b32 s38, s9
	s_cbranch_execz .LBB240_1145
.LBB240_1624:
	v_mov_b32_e32 v112, 0xcccd
	v_mul_u32_u24_sdwa v113, v98, v112 dst_sel:DWORD dst_unused:UNUSED_PAD src0_sel:WORD_0 src1_sel:DWORD
	v_mul_u32_u24_sdwa v112, v99, v112 dst_sel:DWORD dst_unused:UNUSED_PAD src0_sel:WORD_0 src1_sel:DWORD
	v_lshrrev_b32_e32 v113, 19, v113
	v_lshrrev_b32_e32 v112, 19, v112
	v_cmp_lt_u16_e64 s35, v113, v112
	v_cndmask_b32_e64 v112, v98, v99, s35
	v_cndmask_b32_e64 v99, v99, v98, s35
	v_mov_b32_e32 v98, v112
	s_or_b32 exec_lo, exec_lo, s38
	s_and_saveexec_b32 s38, s12
	s_cbranch_execnz .LBB240_1146
.LBB240_1625:
	s_or_b32 exec_lo, exec_lo, s38
	s_and_saveexec_b32 s38, s13
	s_cbranch_execz .LBB240_1147
.LBB240_1626:
	v_mov_b32_e32 v112, 0xcccd
	v_mul_u32_u24_sdwa v113, v85, v112 dst_sel:DWORD dst_unused:UNUSED_PAD src0_sel:WORD_0 src1_sel:DWORD
	v_mul_u32_u24_sdwa v112, v86, v112 dst_sel:DWORD dst_unused:UNUSED_PAD src0_sel:WORD_0 src1_sel:DWORD
	v_lshrrev_b32_e32 v113, 19, v113
	v_lshrrev_b32_e32 v112, 19, v112
	v_cmp_lt_u16_e64 s35, v113, v112
	v_cndmask_b32_e64 v112, v85, v86, s35
	v_cndmask_b32_e64 v86, v86, v85, s35
	v_mov_b32_e32 v85, v112
	s_or_b32 exec_lo, exec_lo, s38
	s_and_saveexec_b32 s38, s57
	s_cbranch_execnz .LBB240_1148
.LBB240_1627:
	s_or_b32 exec_lo, exec_lo, s38
	s_and_saveexec_b32 s38, s58
	s_cbranch_execz .LBB240_1149
.LBB240_1628:
	v_mov_b32_e32 v112, 0xcccd
	v_mul_u32_u24_sdwa v113, v81, v112 dst_sel:DWORD dst_unused:UNUSED_PAD src0_sel:WORD_0 src1_sel:DWORD
	v_mul_u32_u24_sdwa v112, v82, v112 dst_sel:DWORD dst_unused:UNUSED_PAD src0_sel:WORD_0 src1_sel:DWORD
	v_lshrrev_b32_e32 v113, 19, v113
	v_lshrrev_b32_e32 v112, 19, v112
	v_cmp_lt_u16_e64 s35, v113, v112
	v_cndmask_b32_e64 v112, v81, v82, s35
	v_cndmask_b32_e64 v82, v82, v81, s35
	v_mov_b32_e32 v81, v112
	s_or_b32 exec_lo, exec_lo, s38
	s_and_saveexec_b32 s38, s59
	s_cbranch_execnz .LBB240_1150
.LBB240_1629:
	s_or_b32 exec_lo, exec_lo, s38
	s_and_saveexec_b32 s38, s60
	s_cbranch_execz .LBB240_1151
.LBB240_1630:
	v_mov_b32_e32 v112, 0xcccd
	v_mul_u32_u24_sdwa v113, v69, v112 dst_sel:DWORD dst_unused:UNUSED_PAD src0_sel:WORD_0 src1_sel:DWORD
	v_mul_u32_u24_sdwa v112, v70, v112 dst_sel:DWORD dst_unused:UNUSED_PAD src0_sel:WORD_0 src1_sel:DWORD
	v_lshrrev_b32_e32 v113, 19, v113
	v_lshrrev_b32_e32 v112, 19, v112
	v_cmp_lt_u16_e64 s35, v113, v112
	v_cndmask_b32_e64 v112, v69, v70, s35
	v_cndmask_b32_e64 v70, v70, v69, s35
	v_mov_b32_e32 v69, v112
	s_or_b32 exec_lo, exec_lo, s38
	s_and_saveexec_b32 s38, s61
	s_cbranch_execnz .LBB240_1152
.LBB240_1631:
	s_or_b32 exec_lo, exec_lo, s38
	s_and_saveexec_b32 s38, s62
	s_cbranch_execz .LBB240_1153
.LBB240_1632:
	v_mov_b32_e32 v112, 0xcccd
	v_mul_u32_u24_sdwa v113, v65, v112 dst_sel:DWORD dst_unused:UNUSED_PAD src0_sel:WORD_0 src1_sel:DWORD
	v_mul_u32_u24_sdwa v112, v66, v112 dst_sel:DWORD dst_unused:UNUSED_PAD src0_sel:WORD_0 src1_sel:DWORD
	v_lshrrev_b32_e32 v113, 19, v113
	v_lshrrev_b32_e32 v112, 19, v112
	v_cmp_lt_u16_e64 s35, v113, v112
	v_cndmask_b32_e64 v112, v65, v66, s35
	v_cndmask_b32_e64 v66, v66, v65, s35
	v_mov_b32_e32 v65, v112
	s_or_b32 exec_lo, exec_lo, s38
	s_and_saveexec_b32 s38, s63
	s_cbranch_execnz .LBB240_1154
.LBB240_1633:
	s_or_b32 exec_lo, exec_lo, s38
	s_and_saveexec_b32 s38, s72
	s_cbranch_execz .LBB240_1155
.LBB240_1634:
	v_mov_b32_e32 v112, 0xcccd
	v_mul_u32_u24_sdwa v113, v52, v112 dst_sel:DWORD dst_unused:UNUSED_PAD src0_sel:WORD_0 src1_sel:DWORD
	v_mul_u32_u24_sdwa v112, v53, v112 dst_sel:DWORD dst_unused:UNUSED_PAD src0_sel:WORD_0 src1_sel:DWORD
	v_lshrrev_b32_e32 v113, 19, v113
	v_lshrrev_b32_e32 v112, 19, v112
	v_cmp_lt_u16_e64 s35, v113, v112
	v_cndmask_b32_e64 v112, v52, v53, s35
	v_cndmask_b32_e64 v53, v53, v52, s35
	v_mov_b32_e32 v52, v112
	s_or_b32 exec_lo, exec_lo, s38
	s_and_saveexec_b32 s38, s73
	s_cbranch_execnz .LBB240_1156
.LBB240_1635:
	s_or_b32 exec_lo, exec_lo, s38
	s_and_saveexec_b32 s38, s74
	s_cbranch_execz .LBB240_1157
.LBB240_1636:
	v_mov_b32_e32 v112, 0xcccd
	v_mul_u32_u24_sdwa v113, v49, v112 dst_sel:DWORD dst_unused:UNUSED_PAD src0_sel:WORD_0 src1_sel:DWORD
	v_mul_u32_u24_sdwa v112, v50, v112 dst_sel:DWORD dst_unused:UNUSED_PAD src0_sel:WORD_0 src1_sel:DWORD
	v_lshrrev_b32_e32 v113, 19, v113
	v_lshrrev_b32_e32 v112, 19, v112
	v_cmp_lt_u16_e64 s35, v113, v112
	v_cndmask_b32_e64 v112, v50, v49, s35
	v_cndmask_b32_e64 v49, v49, v50, s35
	v_mov_b32_e32 v50, v112
	s_or_b32 exec_lo, exec_lo, s38
	s_and_saveexec_b32 s38, s75
	s_cbranch_execnz .LBB240_1158
.LBB240_1637:
	s_or_b32 exec_lo, exec_lo, s38
	s_and_saveexec_b32 s38, s76
	s_cbranch_execz .LBB240_1159
.LBB240_1638:
	v_mov_b32_e32 v112, 0xcccd
	v_mul_u32_u24_sdwa v113, v38, v112 dst_sel:DWORD dst_unused:UNUSED_PAD src0_sel:WORD_0 src1_sel:DWORD
	v_mul_u32_u24_sdwa v112, v101, v112 dst_sel:DWORD dst_unused:UNUSED_PAD src0_sel:WORD_0 src1_sel:DWORD
	v_lshrrev_b32_e32 v113, 19, v113
	v_lshrrev_b32_e32 v112, 19, v112
	v_cmp_lt_u16_e64 s35, v113, v112
	v_cndmask_b32_e64 v112, v101, v38, s35
	v_cndmask_b32_e64 v38, v38, v101, s35
	v_mov_b32_e32 v101, v112
	s_or_b32 exec_lo, exec_lo, s38
	s_and_saveexec_b32 s38, s77
	s_cbranch_execnz .LBB240_1160
.LBB240_1639:
	s_or_b32 exec_lo, exec_lo, s38
	s_and_saveexec_b32 s38, s78
	s_cbranch_execz .LBB240_1161
.LBB240_1640:
	v_mov_b32_e32 v112, 0xcccd
	v_mul_u32_u24_sdwa v113, v96, v112 dst_sel:DWORD dst_unused:UNUSED_PAD src0_sel:WORD_0 src1_sel:DWORD
	v_mul_u32_u24_sdwa v112, v98, v112 dst_sel:DWORD dst_unused:UNUSED_PAD src0_sel:WORD_0 src1_sel:DWORD
	v_lshrrev_b32_e32 v113, 19, v113
	v_lshrrev_b32_e32 v112, 19, v112
	v_cmp_lt_u16_e64 s35, v113, v112
	v_cndmask_b32_e64 v112, v96, v98, s35
	v_cndmask_b32_e64 v98, v98, v96, s35
	v_mov_b32_e32 v96, v112
	s_or_b32 exec_lo, exec_lo, s38
	s_and_saveexec_b32 s38, s79
	s_cbranch_execnz .LBB240_1162
.LBB240_1641:
	s_or_b32 exec_lo, exec_lo, s38
	s_and_saveexec_b32 s38, s88
	s_cbranch_execz .LBB240_1163
.LBB240_1642:
	v_mov_b32_e32 v112, 0xcccd
	v_mul_u32_u24_sdwa v113, v84, v112 dst_sel:DWORD dst_unused:UNUSED_PAD src0_sel:WORD_0 src1_sel:DWORD
	v_mul_u32_u24_sdwa v112, v85, v112 dst_sel:DWORD dst_unused:UNUSED_PAD src0_sel:WORD_0 src1_sel:DWORD
	v_lshrrev_b32_e32 v113, 19, v113
	v_lshrrev_b32_e32 v112, 19, v112
	v_cmp_lt_u16_e64 s35, v113, v112
	v_cndmask_b32_e64 v112, v84, v85, s35
	v_cndmask_b32_e64 v85, v85, v84, s35
	v_mov_b32_e32 v84, v112
	s_or_b32 exec_lo, exec_lo, s38
	s_and_saveexec_b32 s38, s89
	s_cbranch_execnz .LBB240_1164
.LBB240_1643:
	s_or_b32 exec_lo, exec_lo, s38
	s_and_saveexec_b32 s38, s90
	s_cbranch_execz .LBB240_1165
.LBB240_1644:
	v_mov_b32_e32 v112, 0xcccd
	v_mul_u32_u24_sdwa v113, v80, v112 dst_sel:DWORD dst_unused:UNUSED_PAD src0_sel:WORD_0 src1_sel:DWORD
	v_mul_u32_u24_sdwa v112, v81, v112 dst_sel:DWORD dst_unused:UNUSED_PAD src0_sel:WORD_0 src1_sel:DWORD
	v_lshrrev_b32_e32 v113, 19, v113
	v_lshrrev_b32_e32 v112, 19, v112
	v_cmp_lt_u16_e64 s35, v113, v112
	v_cndmask_b32_e64 v112, v80, v81, s35
	v_cndmask_b32_e64 v81, v81, v80, s35
	v_mov_b32_e32 v80, v112
	s_or_b32 exec_lo, exec_lo, s38
	s_and_saveexec_b32 s38, s91
	s_cbranch_execnz .LBB240_1166
.LBB240_1645:
	s_or_b32 exec_lo, exec_lo, s38
	s_and_saveexec_b32 s38, s92
	s_cbranch_execz .LBB240_1167
.LBB240_1646:
	v_mov_b32_e32 v112, 0xcccd
	v_mul_u32_u24_sdwa v113, v68, v112 dst_sel:DWORD dst_unused:UNUSED_PAD src0_sel:WORD_0 src1_sel:DWORD
	v_mul_u32_u24_sdwa v112, v69, v112 dst_sel:DWORD dst_unused:UNUSED_PAD src0_sel:WORD_0 src1_sel:DWORD
	v_lshrrev_b32_e32 v113, 19, v113
	v_lshrrev_b32_e32 v112, 19, v112
	v_cmp_lt_u16_e64 s35, v113, v112
	v_cndmask_b32_e64 v112, v68, v69, s35
	v_cndmask_b32_e64 v69, v69, v68, s35
	v_mov_b32_e32 v68, v112
	s_or_b32 exec_lo, exec_lo, s38
	s_and_saveexec_b32 s38, s93
	s_cbranch_execnz .LBB240_1168
.LBB240_1647:
	s_or_b32 exec_lo, exec_lo, s38
	s_and_saveexec_b32 s38, s94
	s_cbranch_execz .LBB240_1169
.LBB240_1648:
	v_mov_b32_e32 v112, 0xcccd
	v_mul_u32_u24_sdwa v113, v64, v112 dst_sel:DWORD dst_unused:UNUSED_PAD src0_sel:WORD_0 src1_sel:DWORD
	v_mul_u32_u24_sdwa v112, v65, v112 dst_sel:DWORD dst_unused:UNUSED_PAD src0_sel:WORD_0 src1_sel:DWORD
	v_lshrrev_b32_e32 v113, 19, v113
	v_lshrrev_b32_e32 v112, 19, v112
	v_cmp_lt_u16_e64 s35, v113, v112
	v_cndmask_b32_e64 v112, v64, v65, s35
	v_cndmask_b32_e64 v65, v65, v64, s35
	v_mov_b32_e32 v64, v112
	s_or_b32 exec_lo, exec_lo, s38
	s_and_saveexec_b32 s38, s95
	s_cbranch_execnz .LBB240_1170
.LBB240_1649:
	s_or_b32 exec_lo, exec_lo, s38
	s_and_saveexec_b32 s38, vcc_hi
	s_cbranch_execz .LBB240_1171
.LBB240_1650:
	v_mov_b32_e32 v112, 0xcccd
	v_mul_u32_u24_sdwa v113, v51, v112 dst_sel:DWORD dst_unused:UNUSED_PAD src0_sel:WORD_0 src1_sel:DWORD
	v_mul_u32_u24_sdwa v112, v52, v112 dst_sel:DWORD dst_unused:UNUSED_PAD src0_sel:WORD_0 src1_sel:DWORD
	v_lshrrev_b32_e32 v113, 19, v113
	v_lshrrev_b32_e32 v112, 19, v112
	v_cmp_lt_u16_e64 s35, v113, v112
	v_cndmask_b32_e64 v112, v51, v52, s35
	v_cndmask_b32_e64 v52, v52, v51, s35
	v_mov_b32_e32 v51, v112
	s_or_b32 exec_lo, exec_lo, s38
	s_and_saveexec_b32 s38, s30
	s_cbranch_execnz .LBB240_1172
.LBB240_1651:
	s_or_b32 exec_lo, exec_lo, s38
	s_and_saveexec_b32 s38, s31
	s_cbranch_execz .LBB240_1173
.LBB240_1652:
	v_mov_b32_e32 v112, 0xcccd
	v_mul_u32_u24_sdwa v113, v48, v112 dst_sel:DWORD dst_unused:UNUSED_PAD src0_sel:WORD_0 src1_sel:DWORD
	v_mul_u32_u24_sdwa v112, v49, v112 dst_sel:DWORD dst_unused:UNUSED_PAD src0_sel:WORD_0 src1_sel:DWORD
	v_lshrrev_b32_e32 v113, 19, v113
	v_lshrrev_b32_e32 v112, 19, v112
	v_cmp_lt_u16_e64 s35, v113, v112
	v_cndmask_b32_e64 v112, v49, v48, s35
	v_cndmask_b32_e64 v48, v48, v49, s35
	v_mov_b32_e32 v49, v112
	s_or_b32 exec_lo, exec_lo, s38
	s_and_saveexec_b32 s38, s34
	s_cbranch_execnz .LBB240_1174
.LBB240_1653:
	s_or_b32 exec_lo, exec_lo, s38
	s_and_saveexec_b32 s38, s8
	s_cbranch_execz .LBB240_1175
.LBB240_1654:
	v_mov_b32_e32 v112, 0xcccd
	v_mul_u32_u24_sdwa v113, v100, v112 dst_sel:DWORD dst_unused:UNUSED_PAD src0_sel:WORD_0 src1_sel:DWORD
	v_mul_u32_u24_sdwa v112, v97, v112 dst_sel:DWORD dst_unused:UNUSED_PAD src0_sel:WORD_0 src1_sel:DWORD
	v_lshrrev_b32_e32 v113, 19, v113
	v_lshrrev_b32_e32 v112, 19, v112
	v_cmp_lt_u16_e64 s35, v113, v112
	v_cndmask_b32_e64 v112, v100, v97, s35
	v_cndmask_b32_e64 v97, v97, v100, s35
	v_mov_b32_e32 v100, v112
	s_or_b32 exec_lo, exec_lo, s38
	s_and_saveexec_b32 s38, s9
	s_cbranch_execnz .LBB240_1176
.LBB240_1655:
	s_or_b32 exec_lo, exec_lo, s38
	s_and_saveexec_b32 s38, s12
	s_cbranch_execz .LBB240_1177
.LBB240_1656:
	v_mov_b32_e32 v112, 0xcccd
	v_mul_u32_u24_sdwa v113, v87, v112 dst_sel:DWORD dst_unused:UNUSED_PAD src0_sel:WORD_0 src1_sel:DWORD
	v_mul_u32_u24_sdwa v112, v96, v112 dst_sel:DWORD dst_unused:UNUSED_PAD src0_sel:WORD_0 src1_sel:DWORD
	v_lshrrev_b32_e32 v113, 19, v113
	v_lshrrev_b32_e32 v112, 19, v112
	v_cmp_lt_u16_e64 s35, v113, v112
	v_cndmask_b32_e64 v112, v87, v96, s35
	v_cndmask_b32_e64 v96, v96, v87, s35
	v_mov_b32_e32 v87, v112
	s_or_b32 exec_lo, exec_lo, s38
	s_and_saveexec_b32 s38, s13
	s_cbranch_execnz .LBB240_1178
.LBB240_1657:
	s_or_b32 exec_lo, exec_lo, s38
	s_and_saveexec_b32 s38, s57
	s_cbranch_execz .LBB240_1179
.LBB240_1658:
	v_mov_b32_e32 v112, 0xcccd
	v_mul_u32_u24_sdwa v113, v83, v112 dst_sel:DWORD dst_unused:UNUSED_PAD src0_sel:WORD_0 src1_sel:DWORD
	v_mul_u32_u24_sdwa v112, v84, v112 dst_sel:DWORD dst_unused:UNUSED_PAD src0_sel:WORD_0 src1_sel:DWORD
	v_lshrrev_b32_e32 v113, 19, v113
	v_lshrrev_b32_e32 v112, 19, v112
	v_cmp_lt_u16_e64 s35, v113, v112
	v_cndmask_b32_e64 v112, v83, v84, s35
	v_cndmask_b32_e64 v84, v84, v83, s35
	v_mov_b32_e32 v83, v112
	s_or_b32 exec_lo, exec_lo, s38
	s_and_saveexec_b32 s38, s58
	s_cbranch_execnz .LBB240_1180
.LBB240_1659:
	s_or_b32 exec_lo, exec_lo, s38
	s_and_saveexec_b32 s38, s59
	s_cbranch_execz .LBB240_1181
.LBB240_1660:
	v_mov_b32_e32 v112, 0xcccd
	v_mul_u32_u24_sdwa v113, v71, v112 dst_sel:DWORD dst_unused:UNUSED_PAD src0_sel:WORD_0 src1_sel:DWORD
	v_mul_u32_u24_sdwa v112, v80, v112 dst_sel:DWORD dst_unused:UNUSED_PAD src0_sel:WORD_0 src1_sel:DWORD
	v_lshrrev_b32_e32 v113, 19, v113
	v_lshrrev_b32_e32 v112, 19, v112
	v_cmp_lt_u16_e64 s35, v113, v112
	v_cndmask_b32_e64 v112, v71, v80, s35
	v_cndmask_b32_e64 v80, v80, v71, s35
	v_mov_b32_e32 v71, v112
	s_or_b32 exec_lo, exec_lo, s38
	s_and_saveexec_b32 s38, s60
	s_cbranch_execnz .LBB240_1182
.LBB240_1661:
	s_or_b32 exec_lo, exec_lo, s38
	s_and_saveexec_b32 s38, s61
	s_cbranch_execz .LBB240_1183
.LBB240_1662:
	v_mov_b32_e32 v112, 0xcccd
	v_mul_u32_u24_sdwa v113, v67, v112 dst_sel:DWORD dst_unused:UNUSED_PAD src0_sel:WORD_0 src1_sel:DWORD
	v_mul_u32_u24_sdwa v112, v68, v112 dst_sel:DWORD dst_unused:UNUSED_PAD src0_sel:WORD_0 src1_sel:DWORD
	v_lshrrev_b32_e32 v113, 19, v113
	v_lshrrev_b32_e32 v112, 19, v112
	v_cmp_lt_u16_e64 s35, v113, v112
	v_cndmask_b32_e64 v112, v67, v68, s35
	v_cndmask_b32_e64 v68, v68, v67, s35
	v_mov_b32_e32 v67, v112
	s_or_b32 exec_lo, exec_lo, s38
	s_and_saveexec_b32 s38, s62
	s_cbranch_execnz .LBB240_1184
.LBB240_1663:
	s_or_b32 exec_lo, exec_lo, s38
	s_and_saveexec_b32 s38, s63
	s_cbranch_execz .LBB240_1185
.LBB240_1664:
	v_mov_b32_e32 v112, 0xcccd
	v_mul_u32_u24_sdwa v113, v55, v112 dst_sel:DWORD dst_unused:UNUSED_PAD src0_sel:WORD_0 src1_sel:DWORD
	v_mul_u32_u24_sdwa v112, v64, v112 dst_sel:DWORD dst_unused:UNUSED_PAD src0_sel:WORD_0 src1_sel:DWORD
	v_lshrrev_b32_e32 v113, 19, v113
	v_lshrrev_b32_e32 v112, 19, v112
	v_cmp_lt_u16_e64 s35, v113, v112
	v_cndmask_b32_e64 v112, v55, v64, s35
	v_cndmask_b32_e64 v64, v64, v55, s35
	v_mov_b32_e32 v55, v112
	s_or_b32 exec_lo, exec_lo, s38
	s_and_saveexec_b32 s38, s72
	s_cbranch_execnz .LBB240_1186
.LBB240_1665:
	s_or_b32 exec_lo, exec_lo, s38
	s_and_saveexec_b32 s38, s73
	s_cbranch_execz .LBB240_1187
.LBB240_1666:
	v_mov_b32_e32 v112, 0xcccd
	v_mul_u32_u24_sdwa v113, v54, v112 dst_sel:DWORD dst_unused:UNUSED_PAD src0_sel:WORD_0 src1_sel:DWORD
	v_mul_u32_u24_sdwa v112, v51, v112 dst_sel:DWORD dst_unused:UNUSED_PAD src0_sel:WORD_0 src1_sel:DWORD
	v_lshrrev_b32_e32 v113, 19, v113
	v_lshrrev_b32_e32 v112, 19, v112
	v_cmp_lt_u16_e64 s35, v113, v112
	v_cndmask_b32_e64 v112, v54, v51, s35
	v_cndmask_b32_e64 v51, v51, v54, s35
	v_mov_b32_e32 v54, v112
	s_or_b32 exec_lo, exec_lo, s38
	s_and_saveexec_b32 s38, s74
	s_cbranch_execnz .LBB240_1188
.LBB240_1667:
	s_or_b32 exec_lo, exec_lo, s38
	s_and_saveexec_b32 s38, s75
	s_cbranch_execz .LBB240_1189
.LBB240_1668:
	v_mov_b32_e32 v112, 0xcccd
	v_mul_u32_u24_sdwa v113, v39, v112 dst_sel:DWORD dst_unused:UNUSED_PAD src0_sel:WORD_0 src1_sel:DWORD
	v_mul_u32_u24_sdwa v112, v48, v112 dst_sel:DWORD dst_unused:UNUSED_PAD src0_sel:WORD_0 src1_sel:DWORD
	v_lshrrev_b32_e32 v113, 19, v113
	v_lshrrev_b32_e32 v112, 19, v112
	v_cmp_lt_u16_e64 s35, v113, v112
	v_cndmask_b32_e64 v112, v48, v39, s35
	v_cndmask_b32_e64 v39, v39, v48, s35
	v_mov_b32_e32 v48, v112
	s_or_b32 exec_lo, exec_lo, s38
	s_and_saveexec_b32 s38, s76
	s_cbranch_execnz .LBB240_1190
.LBB240_1669:
	s_or_b32 exec_lo, exec_lo, s38
	s_and_saveexec_b32 s38, s77
	s_cbranch_execz .LBB240_1191
.LBB240_1670:
	v_mov_b32_e32 v112, 0xcccd
	v_mul_u32_u24_sdwa v113, v99, v112 dst_sel:DWORD dst_unused:UNUSED_PAD src0_sel:WORD_0 src1_sel:DWORD
	v_mul_u32_u24_sdwa v112, v100, v112 dst_sel:DWORD dst_unused:UNUSED_PAD src0_sel:WORD_0 src1_sel:DWORD
	v_lshrrev_b32_e32 v113, 19, v113
	v_lshrrev_b32_e32 v112, 19, v112
	v_cmp_lt_u16_e64 s35, v113, v112
	v_cndmask_b32_e64 v112, v99, v100, s35
	v_cndmask_b32_e64 v100, v100, v99, s35
	v_mov_b32_e32 v99, v112
	s_or_b32 exec_lo, exec_lo, s38
	s_and_saveexec_b32 s38, s78
	s_cbranch_execnz .LBB240_1192
.LBB240_1671:
	s_or_b32 exec_lo, exec_lo, s38
	s_and_saveexec_b32 s38, s79
	s_cbranch_execz .LBB240_1193
.LBB240_1672:
	v_mov_b32_e32 v112, 0xcccd
	v_mul_u32_u24_sdwa v113, v86, v112 dst_sel:DWORD dst_unused:UNUSED_PAD src0_sel:WORD_0 src1_sel:DWORD
	v_mul_u32_u24_sdwa v112, v87, v112 dst_sel:DWORD dst_unused:UNUSED_PAD src0_sel:WORD_0 src1_sel:DWORD
	v_lshrrev_b32_e32 v113, 19, v113
	v_lshrrev_b32_e32 v112, 19, v112
	v_cmp_lt_u16_e64 s35, v113, v112
	v_cndmask_b32_e64 v112, v86, v87, s35
	v_cndmask_b32_e64 v87, v87, v86, s35
	v_mov_b32_e32 v86, v112
	s_or_b32 exec_lo, exec_lo, s38
	s_and_saveexec_b32 s38, s88
	s_cbranch_execnz .LBB240_1194
.LBB240_1673:
	s_or_b32 exec_lo, exec_lo, s38
	s_and_saveexec_b32 s38, s89
	s_cbranch_execz .LBB240_1195
.LBB240_1674:
	v_mov_b32_e32 v112, 0xcccd
	v_mul_u32_u24_sdwa v113, v82, v112 dst_sel:DWORD dst_unused:UNUSED_PAD src0_sel:WORD_0 src1_sel:DWORD
	v_mul_u32_u24_sdwa v112, v83, v112 dst_sel:DWORD dst_unused:UNUSED_PAD src0_sel:WORD_0 src1_sel:DWORD
	v_lshrrev_b32_e32 v113, 19, v113
	v_lshrrev_b32_e32 v112, 19, v112
	v_cmp_lt_u16_e64 s35, v113, v112
	v_cndmask_b32_e64 v112, v82, v83, s35
	v_cndmask_b32_e64 v83, v83, v82, s35
	v_mov_b32_e32 v82, v112
	s_or_b32 exec_lo, exec_lo, s38
	s_and_saveexec_b32 s38, s90
	s_cbranch_execnz .LBB240_1196
.LBB240_1675:
	s_or_b32 exec_lo, exec_lo, s38
	s_and_saveexec_b32 s38, s91
	s_cbranch_execz .LBB240_1197
.LBB240_1676:
	v_mov_b32_e32 v112, 0xcccd
	v_mul_u32_u24_sdwa v113, v70, v112 dst_sel:DWORD dst_unused:UNUSED_PAD src0_sel:WORD_0 src1_sel:DWORD
	v_mul_u32_u24_sdwa v112, v71, v112 dst_sel:DWORD dst_unused:UNUSED_PAD src0_sel:WORD_0 src1_sel:DWORD
	v_lshrrev_b32_e32 v113, 19, v113
	v_lshrrev_b32_e32 v112, 19, v112
	v_cmp_lt_u16_e64 s35, v113, v112
	v_cndmask_b32_e64 v112, v70, v71, s35
	v_cndmask_b32_e64 v71, v71, v70, s35
	v_mov_b32_e32 v70, v112
	s_or_b32 exec_lo, exec_lo, s38
	s_and_saveexec_b32 s38, s92
	s_cbranch_execnz .LBB240_1198
.LBB240_1677:
	s_or_b32 exec_lo, exec_lo, s38
	s_and_saveexec_b32 s38, s93
	s_cbranch_execz .LBB240_1199
.LBB240_1678:
	v_mov_b32_e32 v112, 0xcccd
	v_mul_u32_u24_sdwa v113, v66, v112 dst_sel:DWORD dst_unused:UNUSED_PAD src0_sel:WORD_0 src1_sel:DWORD
	v_mul_u32_u24_sdwa v112, v67, v112 dst_sel:DWORD dst_unused:UNUSED_PAD src0_sel:WORD_0 src1_sel:DWORD
	v_lshrrev_b32_e32 v113, 19, v113
	v_lshrrev_b32_e32 v112, 19, v112
	v_cmp_lt_u16_e64 s35, v113, v112
	v_cndmask_b32_e64 v112, v66, v67, s35
	v_cndmask_b32_e64 v67, v67, v66, s35
	v_mov_b32_e32 v66, v112
	s_or_b32 exec_lo, exec_lo, s38
	s_and_saveexec_b32 s38, s94
	s_cbranch_execnz .LBB240_1200
.LBB240_1679:
	s_or_b32 exec_lo, exec_lo, s38
	s_and_saveexec_b32 s38, s95
	s_cbranch_execz .LBB240_1201
.LBB240_1680:
	v_mov_b32_e32 v112, 0xcccd
	v_mul_u32_u24_sdwa v113, v53, v112 dst_sel:DWORD dst_unused:UNUSED_PAD src0_sel:WORD_0 src1_sel:DWORD
	v_mul_u32_u24_sdwa v112, v55, v112 dst_sel:DWORD dst_unused:UNUSED_PAD src0_sel:WORD_0 src1_sel:DWORD
	v_lshrrev_b32_e32 v113, 19, v113
	v_lshrrev_b32_e32 v112, 19, v112
	v_cmp_lt_u16_e64 s35, v113, v112
	v_cndmask_b32_e64 v112, v53, v55, s35
	v_cndmask_b32_e64 v55, v55, v53, s35
	v_mov_b32_e32 v53, v112
	s_or_b32 exec_lo, exec_lo, s38
	s_and_saveexec_b32 s38, vcc_hi
	s_cbranch_execnz .LBB240_1202
.LBB240_1681:
	s_or_b32 exec_lo, exec_lo, s38
	s_and_saveexec_b32 s38, s30
	s_cbranch_execz .LBB240_1203
.LBB240_1682:
	v_mov_b32_e32 v112, 0xcccd
	v_mul_u32_u24_sdwa v113, v50, v112 dst_sel:DWORD dst_unused:UNUSED_PAD src0_sel:WORD_0 src1_sel:DWORD
	v_mul_u32_u24_sdwa v112, v54, v112 dst_sel:DWORD dst_unused:UNUSED_PAD src0_sel:WORD_0 src1_sel:DWORD
	v_lshrrev_b32_e32 v113, 19, v113
	v_lshrrev_b32_e32 v112, 19, v112
	v_cmp_lt_u16_e64 s35, v113, v112
	v_cndmask_b32_e64 v112, v54, v50, s35
	v_cndmask_b32_e64 v50, v50, v54, s35
	v_mov_b32_e32 v54, v112
	s_or_b32 exec_lo, exec_lo, s38
	s_and_saveexec_b32 s38, s31
	s_cbranch_execnz .LBB240_1204
.LBB240_1683:
	s_or_b32 exec_lo, exec_lo, s38
	s_and_saveexec_b32 s38, s34
	s_cbranch_execz .LBB240_1205
.LBB240_1684:
	v_mov_b32_e32 v112, 0xcccd
	v_mul_u32_u24_sdwa v113, v101, v112 dst_sel:DWORD dst_unused:UNUSED_PAD src0_sel:WORD_0 src1_sel:DWORD
	v_mul_u32_u24_sdwa v112, v39, v112 dst_sel:DWORD dst_unused:UNUSED_PAD src0_sel:WORD_0 src1_sel:DWORD
	v_lshrrev_b32_e32 v113, 19, v113
	v_lshrrev_b32_e32 v112, 19, v112
	v_cmp_lt_u16_e64 s35, v113, v112
	v_cndmask_b32_e64 v112, v39, v101, s35
	v_cndmask_b32_e64 v101, v101, v39, s35
	v_mov_b32_e32 v39, v112
	s_or_b32 exec_lo, exec_lo, s38
	s_and_saveexec_b32 s38, s8
	s_cbranch_execnz .LBB240_1206
.LBB240_1685:
	s_or_b32 exec_lo, exec_lo, s38
	s_and_saveexec_b32 s38, s9
	s_cbranch_execz .LBB240_1207
.LBB240_1686:
	v_mov_b32_e32 v112, 0xcccd
	v_mul_u32_u24_sdwa v113, v98, v112 dst_sel:DWORD dst_unused:UNUSED_PAD src0_sel:WORD_0 src1_sel:DWORD
	v_mul_u32_u24_sdwa v112, v99, v112 dst_sel:DWORD dst_unused:UNUSED_PAD src0_sel:WORD_0 src1_sel:DWORD
	v_lshrrev_b32_e32 v113, 19, v113
	v_lshrrev_b32_e32 v112, 19, v112
	v_cmp_lt_u16_e64 s35, v113, v112
	v_cndmask_b32_e64 v112, v98, v99, s35
	v_cndmask_b32_e64 v99, v99, v98, s35
	v_mov_b32_e32 v98, v112
	s_or_b32 exec_lo, exec_lo, s38
	s_and_saveexec_b32 s38, s12
	s_cbranch_execnz .LBB240_1208
.LBB240_1687:
	s_or_b32 exec_lo, exec_lo, s38
	s_and_saveexec_b32 s38, s13
	s_cbranch_execz .LBB240_1209
.LBB240_1688:
	v_mov_b32_e32 v112, 0xcccd
	v_mul_u32_u24_sdwa v113, v85, v112 dst_sel:DWORD dst_unused:UNUSED_PAD src0_sel:WORD_0 src1_sel:DWORD
	v_mul_u32_u24_sdwa v112, v86, v112 dst_sel:DWORD dst_unused:UNUSED_PAD src0_sel:WORD_0 src1_sel:DWORD
	v_lshrrev_b32_e32 v113, 19, v113
	v_lshrrev_b32_e32 v112, 19, v112
	v_cmp_lt_u16_e64 s35, v113, v112
	v_cndmask_b32_e64 v112, v85, v86, s35
	v_cndmask_b32_e64 v86, v86, v85, s35
	v_mov_b32_e32 v85, v112
	s_or_b32 exec_lo, exec_lo, s38
	s_and_saveexec_b32 s38, s57
	s_cbranch_execnz .LBB240_1210
.LBB240_1689:
	s_or_b32 exec_lo, exec_lo, s38
	s_and_saveexec_b32 s38, s58
	s_cbranch_execz .LBB240_1211
.LBB240_1690:
	v_mov_b32_e32 v112, 0xcccd
	v_mul_u32_u24_sdwa v113, v81, v112 dst_sel:DWORD dst_unused:UNUSED_PAD src0_sel:WORD_0 src1_sel:DWORD
	v_mul_u32_u24_sdwa v112, v82, v112 dst_sel:DWORD dst_unused:UNUSED_PAD src0_sel:WORD_0 src1_sel:DWORD
	v_lshrrev_b32_e32 v113, 19, v113
	v_lshrrev_b32_e32 v112, 19, v112
	v_cmp_lt_u16_e64 s35, v113, v112
	v_cndmask_b32_e64 v112, v81, v82, s35
	v_cndmask_b32_e64 v82, v82, v81, s35
	v_mov_b32_e32 v81, v112
	s_or_b32 exec_lo, exec_lo, s38
	s_and_saveexec_b32 s38, s59
	s_cbranch_execnz .LBB240_1212
.LBB240_1691:
	s_or_b32 exec_lo, exec_lo, s38
	s_and_saveexec_b32 s38, s60
	s_cbranch_execz .LBB240_1213
.LBB240_1692:
	v_mov_b32_e32 v112, 0xcccd
	v_mul_u32_u24_sdwa v113, v69, v112 dst_sel:DWORD dst_unused:UNUSED_PAD src0_sel:WORD_0 src1_sel:DWORD
	v_mul_u32_u24_sdwa v112, v70, v112 dst_sel:DWORD dst_unused:UNUSED_PAD src0_sel:WORD_0 src1_sel:DWORD
	v_lshrrev_b32_e32 v113, 19, v113
	v_lshrrev_b32_e32 v112, 19, v112
	v_cmp_lt_u16_e64 s35, v113, v112
	v_cndmask_b32_e64 v112, v69, v70, s35
	v_cndmask_b32_e64 v70, v70, v69, s35
	v_mov_b32_e32 v69, v112
	s_or_b32 exec_lo, exec_lo, s38
	s_and_saveexec_b32 s38, s61
	s_cbranch_execnz .LBB240_1214
.LBB240_1693:
	s_or_b32 exec_lo, exec_lo, s38
	s_and_saveexec_b32 s38, s62
	s_cbranch_execz .LBB240_1215
.LBB240_1694:
	v_mov_b32_e32 v112, 0xcccd
	v_mul_u32_u24_sdwa v113, v65, v112 dst_sel:DWORD dst_unused:UNUSED_PAD src0_sel:WORD_0 src1_sel:DWORD
	v_mul_u32_u24_sdwa v112, v66, v112 dst_sel:DWORD dst_unused:UNUSED_PAD src0_sel:WORD_0 src1_sel:DWORD
	v_lshrrev_b32_e32 v113, 19, v113
	v_lshrrev_b32_e32 v112, 19, v112
	v_cmp_lt_u16_e64 s35, v113, v112
	v_cndmask_b32_e64 v112, v65, v66, s35
	v_cndmask_b32_e64 v66, v66, v65, s35
	v_mov_b32_e32 v65, v112
	s_or_b32 exec_lo, exec_lo, s38
	s_and_saveexec_b32 s38, s63
	s_cbranch_execnz .LBB240_1216
.LBB240_1695:
	s_or_b32 exec_lo, exec_lo, s38
	s_and_saveexec_b32 s38, s72
	s_cbranch_execz .LBB240_1217
.LBB240_1696:
	v_mov_b32_e32 v112, 0xcccd
	v_mul_u32_u24_sdwa v113, v52, v112 dst_sel:DWORD dst_unused:UNUSED_PAD src0_sel:WORD_0 src1_sel:DWORD
	v_mul_u32_u24_sdwa v112, v53, v112 dst_sel:DWORD dst_unused:UNUSED_PAD src0_sel:WORD_0 src1_sel:DWORD
	v_lshrrev_b32_e32 v113, 19, v113
	v_lshrrev_b32_e32 v112, 19, v112
	v_cmp_lt_u16_e64 s35, v113, v112
	v_cndmask_b32_e64 v112, v52, v53, s35
	v_cndmask_b32_e64 v53, v53, v52, s35
	v_mov_b32_e32 v52, v112
	s_or_b32 exec_lo, exec_lo, s38
	s_and_saveexec_b32 s38, s73
	s_cbranch_execnz .LBB240_1218
.LBB240_1697:
	s_or_b32 exec_lo, exec_lo, s38
	s_and_saveexec_b32 s38, s74
	s_cbranch_execz .LBB240_1219
.LBB240_1698:
	v_mov_b32_e32 v112, 0xcccd
	v_mul_u32_u24_sdwa v113, v49, v112 dst_sel:DWORD dst_unused:UNUSED_PAD src0_sel:WORD_0 src1_sel:DWORD
	v_mul_u32_u24_sdwa v112, v50, v112 dst_sel:DWORD dst_unused:UNUSED_PAD src0_sel:WORD_0 src1_sel:DWORD
	v_lshrrev_b32_e32 v113, 19, v113
	v_lshrrev_b32_e32 v112, 19, v112
	v_cmp_lt_u16_e64 s35, v113, v112
	v_cndmask_b32_e64 v112, v50, v49, s35
	v_cndmask_b32_e64 v49, v49, v50, s35
	v_mov_b32_e32 v50, v112
	s_or_b32 exec_lo, exec_lo, s38
	s_and_saveexec_b32 s38, s75
	s_cbranch_execnz .LBB240_1220
.LBB240_1699:
	s_or_b32 exec_lo, exec_lo, s38
	s_and_saveexec_b32 s38, s76
	s_cbranch_execz .LBB240_1221
.LBB240_1700:
	v_mov_b32_e32 v112, 0xcccd
	v_mul_u32_u24_sdwa v113, v38, v112 dst_sel:DWORD dst_unused:UNUSED_PAD src0_sel:WORD_0 src1_sel:DWORD
	v_mul_u32_u24_sdwa v112, v101, v112 dst_sel:DWORD dst_unused:UNUSED_PAD src0_sel:WORD_0 src1_sel:DWORD
	v_lshrrev_b32_e32 v113, 19, v113
	v_lshrrev_b32_e32 v112, 19, v112
	v_cmp_lt_u16_e64 s35, v113, v112
	v_cndmask_b32_e64 v112, v101, v38, s35
	v_cndmask_b32_e64 v38, v38, v101, s35
	v_mov_b32_e32 v101, v112
	s_or_b32 exec_lo, exec_lo, s38
	s_and_saveexec_b32 s38, s77
	s_cbranch_execnz .LBB240_1222
.LBB240_1701:
	s_or_b32 exec_lo, exec_lo, s38
	s_and_saveexec_b32 s38, s78
	s_cbranch_execz .LBB240_1223
.LBB240_1702:
	v_mov_b32_e32 v112, 0xcccd
	v_mul_u32_u24_sdwa v113, v96, v112 dst_sel:DWORD dst_unused:UNUSED_PAD src0_sel:WORD_0 src1_sel:DWORD
	v_mul_u32_u24_sdwa v112, v98, v112 dst_sel:DWORD dst_unused:UNUSED_PAD src0_sel:WORD_0 src1_sel:DWORD
	v_lshrrev_b32_e32 v113, 19, v113
	v_lshrrev_b32_e32 v112, 19, v112
	v_cmp_lt_u16_e64 s35, v113, v112
	v_cndmask_b32_e64 v112, v96, v98, s35
	v_cndmask_b32_e64 v98, v98, v96, s35
	v_mov_b32_e32 v96, v112
	s_or_b32 exec_lo, exec_lo, s38
	s_and_saveexec_b32 s38, s79
	s_cbranch_execnz .LBB240_1224
.LBB240_1703:
	s_or_b32 exec_lo, exec_lo, s38
	s_and_saveexec_b32 s38, s88
	s_cbranch_execz .LBB240_1225
.LBB240_1704:
	v_mov_b32_e32 v112, 0xcccd
	v_mul_u32_u24_sdwa v113, v84, v112 dst_sel:DWORD dst_unused:UNUSED_PAD src0_sel:WORD_0 src1_sel:DWORD
	v_mul_u32_u24_sdwa v112, v85, v112 dst_sel:DWORD dst_unused:UNUSED_PAD src0_sel:WORD_0 src1_sel:DWORD
	v_lshrrev_b32_e32 v113, 19, v113
	v_lshrrev_b32_e32 v112, 19, v112
	v_cmp_lt_u16_e64 s35, v113, v112
	v_cndmask_b32_e64 v112, v84, v85, s35
	v_cndmask_b32_e64 v85, v85, v84, s35
	v_mov_b32_e32 v84, v112
	s_or_b32 exec_lo, exec_lo, s38
	s_and_saveexec_b32 s38, s89
	s_cbranch_execnz .LBB240_1226
.LBB240_1705:
	s_or_b32 exec_lo, exec_lo, s38
	s_and_saveexec_b32 s38, s90
	s_cbranch_execz .LBB240_1227
.LBB240_1706:
	v_mov_b32_e32 v112, 0xcccd
	v_mul_u32_u24_sdwa v113, v80, v112 dst_sel:DWORD dst_unused:UNUSED_PAD src0_sel:WORD_0 src1_sel:DWORD
	v_mul_u32_u24_sdwa v112, v81, v112 dst_sel:DWORD dst_unused:UNUSED_PAD src0_sel:WORD_0 src1_sel:DWORD
	v_lshrrev_b32_e32 v113, 19, v113
	v_lshrrev_b32_e32 v112, 19, v112
	v_cmp_lt_u16_e64 s35, v113, v112
	v_cndmask_b32_e64 v112, v80, v81, s35
	v_cndmask_b32_e64 v81, v81, v80, s35
	v_mov_b32_e32 v80, v112
	s_or_b32 exec_lo, exec_lo, s38
	s_and_saveexec_b32 s38, s91
	s_cbranch_execnz .LBB240_1228
.LBB240_1707:
	s_or_b32 exec_lo, exec_lo, s38
	s_and_saveexec_b32 s38, s92
	s_cbranch_execz .LBB240_1229
.LBB240_1708:
	v_mov_b32_e32 v112, 0xcccd
	v_mul_u32_u24_sdwa v113, v68, v112 dst_sel:DWORD dst_unused:UNUSED_PAD src0_sel:WORD_0 src1_sel:DWORD
	v_mul_u32_u24_sdwa v112, v69, v112 dst_sel:DWORD dst_unused:UNUSED_PAD src0_sel:WORD_0 src1_sel:DWORD
	v_lshrrev_b32_e32 v113, 19, v113
	v_lshrrev_b32_e32 v112, 19, v112
	v_cmp_lt_u16_e64 s35, v113, v112
	v_cndmask_b32_e64 v112, v68, v69, s35
	v_cndmask_b32_e64 v69, v69, v68, s35
	v_mov_b32_e32 v68, v112
	s_or_b32 exec_lo, exec_lo, s38
	s_and_saveexec_b32 s38, s93
	s_cbranch_execnz .LBB240_1230
.LBB240_1709:
	s_or_b32 exec_lo, exec_lo, s38
	s_and_saveexec_b32 s38, s94
	s_cbranch_execz .LBB240_1231
.LBB240_1710:
	v_mov_b32_e32 v112, 0xcccd
	v_mul_u32_u24_sdwa v113, v64, v112 dst_sel:DWORD dst_unused:UNUSED_PAD src0_sel:WORD_0 src1_sel:DWORD
	v_mul_u32_u24_sdwa v112, v65, v112 dst_sel:DWORD dst_unused:UNUSED_PAD src0_sel:WORD_0 src1_sel:DWORD
	v_lshrrev_b32_e32 v113, 19, v113
	v_lshrrev_b32_e32 v112, 19, v112
	v_cmp_lt_u16_e64 s35, v113, v112
	v_cndmask_b32_e64 v112, v64, v65, s35
	v_cndmask_b32_e64 v65, v65, v64, s35
	v_mov_b32_e32 v64, v112
	s_or_b32 exec_lo, exec_lo, s38
	s_and_saveexec_b32 s38, s95
	s_cbranch_execnz .LBB240_1232
.LBB240_1711:
	s_or_b32 exec_lo, exec_lo, s38
	s_and_saveexec_b32 s38, vcc_hi
	s_cbranch_execz .LBB240_1233
.LBB240_1712:
	v_mov_b32_e32 v112, 0xcccd
	v_mul_u32_u24_sdwa v113, v51, v112 dst_sel:DWORD dst_unused:UNUSED_PAD src0_sel:WORD_0 src1_sel:DWORD
	v_mul_u32_u24_sdwa v112, v52, v112 dst_sel:DWORD dst_unused:UNUSED_PAD src0_sel:WORD_0 src1_sel:DWORD
	v_lshrrev_b32_e32 v113, 19, v113
	v_lshrrev_b32_e32 v112, 19, v112
	v_cmp_lt_u16_e64 s35, v113, v112
	v_cndmask_b32_e64 v112, v51, v52, s35
	v_cndmask_b32_e64 v52, v52, v51, s35
	v_mov_b32_e32 v51, v112
	s_or_b32 exec_lo, exec_lo, s38
	s_and_saveexec_b32 s38, s30
	s_cbranch_execnz .LBB240_1234
.LBB240_1713:
	s_or_b32 exec_lo, exec_lo, s38
	s_and_saveexec_b32 s38, s31
	s_cbranch_execz .LBB240_1235
.LBB240_1714:
	v_mov_b32_e32 v112, 0xcccd
	v_mul_u32_u24_sdwa v113, v48, v112 dst_sel:DWORD dst_unused:UNUSED_PAD src0_sel:WORD_0 src1_sel:DWORD
	v_mul_u32_u24_sdwa v112, v49, v112 dst_sel:DWORD dst_unused:UNUSED_PAD src0_sel:WORD_0 src1_sel:DWORD
	v_lshrrev_b32_e32 v113, 19, v113
	v_lshrrev_b32_e32 v112, 19, v112
	v_cmp_lt_u16_e64 s35, v113, v112
	v_cndmask_b32_e64 v112, v49, v48, s35
	v_cndmask_b32_e64 v48, v48, v49, s35
	v_mov_b32_e32 v49, v112
	s_or_b32 exec_lo, exec_lo, s38
	s_and_saveexec_b32 s38, s34
	s_cbranch_execnz .LBB240_1236
.LBB240_1715:
	s_or_b32 exec_lo, exec_lo, s38
	s_and_saveexec_b32 s35, s8
	s_cbranch_execz .LBB240_1237
.LBB240_1716:
	v_mov_b32_e32 v112, 0xcccd
	v_mul_u32_u24_sdwa v113, v100, v112 dst_sel:DWORD dst_unused:UNUSED_PAD src0_sel:WORD_0 src1_sel:DWORD
	v_mul_u32_u24_sdwa v112, v97, v112 dst_sel:DWORD dst_unused:UNUSED_PAD src0_sel:WORD_0 src1_sel:DWORD
	v_lshrrev_b32_e32 v113, 19, v113
	v_lshrrev_b32_e32 v112, 19, v112
	v_cmp_lt_u16_e64 s8, v113, v112
	v_cndmask_b32_e64 v112, v100, v97, s8
	v_cndmask_b32_e64 v97, v97, v100, s8
	v_mov_b32_e32 v100, v112
	s_or_b32 exec_lo, exec_lo, s35
	s_and_saveexec_b32 s35, s9
	s_cbranch_execnz .LBB240_1238
.LBB240_1717:
	s_or_b32 exec_lo, exec_lo, s35
	s_and_saveexec_b32 s9, s12
	s_cbranch_execz .LBB240_1239
.LBB240_1718:
	v_mov_b32_e32 v112, 0xcccd
	v_mul_u32_u24_sdwa v113, v87, v112 dst_sel:DWORD dst_unused:UNUSED_PAD src0_sel:WORD_0 src1_sel:DWORD
	v_mul_u32_u24_sdwa v112, v96, v112 dst_sel:DWORD dst_unused:UNUSED_PAD src0_sel:WORD_0 src1_sel:DWORD
	v_lshrrev_b32_e32 v113, 19, v113
	v_lshrrev_b32_e32 v112, 19, v112
	v_cmp_lt_u16_e64 s8, v113, v112
	v_cndmask_b32_e64 v112, v87, v96, s8
	v_cndmask_b32_e64 v96, v96, v87, s8
	v_mov_b32_e32 v87, v112
	s_or_b32 exec_lo, exec_lo, s9
	s_and_saveexec_b32 s9, s13
	s_cbranch_execnz .LBB240_1240
.LBB240_1719:
	s_or_b32 exec_lo, exec_lo, s9
	s_and_saveexec_b32 s9, s57
	s_cbranch_execz .LBB240_1241
.LBB240_1720:
	v_mov_b32_e32 v112, 0xcccd
	v_mul_u32_u24_sdwa v113, v83, v112 dst_sel:DWORD dst_unused:UNUSED_PAD src0_sel:WORD_0 src1_sel:DWORD
	v_mul_u32_u24_sdwa v112, v84, v112 dst_sel:DWORD dst_unused:UNUSED_PAD src0_sel:WORD_0 src1_sel:DWORD
	v_lshrrev_b32_e32 v113, 19, v113
	v_lshrrev_b32_e32 v112, 19, v112
	v_cmp_lt_u16_e64 s8, v113, v112
	v_cndmask_b32_e64 v112, v83, v84, s8
	v_cndmask_b32_e64 v84, v84, v83, s8
	v_mov_b32_e32 v83, v112
	s_or_b32 exec_lo, exec_lo, s9
	s_and_saveexec_b32 s9, s58
	s_cbranch_execnz .LBB240_1242
.LBB240_1721:
	s_or_b32 exec_lo, exec_lo, s9
	s_and_saveexec_b32 s9, s59
	s_cbranch_execz .LBB240_1243
.LBB240_1722:
	v_mov_b32_e32 v112, 0xcccd
	v_mul_u32_u24_sdwa v113, v71, v112 dst_sel:DWORD dst_unused:UNUSED_PAD src0_sel:WORD_0 src1_sel:DWORD
	v_mul_u32_u24_sdwa v112, v80, v112 dst_sel:DWORD dst_unused:UNUSED_PAD src0_sel:WORD_0 src1_sel:DWORD
	v_lshrrev_b32_e32 v113, 19, v113
	v_lshrrev_b32_e32 v112, 19, v112
	v_cmp_lt_u16_e64 s8, v113, v112
	v_cndmask_b32_e64 v112, v71, v80, s8
	v_cndmask_b32_e64 v80, v80, v71, s8
	v_mov_b32_e32 v71, v112
	s_or_b32 exec_lo, exec_lo, s9
	s_and_saveexec_b32 s9, s60
	s_cbranch_execnz .LBB240_1244
.LBB240_1723:
	s_or_b32 exec_lo, exec_lo, s9
	s_and_saveexec_b32 s9, s61
	s_cbranch_execz .LBB240_1245
.LBB240_1724:
	v_mov_b32_e32 v112, 0xcccd
	v_mul_u32_u24_sdwa v113, v67, v112 dst_sel:DWORD dst_unused:UNUSED_PAD src0_sel:WORD_0 src1_sel:DWORD
	v_mul_u32_u24_sdwa v112, v68, v112 dst_sel:DWORD dst_unused:UNUSED_PAD src0_sel:WORD_0 src1_sel:DWORD
	v_lshrrev_b32_e32 v113, 19, v113
	v_lshrrev_b32_e32 v112, 19, v112
	v_cmp_lt_u16_e64 s8, v113, v112
	v_cndmask_b32_e64 v112, v67, v68, s8
	v_cndmask_b32_e64 v68, v68, v67, s8
	v_mov_b32_e32 v67, v112
	s_or_b32 exec_lo, exec_lo, s9
	s_and_saveexec_b32 s9, s62
	s_cbranch_execnz .LBB240_1246
.LBB240_1725:
	s_or_b32 exec_lo, exec_lo, s9
	s_and_saveexec_b32 s9, s63
	s_cbranch_execz .LBB240_1247
.LBB240_1726:
	v_mov_b32_e32 v112, 0xcccd
	v_mul_u32_u24_sdwa v113, v55, v112 dst_sel:DWORD dst_unused:UNUSED_PAD src0_sel:WORD_0 src1_sel:DWORD
	v_mul_u32_u24_sdwa v112, v64, v112 dst_sel:DWORD dst_unused:UNUSED_PAD src0_sel:WORD_0 src1_sel:DWORD
	v_lshrrev_b32_e32 v113, 19, v113
	v_lshrrev_b32_e32 v112, 19, v112
	v_cmp_lt_u16_e64 s8, v113, v112
	v_cndmask_b32_e64 v112, v55, v64, s8
	v_cndmask_b32_e64 v64, v64, v55, s8
	v_mov_b32_e32 v55, v112
	s_or_b32 exec_lo, exec_lo, s9
	s_and_saveexec_b32 s9, s72
	s_cbranch_execnz .LBB240_1248
.LBB240_1727:
	s_or_b32 exec_lo, exec_lo, s9
	s_and_saveexec_b32 s9, s73
	s_cbranch_execz .LBB240_1249
.LBB240_1728:
	v_mov_b32_e32 v112, 0xcccd
	v_mul_u32_u24_sdwa v113, v54, v112 dst_sel:DWORD dst_unused:UNUSED_PAD src0_sel:WORD_0 src1_sel:DWORD
	v_mul_u32_u24_sdwa v112, v51, v112 dst_sel:DWORD dst_unused:UNUSED_PAD src0_sel:WORD_0 src1_sel:DWORD
	v_lshrrev_b32_e32 v113, 19, v113
	v_lshrrev_b32_e32 v112, 19, v112
	v_cmp_lt_u16_e64 s8, v113, v112
	v_cndmask_b32_e64 v112, v54, v51, s8
	v_cndmask_b32_e64 v51, v51, v54, s8
	v_mov_b32_e32 v54, v112
	s_or_b32 exec_lo, exec_lo, s9
	s_and_saveexec_b32 s9, s74
	s_cbranch_execnz .LBB240_1250
.LBB240_1729:
	s_or_b32 exec_lo, exec_lo, s9
	s_and_saveexec_b32 s9, s75
	s_cbranch_execz .LBB240_1251
.LBB240_1730:
	v_mov_b32_e32 v112, 0xcccd
	v_mul_u32_u24_sdwa v113, v39, v112 dst_sel:DWORD dst_unused:UNUSED_PAD src0_sel:WORD_0 src1_sel:DWORD
	v_mul_u32_u24_sdwa v112, v48, v112 dst_sel:DWORD dst_unused:UNUSED_PAD src0_sel:WORD_0 src1_sel:DWORD
	v_lshrrev_b32_e32 v113, 19, v113
	v_lshrrev_b32_e32 v112, 19, v112
	v_cmp_lt_u16_e64 s8, v113, v112
	v_cndmask_b32_e64 v112, v48, v39, s8
	v_cndmask_b32_e64 v39, v39, v48, s8
	v_mov_b32_e32 v48, v112
	s_or_b32 exec_lo, exec_lo, s9
	s_and_saveexec_b32 s9, s76
	s_cbranch_execnz .LBB240_1252
.LBB240_1731:
	s_or_b32 exec_lo, exec_lo, s9
	s_and_saveexec_b32 s9, s77
	s_cbranch_execz .LBB240_1253
.LBB240_1732:
	v_mov_b32_e32 v112, 0xcccd
	v_mul_u32_u24_sdwa v113, v99, v112 dst_sel:DWORD dst_unused:UNUSED_PAD src0_sel:WORD_0 src1_sel:DWORD
	v_mul_u32_u24_sdwa v112, v100, v112 dst_sel:DWORD dst_unused:UNUSED_PAD src0_sel:WORD_0 src1_sel:DWORD
	v_lshrrev_b32_e32 v113, 19, v113
	v_lshrrev_b32_e32 v112, 19, v112
	v_cmp_lt_u16_e64 s8, v113, v112
	v_cndmask_b32_e64 v112, v99, v100, s8
	v_cndmask_b32_e64 v100, v100, v99, s8
	v_mov_b32_e32 v99, v112
	s_or_b32 exec_lo, exec_lo, s9
	s_and_saveexec_b32 s9, s78
	s_cbranch_execnz .LBB240_1254
.LBB240_1733:
	s_or_b32 exec_lo, exec_lo, s9
	s_and_saveexec_b32 s9, s79
	s_cbranch_execz .LBB240_1255
.LBB240_1734:
	v_mov_b32_e32 v112, 0xcccd
	v_mul_u32_u24_sdwa v113, v86, v112 dst_sel:DWORD dst_unused:UNUSED_PAD src0_sel:WORD_0 src1_sel:DWORD
	v_mul_u32_u24_sdwa v112, v87, v112 dst_sel:DWORD dst_unused:UNUSED_PAD src0_sel:WORD_0 src1_sel:DWORD
	v_lshrrev_b32_e32 v113, 19, v113
	v_lshrrev_b32_e32 v112, 19, v112
	v_cmp_lt_u16_e64 s8, v113, v112
	v_cndmask_b32_e64 v112, v86, v87, s8
	v_cndmask_b32_e64 v87, v87, v86, s8
	v_mov_b32_e32 v86, v112
	s_or_b32 exec_lo, exec_lo, s9
	s_and_saveexec_b32 s9, s88
	s_cbranch_execnz .LBB240_1256
.LBB240_1735:
	s_or_b32 exec_lo, exec_lo, s9
	s_and_saveexec_b32 s9, s89
	s_cbranch_execz .LBB240_1257
.LBB240_1736:
	v_mov_b32_e32 v112, 0xcccd
	v_mul_u32_u24_sdwa v113, v82, v112 dst_sel:DWORD dst_unused:UNUSED_PAD src0_sel:WORD_0 src1_sel:DWORD
	v_mul_u32_u24_sdwa v112, v83, v112 dst_sel:DWORD dst_unused:UNUSED_PAD src0_sel:WORD_0 src1_sel:DWORD
	v_lshrrev_b32_e32 v113, 19, v113
	v_lshrrev_b32_e32 v112, 19, v112
	v_cmp_lt_u16_e64 s8, v113, v112
	v_cndmask_b32_e64 v112, v82, v83, s8
	v_cndmask_b32_e64 v83, v83, v82, s8
	v_mov_b32_e32 v82, v112
	s_or_b32 exec_lo, exec_lo, s9
	s_and_saveexec_b32 s9, s90
	s_cbranch_execnz .LBB240_1258
.LBB240_1737:
	s_or_b32 exec_lo, exec_lo, s9
	s_and_saveexec_b32 s9, s91
	s_cbranch_execz .LBB240_1259
.LBB240_1738:
	v_mov_b32_e32 v112, 0xcccd
	v_mul_u32_u24_sdwa v113, v70, v112 dst_sel:DWORD dst_unused:UNUSED_PAD src0_sel:WORD_0 src1_sel:DWORD
	v_mul_u32_u24_sdwa v112, v71, v112 dst_sel:DWORD dst_unused:UNUSED_PAD src0_sel:WORD_0 src1_sel:DWORD
	v_lshrrev_b32_e32 v113, 19, v113
	v_lshrrev_b32_e32 v112, 19, v112
	v_cmp_lt_u16_e64 s8, v113, v112
	v_cndmask_b32_e64 v112, v70, v71, s8
	v_cndmask_b32_e64 v71, v71, v70, s8
	v_mov_b32_e32 v70, v112
	s_or_b32 exec_lo, exec_lo, s9
	s_and_saveexec_b32 s9, s92
	s_cbranch_execnz .LBB240_1260
.LBB240_1739:
	s_or_b32 exec_lo, exec_lo, s9
	s_and_saveexec_b32 s9, s93
	s_cbranch_execz .LBB240_1261
.LBB240_1740:
	v_mov_b32_e32 v112, 0xcccd
	v_mul_u32_u24_sdwa v113, v66, v112 dst_sel:DWORD dst_unused:UNUSED_PAD src0_sel:WORD_0 src1_sel:DWORD
	v_mul_u32_u24_sdwa v112, v67, v112 dst_sel:DWORD dst_unused:UNUSED_PAD src0_sel:WORD_0 src1_sel:DWORD
	v_lshrrev_b32_e32 v113, 19, v113
	v_lshrrev_b32_e32 v112, 19, v112
	v_cmp_lt_u16_e64 s8, v113, v112
	v_cndmask_b32_e64 v112, v66, v67, s8
	v_cndmask_b32_e64 v67, v67, v66, s8
	v_mov_b32_e32 v66, v112
	s_or_b32 exec_lo, exec_lo, s9
	s_and_saveexec_b32 s9, s94
	s_cbranch_execnz .LBB240_1262
.LBB240_1741:
	s_or_b32 exec_lo, exec_lo, s9
	s_and_saveexec_b32 s9, s95
	s_cbranch_execz .LBB240_1263
.LBB240_1742:
	v_mov_b32_e32 v112, 0xcccd
	v_mul_u32_u24_sdwa v113, v53, v112 dst_sel:DWORD dst_unused:UNUSED_PAD src0_sel:WORD_0 src1_sel:DWORD
	v_mul_u32_u24_sdwa v112, v55, v112 dst_sel:DWORD dst_unused:UNUSED_PAD src0_sel:WORD_0 src1_sel:DWORD
	v_lshrrev_b32_e32 v113, 19, v113
	v_lshrrev_b32_e32 v112, 19, v112
	v_cmp_lt_u16_e64 s8, v113, v112
	v_cndmask_b32_e64 v112, v53, v55, s8
	v_cndmask_b32_e64 v55, v55, v53, s8
	v_mov_b32_e32 v53, v112
	s_or_b32 exec_lo, exec_lo, s9
	s_and_saveexec_b32 s9, vcc_hi
	s_cbranch_execnz .LBB240_1264
.LBB240_1743:
	s_or_b32 exec_lo, exec_lo, s9
	s_and_saveexec_b32 s9, s30
	s_cbranch_execz .LBB240_1265
.LBB240_1744:
	v_mov_b32_e32 v112, 0xcccd
	v_mul_u32_u24_sdwa v113, v50, v112 dst_sel:DWORD dst_unused:UNUSED_PAD src0_sel:WORD_0 src1_sel:DWORD
	v_mul_u32_u24_sdwa v112, v54, v112 dst_sel:DWORD dst_unused:UNUSED_PAD src0_sel:WORD_0 src1_sel:DWORD
	v_lshrrev_b32_e32 v113, 19, v113
	v_lshrrev_b32_e32 v112, 19, v112
	v_cmp_lt_u16_e64 s8, v113, v112
	v_cndmask_b32_e64 v112, v54, v50, s8
	v_cndmask_b32_e64 v50, v50, v54, s8
	v_mov_b32_e32 v54, v112
	s_or_b32 exec_lo, exec_lo, s9
	s_and_saveexec_b32 s9, s31
	s_cbranch_execnz .LBB240_1266
.LBB240_1745:
	s_or_b32 exec_lo, exec_lo, s9
	s_and_saveexec_b32 s9, s34
	s_cbranch_execz .LBB240_1747
.LBB240_1746:
	v_mov_b32_e32 v112, 0xcccd
	v_mul_u32_u24_sdwa v113, v101, v112 dst_sel:DWORD dst_unused:UNUSED_PAD src0_sel:WORD_0 src1_sel:DWORD
	v_mul_u32_u24_sdwa v112, v39, v112 dst_sel:DWORD dst_unused:UNUSED_PAD src0_sel:WORD_0 src1_sel:DWORD
	v_lshrrev_b32_e32 v113, 19, v113
	v_lshrrev_b32_e32 v112, 19, v112
	v_cmp_lt_u16_e64 s8, v113, v112
	v_cndmask_b32_e64 v112, v39, v101, s8
	v_cndmask_b32_e64 v101, v101, v39, s8
	v_mov_b32_e32 v39, v112
.LBB240_1747:
	s_or_b32 exec_lo, exec_lo, s9
	v_and_b32_e32 v112, 0xfffffc00, v103
	v_mov_b32_e32 v113, 0
	v_mbcnt_lo_u32_b32 v103, -1, 0
	s_mov_b32 s9, 0
	s_mov_b32 s12, exec_lo
	v_sub_nc_u32_e64 v177, v0, v112 clamp
	v_lshlrev_b64 v[113:114], 1, v[112:113]
	v_lshlrev_b32_e32 v178, 5, v103
	v_and_b32_e32 v112, 32, v178
	v_add_co_u32 v176, null, 0, v113
	v_and_b32_e32 v243, 0x3c0, v178
	v_min_u32_e32 v244, v177, v112
	v_lshl_add_u32 v179, v103, 6, v176
	v_or_b32_e32 v103, 32, v178
	ds_write_b16 v179, v97
	ds_write_b16 v179, v100 offset:2
	ds_write_b16 v179, v99 offset:4
	;; [unrolled: 1-line block ×13, first 2 shown]
	v_min_u32_e32 v241, v177, v103
	ds_write_b16 v179, v70 offset:28
	ds_write_b16 v179, v69 offset:30
	;; [unrolled: 1-line block ×12, first 2 shown]
	v_add_nc_u32_e32 v103, 32, v241
	v_sub_nc_u32_e32 v112, v241, v243
	ds_write_b16 v179, v50 offset:52
	ds_write_b16 v179, v49 offset:54
	;; [unrolled: 1-line block ×6, first 2 shown]
	; wave barrier
	v_min_u32_e32 v242, v177, v103
	v_sub_nc_u32_e32 v103, v242, v241
	v_sub_nc_u32_e64 v245, v244, v103 clamp
	v_min_u32_e32 v103, v244, v112
	v_cmpx_lt_u32_e64 v245, v103
	s_cbranch_execz .LBB240_1751
; %bb.1748:
	v_lshlrev_b32_e32 v112, 1, v243
	v_lshlrev_b32_e32 v113, 1, v241
	v_add_co_u32 v112, null, v176, v112
	v_add_co_u32 v113, null, v176, v113
	.p2align	6
.LBB240_1749:                           ; =>This Inner Loop Header: Depth=1
	v_add_nc_u32_e32 v114, v103, v245
	v_lshrrev_b32_e32 v115, 1, v114
	v_and_b32_e32 v114, -2, v114
	v_xad_u32 v116, v115, -1, v244
	v_add_nc_u32_e32 v114, v112, v114
	v_add_nc_u32_e32 v117, 1, v115
	v_lshl_add_u32 v116, v116, 1, v113
	ds_read_u16 v114, v114
	ds_read_u16 v116, v116
	s_waitcnt lgkmcnt(1)
	v_mul_u32_u24_e32 v114, 0xcccd, v114
	s_waitcnt lgkmcnt(0)
	v_mul_u32_u24_e32 v116, 0xcccd, v116
	v_lshrrev_b32_e32 v114, 19, v114
	v_lshrrev_b32_e32 v116, 19, v116
	v_cmp_lt_u16_e64 s8, v116, v114
	v_cndmask_b32_e64 v103, v103, v115, s8
	v_cndmask_b32_e64 v245, v117, v245, s8
	v_cmp_ge_u32_e64 s8, v245, v103
	s_or_b32 s9, s8, s9
	s_andn2_b32 exec_lo, exec_lo, s9
	s_cbranch_execnz .LBB240_1749
; %bb.1750:
	s_or_b32 exec_lo, exec_lo, s9
.LBB240_1751:
	s_or_b32 exec_lo, exec_lo, s12
	v_add_nc_u32_e32 v244, v241, v244
	v_add_nc_u32_e32 v243, v245, v243
	;; [unrolled: 1-line block ×5, first 2 shown]
	v_sub_nc_u32_e32 v244, v244, v245
	v_cmp_le_u32_e64 s8, v243, v241
	v_or_b32_e32 v113, 2, v37
	v_add_nc_u32_e32 v114, 4, v37
	v_add_nc_u32_e32 v115, 6, v37
	v_cmp_le_u32_e64 s9, v244, v242
	v_add_nc_u32_e32 v116, 8, v37
	v_add_nc_u32_e32 v117, 10, v37
	;; [unrolled: 1-line block ×59, first 2 shown]
	s_or_b32 s8, s8, s9
	s_and_saveexec_b32 s12, s8
	s_cbranch_execz .LBB240_1883
; %bb.1752:
	v_cmp_ge_u32_e64 s8, v243, v241
	s_mov_b32 s13, exec_lo
                                        ; implicit-def: $vgpr97
	v_cmpx_lt_u32_e64 v243, v241
; %bb.1753:
	v_lshl_add_u32 v38, v243, 1, v176
	ds_read_u16 v97, v38
; %bb.1754:
	s_or_b32 exec_lo, exec_lo, s13
	v_cmp_ge_u32_e64 s13, v244, v242
	s_mov_b32 s57, exec_lo
                                        ; implicit-def: $vgpr101
	v_cmpx_lt_u32_e64 v244, v242
; %bb.1755:
	v_lshl_add_u32 v38, v244, 1, v176
	ds_read_u16 v101, v38
; %bb.1756:
	s_or_b32 exec_lo, exec_lo, s57
	s_nor_b32 s8, s8, s13
	s_and_saveexec_b32 s9, s8
	s_cbranch_execz .LBB240_1758
; %bb.1757:
	v_mov_b32_e32 v38, 0xcccd
	s_andn2_b32 s13, s13, exec_lo
	s_waitcnt lgkmcnt(0)
	v_mul_u32_u24_sdwa v39, v101, v38 dst_sel:DWORD dst_unused:UNUSED_PAD src0_sel:WORD_0 src1_sel:DWORD
	v_mul_u32_u24_sdwa v38, v97, v38 dst_sel:DWORD dst_unused:UNUSED_PAD src0_sel:WORD_0 src1_sel:DWORD
	v_lshrrev_b32_e32 v39, 19, v39
	v_lshrrev_b32_e32 v38, 19, v38
	v_cmp_ge_u16_e64 s8, v39, v38
	s_and_b32 s8, s8, exec_lo
	s_or_b32 s13, s13, s8
.LBB240_1758:
	s_or_b32 exec_lo, exec_lo, s9
	v_cndmask_b32_e64 v38, v244, v243, s13
	v_cndmask_b32_e64 v39, v242, v241, s13
	s_mov_b32 s57, -1
	s_mov_b32 s9, -1
	s_mov_b32 s58, exec_lo
	v_add_nc_u32_e32 v48, 1, v38
	v_add_nc_u32_e32 v38, -1, v39
	v_cndmask_b32_e64 v39, v243, v48, s13
	v_min_u32_e32 v38, v48, v38
	v_lshl_add_u32 v38, v38, 1, v176
	ds_read_u16 v49, v38
	v_cndmask_b32_e64 v38, v48, v244, s13
	s_waitcnt lgkmcnt(0)
	v_cndmask_b32_e64 v100, v49, v101, s13
	v_cndmask_b32_e64 v243, v97, v49, s13
	v_cmpx_lt_u32_e64 v38, v242
	s_cbranch_execz .LBB240_1762
; %bb.1759:
	s_mov_b32 s59, 0
	s_mov_b32 s9, exec_lo
	v_cmpx_lt_u32_e64 v39, v241
; %bb.1760:
	v_mov_b32_e32 v48, 0xcccd
	v_mul_u32_u24_sdwa v49, v100, v48 dst_sel:DWORD dst_unused:UNUSED_PAD src0_sel:WORD_0 src1_sel:DWORD
	v_mul_u32_u24_sdwa v48, v243, v48 dst_sel:DWORD dst_unused:UNUSED_PAD src0_sel:WORD_0 src1_sel:DWORD
	v_lshrrev_b32_e32 v49, 19, v49
	v_lshrrev_b32_e32 v48, 19, v48
	v_cmp_ge_u16_e64 s8, v49, v48
	s_and_b32 s59, s8, exec_lo
; %bb.1761:
	s_or_b32 exec_lo, exec_lo, s9
	s_orn2_b32 s9, s59, exec_lo
.LBB240_1762:
	s_or_b32 exec_lo, exec_lo, s58
	v_cndmask_b32_e64 v48, v38, v39, s9
	v_cndmask_b32_e64 v49, v242, v241, s9
	s_mov_b32 s58, exec_lo
	v_add_nc_u32_e32 v48, 1, v48
	v_add_nc_u32_e32 v49, -1, v49
	v_cndmask_b32_e64 v38, v48, v38, s9
	v_min_u32_e32 v49, v48, v49
	v_cndmask_b32_e64 v39, v39, v48, s9
	v_lshl_add_u32 v49, v49, 1, v176
	ds_read_u16 v49, v49
	s_waitcnt lgkmcnt(0)
	v_cndmask_b32_e64 v99, v49, v100, s9
	v_cndmask_b32_e64 v244, v243, v49, s9
	v_cmpx_lt_u32_e64 v38, v242
	s_cbranch_execz .LBB240_1766
; %bb.1763:
	s_mov_b32 s59, 0
	s_mov_b32 s57, exec_lo
	v_cmpx_lt_u32_e64 v39, v241
; %bb.1764:
	v_mov_b32_e32 v48, 0xcccd
	v_mul_u32_u24_sdwa v49, v99, v48 dst_sel:DWORD dst_unused:UNUSED_PAD src0_sel:WORD_0 src1_sel:DWORD
	v_mul_u32_u24_sdwa v48, v244, v48 dst_sel:DWORD dst_unused:UNUSED_PAD src0_sel:WORD_0 src1_sel:DWORD
	v_lshrrev_b32_e32 v49, 19, v49
	v_lshrrev_b32_e32 v48, 19, v48
	v_cmp_ge_u16_e64 s8, v49, v48
	s_and_b32 s59, s8, exec_lo
; %bb.1765:
	s_or_b32 exec_lo, exec_lo, s57
	s_orn2_b32 s57, s59, exec_lo
.LBB240_1766:
	s_or_b32 exec_lo, exec_lo, s58
	v_cndmask_b32_e64 v48, v38, v39, s57
	v_cndmask_b32_e64 v49, v242, v241, s57
	s_mov_b32 s59, -1
	s_mov_b32 s58, -1
	s_mov_b32 s60, exec_lo
	v_add_nc_u32_e32 v48, 1, v48
	v_add_nc_u32_e32 v49, -1, v49
	v_cndmask_b32_e64 v38, v48, v38, s57
	v_min_u32_e32 v49, v48, v49
	v_cndmask_b32_e64 v39, v39, v48, s57
	v_lshl_add_u32 v49, v49, 1, v176
	ds_read_u16 v49, v49
	s_waitcnt lgkmcnt(0)
	v_cndmask_b32_e64 v98, v49, v99, s57
	v_cndmask_b32_e64 v245, v244, v49, s57
	v_cmpx_lt_u32_e64 v38, v242
	s_cbranch_execz .LBB240_1770
; %bb.1767:
	s_mov_b32 s61, 0
	s_mov_b32 s58, exec_lo
	v_cmpx_lt_u32_e64 v39, v241
; %bb.1768:
	v_mov_b32_e32 v48, 0xcccd
	v_mul_u32_u24_sdwa v49, v98, v48 dst_sel:DWORD dst_unused:UNUSED_PAD src0_sel:WORD_0 src1_sel:DWORD
	v_mul_u32_u24_sdwa v48, v245, v48 dst_sel:DWORD dst_unused:UNUSED_PAD src0_sel:WORD_0 src1_sel:DWORD
	v_lshrrev_b32_e32 v49, 19, v49
	v_lshrrev_b32_e32 v48, 19, v48
	v_cmp_ge_u16_e64 s8, v49, v48
	s_and_b32 s61, s8, exec_lo
; %bb.1769:
	s_or_b32 exec_lo, exec_lo, s58
	s_orn2_b32 s58, s61, exec_lo
.LBB240_1770:
	s_or_b32 exec_lo, exec_lo, s60
	v_cndmask_b32_e64 v48, v38, v39, s58
	v_cndmask_b32_e64 v49, v242, v241, s58
	s_mov_b32 s60, exec_lo
	v_add_nc_u32_e32 v48, 1, v48
	v_add_nc_u32_e32 v49, -1, v49
	v_cndmask_b32_e64 v38, v48, v38, s58
	v_min_u32_e32 v49, v48, v49
	v_cndmask_b32_e64 v39, v39, v48, s58
	v_lshl_add_u32 v49, v49, 1, v176
	ds_read_u16 v49, v49
	s_waitcnt lgkmcnt(0)
	v_cndmask_b32_e64 v96, v49, v98, s58
	v_cndmask_b32_e64 v246, v245, v49, s58
	v_cmpx_lt_u32_e64 v38, v242
	s_cbranch_execz .LBB240_1774
; %bb.1771:
	s_mov_b32 s61, 0
	s_mov_b32 s59, exec_lo
	v_cmpx_lt_u32_e64 v39, v241
; %bb.1772:
	v_mov_b32_e32 v48, 0xcccd
	v_mul_u32_u24_sdwa v49, v96, v48 dst_sel:DWORD dst_unused:UNUSED_PAD src0_sel:WORD_0 src1_sel:DWORD
	v_mul_u32_u24_sdwa v48, v246, v48 dst_sel:DWORD dst_unused:UNUSED_PAD src0_sel:WORD_0 src1_sel:DWORD
	v_lshrrev_b32_e32 v49, 19, v49
	v_lshrrev_b32_e32 v48, 19, v48
	v_cmp_ge_u16_e64 s8, v49, v48
	s_and_b32 s61, s8, exec_lo
; %bb.1773:
	s_or_b32 exec_lo, exec_lo, s59
	s_orn2_b32 s59, s61, exec_lo
.LBB240_1774:
	s_or_b32 exec_lo, exec_lo, s60
	v_cndmask_b32_e64 v48, v38, v39, s59
	v_cndmask_b32_e64 v49, v242, v241, s59
	s_mov_b32 s61, -1
	s_mov_b32 s60, -1
	s_mov_b32 s62, exec_lo
	v_add_nc_u32_e32 v48, 1, v48
	v_add_nc_u32_e32 v49, -1, v49
	v_cndmask_b32_e64 v38, v48, v38, s59
	v_min_u32_e32 v49, v48, v49
	v_cndmask_b32_e64 v39, v39, v48, s59
	v_lshl_add_u32 v49, v49, 1, v176
	ds_read_u16 v49, v49
	s_waitcnt lgkmcnt(0)
	v_cndmask_b32_e64 v87, v49, v96, s59
	v_cndmask_b32_e64 v247, v246, v49, s59
	v_cmpx_lt_u32_e64 v38, v242
	s_cbranch_execz .LBB240_1778
; %bb.1775:
	s_mov_b32 s63, 0
	s_mov_b32 s60, exec_lo
	v_cmpx_lt_u32_e64 v39, v241
; %bb.1776:
	v_mov_b32_e32 v48, 0xcccd
	v_mul_u32_u24_sdwa v49, v87, v48 dst_sel:DWORD dst_unused:UNUSED_PAD src0_sel:WORD_0 src1_sel:DWORD
	v_mul_u32_u24_sdwa v48, v247, v48 dst_sel:DWORD dst_unused:UNUSED_PAD src0_sel:WORD_0 src1_sel:DWORD
	v_lshrrev_b32_e32 v49, 19, v49
	v_lshrrev_b32_e32 v48, 19, v48
	v_cmp_ge_u16_e64 s8, v49, v48
	s_and_b32 s63, s8, exec_lo
; %bb.1777:
	s_or_b32 exec_lo, exec_lo, s60
	s_orn2_b32 s60, s63, exec_lo
.LBB240_1778:
	s_or_b32 exec_lo, exec_lo, s62
	v_cndmask_b32_e64 v48, v38, v39, s60
	v_cndmask_b32_e64 v49, v242, v241, s60
	s_mov_b32 s62, exec_lo
	v_add_nc_u32_e32 v48, 1, v48
	v_add_nc_u32_e32 v49, -1, v49
	v_cndmask_b32_e64 v38, v48, v38, s60
	v_min_u32_e32 v49, v48, v49
	v_cndmask_b32_e64 v39, v39, v48, s60
	v_lshl_add_u32 v49, v49, 1, v176
	ds_read_u16 v49, v49
	s_waitcnt lgkmcnt(0)
	v_cndmask_b32_e64 v86, v49, v87, s60
	v_cndmask_b32_e64 v40, v247, v49, s60
	v_cmpx_lt_u32_e64 v38, v242
	s_cbranch_execz .LBB240_1782
; %bb.1779:
	s_mov_b32 s63, 0
	s_mov_b32 s61, exec_lo
	v_cmpx_lt_u32_e64 v39, v241
; %bb.1780:
	v_mov_b32_e32 v48, 0xcccd
	v_mul_u32_u24_sdwa v49, v86, v48 dst_sel:DWORD dst_unused:UNUSED_PAD src0_sel:WORD_0 src1_sel:DWORD
	v_mul_u32_u24_sdwa v48, v40, v48 dst_sel:DWORD dst_unused:UNUSED_PAD src0_sel:WORD_0 src1_sel:DWORD
	v_lshrrev_b32_e32 v49, 19, v49
	v_lshrrev_b32_e32 v48, 19, v48
	v_cmp_ge_u16_e64 s8, v49, v48
	s_and_b32 s63, s8, exec_lo
; %bb.1781:
	s_or_b32 exec_lo, exec_lo, s61
	s_orn2_b32 s61, s63, exec_lo
.LBB240_1782:
	s_or_b32 exec_lo, exec_lo, s62
	v_cndmask_b32_e64 v48, v38, v39, s61
	v_cndmask_b32_e64 v49, v242, v241, s61
	s_mov_b32 s63, -1
	s_mov_b32 s62, -1
	s_mov_b32 s72, exec_lo
	v_add_nc_u32_e32 v48, 1, v48
	v_add_nc_u32_e32 v49, -1, v49
	v_cndmask_b32_e64 v38, v48, v38, s61
	v_min_u32_e32 v49, v48, v49
	v_cndmask_b32_e64 v39, v39, v48, s61
	v_lshl_add_u32 v49, v49, 1, v176
	ds_read_u16 v49, v49
	s_waitcnt lgkmcnt(0)
	v_cndmask_b32_e64 v85, v49, v86, s61
	v_cndmask_b32_e64 v41, v40, v49, s61
	v_cmpx_lt_u32_e64 v38, v242
	s_cbranch_execz .LBB240_1786
; %bb.1783:
	s_mov_b32 s73, 0
	s_mov_b32 s62, exec_lo
	v_cmpx_lt_u32_e64 v39, v241
; %bb.1784:
	v_mov_b32_e32 v48, 0xcccd
	v_mul_u32_u24_sdwa v49, v85, v48 dst_sel:DWORD dst_unused:UNUSED_PAD src0_sel:WORD_0 src1_sel:DWORD
	v_mul_u32_u24_sdwa v48, v41, v48 dst_sel:DWORD dst_unused:UNUSED_PAD src0_sel:WORD_0 src1_sel:DWORD
	v_lshrrev_b32_e32 v49, 19, v49
	v_lshrrev_b32_e32 v48, 19, v48
	v_cmp_ge_u16_e64 s8, v49, v48
	s_and_b32 s73, s8, exec_lo
; %bb.1785:
	s_or_b32 exec_lo, exec_lo, s62
	s_orn2_b32 s62, s73, exec_lo
.LBB240_1786:
	s_or_b32 exec_lo, exec_lo, s72
	v_cndmask_b32_e64 v48, v38, v39, s62
	v_cndmask_b32_e64 v49, v242, v241, s62
	s_mov_b32 s72, exec_lo
	v_add_nc_u32_e32 v48, 1, v48
	v_add_nc_u32_e32 v49, -1, v49
	v_cndmask_b32_e64 v38, v48, v38, s62
	v_min_u32_e32 v49, v48, v49
	v_cndmask_b32_e64 v39, v39, v48, s62
	v_lshl_add_u32 v49, v49, 1, v176
	ds_read_u16 v49, v49
	s_waitcnt lgkmcnt(0)
	v_cndmask_b32_e64 v84, v49, v85, s62
	v_cndmask_b32_e64 v42, v41, v49, s62
	v_cmpx_lt_u32_e64 v38, v242
	s_cbranch_execz .LBB240_1790
; %bb.1787:
	s_mov_b32 s73, 0
	s_mov_b32 s63, exec_lo
	v_cmpx_lt_u32_e64 v39, v241
; %bb.1788:
	v_mov_b32_e32 v48, 0xcccd
	v_mul_u32_u24_sdwa v49, v84, v48 dst_sel:DWORD dst_unused:UNUSED_PAD src0_sel:WORD_0 src1_sel:DWORD
	v_mul_u32_u24_sdwa v48, v42, v48 dst_sel:DWORD dst_unused:UNUSED_PAD src0_sel:WORD_0 src1_sel:DWORD
	v_lshrrev_b32_e32 v49, 19, v49
	v_lshrrev_b32_e32 v48, 19, v48
	v_cmp_ge_u16_e64 s8, v49, v48
	s_and_b32 s73, s8, exec_lo
; %bb.1789:
	s_or_b32 exec_lo, exec_lo, s63
	s_orn2_b32 s63, s73, exec_lo
.LBB240_1790:
	s_or_b32 exec_lo, exec_lo, s72
	v_cndmask_b32_e64 v48, v38, v39, s63
	v_cndmask_b32_e64 v49, v242, v241, s63
	s_mov_b32 s73, -1
	s_mov_b32 s72, -1
	s_mov_b32 s74, exec_lo
	v_add_nc_u32_e32 v48, 1, v48
	v_add_nc_u32_e32 v49, -1, v49
	v_cndmask_b32_e64 v38, v48, v38, s63
	v_min_u32_e32 v49, v48, v49
	v_cndmask_b32_e64 v39, v39, v48, s63
	v_lshl_add_u32 v49, v49, 1, v176
	ds_read_u16 v49, v49
	s_waitcnt lgkmcnt(0)
	v_cndmask_b32_e64 v83, v49, v84, s63
	v_cndmask_b32_e64 v43, v42, v49, s63
	v_cmpx_lt_u32_e64 v38, v242
	s_cbranch_execz .LBB240_1794
; %bb.1791:
	s_mov_b32 s75, 0
	s_mov_b32 s72, exec_lo
	v_cmpx_lt_u32_e64 v39, v241
; %bb.1792:
	v_mov_b32_e32 v48, 0xcccd
	v_mul_u32_u24_sdwa v49, v83, v48 dst_sel:DWORD dst_unused:UNUSED_PAD src0_sel:WORD_0 src1_sel:DWORD
	v_mul_u32_u24_sdwa v48, v43, v48 dst_sel:DWORD dst_unused:UNUSED_PAD src0_sel:WORD_0 src1_sel:DWORD
	v_lshrrev_b32_e32 v49, 19, v49
	v_lshrrev_b32_e32 v48, 19, v48
	v_cmp_ge_u16_e64 s8, v49, v48
	s_and_b32 s75, s8, exec_lo
; %bb.1793:
	s_or_b32 exec_lo, exec_lo, s72
	s_orn2_b32 s72, s75, exec_lo
.LBB240_1794:
	s_or_b32 exec_lo, exec_lo, s74
	v_cndmask_b32_e64 v48, v38, v39, s72
	v_cndmask_b32_e64 v49, v242, v241, s72
	s_mov_b32 s74, exec_lo
	v_add_nc_u32_e32 v48, 1, v48
	v_add_nc_u32_e32 v49, -1, v49
	v_cndmask_b32_e64 v38, v48, v38, s72
	v_min_u32_e32 v49, v48, v49
	v_cndmask_b32_e64 v39, v39, v48, s72
	v_lshl_add_u32 v49, v49, 1, v176
	ds_read_u16 v49, v49
	s_waitcnt lgkmcnt(0)
	v_cndmask_b32_e64 v82, v49, v83, s72
	v_cndmask_b32_e64 v44, v43, v49, s72
	v_cmpx_lt_u32_e64 v38, v242
	s_cbranch_execz .LBB240_1798
; %bb.1795:
	s_mov_b32 s75, 0
	s_mov_b32 s73, exec_lo
	v_cmpx_lt_u32_e64 v39, v241
; %bb.1796:
	v_mov_b32_e32 v48, 0xcccd
	v_mul_u32_u24_sdwa v49, v82, v48 dst_sel:DWORD dst_unused:UNUSED_PAD src0_sel:WORD_0 src1_sel:DWORD
	v_mul_u32_u24_sdwa v48, v44, v48 dst_sel:DWORD dst_unused:UNUSED_PAD src0_sel:WORD_0 src1_sel:DWORD
	v_lshrrev_b32_e32 v49, 19, v49
	v_lshrrev_b32_e32 v48, 19, v48
	v_cmp_ge_u16_e64 s8, v49, v48
	s_and_b32 s75, s8, exec_lo
; %bb.1797:
	s_or_b32 exec_lo, exec_lo, s73
	s_orn2_b32 s73, s75, exec_lo
.LBB240_1798:
	s_or_b32 exec_lo, exec_lo, s74
	v_cndmask_b32_e64 v48, v38, v39, s73
	v_cndmask_b32_e64 v49, v242, v241, s73
	s_mov_b32 s75, -1
	s_mov_b32 s74, -1
	s_mov_b32 s76, exec_lo
	v_add_nc_u32_e32 v48, 1, v48
	v_add_nc_u32_e32 v49, -1, v49
	v_cndmask_b32_e64 v38, v48, v38, s73
	v_min_u32_e32 v49, v48, v49
	v_cndmask_b32_e64 v39, v39, v48, s73
	v_lshl_add_u32 v49, v49, 1, v176
	ds_read_u16 v49, v49
	s_waitcnt lgkmcnt(0)
	v_cndmask_b32_e64 v81, v49, v82, s73
	v_cndmask_b32_e64 v45, v44, v49, s73
	v_cmpx_lt_u32_e64 v38, v242
	s_cbranch_execz .LBB240_1802
; %bb.1799:
	s_mov_b32 s77, 0
	s_mov_b32 s74, exec_lo
	v_cmpx_lt_u32_e64 v39, v241
; %bb.1800:
	v_mov_b32_e32 v48, 0xcccd
	v_mul_u32_u24_sdwa v49, v81, v48 dst_sel:DWORD dst_unused:UNUSED_PAD src0_sel:WORD_0 src1_sel:DWORD
	v_mul_u32_u24_sdwa v48, v45, v48 dst_sel:DWORD dst_unused:UNUSED_PAD src0_sel:WORD_0 src1_sel:DWORD
	v_lshrrev_b32_e32 v49, 19, v49
	v_lshrrev_b32_e32 v48, 19, v48
	v_cmp_ge_u16_e64 s8, v49, v48
	s_and_b32 s77, s8, exec_lo
; %bb.1801:
	s_or_b32 exec_lo, exec_lo, s74
	s_orn2_b32 s74, s77, exec_lo
.LBB240_1802:
	s_or_b32 exec_lo, exec_lo, s76
	v_cndmask_b32_e64 v48, v38, v39, s74
	v_cndmask_b32_e64 v49, v242, v241, s74
	s_mov_b32 s76, exec_lo
	v_add_nc_u32_e32 v48, 1, v48
	v_add_nc_u32_e32 v49, -1, v49
	v_cndmask_b32_e64 v38, v48, v38, s74
	v_min_u32_e32 v49, v48, v49
	v_cndmask_b32_e64 v39, v39, v48, s74
	v_lshl_add_u32 v49, v49, 1, v176
	ds_read_u16 v49, v49
	s_waitcnt lgkmcnt(0)
	v_cndmask_b32_e64 v80, v49, v81, s74
	v_cndmask_b32_e64 v46, v45, v49, s74
	v_cmpx_lt_u32_e64 v38, v242
	s_cbranch_execz .LBB240_1806
; %bb.1803:
	s_mov_b32 s77, 0
	s_mov_b32 s75, exec_lo
	v_cmpx_lt_u32_e64 v39, v241
; %bb.1804:
	v_mov_b32_e32 v48, 0xcccd
	v_mul_u32_u24_sdwa v49, v80, v48 dst_sel:DWORD dst_unused:UNUSED_PAD src0_sel:WORD_0 src1_sel:DWORD
	v_mul_u32_u24_sdwa v48, v46, v48 dst_sel:DWORD dst_unused:UNUSED_PAD src0_sel:WORD_0 src1_sel:DWORD
	v_lshrrev_b32_e32 v49, 19, v49
	v_lshrrev_b32_e32 v48, 19, v48
	v_cmp_ge_u16_e64 s8, v49, v48
	s_and_b32 s77, s8, exec_lo
; %bb.1805:
	s_or_b32 exec_lo, exec_lo, s75
	s_orn2_b32 s75, s77, exec_lo
.LBB240_1806:
	s_or_b32 exec_lo, exec_lo, s76
	v_cndmask_b32_e64 v48, v38, v39, s75
	v_cndmask_b32_e64 v49, v242, v241, s75
	s_mov_b32 s77, -1
	s_mov_b32 s76, -1
	s_mov_b32 s78, exec_lo
	v_add_nc_u32_e32 v48, 1, v48
	v_add_nc_u32_e32 v49, -1, v49
	v_cndmask_b32_e64 v38, v48, v38, s75
	v_min_u32_e32 v49, v48, v49
	v_cndmask_b32_e64 v39, v39, v48, s75
	v_lshl_add_u32 v49, v49, 1, v176
	ds_read_u16 v49, v49
	s_waitcnt lgkmcnt(0)
	v_cndmask_b32_e64 v71, v49, v80, s75
	v_cndmask_b32_e64 v47, v46, v49, s75
	v_cmpx_lt_u32_e64 v38, v242
	s_cbranch_execz .LBB240_1810
; %bb.1807:
	s_mov_b32 s79, 0
	s_mov_b32 s76, exec_lo
	v_cmpx_lt_u32_e64 v39, v241
; %bb.1808:
	v_mov_b32_e32 v48, 0xcccd
	v_mul_u32_u24_sdwa v49, v71, v48 dst_sel:DWORD dst_unused:UNUSED_PAD src0_sel:WORD_0 src1_sel:DWORD
	v_mul_u32_u24_sdwa v48, v47, v48 dst_sel:DWORD dst_unused:UNUSED_PAD src0_sel:WORD_0 src1_sel:DWORD
	v_lshrrev_b32_e32 v49, 19, v49
	v_lshrrev_b32_e32 v48, 19, v48
	v_cmp_ge_u16_e64 s8, v49, v48
	s_and_b32 s79, s8, exec_lo
; %bb.1809:
	s_or_b32 exec_lo, exec_lo, s76
	s_orn2_b32 s76, s79, exec_lo
.LBB240_1810:
	s_or_b32 exec_lo, exec_lo, s78
	v_cndmask_b32_e64 v48, v38, v39, s76
	v_cndmask_b32_e64 v49, v242, v241, s76
	s_mov_b32 s78, exec_lo
	v_add_nc_u32_e32 v48, 1, v48
	v_add_nc_u32_e32 v49, -1, v49
	v_cndmask_b32_e64 v38, v48, v38, s76
	v_min_u32_e32 v49, v48, v49
	v_cndmask_b32_e64 v39, v39, v48, s76
	v_lshl_add_u32 v49, v49, 1, v176
	ds_read_u16 v49, v49
	s_waitcnt lgkmcnt(0)
	v_cndmask_b32_e64 v70, v49, v71, s76
	v_cndmask_b32_e64 v56, v47, v49, s76
	v_cmpx_lt_u32_e64 v38, v242
	s_cbranch_execz .LBB240_1814
; %bb.1811:
	s_mov_b32 s79, 0
	s_mov_b32 s77, exec_lo
	v_cmpx_lt_u32_e64 v39, v241
; %bb.1812:
	v_mov_b32_e32 v48, 0xcccd
	v_mul_u32_u24_sdwa v49, v70, v48 dst_sel:DWORD dst_unused:UNUSED_PAD src0_sel:WORD_0 src1_sel:DWORD
	v_mul_u32_u24_sdwa v48, v56, v48 dst_sel:DWORD dst_unused:UNUSED_PAD src0_sel:WORD_0 src1_sel:DWORD
	v_lshrrev_b32_e32 v49, 19, v49
	v_lshrrev_b32_e32 v48, 19, v48
	v_cmp_ge_u16_e64 s8, v49, v48
	s_and_b32 s79, s8, exec_lo
; %bb.1813:
	s_or_b32 exec_lo, exec_lo, s77
	s_orn2_b32 s77, s79, exec_lo
.LBB240_1814:
	s_or_b32 exec_lo, exec_lo, s78
	v_cndmask_b32_e64 v48, v38, v39, s77
	v_cndmask_b32_e64 v49, v242, v241, s77
	s_mov_b32 s79, -1
	s_mov_b32 s78, -1
	s_mov_b32 s88, exec_lo
	v_add_nc_u32_e32 v48, 1, v48
	v_add_nc_u32_e32 v49, -1, v49
	v_cndmask_b32_e64 v38, v48, v38, s77
	v_min_u32_e32 v49, v48, v49
	v_cndmask_b32_e64 v39, v39, v48, s77
	v_lshl_add_u32 v49, v49, 1, v176
	ds_read_u16 v49, v49
	s_waitcnt lgkmcnt(0)
	v_cndmask_b32_e64 v69, v49, v70, s77
	v_cndmask_b32_e64 v57, v56, v49, s77
	v_cmpx_lt_u32_e64 v38, v242
	s_cbranch_execz .LBB240_1818
; %bb.1815:
	s_mov_b32 s89, 0
	s_mov_b32 s78, exec_lo
	v_cmpx_lt_u32_e64 v39, v241
; %bb.1816:
	v_mov_b32_e32 v48, 0xcccd
	v_mul_u32_u24_sdwa v49, v69, v48 dst_sel:DWORD dst_unused:UNUSED_PAD src0_sel:WORD_0 src1_sel:DWORD
	v_mul_u32_u24_sdwa v48, v57, v48 dst_sel:DWORD dst_unused:UNUSED_PAD src0_sel:WORD_0 src1_sel:DWORD
	v_lshrrev_b32_e32 v49, 19, v49
	v_lshrrev_b32_e32 v48, 19, v48
	v_cmp_ge_u16_e64 s8, v49, v48
	s_and_b32 s89, s8, exec_lo
; %bb.1817:
	s_or_b32 exec_lo, exec_lo, s78
	s_orn2_b32 s78, s89, exec_lo
.LBB240_1818:
	s_or_b32 exec_lo, exec_lo, s88
	v_cndmask_b32_e64 v48, v38, v39, s78
	v_cndmask_b32_e64 v49, v242, v241, s78
	s_mov_b32 s88, exec_lo
	v_add_nc_u32_e32 v48, 1, v48
	v_add_nc_u32_e32 v49, -1, v49
	v_cndmask_b32_e64 v38, v48, v38, s78
	v_min_u32_e32 v49, v48, v49
	v_cndmask_b32_e64 v39, v39, v48, s78
	v_lshl_add_u32 v49, v49, 1, v176
	ds_read_u16 v49, v49
	s_waitcnt lgkmcnt(0)
	v_cndmask_b32_e64 v68, v49, v69, s78
	v_cndmask_b32_e64 v58, v57, v49, s78
	v_cmpx_lt_u32_e64 v38, v242
	s_cbranch_execz .LBB240_1822
; %bb.1819:
	s_mov_b32 s89, 0
	s_mov_b32 s79, exec_lo
	v_cmpx_lt_u32_e64 v39, v241
; %bb.1820:
	v_mov_b32_e32 v48, 0xcccd
	v_mul_u32_u24_sdwa v49, v68, v48 dst_sel:DWORD dst_unused:UNUSED_PAD src0_sel:WORD_0 src1_sel:DWORD
	v_mul_u32_u24_sdwa v48, v58, v48 dst_sel:DWORD dst_unused:UNUSED_PAD src0_sel:WORD_0 src1_sel:DWORD
	v_lshrrev_b32_e32 v49, 19, v49
	v_lshrrev_b32_e32 v48, 19, v48
	v_cmp_ge_u16_e64 s8, v49, v48
	s_and_b32 s89, s8, exec_lo
; %bb.1821:
	s_or_b32 exec_lo, exec_lo, s79
	s_orn2_b32 s79, s89, exec_lo
.LBB240_1822:
	s_or_b32 exec_lo, exec_lo, s88
	v_cndmask_b32_e64 v48, v38, v39, s79
	v_cndmask_b32_e64 v49, v242, v241, s79
	s_mov_b32 s89, -1
	s_mov_b32 s88, -1
	s_mov_b32 s90, exec_lo
	v_add_nc_u32_e32 v48, 1, v48
	v_add_nc_u32_e32 v49, -1, v49
	v_cndmask_b32_e64 v38, v48, v38, s79
	v_min_u32_e32 v49, v48, v49
	v_cndmask_b32_e64 v39, v39, v48, s79
	v_lshl_add_u32 v49, v49, 1, v176
	ds_read_u16 v49, v49
	s_waitcnt lgkmcnt(0)
	v_cndmask_b32_e64 v67, v49, v68, s79
	v_cndmask_b32_e64 v59, v58, v49, s79
	v_cmpx_lt_u32_e64 v38, v242
	s_cbranch_execz .LBB240_1826
; %bb.1823:
	s_mov_b32 s91, 0
	s_mov_b32 s88, exec_lo
	v_cmpx_lt_u32_e64 v39, v241
; %bb.1824:
	v_mov_b32_e32 v48, 0xcccd
	v_mul_u32_u24_sdwa v49, v67, v48 dst_sel:DWORD dst_unused:UNUSED_PAD src0_sel:WORD_0 src1_sel:DWORD
	v_mul_u32_u24_sdwa v48, v59, v48 dst_sel:DWORD dst_unused:UNUSED_PAD src0_sel:WORD_0 src1_sel:DWORD
	v_lshrrev_b32_e32 v49, 19, v49
	v_lshrrev_b32_e32 v48, 19, v48
	v_cmp_ge_u16_e64 s8, v49, v48
	s_and_b32 s91, s8, exec_lo
; %bb.1825:
	s_or_b32 exec_lo, exec_lo, s88
	s_orn2_b32 s88, s91, exec_lo
.LBB240_1826:
	s_or_b32 exec_lo, exec_lo, s90
	v_cndmask_b32_e64 v48, v38, v39, s88
	v_cndmask_b32_e64 v49, v242, v241, s88
	s_mov_b32 s90, exec_lo
	v_add_nc_u32_e32 v48, 1, v48
	v_add_nc_u32_e32 v49, -1, v49
	v_cndmask_b32_e64 v38, v48, v38, s88
	v_min_u32_e32 v49, v48, v49
	v_cndmask_b32_e64 v39, v39, v48, s88
	v_lshl_add_u32 v49, v49, 1, v176
	ds_read_u16 v49, v49
	s_waitcnt lgkmcnt(0)
	v_cndmask_b32_e64 v66, v49, v67, s88
	v_cndmask_b32_e64 v60, v59, v49, s88
	v_cmpx_lt_u32_e64 v38, v242
	s_cbranch_execz .LBB240_1830
; %bb.1827:
	s_mov_b32 s91, 0
	s_mov_b32 s89, exec_lo
	v_cmpx_lt_u32_e64 v39, v241
; %bb.1828:
	v_mov_b32_e32 v48, 0xcccd
	v_mul_u32_u24_sdwa v49, v66, v48 dst_sel:DWORD dst_unused:UNUSED_PAD src0_sel:WORD_0 src1_sel:DWORD
	v_mul_u32_u24_sdwa v48, v60, v48 dst_sel:DWORD dst_unused:UNUSED_PAD src0_sel:WORD_0 src1_sel:DWORD
	v_lshrrev_b32_e32 v49, 19, v49
	v_lshrrev_b32_e32 v48, 19, v48
	v_cmp_ge_u16_e64 s8, v49, v48
	s_and_b32 s91, s8, exec_lo
; %bb.1829:
	s_or_b32 exec_lo, exec_lo, s89
	s_orn2_b32 s89, s91, exec_lo
.LBB240_1830:
	s_or_b32 exec_lo, exec_lo, s90
	v_cndmask_b32_e64 v48, v38, v39, s89
	v_cndmask_b32_e64 v49, v242, v241, s89
	s_mov_b32 s91, -1
	s_mov_b32 s90, -1
	s_mov_b32 s92, exec_lo
	v_add_nc_u32_e32 v48, 1, v48
	v_add_nc_u32_e32 v49, -1, v49
	v_cndmask_b32_e64 v38, v48, v38, s89
	v_min_u32_e32 v49, v48, v49
	v_cndmask_b32_e64 v39, v39, v48, s89
	v_lshl_add_u32 v49, v49, 1, v176
	ds_read_u16 v49, v49
	s_waitcnt lgkmcnt(0)
	v_cndmask_b32_e64 v65, v49, v66, s89
	v_cndmask_b32_e64 v61, v60, v49, s89
	v_cmpx_lt_u32_e64 v38, v242
	s_cbranch_execz .LBB240_1834
; %bb.1831:
	s_mov_b32 s93, 0
	s_mov_b32 s90, exec_lo
	v_cmpx_lt_u32_e64 v39, v241
; %bb.1832:
	v_mov_b32_e32 v48, 0xcccd
	v_mul_u32_u24_sdwa v49, v65, v48 dst_sel:DWORD dst_unused:UNUSED_PAD src0_sel:WORD_0 src1_sel:DWORD
	v_mul_u32_u24_sdwa v48, v61, v48 dst_sel:DWORD dst_unused:UNUSED_PAD src0_sel:WORD_0 src1_sel:DWORD
	v_lshrrev_b32_e32 v49, 19, v49
	v_lshrrev_b32_e32 v48, 19, v48
	v_cmp_ge_u16_e64 s8, v49, v48
	s_and_b32 s93, s8, exec_lo
; %bb.1833:
	s_or_b32 exec_lo, exec_lo, s90
	s_orn2_b32 s90, s93, exec_lo
.LBB240_1834:
	s_or_b32 exec_lo, exec_lo, s92
	v_cndmask_b32_e64 v48, v38, v39, s90
	v_cndmask_b32_e64 v49, v242, v241, s90
	s_mov_b32 s92, exec_lo
	v_add_nc_u32_e32 v48, 1, v48
	v_add_nc_u32_e32 v49, -1, v49
	v_cndmask_b32_e64 v38, v48, v38, s90
	v_min_u32_e32 v49, v48, v49
	v_cndmask_b32_e64 v39, v39, v48, s90
	v_lshl_add_u32 v49, v49, 1, v176
	ds_read_u16 v49, v49
	s_waitcnt lgkmcnt(0)
	v_cndmask_b32_e64 v64, v49, v65, s90
	v_cndmask_b32_e64 v62, v61, v49, s90
	v_cmpx_lt_u32_e64 v38, v242
	s_cbranch_execz .LBB240_1838
; %bb.1835:
	s_mov_b32 s93, 0
	s_mov_b32 s91, exec_lo
	v_cmpx_lt_u32_e64 v39, v241
; %bb.1836:
	v_mov_b32_e32 v48, 0xcccd
	v_mul_u32_u24_sdwa v49, v64, v48 dst_sel:DWORD dst_unused:UNUSED_PAD src0_sel:WORD_0 src1_sel:DWORD
	v_mul_u32_u24_sdwa v48, v62, v48 dst_sel:DWORD dst_unused:UNUSED_PAD src0_sel:WORD_0 src1_sel:DWORD
	v_lshrrev_b32_e32 v49, 19, v49
	v_lshrrev_b32_e32 v48, 19, v48
	v_cmp_ge_u16_e64 s8, v49, v48
	s_and_b32 s93, s8, exec_lo
; %bb.1837:
	s_or_b32 exec_lo, exec_lo, s91
	s_orn2_b32 s91, s93, exec_lo
.LBB240_1838:
	s_or_b32 exec_lo, exec_lo, s92
	v_cndmask_b32_e64 v48, v38, v39, s91
	v_cndmask_b32_e64 v49, v242, v241, s91
	s_mov_b32 s93, -1
	s_mov_b32 s92, -1
	s_mov_b32 s94, exec_lo
	v_add_nc_u32_e32 v48, 1, v48
	v_add_nc_u32_e32 v49, -1, v49
	v_cndmask_b32_e64 v38, v48, v38, s91
	v_min_u32_e32 v49, v48, v49
	v_cndmask_b32_e64 v39, v39, v48, s91
	v_lshl_add_u32 v49, v49, 1, v176
	ds_read_u16 v49, v49
	s_waitcnt lgkmcnt(0)
	v_cndmask_b32_e64 v55, v49, v64, s91
	v_cndmask_b32_e64 v63, v62, v49, s91
	v_cmpx_lt_u32_e64 v38, v242
	s_cbranch_execz .LBB240_1842
; %bb.1839:
	s_mov_b32 s95, 0
	s_mov_b32 s92, exec_lo
	v_cmpx_lt_u32_e64 v39, v241
; %bb.1840:
	v_mov_b32_e32 v48, 0xcccd
	v_mul_u32_u24_sdwa v49, v55, v48 dst_sel:DWORD dst_unused:UNUSED_PAD src0_sel:WORD_0 src1_sel:DWORD
	v_mul_u32_u24_sdwa v48, v63, v48 dst_sel:DWORD dst_unused:UNUSED_PAD src0_sel:WORD_0 src1_sel:DWORD
	v_lshrrev_b32_e32 v49, 19, v49
	v_lshrrev_b32_e32 v48, 19, v48
	v_cmp_ge_u16_e64 s8, v49, v48
	s_and_b32 s95, s8, exec_lo
; %bb.1841:
	s_or_b32 exec_lo, exec_lo, s92
	s_orn2_b32 s92, s95, exec_lo
.LBB240_1842:
	s_or_b32 exec_lo, exec_lo, s94
	v_cndmask_b32_e64 v48, v38, v39, s92
	v_cndmask_b32_e64 v49, v242, v241, s92
	s_mov_b32 s94, exec_lo
	v_add_nc_u32_e32 v48, 1, v48
	v_add_nc_u32_e32 v49, -1, v49
	v_cndmask_b32_e64 v38, v48, v38, s92
	v_min_u32_e32 v49, v48, v49
	v_cndmask_b32_e64 v39, v39, v48, s92
	v_lshl_add_u32 v49, v49, 1, v176
	ds_read_u16 v49, v49
	s_waitcnt lgkmcnt(0)
	v_cndmask_b32_e64 v53, v49, v55, s92
	v_cndmask_b32_e64 v72, v63, v49, s92
	v_cmpx_lt_u32_e64 v38, v242
	s_cbranch_execz .LBB240_1846
; %bb.1843:
	s_mov_b32 s95, 0
	s_mov_b32 s93, exec_lo
	v_cmpx_lt_u32_e64 v39, v241
; %bb.1844:
	v_mov_b32_e32 v48, 0xcccd
	v_mul_u32_u24_sdwa v49, v53, v48 dst_sel:DWORD dst_unused:UNUSED_PAD src0_sel:WORD_0 src1_sel:DWORD
	v_mul_u32_u24_sdwa v48, v72, v48 dst_sel:DWORD dst_unused:UNUSED_PAD src0_sel:WORD_0 src1_sel:DWORD
	v_lshrrev_b32_e32 v49, 19, v49
	v_lshrrev_b32_e32 v48, 19, v48
	v_cmp_ge_u16_e64 s8, v49, v48
	s_and_b32 s95, s8, exec_lo
; %bb.1845:
	s_or_b32 exec_lo, exec_lo, s93
	s_orn2_b32 s93, s95, exec_lo
.LBB240_1846:
	s_or_b32 exec_lo, exec_lo, s94
	v_cndmask_b32_e64 v48, v38, v39, s93
	v_cndmask_b32_e64 v49, v242, v241, s93
	s_mov_b32 s95, -1
	s_mov_b32 s94, -1
	s_mov_b32 vcc_hi, exec_lo
	v_add_nc_u32_e32 v48, 1, v48
	v_add_nc_u32_e32 v49, -1, v49
	v_cndmask_b32_e64 v38, v48, v38, s93
	v_min_u32_e32 v49, v48, v49
	v_cndmask_b32_e64 v39, v39, v48, s93
	v_lshl_add_u32 v49, v49, 1, v176
	ds_read_u16 v49, v49
	s_waitcnt lgkmcnt(0)
	v_cndmask_b32_e64 v52, v49, v53, s93
	v_cndmask_b32_e64 v73, v72, v49, s93
	v_cmpx_lt_u32_e64 v38, v242
	s_cbranch_execz .LBB240_1850
; %bb.1847:
	s_mov_b32 s30, 0
	s_mov_b32 s94, exec_lo
	v_cmpx_lt_u32_e64 v39, v241
; %bb.1848:
	v_mov_b32_e32 v48, 0xcccd
	v_mul_u32_u24_sdwa v49, v52, v48 dst_sel:DWORD dst_unused:UNUSED_PAD src0_sel:WORD_0 src1_sel:DWORD
	v_mul_u32_u24_sdwa v48, v73, v48 dst_sel:DWORD dst_unused:UNUSED_PAD src0_sel:WORD_0 src1_sel:DWORD
	v_lshrrev_b32_e32 v49, 19, v49
	v_lshrrev_b32_e32 v48, 19, v48
	v_cmp_ge_u16_e64 s8, v49, v48
	s_and_b32 s30, s8, exec_lo
; %bb.1849:
	s_or_b32 exec_lo, exec_lo, s94
	s_orn2_b32 s94, s30, exec_lo
.LBB240_1850:
	s_or_b32 exec_lo, exec_lo, vcc_hi
	v_cndmask_b32_e64 v48, v38, v39, s94
	v_cndmask_b32_e64 v49, v242, v241, s94
	s_mov_b32 vcc_hi, exec_lo
	v_add_nc_u32_e32 v48, 1, v48
	v_add_nc_u32_e32 v49, -1, v49
	v_cndmask_b32_e64 v38, v48, v38, s94
	v_min_u32_e32 v49, v48, v49
	v_cndmask_b32_e64 v39, v39, v48, s94
	v_lshl_add_u32 v49, v49, 1, v176
	ds_read_u16 v49, v49
	s_waitcnt lgkmcnt(0)
	v_cndmask_b32_e64 v51, v49, v52, s94
	v_cndmask_b32_e64 v74, v73, v49, s94
	v_cmpx_lt_u32_e64 v38, v242
	s_cbranch_execz .LBB240_1854
; %bb.1851:
	s_mov_b32 s30, 0
	s_mov_b32 s95, exec_lo
	v_cmpx_lt_u32_e64 v39, v241
; %bb.1852:
	v_mov_b32_e32 v48, 0xcccd
	v_mul_u32_u24_sdwa v49, v51, v48 dst_sel:DWORD dst_unused:UNUSED_PAD src0_sel:WORD_0 src1_sel:DWORD
	v_mul_u32_u24_sdwa v48, v74, v48 dst_sel:DWORD dst_unused:UNUSED_PAD src0_sel:WORD_0 src1_sel:DWORD
	v_lshrrev_b32_e32 v49, 19, v49
	v_lshrrev_b32_e32 v48, 19, v48
	v_cmp_ge_u16_e64 s8, v49, v48
	s_and_b32 s30, s8, exec_lo
; %bb.1853:
	s_or_b32 exec_lo, exec_lo, s95
	s_orn2_b32 s95, s30, exec_lo
.LBB240_1854:
	s_or_b32 exec_lo, exec_lo, vcc_hi
	v_cndmask_b32_e64 v48, v38, v39, s95
	v_cndmask_b32_e64 v49, v242, v241, s95
	s_mov_b32 s30, -1
	s_mov_b32 vcc_hi, -1
	s_mov_b32 s31, exec_lo
	v_add_nc_u32_e32 v48, 1, v48
	v_add_nc_u32_e32 v49, -1, v49
	v_cndmask_b32_e64 v38, v48, v38, s95
	v_min_u32_e32 v49, v48, v49
	v_cndmask_b32_e64 v39, v39, v48, s95
	v_lshl_add_u32 v49, v49, 1, v176
	ds_read_u16 v49, v49
	s_waitcnt lgkmcnt(0)
	v_cndmask_b32_e64 v54, v49, v51, s95
	v_cndmask_b32_e64 v75, v74, v49, s95
	v_cmpx_lt_u32_e64 v38, v242
	s_cbranch_execz .LBB240_1858
; %bb.1855:
	s_mov_b32 s34, 0
	s_mov_b32 vcc_hi, exec_lo
	v_cmpx_lt_u32_e64 v39, v241
; %bb.1856:
	v_mov_b32_e32 v48, 0xcccd
	v_mul_u32_u24_sdwa v49, v54, v48 dst_sel:DWORD dst_unused:UNUSED_PAD src0_sel:WORD_0 src1_sel:DWORD
	v_mul_u32_u24_sdwa v48, v75, v48 dst_sel:DWORD dst_unused:UNUSED_PAD src0_sel:WORD_0 src1_sel:DWORD
	v_lshrrev_b32_e32 v49, 19, v49
	v_lshrrev_b32_e32 v48, 19, v48
	v_cmp_ge_u16_e64 s8, v49, v48
	s_and_b32 s34, s8, exec_lo
; %bb.1857:
	s_or_b32 exec_lo, exec_lo, vcc_hi
	s_orn2_b32 vcc_hi, s34, exec_lo
.LBB240_1858:
	s_or_b32 exec_lo, exec_lo, s31
	v_cndmask_b32_e64 v48, v38, v39, vcc_hi
	v_cndmask_b32_e64 v49, v242, v241, vcc_hi
	s_mov_b32 s31, exec_lo
	v_add_nc_u32_e32 v48, 1, v48
	v_add_nc_u32_e32 v49, -1, v49
	v_cndmask_b32_e64 v38, v48, v38, vcc_hi
	v_min_u32_e32 v49, v48, v49
	v_cndmask_b32_e64 v39, v39, v48, vcc_hi
	v_lshl_add_u32 v49, v49, 1, v176
	ds_read_u16 v49, v49
	s_waitcnt lgkmcnt(0)
	v_cndmask_b32_e64 v50, v49, v54, vcc_hi
	v_cndmask_b32_e64 v76, v75, v49, vcc_hi
	v_cmpx_lt_u32_e64 v38, v242
	s_cbranch_execz .LBB240_1862
; %bb.1859:
	s_mov_b32 s34, 0
	s_mov_b32 s30, exec_lo
	v_cmpx_lt_u32_e64 v39, v241
; %bb.1860:
	v_mov_b32_e32 v48, 0xcccd
	v_mul_u32_u24_sdwa v49, v50, v48 dst_sel:DWORD dst_unused:UNUSED_PAD src0_sel:WORD_0 src1_sel:DWORD
	v_mul_u32_u24_sdwa v48, v76, v48 dst_sel:DWORD dst_unused:UNUSED_PAD src0_sel:WORD_0 src1_sel:DWORD
	v_lshrrev_b32_e32 v49, 19, v49
	v_lshrrev_b32_e32 v48, 19, v48
	v_cmp_ge_u16_e64 s8, v49, v48
	s_and_b32 s34, s8, exec_lo
; %bb.1861:
	s_or_b32 exec_lo, exec_lo, s30
	s_orn2_b32 s30, s34, exec_lo
.LBB240_1862:
	s_or_b32 exec_lo, exec_lo, s31
	v_cndmask_b32_e64 v48, v38, v39, s30
	v_cndmask_b32_e64 v49, v242, v241, s30
	s_mov_b32 s34, -1
	s_mov_b32 s31, -1
	s_mov_b32 s35, exec_lo
	v_add_nc_u32_e32 v48, 1, v48
	v_add_nc_u32_e32 v49, -1, v49
	v_cndmask_b32_e64 v38, v48, v38, s30
	v_min_u32_e32 v49, v48, v49
	v_cndmask_b32_e64 v39, v39, v48, s30
	v_lshl_add_u32 v49, v49, 1, v176
	ds_read_u16 v77, v49
	s_waitcnt lgkmcnt(0)
	v_cndmask_b32_e64 v49, v77, v50, s30
	v_cndmask_b32_e64 v77, v76, v77, s30
	v_cmpx_lt_u32_e64 v38, v242
	s_cbranch_execz .LBB240_1866
; %bb.1863:
	s_mov_b32 s38, 0
	s_mov_b32 s31, exec_lo
	v_cmpx_lt_u32_e64 v39, v241
; %bb.1864:
	v_mov_b32_e32 v48, 0xcccd
	v_mul_u32_u24_sdwa v78, v49, v48 dst_sel:DWORD dst_unused:UNUSED_PAD src0_sel:WORD_0 src1_sel:DWORD
	v_mul_u32_u24_sdwa v48, v77, v48 dst_sel:DWORD dst_unused:UNUSED_PAD src0_sel:WORD_0 src1_sel:DWORD
	v_lshrrev_b32_e32 v78, 19, v78
	v_lshrrev_b32_e32 v48, 19, v48
	v_cmp_ge_u16_e64 s8, v78, v48
	s_and_b32 s38, s8, exec_lo
; %bb.1865:
	s_or_b32 exec_lo, exec_lo, s31
	s_orn2_b32 s31, s38, exec_lo
.LBB240_1866:
	s_or_b32 exec_lo, exec_lo, s35
	v_cndmask_b32_e64 v48, v38, v39, s31
	v_cndmask_b32_e64 v78, v242, v241, s31
	s_mov_b32 s35, exec_lo
	v_add_nc_u32_e32 v48, 1, v48
	v_add_nc_u32_e32 v78, -1, v78
	v_cndmask_b32_e64 v38, v48, v38, s31
	v_min_u32_e32 v78, v48, v78
	v_cndmask_b32_e64 v39, v39, v48, s31
	v_lshl_add_u32 v78, v78, 1, v176
	ds_read_u16 v78, v78
	s_waitcnt lgkmcnt(0)
	v_cndmask_b32_e64 v48, v78, v49, s31
	v_cndmask_b32_e64 v78, v77, v78, s31
	v_cmpx_lt_u32_e64 v38, v242
	s_cbranch_execz .LBB240_1870
; %bb.1867:
	s_mov_b32 s38, 0
	s_mov_b32 s34, exec_lo
	v_cmpx_lt_u32_e64 v39, v241
; %bb.1868:
	v_mov_b32_e32 v79, 0xcccd
	v_mul_u32_u24_sdwa v88, v48, v79 dst_sel:DWORD dst_unused:UNUSED_PAD src0_sel:WORD_0 src1_sel:DWORD
	v_mul_u32_u24_sdwa v79, v78, v79 dst_sel:DWORD dst_unused:UNUSED_PAD src0_sel:WORD_0 src1_sel:DWORD
	v_lshrrev_b32_e32 v88, 19, v88
	v_lshrrev_b32_e32 v79, 19, v79
	v_cmp_ge_u16_e64 s8, v88, v79
	s_and_b32 s38, s8, exec_lo
; %bb.1869:
	s_or_b32 exec_lo, exec_lo, s34
	s_orn2_b32 s34, s38, exec_lo
.LBB240_1870:
	s_or_b32 exec_lo, exec_lo, s35
	v_cndmask_b32_e64 v79, v38, v39, s34
	v_cndmask_b32_e64 v88, v242, v241, s34
	s_mov_b32 s35, -1
	s_mov_b32 s38, -1
	s_mov_b32 s39, exec_lo
	v_add_nc_u32_e32 v79, 1, v79
	v_add_nc_u32_e32 v88, -1, v88
	v_cndmask_b32_e64 v38, v79, v38, s34
	v_min_u32_e32 v88, v79, v88
	v_lshl_add_u32 v88, v88, 1, v176
	ds_read_u16 v89, v88
	v_cndmask_b32_e64 v88, v39, v79, s34
	s_waitcnt lgkmcnt(0)
	v_cndmask_b32_e64 v39, v89, v48, s34
	v_cndmask_b32_e64 v79, v78, v89, s34
	v_cmpx_lt_u32_e64 v38, v242
	s_cbranch_execz .LBB240_1874
; %bb.1871:
	s_mov_b32 s48, 0
	s_mov_b32 s38, exec_lo
	v_cmpx_lt_u32_e64 v88, v241
; %bb.1872:
	v_mov_b32_e32 v89, 0xcccd
	v_mul_u32_u24_sdwa v90, v39, v89 dst_sel:DWORD dst_unused:UNUSED_PAD src0_sel:WORD_0 src1_sel:DWORD
	v_mul_u32_u24_sdwa v89, v79, v89 dst_sel:DWORD dst_unused:UNUSED_PAD src0_sel:WORD_0 src1_sel:DWORD
	v_lshrrev_b32_e32 v90, 19, v90
	v_lshrrev_b32_e32 v89, 19, v89
	v_cmp_ge_u16_e64 s8, v90, v89
	s_and_b32 s48, s8, exec_lo
; %bb.1873:
	s_or_b32 exec_lo, exec_lo, s38
	s_orn2_b32 s38, s48, exec_lo
.LBB240_1874:
	s_or_b32 exec_lo, exec_lo, s39
	v_cndmask_b32_e64 v89, v38, v88, s38
	v_cndmask_b32_e64 v90, v242, v241, s38
	s_mov_b32 s39, exec_lo
	v_add_nc_u32_e32 v89, 1, v89
	v_add_nc_u32_e32 v90, -1, v90
	v_cndmask_b32_e64 v38, v89, v38, s38
	v_min_u32_e32 v90, v89, v90
	v_lshl_add_u32 v90, v90, 1, v176
	ds_read_u16 v91, v90
	v_cndmask_b32_e64 v90, v88, v89, s38
	s_waitcnt lgkmcnt(0)
	v_cndmask_b32_e64 v88, v91, v39, s38
	v_cndmask_b32_e64 v89, v79, v91, s38
	v_cmpx_lt_u32_e64 v38, v242
	s_cbranch_execz .LBB240_1878
; %bb.1875:
	s_mov_b32 s48, 0
	s_mov_b32 s35, exec_lo
	v_cmpx_lt_u32_e64 v90, v241
; %bb.1876:
	v_mov_b32_e32 v91, 0xcccd
	v_mul_u32_u24_sdwa v92, v88, v91 dst_sel:DWORD dst_unused:UNUSED_PAD src0_sel:WORD_0 src1_sel:DWORD
	v_mul_u32_u24_sdwa v91, v89, v91 dst_sel:DWORD dst_unused:UNUSED_PAD src0_sel:WORD_0 src1_sel:DWORD
	v_lshrrev_b32_e32 v92, 19, v92
	v_lshrrev_b32_e32 v91, 19, v91
	v_cmp_ge_u16_e64 s8, v92, v91
	s_and_b32 s48, s8, exec_lo
; %bb.1877:
	s_or_b32 exec_lo, exec_lo, s35
	s_orn2_b32 s35, s48, exec_lo
.LBB240_1878:
	s_or_b32 exec_lo, exec_lo, s39
	v_cndmask_b32_e64 v91, v38, v90, s35
	v_cndmask_b32_e64 v92, v242, v241, s35
	s_mov_b32 s39, exec_lo
	v_add_nc_u32_e32 v91, 1, v91
	v_add_nc_u32_e32 v92, -1, v92
	v_cndmask_b32_e64 v93, v91, v38, s35
	v_min_u32_e32 v92, v91, v92
	v_lshl_add_u32 v92, v92, 1, v176
	ds_read_u16 v92, v92
	s_waitcnt lgkmcnt(0)
	v_cndmask_b32_e64 v38, v89, v92, s35
	v_cmpx_lt_u32_e64 v93, v242
	s_cbranch_execz .LBB240_1882
; %bb.1879:
	v_cndmask_b32_e64 v90, v90, v91, s35
	v_cndmask_b32_e64 v242, v92, v88, s35
	s_mov_b32 s48, exec_lo
	v_cmpx_lt_u32_e64 v90, v241
	s_cbranch_execz .LBB240_1881
; %bb.1880:
	v_mov_b32_e32 v241, 0xcccd
	v_mul_u32_u24_sdwa v90, v242, v241 dst_sel:DWORD dst_unused:UNUSED_PAD src0_sel:WORD_0 src1_sel:DWORD
	v_mul_u32_u24_sdwa v241, v38, v241 dst_sel:DWORD dst_unused:UNUSED_PAD src0_sel:WORD_0 src1_sel:DWORD
	v_lshrrev_b32_e32 v90, 19, v90
	v_lshrrev_b32_e32 v241, 19, v241
	v_cmp_lt_u16_e64 s8, v90, v241
	v_cndmask_b32_e64 v242, v38, v242, s8
.LBB240_1881:
	s_or_b32 exec_lo, exec_lo, s48
	v_mov_b32_e32 v38, v242
.LBB240_1882:
	s_or_b32 exec_lo, exec_lo, s39
	v_cndmask_b32_e64 v39, v39, v79, s38
	v_cndmask_b32_e64 v48, v48, v78, s34
	v_cndmask_b32_e64 v49, v49, v77, s31
	v_cndmask_b32_e64 v50, v50, v76, s30
	v_cndmask_b32_e64 v54, v54, v75, vcc_hi
	v_cndmask_b32_e64 v51, v51, v74, s95
	v_cndmask_b32_e64 v52, v52, v73, s94
	;; [unrolled: 1-line block ×26, first 2 shown]
.LBB240_1883:
	s_or_b32 exec_lo, exec_lo, s12
	v_and_b32_e32 v243, 0x380, v178
	v_and_b32_e32 v244, 0x60, v178
	s_mov_b32 s9, exec_lo
	; wave barrier
	v_or_b32_e32 v241, 64, v243
	v_min_u32_e32 v244, v177, v244
	ds_write_b16 v179, v97
	ds_write_b16 v229, v100
	;; [unrolled: 1-line block ×13, first 2 shown]
	v_min_u32_e32 v241, v177, v241
	ds_write_b16 v209, v71
	ds_write_b16 v210, v70
	ds_write_b16 v211, v69
	ds_write_b16 v212, v68
	ds_write_b16 v198, v67
	ds_write_b16 v199, v66
	ds_write_b16 v208, v65
	ds_write_b16 v195, v64
	ds_write_b16 v196, v55
	ds_write_b16 v197, v53
	ds_write_b16 v192, v52
	ds_write_b16 v193, v51
	ds_write_b16 v194, v54
	v_add_nc_u32_e32 v242, 64, v241
	v_sub_nc_u32_e32 v246, v241, v243
	ds_write_b16 v180, v50
	ds_write_b16 v181, v49
	;; [unrolled: 1-line block ×6, first 2 shown]
	; wave barrier
	v_min_u32_e32 v242, v177, v242
	v_min_u32_e32 v246, v244, v246
	v_sub_nc_u32_e32 v245, v242, v241
	v_sub_nc_u32_e64 v245, v244, v245 clamp
	v_cmpx_lt_u32_e64 v245, v246
	s_cbranch_execz .LBB240_1887
; %bb.1884:
	v_lshlrev_b32_e32 v247, 1, v243
	v_lshlrev_b32_e32 v40, 1, v241
	s_mov_b32 s12, 0
	v_add_co_u32 v247, null, v176, v247
	v_add_co_u32 v40, null, v176, v40
	.p2align	6
.LBB240_1885:                           ; =>This Inner Loop Header: Depth=1
	v_add_nc_u32_e32 v41, v246, v245
	v_lshrrev_b32_e32 v42, 1, v41
	v_and_b32_e32 v41, -2, v41
	v_xad_u32 v43, v42, -1, v244
	v_add_nc_u32_e32 v41, v247, v41
	v_add_nc_u32_e32 v44, 1, v42
	v_lshl_add_u32 v43, v43, 1, v40
	ds_read_u16 v41, v41
	ds_read_u16 v43, v43
	s_waitcnt lgkmcnt(1)
	v_mul_u32_u24_e32 v41, 0xcccd, v41
	s_waitcnt lgkmcnt(0)
	v_mul_u32_u24_e32 v43, 0xcccd, v43
	v_lshrrev_b32_e32 v41, 19, v41
	v_lshrrev_b32_e32 v43, 19, v43
	v_cmp_lt_u16_e64 s8, v43, v41
	v_cndmask_b32_e64 v246, v246, v42, s8
	v_cndmask_b32_e64 v245, v44, v245, s8
	v_cmp_ge_u32_e64 s8, v245, v246
	s_or_b32 s12, s8, s12
	s_andn2_b32 exec_lo, exec_lo, s12
	s_cbranch_execnz .LBB240_1885
; %bb.1886:
	s_or_b32 exec_lo, exec_lo, s12
.LBB240_1887:
	s_or_b32 exec_lo, exec_lo, s9
	v_add_nc_u32_e32 v244, v241, v244
	v_add_nc_u32_e32 v243, v245, v243
	v_sub_nc_u32_e32 v244, v244, v245
	v_cmp_le_u32_e64 s8, v243, v241
	v_cmp_le_u32_e64 s9, v244, v242
	s_or_b32 s8, s8, s9
	s_and_saveexec_b32 s12, s8
	s_cbranch_execz .LBB240_2019
; %bb.1888:
	v_cmp_ge_u32_e64 s8, v243, v241
	s_mov_b32 s13, exec_lo
                                        ; implicit-def: $vgpr97
	v_cmpx_lt_u32_e64 v243, v241
; %bb.1889:
	v_lshl_add_u32 v38, v243, 1, v176
	ds_read_u16 v97, v38
; %bb.1890:
	s_or_b32 exec_lo, exec_lo, s13
	v_cmp_ge_u32_e64 s13, v244, v242
	s_mov_b32 s57, exec_lo
                                        ; implicit-def: $vgpr101
	v_cmpx_lt_u32_e64 v244, v242
; %bb.1891:
	v_lshl_add_u32 v38, v244, 1, v176
	ds_read_u16 v101, v38
; %bb.1892:
	s_or_b32 exec_lo, exec_lo, s57
	s_nor_b32 s8, s8, s13
	s_and_saveexec_b32 s9, s8
	s_cbranch_execz .LBB240_1894
; %bb.1893:
	v_mov_b32_e32 v38, 0xcccd
	s_andn2_b32 s13, s13, exec_lo
	s_waitcnt lgkmcnt(0)
	v_mul_u32_u24_sdwa v39, v101, v38 dst_sel:DWORD dst_unused:UNUSED_PAD src0_sel:WORD_0 src1_sel:DWORD
	v_mul_u32_u24_sdwa v38, v97, v38 dst_sel:DWORD dst_unused:UNUSED_PAD src0_sel:WORD_0 src1_sel:DWORD
	v_lshrrev_b32_e32 v39, 19, v39
	v_lshrrev_b32_e32 v38, 19, v38
	v_cmp_ge_u16_e64 s8, v39, v38
	s_and_b32 s8, s8, exec_lo
	s_or_b32 s13, s13, s8
.LBB240_1894:
	s_or_b32 exec_lo, exec_lo, s9
	v_cndmask_b32_e64 v38, v244, v243, s13
	v_cndmask_b32_e64 v39, v242, v241, s13
	s_mov_b32 s57, -1
	s_mov_b32 s9, -1
	s_mov_b32 s58, exec_lo
	v_add_nc_u32_e32 v48, 1, v38
	v_add_nc_u32_e32 v38, -1, v39
	v_cndmask_b32_e64 v39, v243, v48, s13
	v_min_u32_e32 v38, v48, v38
	v_lshl_add_u32 v38, v38, 1, v176
	ds_read_u16 v49, v38
	v_cndmask_b32_e64 v38, v48, v244, s13
	s_waitcnt lgkmcnt(0)
	v_cndmask_b32_e64 v100, v49, v101, s13
	v_cndmask_b32_e64 v243, v97, v49, s13
	v_cmpx_lt_u32_e64 v38, v242
	s_cbranch_execz .LBB240_1898
; %bb.1895:
	s_mov_b32 s59, 0
	s_mov_b32 s9, exec_lo
	v_cmpx_lt_u32_e64 v39, v241
; %bb.1896:
	v_mov_b32_e32 v48, 0xcccd
	v_mul_u32_u24_sdwa v49, v100, v48 dst_sel:DWORD dst_unused:UNUSED_PAD src0_sel:WORD_0 src1_sel:DWORD
	v_mul_u32_u24_sdwa v48, v243, v48 dst_sel:DWORD dst_unused:UNUSED_PAD src0_sel:WORD_0 src1_sel:DWORD
	v_lshrrev_b32_e32 v49, 19, v49
	v_lshrrev_b32_e32 v48, 19, v48
	v_cmp_ge_u16_e64 s8, v49, v48
	s_and_b32 s59, s8, exec_lo
; %bb.1897:
	s_or_b32 exec_lo, exec_lo, s9
	s_orn2_b32 s9, s59, exec_lo
.LBB240_1898:
	s_or_b32 exec_lo, exec_lo, s58
	v_cndmask_b32_e64 v48, v38, v39, s9
	v_cndmask_b32_e64 v49, v242, v241, s9
	s_mov_b32 s58, exec_lo
	v_add_nc_u32_e32 v48, 1, v48
	v_add_nc_u32_e32 v49, -1, v49
	v_cndmask_b32_e64 v38, v48, v38, s9
	v_min_u32_e32 v49, v48, v49
	v_cndmask_b32_e64 v39, v39, v48, s9
	v_lshl_add_u32 v49, v49, 1, v176
	ds_read_u16 v49, v49
	s_waitcnt lgkmcnt(0)
	v_cndmask_b32_e64 v99, v49, v100, s9
	v_cndmask_b32_e64 v244, v243, v49, s9
	v_cmpx_lt_u32_e64 v38, v242
	s_cbranch_execz .LBB240_1902
; %bb.1899:
	s_mov_b32 s59, 0
	s_mov_b32 s57, exec_lo
	v_cmpx_lt_u32_e64 v39, v241
; %bb.1900:
	v_mov_b32_e32 v48, 0xcccd
	v_mul_u32_u24_sdwa v49, v99, v48 dst_sel:DWORD dst_unused:UNUSED_PAD src0_sel:WORD_0 src1_sel:DWORD
	v_mul_u32_u24_sdwa v48, v244, v48 dst_sel:DWORD dst_unused:UNUSED_PAD src0_sel:WORD_0 src1_sel:DWORD
	v_lshrrev_b32_e32 v49, 19, v49
	v_lshrrev_b32_e32 v48, 19, v48
	v_cmp_ge_u16_e64 s8, v49, v48
	s_and_b32 s59, s8, exec_lo
; %bb.1901:
	s_or_b32 exec_lo, exec_lo, s57
	s_orn2_b32 s57, s59, exec_lo
.LBB240_1902:
	s_or_b32 exec_lo, exec_lo, s58
	v_cndmask_b32_e64 v48, v38, v39, s57
	v_cndmask_b32_e64 v49, v242, v241, s57
	s_mov_b32 s59, -1
	s_mov_b32 s58, -1
	s_mov_b32 s60, exec_lo
	v_add_nc_u32_e32 v48, 1, v48
	v_add_nc_u32_e32 v49, -1, v49
	v_cndmask_b32_e64 v38, v48, v38, s57
	v_min_u32_e32 v49, v48, v49
	v_cndmask_b32_e64 v39, v39, v48, s57
	v_lshl_add_u32 v49, v49, 1, v176
	ds_read_u16 v49, v49
	s_waitcnt lgkmcnt(0)
	v_cndmask_b32_e64 v98, v49, v99, s57
	v_cndmask_b32_e64 v245, v244, v49, s57
	v_cmpx_lt_u32_e64 v38, v242
	s_cbranch_execz .LBB240_1906
; %bb.1903:
	s_mov_b32 s61, 0
	s_mov_b32 s58, exec_lo
	v_cmpx_lt_u32_e64 v39, v241
; %bb.1904:
	v_mov_b32_e32 v48, 0xcccd
	v_mul_u32_u24_sdwa v49, v98, v48 dst_sel:DWORD dst_unused:UNUSED_PAD src0_sel:WORD_0 src1_sel:DWORD
	v_mul_u32_u24_sdwa v48, v245, v48 dst_sel:DWORD dst_unused:UNUSED_PAD src0_sel:WORD_0 src1_sel:DWORD
	v_lshrrev_b32_e32 v49, 19, v49
	v_lshrrev_b32_e32 v48, 19, v48
	v_cmp_ge_u16_e64 s8, v49, v48
	s_and_b32 s61, s8, exec_lo
; %bb.1905:
	s_or_b32 exec_lo, exec_lo, s58
	s_orn2_b32 s58, s61, exec_lo
.LBB240_1906:
	s_or_b32 exec_lo, exec_lo, s60
	v_cndmask_b32_e64 v48, v38, v39, s58
	v_cndmask_b32_e64 v49, v242, v241, s58
	s_mov_b32 s60, exec_lo
	v_add_nc_u32_e32 v48, 1, v48
	v_add_nc_u32_e32 v49, -1, v49
	v_cndmask_b32_e64 v38, v48, v38, s58
	v_min_u32_e32 v49, v48, v49
	v_cndmask_b32_e64 v39, v39, v48, s58
	v_lshl_add_u32 v49, v49, 1, v176
	ds_read_u16 v49, v49
	s_waitcnt lgkmcnt(0)
	v_cndmask_b32_e64 v96, v49, v98, s58
	v_cndmask_b32_e64 v246, v245, v49, s58
	v_cmpx_lt_u32_e64 v38, v242
	s_cbranch_execz .LBB240_1910
; %bb.1907:
	s_mov_b32 s61, 0
	s_mov_b32 s59, exec_lo
	v_cmpx_lt_u32_e64 v39, v241
; %bb.1908:
	v_mov_b32_e32 v48, 0xcccd
	v_mul_u32_u24_sdwa v49, v96, v48 dst_sel:DWORD dst_unused:UNUSED_PAD src0_sel:WORD_0 src1_sel:DWORD
	v_mul_u32_u24_sdwa v48, v246, v48 dst_sel:DWORD dst_unused:UNUSED_PAD src0_sel:WORD_0 src1_sel:DWORD
	v_lshrrev_b32_e32 v49, 19, v49
	v_lshrrev_b32_e32 v48, 19, v48
	v_cmp_ge_u16_e64 s8, v49, v48
	s_and_b32 s61, s8, exec_lo
; %bb.1909:
	s_or_b32 exec_lo, exec_lo, s59
	s_orn2_b32 s59, s61, exec_lo
.LBB240_1910:
	s_or_b32 exec_lo, exec_lo, s60
	v_cndmask_b32_e64 v48, v38, v39, s59
	v_cndmask_b32_e64 v49, v242, v241, s59
	s_mov_b32 s61, -1
	s_mov_b32 s60, -1
	s_mov_b32 s62, exec_lo
	v_add_nc_u32_e32 v48, 1, v48
	v_add_nc_u32_e32 v49, -1, v49
	v_cndmask_b32_e64 v38, v48, v38, s59
	v_min_u32_e32 v49, v48, v49
	v_cndmask_b32_e64 v39, v39, v48, s59
	v_lshl_add_u32 v49, v49, 1, v176
	ds_read_u16 v49, v49
	s_waitcnt lgkmcnt(0)
	v_cndmask_b32_e64 v87, v49, v96, s59
	v_cndmask_b32_e64 v247, v246, v49, s59
	v_cmpx_lt_u32_e64 v38, v242
	s_cbranch_execz .LBB240_1914
; %bb.1911:
	s_mov_b32 s63, 0
	s_mov_b32 s60, exec_lo
	v_cmpx_lt_u32_e64 v39, v241
; %bb.1912:
	v_mov_b32_e32 v48, 0xcccd
	v_mul_u32_u24_sdwa v49, v87, v48 dst_sel:DWORD dst_unused:UNUSED_PAD src0_sel:WORD_0 src1_sel:DWORD
	v_mul_u32_u24_sdwa v48, v247, v48 dst_sel:DWORD dst_unused:UNUSED_PAD src0_sel:WORD_0 src1_sel:DWORD
	v_lshrrev_b32_e32 v49, 19, v49
	v_lshrrev_b32_e32 v48, 19, v48
	v_cmp_ge_u16_e64 s8, v49, v48
	s_and_b32 s63, s8, exec_lo
; %bb.1913:
	s_or_b32 exec_lo, exec_lo, s60
	s_orn2_b32 s60, s63, exec_lo
.LBB240_1914:
	s_or_b32 exec_lo, exec_lo, s62
	v_cndmask_b32_e64 v48, v38, v39, s60
	v_cndmask_b32_e64 v49, v242, v241, s60
	s_mov_b32 s62, exec_lo
	v_add_nc_u32_e32 v48, 1, v48
	v_add_nc_u32_e32 v49, -1, v49
	v_cndmask_b32_e64 v38, v48, v38, s60
	v_min_u32_e32 v49, v48, v49
	v_cndmask_b32_e64 v39, v39, v48, s60
	v_lshl_add_u32 v49, v49, 1, v176
	ds_read_u16 v49, v49
	s_waitcnt lgkmcnt(0)
	v_cndmask_b32_e64 v86, v49, v87, s60
	v_cndmask_b32_e64 v40, v247, v49, s60
	v_cmpx_lt_u32_e64 v38, v242
	s_cbranch_execz .LBB240_1918
; %bb.1915:
	s_mov_b32 s63, 0
	s_mov_b32 s61, exec_lo
	v_cmpx_lt_u32_e64 v39, v241
; %bb.1916:
	v_mov_b32_e32 v48, 0xcccd
	v_mul_u32_u24_sdwa v49, v86, v48 dst_sel:DWORD dst_unused:UNUSED_PAD src0_sel:WORD_0 src1_sel:DWORD
	v_mul_u32_u24_sdwa v48, v40, v48 dst_sel:DWORD dst_unused:UNUSED_PAD src0_sel:WORD_0 src1_sel:DWORD
	v_lshrrev_b32_e32 v49, 19, v49
	v_lshrrev_b32_e32 v48, 19, v48
	v_cmp_ge_u16_e64 s8, v49, v48
	s_and_b32 s63, s8, exec_lo
; %bb.1917:
	s_or_b32 exec_lo, exec_lo, s61
	s_orn2_b32 s61, s63, exec_lo
.LBB240_1918:
	s_or_b32 exec_lo, exec_lo, s62
	v_cndmask_b32_e64 v48, v38, v39, s61
	v_cndmask_b32_e64 v49, v242, v241, s61
	s_mov_b32 s63, -1
	s_mov_b32 s62, -1
	s_mov_b32 s72, exec_lo
	v_add_nc_u32_e32 v48, 1, v48
	v_add_nc_u32_e32 v49, -1, v49
	v_cndmask_b32_e64 v38, v48, v38, s61
	v_min_u32_e32 v49, v48, v49
	v_cndmask_b32_e64 v39, v39, v48, s61
	v_lshl_add_u32 v49, v49, 1, v176
	ds_read_u16 v49, v49
	s_waitcnt lgkmcnt(0)
	v_cndmask_b32_e64 v85, v49, v86, s61
	v_cndmask_b32_e64 v41, v40, v49, s61
	v_cmpx_lt_u32_e64 v38, v242
	s_cbranch_execz .LBB240_1922
; %bb.1919:
	s_mov_b32 s73, 0
	s_mov_b32 s62, exec_lo
	v_cmpx_lt_u32_e64 v39, v241
; %bb.1920:
	v_mov_b32_e32 v48, 0xcccd
	v_mul_u32_u24_sdwa v49, v85, v48 dst_sel:DWORD dst_unused:UNUSED_PAD src0_sel:WORD_0 src1_sel:DWORD
	v_mul_u32_u24_sdwa v48, v41, v48 dst_sel:DWORD dst_unused:UNUSED_PAD src0_sel:WORD_0 src1_sel:DWORD
	v_lshrrev_b32_e32 v49, 19, v49
	v_lshrrev_b32_e32 v48, 19, v48
	v_cmp_ge_u16_e64 s8, v49, v48
	s_and_b32 s73, s8, exec_lo
; %bb.1921:
	s_or_b32 exec_lo, exec_lo, s62
	s_orn2_b32 s62, s73, exec_lo
.LBB240_1922:
	s_or_b32 exec_lo, exec_lo, s72
	v_cndmask_b32_e64 v48, v38, v39, s62
	v_cndmask_b32_e64 v49, v242, v241, s62
	s_mov_b32 s72, exec_lo
	v_add_nc_u32_e32 v48, 1, v48
	v_add_nc_u32_e32 v49, -1, v49
	v_cndmask_b32_e64 v38, v48, v38, s62
	v_min_u32_e32 v49, v48, v49
	v_cndmask_b32_e64 v39, v39, v48, s62
	v_lshl_add_u32 v49, v49, 1, v176
	ds_read_u16 v49, v49
	s_waitcnt lgkmcnt(0)
	v_cndmask_b32_e64 v84, v49, v85, s62
	v_cndmask_b32_e64 v42, v41, v49, s62
	v_cmpx_lt_u32_e64 v38, v242
	s_cbranch_execz .LBB240_1926
; %bb.1923:
	s_mov_b32 s73, 0
	s_mov_b32 s63, exec_lo
	v_cmpx_lt_u32_e64 v39, v241
; %bb.1924:
	v_mov_b32_e32 v48, 0xcccd
	v_mul_u32_u24_sdwa v49, v84, v48 dst_sel:DWORD dst_unused:UNUSED_PAD src0_sel:WORD_0 src1_sel:DWORD
	v_mul_u32_u24_sdwa v48, v42, v48 dst_sel:DWORD dst_unused:UNUSED_PAD src0_sel:WORD_0 src1_sel:DWORD
	v_lshrrev_b32_e32 v49, 19, v49
	v_lshrrev_b32_e32 v48, 19, v48
	v_cmp_ge_u16_e64 s8, v49, v48
	s_and_b32 s73, s8, exec_lo
; %bb.1925:
	s_or_b32 exec_lo, exec_lo, s63
	s_orn2_b32 s63, s73, exec_lo
.LBB240_1926:
	s_or_b32 exec_lo, exec_lo, s72
	v_cndmask_b32_e64 v48, v38, v39, s63
	v_cndmask_b32_e64 v49, v242, v241, s63
	s_mov_b32 s73, -1
	s_mov_b32 s72, -1
	s_mov_b32 s74, exec_lo
	v_add_nc_u32_e32 v48, 1, v48
	v_add_nc_u32_e32 v49, -1, v49
	v_cndmask_b32_e64 v38, v48, v38, s63
	v_min_u32_e32 v49, v48, v49
	v_cndmask_b32_e64 v39, v39, v48, s63
	v_lshl_add_u32 v49, v49, 1, v176
	ds_read_u16 v49, v49
	s_waitcnt lgkmcnt(0)
	v_cndmask_b32_e64 v83, v49, v84, s63
	v_cndmask_b32_e64 v43, v42, v49, s63
	v_cmpx_lt_u32_e64 v38, v242
	s_cbranch_execz .LBB240_1930
; %bb.1927:
	s_mov_b32 s75, 0
	s_mov_b32 s72, exec_lo
	v_cmpx_lt_u32_e64 v39, v241
; %bb.1928:
	v_mov_b32_e32 v48, 0xcccd
	v_mul_u32_u24_sdwa v49, v83, v48 dst_sel:DWORD dst_unused:UNUSED_PAD src0_sel:WORD_0 src1_sel:DWORD
	v_mul_u32_u24_sdwa v48, v43, v48 dst_sel:DWORD dst_unused:UNUSED_PAD src0_sel:WORD_0 src1_sel:DWORD
	v_lshrrev_b32_e32 v49, 19, v49
	v_lshrrev_b32_e32 v48, 19, v48
	v_cmp_ge_u16_e64 s8, v49, v48
	s_and_b32 s75, s8, exec_lo
; %bb.1929:
	s_or_b32 exec_lo, exec_lo, s72
	s_orn2_b32 s72, s75, exec_lo
.LBB240_1930:
	s_or_b32 exec_lo, exec_lo, s74
	v_cndmask_b32_e64 v48, v38, v39, s72
	v_cndmask_b32_e64 v49, v242, v241, s72
	s_mov_b32 s74, exec_lo
	v_add_nc_u32_e32 v48, 1, v48
	v_add_nc_u32_e32 v49, -1, v49
	v_cndmask_b32_e64 v38, v48, v38, s72
	v_min_u32_e32 v49, v48, v49
	v_cndmask_b32_e64 v39, v39, v48, s72
	v_lshl_add_u32 v49, v49, 1, v176
	ds_read_u16 v49, v49
	s_waitcnt lgkmcnt(0)
	v_cndmask_b32_e64 v82, v49, v83, s72
	v_cndmask_b32_e64 v44, v43, v49, s72
	v_cmpx_lt_u32_e64 v38, v242
	s_cbranch_execz .LBB240_1934
; %bb.1931:
	s_mov_b32 s75, 0
	s_mov_b32 s73, exec_lo
	v_cmpx_lt_u32_e64 v39, v241
; %bb.1932:
	v_mov_b32_e32 v48, 0xcccd
	v_mul_u32_u24_sdwa v49, v82, v48 dst_sel:DWORD dst_unused:UNUSED_PAD src0_sel:WORD_0 src1_sel:DWORD
	v_mul_u32_u24_sdwa v48, v44, v48 dst_sel:DWORD dst_unused:UNUSED_PAD src0_sel:WORD_0 src1_sel:DWORD
	v_lshrrev_b32_e32 v49, 19, v49
	v_lshrrev_b32_e32 v48, 19, v48
	v_cmp_ge_u16_e64 s8, v49, v48
	s_and_b32 s75, s8, exec_lo
; %bb.1933:
	s_or_b32 exec_lo, exec_lo, s73
	s_orn2_b32 s73, s75, exec_lo
.LBB240_1934:
	s_or_b32 exec_lo, exec_lo, s74
	v_cndmask_b32_e64 v48, v38, v39, s73
	v_cndmask_b32_e64 v49, v242, v241, s73
	s_mov_b32 s75, -1
	s_mov_b32 s74, -1
	s_mov_b32 s76, exec_lo
	v_add_nc_u32_e32 v48, 1, v48
	v_add_nc_u32_e32 v49, -1, v49
	v_cndmask_b32_e64 v38, v48, v38, s73
	v_min_u32_e32 v49, v48, v49
	v_cndmask_b32_e64 v39, v39, v48, s73
	v_lshl_add_u32 v49, v49, 1, v176
	ds_read_u16 v49, v49
	s_waitcnt lgkmcnt(0)
	v_cndmask_b32_e64 v81, v49, v82, s73
	v_cndmask_b32_e64 v45, v44, v49, s73
	v_cmpx_lt_u32_e64 v38, v242
	s_cbranch_execz .LBB240_1938
; %bb.1935:
	s_mov_b32 s77, 0
	s_mov_b32 s74, exec_lo
	v_cmpx_lt_u32_e64 v39, v241
; %bb.1936:
	v_mov_b32_e32 v48, 0xcccd
	v_mul_u32_u24_sdwa v49, v81, v48 dst_sel:DWORD dst_unused:UNUSED_PAD src0_sel:WORD_0 src1_sel:DWORD
	v_mul_u32_u24_sdwa v48, v45, v48 dst_sel:DWORD dst_unused:UNUSED_PAD src0_sel:WORD_0 src1_sel:DWORD
	v_lshrrev_b32_e32 v49, 19, v49
	v_lshrrev_b32_e32 v48, 19, v48
	v_cmp_ge_u16_e64 s8, v49, v48
	s_and_b32 s77, s8, exec_lo
; %bb.1937:
	s_or_b32 exec_lo, exec_lo, s74
	s_orn2_b32 s74, s77, exec_lo
.LBB240_1938:
	s_or_b32 exec_lo, exec_lo, s76
	v_cndmask_b32_e64 v48, v38, v39, s74
	v_cndmask_b32_e64 v49, v242, v241, s74
	s_mov_b32 s76, exec_lo
	v_add_nc_u32_e32 v48, 1, v48
	v_add_nc_u32_e32 v49, -1, v49
	v_cndmask_b32_e64 v38, v48, v38, s74
	v_min_u32_e32 v49, v48, v49
	v_cndmask_b32_e64 v39, v39, v48, s74
	v_lshl_add_u32 v49, v49, 1, v176
	ds_read_u16 v49, v49
	s_waitcnt lgkmcnt(0)
	v_cndmask_b32_e64 v80, v49, v81, s74
	v_cndmask_b32_e64 v46, v45, v49, s74
	v_cmpx_lt_u32_e64 v38, v242
	s_cbranch_execz .LBB240_1942
; %bb.1939:
	s_mov_b32 s77, 0
	s_mov_b32 s75, exec_lo
	v_cmpx_lt_u32_e64 v39, v241
; %bb.1940:
	v_mov_b32_e32 v48, 0xcccd
	v_mul_u32_u24_sdwa v49, v80, v48 dst_sel:DWORD dst_unused:UNUSED_PAD src0_sel:WORD_0 src1_sel:DWORD
	v_mul_u32_u24_sdwa v48, v46, v48 dst_sel:DWORD dst_unused:UNUSED_PAD src0_sel:WORD_0 src1_sel:DWORD
	v_lshrrev_b32_e32 v49, 19, v49
	v_lshrrev_b32_e32 v48, 19, v48
	v_cmp_ge_u16_e64 s8, v49, v48
	s_and_b32 s77, s8, exec_lo
; %bb.1941:
	s_or_b32 exec_lo, exec_lo, s75
	s_orn2_b32 s75, s77, exec_lo
.LBB240_1942:
	s_or_b32 exec_lo, exec_lo, s76
	v_cndmask_b32_e64 v48, v38, v39, s75
	v_cndmask_b32_e64 v49, v242, v241, s75
	s_mov_b32 s77, -1
	s_mov_b32 s76, -1
	s_mov_b32 s78, exec_lo
	v_add_nc_u32_e32 v48, 1, v48
	v_add_nc_u32_e32 v49, -1, v49
	v_cndmask_b32_e64 v38, v48, v38, s75
	v_min_u32_e32 v49, v48, v49
	v_cndmask_b32_e64 v39, v39, v48, s75
	v_lshl_add_u32 v49, v49, 1, v176
	ds_read_u16 v49, v49
	s_waitcnt lgkmcnt(0)
	v_cndmask_b32_e64 v71, v49, v80, s75
	v_cndmask_b32_e64 v47, v46, v49, s75
	v_cmpx_lt_u32_e64 v38, v242
	s_cbranch_execz .LBB240_1946
; %bb.1943:
	s_mov_b32 s79, 0
	s_mov_b32 s76, exec_lo
	v_cmpx_lt_u32_e64 v39, v241
; %bb.1944:
	v_mov_b32_e32 v48, 0xcccd
	v_mul_u32_u24_sdwa v49, v71, v48 dst_sel:DWORD dst_unused:UNUSED_PAD src0_sel:WORD_0 src1_sel:DWORD
	v_mul_u32_u24_sdwa v48, v47, v48 dst_sel:DWORD dst_unused:UNUSED_PAD src0_sel:WORD_0 src1_sel:DWORD
	v_lshrrev_b32_e32 v49, 19, v49
	v_lshrrev_b32_e32 v48, 19, v48
	v_cmp_ge_u16_e64 s8, v49, v48
	s_and_b32 s79, s8, exec_lo
; %bb.1945:
	s_or_b32 exec_lo, exec_lo, s76
	s_orn2_b32 s76, s79, exec_lo
.LBB240_1946:
	s_or_b32 exec_lo, exec_lo, s78
	v_cndmask_b32_e64 v48, v38, v39, s76
	v_cndmask_b32_e64 v49, v242, v241, s76
	s_mov_b32 s78, exec_lo
	v_add_nc_u32_e32 v48, 1, v48
	v_add_nc_u32_e32 v49, -1, v49
	v_cndmask_b32_e64 v38, v48, v38, s76
	v_min_u32_e32 v49, v48, v49
	v_cndmask_b32_e64 v39, v39, v48, s76
	v_lshl_add_u32 v49, v49, 1, v176
	ds_read_u16 v49, v49
	s_waitcnt lgkmcnt(0)
	v_cndmask_b32_e64 v70, v49, v71, s76
	v_cndmask_b32_e64 v56, v47, v49, s76
	v_cmpx_lt_u32_e64 v38, v242
	s_cbranch_execz .LBB240_1950
; %bb.1947:
	s_mov_b32 s79, 0
	s_mov_b32 s77, exec_lo
	v_cmpx_lt_u32_e64 v39, v241
; %bb.1948:
	v_mov_b32_e32 v48, 0xcccd
	v_mul_u32_u24_sdwa v49, v70, v48 dst_sel:DWORD dst_unused:UNUSED_PAD src0_sel:WORD_0 src1_sel:DWORD
	v_mul_u32_u24_sdwa v48, v56, v48 dst_sel:DWORD dst_unused:UNUSED_PAD src0_sel:WORD_0 src1_sel:DWORD
	v_lshrrev_b32_e32 v49, 19, v49
	v_lshrrev_b32_e32 v48, 19, v48
	v_cmp_ge_u16_e64 s8, v49, v48
	s_and_b32 s79, s8, exec_lo
; %bb.1949:
	s_or_b32 exec_lo, exec_lo, s77
	s_orn2_b32 s77, s79, exec_lo
.LBB240_1950:
	s_or_b32 exec_lo, exec_lo, s78
	v_cndmask_b32_e64 v48, v38, v39, s77
	v_cndmask_b32_e64 v49, v242, v241, s77
	s_mov_b32 s79, -1
	s_mov_b32 s78, -1
	s_mov_b32 s88, exec_lo
	v_add_nc_u32_e32 v48, 1, v48
	v_add_nc_u32_e32 v49, -1, v49
	v_cndmask_b32_e64 v38, v48, v38, s77
	v_min_u32_e32 v49, v48, v49
	v_cndmask_b32_e64 v39, v39, v48, s77
	v_lshl_add_u32 v49, v49, 1, v176
	ds_read_u16 v49, v49
	s_waitcnt lgkmcnt(0)
	v_cndmask_b32_e64 v69, v49, v70, s77
	v_cndmask_b32_e64 v57, v56, v49, s77
	v_cmpx_lt_u32_e64 v38, v242
	s_cbranch_execz .LBB240_1954
; %bb.1951:
	s_mov_b32 s89, 0
	s_mov_b32 s78, exec_lo
	v_cmpx_lt_u32_e64 v39, v241
; %bb.1952:
	v_mov_b32_e32 v48, 0xcccd
	v_mul_u32_u24_sdwa v49, v69, v48 dst_sel:DWORD dst_unused:UNUSED_PAD src0_sel:WORD_0 src1_sel:DWORD
	v_mul_u32_u24_sdwa v48, v57, v48 dst_sel:DWORD dst_unused:UNUSED_PAD src0_sel:WORD_0 src1_sel:DWORD
	v_lshrrev_b32_e32 v49, 19, v49
	v_lshrrev_b32_e32 v48, 19, v48
	v_cmp_ge_u16_e64 s8, v49, v48
	s_and_b32 s89, s8, exec_lo
; %bb.1953:
	s_or_b32 exec_lo, exec_lo, s78
	s_orn2_b32 s78, s89, exec_lo
.LBB240_1954:
	s_or_b32 exec_lo, exec_lo, s88
	v_cndmask_b32_e64 v48, v38, v39, s78
	v_cndmask_b32_e64 v49, v242, v241, s78
	s_mov_b32 s88, exec_lo
	v_add_nc_u32_e32 v48, 1, v48
	v_add_nc_u32_e32 v49, -1, v49
	v_cndmask_b32_e64 v38, v48, v38, s78
	v_min_u32_e32 v49, v48, v49
	v_cndmask_b32_e64 v39, v39, v48, s78
	v_lshl_add_u32 v49, v49, 1, v176
	ds_read_u16 v49, v49
	s_waitcnt lgkmcnt(0)
	v_cndmask_b32_e64 v68, v49, v69, s78
	v_cndmask_b32_e64 v58, v57, v49, s78
	v_cmpx_lt_u32_e64 v38, v242
	s_cbranch_execz .LBB240_1958
; %bb.1955:
	s_mov_b32 s89, 0
	s_mov_b32 s79, exec_lo
	v_cmpx_lt_u32_e64 v39, v241
; %bb.1956:
	v_mov_b32_e32 v48, 0xcccd
	v_mul_u32_u24_sdwa v49, v68, v48 dst_sel:DWORD dst_unused:UNUSED_PAD src0_sel:WORD_0 src1_sel:DWORD
	v_mul_u32_u24_sdwa v48, v58, v48 dst_sel:DWORD dst_unused:UNUSED_PAD src0_sel:WORD_0 src1_sel:DWORD
	v_lshrrev_b32_e32 v49, 19, v49
	v_lshrrev_b32_e32 v48, 19, v48
	v_cmp_ge_u16_e64 s8, v49, v48
	s_and_b32 s89, s8, exec_lo
; %bb.1957:
	s_or_b32 exec_lo, exec_lo, s79
	s_orn2_b32 s79, s89, exec_lo
.LBB240_1958:
	s_or_b32 exec_lo, exec_lo, s88
	v_cndmask_b32_e64 v48, v38, v39, s79
	v_cndmask_b32_e64 v49, v242, v241, s79
	s_mov_b32 s89, -1
	s_mov_b32 s88, -1
	s_mov_b32 s90, exec_lo
	v_add_nc_u32_e32 v48, 1, v48
	v_add_nc_u32_e32 v49, -1, v49
	v_cndmask_b32_e64 v38, v48, v38, s79
	v_min_u32_e32 v49, v48, v49
	v_cndmask_b32_e64 v39, v39, v48, s79
	v_lshl_add_u32 v49, v49, 1, v176
	ds_read_u16 v49, v49
	s_waitcnt lgkmcnt(0)
	v_cndmask_b32_e64 v67, v49, v68, s79
	v_cndmask_b32_e64 v59, v58, v49, s79
	v_cmpx_lt_u32_e64 v38, v242
	s_cbranch_execz .LBB240_1962
; %bb.1959:
	s_mov_b32 s91, 0
	s_mov_b32 s88, exec_lo
	v_cmpx_lt_u32_e64 v39, v241
; %bb.1960:
	v_mov_b32_e32 v48, 0xcccd
	v_mul_u32_u24_sdwa v49, v67, v48 dst_sel:DWORD dst_unused:UNUSED_PAD src0_sel:WORD_0 src1_sel:DWORD
	v_mul_u32_u24_sdwa v48, v59, v48 dst_sel:DWORD dst_unused:UNUSED_PAD src0_sel:WORD_0 src1_sel:DWORD
	v_lshrrev_b32_e32 v49, 19, v49
	v_lshrrev_b32_e32 v48, 19, v48
	v_cmp_ge_u16_e64 s8, v49, v48
	s_and_b32 s91, s8, exec_lo
; %bb.1961:
	s_or_b32 exec_lo, exec_lo, s88
	s_orn2_b32 s88, s91, exec_lo
.LBB240_1962:
	s_or_b32 exec_lo, exec_lo, s90
	v_cndmask_b32_e64 v48, v38, v39, s88
	v_cndmask_b32_e64 v49, v242, v241, s88
	s_mov_b32 s90, exec_lo
	v_add_nc_u32_e32 v48, 1, v48
	v_add_nc_u32_e32 v49, -1, v49
	v_cndmask_b32_e64 v38, v48, v38, s88
	v_min_u32_e32 v49, v48, v49
	v_cndmask_b32_e64 v39, v39, v48, s88
	v_lshl_add_u32 v49, v49, 1, v176
	ds_read_u16 v49, v49
	s_waitcnt lgkmcnt(0)
	v_cndmask_b32_e64 v66, v49, v67, s88
	v_cndmask_b32_e64 v60, v59, v49, s88
	v_cmpx_lt_u32_e64 v38, v242
	s_cbranch_execz .LBB240_1966
; %bb.1963:
	s_mov_b32 s91, 0
	s_mov_b32 s89, exec_lo
	v_cmpx_lt_u32_e64 v39, v241
; %bb.1964:
	v_mov_b32_e32 v48, 0xcccd
	v_mul_u32_u24_sdwa v49, v66, v48 dst_sel:DWORD dst_unused:UNUSED_PAD src0_sel:WORD_0 src1_sel:DWORD
	v_mul_u32_u24_sdwa v48, v60, v48 dst_sel:DWORD dst_unused:UNUSED_PAD src0_sel:WORD_0 src1_sel:DWORD
	v_lshrrev_b32_e32 v49, 19, v49
	v_lshrrev_b32_e32 v48, 19, v48
	v_cmp_ge_u16_e64 s8, v49, v48
	s_and_b32 s91, s8, exec_lo
; %bb.1965:
	s_or_b32 exec_lo, exec_lo, s89
	s_orn2_b32 s89, s91, exec_lo
.LBB240_1966:
	s_or_b32 exec_lo, exec_lo, s90
	v_cndmask_b32_e64 v48, v38, v39, s89
	v_cndmask_b32_e64 v49, v242, v241, s89
	s_mov_b32 s91, -1
	s_mov_b32 s90, -1
	s_mov_b32 s92, exec_lo
	v_add_nc_u32_e32 v48, 1, v48
	v_add_nc_u32_e32 v49, -1, v49
	v_cndmask_b32_e64 v38, v48, v38, s89
	v_min_u32_e32 v49, v48, v49
	v_cndmask_b32_e64 v39, v39, v48, s89
	v_lshl_add_u32 v49, v49, 1, v176
	ds_read_u16 v49, v49
	s_waitcnt lgkmcnt(0)
	v_cndmask_b32_e64 v65, v49, v66, s89
	v_cndmask_b32_e64 v61, v60, v49, s89
	v_cmpx_lt_u32_e64 v38, v242
	s_cbranch_execz .LBB240_1970
; %bb.1967:
	s_mov_b32 s93, 0
	s_mov_b32 s90, exec_lo
	v_cmpx_lt_u32_e64 v39, v241
; %bb.1968:
	v_mov_b32_e32 v48, 0xcccd
	v_mul_u32_u24_sdwa v49, v65, v48 dst_sel:DWORD dst_unused:UNUSED_PAD src0_sel:WORD_0 src1_sel:DWORD
	v_mul_u32_u24_sdwa v48, v61, v48 dst_sel:DWORD dst_unused:UNUSED_PAD src0_sel:WORD_0 src1_sel:DWORD
	v_lshrrev_b32_e32 v49, 19, v49
	v_lshrrev_b32_e32 v48, 19, v48
	v_cmp_ge_u16_e64 s8, v49, v48
	s_and_b32 s93, s8, exec_lo
; %bb.1969:
	s_or_b32 exec_lo, exec_lo, s90
	s_orn2_b32 s90, s93, exec_lo
.LBB240_1970:
	s_or_b32 exec_lo, exec_lo, s92
	v_cndmask_b32_e64 v48, v38, v39, s90
	v_cndmask_b32_e64 v49, v242, v241, s90
	s_mov_b32 s92, exec_lo
	v_add_nc_u32_e32 v48, 1, v48
	v_add_nc_u32_e32 v49, -1, v49
	v_cndmask_b32_e64 v38, v48, v38, s90
	v_min_u32_e32 v49, v48, v49
	v_cndmask_b32_e64 v39, v39, v48, s90
	v_lshl_add_u32 v49, v49, 1, v176
	ds_read_u16 v49, v49
	s_waitcnt lgkmcnt(0)
	v_cndmask_b32_e64 v64, v49, v65, s90
	v_cndmask_b32_e64 v62, v61, v49, s90
	v_cmpx_lt_u32_e64 v38, v242
	s_cbranch_execz .LBB240_1974
; %bb.1971:
	s_mov_b32 s93, 0
	s_mov_b32 s91, exec_lo
	v_cmpx_lt_u32_e64 v39, v241
; %bb.1972:
	v_mov_b32_e32 v48, 0xcccd
	v_mul_u32_u24_sdwa v49, v64, v48 dst_sel:DWORD dst_unused:UNUSED_PAD src0_sel:WORD_0 src1_sel:DWORD
	v_mul_u32_u24_sdwa v48, v62, v48 dst_sel:DWORD dst_unused:UNUSED_PAD src0_sel:WORD_0 src1_sel:DWORD
	v_lshrrev_b32_e32 v49, 19, v49
	v_lshrrev_b32_e32 v48, 19, v48
	v_cmp_ge_u16_e64 s8, v49, v48
	s_and_b32 s93, s8, exec_lo
; %bb.1973:
	s_or_b32 exec_lo, exec_lo, s91
	s_orn2_b32 s91, s93, exec_lo
.LBB240_1974:
	s_or_b32 exec_lo, exec_lo, s92
	v_cndmask_b32_e64 v48, v38, v39, s91
	v_cndmask_b32_e64 v49, v242, v241, s91
	s_mov_b32 s93, -1
	s_mov_b32 s92, -1
	s_mov_b32 s94, exec_lo
	v_add_nc_u32_e32 v48, 1, v48
	v_add_nc_u32_e32 v49, -1, v49
	v_cndmask_b32_e64 v38, v48, v38, s91
	v_min_u32_e32 v49, v48, v49
	v_cndmask_b32_e64 v39, v39, v48, s91
	v_lshl_add_u32 v49, v49, 1, v176
	ds_read_u16 v49, v49
	s_waitcnt lgkmcnt(0)
	v_cndmask_b32_e64 v55, v49, v64, s91
	v_cndmask_b32_e64 v63, v62, v49, s91
	v_cmpx_lt_u32_e64 v38, v242
	s_cbranch_execz .LBB240_1978
; %bb.1975:
	s_mov_b32 s95, 0
	s_mov_b32 s92, exec_lo
	v_cmpx_lt_u32_e64 v39, v241
; %bb.1976:
	v_mov_b32_e32 v48, 0xcccd
	v_mul_u32_u24_sdwa v49, v55, v48 dst_sel:DWORD dst_unused:UNUSED_PAD src0_sel:WORD_0 src1_sel:DWORD
	v_mul_u32_u24_sdwa v48, v63, v48 dst_sel:DWORD dst_unused:UNUSED_PAD src0_sel:WORD_0 src1_sel:DWORD
	v_lshrrev_b32_e32 v49, 19, v49
	v_lshrrev_b32_e32 v48, 19, v48
	v_cmp_ge_u16_e64 s8, v49, v48
	s_and_b32 s95, s8, exec_lo
; %bb.1977:
	s_or_b32 exec_lo, exec_lo, s92
	s_orn2_b32 s92, s95, exec_lo
.LBB240_1978:
	s_or_b32 exec_lo, exec_lo, s94
	v_cndmask_b32_e64 v48, v38, v39, s92
	v_cndmask_b32_e64 v49, v242, v241, s92
	s_mov_b32 s94, exec_lo
	v_add_nc_u32_e32 v48, 1, v48
	v_add_nc_u32_e32 v49, -1, v49
	v_cndmask_b32_e64 v38, v48, v38, s92
	v_min_u32_e32 v49, v48, v49
	v_cndmask_b32_e64 v39, v39, v48, s92
	v_lshl_add_u32 v49, v49, 1, v176
	ds_read_u16 v49, v49
	s_waitcnt lgkmcnt(0)
	v_cndmask_b32_e64 v53, v49, v55, s92
	v_cndmask_b32_e64 v72, v63, v49, s92
	v_cmpx_lt_u32_e64 v38, v242
	s_cbranch_execz .LBB240_1982
; %bb.1979:
	s_mov_b32 s95, 0
	s_mov_b32 s93, exec_lo
	v_cmpx_lt_u32_e64 v39, v241
; %bb.1980:
	v_mov_b32_e32 v48, 0xcccd
	v_mul_u32_u24_sdwa v49, v53, v48 dst_sel:DWORD dst_unused:UNUSED_PAD src0_sel:WORD_0 src1_sel:DWORD
	v_mul_u32_u24_sdwa v48, v72, v48 dst_sel:DWORD dst_unused:UNUSED_PAD src0_sel:WORD_0 src1_sel:DWORD
	v_lshrrev_b32_e32 v49, 19, v49
	v_lshrrev_b32_e32 v48, 19, v48
	v_cmp_ge_u16_e64 s8, v49, v48
	s_and_b32 s95, s8, exec_lo
; %bb.1981:
	s_or_b32 exec_lo, exec_lo, s93
	s_orn2_b32 s93, s95, exec_lo
.LBB240_1982:
	s_or_b32 exec_lo, exec_lo, s94
	v_cndmask_b32_e64 v48, v38, v39, s93
	v_cndmask_b32_e64 v49, v242, v241, s93
	s_mov_b32 s95, -1
	s_mov_b32 s94, -1
	s_mov_b32 vcc_hi, exec_lo
	v_add_nc_u32_e32 v48, 1, v48
	v_add_nc_u32_e32 v49, -1, v49
	v_cndmask_b32_e64 v38, v48, v38, s93
	v_min_u32_e32 v49, v48, v49
	v_cndmask_b32_e64 v39, v39, v48, s93
	v_lshl_add_u32 v49, v49, 1, v176
	ds_read_u16 v49, v49
	s_waitcnt lgkmcnt(0)
	v_cndmask_b32_e64 v52, v49, v53, s93
	v_cndmask_b32_e64 v73, v72, v49, s93
	v_cmpx_lt_u32_e64 v38, v242
	s_cbranch_execz .LBB240_1986
; %bb.1983:
	s_mov_b32 s30, 0
	s_mov_b32 s94, exec_lo
	v_cmpx_lt_u32_e64 v39, v241
; %bb.1984:
	v_mov_b32_e32 v48, 0xcccd
	v_mul_u32_u24_sdwa v49, v52, v48 dst_sel:DWORD dst_unused:UNUSED_PAD src0_sel:WORD_0 src1_sel:DWORD
	v_mul_u32_u24_sdwa v48, v73, v48 dst_sel:DWORD dst_unused:UNUSED_PAD src0_sel:WORD_0 src1_sel:DWORD
	v_lshrrev_b32_e32 v49, 19, v49
	v_lshrrev_b32_e32 v48, 19, v48
	v_cmp_ge_u16_e64 s8, v49, v48
	s_and_b32 s30, s8, exec_lo
; %bb.1985:
	s_or_b32 exec_lo, exec_lo, s94
	s_orn2_b32 s94, s30, exec_lo
.LBB240_1986:
	s_or_b32 exec_lo, exec_lo, vcc_hi
	v_cndmask_b32_e64 v48, v38, v39, s94
	v_cndmask_b32_e64 v49, v242, v241, s94
	s_mov_b32 vcc_hi, exec_lo
	v_add_nc_u32_e32 v48, 1, v48
	v_add_nc_u32_e32 v49, -1, v49
	v_cndmask_b32_e64 v38, v48, v38, s94
	v_min_u32_e32 v49, v48, v49
	v_cndmask_b32_e64 v39, v39, v48, s94
	v_lshl_add_u32 v49, v49, 1, v176
	ds_read_u16 v49, v49
	s_waitcnt lgkmcnt(0)
	v_cndmask_b32_e64 v51, v49, v52, s94
	v_cndmask_b32_e64 v74, v73, v49, s94
	v_cmpx_lt_u32_e64 v38, v242
	s_cbranch_execz .LBB240_1990
; %bb.1987:
	s_mov_b32 s30, 0
	s_mov_b32 s95, exec_lo
	v_cmpx_lt_u32_e64 v39, v241
; %bb.1988:
	v_mov_b32_e32 v48, 0xcccd
	v_mul_u32_u24_sdwa v49, v51, v48 dst_sel:DWORD dst_unused:UNUSED_PAD src0_sel:WORD_0 src1_sel:DWORD
	v_mul_u32_u24_sdwa v48, v74, v48 dst_sel:DWORD dst_unused:UNUSED_PAD src0_sel:WORD_0 src1_sel:DWORD
	v_lshrrev_b32_e32 v49, 19, v49
	v_lshrrev_b32_e32 v48, 19, v48
	v_cmp_ge_u16_e64 s8, v49, v48
	s_and_b32 s30, s8, exec_lo
; %bb.1989:
	s_or_b32 exec_lo, exec_lo, s95
	s_orn2_b32 s95, s30, exec_lo
.LBB240_1990:
	s_or_b32 exec_lo, exec_lo, vcc_hi
	v_cndmask_b32_e64 v48, v38, v39, s95
	v_cndmask_b32_e64 v49, v242, v241, s95
	s_mov_b32 s30, -1
	s_mov_b32 vcc_hi, -1
	s_mov_b32 s31, exec_lo
	v_add_nc_u32_e32 v48, 1, v48
	v_add_nc_u32_e32 v49, -1, v49
	v_cndmask_b32_e64 v38, v48, v38, s95
	v_min_u32_e32 v49, v48, v49
	v_cndmask_b32_e64 v39, v39, v48, s95
	v_lshl_add_u32 v49, v49, 1, v176
	ds_read_u16 v49, v49
	s_waitcnt lgkmcnt(0)
	v_cndmask_b32_e64 v54, v49, v51, s95
	v_cndmask_b32_e64 v75, v74, v49, s95
	v_cmpx_lt_u32_e64 v38, v242
	s_cbranch_execz .LBB240_1994
; %bb.1991:
	s_mov_b32 s34, 0
	s_mov_b32 vcc_hi, exec_lo
	v_cmpx_lt_u32_e64 v39, v241
; %bb.1992:
	v_mov_b32_e32 v48, 0xcccd
	v_mul_u32_u24_sdwa v49, v54, v48 dst_sel:DWORD dst_unused:UNUSED_PAD src0_sel:WORD_0 src1_sel:DWORD
	v_mul_u32_u24_sdwa v48, v75, v48 dst_sel:DWORD dst_unused:UNUSED_PAD src0_sel:WORD_0 src1_sel:DWORD
	v_lshrrev_b32_e32 v49, 19, v49
	v_lshrrev_b32_e32 v48, 19, v48
	v_cmp_ge_u16_e64 s8, v49, v48
	s_and_b32 s34, s8, exec_lo
; %bb.1993:
	s_or_b32 exec_lo, exec_lo, vcc_hi
	s_orn2_b32 vcc_hi, s34, exec_lo
.LBB240_1994:
	s_or_b32 exec_lo, exec_lo, s31
	v_cndmask_b32_e64 v48, v38, v39, vcc_hi
	v_cndmask_b32_e64 v49, v242, v241, vcc_hi
	s_mov_b32 s31, exec_lo
	v_add_nc_u32_e32 v48, 1, v48
	v_add_nc_u32_e32 v49, -1, v49
	v_cndmask_b32_e64 v38, v48, v38, vcc_hi
	v_min_u32_e32 v49, v48, v49
	v_cndmask_b32_e64 v39, v39, v48, vcc_hi
	v_lshl_add_u32 v49, v49, 1, v176
	ds_read_u16 v49, v49
	s_waitcnt lgkmcnt(0)
	v_cndmask_b32_e64 v50, v49, v54, vcc_hi
	v_cndmask_b32_e64 v76, v75, v49, vcc_hi
	v_cmpx_lt_u32_e64 v38, v242
	s_cbranch_execz .LBB240_1998
; %bb.1995:
	s_mov_b32 s34, 0
	s_mov_b32 s30, exec_lo
	v_cmpx_lt_u32_e64 v39, v241
; %bb.1996:
	v_mov_b32_e32 v48, 0xcccd
	v_mul_u32_u24_sdwa v49, v50, v48 dst_sel:DWORD dst_unused:UNUSED_PAD src0_sel:WORD_0 src1_sel:DWORD
	v_mul_u32_u24_sdwa v48, v76, v48 dst_sel:DWORD dst_unused:UNUSED_PAD src0_sel:WORD_0 src1_sel:DWORD
	v_lshrrev_b32_e32 v49, 19, v49
	v_lshrrev_b32_e32 v48, 19, v48
	v_cmp_ge_u16_e64 s8, v49, v48
	s_and_b32 s34, s8, exec_lo
; %bb.1997:
	s_or_b32 exec_lo, exec_lo, s30
	s_orn2_b32 s30, s34, exec_lo
.LBB240_1998:
	s_or_b32 exec_lo, exec_lo, s31
	v_cndmask_b32_e64 v48, v38, v39, s30
	v_cndmask_b32_e64 v49, v242, v241, s30
	s_mov_b32 s34, -1
	s_mov_b32 s31, -1
	s_mov_b32 s35, exec_lo
	v_add_nc_u32_e32 v48, 1, v48
	v_add_nc_u32_e32 v49, -1, v49
	v_cndmask_b32_e64 v38, v48, v38, s30
	v_min_u32_e32 v49, v48, v49
	v_cndmask_b32_e64 v39, v39, v48, s30
	v_lshl_add_u32 v49, v49, 1, v176
	ds_read_u16 v77, v49
	s_waitcnt lgkmcnt(0)
	v_cndmask_b32_e64 v49, v77, v50, s30
	v_cndmask_b32_e64 v77, v76, v77, s30
	v_cmpx_lt_u32_e64 v38, v242
	s_cbranch_execz .LBB240_2002
; %bb.1999:
	s_mov_b32 s38, 0
	s_mov_b32 s31, exec_lo
	v_cmpx_lt_u32_e64 v39, v241
; %bb.2000:
	v_mov_b32_e32 v48, 0xcccd
	v_mul_u32_u24_sdwa v78, v49, v48 dst_sel:DWORD dst_unused:UNUSED_PAD src0_sel:WORD_0 src1_sel:DWORD
	v_mul_u32_u24_sdwa v48, v77, v48 dst_sel:DWORD dst_unused:UNUSED_PAD src0_sel:WORD_0 src1_sel:DWORD
	v_lshrrev_b32_e32 v78, 19, v78
	v_lshrrev_b32_e32 v48, 19, v48
	v_cmp_ge_u16_e64 s8, v78, v48
	s_and_b32 s38, s8, exec_lo
; %bb.2001:
	s_or_b32 exec_lo, exec_lo, s31
	s_orn2_b32 s31, s38, exec_lo
.LBB240_2002:
	s_or_b32 exec_lo, exec_lo, s35
	v_cndmask_b32_e64 v48, v38, v39, s31
	v_cndmask_b32_e64 v78, v242, v241, s31
	s_mov_b32 s35, exec_lo
	v_add_nc_u32_e32 v48, 1, v48
	v_add_nc_u32_e32 v78, -1, v78
	v_cndmask_b32_e64 v38, v48, v38, s31
	v_min_u32_e32 v78, v48, v78
	v_cndmask_b32_e64 v39, v39, v48, s31
	v_lshl_add_u32 v78, v78, 1, v176
	ds_read_u16 v78, v78
	s_waitcnt lgkmcnt(0)
	v_cndmask_b32_e64 v48, v78, v49, s31
	v_cndmask_b32_e64 v78, v77, v78, s31
	v_cmpx_lt_u32_e64 v38, v242
	s_cbranch_execz .LBB240_2006
; %bb.2003:
	s_mov_b32 s38, 0
	s_mov_b32 s34, exec_lo
	v_cmpx_lt_u32_e64 v39, v241
; %bb.2004:
	v_mov_b32_e32 v79, 0xcccd
	v_mul_u32_u24_sdwa v88, v48, v79 dst_sel:DWORD dst_unused:UNUSED_PAD src0_sel:WORD_0 src1_sel:DWORD
	v_mul_u32_u24_sdwa v79, v78, v79 dst_sel:DWORD dst_unused:UNUSED_PAD src0_sel:WORD_0 src1_sel:DWORD
	v_lshrrev_b32_e32 v88, 19, v88
	v_lshrrev_b32_e32 v79, 19, v79
	v_cmp_ge_u16_e64 s8, v88, v79
	s_and_b32 s38, s8, exec_lo
; %bb.2005:
	s_or_b32 exec_lo, exec_lo, s34
	s_orn2_b32 s34, s38, exec_lo
.LBB240_2006:
	s_or_b32 exec_lo, exec_lo, s35
	v_cndmask_b32_e64 v79, v38, v39, s34
	v_cndmask_b32_e64 v88, v242, v241, s34
	s_mov_b32 s35, -1
	s_mov_b32 s38, -1
	s_mov_b32 s39, exec_lo
	v_add_nc_u32_e32 v79, 1, v79
	v_add_nc_u32_e32 v88, -1, v88
	v_cndmask_b32_e64 v38, v79, v38, s34
	v_min_u32_e32 v88, v79, v88
	v_lshl_add_u32 v88, v88, 1, v176
	ds_read_u16 v89, v88
	v_cndmask_b32_e64 v88, v39, v79, s34
	s_waitcnt lgkmcnt(0)
	v_cndmask_b32_e64 v39, v89, v48, s34
	v_cndmask_b32_e64 v79, v78, v89, s34
	v_cmpx_lt_u32_e64 v38, v242
	s_cbranch_execz .LBB240_2010
; %bb.2007:
	s_mov_b32 s48, 0
	s_mov_b32 s38, exec_lo
	v_cmpx_lt_u32_e64 v88, v241
; %bb.2008:
	v_mov_b32_e32 v89, 0xcccd
	v_mul_u32_u24_sdwa v90, v39, v89 dst_sel:DWORD dst_unused:UNUSED_PAD src0_sel:WORD_0 src1_sel:DWORD
	v_mul_u32_u24_sdwa v89, v79, v89 dst_sel:DWORD dst_unused:UNUSED_PAD src0_sel:WORD_0 src1_sel:DWORD
	v_lshrrev_b32_e32 v90, 19, v90
	v_lshrrev_b32_e32 v89, 19, v89
	v_cmp_ge_u16_e64 s8, v90, v89
	s_and_b32 s48, s8, exec_lo
; %bb.2009:
	s_or_b32 exec_lo, exec_lo, s38
	s_orn2_b32 s38, s48, exec_lo
.LBB240_2010:
	s_or_b32 exec_lo, exec_lo, s39
	v_cndmask_b32_e64 v89, v38, v88, s38
	v_cndmask_b32_e64 v90, v242, v241, s38
	s_mov_b32 s39, exec_lo
	v_add_nc_u32_e32 v89, 1, v89
	v_add_nc_u32_e32 v90, -1, v90
	v_cndmask_b32_e64 v38, v89, v38, s38
	v_min_u32_e32 v90, v89, v90
	v_lshl_add_u32 v90, v90, 1, v176
	ds_read_u16 v91, v90
	v_cndmask_b32_e64 v90, v88, v89, s38
	s_waitcnt lgkmcnt(0)
	v_cndmask_b32_e64 v88, v91, v39, s38
	v_cndmask_b32_e64 v89, v79, v91, s38
	v_cmpx_lt_u32_e64 v38, v242
	s_cbranch_execz .LBB240_2014
; %bb.2011:
	s_mov_b32 s48, 0
	s_mov_b32 s35, exec_lo
	v_cmpx_lt_u32_e64 v90, v241
; %bb.2012:
	v_mov_b32_e32 v91, 0xcccd
	v_mul_u32_u24_sdwa v92, v88, v91 dst_sel:DWORD dst_unused:UNUSED_PAD src0_sel:WORD_0 src1_sel:DWORD
	v_mul_u32_u24_sdwa v91, v89, v91 dst_sel:DWORD dst_unused:UNUSED_PAD src0_sel:WORD_0 src1_sel:DWORD
	v_lshrrev_b32_e32 v92, 19, v92
	v_lshrrev_b32_e32 v91, 19, v91
	v_cmp_ge_u16_e64 s8, v92, v91
	s_and_b32 s48, s8, exec_lo
; %bb.2013:
	s_or_b32 exec_lo, exec_lo, s35
	s_orn2_b32 s35, s48, exec_lo
.LBB240_2014:
	s_or_b32 exec_lo, exec_lo, s39
	v_cndmask_b32_e64 v91, v38, v90, s35
	v_cndmask_b32_e64 v92, v242, v241, s35
	s_mov_b32 s39, exec_lo
	v_add_nc_u32_e32 v91, 1, v91
	v_add_nc_u32_e32 v92, -1, v92
	v_cndmask_b32_e64 v93, v91, v38, s35
	v_min_u32_e32 v92, v91, v92
	v_lshl_add_u32 v92, v92, 1, v176
	ds_read_u16 v92, v92
	s_waitcnt lgkmcnt(0)
	v_cndmask_b32_e64 v38, v89, v92, s35
	v_cmpx_lt_u32_e64 v93, v242
	s_cbranch_execz .LBB240_2018
; %bb.2015:
	v_cndmask_b32_e64 v90, v90, v91, s35
	v_cndmask_b32_e64 v242, v92, v88, s35
	s_mov_b32 s48, exec_lo
	v_cmpx_lt_u32_e64 v90, v241
	s_cbranch_execz .LBB240_2017
; %bb.2016:
	v_mov_b32_e32 v241, 0xcccd
	v_mul_u32_u24_sdwa v90, v242, v241 dst_sel:DWORD dst_unused:UNUSED_PAD src0_sel:WORD_0 src1_sel:DWORD
	v_mul_u32_u24_sdwa v241, v38, v241 dst_sel:DWORD dst_unused:UNUSED_PAD src0_sel:WORD_0 src1_sel:DWORD
	v_lshrrev_b32_e32 v90, 19, v90
	v_lshrrev_b32_e32 v241, 19, v241
	v_cmp_lt_u16_e64 s8, v90, v241
	v_cndmask_b32_e64 v242, v38, v242, s8
.LBB240_2017:
	s_or_b32 exec_lo, exec_lo, s48
	v_mov_b32_e32 v38, v242
.LBB240_2018:
	s_or_b32 exec_lo, exec_lo, s39
	v_cndmask_b32_e64 v39, v39, v79, s38
	v_cndmask_b32_e64 v48, v48, v78, s34
	;; [unrolled: 1-line block ×4, first 2 shown]
	v_cndmask_b32_e64 v54, v54, v75, vcc_hi
	v_cndmask_b32_e64 v51, v51, v74, s95
	v_cndmask_b32_e64 v52, v52, v73, s94
	v_cndmask_b32_e64 v53, v53, v72, s93
	v_cndmask_b32_e64 v55, v55, v63, s92
	v_cndmask_b32_e64 v64, v64, v62, s91
	v_cndmask_b32_e64 v65, v65, v61, s90
	v_cndmask_b32_e64 v66, v66, v60, s89
	v_cndmask_b32_e64 v67, v67, v59, s88
	v_cndmask_b32_e64 v68, v68, v58, s79
	v_cndmask_b32_e64 v69, v69, v57, s78
	v_cndmask_b32_e64 v70, v70, v56, s77
	v_cndmask_b32_e64 v71, v71, v47, s76
	v_cndmask_b32_e64 v80, v80, v46, s75
	v_cndmask_b32_e64 v81, v81, v45, s74
	v_cndmask_b32_e64 v82, v82, v44, s73
	v_cndmask_b32_e64 v83, v83, v43, s72
	v_cndmask_b32_e64 v84, v84, v42, s63
	v_cndmask_b32_e64 v85, v85, v41, s62
	v_cndmask_b32_e64 v86, v86, v40, s61
	v_cndmask_b32_e64 v87, v87, v247, s60
	v_cndmask_b32_e64 v96, v96, v246, s59
	v_cndmask_b32_e64 v98, v98, v245, s58
	v_cndmask_b32_e64 v99, v99, v244, s57
	v_cndmask_b32_e64 v100, v100, v243, s9
	v_cndmask_b32_e64 v97, v101, v97, s13
	v_cndmask_b32_e64 v101, v88, v89, s35
.LBB240_2019:
	s_or_b32 exec_lo, exec_lo, s12
	v_and_b32_e32 v243, 0x300, v178
	v_and_b32_e32 v244, 0xe0, v178
	s_mov_b32 s9, exec_lo
	; wave barrier
	v_or_b32_e32 v241, 0x80, v243
	v_min_u32_e32 v244, v177, v244
	ds_write_b16 v179, v97
	ds_write_b16 v229, v100
	;; [unrolled: 1-line block ×13, first 2 shown]
	v_min_u32_e32 v241, v177, v241
	ds_write_b16 v209, v71
	ds_write_b16 v210, v70
	;; [unrolled: 1-line block ×13, first 2 shown]
	v_add_nc_u32_e32 v242, 0x80, v241
	v_sub_nc_u32_e32 v246, v241, v243
	ds_write_b16 v180, v50
	ds_write_b16 v181, v49
	;; [unrolled: 1-line block ×6, first 2 shown]
	; wave barrier
	v_min_u32_e32 v242, v177, v242
	v_min_u32_e32 v246, v244, v246
	v_sub_nc_u32_e32 v245, v242, v241
	v_sub_nc_u32_e64 v245, v244, v245 clamp
	v_cmpx_lt_u32_e64 v245, v246
	s_cbranch_execz .LBB240_2023
; %bb.2020:
	v_lshlrev_b32_e32 v247, 1, v243
	v_lshlrev_b32_e32 v40, 1, v241
	s_mov_b32 s12, 0
	v_add_co_u32 v247, null, v176, v247
	v_add_co_u32 v40, null, v176, v40
	.p2align	6
.LBB240_2021:                           ; =>This Inner Loop Header: Depth=1
	v_add_nc_u32_e32 v41, v246, v245
	v_lshrrev_b32_e32 v42, 1, v41
	v_and_b32_e32 v41, -2, v41
	v_xad_u32 v43, v42, -1, v244
	v_add_nc_u32_e32 v41, v247, v41
	v_add_nc_u32_e32 v44, 1, v42
	v_lshl_add_u32 v43, v43, 1, v40
	ds_read_u16 v41, v41
	ds_read_u16 v43, v43
	s_waitcnt lgkmcnt(1)
	v_mul_u32_u24_e32 v41, 0xcccd, v41
	s_waitcnt lgkmcnt(0)
	v_mul_u32_u24_e32 v43, 0xcccd, v43
	v_lshrrev_b32_e32 v41, 19, v41
	v_lshrrev_b32_e32 v43, 19, v43
	v_cmp_lt_u16_e64 s8, v43, v41
	v_cndmask_b32_e64 v246, v246, v42, s8
	v_cndmask_b32_e64 v245, v44, v245, s8
	v_cmp_ge_u32_e64 s8, v245, v246
	s_or_b32 s12, s8, s12
	s_andn2_b32 exec_lo, exec_lo, s12
	s_cbranch_execnz .LBB240_2021
; %bb.2022:
	s_or_b32 exec_lo, exec_lo, s12
.LBB240_2023:
	s_or_b32 exec_lo, exec_lo, s9
	v_add_nc_u32_e32 v244, v241, v244
	v_add_nc_u32_e32 v243, v245, v243
	v_sub_nc_u32_e32 v244, v244, v245
	v_cmp_le_u32_e64 s8, v243, v241
	v_cmp_le_u32_e64 s9, v244, v242
	s_or_b32 s8, s8, s9
	s_and_saveexec_b32 s12, s8
	s_cbranch_execz .LBB240_2155
; %bb.2024:
	v_cmp_ge_u32_e64 s8, v243, v241
	s_mov_b32 s13, exec_lo
                                        ; implicit-def: $vgpr97
	v_cmpx_lt_u32_e64 v243, v241
; %bb.2025:
	v_lshl_add_u32 v38, v243, 1, v176
	ds_read_u16 v97, v38
; %bb.2026:
	s_or_b32 exec_lo, exec_lo, s13
	v_cmp_ge_u32_e64 s13, v244, v242
	s_mov_b32 s57, exec_lo
                                        ; implicit-def: $vgpr101
	v_cmpx_lt_u32_e64 v244, v242
; %bb.2027:
	v_lshl_add_u32 v38, v244, 1, v176
	ds_read_u16 v101, v38
; %bb.2028:
	s_or_b32 exec_lo, exec_lo, s57
	s_nor_b32 s8, s8, s13
	s_and_saveexec_b32 s9, s8
	s_cbranch_execz .LBB240_2030
; %bb.2029:
	v_mov_b32_e32 v38, 0xcccd
	s_andn2_b32 s13, s13, exec_lo
	s_waitcnt lgkmcnt(0)
	v_mul_u32_u24_sdwa v39, v101, v38 dst_sel:DWORD dst_unused:UNUSED_PAD src0_sel:WORD_0 src1_sel:DWORD
	v_mul_u32_u24_sdwa v38, v97, v38 dst_sel:DWORD dst_unused:UNUSED_PAD src0_sel:WORD_0 src1_sel:DWORD
	v_lshrrev_b32_e32 v39, 19, v39
	v_lshrrev_b32_e32 v38, 19, v38
	v_cmp_ge_u16_e64 s8, v39, v38
	s_and_b32 s8, s8, exec_lo
	s_or_b32 s13, s13, s8
.LBB240_2030:
	s_or_b32 exec_lo, exec_lo, s9
	v_cndmask_b32_e64 v38, v244, v243, s13
	v_cndmask_b32_e64 v39, v242, v241, s13
	s_mov_b32 s57, -1
	s_mov_b32 s9, -1
	s_mov_b32 s58, exec_lo
	v_add_nc_u32_e32 v48, 1, v38
	v_add_nc_u32_e32 v38, -1, v39
	v_cndmask_b32_e64 v39, v243, v48, s13
	v_min_u32_e32 v38, v48, v38
	v_lshl_add_u32 v38, v38, 1, v176
	ds_read_u16 v49, v38
	v_cndmask_b32_e64 v38, v48, v244, s13
	s_waitcnt lgkmcnt(0)
	v_cndmask_b32_e64 v100, v49, v101, s13
	v_cndmask_b32_e64 v243, v97, v49, s13
	v_cmpx_lt_u32_e64 v38, v242
	s_cbranch_execz .LBB240_2034
; %bb.2031:
	s_mov_b32 s59, 0
	s_mov_b32 s9, exec_lo
	v_cmpx_lt_u32_e64 v39, v241
; %bb.2032:
	v_mov_b32_e32 v48, 0xcccd
	v_mul_u32_u24_sdwa v49, v100, v48 dst_sel:DWORD dst_unused:UNUSED_PAD src0_sel:WORD_0 src1_sel:DWORD
	v_mul_u32_u24_sdwa v48, v243, v48 dst_sel:DWORD dst_unused:UNUSED_PAD src0_sel:WORD_0 src1_sel:DWORD
	v_lshrrev_b32_e32 v49, 19, v49
	v_lshrrev_b32_e32 v48, 19, v48
	v_cmp_ge_u16_e64 s8, v49, v48
	s_and_b32 s59, s8, exec_lo
; %bb.2033:
	s_or_b32 exec_lo, exec_lo, s9
	s_orn2_b32 s9, s59, exec_lo
.LBB240_2034:
	s_or_b32 exec_lo, exec_lo, s58
	v_cndmask_b32_e64 v48, v38, v39, s9
	v_cndmask_b32_e64 v49, v242, v241, s9
	s_mov_b32 s58, exec_lo
	v_add_nc_u32_e32 v48, 1, v48
	v_add_nc_u32_e32 v49, -1, v49
	v_cndmask_b32_e64 v38, v48, v38, s9
	v_min_u32_e32 v49, v48, v49
	v_cndmask_b32_e64 v39, v39, v48, s9
	v_lshl_add_u32 v49, v49, 1, v176
	ds_read_u16 v49, v49
	s_waitcnt lgkmcnt(0)
	v_cndmask_b32_e64 v99, v49, v100, s9
	v_cndmask_b32_e64 v244, v243, v49, s9
	v_cmpx_lt_u32_e64 v38, v242
	s_cbranch_execz .LBB240_2038
; %bb.2035:
	s_mov_b32 s59, 0
	s_mov_b32 s57, exec_lo
	v_cmpx_lt_u32_e64 v39, v241
; %bb.2036:
	v_mov_b32_e32 v48, 0xcccd
	v_mul_u32_u24_sdwa v49, v99, v48 dst_sel:DWORD dst_unused:UNUSED_PAD src0_sel:WORD_0 src1_sel:DWORD
	v_mul_u32_u24_sdwa v48, v244, v48 dst_sel:DWORD dst_unused:UNUSED_PAD src0_sel:WORD_0 src1_sel:DWORD
	v_lshrrev_b32_e32 v49, 19, v49
	v_lshrrev_b32_e32 v48, 19, v48
	v_cmp_ge_u16_e64 s8, v49, v48
	s_and_b32 s59, s8, exec_lo
; %bb.2037:
	s_or_b32 exec_lo, exec_lo, s57
	s_orn2_b32 s57, s59, exec_lo
.LBB240_2038:
	s_or_b32 exec_lo, exec_lo, s58
	v_cndmask_b32_e64 v48, v38, v39, s57
	v_cndmask_b32_e64 v49, v242, v241, s57
	s_mov_b32 s59, -1
	s_mov_b32 s58, -1
	s_mov_b32 s60, exec_lo
	v_add_nc_u32_e32 v48, 1, v48
	v_add_nc_u32_e32 v49, -1, v49
	v_cndmask_b32_e64 v38, v48, v38, s57
	v_min_u32_e32 v49, v48, v49
	v_cndmask_b32_e64 v39, v39, v48, s57
	v_lshl_add_u32 v49, v49, 1, v176
	ds_read_u16 v49, v49
	s_waitcnt lgkmcnt(0)
	v_cndmask_b32_e64 v98, v49, v99, s57
	v_cndmask_b32_e64 v245, v244, v49, s57
	v_cmpx_lt_u32_e64 v38, v242
	s_cbranch_execz .LBB240_2042
; %bb.2039:
	s_mov_b32 s61, 0
	s_mov_b32 s58, exec_lo
	v_cmpx_lt_u32_e64 v39, v241
; %bb.2040:
	v_mov_b32_e32 v48, 0xcccd
	v_mul_u32_u24_sdwa v49, v98, v48 dst_sel:DWORD dst_unused:UNUSED_PAD src0_sel:WORD_0 src1_sel:DWORD
	v_mul_u32_u24_sdwa v48, v245, v48 dst_sel:DWORD dst_unused:UNUSED_PAD src0_sel:WORD_0 src1_sel:DWORD
	v_lshrrev_b32_e32 v49, 19, v49
	v_lshrrev_b32_e32 v48, 19, v48
	v_cmp_ge_u16_e64 s8, v49, v48
	s_and_b32 s61, s8, exec_lo
; %bb.2041:
	s_or_b32 exec_lo, exec_lo, s58
	s_orn2_b32 s58, s61, exec_lo
.LBB240_2042:
	s_or_b32 exec_lo, exec_lo, s60
	v_cndmask_b32_e64 v48, v38, v39, s58
	v_cndmask_b32_e64 v49, v242, v241, s58
	s_mov_b32 s60, exec_lo
	v_add_nc_u32_e32 v48, 1, v48
	v_add_nc_u32_e32 v49, -1, v49
	v_cndmask_b32_e64 v38, v48, v38, s58
	v_min_u32_e32 v49, v48, v49
	v_cndmask_b32_e64 v39, v39, v48, s58
	v_lshl_add_u32 v49, v49, 1, v176
	ds_read_u16 v49, v49
	s_waitcnt lgkmcnt(0)
	v_cndmask_b32_e64 v96, v49, v98, s58
	v_cndmask_b32_e64 v246, v245, v49, s58
	v_cmpx_lt_u32_e64 v38, v242
	s_cbranch_execz .LBB240_2046
; %bb.2043:
	s_mov_b32 s61, 0
	s_mov_b32 s59, exec_lo
	v_cmpx_lt_u32_e64 v39, v241
; %bb.2044:
	v_mov_b32_e32 v48, 0xcccd
	v_mul_u32_u24_sdwa v49, v96, v48 dst_sel:DWORD dst_unused:UNUSED_PAD src0_sel:WORD_0 src1_sel:DWORD
	v_mul_u32_u24_sdwa v48, v246, v48 dst_sel:DWORD dst_unused:UNUSED_PAD src0_sel:WORD_0 src1_sel:DWORD
	v_lshrrev_b32_e32 v49, 19, v49
	v_lshrrev_b32_e32 v48, 19, v48
	v_cmp_ge_u16_e64 s8, v49, v48
	s_and_b32 s61, s8, exec_lo
; %bb.2045:
	s_or_b32 exec_lo, exec_lo, s59
	s_orn2_b32 s59, s61, exec_lo
.LBB240_2046:
	s_or_b32 exec_lo, exec_lo, s60
	v_cndmask_b32_e64 v48, v38, v39, s59
	v_cndmask_b32_e64 v49, v242, v241, s59
	s_mov_b32 s61, -1
	s_mov_b32 s60, -1
	s_mov_b32 s62, exec_lo
	v_add_nc_u32_e32 v48, 1, v48
	v_add_nc_u32_e32 v49, -1, v49
	v_cndmask_b32_e64 v38, v48, v38, s59
	v_min_u32_e32 v49, v48, v49
	v_cndmask_b32_e64 v39, v39, v48, s59
	v_lshl_add_u32 v49, v49, 1, v176
	ds_read_u16 v49, v49
	s_waitcnt lgkmcnt(0)
	v_cndmask_b32_e64 v87, v49, v96, s59
	v_cndmask_b32_e64 v247, v246, v49, s59
	v_cmpx_lt_u32_e64 v38, v242
	s_cbranch_execz .LBB240_2050
; %bb.2047:
	s_mov_b32 s63, 0
	s_mov_b32 s60, exec_lo
	v_cmpx_lt_u32_e64 v39, v241
; %bb.2048:
	v_mov_b32_e32 v48, 0xcccd
	v_mul_u32_u24_sdwa v49, v87, v48 dst_sel:DWORD dst_unused:UNUSED_PAD src0_sel:WORD_0 src1_sel:DWORD
	v_mul_u32_u24_sdwa v48, v247, v48 dst_sel:DWORD dst_unused:UNUSED_PAD src0_sel:WORD_0 src1_sel:DWORD
	v_lshrrev_b32_e32 v49, 19, v49
	v_lshrrev_b32_e32 v48, 19, v48
	v_cmp_ge_u16_e64 s8, v49, v48
	s_and_b32 s63, s8, exec_lo
; %bb.2049:
	s_or_b32 exec_lo, exec_lo, s60
	s_orn2_b32 s60, s63, exec_lo
.LBB240_2050:
	s_or_b32 exec_lo, exec_lo, s62
	v_cndmask_b32_e64 v48, v38, v39, s60
	v_cndmask_b32_e64 v49, v242, v241, s60
	s_mov_b32 s62, exec_lo
	v_add_nc_u32_e32 v48, 1, v48
	v_add_nc_u32_e32 v49, -1, v49
	v_cndmask_b32_e64 v38, v48, v38, s60
	v_min_u32_e32 v49, v48, v49
	v_cndmask_b32_e64 v39, v39, v48, s60
	v_lshl_add_u32 v49, v49, 1, v176
	ds_read_u16 v49, v49
	s_waitcnt lgkmcnt(0)
	v_cndmask_b32_e64 v86, v49, v87, s60
	v_cndmask_b32_e64 v40, v247, v49, s60
	v_cmpx_lt_u32_e64 v38, v242
	s_cbranch_execz .LBB240_2054
; %bb.2051:
	s_mov_b32 s63, 0
	s_mov_b32 s61, exec_lo
	v_cmpx_lt_u32_e64 v39, v241
; %bb.2052:
	v_mov_b32_e32 v48, 0xcccd
	v_mul_u32_u24_sdwa v49, v86, v48 dst_sel:DWORD dst_unused:UNUSED_PAD src0_sel:WORD_0 src1_sel:DWORD
	v_mul_u32_u24_sdwa v48, v40, v48 dst_sel:DWORD dst_unused:UNUSED_PAD src0_sel:WORD_0 src1_sel:DWORD
	v_lshrrev_b32_e32 v49, 19, v49
	v_lshrrev_b32_e32 v48, 19, v48
	v_cmp_ge_u16_e64 s8, v49, v48
	s_and_b32 s63, s8, exec_lo
; %bb.2053:
	s_or_b32 exec_lo, exec_lo, s61
	s_orn2_b32 s61, s63, exec_lo
.LBB240_2054:
	s_or_b32 exec_lo, exec_lo, s62
	v_cndmask_b32_e64 v48, v38, v39, s61
	v_cndmask_b32_e64 v49, v242, v241, s61
	s_mov_b32 s63, -1
	s_mov_b32 s62, -1
	s_mov_b32 s72, exec_lo
	v_add_nc_u32_e32 v48, 1, v48
	v_add_nc_u32_e32 v49, -1, v49
	v_cndmask_b32_e64 v38, v48, v38, s61
	v_min_u32_e32 v49, v48, v49
	v_cndmask_b32_e64 v39, v39, v48, s61
	v_lshl_add_u32 v49, v49, 1, v176
	ds_read_u16 v49, v49
	s_waitcnt lgkmcnt(0)
	v_cndmask_b32_e64 v85, v49, v86, s61
	v_cndmask_b32_e64 v41, v40, v49, s61
	v_cmpx_lt_u32_e64 v38, v242
	s_cbranch_execz .LBB240_2058
; %bb.2055:
	s_mov_b32 s73, 0
	s_mov_b32 s62, exec_lo
	v_cmpx_lt_u32_e64 v39, v241
; %bb.2056:
	v_mov_b32_e32 v48, 0xcccd
	v_mul_u32_u24_sdwa v49, v85, v48 dst_sel:DWORD dst_unused:UNUSED_PAD src0_sel:WORD_0 src1_sel:DWORD
	v_mul_u32_u24_sdwa v48, v41, v48 dst_sel:DWORD dst_unused:UNUSED_PAD src0_sel:WORD_0 src1_sel:DWORD
	v_lshrrev_b32_e32 v49, 19, v49
	v_lshrrev_b32_e32 v48, 19, v48
	v_cmp_ge_u16_e64 s8, v49, v48
	s_and_b32 s73, s8, exec_lo
; %bb.2057:
	s_or_b32 exec_lo, exec_lo, s62
	s_orn2_b32 s62, s73, exec_lo
.LBB240_2058:
	s_or_b32 exec_lo, exec_lo, s72
	v_cndmask_b32_e64 v48, v38, v39, s62
	v_cndmask_b32_e64 v49, v242, v241, s62
	s_mov_b32 s72, exec_lo
	v_add_nc_u32_e32 v48, 1, v48
	v_add_nc_u32_e32 v49, -1, v49
	v_cndmask_b32_e64 v38, v48, v38, s62
	v_min_u32_e32 v49, v48, v49
	v_cndmask_b32_e64 v39, v39, v48, s62
	v_lshl_add_u32 v49, v49, 1, v176
	ds_read_u16 v49, v49
	s_waitcnt lgkmcnt(0)
	v_cndmask_b32_e64 v84, v49, v85, s62
	v_cndmask_b32_e64 v42, v41, v49, s62
	v_cmpx_lt_u32_e64 v38, v242
	s_cbranch_execz .LBB240_2062
; %bb.2059:
	s_mov_b32 s73, 0
	s_mov_b32 s63, exec_lo
	v_cmpx_lt_u32_e64 v39, v241
; %bb.2060:
	v_mov_b32_e32 v48, 0xcccd
	v_mul_u32_u24_sdwa v49, v84, v48 dst_sel:DWORD dst_unused:UNUSED_PAD src0_sel:WORD_0 src1_sel:DWORD
	v_mul_u32_u24_sdwa v48, v42, v48 dst_sel:DWORD dst_unused:UNUSED_PAD src0_sel:WORD_0 src1_sel:DWORD
	v_lshrrev_b32_e32 v49, 19, v49
	v_lshrrev_b32_e32 v48, 19, v48
	v_cmp_ge_u16_e64 s8, v49, v48
	s_and_b32 s73, s8, exec_lo
; %bb.2061:
	s_or_b32 exec_lo, exec_lo, s63
	s_orn2_b32 s63, s73, exec_lo
.LBB240_2062:
	s_or_b32 exec_lo, exec_lo, s72
	v_cndmask_b32_e64 v48, v38, v39, s63
	v_cndmask_b32_e64 v49, v242, v241, s63
	s_mov_b32 s73, -1
	s_mov_b32 s72, -1
	s_mov_b32 s74, exec_lo
	v_add_nc_u32_e32 v48, 1, v48
	v_add_nc_u32_e32 v49, -1, v49
	v_cndmask_b32_e64 v38, v48, v38, s63
	v_min_u32_e32 v49, v48, v49
	v_cndmask_b32_e64 v39, v39, v48, s63
	v_lshl_add_u32 v49, v49, 1, v176
	ds_read_u16 v49, v49
	s_waitcnt lgkmcnt(0)
	v_cndmask_b32_e64 v83, v49, v84, s63
	v_cndmask_b32_e64 v43, v42, v49, s63
	v_cmpx_lt_u32_e64 v38, v242
	s_cbranch_execz .LBB240_2066
; %bb.2063:
	s_mov_b32 s75, 0
	s_mov_b32 s72, exec_lo
	v_cmpx_lt_u32_e64 v39, v241
; %bb.2064:
	v_mov_b32_e32 v48, 0xcccd
	v_mul_u32_u24_sdwa v49, v83, v48 dst_sel:DWORD dst_unused:UNUSED_PAD src0_sel:WORD_0 src1_sel:DWORD
	v_mul_u32_u24_sdwa v48, v43, v48 dst_sel:DWORD dst_unused:UNUSED_PAD src0_sel:WORD_0 src1_sel:DWORD
	v_lshrrev_b32_e32 v49, 19, v49
	v_lshrrev_b32_e32 v48, 19, v48
	v_cmp_ge_u16_e64 s8, v49, v48
	s_and_b32 s75, s8, exec_lo
; %bb.2065:
	s_or_b32 exec_lo, exec_lo, s72
	s_orn2_b32 s72, s75, exec_lo
.LBB240_2066:
	s_or_b32 exec_lo, exec_lo, s74
	v_cndmask_b32_e64 v48, v38, v39, s72
	v_cndmask_b32_e64 v49, v242, v241, s72
	s_mov_b32 s74, exec_lo
	v_add_nc_u32_e32 v48, 1, v48
	v_add_nc_u32_e32 v49, -1, v49
	v_cndmask_b32_e64 v38, v48, v38, s72
	v_min_u32_e32 v49, v48, v49
	v_cndmask_b32_e64 v39, v39, v48, s72
	v_lshl_add_u32 v49, v49, 1, v176
	ds_read_u16 v49, v49
	s_waitcnt lgkmcnt(0)
	v_cndmask_b32_e64 v82, v49, v83, s72
	v_cndmask_b32_e64 v44, v43, v49, s72
	v_cmpx_lt_u32_e64 v38, v242
	s_cbranch_execz .LBB240_2070
; %bb.2067:
	s_mov_b32 s75, 0
	s_mov_b32 s73, exec_lo
	v_cmpx_lt_u32_e64 v39, v241
; %bb.2068:
	v_mov_b32_e32 v48, 0xcccd
	v_mul_u32_u24_sdwa v49, v82, v48 dst_sel:DWORD dst_unused:UNUSED_PAD src0_sel:WORD_0 src1_sel:DWORD
	v_mul_u32_u24_sdwa v48, v44, v48 dst_sel:DWORD dst_unused:UNUSED_PAD src0_sel:WORD_0 src1_sel:DWORD
	v_lshrrev_b32_e32 v49, 19, v49
	v_lshrrev_b32_e32 v48, 19, v48
	v_cmp_ge_u16_e64 s8, v49, v48
	s_and_b32 s75, s8, exec_lo
; %bb.2069:
	s_or_b32 exec_lo, exec_lo, s73
	s_orn2_b32 s73, s75, exec_lo
.LBB240_2070:
	s_or_b32 exec_lo, exec_lo, s74
	v_cndmask_b32_e64 v48, v38, v39, s73
	v_cndmask_b32_e64 v49, v242, v241, s73
	s_mov_b32 s75, -1
	s_mov_b32 s74, -1
	s_mov_b32 s76, exec_lo
	v_add_nc_u32_e32 v48, 1, v48
	v_add_nc_u32_e32 v49, -1, v49
	v_cndmask_b32_e64 v38, v48, v38, s73
	v_min_u32_e32 v49, v48, v49
	v_cndmask_b32_e64 v39, v39, v48, s73
	v_lshl_add_u32 v49, v49, 1, v176
	ds_read_u16 v49, v49
	s_waitcnt lgkmcnt(0)
	v_cndmask_b32_e64 v81, v49, v82, s73
	v_cndmask_b32_e64 v45, v44, v49, s73
	v_cmpx_lt_u32_e64 v38, v242
	s_cbranch_execz .LBB240_2074
; %bb.2071:
	s_mov_b32 s77, 0
	s_mov_b32 s74, exec_lo
	v_cmpx_lt_u32_e64 v39, v241
; %bb.2072:
	v_mov_b32_e32 v48, 0xcccd
	v_mul_u32_u24_sdwa v49, v81, v48 dst_sel:DWORD dst_unused:UNUSED_PAD src0_sel:WORD_0 src1_sel:DWORD
	v_mul_u32_u24_sdwa v48, v45, v48 dst_sel:DWORD dst_unused:UNUSED_PAD src0_sel:WORD_0 src1_sel:DWORD
	v_lshrrev_b32_e32 v49, 19, v49
	v_lshrrev_b32_e32 v48, 19, v48
	v_cmp_ge_u16_e64 s8, v49, v48
	s_and_b32 s77, s8, exec_lo
; %bb.2073:
	s_or_b32 exec_lo, exec_lo, s74
	s_orn2_b32 s74, s77, exec_lo
.LBB240_2074:
	s_or_b32 exec_lo, exec_lo, s76
	v_cndmask_b32_e64 v48, v38, v39, s74
	v_cndmask_b32_e64 v49, v242, v241, s74
	s_mov_b32 s76, exec_lo
	v_add_nc_u32_e32 v48, 1, v48
	v_add_nc_u32_e32 v49, -1, v49
	v_cndmask_b32_e64 v38, v48, v38, s74
	v_min_u32_e32 v49, v48, v49
	v_cndmask_b32_e64 v39, v39, v48, s74
	v_lshl_add_u32 v49, v49, 1, v176
	ds_read_u16 v49, v49
	s_waitcnt lgkmcnt(0)
	v_cndmask_b32_e64 v80, v49, v81, s74
	v_cndmask_b32_e64 v46, v45, v49, s74
	v_cmpx_lt_u32_e64 v38, v242
	s_cbranch_execz .LBB240_2078
; %bb.2075:
	s_mov_b32 s77, 0
	s_mov_b32 s75, exec_lo
	v_cmpx_lt_u32_e64 v39, v241
; %bb.2076:
	v_mov_b32_e32 v48, 0xcccd
	v_mul_u32_u24_sdwa v49, v80, v48 dst_sel:DWORD dst_unused:UNUSED_PAD src0_sel:WORD_0 src1_sel:DWORD
	v_mul_u32_u24_sdwa v48, v46, v48 dst_sel:DWORD dst_unused:UNUSED_PAD src0_sel:WORD_0 src1_sel:DWORD
	v_lshrrev_b32_e32 v49, 19, v49
	v_lshrrev_b32_e32 v48, 19, v48
	v_cmp_ge_u16_e64 s8, v49, v48
	s_and_b32 s77, s8, exec_lo
; %bb.2077:
	s_or_b32 exec_lo, exec_lo, s75
	s_orn2_b32 s75, s77, exec_lo
.LBB240_2078:
	s_or_b32 exec_lo, exec_lo, s76
	v_cndmask_b32_e64 v48, v38, v39, s75
	v_cndmask_b32_e64 v49, v242, v241, s75
	s_mov_b32 s77, -1
	s_mov_b32 s76, -1
	s_mov_b32 s78, exec_lo
	v_add_nc_u32_e32 v48, 1, v48
	v_add_nc_u32_e32 v49, -1, v49
	v_cndmask_b32_e64 v38, v48, v38, s75
	v_min_u32_e32 v49, v48, v49
	v_cndmask_b32_e64 v39, v39, v48, s75
	v_lshl_add_u32 v49, v49, 1, v176
	ds_read_u16 v49, v49
	s_waitcnt lgkmcnt(0)
	v_cndmask_b32_e64 v71, v49, v80, s75
	v_cndmask_b32_e64 v47, v46, v49, s75
	v_cmpx_lt_u32_e64 v38, v242
	s_cbranch_execz .LBB240_2082
; %bb.2079:
	s_mov_b32 s79, 0
	s_mov_b32 s76, exec_lo
	v_cmpx_lt_u32_e64 v39, v241
; %bb.2080:
	v_mov_b32_e32 v48, 0xcccd
	v_mul_u32_u24_sdwa v49, v71, v48 dst_sel:DWORD dst_unused:UNUSED_PAD src0_sel:WORD_0 src1_sel:DWORD
	v_mul_u32_u24_sdwa v48, v47, v48 dst_sel:DWORD dst_unused:UNUSED_PAD src0_sel:WORD_0 src1_sel:DWORD
	v_lshrrev_b32_e32 v49, 19, v49
	v_lshrrev_b32_e32 v48, 19, v48
	v_cmp_ge_u16_e64 s8, v49, v48
	s_and_b32 s79, s8, exec_lo
; %bb.2081:
	s_or_b32 exec_lo, exec_lo, s76
	s_orn2_b32 s76, s79, exec_lo
.LBB240_2082:
	s_or_b32 exec_lo, exec_lo, s78
	v_cndmask_b32_e64 v48, v38, v39, s76
	v_cndmask_b32_e64 v49, v242, v241, s76
	s_mov_b32 s78, exec_lo
	v_add_nc_u32_e32 v48, 1, v48
	v_add_nc_u32_e32 v49, -1, v49
	v_cndmask_b32_e64 v38, v48, v38, s76
	v_min_u32_e32 v49, v48, v49
	v_cndmask_b32_e64 v39, v39, v48, s76
	v_lshl_add_u32 v49, v49, 1, v176
	ds_read_u16 v49, v49
	s_waitcnt lgkmcnt(0)
	v_cndmask_b32_e64 v70, v49, v71, s76
	v_cndmask_b32_e64 v56, v47, v49, s76
	v_cmpx_lt_u32_e64 v38, v242
	s_cbranch_execz .LBB240_2086
; %bb.2083:
	s_mov_b32 s79, 0
	s_mov_b32 s77, exec_lo
	v_cmpx_lt_u32_e64 v39, v241
; %bb.2084:
	v_mov_b32_e32 v48, 0xcccd
	v_mul_u32_u24_sdwa v49, v70, v48 dst_sel:DWORD dst_unused:UNUSED_PAD src0_sel:WORD_0 src1_sel:DWORD
	v_mul_u32_u24_sdwa v48, v56, v48 dst_sel:DWORD dst_unused:UNUSED_PAD src0_sel:WORD_0 src1_sel:DWORD
	v_lshrrev_b32_e32 v49, 19, v49
	v_lshrrev_b32_e32 v48, 19, v48
	v_cmp_ge_u16_e64 s8, v49, v48
	s_and_b32 s79, s8, exec_lo
; %bb.2085:
	s_or_b32 exec_lo, exec_lo, s77
	s_orn2_b32 s77, s79, exec_lo
.LBB240_2086:
	s_or_b32 exec_lo, exec_lo, s78
	v_cndmask_b32_e64 v48, v38, v39, s77
	v_cndmask_b32_e64 v49, v242, v241, s77
	s_mov_b32 s79, -1
	s_mov_b32 s78, -1
	s_mov_b32 s88, exec_lo
	v_add_nc_u32_e32 v48, 1, v48
	v_add_nc_u32_e32 v49, -1, v49
	v_cndmask_b32_e64 v38, v48, v38, s77
	v_min_u32_e32 v49, v48, v49
	v_cndmask_b32_e64 v39, v39, v48, s77
	v_lshl_add_u32 v49, v49, 1, v176
	ds_read_u16 v49, v49
	s_waitcnt lgkmcnt(0)
	v_cndmask_b32_e64 v69, v49, v70, s77
	v_cndmask_b32_e64 v57, v56, v49, s77
	v_cmpx_lt_u32_e64 v38, v242
	s_cbranch_execz .LBB240_2090
; %bb.2087:
	s_mov_b32 s89, 0
	s_mov_b32 s78, exec_lo
	v_cmpx_lt_u32_e64 v39, v241
; %bb.2088:
	v_mov_b32_e32 v48, 0xcccd
	v_mul_u32_u24_sdwa v49, v69, v48 dst_sel:DWORD dst_unused:UNUSED_PAD src0_sel:WORD_0 src1_sel:DWORD
	v_mul_u32_u24_sdwa v48, v57, v48 dst_sel:DWORD dst_unused:UNUSED_PAD src0_sel:WORD_0 src1_sel:DWORD
	v_lshrrev_b32_e32 v49, 19, v49
	v_lshrrev_b32_e32 v48, 19, v48
	v_cmp_ge_u16_e64 s8, v49, v48
	s_and_b32 s89, s8, exec_lo
; %bb.2089:
	s_or_b32 exec_lo, exec_lo, s78
	s_orn2_b32 s78, s89, exec_lo
.LBB240_2090:
	s_or_b32 exec_lo, exec_lo, s88
	v_cndmask_b32_e64 v48, v38, v39, s78
	v_cndmask_b32_e64 v49, v242, v241, s78
	s_mov_b32 s88, exec_lo
	v_add_nc_u32_e32 v48, 1, v48
	v_add_nc_u32_e32 v49, -1, v49
	v_cndmask_b32_e64 v38, v48, v38, s78
	v_min_u32_e32 v49, v48, v49
	v_cndmask_b32_e64 v39, v39, v48, s78
	v_lshl_add_u32 v49, v49, 1, v176
	ds_read_u16 v49, v49
	s_waitcnt lgkmcnt(0)
	v_cndmask_b32_e64 v68, v49, v69, s78
	v_cndmask_b32_e64 v58, v57, v49, s78
	v_cmpx_lt_u32_e64 v38, v242
	s_cbranch_execz .LBB240_2094
; %bb.2091:
	s_mov_b32 s89, 0
	s_mov_b32 s79, exec_lo
	v_cmpx_lt_u32_e64 v39, v241
; %bb.2092:
	v_mov_b32_e32 v48, 0xcccd
	v_mul_u32_u24_sdwa v49, v68, v48 dst_sel:DWORD dst_unused:UNUSED_PAD src0_sel:WORD_0 src1_sel:DWORD
	v_mul_u32_u24_sdwa v48, v58, v48 dst_sel:DWORD dst_unused:UNUSED_PAD src0_sel:WORD_0 src1_sel:DWORD
	v_lshrrev_b32_e32 v49, 19, v49
	v_lshrrev_b32_e32 v48, 19, v48
	v_cmp_ge_u16_e64 s8, v49, v48
	s_and_b32 s89, s8, exec_lo
; %bb.2093:
	s_or_b32 exec_lo, exec_lo, s79
	s_orn2_b32 s79, s89, exec_lo
.LBB240_2094:
	s_or_b32 exec_lo, exec_lo, s88
	v_cndmask_b32_e64 v48, v38, v39, s79
	v_cndmask_b32_e64 v49, v242, v241, s79
	s_mov_b32 s89, -1
	s_mov_b32 s88, -1
	s_mov_b32 s90, exec_lo
	v_add_nc_u32_e32 v48, 1, v48
	v_add_nc_u32_e32 v49, -1, v49
	v_cndmask_b32_e64 v38, v48, v38, s79
	v_min_u32_e32 v49, v48, v49
	v_cndmask_b32_e64 v39, v39, v48, s79
	v_lshl_add_u32 v49, v49, 1, v176
	ds_read_u16 v49, v49
	s_waitcnt lgkmcnt(0)
	v_cndmask_b32_e64 v67, v49, v68, s79
	v_cndmask_b32_e64 v59, v58, v49, s79
	v_cmpx_lt_u32_e64 v38, v242
	s_cbranch_execz .LBB240_2098
; %bb.2095:
	s_mov_b32 s91, 0
	s_mov_b32 s88, exec_lo
	v_cmpx_lt_u32_e64 v39, v241
; %bb.2096:
	v_mov_b32_e32 v48, 0xcccd
	v_mul_u32_u24_sdwa v49, v67, v48 dst_sel:DWORD dst_unused:UNUSED_PAD src0_sel:WORD_0 src1_sel:DWORD
	v_mul_u32_u24_sdwa v48, v59, v48 dst_sel:DWORD dst_unused:UNUSED_PAD src0_sel:WORD_0 src1_sel:DWORD
	v_lshrrev_b32_e32 v49, 19, v49
	v_lshrrev_b32_e32 v48, 19, v48
	v_cmp_ge_u16_e64 s8, v49, v48
	s_and_b32 s91, s8, exec_lo
; %bb.2097:
	s_or_b32 exec_lo, exec_lo, s88
	s_orn2_b32 s88, s91, exec_lo
.LBB240_2098:
	s_or_b32 exec_lo, exec_lo, s90
	v_cndmask_b32_e64 v48, v38, v39, s88
	v_cndmask_b32_e64 v49, v242, v241, s88
	s_mov_b32 s90, exec_lo
	v_add_nc_u32_e32 v48, 1, v48
	v_add_nc_u32_e32 v49, -1, v49
	v_cndmask_b32_e64 v38, v48, v38, s88
	v_min_u32_e32 v49, v48, v49
	v_cndmask_b32_e64 v39, v39, v48, s88
	v_lshl_add_u32 v49, v49, 1, v176
	ds_read_u16 v49, v49
	s_waitcnt lgkmcnt(0)
	v_cndmask_b32_e64 v66, v49, v67, s88
	v_cndmask_b32_e64 v60, v59, v49, s88
	v_cmpx_lt_u32_e64 v38, v242
	s_cbranch_execz .LBB240_2102
; %bb.2099:
	s_mov_b32 s91, 0
	s_mov_b32 s89, exec_lo
	v_cmpx_lt_u32_e64 v39, v241
; %bb.2100:
	v_mov_b32_e32 v48, 0xcccd
	v_mul_u32_u24_sdwa v49, v66, v48 dst_sel:DWORD dst_unused:UNUSED_PAD src0_sel:WORD_0 src1_sel:DWORD
	v_mul_u32_u24_sdwa v48, v60, v48 dst_sel:DWORD dst_unused:UNUSED_PAD src0_sel:WORD_0 src1_sel:DWORD
	v_lshrrev_b32_e32 v49, 19, v49
	v_lshrrev_b32_e32 v48, 19, v48
	v_cmp_ge_u16_e64 s8, v49, v48
	s_and_b32 s91, s8, exec_lo
; %bb.2101:
	s_or_b32 exec_lo, exec_lo, s89
	s_orn2_b32 s89, s91, exec_lo
.LBB240_2102:
	s_or_b32 exec_lo, exec_lo, s90
	v_cndmask_b32_e64 v48, v38, v39, s89
	v_cndmask_b32_e64 v49, v242, v241, s89
	s_mov_b32 s91, -1
	s_mov_b32 s90, -1
	s_mov_b32 s92, exec_lo
	v_add_nc_u32_e32 v48, 1, v48
	v_add_nc_u32_e32 v49, -1, v49
	v_cndmask_b32_e64 v38, v48, v38, s89
	v_min_u32_e32 v49, v48, v49
	v_cndmask_b32_e64 v39, v39, v48, s89
	v_lshl_add_u32 v49, v49, 1, v176
	ds_read_u16 v49, v49
	s_waitcnt lgkmcnt(0)
	v_cndmask_b32_e64 v65, v49, v66, s89
	v_cndmask_b32_e64 v61, v60, v49, s89
	v_cmpx_lt_u32_e64 v38, v242
	s_cbranch_execz .LBB240_2106
; %bb.2103:
	s_mov_b32 s93, 0
	s_mov_b32 s90, exec_lo
	v_cmpx_lt_u32_e64 v39, v241
; %bb.2104:
	v_mov_b32_e32 v48, 0xcccd
	v_mul_u32_u24_sdwa v49, v65, v48 dst_sel:DWORD dst_unused:UNUSED_PAD src0_sel:WORD_0 src1_sel:DWORD
	v_mul_u32_u24_sdwa v48, v61, v48 dst_sel:DWORD dst_unused:UNUSED_PAD src0_sel:WORD_0 src1_sel:DWORD
	v_lshrrev_b32_e32 v49, 19, v49
	v_lshrrev_b32_e32 v48, 19, v48
	v_cmp_ge_u16_e64 s8, v49, v48
	s_and_b32 s93, s8, exec_lo
; %bb.2105:
	s_or_b32 exec_lo, exec_lo, s90
	s_orn2_b32 s90, s93, exec_lo
.LBB240_2106:
	s_or_b32 exec_lo, exec_lo, s92
	v_cndmask_b32_e64 v48, v38, v39, s90
	v_cndmask_b32_e64 v49, v242, v241, s90
	s_mov_b32 s92, exec_lo
	v_add_nc_u32_e32 v48, 1, v48
	v_add_nc_u32_e32 v49, -1, v49
	v_cndmask_b32_e64 v38, v48, v38, s90
	v_min_u32_e32 v49, v48, v49
	v_cndmask_b32_e64 v39, v39, v48, s90
	v_lshl_add_u32 v49, v49, 1, v176
	ds_read_u16 v49, v49
	s_waitcnt lgkmcnt(0)
	v_cndmask_b32_e64 v64, v49, v65, s90
	v_cndmask_b32_e64 v62, v61, v49, s90
	v_cmpx_lt_u32_e64 v38, v242
	s_cbranch_execz .LBB240_2110
; %bb.2107:
	s_mov_b32 s93, 0
	s_mov_b32 s91, exec_lo
	v_cmpx_lt_u32_e64 v39, v241
; %bb.2108:
	v_mov_b32_e32 v48, 0xcccd
	v_mul_u32_u24_sdwa v49, v64, v48 dst_sel:DWORD dst_unused:UNUSED_PAD src0_sel:WORD_0 src1_sel:DWORD
	v_mul_u32_u24_sdwa v48, v62, v48 dst_sel:DWORD dst_unused:UNUSED_PAD src0_sel:WORD_0 src1_sel:DWORD
	v_lshrrev_b32_e32 v49, 19, v49
	v_lshrrev_b32_e32 v48, 19, v48
	v_cmp_ge_u16_e64 s8, v49, v48
	s_and_b32 s93, s8, exec_lo
; %bb.2109:
	s_or_b32 exec_lo, exec_lo, s91
	s_orn2_b32 s91, s93, exec_lo
.LBB240_2110:
	s_or_b32 exec_lo, exec_lo, s92
	v_cndmask_b32_e64 v48, v38, v39, s91
	v_cndmask_b32_e64 v49, v242, v241, s91
	s_mov_b32 s93, -1
	s_mov_b32 s92, -1
	s_mov_b32 s94, exec_lo
	v_add_nc_u32_e32 v48, 1, v48
	v_add_nc_u32_e32 v49, -1, v49
	v_cndmask_b32_e64 v38, v48, v38, s91
	v_min_u32_e32 v49, v48, v49
	v_cndmask_b32_e64 v39, v39, v48, s91
	v_lshl_add_u32 v49, v49, 1, v176
	ds_read_u16 v49, v49
	s_waitcnt lgkmcnt(0)
	v_cndmask_b32_e64 v55, v49, v64, s91
	v_cndmask_b32_e64 v63, v62, v49, s91
	v_cmpx_lt_u32_e64 v38, v242
	s_cbranch_execz .LBB240_2114
; %bb.2111:
	s_mov_b32 s95, 0
	s_mov_b32 s92, exec_lo
	v_cmpx_lt_u32_e64 v39, v241
; %bb.2112:
	v_mov_b32_e32 v48, 0xcccd
	v_mul_u32_u24_sdwa v49, v55, v48 dst_sel:DWORD dst_unused:UNUSED_PAD src0_sel:WORD_0 src1_sel:DWORD
	v_mul_u32_u24_sdwa v48, v63, v48 dst_sel:DWORD dst_unused:UNUSED_PAD src0_sel:WORD_0 src1_sel:DWORD
	v_lshrrev_b32_e32 v49, 19, v49
	v_lshrrev_b32_e32 v48, 19, v48
	v_cmp_ge_u16_e64 s8, v49, v48
	s_and_b32 s95, s8, exec_lo
; %bb.2113:
	s_or_b32 exec_lo, exec_lo, s92
	s_orn2_b32 s92, s95, exec_lo
.LBB240_2114:
	s_or_b32 exec_lo, exec_lo, s94
	v_cndmask_b32_e64 v48, v38, v39, s92
	v_cndmask_b32_e64 v49, v242, v241, s92
	s_mov_b32 s94, exec_lo
	v_add_nc_u32_e32 v48, 1, v48
	v_add_nc_u32_e32 v49, -1, v49
	v_cndmask_b32_e64 v38, v48, v38, s92
	v_min_u32_e32 v49, v48, v49
	v_cndmask_b32_e64 v39, v39, v48, s92
	v_lshl_add_u32 v49, v49, 1, v176
	ds_read_u16 v49, v49
	s_waitcnt lgkmcnt(0)
	v_cndmask_b32_e64 v53, v49, v55, s92
	v_cndmask_b32_e64 v72, v63, v49, s92
	v_cmpx_lt_u32_e64 v38, v242
	s_cbranch_execz .LBB240_2118
; %bb.2115:
	s_mov_b32 s95, 0
	s_mov_b32 s93, exec_lo
	v_cmpx_lt_u32_e64 v39, v241
; %bb.2116:
	v_mov_b32_e32 v48, 0xcccd
	v_mul_u32_u24_sdwa v49, v53, v48 dst_sel:DWORD dst_unused:UNUSED_PAD src0_sel:WORD_0 src1_sel:DWORD
	v_mul_u32_u24_sdwa v48, v72, v48 dst_sel:DWORD dst_unused:UNUSED_PAD src0_sel:WORD_0 src1_sel:DWORD
	v_lshrrev_b32_e32 v49, 19, v49
	v_lshrrev_b32_e32 v48, 19, v48
	v_cmp_ge_u16_e64 s8, v49, v48
	s_and_b32 s95, s8, exec_lo
; %bb.2117:
	s_or_b32 exec_lo, exec_lo, s93
	s_orn2_b32 s93, s95, exec_lo
.LBB240_2118:
	s_or_b32 exec_lo, exec_lo, s94
	v_cndmask_b32_e64 v48, v38, v39, s93
	v_cndmask_b32_e64 v49, v242, v241, s93
	s_mov_b32 s95, -1
	s_mov_b32 s94, -1
	s_mov_b32 vcc_hi, exec_lo
	v_add_nc_u32_e32 v48, 1, v48
	v_add_nc_u32_e32 v49, -1, v49
	v_cndmask_b32_e64 v38, v48, v38, s93
	v_min_u32_e32 v49, v48, v49
	v_cndmask_b32_e64 v39, v39, v48, s93
	v_lshl_add_u32 v49, v49, 1, v176
	ds_read_u16 v49, v49
	s_waitcnt lgkmcnt(0)
	v_cndmask_b32_e64 v52, v49, v53, s93
	v_cndmask_b32_e64 v73, v72, v49, s93
	v_cmpx_lt_u32_e64 v38, v242
	s_cbranch_execz .LBB240_2122
; %bb.2119:
	s_mov_b32 s30, 0
	s_mov_b32 s94, exec_lo
	v_cmpx_lt_u32_e64 v39, v241
; %bb.2120:
	v_mov_b32_e32 v48, 0xcccd
	v_mul_u32_u24_sdwa v49, v52, v48 dst_sel:DWORD dst_unused:UNUSED_PAD src0_sel:WORD_0 src1_sel:DWORD
	v_mul_u32_u24_sdwa v48, v73, v48 dst_sel:DWORD dst_unused:UNUSED_PAD src0_sel:WORD_0 src1_sel:DWORD
	v_lshrrev_b32_e32 v49, 19, v49
	v_lshrrev_b32_e32 v48, 19, v48
	v_cmp_ge_u16_e64 s8, v49, v48
	s_and_b32 s30, s8, exec_lo
; %bb.2121:
	s_or_b32 exec_lo, exec_lo, s94
	s_orn2_b32 s94, s30, exec_lo
.LBB240_2122:
	s_or_b32 exec_lo, exec_lo, vcc_hi
	v_cndmask_b32_e64 v48, v38, v39, s94
	v_cndmask_b32_e64 v49, v242, v241, s94
	s_mov_b32 vcc_hi, exec_lo
	v_add_nc_u32_e32 v48, 1, v48
	v_add_nc_u32_e32 v49, -1, v49
	v_cndmask_b32_e64 v38, v48, v38, s94
	v_min_u32_e32 v49, v48, v49
	v_cndmask_b32_e64 v39, v39, v48, s94
	v_lshl_add_u32 v49, v49, 1, v176
	ds_read_u16 v49, v49
	s_waitcnt lgkmcnt(0)
	v_cndmask_b32_e64 v51, v49, v52, s94
	v_cndmask_b32_e64 v74, v73, v49, s94
	v_cmpx_lt_u32_e64 v38, v242
	s_cbranch_execz .LBB240_2126
; %bb.2123:
	s_mov_b32 s30, 0
	s_mov_b32 s95, exec_lo
	v_cmpx_lt_u32_e64 v39, v241
; %bb.2124:
	v_mov_b32_e32 v48, 0xcccd
	v_mul_u32_u24_sdwa v49, v51, v48 dst_sel:DWORD dst_unused:UNUSED_PAD src0_sel:WORD_0 src1_sel:DWORD
	v_mul_u32_u24_sdwa v48, v74, v48 dst_sel:DWORD dst_unused:UNUSED_PAD src0_sel:WORD_0 src1_sel:DWORD
	v_lshrrev_b32_e32 v49, 19, v49
	v_lshrrev_b32_e32 v48, 19, v48
	v_cmp_ge_u16_e64 s8, v49, v48
	s_and_b32 s30, s8, exec_lo
; %bb.2125:
	s_or_b32 exec_lo, exec_lo, s95
	s_orn2_b32 s95, s30, exec_lo
.LBB240_2126:
	s_or_b32 exec_lo, exec_lo, vcc_hi
	v_cndmask_b32_e64 v48, v38, v39, s95
	v_cndmask_b32_e64 v49, v242, v241, s95
	s_mov_b32 s30, -1
	s_mov_b32 vcc_hi, -1
	s_mov_b32 s31, exec_lo
	v_add_nc_u32_e32 v48, 1, v48
	v_add_nc_u32_e32 v49, -1, v49
	v_cndmask_b32_e64 v38, v48, v38, s95
	v_min_u32_e32 v49, v48, v49
	v_cndmask_b32_e64 v39, v39, v48, s95
	v_lshl_add_u32 v49, v49, 1, v176
	ds_read_u16 v49, v49
	s_waitcnt lgkmcnt(0)
	v_cndmask_b32_e64 v54, v49, v51, s95
	v_cndmask_b32_e64 v75, v74, v49, s95
	v_cmpx_lt_u32_e64 v38, v242
	s_cbranch_execz .LBB240_2130
; %bb.2127:
	s_mov_b32 s34, 0
	s_mov_b32 vcc_hi, exec_lo
	v_cmpx_lt_u32_e64 v39, v241
; %bb.2128:
	v_mov_b32_e32 v48, 0xcccd
	v_mul_u32_u24_sdwa v49, v54, v48 dst_sel:DWORD dst_unused:UNUSED_PAD src0_sel:WORD_0 src1_sel:DWORD
	v_mul_u32_u24_sdwa v48, v75, v48 dst_sel:DWORD dst_unused:UNUSED_PAD src0_sel:WORD_0 src1_sel:DWORD
	v_lshrrev_b32_e32 v49, 19, v49
	v_lshrrev_b32_e32 v48, 19, v48
	v_cmp_ge_u16_e64 s8, v49, v48
	s_and_b32 s34, s8, exec_lo
; %bb.2129:
	s_or_b32 exec_lo, exec_lo, vcc_hi
	s_orn2_b32 vcc_hi, s34, exec_lo
.LBB240_2130:
	s_or_b32 exec_lo, exec_lo, s31
	v_cndmask_b32_e64 v48, v38, v39, vcc_hi
	v_cndmask_b32_e64 v49, v242, v241, vcc_hi
	s_mov_b32 s31, exec_lo
	v_add_nc_u32_e32 v48, 1, v48
	v_add_nc_u32_e32 v49, -1, v49
	v_cndmask_b32_e64 v38, v48, v38, vcc_hi
	v_min_u32_e32 v49, v48, v49
	v_cndmask_b32_e64 v39, v39, v48, vcc_hi
	v_lshl_add_u32 v49, v49, 1, v176
	ds_read_u16 v49, v49
	s_waitcnt lgkmcnt(0)
	v_cndmask_b32_e64 v50, v49, v54, vcc_hi
	v_cndmask_b32_e64 v76, v75, v49, vcc_hi
	v_cmpx_lt_u32_e64 v38, v242
	s_cbranch_execz .LBB240_2134
; %bb.2131:
	s_mov_b32 s34, 0
	s_mov_b32 s30, exec_lo
	v_cmpx_lt_u32_e64 v39, v241
; %bb.2132:
	v_mov_b32_e32 v48, 0xcccd
	v_mul_u32_u24_sdwa v49, v50, v48 dst_sel:DWORD dst_unused:UNUSED_PAD src0_sel:WORD_0 src1_sel:DWORD
	v_mul_u32_u24_sdwa v48, v76, v48 dst_sel:DWORD dst_unused:UNUSED_PAD src0_sel:WORD_0 src1_sel:DWORD
	v_lshrrev_b32_e32 v49, 19, v49
	v_lshrrev_b32_e32 v48, 19, v48
	v_cmp_ge_u16_e64 s8, v49, v48
	s_and_b32 s34, s8, exec_lo
; %bb.2133:
	s_or_b32 exec_lo, exec_lo, s30
	s_orn2_b32 s30, s34, exec_lo
.LBB240_2134:
	s_or_b32 exec_lo, exec_lo, s31
	v_cndmask_b32_e64 v48, v38, v39, s30
	v_cndmask_b32_e64 v49, v242, v241, s30
	s_mov_b32 s34, -1
	s_mov_b32 s31, -1
	s_mov_b32 s35, exec_lo
	v_add_nc_u32_e32 v48, 1, v48
	v_add_nc_u32_e32 v49, -1, v49
	v_cndmask_b32_e64 v38, v48, v38, s30
	v_min_u32_e32 v49, v48, v49
	v_cndmask_b32_e64 v39, v39, v48, s30
	v_lshl_add_u32 v49, v49, 1, v176
	ds_read_u16 v77, v49
	s_waitcnt lgkmcnt(0)
	v_cndmask_b32_e64 v49, v77, v50, s30
	v_cndmask_b32_e64 v77, v76, v77, s30
	v_cmpx_lt_u32_e64 v38, v242
	s_cbranch_execz .LBB240_2138
; %bb.2135:
	s_mov_b32 s38, 0
	s_mov_b32 s31, exec_lo
	v_cmpx_lt_u32_e64 v39, v241
; %bb.2136:
	v_mov_b32_e32 v48, 0xcccd
	v_mul_u32_u24_sdwa v78, v49, v48 dst_sel:DWORD dst_unused:UNUSED_PAD src0_sel:WORD_0 src1_sel:DWORD
	v_mul_u32_u24_sdwa v48, v77, v48 dst_sel:DWORD dst_unused:UNUSED_PAD src0_sel:WORD_0 src1_sel:DWORD
	v_lshrrev_b32_e32 v78, 19, v78
	v_lshrrev_b32_e32 v48, 19, v48
	v_cmp_ge_u16_e64 s8, v78, v48
	s_and_b32 s38, s8, exec_lo
; %bb.2137:
	s_or_b32 exec_lo, exec_lo, s31
	s_orn2_b32 s31, s38, exec_lo
.LBB240_2138:
	s_or_b32 exec_lo, exec_lo, s35
	v_cndmask_b32_e64 v48, v38, v39, s31
	v_cndmask_b32_e64 v78, v242, v241, s31
	s_mov_b32 s35, exec_lo
	v_add_nc_u32_e32 v48, 1, v48
	v_add_nc_u32_e32 v78, -1, v78
	v_cndmask_b32_e64 v38, v48, v38, s31
	v_min_u32_e32 v78, v48, v78
	v_cndmask_b32_e64 v39, v39, v48, s31
	v_lshl_add_u32 v78, v78, 1, v176
	ds_read_u16 v78, v78
	s_waitcnt lgkmcnt(0)
	v_cndmask_b32_e64 v48, v78, v49, s31
	v_cndmask_b32_e64 v78, v77, v78, s31
	v_cmpx_lt_u32_e64 v38, v242
	s_cbranch_execz .LBB240_2142
; %bb.2139:
	s_mov_b32 s38, 0
	s_mov_b32 s34, exec_lo
	v_cmpx_lt_u32_e64 v39, v241
; %bb.2140:
	v_mov_b32_e32 v79, 0xcccd
	v_mul_u32_u24_sdwa v88, v48, v79 dst_sel:DWORD dst_unused:UNUSED_PAD src0_sel:WORD_0 src1_sel:DWORD
	v_mul_u32_u24_sdwa v79, v78, v79 dst_sel:DWORD dst_unused:UNUSED_PAD src0_sel:WORD_0 src1_sel:DWORD
	v_lshrrev_b32_e32 v88, 19, v88
	v_lshrrev_b32_e32 v79, 19, v79
	v_cmp_ge_u16_e64 s8, v88, v79
	s_and_b32 s38, s8, exec_lo
; %bb.2141:
	s_or_b32 exec_lo, exec_lo, s34
	s_orn2_b32 s34, s38, exec_lo
.LBB240_2142:
	s_or_b32 exec_lo, exec_lo, s35
	v_cndmask_b32_e64 v79, v38, v39, s34
	v_cndmask_b32_e64 v88, v242, v241, s34
	s_mov_b32 s35, -1
	s_mov_b32 s38, -1
	s_mov_b32 s39, exec_lo
	v_add_nc_u32_e32 v79, 1, v79
	v_add_nc_u32_e32 v88, -1, v88
	v_cndmask_b32_e64 v38, v79, v38, s34
	v_min_u32_e32 v88, v79, v88
	v_lshl_add_u32 v88, v88, 1, v176
	ds_read_u16 v89, v88
	v_cndmask_b32_e64 v88, v39, v79, s34
	s_waitcnt lgkmcnt(0)
	v_cndmask_b32_e64 v39, v89, v48, s34
	v_cndmask_b32_e64 v79, v78, v89, s34
	v_cmpx_lt_u32_e64 v38, v242
	s_cbranch_execz .LBB240_2146
; %bb.2143:
	s_mov_b32 s48, 0
	s_mov_b32 s38, exec_lo
	v_cmpx_lt_u32_e64 v88, v241
; %bb.2144:
	v_mov_b32_e32 v89, 0xcccd
	v_mul_u32_u24_sdwa v90, v39, v89 dst_sel:DWORD dst_unused:UNUSED_PAD src0_sel:WORD_0 src1_sel:DWORD
	v_mul_u32_u24_sdwa v89, v79, v89 dst_sel:DWORD dst_unused:UNUSED_PAD src0_sel:WORD_0 src1_sel:DWORD
	v_lshrrev_b32_e32 v90, 19, v90
	v_lshrrev_b32_e32 v89, 19, v89
	v_cmp_ge_u16_e64 s8, v90, v89
	s_and_b32 s48, s8, exec_lo
; %bb.2145:
	s_or_b32 exec_lo, exec_lo, s38
	s_orn2_b32 s38, s48, exec_lo
.LBB240_2146:
	s_or_b32 exec_lo, exec_lo, s39
	v_cndmask_b32_e64 v89, v38, v88, s38
	v_cndmask_b32_e64 v90, v242, v241, s38
	s_mov_b32 s39, exec_lo
	v_add_nc_u32_e32 v89, 1, v89
	v_add_nc_u32_e32 v90, -1, v90
	v_cndmask_b32_e64 v38, v89, v38, s38
	v_min_u32_e32 v90, v89, v90
	v_lshl_add_u32 v90, v90, 1, v176
	ds_read_u16 v91, v90
	v_cndmask_b32_e64 v90, v88, v89, s38
	s_waitcnt lgkmcnt(0)
	v_cndmask_b32_e64 v88, v91, v39, s38
	v_cndmask_b32_e64 v89, v79, v91, s38
	v_cmpx_lt_u32_e64 v38, v242
	s_cbranch_execz .LBB240_2150
; %bb.2147:
	s_mov_b32 s48, 0
	s_mov_b32 s35, exec_lo
	v_cmpx_lt_u32_e64 v90, v241
; %bb.2148:
	v_mov_b32_e32 v91, 0xcccd
	v_mul_u32_u24_sdwa v92, v88, v91 dst_sel:DWORD dst_unused:UNUSED_PAD src0_sel:WORD_0 src1_sel:DWORD
	v_mul_u32_u24_sdwa v91, v89, v91 dst_sel:DWORD dst_unused:UNUSED_PAD src0_sel:WORD_0 src1_sel:DWORD
	v_lshrrev_b32_e32 v92, 19, v92
	v_lshrrev_b32_e32 v91, 19, v91
	v_cmp_ge_u16_e64 s8, v92, v91
	s_and_b32 s48, s8, exec_lo
; %bb.2149:
	s_or_b32 exec_lo, exec_lo, s35
	s_orn2_b32 s35, s48, exec_lo
.LBB240_2150:
	s_or_b32 exec_lo, exec_lo, s39
	v_cndmask_b32_e64 v91, v38, v90, s35
	v_cndmask_b32_e64 v92, v242, v241, s35
	s_mov_b32 s39, exec_lo
	v_add_nc_u32_e32 v91, 1, v91
	v_add_nc_u32_e32 v92, -1, v92
	v_cndmask_b32_e64 v93, v91, v38, s35
	v_min_u32_e32 v92, v91, v92
	v_lshl_add_u32 v92, v92, 1, v176
	ds_read_u16 v92, v92
	s_waitcnt lgkmcnt(0)
	v_cndmask_b32_e64 v38, v89, v92, s35
	v_cmpx_lt_u32_e64 v93, v242
	s_cbranch_execz .LBB240_2154
; %bb.2151:
	v_cndmask_b32_e64 v90, v90, v91, s35
	v_cndmask_b32_e64 v242, v92, v88, s35
	s_mov_b32 s48, exec_lo
	v_cmpx_lt_u32_e64 v90, v241
	s_cbranch_execz .LBB240_2153
; %bb.2152:
	v_mov_b32_e32 v241, 0xcccd
	v_mul_u32_u24_sdwa v90, v242, v241 dst_sel:DWORD dst_unused:UNUSED_PAD src0_sel:WORD_0 src1_sel:DWORD
	v_mul_u32_u24_sdwa v241, v38, v241 dst_sel:DWORD dst_unused:UNUSED_PAD src0_sel:WORD_0 src1_sel:DWORD
	v_lshrrev_b32_e32 v90, 19, v90
	v_lshrrev_b32_e32 v241, 19, v241
	v_cmp_lt_u16_e64 s8, v90, v241
	v_cndmask_b32_e64 v242, v38, v242, s8
.LBB240_2153:
	s_or_b32 exec_lo, exec_lo, s48
	v_mov_b32_e32 v38, v242
.LBB240_2154:
	s_or_b32 exec_lo, exec_lo, s39
	v_cndmask_b32_e64 v39, v39, v79, s38
	v_cndmask_b32_e64 v48, v48, v78, s34
	;; [unrolled: 1-line block ×4, first 2 shown]
	v_cndmask_b32_e64 v54, v54, v75, vcc_hi
	v_cndmask_b32_e64 v51, v51, v74, s95
	v_cndmask_b32_e64 v52, v52, v73, s94
	;; [unrolled: 1-line block ×26, first 2 shown]
.LBB240_2155:
	s_or_b32 exec_lo, exec_lo, s12
	; wave barrier
	ds_write_b16 v179, v97
	ds_write_b16 v229, v100
	;; [unrolled: 1-line block ×5, first 2 shown]
	v_and_b32_e32 v229, 0x200, v178
	ds_write_b16 v225, v87
	ds_write_b16 v226, v86
	;; [unrolled: 1-line block ×15, first 2 shown]
	v_or_b32_e32 v179, 0x100, v229
	v_and_b32_e32 v198, 0x1e0, v178
	ds_write_b16 v195, v64
	ds_write_b16 v196, v55
	ds_write_b16 v197, v53
	ds_write_b16 v192, v52
	ds_write_b16 v193, v51
	ds_write_b16 v194, v54
	s_mov_b32 s9, exec_lo
	v_min_u32_e32 v179, v177, v179
	ds_write_b16 v180, v50
	ds_write_b16 v181, v49
	;; [unrolled: 1-line block ×6, first 2 shown]
	; wave barrier
	v_add_nc_u32_e32 v209, 0x100, v179
	v_sub_nc_u32_e32 v196, v179, v229
	v_min_u32_e32 v178, v177, v209
	v_min_u32_e32 v177, v177, v198
	v_sub_nc_u32_e32 v195, v178, v179
	v_min_u32_e32 v193, v177, v196
	v_sub_nc_u32_e64 v192, v177, v195 clamp
	v_cmpx_lt_u32_e64 v192, v193
	s_cbranch_execz .LBB240_2159
; %bb.2156:
	v_lshlrev_b32_e32 v1, 1, v229
	v_lshlrev_b32_e32 v2, 1, v179
	s_mov_b32 s12, 0
	v_add_co_u32 v1, null, v176, v1
	v_add_co_u32 v2, null, v176, v2
	.p2align	6
.LBB240_2157:                           ; =>This Inner Loop Header: Depth=1
	v_add_nc_u32_e32 v180, v193, v192
	v_lshrrev_b32_e32 v181, 1, v180
	v_and_b32_e32 v180, -2, v180
	v_xad_u32 v182, v181, -1, v177
	v_add_nc_u32_e32 v180, v1, v180
	v_add_nc_u32_e32 v183, 1, v181
	v_lshl_add_u32 v182, v182, 1, v2
	ds_read_u16 v180, v180
	ds_read_u16 v182, v182
	s_waitcnt lgkmcnt(1)
	v_mul_u32_u24_e32 v180, 0xcccd, v180
	s_waitcnt lgkmcnt(0)
	v_mul_u32_u24_e32 v182, 0xcccd, v182
	v_lshrrev_b32_e32 v180, 19, v180
	v_lshrrev_b32_e32 v182, 19, v182
	v_cmp_lt_u16_e64 s8, v182, v180
	v_cndmask_b32_e64 v193, v193, v181, s8
	v_cndmask_b32_e64 v192, v183, v192, s8
	v_cmp_ge_u32_e64 s8, v192, v193
	s_or_b32 s12, s8, s12
	s_andn2_b32 exec_lo, exec_lo, s12
	s_cbranch_execnz .LBB240_2157
; %bb.2158:
	s_or_b32 exec_lo, exec_lo, s12
.LBB240_2159:
	s_or_b32 exec_lo, exec_lo, s9
	v_add_nc_u32_e32 v1, v179, v177
	v_add_nc_u32_e32 v177, v192, v229
	v_sub_nc_u32_e32 v180, v1, v192
	v_cmp_le_u32_e64 s8, v177, v179
	v_cmp_le_u32_e64 s9, v180, v178
	s_or_b32 s8, s8, s9
	s_and_saveexec_b32 s12, s8
	s_cbranch_execz .LBB240_2291
; %bb.2160:
	v_cmp_ge_u32_e64 s8, v177, v179
	s_mov_b32 s13, exec_lo
                                        ; implicit-def: $vgpr1
	v_cmpx_lt_u32_e64 v177, v179
; %bb.2161:
	v_lshl_add_u32 v1, v177, 1, v176
	ds_read_u16 v1, v1
; %bb.2162:
	s_or_b32 exec_lo, exec_lo, s13
	v_cmp_ge_u32_e64 s13, v180, v178
	s_mov_b32 s57, exec_lo
                                        ; implicit-def: $vgpr2
	v_cmpx_lt_u32_e64 v180, v178
; %bb.2163:
	v_lshl_add_u32 v2, v180, 1, v176
	ds_read_u16 v2, v2
; %bb.2164:
	s_or_b32 exec_lo, exec_lo, s57
	s_nor_b32 s8, s8, s13
	s_and_saveexec_b32 s9, s8
	s_cbranch_execz .LBB240_2166
; %bb.2165:
	v_mov_b32_e32 v38, 0xcccd
	s_andn2_b32 s13, s13, exec_lo
	s_waitcnt lgkmcnt(0)
	v_mul_u32_u24_sdwa v39, v2, v38 dst_sel:DWORD dst_unused:UNUSED_PAD src0_sel:WORD_0 src1_sel:DWORD
	v_mul_u32_u24_sdwa v38, v1, v38 dst_sel:DWORD dst_unused:UNUSED_PAD src0_sel:WORD_0 src1_sel:DWORD
	v_lshrrev_b32_e32 v39, 19, v39
	v_lshrrev_b32_e32 v38, 19, v38
	v_cmp_ge_u16_e64 s8, v39, v38
	s_and_b32 s8, s8, exec_lo
	s_or_b32 s13, s13, s8
.LBB240_2166:
	s_or_b32 exec_lo, exec_lo, s9
	v_cndmask_b32_e64 v38, v180, v177, s13
	v_cndmask_b32_e64 v39, v178, v179, s13
	s_mov_b32 s57, -1
	s_mov_b32 s9, -1
	s_mov_b32 s58, exec_lo
	v_add_nc_u32_e32 v48, 1, v38
	v_add_nc_u32_e32 v38, -1, v39
	v_cndmask_b32_e64 v39, v177, v48, s13
	v_min_u32_e32 v38, v48, v38
	v_lshl_add_u32 v38, v38, 1, v176
	ds_read_u16 v49, v38
	v_cndmask_b32_e64 v38, v48, v180, s13
	s_waitcnt lgkmcnt(0)
	v_cndmask_b32_e64 v97, v49, v2, s13
	v_cndmask_b32_e64 v100, v1, v49, s13
	v_cmpx_lt_u32_e64 v38, v178
	s_cbranch_execz .LBB240_2170
; %bb.2167:
	s_mov_b32 s59, 0
	s_mov_b32 s9, exec_lo
	v_cmpx_lt_u32_e64 v39, v179
; %bb.2168:
	v_mov_b32_e32 v48, 0xcccd
	v_mul_u32_u24_sdwa v49, v97, v48 dst_sel:DWORD dst_unused:UNUSED_PAD src0_sel:WORD_0 src1_sel:DWORD
	v_mul_u32_u24_sdwa v48, v100, v48 dst_sel:DWORD dst_unused:UNUSED_PAD src0_sel:WORD_0 src1_sel:DWORD
	v_lshrrev_b32_e32 v49, 19, v49
	v_lshrrev_b32_e32 v48, 19, v48
	v_cmp_ge_u16_e64 s8, v49, v48
	s_and_b32 s59, s8, exec_lo
; %bb.2169:
	s_or_b32 exec_lo, exec_lo, s9
	s_orn2_b32 s9, s59, exec_lo
.LBB240_2170:
	s_or_b32 exec_lo, exec_lo, s58
	v_cndmask_b32_e64 v48, v38, v39, s9
	v_cndmask_b32_e64 v49, v178, v179, s9
	s_mov_b32 s58, exec_lo
	v_add_nc_u32_e32 v48, 1, v48
	v_add_nc_u32_e32 v49, -1, v49
	v_cndmask_b32_e64 v38, v48, v38, s9
	v_min_u32_e32 v49, v48, v49
	v_cndmask_b32_e64 v39, v39, v48, s9
	v_lshl_add_u32 v49, v49, 1, v176
	ds_read_u16 v49, v49
	s_waitcnt lgkmcnt(0)
	v_cndmask_b32_e64 v99, v49, v97, s9
	v_cndmask_b32_e64 v101, v100, v49, s9
	v_cmpx_lt_u32_e64 v38, v178
	s_cbranch_execz .LBB240_2174
; %bb.2171:
	s_mov_b32 s59, 0
	s_mov_b32 s57, exec_lo
	v_cmpx_lt_u32_e64 v39, v179
; %bb.2172:
	v_mov_b32_e32 v48, 0xcccd
	v_mul_u32_u24_sdwa v49, v99, v48 dst_sel:DWORD dst_unused:UNUSED_PAD src0_sel:WORD_0 src1_sel:DWORD
	v_mul_u32_u24_sdwa v48, v101, v48 dst_sel:DWORD dst_unused:UNUSED_PAD src0_sel:WORD_0 src1_sel:DWORD
	v_lshrrev_b32_e32 v49, 19, v49
	v_lshrrev_b32_e32 v48, 19, v48
	v_cmp_ge_u16_e64 s8, v49, v48
	s_and_b32 s59, s8, exec_lo
; %bb.2173:
	s_or_b32 exec_lo, exec_lo, s57
	s_orn2_b32 s57, s59, exec_lo
.LBB240_2174:
	s_or_b32 exec_lo, exec_lo, s58
	v_cndmask_b32_e64 v48, v38, v39, s57
	v_cndmask_b32_e64 v49, v178, v179, s57
	s_mov_b32 s59, -1
	s_mov_b32 s58, -1
	s_mov_b32 s60, exec_lo
	v_add_nc_u32_e32 v48, 1, v48
	v_add_nc_u32_e32 v49, -1, v49
	v_cndmask_b32_e64 v38, v48, v38, s57
	v_min_u32_e32 v49, v48, v49
	v_cndmask_b32_e64 v39, v39, v48, s57
	v_lshl_add_u32 v49, v49, 1, v176
	ds_read_u16 v49, v49
	s_waitcnt lgkmcnt(0)
	v_cndmask_b32_e64 v98, v49, v99, s57
	v_cndmask_b32_e64 v177, v101, v49, s57
	v_cmpx_lt_u32_e64 v38, v178
	s_cbranch_execz .LBB240_2178
; %bb.2175:
	s_mov_b32 s61, 0
	s_mov_b32 s58, exec_lo
	v_cmpx_lt_u32_e64 v39, v179
; %bb.2176:
	v_mov_b32_e32 v48, 0xcccd
	v_mul_u32_u24_sdwa v49, v98, v48 dst_sel:DWORD dst_unused:UNUSED_PAD src0_sel:WORD_0 src1_sel:DWORD
	v_mul_u32_u24_sdwa v48, v177, v48 dst_sel:DWORD dst_unused:UNUSED_PAD src0_sel:WORD_0 src1_sel:DWORD
	v_lshrrev_b32_e32 v49, 19, v49
	v_lshrrev_b32_e32 v48, 19, v48
	v_cmp_ge_u16_e64 s8, v49, v48
	s_and_b32 s61, s8, exec_lo
; %bb.2177:
	s_or_b32 exec_lo, exec_lo, s58
	s_orn2_b32 s58, s61, exec_lo
.LBB240_2178:
	s_or_b32 exec_lo, exec_lo, s60
	v_cndmask_b32_e64 v48, v38, v39, s58
	v_cndmask_b32_e64 v49, v178, v179, s58
	s_mov_b32 s60, exec_lo
	v_add_nc_u32_e32 v48, 1, v48
	v_add_nc_u32_e32 v49, -1, v49
	v_cndmask_b32_e64 v38, v48, v38, s58
	v_min_u32_e32 v49, v48, v49
	v_cndmask_b32_e64 v39, v39, v48, s58
	v_lshl_add_u32 v49, v49, 1, v176
	ds_read_u16 v49, v49
	s_waitcnt lgkmcnt(0)
	v_cndmask_b32_e64 v96, v49, v98, s58
	v_cndmask_b32_e64 v180, v177, v49, s58
	v_cmpx_lt_u32_e64 v38, v178
	s_cbranch_execz .LBB240_2182
; %bb.2179:
	s_mov_b32 s61, 0
	s_mov_b32 s59, exec_lo
	v_cmpx_lt_u32_e64 v39, v179
; %bb.2180:
	v_mov_b32_e32 v48, 0xcccd
	v_mul_u32_u24_sdwa v49, v96, v48 dst_sel:DWORD dst_unused:UNUSED_PAD src0_sel:WORD_0 src1_sel:DWORD
	v_mul_u32_u24_sdwa v48, v180, v48 dst_sel:DWORD dst_unused:UNUSED_PAD src0_sel:WORD_0 src1_sel:DWORD
	v_lshrrev_b32_e32 v49, 19, v49
	v_lshrrev_b32_e32 v48, 19, v48
	v_cmp_ge_u16_e64 s8, v49, v48
	s_and_b32 s61, s8, exec_lo
; %bb.2181:
	s_or_b32 exec_lo, exec_lo, s59
	s_orn2_b32 s59, s61, exec_lo
.LBB240_2182:
	s_or_b32 exec_lo, exec_lo, s60
	v_cndmask_b32_e64 v48, v38, v39, s59
	v_cndmask_b32_e64 v49, v178, v179, s59
	s_mov_b32 s61, -1
	s_mov_b32 s60, -1
	s_mov_b32 s62, exec_lo
	v_add_nc_u32_e32 v48, 1, v48
	v_add_nc_u32_e32 v49, -1, v49
	v_cndmask_b32_e64 v38, v48, v38, s59
	v_min_u32_e32 v49, v48, v49
	v_cndmask_b32_e64 v39, v39, v48, s59
	v_lshl_add_u32 v49, v49, 1, v176
	ds_read_u16 v49, v49
	s_waitcnt lgkmcnt(0)
	v_cndmask_b32_e64 v87, v49, v96, s59
	v_cndmask_b32_e64 v181, v180, v49, s59
	v_cmpx_lt_u32_e64 v38, v178
	s_cbranch_execz .LBB240_2186
; %bb.2183:
	s_mov_b32 s63, 0
	s_mov_b32 s60, exec_lo
	v_cmpx_lt_u32_e64 v39, v179
; %bb.2184:
	v_mov_b32_e32 v48, 0xcccd
	v_mul_u32_u24_sdwa v49, v87, v48 dst_sel:DWORD dst_unused:UNUSED_PAD src0_sel:WORD_0 src1_sel:DWORD
	v_mul_u32_u24_sdwa v48, v181, v48 dst_sel:DWORD dst_unused:UNUSED_PAD src0_sel:WORD_0 src1_sel:DWORD
	v_lshrrev_b32_e32 v49, 19, v49
	v_lshrrev_b32_e32 v48, 19, v48
	v_cmp_ge_u16_e64 s8, v49, v48
	s_and_b32 s63, s8, exec_lo
; %bb.2185:
	s_or_b32 exec_lo, exec_lo, s60
	s_orn2_b32 s60, s63, exec_lo
.LBB240_2186:
	s_or_b32 exec_lo, exec_lo, s62
	v_cndmask_b32_e64 v48, v38, v39, s60
	v_cndmask_b32_e64 v49, v178, v179, s60
	s_mov_b32 s62, exec_lo
	v_add_nc_u32_e32 v48, 1, v48
	v_add_nc_u32_e32 v49, -1, v49
	v_cndmask_b32_e64 v38, v48, v38, s60
	v_min_u32_e32 v49, v48, v49
	v_cndmask_b32_e64 v39, v39, v48, s60
	v_lshl_add_u32 v49, v49, 1, v176
	ds_read_u16 v49, v49
	s_waitcnt lgkmcnt(0)
	v_cndmask_b32_e64 v86, v49, v87, s60
	v_cndmask_b32_e64 v182, v181, v49, s60
	v_cmpx_lt_u32_e64 v38, v178
	s_cbranch_execz .LBB240_2190
; %bb.2187:
	s_mov_b32 s63, 0
	s_mov_b32 s61, exec_lo
	v_cmpx_lt_u32_e64 v39, v179
; %bb.2188:
	v_mov_b32_e32 v48, 0xcccd
	v_mul_u32_u24_sdwa v49, v86, v48 dst_sel:DWORD dst_unused:UNUSED_PAD src0_sel:WORD_0 src1_sel:DWORD
	v_mul_u32_u24_sdwa v48, v182, v48 dst_sel:DWORD dst_unused:UNUSED_PAD src0_sel:WORD_0 src1_sel:DWORD
	v_lshrrev_b32_e32 v49, 19, v49
	v_lshrrev_b32_e32 v48, 19, v48
	v_cmp_ge_u16_e64 s8, v49, v48
	s_and_b32 s63, s8, exec_lo
; %bb.2189:
	s_or_b32 exec_lo, exec_lo, s61
	s_orn2_b32 s61, s63, exec_lo
.LBB240_2190:
	s_or_b32 exec_lo, exec_lo, s62
	v_cndmask_b32_e64 v48, v38, v39, s61
	v_cndmask_b32_e64 v49, v178, v179, s61
	s_mov_b32 s63, -1
	s_mov_b32 s62, -1
	s_mov_b32 s72, exec_lo
	v_add_nc_u32_e32 v48, 1, v48
	v_add_nc_u32_e32 v49, -1, v49
	v_cndmask_b32_e64 v38, v48, v38, s61
	v_min_u32_e32 v49, v48, v49
	v_cndmask_b32_e64 v39, v39, v48, s61
	v_lshl_add_u32 v49, v49, 1, v176
	ds_read_u16 v49, v49
	s_waitcnt lgkmcnt(0)
	v_cndmask_b32_e64 v85, v49, v86, s61
	v_cndmask_b32_e64 v183, v182, v49, s61
	v_cmpx_lt_u32_e64 v38, v178
	s_cbranch_execz .LBB240_2194
; %bb.2191:
	s_mov_b32 s73, 0
	s_mov_b32 s62, exec_lo
	v_cmpx_lt_u32_e64 v39, v179
; %bb.2192:
	v_mov_b32_e32 v48, 0xcccd
	v_mul_u32_u24_sdwa v49, v85, v48 dst_sel:DWORD dst_unused:UNUSED_PAD src0_sel:WORD_0 src1_sel:DWORD
	v_mul_u32_u24_sdwa v48, v183, v48 dst_sel:DWORD dst_unused:UNUSED_PAD src0_sel:WORD_0 src1_sel:DWORD
	v_lshrrev_b32_e32 v49, 19, v49
	v_lshrrev_b32_e32 v48, 19, v48
	v_cmp_ge_u16_e64 s8, v49, v48
	s_and_b32 s73, s8, exec_lo
; %bb.2193:
	s_or_b32 exec_lo, exec_lo, s62
	s_orn2_b32 s62, s73, exec_lo
.LBB240_2194:
	s_or_b32 exec_lo, exec_lo, s72
	v_cndmask_b32_e64 v48, v38, v39, s62
	v_cndmask_b32_e64 v49, v178, v179, s62
	s_mov_b32 s72, exec_lo
	v_add_nc_u32_e32 v48, 1, v48
	v_add_nc_u32_e32 v49, -1, v49
	v_cndmask_b32_e64 v38, v48, v38, s62
	v_min_u32_e32 v49, v48, v49
	v_cndmask_b32_e64 v39, v39, v48, s62
	v_lshl_add_u32 v49, v49, 1, v176
	ds_read_u16 v49, v49
	s_waitcnt lgkmcnt(0)
	v_cndmask_b32_e64 v84, v49, v85, s62
	v_cndmask_b32_e64 v192, v183, v49, s62
	v_cmpx_lt_u32_e64 v38, v178
	s_cbranch_execz .LBB240_2198
; %bb.2195:
	s_mov_b32 s73, 0
	s_mov_b32 s63, exec_lo
	v_cmpx_lt_u32_e64 v39, v179
; %bb.2196:
	v_mov_b32_e32 v48, 0xcccd
	v_mul_u32_u24_sdwa v49, v84, v48 dst_sel:DWORD dst_unused:UNUSED_PAD src0_sel:WORD_0 src1_sel:DWORD
	v_mul_u32_u24_sdwa v48, v192, v48 dst_sel:DWORD dst_unused:UNUSED_PAD src0_sel:WORD_0 src1_sel:DWORD
	v_lshrrev_b32_e32 v49, 19, v49
	v_lshrrev_b32_e32 v48, 19, v48
	v_cmp_ge_u16_e64 s8, v49, v48
	s_and_b32 s73, s8, exec_lo
; %bb.2197:
	s_or_b32 exec_lo, exec_lo, s63
	s_orn2_b32 s63, s73, exec_lo
.LBB240_2198:
	s_or_b32 exec_lo, exec_lo, s72
	v_cndmask_b32_e64 v48, v38, v39, s63
	v_cndmask_b32_e64 v49, v178, v179, s63
	s_mov_b32 s73, -1
	s_mov_b32 s72, -1
	s_mov_b32 s74, exec_lo
	v_add_nc_u32_e32 v48, 1, v48
	v_add_nc_u32_e32 v49, -1, v49
	v_cndmask_b32_e64 v38, v48, v38, s63
	v_min_u32_e32 v49, v48, v49
	v_cndmask_b32_e64 v39, v39, v48, s63
	v_lshl_add_u32 v49, v49, 1, v176
	ds_read_u16 v49, v49
	s_waitcnt lgkmcnt(0)
	v_cndmask_b32_e64 v83, v49, v84, s63
	v_cndmask_b32_e64 v193, v192, v49, s63
	v_cmpx_lt_u32_e64 v38, v178
	s_cbranch_execz .LBB240_2202
; %bb.2199:
	s_mov_b32 s75, 0
	s_mov_b32 s72, exec_lo
	v_cmpx_lt_u32_e64 v39, v179
; %bb.2200:
	v_mov_b32_e32 v48, 0xcccd
	v_mul_u32_u24_sdwa v49, v83, v48 dst_sel:DWORD dst_unused:UNUSED_PAD src0_sel:WORD_0 src1_sel:DWORD
	v_mul_u32_u24_sdwa v48, v193, v48 dst_sel:DWORD dst_unused:UNUSED_PAD src0_sel:WORD_0 src1_sel:DWORD
	v_lshrrev_b32_e32 v49, 19, v49
	v_lshrrev_b32_e32 v48, 19, v48
	v_cmp_ge_u16_e64 s8, v49, v48
	s_and_b32 s75, s8, exec_lo
; %bb.2201:
	s_or_b32 exec_lo, exec_lo, s72
	s_orn2_b32 s72, s75, exec_lo
.LBB240_2202:
	s_or_b32 exec_lo, exec_lo, s74
	v_cndmask_b32_e64 v48, v38, v39, s72
	v_cndmask_b32_e64 v49, v178, v179, s72
	s_mov_b32 s74, exec_lo
	v_add_nc_u32_e32 v48, 1, v48
	v_add_nc_u32_e32 v49, -1, v49
	v_cndmask_b32_e64 v38, v48, v38, s72
	v_min_u32_e32 v49, v48, v49
	v_cndmask_b32_e64 v39, v39, v48, s72
	v_lshl_add_u32 v49, v49, 1, v176
	ds_read_u16 v49, v49
	s_waitcnt lgkmcnt(0)
	v_cndmask_b32_e64 v82, v49, v83, s72
	v_cndmask_b32_e64 v194, v193, v49, s72
	v_cmpx_lt_u32_e64 v38, v178
	s_cbranch_execz .LBB240_2206
; %bb.2203:
	s_mov_b32 s75, 0
	s_mov_b32 s73, exec_lo
	v_cmpx_lt_u32_e64 v39, v179
; %bb.2204:
	v_mov_b32_e32 v48, 0xcccd
	v_mul_u32_u24_sdwa v49, v82, v48 dst_sel:DWORD dst_unused:UNUSED_PAD src0_sel:WORD_0 src1_sel:DWORD
	v_mul_u32_u24_sdwa v48, v194, v48 dst_sel:DWORD dst_unused:UNUSED_PAD src0_sel:WORD_0 src1_sel:DWORD
	v_lshrrev_b32_e32 v49, 19, v49
	v_lshrrev_b32_e32 v48, 19, v48
	v_cmp_ge_u16_e64 s8, v49, v48
	s_and_b32 s75, s8, exec_lo
; %bb.2205:
	s_or_b32 exec_lo, exec_lo, s73
	s_orn2_b32 s73, s75, exec_lo
.LBB240_2206:
	s_or_b32 exec_lo, exec_lo, s74
	v_cndmask_b32_e64 v48, v38, v39, s73
	v_cndmask_b32_e64 v49, v178, v179, s73
	s_mov_b32 s75, -1
	s_mov_b32 s74, -1
	s_mov_b32 s76, exec_lo
	v_add_nc_u32_e32 v48, 1, v48
	v_add_nc_u32_e32 v49, -1, v49
	v_cndmask_b32_e64 v38, v48, v38, s73
	v_min_u32_e32 v49, v48, v49
	v_cndmask_b32_e64 v39, v39, v48, s73
	v_lshl_add_u32 v49, v49, 1, v176
	ds_read_u16 v49, v49
	s_waitcnt lgkmcnt(0)
	v_cndmask_b32_e64 v81, v49, v82, s73
	v_cndmask_b32_e64 v195, v194, v49, s73
	v_cmpx_lt_u32_e64 v38, v178
	s_cbranch_execz .LBB240_2210
; %bb.2207:
	s_mov_b32 s77, 0
	s_mov_b32 s74, exec_lo
	v_cmpx_lt_u32_e64 v39, v179
; %bb.2208:
	v_mov_b32_e32 v48, 0xcccd
	v_mul_u32_u24_sdwa v49, v81, v48 dst_sel:DWORD dst_unused:UNUSED_PAD src0_sel:WORD_0 src1_sel:DWORD
	v_mul_u32_u24_sdwa v48, v195, v48 dst_sel:DWORD dst_unused:UNUSED_PAD src0_sel:WORD_0 src1_sel:DWORD
	v_lshrrev_b32_e32 v49, 19, v49
	v_lshrrev_b32_e32 v48, 19, v48
	v_cmp_ge_u16_e64 s8, v49, v48
	s_and_b32 s77, s8, exec_lo
; %bb.2209:
	s_or_b32 exec_lo, exec_lo, s74
	s_orn2_b32 s74, s77, exec_lo
.LBB240_2210:
	s_or_b32 exec_lo, exec_lo, s76
	v_cndmask_b32_e64 v48, v38, v39, s74
	v_cndmask_b32_e64 v49, v178, v179, s74
	s_mov_b32 s76, exec_lo
	v_add_nc_u32_e32 v48, 1, v48
	v_add_nc_u32_e32 v49, -1, v49
	v_cndmask_b32_e64 v38, v48, v38, s74
	v_min_u32_e32 v49, v48, v49
	v_cndmask_b32_e64 v39, v39, v48, s74
	v_lshl_add_u32 v49, v49, 1, v176
	ds_read_u16 v49, v49
	s_waitcnt lgkmcnt(0)
	v_cndmask_b32_e64 v80, v49, v81, s74
	v_cndmask_b32_e64 v196, v195, v49, s74
	v_cmpx_lt_u32_e64 v38, v178
	s_cbranch_execz .LBB240_2214
; %bb.2211:
	s_mov_b32 s77, 0
	s_mov_b32 s75, exec_lo
	v_cmpx_lt_u32_e64 v39, v179
; %bb.2212:
	v_mov_b32_e32 v48, 0xcccd
	v_mul_u32_u24_sdwa v49, v80, v48 dst_sel:DWORD dst_unused:UNUSED_PAD src0_sel:WORD_0 src1_sel:DWORD
	v_mul_u32_u24_sdwa v48, v196, v48 dst_sel:DWORD dst_unused:UNUSED_PAD src0_sel:WORD_0 src1_sel:DWORD
	v_lshrrev_b32_e32 v49, 19, v49
	v_lshrrev_b32_e32 v48, 19, v48
	v_cmp_ge_u16_e64 s8, v49, v48
	s_and_b32 s77, s8, exec_lo
; %bb.2213:
	s_or_b32 exec_lo, exec_lo, s75
	s_orn2_b32 s75, s77, exec_lo
.LBB240_2214:
	s_or_b32 exec_lo, exec_lo, s76
	v_cndmask_b32_e64 v48, v38, v39, s75
	v_cndmask_b32_e64 v49, v178, v179, s75
	s_mov_b32 s77, -1
	s_mov_b32 s76, -1
	s_mov_b32 s78, exec_lo
	v_add_nc_u32_e32 v48, 1, v48
	v_add_nc_u32_e32 v49, -1, v49
	v_cndmask_b32_e64 v38, v48, v38, s75
	v_min_u32_e32 v49, v48, v49
	v_cndmask_b32_e64 v39, v39, v48, s75
	v_lshl_add_u32 v49, v49, 1, v176
	ds_read_u16 v49, v49
	s_waitcnt lgkmcnt(0)
	v_cndmask_b32_e64 v71, v49, v80, s75
	v_cndmask_b32_e64 v197, v196, v49, s75
	v_cmpx_lt_u32_e64 v38, v178
	s_cbranch_execz .LBB240_2218
; %bb.2215:
	s_mov_b32 s79, 0
	s_mov_b32 s76, exec_lo
	v_cmpx_lt_u32_e64 v39, v179
; %bb.2216:
	v_mov_b32_e32 v48, 0xcccd
	v_mul_u32_u24_sdwa v49, v71, v48 dst_sel:DWORD dst_unused:UNUSED_PAD src0_sel:WORD_0 src1_sel:DWORD
	v_mul_u32_u24_sdwa v48, v197, v48 dst_sel:DWORD dst_unused:UNUSED_PAD src0_sel:WORD_0 src1_sel:DWORD
	v_lshrrev_b32_e32 v49, 19, v49
	v_lshrrev_b32_e32 v48, 19, v48
	v_cmp_ge_u16_e64 s8, v49, v48
	s_and_b32 s79, s8, exec_lo
; %bb.2217:
	s_or_b32 exec_lo, exec_lo, s76
	s_orn2_b32 s76, s79, exec_lo
.LBB240_2218:
	s_or_b32 exec_lo, exec_lo, s78
	v_cndmask_b32_e64 v48, v38, v39, s76
	v_cndmask_b32_e64 v49, v178, v179, s76
	s_mov_b32 s78, exec_lo
	v_add_nc_u32_e32 v48, 1, v48
	v_add_nc_u32_e32 v49, -1, v49
	v_cndmask_b32_e64 v38, v48, v38, s76
	v_min_u32_e32 v49, v48, v49
	v_cndmask_b32_e64 v39, v39, v48, s76
	v_lshl_add_u32 v49, v49, 1, v176
	ds_read_u16 v49, v49
	s_waitcnt lgkmcnt(0)
	v_cndmask_b32_e64 v70, v49, v71, s76
	v_cndmask_b32_e64 v198, v197, v49, s76
	v_cmpx_lt_u32_e64 v38, v178
	s_cbranch_execz .LBB240_2222
; %bb.2219:
	s_mov_b32 s79, 0
	s_mov_b32 s77, exec_lo
	v_cmpx_lt_u32_e64 v39, v179
; %bb.2220:
	v_mov_b32_e32 v48, 0xcccd
	v_mul_u32_u24_sdwa v49, v70, v48 dst_sel:DWORD dst_unused:UNUSED_PAD src0_sel:WORD_0 src1_sel:DWORD
	v_mul_u32_u24_sdwa v48, v198, v48 dst_sel:DWORD dst_unused:UNUSED_PAD src0_sel:WORD_0 src1_sel:DWORD
	v_lshrrev_b32_e32 v49, 19, v49
	v_lshrrev_b32_e32 v48, 19, v48
	v_cmp_ge_u16_e64 s8, v49, v48
	s_and_b32 s79, s8, exec_lo
; %bb.2221:
	s_or_b32 exec_lo, exec_lo, s77
	s_orn2_b32 s77, s79, exec_lo
.LBB240_2222:
	s_or_b32 exec_lo, exec_lo, s78
	v_cndmask_b32_e64 v48, v38, v39, s77
	v_cndmask_b32_e64 v49, v178, v179, s77
	s_mov_b32 s79, -1
	s_mov_b32 s78, -1
	s_mov_b32 s88, exec_lo
	v_add_nc_u32_e32 v48, 1, v48
	v_add_nc_u32_e32 v49, -1, v49
	v_cndmask_b32_e64 v38, v48, v38, s77
	v_min_u32_e32 v49, v48, v49
	v_cndmask_b32_e64 v39, v39, v48, s77
	v_lshl_add_u32 v49, v49, 1, v176
	ds_read_u16 v49, v49
	s_waitcnt lgkmcnt(0)
	v_cndmask_b32_e64 v69, v49, v70, s77
	v_cndmask_b32_e64 v199, v198, v49, s77
	v_cmpx_lt_u32_e64 v38, v178
	s_cbranch_execz .LBB240_2226
; %bb.2223:
	s_mov_b32 s89, 0
	s_mov_b32 s78, exec_lo
	v_cmpx_lt_u32_e64 v39, v179
; %bb.2224:
	v_mov_b32_e32 v48, 0xcccd
	v_mul_u32_u24_sdwa v49, v69, v48 dst_sel:DWORD dst_unused:UNUSED_PAD src0_sel:WORD_0 src1_sel:DWORD
	v_mul_u32_u24_sdwa v48, v199, v48 dst_sel:DWORD dst_unused:UNUSED_PAD src0_sel:WORD_0 src1_sel:DWORD
	v_lshrrev_b32_e32 v49, 19, v49
	v_lshrrev_b32_e32 v48, 19, v48
	v_cmp_ge_u16_e64 s8, v49, v48
	s_and_b32 s89, s8, exec_lo
; %bb.2225:
	s_or_b32 exec_lo, exec_lo, s78
	s_orn2_b32 s78, s89, exec_lo
.LBB240_2226:
	s_or_b32 exec_lo, exec_lo, s88
	v_cndmask_b32_e64 v48, v38, v39, s78
	v_cndmask_b32_e64 v49, v178, v179, s78
	s_mov_b32 s88, exec_lo
	v_add_nc_u32_e32 v48, 1, v48
	v_add_nc_u32_e32 v49, -1, v49
	v_cndmask_b32_e64 v38, v48, v38, s78
	v_min_u32_e32 v49, v48, v49
	v_cndmask_b32_e64 v39, v39, v48, s78
	v_lshl_add_u32 v49, v49, 1, v176
	ds_read_u16 v49, v49
	s_waitcnt lgkmcnt(0)
	v_cndmask_b32_e64 v68, v49, v69, s78
	v_cndmask_b32_e64 v208, v199, v49, s78
	v_cmpx_lt_u32_e64 v38, v178
	s_cbranch_execz .LBB240_2230
; %bb.2227:
	s_mov_b32 s89, 0
	s_mov_b32 s79, exec_lo
	v_cmpx_lt_u32_e64 v39, v179
; %bb.2228:
	v_mov_b32_e32 v48, 0xcccd
	v_mul_u32_u24_sdwa v49, v68, v48 dst_sel:DWORD dst_unused:UNUSED_PAD src0_sel:WORD_0 src1_sel:DWORD
	v_mul_u32_u24_sdwa v48, v208, v48 dst_sel:DWORD dst_unused:UNUSED_PAD src0_sel:WORD_0 src1_sel:DWORD
	v_lshrrev_b32_e32 v49, 19, v49
	v_lshrrev_b32_e32 v48, 19, v48
	v_cmp_ge_u16_e64 s8, v49, v48
	s_and_b32 s89, s8, exec_lo
; %bb.2229:
	s_or_b32 exec_lo, exec_lo, s79
	s_orn2_b32 s79, s89, exec_lo
.LBB240_2230:
	s_or_b32 exec_lo, exec_lo, s88
	v_cndmask_b32_e64 v48, v38, v39, s79
	v_cndmask_b32_e64 v49, v178, v179, s79
	s_mov_b32 s89, -1
	s_mov_b32 s88, -1
	s_mov_b32 s90, exec_lo
	v_add_nc_u32_e32 v48, 1, v48
	v_add_nc_u32_e32 v49, -1, v49
	v_cndmask_b32_e64 v38, v48, v38, s79
	v_min_u32_e32 v49, v48, v49
	v_cndmask_b32_e64 v39, v39, v48, s79
	v_lshl_add_u32 v49, v49, 1, v176
	ds_read_u16 v49, v49
	s_waitcnt lgkmcnt(0)
	v_cndmask_b32_e64 v67, v49, v68, s79
	v_cndmask_b32_e64 v209, v208, v49, s79
	v_cmpx_lt_u32_e64 v38, v178
	s_cbranch_execz .LBB240_2234
; %bb.2231:
	s_mov_b32 s91, 0
	s_mov_b32 s88, exec_lo
	v_cmpx_lt_u32_e64 v39, v179
; %bb.2232:
	v_mov_b32_e32 v48, 0xcccd
	v_mul_u32_u24_sdwa v49, v67, v48 dst_sel:DWORD dst_unused:UNUSED_PAD src0_sel:WORD_0 src1_sel:DWORD
	v_mul_u32_u24_sdwa v48, v209, v48 dst_sel:DWORD dst_unused:UNUSED_PAD src0_sel:WORD_0 src1_sel:DWORD
	v_lshrrev_b32_e32 v49, 19, v49
	v_lshrrev_b32_e32 v48, 19, v48
	v_cmp_ge_u16_e64 s8, v49, v48
	s_and_b32 s91, s8, exec_lo
; %bb.2233:
	s_or_b32 exec_lo, exec_lo, s88
	s_orn2_b32 s88, s91, exec_lo
.LBB240_2234:
	s_or_b32 exec_lo, exec_lo, s90
	v_cndmask_b32_e64 v48, v38, v39, s88
	v_cndmask_b32_e64 v49, v178, v179, s88
	s_mov_b32 s90, exec_lo
	v_add_nc_u32_e32 v48, 1, v48
	v_add_nc_u32_e32 v49, -1, v49
	v_cndmask_b32_e64 v38, v48, v38, s88
	v_min_u32_e32 v49, v48, v49
	v_cndmask_b32_e64 v39, v39, v48, s88
	v_lshl_add_u32 v49, v49, 1, v176
	ds_read_u16 v49, v49
	s_waitcnt lgkmcnt(0)
	v_cndmask_b32_e64 v66, v49, v67, s88
	v_cndmask_b32_e64 v210, v209, v49, s88
	v_cmpx_lt_u32_e64 v38, v178
	s_cbranch_execz .LBB240_2238
; %bb.2235:
	s_mov_b32 s91, 0
	s_mov_b32 s89, exec_lo
	v_cmpx_lt_u32_e64 v39, v179
; %bb.2236:
	v_mov_b32_e32 v48, 0xcccd
	v_mul_u32_u24_sdwa v49, v66, v48 dst_sel:DWORD dst_unused:UNUSED_PAD src0_sel:WORD_0 src1_sel:DWORD
	v_mul_u32_u24_sdwa v48, v210, v48 dst_sel:DWORD dst_unused:UNUSED_PAD src0_sel:WORD_0 src1_sel:DWORD
	v_lshrrev_b32_e32 v49, 19, v49
	v_lshrrev_b32_e32 v48, 19, v48
	v_cmp_ge_u16_e64 s8, v49, v48
	s_and_b32 s91, s8, exec_lo
; %bb.2237:
	s_or_b32 exec_lo, exec_lo, s89
	s_orn2_b32 s89, s91, exec_lo
.LBB240_2238:
	s_or_b32 exec_lo, exec_lo, s90
	v_cndmask_b32_e64 v48, v38, v39, s89
	v_cndmask_b32_e64 v49, v178, v179, s89
	s_mov_b32 s91, -1
	s_mov_b32 s90, -1
	s_mov_b32 s92, exec_lo
	v_add_nc_u32_e32 v48, 1, v48
	v_add_nc_u32_e32 v49, -1, v49
	v_cndmask_b32_e64 v38, v48, v38, s89
	v_min_u32_e32 v49, v48, v49
	v_cndmask_b32_e64 v39, v39, v48, s89
	v_lshl_add_u32 v49, v49, 1, v176
	ds_read_u16 v49, v49
	s_waitcnt lgkmcnt(0)
	v_cndmask_b32_e64 v65, v49, v66, s89
	v_cndmask_b32_e64 v211, v210, v49, s89
	v_cmpx_lt_u32_e64 v38, v178
	s_cbranch_execz .LBB240_2242
; %bb.2239:
	s_mov_b32 s93, 0
	s_mov_b32 s90, exec_lo
	v_cmpx_lt_u32_e64 v39, v179
; %bb.2240:
	v_mov_b32_e32 v48, 0xcccd
	v_mul_u32_u24_sdwa v49, v65, v48 dst_sel:DWORD dst_unused:UNUSED_PAD src0_sel:WORD_0 src1_sel:DWORD
	v_mul_u32_u24_sdwa v48, v211, v48 dst_sel:DWORD dst_unused:UNUSED_PAD src0_sel:WORD_0 src1_sel:DWORD
	v_lshrrev_b32_e32 v49, 19, v49
	v_lshrrev_b32_e32 v48, 19, v48
	v_cmp_ge_u16_e64 s8, v49, v48
	s_and_b32 s93, s8, exec_lo
; %bb.2241:
	s_or_b32 exec_lo, exec_lo, s90
	s_orn2_b32 s90, s93, exec_lo
.LBB240_2242:
	s_or_b32 exec_lo, exec_lo, s92
	v_cndmask_b32_e64 v48, v38, v39, s90
	v_cndmask_b32_e64 v49, v178, v179, s90
	s_mov_b32 s92, exec_lo
	v_add_nc_u32_e32 v48, 1, v48
	v_add_nc_u32_e32 v49, -1, v49
	v_cndmask_b32_e64 v38, v48, v38, s90
	v_min_u32_e32 v49, v48, v49
	v_cndmask_b32_e64 v39, v39, v48, s90
	v_lshl_add_u32 v49, v49, 1, v176
	ds_read_u16 v49, v49
	s_waitcnt lgkmcnt(0)
	v_cndmask_b32_e64 v64, v49, v65, s90
	v_cndmask_b32_e64 v212, v211, v49, s90
	v_cmpx_lt_u32_e64 v38, v178
	s_cbranch_execz .LBB240_2246
; %bb.2243:
	s_mov_b32 s93, 0
	s_mov_b32 s91, exec_lo
	v_cmpx_lt_u32_e64 v39, v179
; %bb.2244:
	v_mov_b32_e32 v48, 0xcccd
	v_mul_u32_u24_sdwa v49, v64, v48 dst_sel:DWORD dst_unused:UNUSED_PAD src0_sel:WORD_0 src1_sel:DWORD
	v_mul_u32_u24_sdwa v48, v212, v48 dst_sel:DWORD dst_unused:UNUSED_PAD src0_sel:WORD_0 src1_sel:DWORD
	v_lshrrev_b32_e32 v49, 19, v49
	v_lshrrev_b32_e32 v48, 19, v48
	v_cmp_ge_u16_e64 s8, v49, v48
	s_and_b32 s93, s8, exec_lo
; %bb.2245:
	s_or_b32 exec_lo, exec_lo, s91
	s_orn2_b32 s91, s93, exec_lo
.LBB240_2246:
	s_or_b32 exec_lo, exec_lo, s92
	v_cndmask_b32_e64 v48, v38, v39, s91
	v_cndmask_b32_e64 v49, v178, v179, s91
	s_mov_b32 s93, -1
	s_mov_b32 s92, -1
	s_mov_b32 s94, exec_lo
	v_add_nc_u32_e32 v48, 1, v48
	v_add_nc_u32_e32 v49, -1, v49
	v_cndmask_b32_e64 v38, v48, v38, s91
	v_min_u32_e32 v49, v48, v49
	v_cndmask_b32_e64 v39, v39, v48, s91
	v_lshl_add_u32 v49, v49, 1, v176
	ds_read_u16 v49, v49
	s_waitcnt lgkmcnt(0)
	v_cndmask_b32_e64 v55, v49, v64, s91
	v_cndmask_b32_e64 v213, v212, v49, s91
	v_cmpx_lt_u32_e64 v38, v178
	s_cbranch_execz .LBB240_2250
; %bb.2247:
	s_mov_b32 s95, 0
	s_mov_b32 s92, exec_lo
	v_cmpx_lt_u32_e64 v39, v179
; %bb.2248:
	v_mov_b32_e32 v48, 0xcccd
	v_mul_u32_u24_sdwa v49, v55, v48 dst_sel:DWORD dst_unused:UNUSED_PAD src0_sel:WORD_0 src1_sel:DWORD
	v_mul_u32_u24_sdwa v48, v213, v48 dst_sel:DWORD dst_unused:UNUSED_PAD src0_sel:WORD_0 src1_sel:DWORD
	v_lshrrev_b32_e32 v49, 19, v49
	v_lshrrev_b32_e32 v48, 19, v48
	v_cmp_ge_u16_e64 s8, v49, v48
	s_and_b32 s95, s8, exec_lo
; %bb.2249:
	s_or_b32 exec_lo, exec_lo, s92
	s_orn2_b32 s92, s95, exec_lo
.LBB240_2250:
	s_or_b32 exec_lo, exec_lo, s94
	v_cndmask_b32_e64 v48, v38, v39, s92
	v_cndmask_b32_e64 v49, v178, v179, s92
	s_mov_b32 s94, exec_lo
	v_add_nc_u32_e32 v48, 1, v48
	v_add_nc_u32_e32 v49, -1, v49
	v_cndmask_b32_e64 v38, v48, v38, s92
	v_min_u32_e32 v49, v48, v49
	v_cndmask_b32_e64 v39, v39, v48, s92
	v_lshl_add_u32 v49, v49, 1, v176
	ds_read_u16 v49, v49
	s_waitcnt lgkmcnt(0)
	v_cndmask_b32_e64 v53, v49, v55, s92
	v_cndmask_b32_e64 v214, v213, v49, s92
	v_cmpx_lt_u32_e64 v38, v178
	s_cbranch_execz .LBB240_2254
; %bb.2251:
	s_mov_b32 s95, 0
	s_mov_b32 s93, exec_lo
	v_cmpx_lt_u32_e64 v39, v179
; %bb.2252:
	v_mov_b32_e32 v48, 0xcccd
	v_mul_u32_u24_sdwa v49, v53, v48 dst_sel:DWORD dst_unused:UNUSED_PAD src0_sel:WORD_0 src1_sel:DWORD
	v_mul_u32_u24_sdwa v48, v214, v48 dst_sel:DWORD dst_unused:UNUSED_PAD src0_sel:WORD_0 src1_sel:DWORD
	v_lshrrev_b32_e32 v49, 19, v49
	v_lshrrev_b32_e32 v48, 19, v48
	v_cmp_ge_u16_e64 s8, v49, v48
	s_and_b32 s95, s8, exec_lo
; %bb.2253:
	s_or_b32 exec_lo, exec_lo, s93
	s_orn2_b32 s93, s95, exec_lo
.LBB240_2254:
	s_or_b32 exec_lo, exec_lo, s94
	v_cndmask_b32_e64 v48, v38, v39, s93
	v_cndmask_b32_e64 v49, v178, v179, s93
	s_mov_b32 s95, -1
	s_mov_b32 s94, -1
	s_mov_b32 vcc_hi, exec_lo
	v_add_nc_u32_e32 v48, 1, v48
	v_add_nc_u32_e32 v49, -1, v49
	v_cndmask_b32_e64 v38, v48, v38, s93
	v_min_u32_e32 v49, v48, v49
	v_cndmask_b32_e64 v39, v39, v48, s93
	v_lshl_add_u32 v49, v49, 1, v176
	ds_read_u16 v49, v49
	s_waitcnt lgkmcnt(0)
	v_cndmask_b32_e64 v52, v49, v53, s93
	v_cndmask_b32_e64 v215, v214, v49, s93
	v_cmpx_lt_u32_e64 v38, v178
	s_cbranch_execz .LBB240_2258
; %bb.2255:
	s_mov_b32 s30, 0
	s_mov_b32 s94, exec_lo
	v_cmpx_lt_u32_e64 v39, v179
; %bb.2256:
	v_mov_b32_e32 v48, 0xcccd
	v_mul_u32_u24_sdwa v49, v52, v48 dst_sel:DWORD dst_unused:UNUSED_PAD src0_sel:WORD_0 src1_sel:DWORD
	v_mul_u32_u24_sdwa v48, v215, v48 dst_sel:DWORD dst_unused:UNUSED_PAD src0_sel:WORD_0 src1_sel:DWORD
	v_lshrrev_b32_e32 v49, 19, v49
	v_lshrrev_b32_e32 v48, 19, v48
	v_cmp_ge_u16_e64 s8, v49, v48
	s_and_b32 s30, s8, exec_lo
; %bb.2257:
	s_or_b32 exec_lo, exec_lo, s94
	s_orn2_b32 s94, s30, exec_lo
.LBB240_2258:
	s_or_b32 exec_lo, exec_lo, vcc_hi
	v_cndmask_b32_e64 v48, v38, v39, s94
	v_cndmask_b32_e64 v49, v178, v179, s94
	s_mov_b32 vcc_hi, exec_lo
	v_add_nc_u32_e32 v48, 1, v48
	v_add_nc_u32_e32 v49, -1, v49
	v_cndmask_b32_e64 v38, v48, v38, s94
	v_min_u32_e32 v49, v48, v49
	v_cndmask_b32_e64 v39, v39, v48, s94
	v_lshl_add_u32 v49, v49, 1, v176
	ds_read_u16 v49, v49
	s_waitcnt lgkmcnt(0)
	v_cndmask_b32_e64 v51, v49, v52, s94
	v_cndmask_b32_e64 v224, v215, v49, s94
	v_cmpx_lt_u32_e64 v38, v178
	s_cbranch_execz .LBB240_2262
; %bb.2259:
	s_mov_b32 s30, 0
	s_mov_b32 s95, exec_lo
	v_cmpx_lt_u32_e64 v39, v179
; %bb.2260:
	v_mov_b32_e32 v48, 0xcccd
	v_mul_u32_u24_sdwa v49, v51, v48 dst_sel:DWORD dst_unused:UNUSED_PAD src0_sel:WORD_0 src1_sel:DWORD
	v_mul_u32_u24_sdwa v48, v224, v48 dst_sel:DWORD dst_unused:UNUSED_PAD src0_sel:WORD_0 src1_sel:DWORD
	v_lshrrev_b32_e32 v49, 19, v49
	v_lshrrev_b32_e32 v48, 19, v48
	v_cmp_ge_u16_e64 s8, v49, v48
	s_and_b32 s30, s8, exec_lo
; %bb.2261:
	s_or_b32 exec_lo, exec_lo, s95
	s_orn2_b32 s95, s30, exec_lo
.LBB240_2262:
	s_or_b32 exec_lo, exec_lo, vcc_hi
	v_cndmask_b32_e64 v48, v38, v39, s95
	v_cndmask_b32_e64 v49, v178, v179, s95
	s_mov_b32 s30, -1
	s_mov_b32 vcc_hi, -1
	s_mov_b32 s31, exec_lo
	v_add_nc_u32_e32 v48, 1, v48
	v_add_nc_u32_e32 v49, -1, v49
	v_cndmask_b32_e64 v38, v48, v38, s95
	v_min_u32_e32 v49, v48, v49
	v_cndmask_b32_e64 v39, v39, v48, s95
	v_lshl_add_u32 v49, v49, 1, v176
	ds_read_u16 v49, v49
	s_waitcnt lgkmcnt(0)
	v_cndmask_b32_e64 v54, v49, v51, s95
	v_cndmask_b32_e64 v225, v224, v49, s95
	v_cmpx_lt_u32_e64 v38, v178
	s_cbranch_execz .LBB240_2266
; %bb.2263:
	s_mov_b32 s34, 0
	s_mov_b32 vcc_hi, exec_lo
	v_cmpx_lt_u32_e64 v39, v179
; %bb.2264:
	v_mov_b32_e32 v48, 0xcccd
	v_mul_u32_u24_sdwa v49, v54, v48 dst_sel:DWORD dst_unused:UNUSED_PAD src0_sel:WORD_0 src1_sel:DWORD
	v_mul_u32_u24_sdwa v48, v225, v48 dst_sel:DWORD dst_unused:UNUSED_PAD src0_sel:WORD_0 src1_sel:DWORD
	v_lshrrev_b32_e32 v49, 19, v49
	v_lshrrev_b32_e32 v48, 19, v48
	v_cmp_ge_u16_e64 s8, v49, v48
	s_and_b32 s34, s8, exec_lo
; %bb.2265:
	s_or_b32 exec_lo, exec_lo, vcc_hi
	s_orn2_b32 vcc_hi, s34, exec_lo
.LBB240_2266:
	s_or_b32 exec_lo, exec_lo, s31
	v_cndmask_b32_e64 v48, v38, v39, vcc_hi
	v_cndmask_b32_e64 v49, v178, v179, vcc_hi
	s_mov_b32 s31, exec_lo
	v_add_nc_u32_e32 v48, 1, v48
	v_add_nc_u32_e32 v49, -1, v49
	v_cndmask_b32_e64 v38, v48, v38, vcc_hi
	v_min_u32_e32 v49, v48, v49
	v_cndmask_b32_e64 v39, v39, v48, vcc_hi
	v_lshl_add_u32 v49, v49, 1, v176
	ds_read_u16 v49, v49
	s_waitcnt lgkmcnt(0)
	v_cndmask_b32_e64 v50, v49, v54, vcc_hi
	v_cndmask_b32_e64 v226, v225, v49, vcc_hi
	v_cmpx_lt_u32_e64 v38, v178
	s_cbranch_execz .LBB240_2270
; %bb.2267:
	s_mov_b32 s34, 0
	s_mov_b32 s30, exec_lo
	v_cmpx_lt_u32_e64 v39, v179
; %bb.2268:
	v_mov_b32_e32 v48, 0xcccd
	v_mul_u32_u24_sdwa v49, v50, v48 dst_sel:DWORD dst_unused:UNUSED_PAD src0_sel:WORD_0 src1_sel:DWORD
	v_mul_u32_u24_sdwa v48, v226, v48 dst_sel:DWORD dst_unused:UNUSED_PAD src0_sel:WORD_0 src1_sel:DWORD
	v_lshrrev_b32_e32 v49, 19, v49
	v_lshrrev_b32_e32 v48, 19, v48
	v_cmp_ge_u16_e64 s8, v49, v48
	s_and_b32 s34, s8, exec_lo
; %bb.2269:
	s_or_b32 exec_lo, exec_lo, s30
	s_orn2_b32 s30, s34, exec_lo
.LBB240_2270:
	s_or_b32 exec_lo, exec_lo, s31
	v_cndmask_b32_e64 v48, v38, v39, s30
	v_cndmask_b32_e64 v49, v178, v179, s30
	s_mov_b32 s34, -1
	s_mov_b32 s31, -1
	s_mov_b32 s35, exec_lo
	v_add_nc_u32_e32 v48, 1, v48
	v_add_nc_u32_e32 v49, -1, v49
	v_cndmask_b32_e64 v38, v48, v38, s30
	v_min_u32_e32 v49, v48, v49
	v_cndmask_b32_e64 v39, v39, v48, s30
	v_lshl_add_u32 v49, v49, 1, v176
	ds_read_u16 v227, v49
	s_waitcnt lgkmcnt(0)
	v_cndmask_b32_e64 v49, v227, v50, s30
	v_cndmask_b32_e64 v227, v226, v227, s30
	v_cmpx_lt_u32_e64 v38, v178
	s_cbranch_execz .LBB240_2274
; %bb.2271:
	s_mov_b32 s38, 0
	s_mov_b32 s31, exec_lo
	v_cmpx_lt_u32_e64 v39, v179
; %bb.2272:
	v_mov_b32_e32 v48, 0xcccd
	v_mul_u32_u24_sdwa v228, v49, v48 dst_sel:DWORD dst_unused:UNUSED_PAD src0_sel:WORD_0 src1_sel:DWORD
	v_mul_u32_u24_sdwa v48, v227, v48 dst_sel:DWORD dst_unused:UNUSED_PAD src0_sel:WORD_0 src1_sel:DWORD
	v_lshrrev_b32_e32 v228, 19, v228
	v_lshrrev_b32_e32 v48, 19, v48
	v_cmp_ge_u16_e64 s8, v228, v48
	s_and_b32 s38, s8, exec_lo
; %bb.2273:
	s_or_b32 exec_lo, exec_lo, s31
	s_orn2_b32 s31, s38, exec_lo
.LBB240_2274:
	s_or_b32 exec_lo, exec_lo, s35
	v_cndmask_b32_e64 v48, v38, v39, s31
	v_cndmask_b32_e64 v228, v178, v179, s31
	s_mov_b32 s35, exec_lo
	v_add_nc_u32_e32 v48, 1, v48
	v_add_nc_u32_e32 v228, -1, v228
	v_cndmask_b32_e64 v38, v48, v38, s31
	v_min_u32_e32 v228, v48, v228
	v_cndmask_b32_e64 v39, v39, v48, s31
	v_lshl_add_u32 v228, v228, 1, v176
	ds_read_u16 v228, v228
	s_waitcnt lgkmcnt(0)
	v_cndmask_b32_e64 v48, v228, v49, s31
	v_cndmask_b32_e64 v228, v227, v228, s31
	v_cmpx_lt_u32_e64 v38, v178
	s_cbranch_execz .LBB240_2278
; %bb.2275:
	s_mov_b32 s38, 0
	s_mov_b32 s34, exec_lo
	v_cmpx_lt_u32_e64 v39, v179
; %bb.2276:
	v_mov_b32_e32 v229, 0xcccd
	v_mul_u32_u24_sdwa v230, v48, v229 dst_sel:DWORD dst_unused:UNUSED_PAD src0_sel:WORD_0 src1_sel:DWORD
	v_mul_u32_u24_sdwa v229, v228, v229 dst_sel:DWORD dst_unused:UNUSED_PAD src0_sel:WORD_0 src1_sel:DWORD
	v_lshrrev_b32_e32 v230, 19, v230
	v_lshrrev_b32_e32 v229, 19, v229
	v_cmp_ge_u16_e64 s8, v230, v229
	s_and_b32 s38, s8, exec_lo
; %bb.2277:
	s_or_b32 exec_lo, exec_lo, s34
	s_orn2_b32 s34, s38, exec_lo
.LBB240_2278:
	s_or_b32 exec_lo, exec_lo, s35
	v_cndmask_b32_e64 v229, v38, v39, s34
	v_cndmask_b32_e64 v230, v178, v179, s34
	s_mov_b32 s35, -1
	s_mov_b32 s38, -1
	s_mov_b32 s39, exec_lo
	v_add_nc_u32_e32 v229, 1, v229
	v_add_nc_u32_e32 v230, -1, v230
	v_cndmask_b32_e64 v38, v229, v38, s34
	v_min_u32_e32 v230, v229, v230
	v_lshl_add_u32 v230, v230, 1, v176
	ds_read_u16 v231, v230
	v_cndmask_b32_e64 v230, v39, v229, s34
	s_waitcnt lgkmcnt(0)
	v_cndmask_b32_e64 v39, v231, v48, s34
	v_cndmask_b32_e64 v229, v228, v231, s34
	v_cmpx_lt_u32_e64 v38, v178
	s_cbranch_execz .LBB240_2282
; %bb.2279:
	s_mov_b32 s48, 0
	s_mov_b32 s38, exec_lo
	v_cmpx_lt_u32_e64 v230, v179
; %bb.2280:
	v_mov_b32_e32 v231, 0xcccd
	v_mul_u32_u24_sdwa v240, v39, v231 dst_sel:DWORD dst_unused:UNUSED_PAD src0_sel:WORD_0 src1_sel:DWORD
	v_mul_u32_u24_sdwa v231, v229, v231 dst_sel:DWORD dst_unused:UNUSED_PAD src0_sel:WORD_0 src1_sel:DWORD
	v_lshrrev_b32_e32 v240, 19, v240
	v_lshrrev_b32_e32 v231, 19, v231
	v_cmp_ge_u16_e64 s8, v240, v231
	s_and_b32 s48, s8, exec_lo
; %bb.2281:
	s_or_b32 exec_lo, exec_lo, s38
	s_orn2_b32 s38, s48, exec_lo
.LBB240_2282:
	s_or_b32 exec_lo, exec_lo, s39
	v_cndmask_b32_e64 v231, v38, v230, s38
	v_cndmask_b32_e64 v240, v178, v179, s38
	s_mov_b32 s39, exec_lo
	v_add_nc_u32_e32 v231, 1, v231
	v_add_nc_u32_e32 v240, -1, v240
	v_cndmask_b32_e64 v38, v231, v38, s38
	v_min_u32_e32 v240, v231, v240
	v_lshl_add_u32 v240, v240, 1, v176
	ds_read_u16 v241, v240
	v_cndmask_b32_e64 v240, v230, v231, s38
	s_waitcnt lgkmcnt(0)
	v_cndmask_b32_e64 v230, v241, v39, s38
	v_cndmask_b32_e64 v231, v229, v241, s38
	v_cmpx_lt_u32_e64 v38, v178
	s_cbranch_execz .LBB240_2286
; %bb.2283:
	s_mov_b32 s48, 0
	s_mov_b32 s35, exec_lo
	v_cmpx_lt_u32_e64 v240, v179
; %bb.2284:
	v_mov_b32_e32 v241, 0xcccd
	v_mul_u32_u24_sdwa v242, v230, v241 dst_sel:DWORD dst_unused:UNUSED_PAD src0_sel:WORD_0 src1_sel:DWORD
	v_mul_u32_u24_sdwa v241, v231, v241 dst_sel:DWORD dst_unused:UNUSED_PAD src0_sel:WORD_0 src1_sel:DWORD
	v_lshrrev_b32_e32 v242, 19, v242
	v_lshrrev_b32_e32 v241, 19, v241
	v_cmp_ge_u16_e64 s8, v242, v241
	s_and_b32 s48, s8, exec_lo
; %bb.2285:
	s_or_b32 exec_lo, exec_lo, s35
	s_orn2_b32 s35, s48, exec_lo
.LBB240_2286:
	s_or_b32 exec_lo, exec_lo, s39
	v_cndmask_b32_e64 v241, v38, v240, s35
	v_cndmask_b32_e64 v242, v178, v179, s35
	s_mov_b32 s39, exec_lo
	v_add_nc_u32_e32 v241, 1, v241
	v_add_nc_u32_e32 v242, -1, v242
	v_min_u32_e32 v242, v241, v242
	v_lshl_add_u32 v176, v242, 1, v176
	v_cndmask_b32_e64 v242, v241, v38, s35
	ds_read_u16 v176, v176
	s_waitcnt lgkmcnt(0)
	v_cndmask_b32_e64 v38, v231, v176, s35
	v_cmpx_lt_u32_e64 v242, v178
	s_cbranch_execz .LBB240_2290
; %bb.2287:
	v_cndmask_b32_e64 v178, v240, v241, s35
	v_cndmask_b32_e64 v176, v176, v230, s35
	s_mov_b32 s48, exec_lo
	v_cmpx_lt_u32_e64 v178, v179
	s_cbranch_execz .LBB240_2289
; %bb.2288:
	v_mov_b32_e32 v178, 0xcccd
	v_mul_u32_u24_sdwa v179, v176, v178 dst_sel:DWORD dst_unused:UNUSED_PAD src0_sel:WORD_0 src1_sel:DWORD
	v_mul_u32_u24_sdwa v178, v38, v178 dst_sel:DWORD dst_unused:UNUSED_PAD src0_sel:WORD_0 src1_sel:DWORD
	v_lshrrev_b32_e32 v179, 19, v179
	v_lshrrev_b32_e32 v178, 19, v178
	v_cmp_lt_u16_e64 s8, v179, v178
	v_cndmask_b32_e64 v176, v38, v176, s8
.LBB240_2289:
	s_or_b32 exec_lo, exec_lo, s48
	v_mov_b32_e32 v38, v176
.LBB240_2290:
	s_or_b32 exec_lo, exec_lo, s39
	v_cndmask_b32_e64 v39, v39, v229, s38
	v_cndmask_b32_e64 v48, v48, v228, s34
	;; [unrolled: 1-line block ×4, first 2 shown]
	v_cndmask_b32_e64 v54, v54, v225, vcc_hi
	v_cndmask_b32_e64 v51, v51, v224, s95
	v_cndmask_b32_e64 v52, v52, v215, s94
	;; [unrolled: 1-line block ×26, first 2 shown]
.LBB240_2291:
	s_or_b32 exec_lo, exec_lo, s12
	s_movk_i32 s13, 0x200
	s_mov_b32 s12, exec_lo
	; wave barrier
	s_waitcnt lgkmcnt(0)
	s_barrier
	buffer_gl0_inv
	v_cmpx_lt_u32_e32 0x200, v0
	s_cbranch_execz .LBB240_2431
; %bb.2292:
	v_lshlrev_b32_e32 v176, 1, v9
	v_mov_b32_e32 v2, 0
	v_mov_b32_e32 v240, 0xcccd
	s_mov_b32 s57, 0
	v_add_nc_u32_e32 v177, 2, v176
	v_add_nc_u32_e32 v178, 4, v176
	;; [unrolled: 1-line block ×31, first 2 shown]
	s_branch .LBB240_2296
.LBB240_2293:                           ;   in Loop: Header=BB240_2296 Depth=1
	s_or_b32 exec_lo, exec_lo, s51
	v_mov_b32_e32 v38, v241
.LBB240_2294:                           ;   in Loop: Header=BB240_2296 Depth=1
	s_or_b32 exec_lo, exec_lo, s50
	v_cndmask_b32_e64 v39, v39, v78, s49
	v_cndmask_b32_e64 v48, v48, v77, s39
	;; [unrolled: 1-line block ×7, first 2 shown]
	v_cndmask_b32_e64 v53, v53, v63, vcc_hi
	v_cndmask_b32_e64 v55, v55, v62, s95
	v_cndmask_b32_e64 v64, v64, v61, s94
	;; [unrolled: 1-line block ×23, first 2 shown]
.LBB240_2295:                           ;   in Loop: Header=BB240_2296 Depth=1
	s_or_b32 exec_lo, exec_lo, s58
	v_cmp_ge_u32_e64 s8, s13, v0
	s_barrier
	buffer_gl0_inv
	s_or_b32 s57, s8, s57
	s_andn2_b32 exec_lo, exec_lo, s57
	s_cbranch_execz .LBB240_2430
.LBB240_2296:                           ; =>This Loop Header: Depth=1
                                        ;     Child Loop BB240_2298 Depth 2
	s_mov_b32 s8, s13
	s_lshl_b32 s13, s13, 1
	ds_write_b16 v176, v97
	ds_write_b16 v177, v100
	;; [unrolled: 1-line block ×4, first 2 shown]
	s_sub_i32 s9, 0, s13
	ds_write_b16 v180, v96
	v_and_b32_e32 v242, s9, v9
	s_mov_b32 s9, exec_lo
	ds_write_b16 v181, v87
	ds_write_b16 v182, v86
	;; [unrolled: 1-line block ×6, first 2 shown]
	v_add_nc_u32_e32 v1, s8, v242
	ds_write_b16 v195, v81
	ds_write_b16 v196, v80
	;; [unrolled: 1-line block ×10, first 2 shown]
	v_min_u32_e32 v1, v1, v0
	ds_write_b16 v213, v55
	ds_write_b16 v214, v53
	;; [unrolled: 1-line block ×11, first 2 shown]
	s_waitcnt lgkmcnt(0)
	v_add_nc_u32_e32 v241, s8, v1
	s_add_i32 s8, s13, -1
	v_sub_nc_u32_e32 v245, v1, v242
	v_and_b32_e32 v243, s8, v9
	s_barrier
	v_min_u32_e32 v241, v241, v0
	buffer_gl0_inv
	v_min_u32_e32 v243, v243, v0
	v_sub_nc_u32_e32 v244, v241, v1
	v_min_u32_e32 v245, v243, v245
	v_sub_nc_u32_e64 v244, v243, v244 clamp
	v_cmpx_lt_u32_e64 v244, v245
	s_cbranch_execz .LBB240_2300
; %bb.2297:                             ;   in Loop: Header=BB240_2296 Depth=1
	v_lshlrev_b64 v[40:41], 1, v[1:2]
	v_lshlrev_b32_e32 v246, 1, v242
	s_mov_b32 s58, 0
	v_add_co_u32 v247, null, 0, v40
	.p2align	6
.LBB240_2298:                           ;   Parent Loop BB240_2296 Depth=1
                                        ; =>  This Inner Loop Header: Depth=2
	v_add_nc_u32_e32 v40, v245, v244
	v_lshrrev_b32_e32 v41, 1, v40
	v_and_b32_e32 v40, -2, v40
	v_xad_u32 v42, v41, -1, v243
	v_add_nc_u32_e32 v40, v246, v40
	v_add_nc_u32_e32 v43, 1, v41
	v_lshl_add_u32 v42, v42, 1, v247
	ds_read_u16 v40, v40
	ds_read_u16 v42, v42
	s_waitcnt lgkmcnt(1)
	v_mul_u32_u24_e32 v40, 0xcccd, v40
	s_waitcnt lgkmcnt(0)
	v_mul_u32_u24_e32 v42, 0xcccd, v42
	v_lshrrev_b32_e32 v40, 19, v40
	v_lshrrev_b32_e32 v42, 19, v42
	v_cmp_lt_u16_e64 s8, v42, v40
	v_cndmask_b32_e64 v245, v245, v41, s8
	v_cndmask_b32_e64 v244, v43, v244, s8
	v_cmp_ge_u32_e64 s8, v244, v245
	s_or_b32 s58, s8, s58
	s_andn2_b32 exec_lo, exec_lo, s58
	s_cbranch_execnz .LBB240_2298
; %bb.2299:                             ;   in Loop: Header=BB240_2296 Depth=1
	s_or_b32 exec_lo, exec_lo, s58
.LBB240_2300:                           ;   in Loop: Header=BB240_2296 Depth=1
	s_or_b32 exec_lo, exec_lo, s9
	v_sub_nc_u32_e32 v243, v243, v244
	v_add_nc_u32_e32 v242, v244, v242
	v_add_nc_u32_e32 v243, v243, v1
	v_cmp_le_u32_e64 s8, v242, v1
	v_cmp_le_u32_e64 s9, v243, v241
	s_or_b32 s8, s8, s9
	s_and_saveexec_b32 s58, s8
	s_cbranch_execz .LBB240_2295
; %bb.2301:                             ;   in Loop: Header=BB240_2296 Depth=1
	v_cmp_ge_u32_e64 s8, v242, v1
	s_mov_b32 s59, exec_lo
                                        ; implicit-def: $vgpr97
	v_cmpx_lt_u32_e64 v242, v1
; %bb.2302:                             ;   in Loop: Header=BB240_2296 Depth=1
	v_lshlrev_b32_e32 v38, 1, v242
	ds_read_u16 v97, v38
; %bb.2303:                             ;   in Loop: Header=BB240_2296 Depth=1
	s_or_b32 exec_lo, exec_lo, s59
	v_cmp_ge_u32_e64 s59, v243, v241
	s_mov_b32 s60, exec_lo
                                        ; implicit-def: $vgpr101
	v_cmpx_lt_u32_e64 v243, v241
; %bb.2304:                             ;   in Loop: Header=BB240_2296 Depth=1
	v_lshlrev_b32_e32 v38, 1, v243
	ds_read_u16 v101, v38
; %bb.2305:                             ;   in Loop: Header=BB240_2296 Depth=1
	s_or_b32 exec_lo, exec_lo, s60
	s_nor_b32 s8, s8, s59
	s_and_saveexec_b32 s9, s8
	s_cbranch_execz .LBB240_2307
; %bb.2306:                             ;   in Loop: Header=BB240_2296 Depth=1
	s_waitcnt lgkmcnt(0)
	v_mul_u32_u24_sdwa v38, v101, v240 dst_sel:DWORD dst_unused:UNUSED_PAD src0_sel:WORD_0 src1_sel:DWORD
	v_mul_u32_u24_sdwa v39, v97, v240 dst_sel:DWORD dst_unused:UNUSED_PAD src0_sel:WORD_0 src1_sel:DWORD
	s_andn2_b32 s59, s59, exec_lo
	v_lshrrev_b32_e32 v38, 19, v38
	v_lshrrev_b32_e32 v39, 19, v39
	v_cmp_ge_u16_e64 s8, v38, v39
	s_and_b32 s8, s8, exec_lo
	s_or_b32 s59, s59, s8
.LBB240_2307:                           ;   in Loop: Header=BB240_2296 Depth=1
	s_or_b32 exec_lo, exec_lo, s9
	v_cndmask_b32_e64 v38, v243, v242, s59
	v_cndmask_b32_e64 v39, v241, v1, s59
	s_mov_b32 s60, -1
	s_mov_b32 s9, -1
	s_mov_b32 s61, exec_lo
	v_add_nc_u32_e32 v48, 1, v38
	v_add_nc_u32_e32 v38, -1, v39
	v_cndmask_b32_e64 v39, v242, v48, s59
	v_min_u32_e32 v38, v48, v38
	v_lshlrev_b32_e32 v38, 1, v38
	ds_read_u16 v49, v38
	v_cndmask_b32_e64 v38, v48, v243, s59
	s_waitcnt lgkmcnt(0)
	v_cndmask_b32_e64 v100, v49, v101, s59
	v_cndmask_b32_e64 v242, v97, v49, s59
	v_cmpx_lt_u32_e64 v38, v241
	s_cbranch_execz .LBB240_2311
; %bb.2308:                             ;   in Loop: Header=BB240_2296 Depth=1
	s_mov_b32 s62, 0
	s_mov_b32 s9, exec_lo
	v_cmpx_lt_u32_e64 v39, v1
; %bb.2309:                             ;   in Loop: Header=BB240_2296 Depth=1
	v_mul_u32_u24_sdwa v48, v100, v240 dst_sel:DWORD dst_unused:UNUSED_PAD src0_sel:WORD_0 src1_sel:DWORD
	v_mul_u32_u24_sdwa v49, v242, v240 dst_sel:DWORD dst_unused:UNUSED_PAD src0_sel:WORD_0 src1_sel:DWORD
	v_lshrrev_b32_e32 v48, 19, v48
	v_lshrrev_b32_e32 v49, 19, v49
	v_cmp_ge_u16_e64 s8, v48, v49
	s_and_b32 s62, s8, exec_lo
; %bb.2310:                             ;   in Loop: Header=BB240_2296 Depth=1
	s_or_b32 exec_lo, exec_lo, s9
	s_orn2_b32 s9, s62, exec_lo
.LBB240_2311:                           ;   in Loop: Header=BB240_2296 Depth=1
	s_or_b32 exec_lo, exec_lo, s61
	v_cndmask_b32_e64 v48, v38, v39, s9
	v_cndmask_b32_e64 v49, v241, v1, s9
	s_mov_b32 s61, exec_lo
	v_add_nc_u32_e32 v48, 1, v48
	v_add_nc_u32_e32 v49, -1, v49
	v_cndmask_b32_e64 v38, v48, v38, s9
	v_min_u32_e32 v49, v48, v49
	v_cndmask_b32_e64 v39, v39, v48, s9
	v_lshlrev_b32_e32 v49, 1, v49
	ds_read_u16 v49, v49
	s_waitcnt lgkmcnt(0)
	v_cndmask_b32_e64 v99, v49, v100, s9
	v_cndmask_b32_e64 v243, v242, v49, s9
	v_cmpx_lt_u32_e64 v38, v241
	s_cbranch_execz .LBB240_2315
; %bb.2312:                             ;   in Loop: Header=BB240_2296 Depth=1
	s_mov_b32 s62, 0
	s_mov_b32 s60, exec_lo
	v_cmpx_lt_u32_e64 v39, v1
; %bb.2313:                             ;   in Loop: Header=BB240_2296 Depth=1
	v_mul_u32_u24_sdwa v48, v99, v240 dst_sel:DWORD dst_unused:UNUSED_PAD src0_sel:WORD_0 src1_sel:DWORD
	v_mul_u32_u24_sdwa v49, v243, v240 dst_sel:DWORD dst_unused:UNUSED_PAD src0_sel:WORD_0 src1_sel:DWORD
	v_lshrrev_b32_e32 v48, 19, v48
	v_lshrrev_b32_e32 v49, 19, v49
	v_cmp_ge_u16_e64 s8, v48, v49
	s_and_b32 s62, s8, exec_lo
; %bb.2314:                             ;   in Loop: Header=BB240_2296 Depth=1
	s_or_b32 exec_lo, exec_lo, s60
	s_orn2_b32 s60, s62, exec_lo
.LBB240_2315:                           ;   in Loop: Header=BB240_2296 Depth=1
	s_or_b32 exec_lo, exec_lo, s61
	v_cndmask_b32_e64 v48, v38, v39, s60
	v_cndmask_b32_e64 v49, v241, v1, s60
	s_mov_b32 s62, -1
	s_mov_b32 s61, -1
	s_mov_b32 s63, exec_lo
	v_add_nc_u32_e32 v48, 1, v48
	v_add_nc_u32_e32 v49, -1, v49
	v_cndmask_b32_e64 v38, v48, v38, s60
	v_min_u32_e32 v49, v48, v49
	v_cndmask_b32_e64 v39, v39, v48, s60
	v_lshlrev_b32_e32 v49, 1, v49
	ds_read_u16 v49, v49
	s_waitcnt lgkmcnt(0)
	v_cndmask_b32_e64 v98, v49, v99, s60
	v_cndmask_b32_e64 v244, v243, v49, s60
	v_cmpx_lt_u32_e64 v38, v241
	s_cbranch_execz .LBB240_2319
; %bb.2316:                             ;   in Loop: Header=BB240_2296 Depth=1
	s_mov_b32 s72, 0
	s_mov_b32 s61, exec_lo
	v_cmpx_lt_u32_e64 v39, v1
; %bb.2317:                             ;   in Loop: Header=BB240_2296 Depth=1
	v_mul_u32_u24_sdwa v48, v98, v240 dst_sel:DWORD dst_unused:UNUSED_PAD src0_sel:WORD_0 src1_sel:DWORD
	v_mul_u32_u24_sdwa v49, v244, v240 dst_sel:DWORD dst_unused:UNUSED_PAD src0_sel:WORD_0 src1_sel:DWORD
	v_lshrrev_b32_e32 v48, 19, v48
	v_lshrrev_b32_e32 v49, 19, v49
	v_cmp_ge_u16_e64 s8, v48, v49
	s_and_b32 s72, s8, exec_lo
; %bb.2318:                             ;   in Loop: Header=BB240_2296 Depth=1
	s_or_b32 exec_lo, exec_lo, s61
	s_orn2_b32 s61, s72, exec_lo
.LBB240_2319:                           ;   in Loop: Header=BB240_2296 Depth=1
	s_or_b32 exec_lo, exec_lo, s63
	v_cndmask_b32_e64 v48, v38, v39, s61
	v_cndmask_b32_e64 v49, v241, v1, s61
	s_mov_b32 s63, exec_lo
	v_add_nc_u32_e32 v48, 1, v48
	v_add_nc_u32_e32 v49, -1, v49
	v_cndmask_b32_e64 v38, v48, v38, s61
	v_min_u32_e32 v49, v48, v49
	v_cndmask_b32_e64 v39, v39, v48, s61
	v_lshlrev_b32_e32 v49, 1, v49
	ds_read_u16 v49, v49
	s_waitcnt lgkmcnt(0)
	v_cndmask_b32_e64 v96, v49, v98, s61
	v_cndmask_b32_e64 v245, v244, v49, s61
	v_cmpx_lt_u32_e64 v38, v241
	s_cbranch_execz .LBB240_2323
; %bb.2320:                             ;   in Loop: Header=BB240_2296 Depth=1
	s_mov_b32 s72, 0
	s_mov_b32 s62, exec_lo
	v_cmpx_lt_u32_e64 v39, v1
; %bb.2321:                             ;   in Loop: Header=BB240_2296 Depth=1
	v_mul_u32_u24_sdwa v48, v96, v240 dst_sel:DWORD dst_unused:UNUSED_PAD src0_sel:WORD_0 src1_sel:DWORD
	v_mul_u32_u24_sdwa v49, v245, v240 dst_sel:DWORD dst_unused:UNUSED_PAD src0_sel:WORD_0 src1_sel:DWORD
	v_lshrrev_b32_e32 v48, 19, v48
	v_lshrrev_b32_e32 v49, 19, v49
	v_cmp_ge_u16_e64 s8, v48, v49
	s_and_b32 s72, s8, exec_lo
; %bb.2322:                             ;   in Loop: Header=BB240_2296 Depth=1
	s_or_b32 exec_lo, exec_lo, s62
	s_orn2_b32 s62, s72, exec_lo
.LBB240_2323:                           ;   in Loop: Header=BB240_2296 Depth=1
	s_or_b32 exec_lo, exec_lo, s63
	v_cndmask_b32_e64 v48, v38, v39, s62
	v_cndmask_b32_e64 v49, v241, v1, s62
	s_mov_b32 s72, -1
	s_mov_b32 s63, -1
	s_mov_b32 s73, exec_lo
	v_add_nc_u32_e32 v48, 1, v48
	v_add_nc_u32_e32 v49, -1, v49
	v_cndmask_b32_e64 v38, v48, v38, s62
	v_min_u32_e32 v49, v48, v49
	v_cndmask_b32_e64 v39, v39, v48, s62
	v_lshlrev_b32_e32 v49, 1, v49
	ds_read_u16 v49, v49
	;; [unrolled: 64-line block ×9, first 2 shown]
	s_waitcnt lgkmcnt(0)
	v_cndmask_b32_e64 v65, v49, v66, s92
	v_cndmask_b32_e64 v60, v59, v49, s92
	v_cmpx_lt_u32_e64 v38, v241
	s_cbranch_execz .LBB240_2383
; %bb.2380:                             ;   in Loop: Header=BB240_2296 Depth=1
	s_mov_b32 vcc_hi, 0
	s_mov_b32 s93, exec_lo
	v_cmpx_lt_u32_e64 v39, v1
; %bb.2381:                             ;   in Loop: Header=BB240_2296 Depth=1
	v_mul_u32_u24_sdwa v48, v65, v240 dst_sel:DWORD dst_unused:UNUSED_PAD src0_sel:WORD_0 src1_sel:DWORD
	v_mul_u32_u24_sdwa v49, v60, v240 dst_sel:DWORD dst_unused:UNUSED_PAD src0_sel:WORD_0 src1_sel:DWORD
	v_lshrrev_b32_e32 v48, 19, v48
	v_lshrrev_b32_e32 v49, 19, v49
	v_cmp_ge_u16_e64 s8, v48, v49
	s_and_b32 vcc_hi, s8, exec_lo
; %bb.2382:                             ;   in Loop: Header=BB240_2296 Depth=1
	s_or_b32 exec_lo, exec_lo, s93
	s_orn2_b32 s93, vcc_hi, exec_lo
.LBB240_2383:                           ;   in Loop: Header=BB240_2296 Depth=1
	s_or_b32 exec_lo, exec_lo, s95
	v_cndmask_b32_e64 v48, v38, v39, s93
	v_cndmask_b32_e64 v49, v241, v1, s93
	s_mov_b32 s95, exec_lo
	v_add_nc_u32_e32 v48, 1, v48
	v_add_nc_u32_e32 v49, -1, v49
	v_cndmask_b32_e64 v38, v48, v38, s93
	v_min_u32_e32 v49, v48, v49
	v_cndmask_b32_e64 v39, v39, v48, s93
	v_lshlrev_b32_e32 v49, 1, v49
	ds_read_u16 v49, v49
	s_waitcnt lgkmcnt(0)
	v_cndmask_b32_e64 v64, v49, v65, s93
	v_cndmask_b32_e64 v61, v60, v49, s93
	v_cmpx_lt_u32_e64 v38, v241
	s_cbranch_execz .LBB240_2387
; %bb.2384:                             ;   in Loop: Header=BB240_2296 Depth=1
	s_mov_b32 vcc_hi, 0
	s_mov_b32 s94, exec_lo
	v_cmpx_lt_u32_e64 v39, v1
; %bb.2385:                             ;   in Loop: Header=BB240_2296 Depth=1
	v_mul_u32_u24_sdwa v48, v64, v240 dst_sel:DWORD dst_unused:UNUSED_PAD src0_sel:WORD_0 src1_sel:DWORD
	v_mul_u32_u24_sdwa v49, v61, v240 dst_sel:DWORD dst_unused:UNUSED_PAD src0_sel:WORD_0 src1_sel:DWORD
	v_lshrrev_b32_e32 v48, 19, v48
	v_lshrrev_b32_e32 v49, 19, v49
	v_cmp_ge_u16_e64 s8, v48, v49
	s_and_b32 vcc_hi, s8, exec_lo
; %bb.2386:                             ;   in Loop: Header=BB240_2296 Depth=1
	s_or_b32 exec_lo, exec_lo, s94
	s_orn2_b32 s94, vcc_hi, exec_lo
.LBB240_2387:                           ;   in Loop: Header=BB240_2296 Depth=1
	s_or_b32 exec_lo, exec_lo, s95
	v_cndmask_b32_e64 v48, v38, v39, s94
	v_cndmask_b32_e64 v49, v241, v1, s94
	s_mov_b32 vcc_hi, -1
	s_mov_b32 s95, -1
	s_mov_b32 s30, exec_lo
	v_add_nc_u32_e32 v48, 1, v48
	v_add_nc_u32_e32 v49, -1, v49
	v_cndmask_b32_e64 v38, v48, v38, s94
	v_min_u32_e32 v49, v48, v49
	v_cndmask_b32_e64 v39, v39, v48, s94
	v_lshlrev_b32_e32 v49, 1, v49
	ds_read_u16 v49, v49
	s_waitcnt lgkmcnt(0)
	v_cndmask_b32_e64 v55, v49, v64, s94
	v_cndmask_b32_e64 v62, v61, v49, s94
	v_cmpx_lt_u32_e64 v38, v241
	s_cbranch_execz .LBB240_2391
; %bb.2388:                             ;   in Loop: Header=BB240_2296 Depth=1
	s_mov_b32 s31, 0
	s_mov_b32 s95, exec_lo
	v_cmpx_lt_u32_e64 v39, v1
; %bb.2389:                             ;   in Loop: Header=BB240_2296 Depth=1
	v_mul_u32_u24_sdwa v48, v55, v240 dst_sel:DWORD dst_unused:UNUSED_PAD src0_sel:WORD_0 src1_sel:DWORD
	v_mul_u32_u24_sdwa v49, v62, v240 dst_sel:DWORD dst_unused:UNUSED_PAD src0_sel:WORD_0 src1_sel:DWORD
	v_lshrrev_b32_e32 v48, 19, v48
	v_lshrrev_b32_e32 v49, 19, v49
	v_cmp_ge_u16_e64 s8, v48, v49
	s_and_b32 s31, s8, exec_lo
; %bb.2390:                             ;   in Loop: Header=BB240_2296 Depth=1
	s_or_b32 exec_lo, exec_lo, s95
	s_orn2_b32 s95, s31, exec_lo
.LBB240_2391:                           ;   in Loop: Header=BB240_2296 Depth=1
	s_or_b32 exec_lo, exec_lo, s30
	v_cndmask_b32_e64 v48, v38, v39, s95
	v_cndmask_b32_e64 v49, v241, v1, s95
	s_mov_b32 s30, exec_lo
	v_add_nc_u32_e32 v48, 1, v48
	v_add_nc_u32_e32 v49, -1, v49
	v_cndmask_b32_e64 v38, v48, v38, s95
	v_min_u32_e32 v49, v48, v49
	v_cndmask_b32_e64 v39, v39, v48, s95
	v_lshlrev_b32_e32 v49, 1, v49
	ds_read_u16 v49, v49
	s_waitcnt lgkmcnt(0)
	v_cndmask_b32_e64 v53, v49, v55, s95
	v_cndmask_b32_e64 v63, v62, v49, s95
	v_cmpx_lt_u32_e64 v38, v241
	s_cbranch_execz .LBB240_2395
; %bb.2392:                             ;   in Loop: Header=BB240_2296 Depth=1
	s_mov_b32 s31, 0
	s_mov_b32 vcc_hi, exec_lo
	v_cmpx_lt_u32_e64 v39, v1
; %bb.2393:                             ;   in Loop: Header=BB240_2296 Depth=1
	v_mul_u32_u24_sdwa v48, v53, v240 dst_sel:DWORD dst_unused:UNUSED_PAD src0_sel:WORD_0 src1_sel:DWORD
	v_mul_u32_u24_sdwa v49, v63, v240 dst_sel:DWORD dst_unused:UNUSED_PAD src0_sel:WORD_0 src1_sel:DWORD
	v_lshrrev_b32_e32 v48, 19, v48
	v_lshrrev_b32_e32 v49, 19, v49
	v_cmp_ge_u16_e64 s8, v48, v49
	s_and_b32 s31, s8, exec_lo
; %bb.2394:                             ;   in Loop: Header=BB240_2296 Depth=1
	s_or_b32 exec_lo, exec_lo, vcc_hi
	s_orn2_b32 vcc_hi, s31, exec_lo
.LBB240_2395:                           ;   in Loop: Header=BB240_2296 Depth=1
	s_or_b32 exec_lo, exec_lo, s30
	v_cndmask_b32_e64 v48, v38, v39, vcc_hi
	v_cndmask_b32_e64 v49, v241, v1, vcc_hi
	s_mov_b32 s31, -1
	s_mov_b32 s30, -1
	s_mov_b32 s34, exec_lo
	v_add_nc_u32_e32 v48, 1, v48
	v_add_nc_u32_e32 v49, -1, v49
	v_cndmask_b32_e64 v38, v48, v38, vcc_hi
	v_min_u32_e32 v49, v48, v49
	v_cndmask_b32_e64 v39, v39, v48, vcc_hi
	v_lshlrev_b32_e32 v49, 1, v49
	ds_read_u16 v49, v49
	s_waitcnt lgkmcnt(0)
	v_cndmask_b32_e64 v52, v49, v53, vcc_hi
	v_cndmask_b32_e64 v72, v63, v49, vcc_hi
	v_cmpx_lt_u32_e64 v38, v241
	s_cbranch_execz .LBB240_2399
; %bb.2396:                             ;   in Loop: Header=BB240_2296 Depth=1
	s_mov_b32 s35, 0
	s_mov_b32 s30, exec_lo
	v_cmpx_lt_u32_e64 v39, v1
; %bb.2397:                             ;   in Loop: Header=BB240_2296 Depth=1
	v_mul_u32_u24_sdwa v48, v52, v240 dst_sel:DWORD dst_unused:UNUSED_PAD src0_sel:WORD_0 src1_sel:DWORD
	v_mul_u32_u24_sdwa v49, v72, v240 dst_sel:DWORD dst_unused:UNUSED_PAD src0_sel:WORD_0 src1_sel:DWORD
	v_lshrrev_b32_e32 v48, 19, v48
	v_lshrrev_b32_e32 v49, 19, v49
	v_cmp_ge_u16_e64 s8, v48, v49
	s_and_b32 s35, s8, exec_lo
; %bb.2398:                             ;   in Loop: Header=BB240_2296 Depth=1
	s_or_b32 exec_lo, exec_lo, s30
	s_orn2_b32 s30, s35, exec_lo
.LBB240_2399:                           ;   in Loop: Header=BB240_2296 Depth=1
	s_or_b32 exec_lo, exec_lo, s34
	v_cndmask_b32_e64 v48, v38, v39, s30
	v_cndmask_b32_e64 v49, v241, v1, s30
	s_mov_b32 s34, exec_lo
	v_add_nc_u32_e32 v48, 1, v48
	v_add_nc_u32_e32 v49, -1, v49
	v_cndmask_b32_e64 v38, v48, v38, s30
	v_min_u32_e32 v49, v48, v49
	v_cndmask_b32_e64 v39, v39, v48, s30
	v_lshlrev_b32_e32 v49, 1, v49
	ds_read_u16 v49, v49
	s_waitcnt lgkmcnt(0)
	v_cndmask_b32_e64 v51, v49, v52, s30
	v_cndmask_b32_e64 v73, v72, v49, s30
	v_cmpx_lt_u32_e64 v38, v241
	s_cbranch_execz .LBB240_2403
; %bb.2400:                             ;   in Loop: Header=BB240_2296 Depth=1
	s_mov_b32 s35, 0
	s_mov_b32 s31, exec_lo
	v_cmpx_lt_u32_e64 v39, v1
; %bb.2401:                             ;   in Loop: Header=BB240_2296 Depth=1
	v_mul_u32_u24_sdwa v48, v51, v240 dst_sel:DWORD dst_unused:UNUSED_PAD src0_sel:WORD_0 src1_sel:DWORD
	v_mul_u32_u24_sdwa v49, v73, v240 dst_sel:DWORD dst_unused:UNUSED_PAD src0_sel:WORD_0 src1_sel:DWORD
	v_lshrrev_b32_e32 v48, 19, v48
	v_lshrrev_b32_e32 v49, 19, v49
	v_cmp_ge_u16_e64 s8, v48, v49
	s_and_b32 s35, s8, exec_lo
; %bb.2402:                             ;   in Loop: Header=BB240_2296 Depth=1
	s_or_b32 exec_lo, exec_lo, s31
	s_orn2_b32 s31, s35, exec_lo
.LBB240_2403:                           ;   in Loop: Header=BB240_2296 Depth=1
	s_or_b32 exec_lo, exec_lo, s34
	v_cndmask_b32_e64 v48, v38, v39, s31
	v_cndmask_b32_e64 v49, v241, v1, s31
	s_mov_b32 s35, -1
	s_mov_b32 s34, -1
	s_mov_b32 s38, exec_lo
	v_add_nc_u32_e32 v48, 1, v48
	v_add_nc_u32_e32 v49, -1, v49
	v_cndmask_b32_e64 v38, v48, v38, s31
	v_min_u32_e32 v49, v48, v49
	v_cndmask_b32_e64 v39, v39, v48, s31
	v_lshlrev_b32_e32 v49, 1, v49
	ds_read_u16 v49, v49
	s_waitcnt lgkmcnt(0)
	v_cndmask_b32_e64 v54, v49, v51, s31
	v_cndmask_b32_e64 v74, v73, v49, s31
	v_cmpx_lt_u32_e64 v38, v241
	s_cbranch_execz .LBB240_2407
; %bb.2404:                             ;   in Loop: Header=BB240_2296 Depth=1
	s_mov_b32 s39, 0
	s_mov_b32 s34, exec_lo
	v_cmpx_lt_u32_e64 v39, v1
; %bb.2405:                             ;   in Loop: Header=BB240_2296 Depth=1
	v_mul_u32_u24_sdwa v48, v54, v240 dst_sel:DWORD dst_unused:UNUSED_PAD src0_sel:WORD_0 src1_sel:DWORD
	v_mul_u32_u24_sdwa v49, v74, v240 dst_sel:DWORD dst_unused:UNUSED_PAD src0_sel:WORD_0 src1_sel:DWORD
	v_lshrrev_b32_e32 v48, 19, v48
	v_lshrrev_b32_e32 v49, 19, v49
	v_cmp_ge_u16_e64 s8, v48, v49
	s_and_b32 s39, s8, exec_lo
; %bb.2406:                             ;   in Loop: Header=BB240_2296 Depth=1
	s_or_b32 exec_lo, exec_lo, s34
	s_orn2_b32 s34, s39, exec_lo
.LBB240_2407:                           ;   in Loop: Header=BB240_2296 Depth=1
	s_or_b32 exec_lo, exec_lo, s38
	v_cndmask_b32_e64 v48, v38, v39, s34
	v_cndmask_b32_e64 v49, v241, v1, s34
	s_mov_b32 s38, exec_lo
	v_add_nc_u32_e32 v48, 1, v48
	v_add_nc_u32_e32 v49, -1, v49
	v_cndmask_b32_e64 v38, v48, v38, s34
	v_min_u32_e32 v49, v48, v49
	v_cndmask_b32_e64 v39, v39, v48, s34
	v_lshlrev_b32_e32 v49, 1, v49
	ds_read_u16 v49, v49
	s_waitcnt lgkmcnt(0)
	v_cndmask_b32_e64 v50, v49, v54, s34
	v_cndmask_b32_e64 v75, v74, v49, s34
	v_cmpx_lt_u32_e64 v38, v241
	s_cbranch_execz .LBB240_2411
; %bb.2408:                             ;   in Loop: Header=BB240_2296 Depth=1
	s_mov_b32 s39, 0
	s_mov_b32 s35, exec_lo
	v_cmpx_lt_u32_e64 v39, v1
; %bb.2409:                             ;   in Loop: Header=BB240_2296 Depth=1
	v_mul_u32_u24_sdwa v48, v50, v240 dst_sel:DWORD dst_unused:UNUSED_PAD src0_sel:WORD_0 src1_sel:DWORD
	v_mul_u32_u24_sdwa v49, v75, v240 dst_sel:DWORD dst_unused:UNUSED_PAD src0_sel:WORD_0 src1_sel:DWORD
	v_lshrrev_b32_e32 v48, 19, v48
	v_lshrrev_b32_e32 v49, 19, v49
	v_cmp_ge_u16_e64 s8, v48, v49
	s_and_b32 s39, s8, exec_lo
; %bb.2410:                             ;   in Loop: Header=BB240_2296 Depth=1
	s_or_b32 exec_lo, exec_lo, s35
	s_orn2_b32 s35, s39, exec_lo
.LBB240_2411:                           ;   in Loop: Header=BB240_2296 Depth=1
	s_or_b32 exec_lo, exec_lo, s38
	v_cndmask_b32_e64 v48, v38, v39, s35
	v_cndmask_b32_e64 v49, v241, v1, s35
	s_mov_b32 s39, -1
	s_mov_b32 s38, -1
	s_mov_b32 s48, exec_lo
	v_add_nc_u32_e32 v48, 1, v48
	v_add_nc_u32_e32 v49, -1, v49
	v_cndmask_b32_e64 v38, v48, v38, s35
	v_min_u32_e32 v49, v48, v49
	v_cndmask_b32_e64 v39, v39, v48, s35
	v_lshlrev_b32_e32 v49, 1, v49
	ds_read_u16 v76, v49
	s_waitcnt lgkmcnt(0)
	v_cndmask_b32_e64 v49, v76, v50, s35
	v_cndmask_b32_e64 v76, v75, v76, s35
	v_cmpx_lt_u32_e64 v38, v241
	s_cbranch_execz .LBB240_2415
; %bb.2412:                             ;   in Loop: Header=BB240_2296 Depth=1
	s_mov_b32 s49, 0
	s_mov_b32 s38, exec_lo
	v_cmpx_lt_u32_e64 v39, v1
; %bb.2413:                             ;   in Loop: Header=BB240_2296 Depth=1
	v_mul_u32_u24_sdwa v48, v49, v240 dst_sel:DWORD dst_unused:UNUSED_PAD src0_sel:WORD_0 src1_sel:DWORD
	v_mul_u32_u24_sdwa v77, v76, v240 dst_sel:DWORD dst_unused:UNUSED_PAD src0_sel:WORD_0 src1_sel:DWORD
	v_lshrrev_b32_e32 v48, 19, v48
	v_lshrrev_b32_e32 v77, 19, v77
	v_cmp_ge_u16_e64 s8, v48, v77
	s_and_b32 s49, s8, exec_lo
; %bb.2414:                             ;   in Loop: Header=BB240_2296 Depth=1
	s_or_b32 exec_lo, exec_lo, s38
	s_orn2_b32 s38, s49, exec_lo
.LBB240_2415:                           ;   in Loop: Header=BB240_2296 Depth=1
	s_or_b32 exec_lo, exec_lo, s48
	v_cndmask_b32_e64 v48, v38, v39, s38
	v_cndmask_b32_e64 v77, v241, v1, s38
	s_mov_b32 s48, exec_lo
	v_add_nc_u32_e32 v48, 1, v48
	v_add_nc_u32_e32 v77, -1, v77
	v_cndmask_b32_e64 v38, v48, v38, s38
	v_min_u32_e32 v77, v48, v77
	v_cndmask_b32_e64 v39, v39, v48, s38
	v_lshlrev_b32_e32 v77, 1, v77
	ds_read_u16 v77, v77
	s_waitcnt lgkmcnt(0)
	v_cndmask_b32_e64 v48, v77, v49, s38
	v_cndmask_b32_e64 v77, v76, v77, s38
	v_cmpx_lt_u32_e64 v38, v241
	s_cbranch_execz .LBB240_2419
; %bb.2416:                             ;   in Loop: Header=BB240_2296 Depth=1
	s_mov_b32 s49, 0
	s_mov_b32 s39, exec_lo
	v_cmpx_lt_u32_e64 v39, v1
; %bb.2417:                             ;   in Loop: Header=BB240_2296 Depth=1
	v_mul_u32_u24_sdwa v78, v48, v240 dst_sel:DWORD dst_unused:UNUSED_PAD src0_sel:WORD_0 src1_sel:DWORD
	v_mul_u32_u24_sdwa v79, v77, v240 dst_sel:DWORD dst_unused:UNUSED_PAD src0_sel:WORD_0 src1_sel:DWORD
	v_lshrrev_b32_e32 v78, 19, v78
	v_lshrrev_b32_e32 v79, 19, v79
	v_cmp_ge_u16_e64 s8, v78, v79
	s_and_b32 s49, s8, exec_lo
; %bb.2418:                             ;   in Loop: Header=BB240_2296 Depth=1
	s_or_b32 exec_lo, exec_lo, s39
	s_orn2_b32 s39, s49, exec_lo
.LBB240_2419:                           ;   in Loop: Header=BB240_2296 Depth=1
	s_or_b32 exec_lo, exec_lo, s48
	v_cndmask_b32_e64 v78, v38, v39, s39
	v_cndmask_b32_e64 v79, v241, v1, s39
	s_mov_b32 s48, -1
	s_mov_b32 s49, -1
	s_mov_b32 s50, exec_lo
	v_add_nc_u32_e32 v78, 1, v78
	v_add_nc_u32_e32 v79, -1, v79
	v_cndmask_b32_e64 v38, v78, v38, s39
	v_min_u32_e32 v79, v78, v79
	v_lshlrev_b32_e32 v79, 1, v79
	ds_read_u16 v88, v79
	v_cndmask_b32_e64 v79, v39, v78, s39
	s_waitcnt lgkmcnt(0)
	v_cndmask_b32_e64 v39, v88, v48, s39
	v_cndmask_b32_e64 v78, v77, v88, s39
	v_cmpx_lt_u32_e64 v38, v241
	s_cbranch_execz .LBB240_2423
; %bb.2420:                             ;   in Loop: Header=BB240_2296 Depth=1
	s_mov_b32 s51, 0
	s_mov_b32 s49, exec_lo
	v_cmpx_lt_u32_e64 v79, v1
; %bb.2421:                             ;   in Loop: Header=BB240_2296 Depth=1
	v_mul_u32_u24_sdwa v88, v39, v240 dst_sel:DWORD dst_unused:UNUSED_PAD src0_sel:WORD_0 src1_sel:DWORD
	v_mul_u32_u24_sdwa v89, v78, v240 dst_sel:DWORD dst_unused:UNUSED_PAD src0_sel:WORD_0 src1_sel:DWORD
	v_lshrrev_b32_e32 v88, 19, v88
	v_lshrrev_b32_e32 v89, 19, v89
	v_cmp_ge_u16_e64 s8, v88, v89
	s_and_b32 s51, s8, exec_lo
; %bb.2422:                             ;   in Loop: Header=BB240_2296 Depth=1
	s_or_b32 exec_lo, exec_lo, s49
	s_orn2_b32 s49, s51, exec_lo
.LBB240_2423:                           ;   in Loop: Header=BB240_2296 Depth=1
	s_or_b32 exec_lo, exec_lo, s50
	v_cndmask_b32_e64 v88, v38, v79, s49
	v_cndmask_b32_e64 v89, v241, v1, s49
	s_mov_b32 s50, exec_lo
	v_add_nc_u32_e32 v88, 1, v88
	v_add_nc_u32_e32 v89, -1, v89
	v_cndmask_b32_e64 v38, v88, v38, s49
	v_min_u32_e32 v89, v88, v89
	v_lshlrev_b32_e32 v89, 1, v89
	ds_read_u16 v90, v89
	v_cndmask_b32_e64 v89, v79, v88, s49
	s_waitcnt lgkmcnt(0)
	v_cndmask_b32_e64 v79, v90, v39, s49
	v_cndmask_b32_e64 v88, v78, v90, s49
	v_cmpx_lt_u32_e64 v38, v241
	s_cbranch_execz .LBB240_2427
; %bb.2424:                             ;   in Loop: Header=BB240_2296 Depth=1
	s_mov_b32 s51, 0
	s_mov_b32 s48, exec_lo
	v_cmpx_lt_u32_e64 v89, v1
; %bb.2425:                             ;   in Loop: Header=BB240_2296 Depth=1
	v_mul_u32_u24_sdwa v90, v79, v240 dst_sel:DWORD dst_unused:UNUSED_PAD src0_sel:WORD_0 src1_sel:DWORD
	v_mul_u32_u24_sdwa v91, v88, v240 dst_sel:DWORD dst_unused:UNUSED_PAD src0_sel:WORD_0 src1_sel:DWORD
	v_lshrrev_b32_e32 v90, 19, v90
	v_lshrrev_b32_e32 v91, 19, v91
	v_cmp_ge_u16_e64 s8, v90, v91
	s_and_b32 s51, s8, exec_lo
; %bb.2426:                             ;   in Loop: Header=BB240_2296 Depth=1
	s_or_b32 exec_lo, exec_lo, s48
	s_orn2_b32 s48, s51, exec_lo
.LBB240_2427:                           ;   in Loop: Header=BB240_2296 Depth=1
	s_or_b32 exec_lo, exec_lo, s50
	v_cndmask_b32_e64 v90, v38, v89, s48
	v_cndmask_b32_e64 v91, v241, v1, s48
	s_mov_b32 s50, exec_lo
	v_add_nc_u32_e32 v90, 1, v90
	v_add_nc_u32_e32 v91, -1, v91
	v_cndmask_b32_e64 v92, v90, v38, s48
	v_min_u32_e32 v91, v90, v91
	v_lshlrev_b32_e32 v91, 1, v91
	ds_read_u16 v91, v91
	s_waitcnt lgkmcnt(0)
	v_cndmask_b32_e64 v38, v88, v91, s48
	v_cmpx_lt_u32_e64 v92, v241
	s_cbranch_execz .LBB240_2294
; %bb.2428:                             ;   in Loop: Header=BB240_2296 Depth=1
	v_cndmask_b32_e64 v89, v89, v90, s48
	v_cndmask_b32_e64 v241, v91, v79, s48
	s_mov_b32 s51, exec_lo
	v_cmpx_lt_u32_e64 v89, v1
	s_cbranch_execz .LBB240_2293
; %bb.2429:                             ;   in Loop: Header=BB240_2296 Depth=1
	v_mul_u32_u24_sdwa v1, v241, v240 dst_sel:DWORD dst_unused:UNUSED_PAD src0_sel:WORD_0 src1_sel:DWORD
	v_mul_u32_u24_sdwa v89, v38, v240 dst_sel:DWORD dst_unused:UNUSED_PAD src0_sel:WORD_0 src1_sel:DWORD
	v_lshrrev_b32_e32 v1, 19, v1
	v_lshrrev_b32_e32 v89, 19, v89
	v_cmp_lt_u16_e64 s8, v1, v89
	v_cndmask_b32_e64 v241, v38, v241, s8
	s_branch .LBB240_2293
.LBB240_2430:
	s_or_b32 exec_lo, exec_lo, s57
.LBB240_2431:
	s_or_b32 exec_lo, exec_lo, s12
	s_barrier
	buffer_gl0_inv
	ds_write_b16 v37, v97
	ds_write_b16 v113, v100
	;; [unrolled: 1-line block ×32, first 2 shown]
	s_waitcnt lgkmcnt(0)
	s_barrier
	buffer_gl0_inv
	ds_read_u16 v69, v103
	ds_read_u16 v68, v112
	;; [unrolled: 1-line block ×31, first 2 shown]
	v_add_co_u32 v0, s8, v4, v8
	v_mov_b32_e32 v7, 0
	v_add_co_ci_u32_e64 v1, null, 0, v5, s8
	s_and_saveexec_b32 s8, vcc_lo
	s_cbranch_execz .LBB240_2464
; %bb.2432:
	ds_read_u16 v3, v3
	s_waitcnt lgkmcnt(0)
	flat_store_short v[0:1], v3
	s_or_b32 exec_lo, exec_lo, s8
	s_and_saveexec_b32 s8, s4
	s_cbranch_execnz .LBB240_2465
.LBB240_2433:
	s_or_b32 exec_lo, exec_lo, s8
	s_and_saveexec_b32 s4, s5
	s_cbranch_execz .LBB240_2466
.LBB240_2434:
	s_waitcnt lgkmcnt(29)
	flat_store_short v[0:1], v68 offset:1024
	s_or_b32 exec_lo, exec_lo, s4
	s_and_saveexec_b32 s4, s6
	s_cbranch_execnz .LBB240_2467
.LBB240_2435:
	s_or_b32 exec_lo, exec_lo, s4
	s_and_saveexec_b32 s4, s7
	s_cbranch_execz .LBB240_2468
.LBB240_2436:
	v_add_co_u32 v22, vcc_lo, 0x800, v0
	v_add_co_ci_u32_e64 v23, null, 0, v1, vcc_lo
	s_waitcnt lgkmcnt(27)
	flat_store_short v[22:23], v66
	s_or_b32 exec_lo, exec_lo, s4
	s_and_saveexec_b32 s4, s10
	s_cbranch_execnz .LBB240_2469
.LBB240_2437:
	s_or_b32 exec_lo, exec_lo, s4
	s_and_saveexec_b32 s4, s11
	s_cbranch_execz .LBB240_2470
.LBB240_2438:
	v_add_co_u32 v22, vcc_lo, 0x800, v0
	v_add_co_ci_u32_e64 v23, null, 0, v1, vcc_lo
	s_waitcnt lgkmcnt(25)
	flat_store_short v[22:23], v64 offset:1024
	s_or_b32 exec_lo, exec_lo, s4
	s_and_saveexec_b32 s4, s47
	s_cbranch_execnz .LBB240_2471
.LBB240_2439:
	s_or_b32 exec_lo, exec_lo, s4
	s_and_saveexec_b32 s4, s56
	s_cbranch_execz .LBB240_2472
.LBB240_2440:
	v_add_co_u32 v22, vcc_lo, 0x1000, v0
	v_add_co_ci_u32_e64 v23, null, 0, v1, vcc_lo
	s_waitcnt lgkmcnt(23)
	flat_store_short v[22:23], v54
	s_or_b32 exec_lo, exec_lo, s4
	s_and_saveexec_b32 s4, s14
	s_cbranch_execnz .LBB240_2473
.LBB240_2441:
	s_or_b32 exec_lo, exec_lo, s4
	s_and_saveexec_b32 s4, s15
	s_cbranch_execz .LBB240_2474
.LBB240_2442:
	v_add_co_u32 v22, vcc_lo, 0x1000, v0
	v_add_co_ci_u32_e64 v23, null, 0, v1, vcc_lo
	s_waitcnt lgkmcnt(21)
	flat_store_short v[22:23], v52 offset:1024
	s_or_b32 exec_lo, exec_lo, s4
	s_and_saveexec_b32 s4, s16
	s_cbranch_execnz .LBB240_2475
.LBB240_2443:
	s_or_b32 exec_lo, exec_lo, s4
	s_and_saveexec_b32 s4, s17
	s_cbranch_execz .LBB240_2476
.LBB240_2444:
	v_add_co_u32 v22, vcc_lo, 0x1800, v0
	v_add_co_ci_u32_e64 v23, null, 0, v1, vcc_lo
	s_waitcnt lgkmcnt(19)
	flat_store_short v[22:23], v49
	s_or_b32 exec_lo, exec_lo, s4
	s_and_saveexec_b32 s4, s18
	s_cbranch_execnz .LBB240_2477
.LBB240_2445:
	s_or_b32 exec_lo, exec_lo, s4
	s_and_saveexec_b32 s4, s19
	s_cbranch_execz .LBB240_2478
.LBB240_2446:
	v_add_co_u32 v22, vcc_lo, 0x1800, v0
	v_add_co_ci_u32_e64 v23, null, 0, v1, vcc_lo
	s_waitcnt lgkmcnt(17)
	flat_store_short v[22:23], v39 offset:1024
	s_or_b32 exec_lo, exec_lo, s4
	s_and_saveexec_b32 s4, s20
	s_cbranch_execnz .LBB240_2479
.LBB240_2447:
	s_or_b32 exec_lo, exec_lo, s4
	s_and_saveexec_b32 s4, s21
	s_cbranch_execz .LBB240_2480
.LBB240_2448:
	v_add_co_u32 v22, vcc_lo, 0x2000, v0
	v_add_co_ci_u32_e64 v23, null, 0, v1, vcc_lo
	s_waitcnt lgkmcnt(15)
	flat_store_short v[22:23], v37
	s_or_b32 exec_lo, exec_lo, s4
	s_and_saveexec_b32 s4, s22
	s_cbranch_execnz .LBB240_2481
.LBB240_2449:
	s_or_b32 exec_lo, exec_lo, s4
	s_and_saveexec_b32 s4, s23
	s_cbranch_execz .LBB240_2482
.LBB240_2450:
	s_waitcnt lgkmcnt(14)
	v_add_co_u32 v21, vcc_lo, 0x2000, v0
	v_add_co_ci_u32_e64 v22, null, 0, v1, vcc_lo
	s_waitcnt lgkmcnt(13)
	flat_store_short v[21:22], v20 offset:1024
	s_or_b32 exec_lo, exec_lo, s4
	s_and_saveexec_b32 s4, s24
	s_cbranch_execnz .LBB240_2483
.LBB240_2451:
	s_or_b32 exec_lo, exec_lo, s4
	s_and_saveexec_b32 s4, s25
	s_cbranch_execz .LBB240_2484
.LBB240_2452:
	s_waitcnt lgkmcnt(12)
	v_add_co_u32 v19, vcc_lo, 0x2800, v0
	v_add_co_ci_u32_e64 v20, null, 0, v1, vcc_lo
	s_waitcnt lgkmcnt(11)
	flat_store_short v[19:20], v18
	s_or_b32 exec_lo, exec_lo, s4
	s_and_saveexec_b32 s4, s26
	s_cbranch_execnz .LBB240_2485
.LBB240_2453:
	s_or_b32 exec_lo, exec_lo, s4
	s_and_saveexec_b32 s4, s27
	s_cbranch_execz .LBB240_2486
.LBB240_2454:
	s_waitcnt lgkmcnt(10)
	v_add_co_u32 v17, vcc_lo, 0x2800, v0
	v_add_co_ci_u32_e64 v18, null, 0, v1, vcc_lo
	s_waitcnt lgkmcnt(9)
	flat_store_short v[17:18], v16 offset:1024
	s_or_b32 exec_lo, exec_lo, s4
	s_and_saveexec_b32 s4, s28
	s_cbranch_execnz .LBB240_2487
.LBB240_2455:
	s_or_b32 exec_lo, exec_lo, s4
	s_and_saveexec_b32 s4, s29
	s_cbranch_execz .LBB240_2488
.LBB240_2456:
	s_waitcnt lgkmcnt(8)
	v_add_co_u32 v15, vcc_lo, 0x3000, v0
	v_add_co_ci_u32_e64 v16, null, 0, v1, vcc_lo
	s_waitcnt lgkmcnt(7)
	flat_store_short v[15:16], v14
	s_or_b32 exec_lo, exec_lo, s4
	s_and_saveexec_b32 s4, s40
	s_cbranch_execnz .LBB240_2489
.LBB240_2457:
	s_or_b32 exec_lo, exec_lo, s4
	s_and_saveexec_b32 s4, s41
	s_cbranch_execz .LBB240_2490
.LBB240_2458:
	s_waitcnt lgkmcnt(6)
	v_add_co_u32 v13, vcc_lo, 0x3000, v0
	v_add_co_ci_u32_e64 v14, null, 0, v1, vcc_lo
	s_waitcnt lgkmcnt(5)
	flat_store_short v[13:14], v12 offset:1024
	s_or_b32 exec_lo, exec_lo, s4
	s_and_saveexec_b32 s4, s42
	s_cbranch_execnz .LBB240_2491
.LBB240_2459:
	s_or_b32 exec_lo, exec_lo, s4
	s_and_saveexec_b32 s4, s43
	s_cbranch_execz .LBB240_2492
.LBB240_2460:
	s_waitcnt lgkmcnt(4)
	v_add_co_u32 v11, vcc_lo, 0x3800, v0
	v_add_co_ci_u32_e64 v12, null, 0, v1, vcc_lo
	s_waitcnt lgkmcnt(3)
	flat_store_short v[11:12], v10
	s_or_b32 exec_lo, exec_lo, s4
	s_and_saveexec_b32 s4, s44
	s_cbranch_execnz .LBB240_2493
.LBB240_2461:
	s_or_b32 exec_lo, exec_lo, s4
	s_and_saveexec_b32 s4, s45
	s_cbranch_execz .LBB240_2463
.LBB240_2462:
	v_add_co_u32 v0, vcc_lo, 0x3800, v0
	v_add_co_ci_u32_e64 v1, null, 0, v1, vcc_lo
	s_waitcnt lgkmcnt(1)
	flat_store_short v[0:1], v2 offset:1024
.LBB240_2463:
	s_or_b32 exec_lo, exec_lo, s4
	s_andn2_b32 s4, s36, exec_lo
	s_and_b32 s5, s46, exec_lo
	s_or_b32 s36, s4, s5
	s_or_b32 exec_lo, exec_lo, s37
	s_and_saveexec_b32 s4, s36
	s_cbranch_execnz .LBB240_769
	s_branch .LBB240_770
.LBB240_2464:
	s_or_b32 exec_lo, exec_lo, s8
	s_and_saveexec_b32 s8, s4
	s_cbranch_execz .LBB240_2433
.LBB240_2465:
	s_waitcnt lgkmcnt(30)
	flat_store_short v[0:1], v69 offset:512
	s_or_b32 exec_lo, exec_lo, s8
	s_and_saveexec_b32 s4, s5
	s_cbranch_execnz .LBB240_2434
.LBB240_2466:
	s_or_b32 exec_lo, exec_lo, s4
	s_and_saveexec_b32 s4, s6
	s_cbranch_execz .LBB240_2435
.LBB240_2467:
	s_waitcnt lgkmcnt(28)
	flat_store_short v[0:1], v67 offset:1536
	s_or_b32 exec_lo, exec_lo, s4
	s_and_saveexec_b32 s4, s7
	s_cbranch_execnz .LBB240_2436
.LBB240_2468:
	s_or_b32 exec_lo, exec_lo, s4
	s_and_saveexec_b32 s4, s10
	s_cbranch_execz .LBB240_2437
.LBB240_2469:
	v_add_co_u32 v22, vcc_lo, 0x800, v0
	v_add_co_ci_u32_e64 v23, null, 0, v1, vcc_lo
	s_waitcnt lgkmcnt(26)
	flat_store_short v[22:23], v65 offset:512
	s_or_b32 exec_lo, exec_lo, s4
	s_and_saveexec_b32 s4, s11
	s_cbranch_execnz .LBB240_2438
.LBB240_2470:
	s_or_b32 exec_lo, exec_lo, s4
	s_and_saveexec_b32 s4, s47
	s_cbranch_execz .LBB240_2439
.LBB240_2471:
	v_add_co_u32 v22, vcc_lo, 0x800, v0
	v_add_co_ci_u32_e64 v23, null, 0, v1, vcc_lo
	s_waitcnt lgkmcnt(24)
	flat_store_short v[22:23], v55 offset:1536
	s_or_b32 exec_lo, exec_lo, s4
	s_and_saveexec_b32 s4, s56
	s_cbranch_execnz .LBB240_2440
.LBB240_2472:
	s_or_b32 exec_lo, exec_lo, s4
	s_and_saveexec_b32 s4, s14
	s_cbranch_execz .LBB240_2441
.LBB240_2473:
	v_add_co_u32 v22, vcc_lo, 0x1000, v0
	v_add_co_ci_u32_e64 v23, null, 0, v1, vcc_lo
	s_waitcnt lgkmcnt(22)
	flat_store_short v[22:23], v53 offset:512
	s_or_b32 exec_lo, exec_lo, s4
	s_and_saveexec_b32 s4, s15
	s_cbranch_execnz .LBB240_2442
.LBB240_2474:
	s_or_b32 exec_lo, exec_lo, s4
	s_and_saveexec_b32 s4, s16
	s_cbranch_execz .LBB240_2443
.LBB240_2475:
	v_add_co_u32 v22, vcc_lo, 0x1000, v0
	v_add_co_ci_u32_e64 v23, null, 0, v1, vcc_lo
	s_waitcnt lgkmcnt(20)
	flat_store_short v[22:23], v51 offset:1536
	s_or_b32 exec_lo, exec_lo, s4
	s_and_saveexec_b32 s4, s17
	s_cbranch_execnz .LBB240_2444
.LBB240_2476:
	s_or_b32 exec_lo, exec_lo, s4
	s_and_saveexec_b32 s4, s18
	s_cbranch_execz .LBB240_2445
.LBB240_2477:
	v_add_co_u32 v22, vcc_lo, 0x1800, v0
	v_add_co_ci_u32_e64 v23, null, 0, v1, vcc_lo
	s_waitcnt lgkmcnt(18)
	flat_store_short v[22:23], v48 offset:512
	s_or_b32 exec_lo, exec_lo, s4
	s_and_saveexec_b32 s4, s19
	s_cbranch_execnz .LBB240_2446
.LBB240_2478:
	s_or_b32 exec_lo, exec_lo, s4
	s_and_saveexec_b32 s4, s20
	s_cbranch_execz .LBB240_2447
.LBB240_2479:
	v_add_co_u32 v22, vcc_lo, 0x1800, v0
	v_add_co_ci_u32_e64 v23, null, 0, v1, vcc_lo
	s_waitcnt lgkmcnt(16)
	flat_store_short v[22:23], v38 offset:1536
	s_or_b32 exec_lo, exec_lo, s4
	s_and_saveexec_b32 s4, s21
	s_cbranch_execnz .LBB240_2448
.LBB240_2480:
	s_or_b32 exec_lo, exec_lo, s4
	s_and_saveexec_b32 s4, s22
	s_cbranch_execz .LBB240_2449
.LBB240_2481:
	v_add_co_u32 v22, vcc_lo, 0x2000, v0
	v_add_co_ci_u32_e64 v23, null, 0, v1, vcc_lo
	s_waitcnt lgkmcnt(14)
	flat_store_short v[22:23], v21 offset:512
	s_or_b32 exec_lo, exec_lo, s4
	s_and_saveexec_b32 s4, s23
	s_cbranch_execnz .LBB240_2450
.LBB240_2482:
	s_or_b32 exec_lo, exec_lo, s4
	s_and_saveexec_b32 s4, s24
	s_cbranch_execz .LBB240_2451
.LBB240_2483:
	s_waitcnt lgkmcnt(13)
	v_add_co_u32 v20, vcc_lo, 0x2000, v0
	v_add_co_ci_u32_e64 v21, null, 0, v1, vcc_lo
	s_waitcnt lgkmcnt(12)
	flat_store_short v[20:21], v19 offset:1536
	s_or_b32 exec_lo, exec_lo, s4
	s_and_saveexec_b32 s4, s25
	s_cbranch_execnz .LBB240_2452
.LBB240_2484:
	s_or_b32 exec_lo, exec_lo, s4
	s_and_saveexec_b32 s4, s26
	s_cbranch_execz .LBB240_2453
.LBB240_2485:
	s_waitcnt lgkmcnt(11)
	v_add_co_u32 v18, vcc_lo, 0x2800, v0
	v_add_co_ci_u32_e64 v19, null, 0, v1, vcc_lo
	s_waitcnt lgkmcnt(10)
	flat_store_short v[18:19], v17 offset:512
	s_or_b32 exec_lo, exec_lo, s4
	s_and_saveexec_b32 s4, s27
	s_cbranch_execnz .LBB240_2454
.LBB240_2486:
	s_or_b32 exec_lo, exec_lo, s4
	s_and_saveexec_b32 s4, s28
	s_cbranch_execz .LBB240_2455
.LBB240_2487:
	s_waitcnt lgkmcnt(9)
	v_add_co_u32 v16, vcc_lo, 0x2800, v0
	v_add_co_ci_u32_e64 v17, null, 0, v1, vcc_lo
	s_waitcnt lgkmcnt(8)
	flat_store_short v[16:17], v15 offset:1536
	s_or_b32 exec_lo, exec_lo, s4
	s_and_saveexec_b32 s4, s29
	s_cbranch_execnz .LBB240_2456
.LBB240_2488:
	s_or_b32 exec_lo, exec_lo, s4
	s_and_saveexec_b32 s4, s40
	s_cbranch_execz .LBB240_2457
.LBB240_2489:
	s_waitcnt lgkmcnt(7)
	v_add_co_u32 v14, vcc_lo, 0x3000, v0
	v_add_co_ci_u32_e64 v15, null, 0, v1, vcc_lo
	s_waitcnt lgkmcnt(6)
	flat_store_short v[14:15], v13 offset:512
	s_or_b32 exec_lo, exec_lo, s4
	s_and_saveexec_b32 s4, s41
	s_cbranch_execnz .LBB240_2458
.LBB240_2490:
	s_or_b32 exec_lo, exec_lo, s4
	s_and_saveexec_b32 s4, s42
	s_cbranch_execz .LBB240_2459
.LBB240_2491:
	s_waitcnt lgkmcnt(5)
	v_add_co_u32 v12, vcc_lo, 0x3000, v0
	v_add_co_ci_u32_e64 v13, null, 0, v1, vcc_lo
	s_waitcnt lgkmcnt(4)
	flat_store_short v[12:13], v11 offset:1536
	s_or_b32 exec_lo, exec_lo, s4
	s_and_saveexec_b32 s4, s43
	s_cbranch_execnz .LBB240_2460
.LBB240_2492:
	s_or_b32 exec_lo, exec_lo, s4
	s_and_saveexec_b32 s4, s44
	s_cbranch_execz .LBB240_2461
.LBB240_2493:
	s_waitcnt lgkmcnt(3)
	v_add_co_u32 v10, vcc_lo, 0x3800, v0
	v_add_co_ci_u32_e64 v11, null, 0, v1, vcc_lo
	s_waitcnt lgkmcnt(2)
	flat_store_short v[10:11], v9 offset:512
	s_or_b32 exec_lo, exec_lo, s4
	s_and_saveexec_b32 s4, s45
	s_cbranch_execnz .LBB240_2462
	s_branch .LBB240_2463
.Lfunc_end240:
	.size	_ZN7rocprim17ROCPRIM_400000_NS6detail15block_sort_implItNS0_10empty_typeELj256ELj32ELNS0_4arch9wavefront6targetE0EvE4sortIN6thrust23THRUST_200600_302600_NS6detail15normal_iteratorINSA_10device_ptrItEEEESF_PS3_SG_11less_div_10ItEEEvjbT_T0_T1_T2_T3_RNS7_12storage_typeE, .Lfunc_end240-_ZN7rocprim17ROCPRIM_400000_NS6detail15block_sort_implItNS0_10empty_typeELj256ELj32ELNS0_4arch9wavefront6targetE0EvE4sortIN6thrust23THRUST_200600_302600_NS6detail15normal_iteratorINSA_10device_ptrItEEEESF_PS3_SG_11less_div_10ItEEEvjbT_T0_T1_T2_T3_RNS7_12storage_typeE
                                        ; -- End function
	.set .L_ZN7rocprim17ROCPRIM_400000_NS6detail15block_sort_implItNS0_10empty_typeELj256ELj32ELNS0_4arch9wavefront6targetE0EvE4sortIN6thrust23THRUST_200600_302600_NS6detail15normal_iteratorINSA_10device_ptrItEEEESF_PS3_SG_11less_div_10ItEEEvjbT_T0_T1_T2_T3_RNS7_12storage_typeE.num_vgpr, 248
	.set .L_ZN7rocprim17ROCPRIM_400000_NS6detail15block_sort_implItNS0_10empty_typeELj256ELj32ELNS0_4arch9wavefront6targetE0EvE4sortIN6thrust23THRUST_200600_302600_NS6detail15normal_iteratorINSA_10device_ptrItEEEESF_PS3_SG_11less_div_10ItEEEvjbT_T0_T1_T2_T3_RNS7_12storage_typeE.num_agpr, 0
	.set .L_ZN7rocprim17ROCPRIM_400000_NS6detail15block_sort_implItNS0_10empty_typeELj256ELj32ELNS0_4arch9wavefront6targetE0EvE4sortIN6thrust23THRUST_200600_302600_NS6detail15normal_iteratorINSA_10device_ptrItEEEESF_PS3_SG_11less_div_10ItEEEvjbT_T0_T1_T2_T3_RNS7_12storage_typeE.numbered_sgpr, 96
	.set .L_ZN7rocprim17ROCPRIM_400000_NS6detail15block_sort_implItNS0_10empty_typeELj256ELj32ELNS0_4arch9wavefront6targetE0EvE4sortIN6thrust23THRUST_200600_302600_NS6detail15normal_iteratorINSA_10device_ptrItEEEESF_PS3_SG_11less_div_10ItEEEvjbT_T0_T1_T2_T3_RNS7_12storage_typeE.num_named_barrier, 0
	.set .L_ZN7rocprim17ROCPRIM_400000_NS6detail15block_sort_implItNS0_10empty_typeELj256ELj32ELNS0_4arch9wavefront6targetE0EvE4sortIN6thrust23THRUST_200600_302600_NS6detail15normal_iteratorINSA_10device_ptrItEEEESF_PS3_SG_11less_div_10ItEEEvjbT_T0_T1_T2_T3_RNS7_12storage_typeE.private_seg_size, 128
	.set .L_ZN7rocprim17ROCPRIM_400000_NS6detail15block_sort_implItNS0_10empty_typeELj256ELj32ELNS0_4arch9wavefront6targetE0EvE4sortIN6thrust23THRUST_200600_302600_NS6detail15normal_iteratorINSA_10device_ptrItEEEESF_PS3_SG_11less_div_10ItEEEvjbT_T0_T1_T2_T3_RNS7_12storage_typeE.uses_vcc, 1
	.set .L_ZN7rocprim17ROCPRIM_400000_NS6detail15block_sort_implItNS0_10empty_typeELj256ELj32ELNS0_4arch9wavefront6targetE0EvE4sortIN6thrust23THRUST_200600_302600_NS6detail15normal_iteratorINSA_10device_ptrItEEEESF_PS3_SG_11less_div_10ItEEEvjbT_T0_T1_T2_T3_RNS7_12storage_typeE.uses_flat_scratch, 1
	.set .L_ZN7rocprim17ROCPRIM_400000_NS6detail15block_sort_implItNS0_10empty_typeELj256ELj32ELNS0_4arch9wavefront6targetE0EvE4sortIN6thrust23THRUST_200600_302600_NS6detail15normal_iteratorINSA_10device_ptrItEEEESF_PS3_SG_11less_div_10ItEEEvjbT_T0_T1_T2_T3_RNS7_12storage_typeE.has_dyn_sized_stack, 0
	.set .L_ZN7rocprim17ROCPRIM_400000_NS6detail15block_sort_implItNS0_10empty_typeELj256ELj32ELNS0_4arch9wavefront6targetE0EvE4sortIN6thrust23THRUST_200600_302600_NS6detail15normal_iteratorINSA_10device_ptrItEEEESF_PS3_SG_11less_div_10ItEEEvjbT_T0_T1_T2_T3_RNS7_12storage_typeE.has_recursion, 0
	.set .L_ZN7rocprim17ROCPRIM_400000_NS6detail15block_sort_implItNS0_10empty_typeELj256ELj32ELNS0_4arch9wavefront6targetE0EvE4sortIN6thrust23THRUST_200600_302600_NS6detail15normal_iteratorINSA_10device_ptrItEEEESF_PS3_SG_11less_div_10ItEEEvjbT_T0_T1_T2_T3_RNS7_12storage_typeE.has_indirect_call, 0
	.section	.AMDGPU.csdata,"",@progbits
; Function info:
; codeLenInByte = 133764
; TotalNumSgprs: 98
; NumVgprs: 248
; ScratchSize: 128
; MemoryBound: 0
	.section	.text._ZN7rocprim17ROCPRIM_400000_NS6detail17trampoline_kernelINS0_14default_configENS1_37merge_sort_block_sort_config_selectorItNS0_10empty_typeEEEZNS1_21merge_sort_block_sortIS3_N6thrust23THRUST_200600_302600_NS6detail15normal_iteratorINS9_10device_ptrItEEEESE_PS5_SF_11less_div_10ItEEE10hipError_tT0_T1_T2_T3_mRjT4_P12ihipStream_tbNS1_7vsmem_tEEUlT_E_NS1_11comp_targetILNS1_3genE8ELNS1_11target_archE1030ELNS1_3gpuE2ELNS1_3repE0EEENS1_30default_config_static_selectorELNS0_4arch9wavefront6targetE0EEEvSK_,"axG",@progbits,_ZN7rocprim17ROCPRIM_400000_NS6detail17trampoline_kernelINS0_14default_configENS1_37merge_sort_block_sort_config_selectorItNS0_10empty_typeEEEZNS1_21merge_sort_block_sortIS3_N6thrust23THRUST_200600_302600_NS6detail15normal_iteratorINS9_10device_ptrItEEEESE_PS5_SF_11less_div_10ItEEE10hipError_tT0_T1_T2_T3_mRjT4_P12ihipStream_tbNS1_7vsmem_tEEUlT_E_NS1_11comp_targetILNS1_3genE8ELNS1_11target_archE1030ELNS1_3gpuE2ELNS1_3repE0EEENS1_30default_config_static_selectorELNS0_4arch9wavefront6targetE0EEEvSK_,comdat
	.protected	_ZN7rocprim17ROCPRIM_400000_NS6detail17trampoline_kernelINS0_14default_configENS1_37merge_sort_block_sort_config_selectorItNS0_10empty_typeEEEZNS1_21merge_sort_block_sortIS3_N6thrust23THRUST_200600_302600_NS6detail15normal_iteratorINS9_10device_ptrItEEEESE_PS5_SF_11less_div_10ItEEE10hipError_tT0_T1_T2_T3_mRjT4_P12ihipStream_tbNS1_7vsmem_tEEUlT_E_NS1_11comp_targetILNS1_3genE8ELNS1_11target_archE1030ELNS1_3gpuE2ELNS1_3repE0EEENS1_30default_config_static_selectorELNS0_4arch9wavefront6targetE0EEEvSK_ ; -- Begin function _ZN7rocprim17ROCPRIM_400000_NS6detail17trampoline_kernelINS0_14default_configENS1_37merge_sort_block_sort_config_selectorItNS0_10empty_typeEEEZNS1_21merge_sort_block_sortIS3_N6thrust23THRUST_200600_302600_NS6detail15normal_iteratorINS9_10device_ptrItEEEESE_PS5_SF_11less_div_10ItEEE10hipError_tT0_T1_T2_T3_mRjT4_P12ihipStream_tbNS1_7vsmem_tEEUlT_E_NS1_11comp_targetILNS1_3genE8ELNS1_11target_archE1030ELNS1_3gpuE2ELNS1_3repE0EEENS1_30default_config_static_selectorELNS0_4arch9wavefront6targetE0EEEvSK_
	.globl	_ZN7rocprim17ROCPRIM_400000_NS6detail17trampoline_kernelINS0_14default_configENS1_37merge_sort_block_sort_config_selectorItNS0_10empty_typeEEEZNS1_21merge_sort_block_sortIS3_N6thrust23THRUST_200600_302600_NS6detail15normal_iteratorINS9_10device_ptrItEEEESE_PS5_SF_11less_div_10ItEEE10hipError_tT0_T1_T2_T3_mRjT4_P12ihipStream_tbNS1_7vsmem_tEEUlT_E_NS1_11comp_targetILNS1_3genE8ELNS1_11target_archE1030ELNS1_3gpuE2ELNS1_3repE0EEENS1_30default_config_static_selectorELNS0_4arch9wavefront6targetE0EEEvSK_
	.p2align	8
	.type	_ZN7rocprim17ROCPRIM_400000_NS6detail17trampoline_kernelINS0_14default_configENS1_37merge_sort_block_sort_config_selectorItNS0_10empty_typeEEEZNS1_21merge_sort_block_sortIS3_N6thrust23THRUST_200600_302600_NS6detail15normal_iteratorINS9_10device_ptrItEEEESE_PS5_SF_11less_div_10ItEEE10hipError_tT0_T1_T2_T3_mRjT4_P12ihipStream_tbNS1_7vsmem_tEEUlT_E_NS1_11comp_targetILNS1_3genE8ELNS1_11target_archE1030ELNS1_3gpuE2ELNS1_3repE0EEENS1_30default_config_static_selectorELNS0_4arch9wavefront6targetE0EEEvSK_,@function
_ZN7rocprim17ROCPRIM_400000_NS6detail17trampoline_kernelINS0_14default_configENS1_37merge_sort_block_sort_config_selectorItNS0_10empty_typeEEEZNS1_21merge_sort_block_sortIS3_N6thrust23THRUST_200600_302600_NS6detail15normal_iteratorINS9_10device_ptrItEEEESE_PS5_SF_11less_div_10ItEEE10hipError_tT0_T1_T2_T3_mRjT4_P12ihipStream_tbNS1_7vsmem_tEEUlT_E_NS1_11comp_targetILNS1_3genE8ELNS1_11target_archE1030ELNS1_3gpuE2ELNS1_3repE0EEENS1_30default_config_static_selectorELNS0_4arch9wavefront6targetE0EEEvSK_: ; @_ZN7rocprim17ROCPRIM_400000_NS6detail17trampoline_kernelINS0_14default_configENS1_37merge_sort_block_sort_config_selectorItNS0_10empty_typeEEEZNS1_21merge_sort_block_sortIS3_N6thrust23THRUST_200600_302600_NS6detail15normal_iteratorINS9_10device_ptrItEEEESE_PS5_SF_11less_div_10ItEEE10hipError_tT0_T1_T2_T3_mRjT4_P12ihipStream_tbNS1_7vsmem_tEEUlT_E_NS1_11comp_targetILNS1_3genE8ELNS1_11target_archE1030ELNS1_3gpuE2ELNS1_3repE0EEENS1_30default_config_static_selectorELNS0_4arch9wavefront6targetE0EEEvSK_
; %bb.0:
	s_add_u32 s0, s0, s9
	s_clause 0x1
	s_load_dwordx2 s[10:11], s[4:5], 0x40
	s_load_dword s9, s[4:5], 0x0
	s_addc_u32 s1, s1, 0
	s_mov_b32 s32, 0
	s_waitcnt lgkmcnt(0)
	s_mul_i32 s8, s11, s8
	s_add_i32 s8, s8, s7
	s_mul_i32 s8, s8, s10
	s_add_i32 s8, s8, s6
	s_cmp_ge_u32 s8, s9
	s_cbranch_scc1 .LBB241_2
; %bb.1:
	s_clause 0x1
	s_load_dwordx2 s[16:17], s[4:5], 0x8
	s_load_dwordx4 s[12:15], s[4:5], 0x18
	s_mov_b64 s[10:11], src_shared_base
	s_lshl_b32 s10, s8, 13
	s_mov_b32 s9, 0
	v_lshlrev_b32_e32 v2, 20, v2
	v_lshlrev_b32_e32 v1, 10, v1
	v_mov_b32_e32 v6, 0
	v_mov_b32_e32 v7, s11
	v_or3_b32 v31, v0, v1, v2
	s_waitcnt lgkmcnt(0)
	s_lshr_b64 s[18:19], s[16:17], 13
	s_sub_i32 s10, s16, s10
	s_cmp_eq_u64 s[18:19], s[8:9]
	v_mov_b32_e32 v0, s10
	s_cselect_b32 s16, -1, 0
	s_lshl_b64 s[8:9], s[8:9], 14
	v_cndmask_b32_e64 v1, 0, 1, s16
	s_add_u32 s12, s12, s8
	s_addc_u32 s13, s13, s9
	s_add_u32 s14, s14, s8
	s_addc_u32 s15, s15, s9
	v_mov_b32_e32 v2, s12
	v_mov_b32_e32 v3, s13
	;; [unrolled: 1-line block ×4, first 2 shown]
	s_add_u32 s8, s4, 64
	s_addc_u32 s9, s5, 0
	s_getpc_b64 s[4:5]
	s_add_u32 s4, s4, _ZN7rocprim17ROCPRIM_400000_NS6detail15block_sort_implItNS0_10empty_typeELj256ELj32ELNS0_4arch9wavefront6targetE0EvE4sortIN6thrust23THRUST_200600_302600_NS6detail15normal_iteratorINSA_10device_ptrItEEEESF_PS3_SG_11less_div_10ItEEEvjbT_T0_T1_T2_T3_RNS7_12storage_typeE@rel32@lo+4
	s_addc_u32 s5, s5, _ZN7rocprim17ROCPRIM_400000_NS6detail15block_sort_implItNS0_10empty_typeELj256ELj32ELNS0_4arch9wavefront6targetE0EvE4sortIN6thrust23THRUST_200600_302600_NS6detail15normal_iteratorINSA_10device_ptrItEEEESF_PS3_SG_11less_div_10ItEEEvjbT_T0_T1_T2_T3_RNS7_12storage_typeE@rel32@hi+12
	s_mov_b32 s12, s6
	s_mov_b32 s13, s7
	s_swappc_b64 s[30:31], s[4:5]
.LBB241_2:
	s_endpgm
	.section	.rodata,"a",@progbits
	.p2align	6, 0x0
	.amdhsa_kernel _ZN7rocprim17ROCPRIM_400000_NS6detail17trampoline_kernelINS0_14default_configENS1_37merge_sort_block_sort_config_selectorItNS0_10empty_typeEEEZNS1_21merge_sort_block_sortIS3_N6thrust23THRUST_200600_302600_NS6detail15normal_iteratorINS9_10device_ptrItEEEESE_PS5_SF_11less_div_10ItEEE10hipError_tT0_T1_T2_T3_mRjT4_P12ihipStream_tbNS1_7vsmem_tEEUlT_E_NS1_11comp_targetILNS1_3genE8ELNS1_11target_archE1030ELNS1_3gpuE2ELNS1_3repE0EEENS1_30default_config_static_selectorELNS0_4arch9wavefront6targetE0EEEvSK_
		.amdhsa_group_segment_fixed_size 16896
		.amdhsa_private_segment_fixed_size 128
		.amdhsa_kernarg_size 320
		.amdhsa_user_sgpr_count 6
		.amdhsa_user_sgpr_private_segment_buffer 1
		.amdhsa_user_sgpr_dispatch_ptr 0
		.amdhsa_user_sgpr_queue_ptr 0
		.amdhsa_user_sgpr_kernarg_segment_ptr 1
		.amdhsa_user_sgpr_dispatch_id 0
		.amdhsa_user_sgpr_flat_scratch_init 0
		.amdhsa_user_sgpr_private_segment_size 0
		.amdhsa_wavefront_size32 1
		.amdhsa_uses_dynamic_stack 0
		.amdhsa_system_sgpr_private_segment_wavefront_offset 1
		.amdhsa_system_sgpr_workgroup_id_x 1
		.amdhsa_system_sgpr_workgroup_id_y 1
		.amdhsa_system_sgpr_workgroup_id_z 1
		.amdhsa_system_sgpr_workgroup_info 0
		.amdhsa_system_vgpr_workitem_id 2
		.amdhsa_next_free_vgpr 248
		.amdhsa_next_free_sgpr 96
		.amdhsa_reserve_vcc 1
		.amdhsa_reserve_flat_scratch 1
		.amdhsa_float_round_mode_32 0
		.amdhsa_float_round_mode_16_64 0
		.amdhsa_float_denorm_mode_32 3
		.amdhsa_float_denorm_mode_16_64 3
		.amdhsa_dx10_clamp 1
		.amdhsa_ieee_mode 1
		.amdhsa_fp16_overflow 0
		.amdhsa_workgroup_processor_mode 1
		.amdhsa_memory_ordered 1
		.amdhsa_forward_progress 1
		.amdhsa_shared_vgpr_count 0
		.amdhsa_exception_fp_ieee_invalid_op 0
		.amdhsa_exception_fp_denorm_src 0
		.amdhsa_exception_fp_ieee_div_zero 0
		.amdhsa_exception_fp_ieee_overflow 0
		.amdhsa_exception_fp_ieee_underflow 0
		.amdhsa_exception_fp_ieee_inexact 0
		.amdhsa_exception_int_div_zero 0
	.end_amdhsa_kernel
	.section	.text._ZN7rocprim17ROCPRIM_400000_NS6detail17trampoline_kernelINS0_14default_configENS1_37merge_sort_block_sort_config_selectorItNS0_10empty_typeEEEZNS1_21merge_sort_block_sortIS3_N6thrust23THRUST_200600_302600_NS6detail15normal_iteratorINS9_10device_ptrItEEEESE_PS5_SF_11less_div_10ItEEE10hipError_tT0_T1_T2_T3_mRjT4_P12ihipStream_tbNS1_7vsmem_tEEUlT_E_NS1_11comp_targetILNS1_3genE8ELNS1_11target_archE1030ELNS1_3gpuE2ELNS1_3repE0EEENS1_30default_config_static_selectorELNS0_4arch9wavefront6targetE0EEEvSK_,"axG",@progbits,_ZN7rocprim17ROCPRIM_400000_NS6detail17trampoline_kernelINS0_14default_configENS1_37merge_sort_block_sort_config_selectorItNS0_10empty_typeEEEZNS1_21merge_sort_block_sortIS3_N6thrust23THRUST_200600_302600_NS6detail15normal_iteratorINS9_10device_ptrItEEEESE_PS5_SF_11less_div_10ItEEE10hipError_tT0_T1_T2_T3_mRjT4_P12ihipStream_tbNS1_7vsmem_tEEUlT_E_NS1_11comp_targetILNS1_3genE8ELNS1_11target_archE1030ELNS1_3gpuE2ELNS1_3repE0EEENS1_30default_config_static_selectorELNS0_4arch9wavefront6targetE0EEEvSK_,comdat
.Lfunc_end241:
	.size	_ZN7rocprim17ROCPRIM_400000_NS6detail17trampoline_kernelINS0_14default_configENS1_37merge_sort_block_sort_config_selectorItNS0_10empty_typeEEEZNS1_21merge_sort_block_sortIS3_N6thrust23THRUST_200600_302600_NS6detail15normal_iteratorINS9_10device_ptrItEEEESE_PS5_SF_11less_div_10ItEEE10hipError_tT0_T1_T2_T3_mRjT4_P12ihipStream_tbNS1_7vsmem_tEEUlT_E_NS1_11comp_targetILNS1_3genE8ELNS1_11target_archE1030ELNS1_3gpuE2ELNS1_3repE0EEENS1_30default_config_static_selectorELNS0_4arch9wavefront6targetE0EEEvSK_, .Lfunc_end241-_ZN7rocprim17ROCPRIM_400000_NS6detail17trampoline_kernelINS0_14default_configENS1_37merge_sort_block_sort_config_selectorItNS0_10empty_typeEEEZNS1_21merge_sort_block_sortIS3_N6thrust23THRUST_200600_302600_NS6detail15normal_iteratorINS9_10device_ptrItEEEESE_PS5_SF_11less_div_10ItEEE10hipError_tT0_T1_T2_T3_mRjT4_P12ihipStream_tbNS1_7vsmem_tEEUlT_E_NS1_11comp_targetILNS1_3genE8ELNS1_11target_archE1030ELNS1_3gpuE2ELNS1_3repE0EEENS1_30default_config_static_selectorELNS0_4arch9wavefront6targetE0EEEvSK_
                                        ; -- End function
	.set _ZN7rocprim17ROCPRIM_400000_NS6detail17trampoline_kernelINS0_14default_configENS1_37merge_sort_block_sort_config_selectorItNS0_10empty_typeEEEZNS1_21merge_sort_block_sortIS3_N6thrust23THRUST_200600_302600_NS6detail15normal_iteratorINS9_10device_ptrItEEEESE_PS5_SF_11less_div_10ItEEE10hipError_tT0_T1_T2_T3_mRjT4_P12ihipStream_tbNS1_7vsmem_tEEUlT_E_NS1_11comp_targetILNS1_3genE8ELNS1_11target_archE1030ELNS1_3gpuE2ELNS1_3repE0EEENS1_30default_config_static_selectorELNS0_4arch9wavefront6targetE0EEEvSK_.num_vgpr, max(32, .L_ZN7rocprim17ROCPRIM_400000_NS6detail15block_sort_implItNS0_10empty_typeELj256ELj32ELNS0_4arch9wavefront6targetE0EvE4sortIN6thrust23THRUST_200600_302600_NS6detail15normal_iteratorINSA_10device_ptrItEEEESF_PS3_SG_11less_div_10ItEEEvjbT_T0_T1_T2_T3_RNS7_12storage_typeE.num_vgpr)
	.set _ZN7rocprim17ROCPRIM_400000_NS6detail17trampoline_kernelINS0_14default_configENS1_37merge_sort_block_sort_config_selectorItNS0_10empty_typeEEEZNS1_21merge_sort_block_sortIS3_N6thrust23THRUST_200600_302600_NS6detail15normal_iteratorINS9_10device_ptrItEEEESE_PS5_SF_11less_div_10ItEEE10hipError_tT0_T1_T2_T3_mRjT4_P12ihipStream_tbNS1_7vsmem_tEEUlT_E_NS1_11comp_targetILNS1_3genE8ELNS1_11target_archE1030ELNS1_3gpuE2ELNS1_3repE0EEENS1_30default_config_static_selectorELNS0_4arch9wavefront6targetE0EEEvSK_.num_agpr, max(0, .L_ZN7rocprim17ROCPRIM_400000_NS6detail15block_sort_implItNS0_10empty_typeELj256ELj32ELNS0_4arch9wavefront6targetE0EvE4sortIN6thrust23THRUST_200600_302600_NS6detail15normal_iteratorINSA_10device_ptrItEEEESF_PS3_SG_11less_div_10ItEEEvjbT_T0_T1_T2_T3_RNS7_12storage_typeE.num_agpr)
	.set _ZN7rocprim17ROCPRIM_400000_NS6detail17trampoline_kernelINS0_14default_configENS1_37merge_sort_block_sort_config_selectorItNS0_10empty_typeEEEZNS1_21merge_sort_block_sortIS3_N6thrust23THRUST_200600_302600_NS6detail15normal_iteratorINS9_10device_ptrItEEEESE_PS5_SF_11less_div_10ItEEE10hipError_tT0_T1_T2_T3_mRjT4_P12ihipStream_tbNS1_7vsmem_tEEUlT_E_NS1_11comp_targetILNS1_3genE8ELNS1_11target_archE1030ELNS1_3gpuE2ELNS1_3repE0EEENS1_30default_config_static_selectorELNS0_4arch9wavefront6targetE0EEEvSK_.numbered_sgpr, max(33, .L_ZN7rocprim17ROCPRIM_400000_NS6detail15block_sort_implItNS0_10empty_typeELj256ELj32ELNS0_4arch9wavefront6targetE0EvE4sortIN6thrust23THRUST_200600_302600_NS6detail15normal_iteratorINSA_10device_ptrItEEEESF_PS3_SG_11less_div_10ItEEEvjbT_T0_T1_T2_T3_RNS7_12storage_typeE.numbered_sgpr)
	.set _ZN7rocprim17ROCPRIM_400000_NS6detail17trampoline_kernelINS0_14default_configENS1_37merge_sort_block_sort_config_selectorItNS0_10empty_typeEEEZNS1_21merge_sort_block_sortIS3_N6thrust23THRUST_200600_302600_NS6detail15normal_iteratorINS9_10device_ptrItEEEESE_PS5_SF_11less_div_10ItEEE10hipError_tT0_T1_T2_T3_mRjT4_P12ihipStream_tbNS1_7vsmem_tEEUlT_E_NS1_11comp_targetILNS1_3genE8ELNS1_11target_archE1030ELNS1_3gpuE2ELNS1_3repE0EEENS1_30default_config_static_selectorELNS0_4arch9wavefront6targetE0EEEvSK_.num_named_barrier, max(0, .L_ZN7rocprim17ROCPRIM_400000_NS6detail15block_sort_implItNS0_10empty_typeELj256ELj32ELNS0_4arch9wavefront6targetE0EvE4sortIN6thrust23THRUST_200600_302600_NS6detail15normal_iteratorINSA_10device_ptrItEEEESF_PS3_SG_11less_div_10ItEEEvjbT_T0_T1_T2_T3_RNS7_12storage_typeE.num_named_barrier)
	.set _ZN7rocprim17ROCPRIM_400000_NS6detail17trampoline_kernelINS0_14default_configENS1_37merge_sort_block_sort_config_selectorItNS0_10empty_typeEEEZNS1_21merge_sort_block_sortIS3_N6thrust23THRUST_200600_302600_NS6detail15normal_iteratorINS9_10device_ptrItEEEESE_PS5_SF_11less_div_10ItEEE10hipError_tT0_T1_T2_T3_mRjT4_P12ihipStream_tbNS1_7vsmem_tEEUlT_E_NS1_11comp_targetILNS1_3genE8ELNS1_11target_archE1030ELNS1_3gpuE2ELNS1_3repE0EEENS1_30default_config_static_selectorELNS0_4arch9wavefront6targetE0EEEvSK_.private_seg_size, 0+max(.L_ZN7rocprim17ROCPRIM_400000_NS6detail15block_sort_implItNS0_10empty_typeELj256ELj32ELNS0_4arch9wavefront6targetE0EvE4sortIN6thrust23THRUST_200600_302600_NS6detail15normal_iteratorINSA_10device_ptrItEEEESF_PS3_SG_11less_div_10ItEEEvjbT_T0_T1_T2_T3_RNS7_12storage_typeE.private_seg_size)
	.set _ZN7rocprim17ROCPRIM_400000_NS6detail17trampoline_kernelINS0_14default_configENS1_37merge_sort_block_sort_config_selectorItNS0_10empty_typeEEEZNS1_21merge_sort_block_sortIS3_N6thrust23THRUST_200600_302600_NS6detail15normal_iteratorINS9_10device_ptrItEEEESE_PS5_SF_11less_div_10ItEEE10hipError_tT0_T1_T2_T3_mRjT4_P12ihipStream_tbNS1_7vsmem_tEEUlT_E_NS1_11comp_targetILNS1_3genE8ELNS1_11target_archE1030ELNS1_3gpuE2ELNS1_3repE0EEENS1_30default_config_static_selectorELNS0_4arch9wavefront6targetE0EEEvSK_.uses_vcc, or(1, .L_ZN7rocprim17ROCPRIM_400000_NS6detail15block_sort_implItNS0_10empty_typeELj256ELj32ELNS0_4arch9wavefront6targetE0EvE4sortIN6thrust23THRUST_200600_302600_NS6detail15normal_iteratorINSA_10device_ptrItEEEESF_PS3_SG_11less_div_10ItEEEvjbT_T0_T1_T2_T3_RNS7_12storage_typeE.uses_vcc)
	.set _ZN7rocprim17ROCPRIM_400000_NS6detail17trampoline_kernelINS0_14default_configENS1_37merge_sort_block_sort_config_selectorItNS0_10empty_typeEEEZNS1_21merge_sort_block_sortIS3_N6thrust23THRUST_200600_302600_NS6detail15normal_iteratorINS9_10device_ptrItEEEESE_PS5_SF_11less_div_10ItEEE10hipError_tT0_T1_T2_T3_mRjT4_P12ihipStream_tbNS1_7vsmem_tEEUlT_E_NS1_11comp_targetILNS1_3genE8ELNS1_11target_archE1030ELNS1_3gpuE2ELNS1_3repE0EEENS1_30default_config_static_selectorELNS0_4arch9wavefront6targetE0EEEvSK_.uses_flat_scratch, or(0, .L_ZN7rocprim17ROCPRIM_400000_NS6detail15block_sort_implItNS0_10empty_typeELj256ELj32ELNS0_4arch9wavefront6targetE0EvE4sortIN6thrust23THRUST_200600_302600_NS6detail15normal_iteratorINSA_10device_ptrItEEEESF_PS3_SG_11less_div_10ItEEEvjbT_T0_T1_T2_T3_RNS7_12storage_typeE.uses_flat_scratch)
	.set _ZN7rocprim17ROCPRIM_400000_NS6detail17trampoline_kernelINS0_14default_configENS1_37merge_sort_block_sort_config_selectorItNS0_10empty_typeEEEZNS1_21merge_sort_block_sortIS3_N6thrust23THRUST_200600_302600_NS6detail15normal_iteratorINS9_10device_ptrItEEEESE_PS5_SF_11less_div_10ItEEE10hipError_tT0_T1_T2_T3_mRjT4_P12ihipStream_tbNS1_7vsmem_tEEUlT_E_NS1_11comp_targetILNS1_3genE8ELNS1_11target_archE1030ELNS1_3gpuE2ELNS1_3repE0EEENS1_30default_config_static_selectorELNS0_4arch9wavefront6targetE0EEEvSK_.has_dyn_sized_stack, or(0, .L_ZN7rocprim17ROCPRIM_400000_NS6detail15block_sort_implItNS0_10empty_typeELj256ELj32ELNS0_4arch9wavefront6targetE0EvE4sortIN6thrust23THRUST_200600_302600_NS6detail15normal_iteratorINSA_10device_ptrItEEEESF_PS3_SG_11less_div_10ItEEEvjbT_T0_T1_T2_T3_RNS7_12storage_typeE.has_dyn_sized_stack)
	.set _ZN7rocprim17ROCPRIM_400000_NS6detail17trampoline_kernelINS0_14default_configENS1_37merge_sort_block_sort_config_selectorItNS0_10empty_typeEEEZNS1_21merge_sort_block_sortIS3_N6thrust23THRUST_200600_302600_NS6detail15normal_iteratorINS9_10device_ptrItEEEESE_PS5_SF_11less_div_10ItEEE10hipError_tT0_T1_T2_T3_mRjT4_P12ihipStream_tbNS1_7vsmem_tEEUlT_E_NS1_11comp_targetILNS1_3genE8ELNS1_11target_archE1030ELNS1_3gpuE2ELNS1_3repE0EEENS1_30default_config_static_selectorELNS0_4arch9wavefront6targetE0EEEvSK_.has_recursion, or(0, .L_ZN7rocprim17ROCPRIM_400000_NS6detail15block_sort_implItNS0_10empty_typeELj256ELj32ELNS0_4arch9wavefront6targetE0EvE4sortIN6thrust23THRUST_200600_302600_NS6detail15normal_iteratorINSA_10device_ptrItEEEESF_PS3_SG_11less_div_10ItEEEvjbT_T0_T1_T2_T3_RNS7_12storage_typeE.has_recursion)
	.set _ZN7rocprim17ROCPRIM_400000_NS6detail17trampoline_kernelINS0_14default_configENS1_37merge_sort_block_sort_config_selectorItNS0_10empty_typeEEEZNS1_21merge_sort_block_sortIS3_N6thrust23THRUST_200600_302600_NS6detail15normal_iteratorINS9_10device_ptrItEEEESE_PS5_SF_11less_div_10ItEEE10hipError_tT0_T1_T2_T3_mRjT4_P12ihipStream_tbNS1_7vsmem_tEEUlT_E_NS1_11comp_targetILNS1_3genE8ELNS1_11target_archE1030ELNS1_3gpuE2ELNS1_3repE0EEENS1_30default_config_static_selectorELNS0_4arch9wavefront6targetE0EEEvSK_.has_indirect_call, or(0, .L_ZN7rocprim17ROCPRIM_400000_NS6detail15block_sort_implItNS0_10empty_typeELj256ELj32ELNS0_4arch9wavefront6targetE0EvE4sortIN6thrust23THRUST_200600_302600_NS6detail15normal_iteratorINSA_10device_ptrItEEEESF_PS3_SG_11less_div_10ItEEEvjbT_T0_T1_T2_T3_RNS7_12storage_typeE.has_indirect_call)
	.section	.AMDGPU.csdata,"",@progbits
; Kernel info:
; codeLenInByte = 228
; TotalNumSgprs: 98
; NumVgprs: 248
; ScratchSize: 128
; MemoryBound: 0
; FloatMode: 240
; IeeeMode: 1
; LDSByteSize: 16896 bytes/workgroup (compile time only)
; SGPRBlocks: 0
; VGPRBlocks: 30
; NumSGPRsForWavesPerEU: 98
; NumVGPRsForWavesPerEU: 248
; Occupancy: 4
; WaveLimiterHint : 1
; COMPUTE_PGM_RSRC2:SCRATCH_EN: 1
; COMPUTE_PGM_RSRC2:USER_SGPR: 6
; COMPUTE_PGM_RSRC2:TRAP_HANDLER: 0
; COMPUTE_PGM_RSRC2:TGID_X_EN: 1
; COMPUTE_PGM_RSRC2:TGID_Y_EN: 1
; COMPUTE_PGM_RSRC2:TGID_Z_EN: 1
; COMPUTE_PGM_RSRC2:TIDIG_COMP_CNT: 2
	.section	.text._ZN7rocprim17ROCPRIM_400000_NS6detail17trampoline_kernelINS0_14default_configENS1_38merge_sort_block_merge_config_selectorItNS0_10empty_typeEEEZZNS1_27merge_sort_block_merge_implIS3_N6thrust23THRUST_200600_302600_NS6detail15normal_iteratorINS9_10device_ptrItEEEEPS5_m11less_div_10ItEEE10hipError_tT0_T1_T2_jT3_P12ihipStream_tbPNSt15iterator_traitsISJ_E10value_typeEPNSP_ISK_E10value_typeEPSL_NS1_7vsmem_tEENKUlT_SJ_SK_SL_E_clIPtSE_SF_SF_EESI_SY_SJ_SK_SL_EUlSY_E_NS1_11comp_targetILNS1_3genE0ELNS1_11target_archE4294967295ELNS1_3gpuE0ELNS1_3repE0EEENS1_48merge_mergepath_partition_config_static_selectorELNS0_4arch9wavefront6targetE0EEEvSK_,"axG",@progbits,_ZN7rocprim17ROCPRIM_400000_NS6detail17trampoline_kernelINS0_14default_configENS1_38merge_sort_block_merge_config_selectorItNS0_10empty_typeEEEZZNS1_27merge_sort_block_merge_implIS3_N6thrust23THRUST_200600_302600_NS6detail15normal_iteratorINS9_10device_ptrItEEEEPS5_m11less_div_10ItEEE10hipError_tT0_T1_T2_jT3_P12ihipStream_tbPNSt15iterator_traitsISJ_E10value_typeEPNSP_ISK_E10value_typeEPSL_NS1_7vsmem_tEENKUlT_SJ_SK_SL_E_clIPtSE_SF_SF_EESI_SY_SJ_SK_SL_EUlSY_E_NS1_11comp_targetILNS1_3genE0ELNS1_11target_archE4294967295ELNS1_3gpuE0ELNS1_3repE0EEENS1_48merge_mergepath_partition_config_static_selectorELNS0_4arch9wavefront6targetE0EEEvSK_,comdat
	.protected	_ZN7rocprim17ROCPRIM_400000_NS6detail17trampoline_kernelINS0_14default_configENS1_38merge_sort_block_merge_config_selectorItNS0_10empty_typeEEEZZNS1_27merge_sort_block_merge_implIS3_N6thrust23THRUST_200600_302600_NS6detail15normal_iteratorINS9_10device_ptrItEEEEPS5_m11less_div_10ItEEE10hipError_tT0_T1_T2_jT3_P12ihipStream_tbPNSt15iterator_traitsISJ_E10value_typeEPNSP_ISK_E10value_typeEPSL_NS1_7vsmem_tEENKUlT_SJ_SK_SL_E_clIPtSE_SF_SF_EESI_SY_SJ_SK_SL_EUlSY_E_NS1_11comp_targetILNS1_3genE0ELNS1_11target_archE4294967295ELNS1_3gpuE0ELNS1_3repE0EEENS1_48merge_mergepath_partition_config_static_selectorELNS0_4arch9wavefront6targetE0EEEvSK_ ; -- Begin function _ZN7rocprim17ROCPRIM_400000_NS6detail17trampoline_kernelINS0_14default_configENS1_38merge_sort_block_merge_config_selectorItNS0_10empty_typeEEEZZNS1_27merge_sort_block_merge_implIS3_N6thrust23THRUST_200600_302600_NS6detail15normal_iteratorINS9_10device_ptrItEEEEPS5_m11less_div_10ItEEE10hipError_tT0_T1_T2_jT3_P12ihipStream_tbPNSt15iterator_traitsISJ_E10value_typeEPNSP_ISK_E10value_typeEPSL_NS1_7vsmem_tEENKUlT_SJ_SK_SL_E_clIPtSE_SF_SF_EESI_SY_SJ_SK_SL_EUlSY_E_NS1_11comp_targetILNS1_3genE0ELNS1_11target_archE4294967295ELNS1_3gpuE0ELNS1_3repE0EEENS1_48merge_mergepath_partition_config_static_selectorELNS0_4arch9wavefront6targetE0EEEvSK_
	.globl	_ZN7rocprim17ROCPRIM_400000_NS6detail17trampoline_kernelINS0_14default_configENS1_38merge_sort_block_merge_config_selectorItNS0_10empty_typeEEEZZNS1_27merge_sort_block_merge_implIS3_N6thrust23THRUST_200600_302600_NS6detail15normal_iteratorINS9_10device_ptrItEEEEPS5_m11less_div_10ItEEE10hipError_tT0_T1_T2_jT3_P12ihipStream_tbPNSt15iterator_traitsISJ_E10value_typeEPNSP_ISK_E10value_typeEPSL_NS1_7vsmem_tEENKUlT_SJ_SK_SL_E_clIPtSE_SF_SF_EESI_SY_SJ_SK_SL_EUlSY_E_NS1_11comp_targetILNS1_3genE0ELNS1_11target_archE4294967295ELNS1_3gpuE0ELNS1_3repE0EEENS1_48merge_mergepath_partition_config_static_selectorELNS0_4arch9wavefront6targetE0EEEvSK_
	.p2align	8
	.type	_ZN7rocprim17ROCPRIM_400000_NS6detail17trampoline_kernelINS0_14default_configENS1_38merge_sort_block_merge_config_selectorItNS0_10empty_typeEEEZZNS1_27merge_sort_block_merge_implIS3_N6thrust23THRUST_200600_302600_NS6detail15normal_iteratorINS9_10device_ptrItEEEEPS5_m11less_div_10ItEEE10hipError_tT0_T1_T2_jT3_P12ihipStream_tbPNSt15iterator_traitsISJ_E10value_typeEPNSP_ISK_E10value_typeEPSL_NS1_7vsmem_tEENKUlT_SJ_SK_SL_E_clIPtSE_SF_SF_EESI_SY_SJ_SK_SL_EUlSY_E_NS1_11comp_targetILNS1_3genE0ELNS1_11target_archE4294967295ELNS1_3gpuE0ELNS1_3repE0EEENS1_48merge_mergepath_partition_config_static_selectorELNS0_4arch9wavefront6targetE0EEEvSK_,@function
_ZN7rocprim17ROCPRIM_400000_NS6detail17trampoline_kernelINS0_14default_configENS1_38merge_sort_block_merge_config_selectorItNS0_10empty_typeEEEZZNS1_27merge_sort_block_merge_implIS3_N6thrust23THRUST_200600_302600_NS6detail15normal_iteratorINS9_10device_ptrItEEEEPS5_m11less_div_10ItEEE10hipError_tT0_T1_T2_jT3_P12ihipStream_tbPNSt15iterator_traitsISJ_E10value_typeEPNSP_ISK_E10value_typeEPSL_NS1_7vsmem_tEENKUlT_SJ_SK_SL_E_clIPtSE_SF_SF_EESI_SY_SJ_SK_SL_EUlSY_E_NS1_11comp_targetILNS1_3genE0ELNS1_11target_archE4294967295ELNS1_3gpuE0ELNS1_3repE0EEENS1_48merge_mergepath_partition_config_static_selectorELNS0_4arch9wavefront6targetE0EEEvSK_: ; @_ZN7rocprim17ROCPRIM_400000_NS6detail17trampoline_kernelINS0_14default_configENS1_38merge_sort_block_merge_config_selectorItNS0_10empty_typeEEEZZNS1_27merge_sort_block_merge_implIS3_N6thrust23THRUST_200600_302600_NS6detail15normal_iteratorINS9_10device_ptrItEEEEPS5_m11less_div_10ItEEE10hipError_tT0_T1_T2_jT3_P12ihipStream_tbPNSt15iterator_traitsISJ_E10value_typeEPNSP_ISK_E10value_typeEPSL_NS1_7vsmem_tEENKUlT_SJ_SK_SL_E_clIPtSE_SF_SF_EESI_SY_SJ_SK_SL_EUlSY_E_NS1_11comp_targetILNS1_3genE0ELNS1_11target_archE4294967295ELNS1_3gpuE0ELNS1_3repE0EEENS1_48merge_mergepath_partition_config_static_selectorELNS0_4arch9wavefront6targetE0EEEvSK_
; %bb.0:
	.section	.rodata,"a",@progbits
	.p2align	6, 0x0
	.amdhsa_kernel _ZN7rocprim17ROCPRIM_400000_NS6detail17trampoline_kernelINS0_14default_configENS1_38merge_sort_block_merge_config_selectorItNS0_10empty_typeEEEZZNS1_27merge_sort_block_merge_implIS3_N6thrust23THRUST_200600_302600_NS6detail15normal_iteratorINS9_10device_ptrItEEEEPS5_m11less_div_10ItEEE10hipError_tT0_T1_T2_jT3_P12ihipStream_tbPNSt15iterator_traitsISJ_E10value_typeEPNSP_ISK_E10value_typeEPSL_NS1_7vsmem_tEENKUlT_SJ_SK_SL_E_clIPtSE_SF_SF_EESI_SY_SJ_SK_SL_EUlSY_E_NS1_11comp_targetILNS1_3genE0ELNS1_11target_archE4294967295ELNS1_3gpuE0ELNS1_3repE0EEENS1_48merge_mergepath_partition_config_static_selectorELNS0_4arch9wavefront6targetE0EEEvSK_
		.amdhsa_group_segment_fixed_size 0
		.amdhsa_private_segment_fixed_size 0
		.amdhsa_kernarg_size 48
		.amdhsa_user_sgpr_count 6
		.amdhsa_user_sgpr_private_segment_buffer 1
		.amdhsa_user_sgpr_dispatch_ptr 0
		.amdhsa_user_sgpr_queue_ptr 0
		.amdhsa_user_sgpr_kernarg_segment_ptr 1
		.amdhsa_user_sgpr_dispatch_id 0
		.amdhsa_user_sgpr_flat_scratch_init 0
		.amdhsa_user_sgpr_private_segment_size 0
		.amdhsa_wavefront_size32 1
		.amdhsa_uses_dynamic_stack 0
		.amdhsa_system_sgpr_private_segment_wavefront_offset 0
		.amdhsa_system_sgpr_workgroup_id_x 1
		.amdhsa_system_sgpr_workgroup_id_y 0
		.amdhsa_system_sgpr_workgroup_id_z 0
		.amdhsa_system_sgpr_workgroup_info 0
		.amdhsa_system_vgpr_workitem_id 0
		.amdhsa_next_free_vgpr 1
		.amdhsa_next_free_sgpr 1
		.amdhsa_reserve_vcc 0
		.amdhsa_reserve_flat_scratch 0
		.amdhsa_float_round_mode_32 0
		.amdhsa_float_round_mode_16_64 0
		.amdhsa_float_denorm_mode_32 3
		.amdhsa_float_denorm_mode_16_64 3
		.amdhsa_dx10_clamp 1
		.amdhsa_ieee_mode 1
		.amdhsa_fp16_overflow 0
		.amdhsa_workgroup_processor_mode 1
		.amdhsa_memory_ordered 1
		.amdhsa_forward_progress 1
		.amdhsa_shared_vgpr_count 0
		.amdhsa_exception_fp_ieee_invalid_op 0
		.amdhsa_exception_fp_denorm_src 0
		.amdhsa_exception_fp_ieee_div_zero 0
		.amdhsa_exception_fp_ieee_overflow 0
		.amdhsa_exception_fp_ieee_underflow 0
		.amdhsa_exception_fp_ieee_inexact 0
		.amdhsa_exception_int_div_zero 0
	.end_amdhsa_kernel
	.section	.text._ZN7rocprim17ROCPRIM_400000_NS6detail17trampoline_kernelINS0_14default_configENS1_38merge_sort_block_merge_config_selectorItNS0_10empty_typeEEEZZNS1_27merge_sort_block_merge_implIS3_N6thrust23THRUST_200600_302600_NS6detail15normal_iteratorINS9_10device_ptrItEEEEPS5_m11less_div_10ItEEE10hipError_tT0_T1_T2_jT3_P12ihipStream_tbPNSt15iterator_traitsISJ_E10value_typeEPNSP_ISK_E10value_typeEPSL_NS1_7vsmem_tEENKUlT_SJ_SK_SL_E_clIPtSE_SF_SF_EESI_SY_SJ_SK_SL_EUlSY_E_NS1_11comp_targetILNS1_3genE0ELNS1_11target_archE4294967295ELNS1_3gpuE0ELNS1_3repE0EEENS1_48merge_mergepath_partition_config_static_selectorELNS0_4arch9wavefront6targetE0EEEvSK_,"axG",@progbits,_ZN7rocprim17ROCPRIM_400000_NS6detail17trampoline_kernelINS0_14default_configENS1_38merge_sort_block_merge_config_selectorItNS0_10empty_typeEEEZZNS1_27merge_sort_block_merge_implIS3_N6thrust23THRUST_200600_302600_NS6detail15normal_iteratorINS9_10device_ptrItEEEEPS5_m11less_div_10ItEEE10hipError_tT0_T1_T2_jT3_P12ihipStream_tbPNSt15iterator_traitsISJ_E10value_typeEPNSP_ISK_E10value_typeEPSL_NS1_7vsmem_tEENKUlT_SJ_SK_SL_E_clIPtSE_SF_SF_EESI_SY_SJ_SK_SL_EUlSY_E_NS1_11comp_targetILNS1_3genE0ELNS1_11target_archE4294967295ELNS1_3gpuE0ELNS1_3repE0EEENS1_48merge_mergepath_partition_config_static_selectorELNS0_4arch9wavefront6targetE0EEEvSK_,comdat
.Lfunc_end242:
	.size	_ZN7rocprim17ROCPRIM_400000_NS6detail17trampoline_kernelINS0_14default_configENS1_38merge_sort_block_merge_config_selectorItNS0_10empty_typeEEEZZNS1_27merge_sort_block_merge_implIS3_N6thrust23THRUST_200600_302600_NS6detail15normal_iteratorINS9_10device_ptrItEEEEPS5_m11less_div_10ItEEE10hipError_tT0_T1_T2_jT3_P12ihipStream_tbPNSt15iterator_traitsISJ_E10value_typeEPNSP_ISK_E10value_typeEPSL_NS1_7vsmem_tEENKUlT_SJ_SK_SL_E_clIPtSE_SF_SF_EESI_SY_SJ_SK_SL_EUlSY_E_NS1_11comp_targetILNS1_3genE0ELNS1_11target_archE4294967295ELNS1_3gpuE0ELNS1_3repE0EEENS1_48merge_mergepath_partition_config_static_selectorELNS0_4arch9wavefront6targetE0EEEvSK_, .Lfunc_end242-_ZN7rocprim17ROCPRIM_400000_NS6detail17trampoline_kernelINS0_14default_configENS1_38merge_sort_block_merge_config_selectorItNS0_10empty_typeEEEZZNS1_27merge_sort_block_merge_implIS3_N6thrust23THRUST_200600_302600_NS6detail15normal_iteratorINS9_10device_ptrItEEEEPS5_m11less_div_10ItEEE10hipError_tT0_T1_T2_jT3_P12ihipStream_tbPNSt15iterator_traitsISJ_E10value_typeEPNSP_ISK_E10value_typeEPSL_NS1_7vsmem_tEENKUlT_SJ_SK_SL_E_clIPtSE_SF_SF_EESI_SY_SJ_SK_SL_EUlSY_E_NS1_11comp_targetILNS1_3genE0ELNS1_11target_archE4294967295ELNS1_3gpuE0ELNS1_3repE0EEENS1_48merge_mergepath_partition_config_static_selectorELNS0_4arch9wavefront6targetE0EEEvSK_
                                        ; -- End function
	.set _ZN7rocprim17ROCPRIM_400000_NS6detail17trampoline_kernelINS0_14default_configENS1_38merge_sort_block_merge_config_selectorItNS0_10empty_typeEEEZZNS1_27merge_sort_block_merge_implIS3_N6thrust23THRUST_200600_302600_NS6detail15normal_iteratorINS9_10device_ptrItEEEEPS5_m11less_div_10ItEEE10hipError_tT0_T1_T2_jT3_P12ihipStream_tbPNSt15iterator_traitsISJ_E10value_typeEPNSP_ISK_E10value_typeEPSL_NS1_7vsmem_tEENKUlT_SJ_SK_SL_E_clIPtSE_SF_SF_EESI_SY_SJ_SK_SL_EUlSY_E_NS1_11comp_targetILNS1_3genE0ELNS1_11target_archE4294967295ELNS1_3gpuE0ELNS1_3repE0EEENS1_48merge_mergepath_partition_config_static_selectorELNS0_4arch9wavefront6targetE0EEEvSK_.num_vgpr, 0
	.set _ZN7rocprim17ROCPRIM_400000_NS6detail17trampoline_kernelINS0_14default_configENS1_38merge_sort_block_merge_config_selectorItNS0_10empty_typeEEEZZNS1_27merge_sort_block_merge_implIS3_N6thrust23THRUST_200600_302600_NS6detail15normal_iteratorINS9_10device_ptrItEEEEPS5_m11less_div_10ItEEE10hipError_tT0_T1_T2_jT3_P12ihipStream_tbPNSt15iterator_traitsISJ_E10value_typeEPNSP_ISK_E10value_typeEPSL_NS1_7vsmem_tEENKUlT_SJ_SK_SL_E_clIPtSE_SF_SF_EESI_SY_SJ_SK_SL_EUlSY_E_NS1_11comp_targetILNS1_3genE0ELNS1_11target_archE4294967295ELNS1_3gpuE0ELNS1_3repE0EEENS1_48merge_mergepath_partition_config_static_selectorELNS0_4arch9wavefront6targetE0EEEvSK_.num_agpr, 0
	.set _ZN7rocprim17ROCPRIM_400000_NS6detail17trampoline_kernelINS0_14default_configENS1_38merge_sort_block_merge_config_selectorItNS0_10empty_typeEEEZZNS1_27merge_sort_block_merge_implIS3_N6thrust23THRUST_200600_302600_NS6detail15normal_iteratorINS9_10device_ptrItEEEEPS5_m11less_div_10ItEEE10hipError_tT0_T1_T2_jT3_P12ihipStream_tbPNSt15iterator_traitsISJ_E10value_typeEPNSP_ISK_E10value_typeEPSL_NS1_7vsmem_tEENKUlT_SJ_SK_SL_E_clIPtSE_SF_SF_EESI_SY_SJ_SK_SL_EUlSY_E_NS1_11comp_targetILNS1_3genE0ELNS1_11target_archE4294967295ELNS1_3gpuE0ELNS1_3repE0EEENS1_48merge_mergepath_partition_config_static_selectorELNS0_4arch9wavefront6targetE0EEEvSK_.numbered_sgpr, 0
	.set _ZN7rocprim17ROCPRIM_400000_NS6detail17trampoline_kernelINS0_14default_configENS1_38merge_sort_block_merge_config_selectorItNS0_10empty_typeEEEZZNS1_27merge_sort_block_merge_implIS3_N6thrust23THRUST_200600_302600_NS6detail15normal_iteratorINS9_10device_ptrItEEEEPS5_m11less_div_10ItEEE10hipError_tT0_T1_T2_jT3_P12ihipStream_tbPNSt15iterator_traitsISJ_E10value_typeEPNSP_ISK_E10value_typeEPSL_NS1_7vsmem_tEENKUlT_SJ_SK_SL_E_clIPtSE_SF_SF_EESI_SY_SJ_SK_SL_EUlSY_E_NS1_11comp_targetILNS1_3genE0ELNS1_11target_archE4294967295ELNS1_3gpuE0ELNS1_3repE0EEENS1_48merge_mergepath_partition_config_static_selectorELNS0_4arch9wavefront6targetE0EEEvSK_.num_named_barrier, 0
	.set _ZN7rocprim17ROCPRIM_400000_NS6detail17trampoline_kernelINS0_14default_configENS1_38merge_sort_block_merge_config_selectorItNS0_10empty_typeEEEZZNS1_27merge_sort_block_merge_implIS3_N6thrust23THRUST_200600_302600_NS6detail15normal_iteratorINS9_10device_ptrItEEEEPS5_m11less_div_10ItEEE10hipError_tT0_T1_T2_jT3_P12ihipStream_tbPNSt15iterator_traitsISJ_E10value_typeEPNSP_ISK_E10value_typeEPSL_NS1_7vsmem_tEENKUlT_SJ_SK_SL_E_clIPtSE_SF_SF_EESI_SY_SJ_SK_SL_EUlSY_E_NS1_11comp_targetILNS1_3genE0ELNS1_11target_archE4294967295ELNS1_3gpuE0ELNS1_3repE0EEENS1_48merge_mergepath_partition_config_static_selectorELNS0_4arch9wavefront6targetE0EEEvSK_.private_seg_size, 0
	.set _ZN7rocprim17ROCPRIM_400000_NS6detail17trampoline_kernelINS0_14default_configENS1_38merge_sort_block_merge_config_selectorItNS0_10empty_typeEEEZZNS1_27merge_sort_block_merge_implIS3_N6thrust23THRUST_200600_302600_NS6detail15normal_iteratorINS9_10device_ptrItEEEEPS5_m11less_div_10ItEEE10hipError_tT0_T1_T2_jT3_P12ihipStream_tbPNSt15iterator_traitsISJ_E10value_typeEPNSP_ISK_E10value_typeEPSL_NS1_7vsmem_tEENKUlT_SJ_SK_SL_E_clIPtSE_SF_SF_EESI_SY_SJ_SK_SL_EUlSY_E_NS1_11comp_targetILNS1_3genE0ELNS1_11target_archE4294967295ELNS1_3gpuE0ELNS1_3repE0EEENS1_48merge_mergepath_partition_config_static_selectorELNS0_4arch9wavefront6targetE0EEEvSK_.uses_vcc, 0
	.set _ZN7rocprim17ROCPRIM_400000_NS6detail17trampoline_kernelINS0_14default_configENS1_38merge_sort_block_merge_config_selectorItNS0_10empty_typeEEEZZNS1_27merge_sort_block_merge_implIS3_N6thrust23THRUST_200600_302600_NS6detail15normal_iteratorINS9_10device_ptrItEEEEPS5_m11less_div_10ItEEE10hipError_tT0_T1_T2_jT3_P12ihipStream_tbPNSt15iterator_traitsISJ_E10value_typeEPNSP_ISK_E10value_typeEPSL_NS1_7vsmem_tEENKUlT_SJ_SK_SL_E_clIPtSE_SF_SF_EESI_SY_SJ_SK_SL_EUlSY_E_NS1_11comp_targetILNS1_3genE0ELNS1_11target_archE4294967295ELNS1_3gpuE0ELNS1_3repE0EEENS1_48merge_mergepath_partition_config_static_selectorELNS0_4arch9wavefront6targetE0EEEvSK_.uses_flat_scratch, 0
	.set _ZN7rocprim17ROCPRIM_400000_NS6detail17trampoline_kernelINS0_14default_configENS1_38merge_sort_block_merge_config_selectorItNS0_10empty_typeEEEZZNS1_27merge_sort_block_merge_implIS3_N6thrust23THRUST_200600_302600_NS6detail15normal_iteratorINS9_10device_ptrItEEEEPS5_m11less_div_10ItEEE10hipError_tT0_T1_T2_jT3_P12ihipStream_tbPNSt15iterator_traitsISJ_E10value_typeEPNSP_ISK_E10value_typeEPSL_NS1_7vsmem_tEENKUlT_SJ_SK_SL_E_clIPtSE_SF_SF_EESI_SY_SJ_SK_SL_EUlSY_E_NS1_11comp_targetILNS1_3genE0ELNS1_11target_archE4294967295ELNS1_3gpuE0ELNS1_3repE0EEENS1_48merge_mergepath_partition_config_static_selectorELNS0_4arch9wavefront6targetE0EEEvSK_.has_dyn_sized_stack, 0
	.set _ZN7rocprim17ROCPRIM_400000_NS6detail17trampoline_kernelINS0_14default_configENS1_38merge_sort_block_merge_config_selectorItNS0_10empty_typeEEEZZNS1_27merge_sort_block_merge_implIS3_N6thrust23THRUST_200600_302600_NS6detail15normal_iteratorINS9_10device_ptrItEEEEPS5_m11less_div_10ItEEE10hipError_tT0_T1_T2_jT3_P12ihipStream_tbPNSt15iterator_traitsISJ_E10value_typeEPNSP_ISK_E10value_typeEPSL_NS1_7vsmem_tEENKUlT_SJ_SK_SL_E_clIPtSE_SF_SF_EESI_SY_SJ_SK_SL_EUlSY_E_NS1_11comp_targetILNS1_3genE0ELNS1_11target_archE4294967295ELNS1_3gpuE0ELNS1_3repE0EEENS1_48merge_mergepath_partition_config_static_selectorELNS0_4arch9wavefront6targetE0EEEvSK_.has_recursion, 0
	.set _ZN7rocprim17ROCPRIM_400000_NS6detail17trampoline_kernelINS0_14default_configENS1_38merge_sort_block_merge_config_selectorItNS0_10empty_typeEEEZZNS1_27merge_sort_block_merge_implIS3_N6thrust23THRUST_200600_302600_NS6detail15normal_iteratorINS9_10device_ptrItEEEEPS5_m11less_div_10ItEEE10hipError_tT0_T1_T2_jT3_P12ihipStream_tbPNSt15iterator_traitsISJ_E10value_typeEPNSP_ISK_E10value_typeEPSL_NS1_7vsmem_tEENKUlT_SJ_SK_SL_E_clIPtSE_SF_SF_EESI_SY_SJ_SK_SL_EUlSY_E_NS1_11comp_targetILNS1_3genE0ELNS1_11target_archE4294967295ELNS1_3gpuE0ELNS1_3repE0EEENS1_48merge_mergepath_partition_config_static_selectorELNS0_4arch9wavefront6targetE0EEEvSK_.has_indirect_call, 0
	.section	.AMDGPU.csdata,"",@progbits
; Kernel info:
; codeLenInByte = 0
; TotalNumSgprs: 0
; NumVgprs: 0
; ScratchSize: 0
; MemoryBound: 0
; FloatMode: 240
; IeeeMode: 1
; LDSByteSize: 0 bytes/workgroup (compile time only)
; SGPRBlocks: 0
; VGPRBlocks: 0
; NumSGPRsForWavesPerEU: 1
; NumVGPRsForWavesPerEU: 1
; Occupancy: 16
; WaveLimiterHint : 0
; COMPUTE_PGM_RSRC2:SCRATCH_EN: 0
; COMPUTE_PGM_RSRC2:USER_SGPR: 6
; COMPUTE_PGM_RSRC2:TRAP_HANDLER: 0
; COMPUTE_PGM_RSRC2:TGID_X_EN: 1
; COMPUTE_PGM_RSRC2:TGID_Y_EN: 0
; COMPUTE_PGM_RSRC2:TGID_Z_EN: 0
; COMPUTE_PGM_RSRC2:TIDIG_COMP_CNT: 0
	.section	.text._ZN7rocprim17ROCPRIM_400000_NS6detail17trampoline_kernelINS0_14default_configENS1_38merge_sort_block_merge_config_selectorItNS0_10empty_typeEEEZZNS1_27merge_sort_block_merge_implIS3_N6thrust23THRUST_200600_302600_NS6detail15normal_iteratorINS9_10device_ptrItEEEEPS5_m11less_div_10ItEEE10hipError_tT0_T1_T2_jT3_P12ihipStream_tbPNSt15iterator_traitsISJ_E10value_typeEPNSP_ISK_E10value_typeEPSL_NS1_7vsmem_tEENKUlT_SJ_SK_SL_E_clIPtSE_SF_SF_EESI_SY_SJ_SK_SL_EUlSY_E_NS1_11comp_targetILNS1_3genE10ELNS1_11target_archE1201ELNS1_3gpuE5ELNS1_3repE0EEENS1_48merge_mergepath_partition_config_static_selectorELNS0_4arch9wavefront6targetE0EEEvSK_,"axG",@progbits,_ZN7rocprim17ROCPRIM_400000_NS6detail17trampoline_kernelINS0_14default_configENS1_38merge_sort_block_merge_config_selectorItNS0_10empty_typeEEEZZNS1_27merge_sort_block_merge_implIS3_N6thrust23THRUST_200600_302600_NS6detail15normal_iteratorINS9_10device_ptrItEEEEPS5_m11less_div_10ItEEE10hipError_tT0_T1_T2_jT3_P12ihipStream_tbPNSt15iterator_traitsISJ_E10value_typeEPNSP_ISK_E10value_typeEPSL_NS1_7vsmem_tEENKUlT_SJ_SK_SL_E_clIPtSE_SF_SF_EESI_SY_SJ_SK_SL_EUlSY_E_NS1_11comp_targetILNS1_3genE10ELNS1_11target_archE1201ELNS1_3gpuE5ELNS1_3repE0EEENS1_48merge_mergepath_partition_config_static_selectorELNS0_4arch9wavefront6targetE0EEEvSK_,comdat
	.protected	_ZN7rocprim17ROCPRIM_400000_NS6detail17trampoline_kernelINS0_14default_configENS1_38merge_sort_block_merge_config_selectorItNS0_10empty_typeEEEZZNS1_27merge_sort_block_merge_implIS3_N6thrust23THRUST_200600_302600_NS6detail15normal_iteratorINS9_10device_ptrItEEEEPS5_m11less_div_10ItEEE10hipError_tT0_T1_T2_jT3_P12ihipStream_tbPNSt15iterator_traitsISJ_E10value_typeEPNSP_ISK_E10value_typeEPSL_NS1_7vsmem_tEENKUlT_SJ_SK_SL_E_clIPtSE_SF_SF_EESI_SY_SJ_SK_SL_EUlSY_E_NS1_11comp_targetILNS1_3genE10ELNS1_11target_archE1201ELNS1_3gpuE5ELNS1_3repE0EEENS1_48merge_mergepath_partition_config_static_selectorELNS0_4arch9wavefront6targetE0EEEvSK_ ; -- Begin function _ZN7rocprim17ROCPRIM_400000_NS6detail17trampoline_kernelINS0_14default_configENS1_38merge_sort_block_merge_config_selectorItNS0_10empty_typeEEEZZNS1_27merge_sort_block_merge_implIS3_N6thrust23THRUST_200600_302600_NS6detail15normal_iteratorINS9_10device_ptrItEEEEPS5_m11less_div_10ItEEE10hipError_tT0_T1_T2_jT3_P12ihipStream_tbPNSt15iterator_traitsISJ_E10value_typeEPNSP_ISK_E10value_typeEPSL_NS1_7vsmem_tEENKUlT_SJ_SK_SL_E_clIPtSE_SF_SF_EESI_SY_SJ_SK_SL_EUlSY_E_NS1_11comp_targetILNS1_3genE10ELNS1_11target_archE1201ELNS1_3gpuE5ELNS1_3repE0EEENS1_48merge_mergepath_partition_config_static_selectorELNS0_4arch9wavefront6targetE0EEEvSK_
	.globl	_ZN7rocprim17ROCPRIM_400000_NS6detail17trampoline_kernelINS0_14default_configENS1_38merge_sort_block_merge_config_selectorItNS0_10empty_typeEEEZZNS1_27merge_sort_block_merge_implIS3_N6thrust23THRUST_200600_302600_NS6detail15normal_iteratorINS9_10device_ptrItEEEEPS5_m11less_div_10ItEEE10hipError_tT0_T1_T2_jT3_P12ihipStream_tbPNSt15iterator_traitsISJ_E10value_typeEPNSP_ISK_E10value_typeEPSL_NS1_7vsmem_tEENKUlT_SJ_SK_SL_E_clIPtSE_SF_SF_EESI_SY_SJ_SK_SL_EUlSY_E_NS1_11comp_targetILNS1_3genE10ELNS1_11target_archE1201ELNS1_3gpuE5ELNS1_3repE0EEENS1_48merge_mergepath_partition_config_static_selectorELNS0_4arch9wavefront6targetE0EEEvSK_
	.p2align	8
	.type	_ZN7rocprim17ROCPRIM_400000_NS6detail17trampoline_kernelINS0_14default_configENS1_38merge_sort_block_merge_config_selectorItNS0_10empty_typeEEEZZNS1_27merge_sort_block_merge_implIS3_N6thrust23THRUST_200600_302600_NS6detail15normal_iteratorINS9_10device_ptrItEEEEPS5_m11less_div_10ItEEE10hipError_tT0_T1_T2_jT3_P12ihipStream_tbPNSt15iterator_traitsISJ_E10value_typeEPNSP_ISK_E10value_typeEPSL_NS1_7vsmem_tEENKUlT_SJ_SK_SL_E_clIPtSE_SF_SF_EESI_SY_SJ_SK_SL_EUlSY_E_NS1_11comp_targetILNS1_3genE10ELNS1_11target_archE1201ELNS1_3gpuE5ELNS1_3repE0EEENS1_48merge_mergepath_partition_config_static_selectorELNS0_4arch9wavefront6targetE0EEEvSK_,@function
_ZN7rocprim17ROCPRIM_400000_NS6detail17trampoline_kernelINS0_14default_configENS1_38merge_sort_block_merge_config_selectorItNS0_10empty_typeEEEZZNS1_27merge_sort_block_merge_implIS3_N6thrust23THRUST_200600_302600_NS6detail15normal_iteratorINS9_10device_ptrItEEEEPS5_m11less_div_10ItEEE10hipError_tT0_T1_T2_jT3_P12ihipStream_tbPNSt15iterator_traitsISJ_E10value_typeEPNSP_ISK_E10value_typeEPSL_NS1_7vsmem_tEENKUlT_SJ_SK_SL_E_clIPtSE_SF_SF_EESI_SY_SJ_SK_SL_EUlSY_E_NS1_11comp_targetILNS1_3genE10ELNS1_11target_archE1201ELNS1_3gpuE5ELNS1_3repE0EEENS1_48merge_mergepath_partition_config_static_selectorELNS0_4arch9wavefront6targetE0EEEvSK_: ; @_ZN7rocprim17ROCPRIM_400000_NS6detail17trampoline_kernelINS0_14default_configENS1_38merge_sort_block_merge_config_selectorItNS0_10empty_typeEEEZZNS1_27merge_sort_block_merge_implIS3_N6thrust23THRUST_200600_302600_NS6detail15normal_iteratorINS9_10device_ptrItEEEEPS5_m11less_div_10ItEEE10hipError_tT0_T1_T2_jT3_P12ihipStream_tbPNSt15iterator_traitsISJ_E10value_typeEPNSP_ISK_E10value_typeEPSL_NS1_7vsmem_tEENKUlT_SJ_SK_SL_E_clIPtSE_SF_SF_EESI_SY_SJ_SK_SL_EUlSY_E_NS1_11comp_targetILNS1_3genE10ELNS1_11target_archE1201ELNS1_3gpuE5ELNS1_3repE0EEENS1_48merge_mergepath_partition_config_static_selectorELNS0_4arch9wavefront6targetE0EEEvSK_
; %bb.0:
	.section	.rodata,"a",@progbits
	.p2align	6, 0x0
	.amdhsa_kernel _ZN7rocprim17ROCPRIM_400000_NS6detail17trampoline_kernelINS0_14default_configENS1_38merge_sort_block_merge_config_selectorItNS0_10empty_typeEEEZZNS1_27merge_sort_block_merge_implIS3_N6thrust23THRUST_200600_302600_NS6detail15normal_iteratorINS9_10device_ptrItEEEEPS5_m11less_div_10ItEEE10hipError_tT0_T1_T2_jT3_P12ihipStream_tbPNSt15iterator_traitsISJ_E10value_typeEPNSP_ISK_E10value_typeEPSL_NS1_7vsmem_tEENKUlT_SJ_SK_SL_E_clIPtSE_SF_SF_EESI_SY_SJ_SK_SL_EUlSY_E_NS1_11comp_targetILNS1_3genE10ELNS1_11target_archE1201ELNS1_3gpuE5ELNS1_3repE0EEENS1_48merge_mergepath_partition_config_static_selectorELNS0_4arch9wavefront6targetE0EEEvSK_
		.amdhsa_group_segment_fixed_size 0
		.amdhsa_private_segment_fixed_size 0
		.amdhsa_kernarg_size 48
		.amdhsa_user_sgpr_count 6
		.amdhsa_user_sgpr_private_segment_buffer 1
		.amdhsa_user_sgpr_dispatch_ptr 0
		.amdhsa_user_sgpr_queue_ptr 0
		.amdhsa_user_sgpr_kernarg_segment_ptr 1
		.amdhsa_user_sgpr_dispatch_id 0
		.amdhsa_user_sgpr_flat_scratch_init 0
		.amdhsa_user_sgpr_private_segment_size 0
		.amdhsa_wavefront_size32 1
		.amdhsa_uses_dynamic_stack 0
		.amdhsa_system_sgpr_private_segment_wavefront_offset 0
		.amdhsa_system_sgpr_workgroup_id_x 1
		.amdhsa_system_sgpr_workgroup_id_y 0
		.amdhsa_system_sgpr_workgroup_id_z 0
		.amdhsa_system_sgpr_workgroup_info 0
		.amdhsa_system_vgpr_workitem_id 0
		.amdhsa_next_free_vgpr 1
		.amdhsa_next_free_sgpr 1
		.amdhsa_reserve_vcc 0
		.amdhsa_reserve_flat_scratch 0
		.amdhsa_float_round_mode_32 0
		.amdhsa_float_round_mode_16_64 0
		.amdhsa_float_denorm_mode_32 3
		.amdhsa_float_denorm_mode_16_64 3
		.amdhsa_dx10_clamp 1
		.amdhsa_ieee_mode 1
		.amdhsa_fp16_overflow 0
		.amdhsa_workgroup_processor_mode 1
		.amdhsa_memory_ordered 1
		.amdhsa_forward_progress 1
		.amdhsa_shared_vgpr_count 0
		.amdhsa_exception_fp_ieee_invalid_op 0
		.amdhsa_exception_fp_denorm_src 0
		.amdhsa_exception_fp_ieee_div_zero 0
		.amdhsa_exception_fp_ieee_overflow 0
		.amdhsa_exception_fp_ieee_underflow 0
		.amdhsa_exception_fp_ieee_inexact 0
		.amdhsa_exception_int_div_zero 0
	.end_amdhsa_kernel
	.section	.text._ZN7rocprim17ROCPRIM_400000_NS6detail17trampoline_kernelINS0_14default_configENS1_38merge_sort_block_merge_config_selectorItNS0_10empty_typeEEEZZNS1_27merge_sort_block_merge_implIS3_N6thrust23THRUST_200600_302600_NS6detail15normal_iteratorINS9_10device_ptrItEEEEPS5_m11less_div_10ItEEE10hipError_tT0_T1_T2_jT3_P12ihipStream_tbPNSt15iterator_traitsISJ_E10value_typeEPNSP_ISK_E10value_typeEPSL_NS1_7vsmem_tEENKUlT_SJ_SK_SL_E_clIPtSE_SF_SF_EESI_SY_SJ_SK_SL_EUlSY_E_NS1_11comp_targetILNS1_3genE10ELNS1_11target_archE1201ELNS1_3gpuE5ELNS1_3repE0EEENS1_48merge_mergepath_partition_config_static_selectorELNS0_4arch9wavefront6targetE0EEEvSK_,"axG",@progbits,_ZN7rocprim17ROCPRIM_400000_NS6detail17trampoline_kernelINS0_14default_configENS1_38merge_sort_block_merge_config_selectorItNS0_10empty_typeEEEZZNS1_27merge_sort_block_merge_implIS3_N6thrust23THRUST_200600_302600_NS6detail15normal_iteratorINS9_10device_ptrItEEEEPS5_m11less_div_10ItEEE10hipError_tT0_T1_T2_jT3_P12ihipStream_tbPNSt15iterator_traitsISJ_E10value_typeEPNSP_ISK_E10value_typeEPSL_NS1_7vsmem_tEENKUlT_SJ_SK_SL_E_clIPtSE_SF_SF_EESI_SY_SJ_SK_SL_EUlSY_E_NS1_11comp_targetILNS1_3genE10ELNS1_11target_archE1201ELNS1_3gpuE5ELNS1_3repE0EEENS1_48merge_mergepath_partition_config_static_selectorELNS0_4arch9wavefront6targetE0EEEvSK_,comdat
.Lfunc_end243:
	.size	_ZN7rocprim17ROCPRIM_400000_NS6detail17trampoline_kernelINS0_14default_configENS1_38merge_sort_block_merge_config_selectorItNS0_10empty_typeEEEZZNS1_27merge_sort_block_merge_implIS3_N6thrust23THRUST_200600_302600_NS6detail15normal_iteratorINS9_10device_ptrItEEEEPS5_m11less_div_10ItEEE10hipError_tT0_T1_T2_jT3_P12ihipStream_tbPNSt15iterator_traitsISJ_E10value_typeEPNSP_ISK_E10value_typeEPSL_NS1_7vsmem_tEENKUlT_SJ_SK_SL_E_clIPtSE_SF_SF_EESI_SY_SJ_SK_SL_EUlSY_E_NS1_11comp_targetILNS1_3genE10ELNS1_11target_archE1201ELNS1_3gpuE5ELNS1_3repE0EEENS1_48merge_mergepath_partition_config_static_selectorELNS0_4arch9wavefront6targetE0EEEvSK_, .Lfunc_end243-_ZN7rocprim17ROCPRIM_400000_NS6detail17trampoline_kernelINS0_14default_configENS1_38merge_sort_block_merge_config_selectorItNS0_10empty_typeEEEZZNS1_27merge_sort_block_merge_implIS3_N6thrust23THRUST_200600_302600_NS6detail15normal_iteratorINS9_10device_ptrItEEEEPS5_m11less_div_10ItEEE10hipError_tT0_T1_T2_jT3_P12ihipStream_tbPNSt15iterator_traitsISJ_E10value_typeEPNSP_ISK_E10value_typeEPSL_NS1_7vsmem_tEENKUlT_SJ_SK_SL_E_clIPtSE_SF_SF_EESI_SY_SJ_SK_SL_EUlSY_E_NS1_11comp_targetILNS1_3genE10ELNS1_11target_archE1201ELNS1_3gpuE5ELNS1_3repE0EEENS1_48merge_mergepath_partition_config_static_selectorELNS0_4arch9wavefront6targetE0EEEvSK_
                                        ; -- End function
	.set _ZN7rocprim17ROCPRIM_400000_NS6detail17trampoline_kernelINS0_14default_configENS1_38merge_sort_block_merge_config_selectorItNS0_10empty_typeEEEZZNS1_27merge_sort_block_merge_implIS3_N6thrust23THRUST_200600_302600_NS6detail15normal_iteratorINS9_10device_ptrItEEEEPS5_m11less_div_10ItEEE10hipError_tT0_T1_T2_jT3_P12ihipStream_tbPNSt15iterator_traitsISJ_E10value_typeEPNSP_ISK_E10value_typeEPSL_NS1_7vsmem_tEENKUlT_SJ_SK_SL_E_clIPtSE_SF_SF_EESI_SY_SJ_SK_SL_EUlSY_E_NS1_11comp_targetILNS1_3genE10ELNS1_11target_archE1201ELNS1_3gpuE5ELNS1_3repE0EEENS1_48merge_mergepath_partition_config_static_selectorELNS0_4arch9wavefront6targetE0EEEvSK_.num_vgpr, 0
	.set _ZN7rocprim17ROCPRIM_400000_NS6detail17trampoline_kernelINS0_14default_configENS1_38merge_sort_block_merge_config_selectorItNS0_10empty_typeEEEZZNS1_27merge_sort_block_merge_implIS3_N6thrust23THRUST_200600_302600_NS6detail15normal_iteratorINS9_10device_ptrItEEEEPS5_m11less_div_10ItEEE10hipError_tT0_T1_T2_jT3_P12ihipStream_tbPNSt15iterator_traitsISJ_E10value_typeEPNSP_ISK_E10value_typeEPSL_NS1_7vsmem_tEENKUlT_SJ_SK_SL_E_clIPtSE_SF_SF_EESI_SY_SJ_SK_SL_EUlSY_E_NS1_11comp_targetILNS1_3genE10ELNS1_11target_archE1201ELNS1_3gpuE5ELNS1_3repE0EEENS1_48merge_mergepath_partition_config_static_selectorELNS0_4arch9wavefront6targetE0EEEvSK_.num_agpr, 0
	.set _ZN7rocprim17ROCPRIM_400000_NS6detail17trampoline_kernelINS0_14default_configENS1_38merge_sort_block_merge_config_selectorItNS0_10empty_typeEEEZZNS1_27merge_sort_block_merge_implIS3_N6thrust23THRUST_200600_302600_NS6detail15normal_iteratorINS9_10device_ptrItEEEEPS5_m11less_div_10ItEEE10hipError_tT0_T1_T2_jT3_P12ihipStream_tbPNSt15iterator_traitsISJ_E10value_typeEPNSP_ISK_E10value_typeEPSL_NS1_7vsmem_tEENKUlT_SJ_SK_SL_E_clIPtSE_SF_SF_EESI_SY_SJ_SK_SL_EUlSY_E_NS1_11comp_targetILNS1_3genE10ELNS1_11target_archE1201ELNS1_3gpuE5ELNS1_3repE0EEENS1_48merge_mergepath_partition_config_static_selectorELNS0_4arch9wavefront6targetE0EEEvSK_.numbered_sgpr, 0
	.set _ZN7rocprim17ROCPRIM_400000_NS6detail17trampoline_kernelINS0_14default_configENS1_38merge_sort_block_merge_config_selectorItNS0_10empty_typeEEEZZNS1_27merge_sort_block_merge_implIS3_N6thrust23THRUST_200600_302600_NS6detail15normal_iteratorINS9_10device_ptrItEEEEPS5_m11less_div_10ItEEE10hipError_tT0_T1_T2_jT3_P12ihipStream_tbPNSt15iterator_traitsISJ_E10value_typeEPNSP_ISK_E10value_typeEPSL_NS1_7vsmem_tEENKUlT_SJ_SK_SL_E_clIPtSE_SF_SF_EESI_SY_SJ_SK_SL_EUlSY_E_NS1_11comp_targetILNS1_3genE10ELNS1_11target_archE1201ELNS1_3gpuE5ELNS1_3repE0EEENS1_48merge_mergepath_partition_config_static_selectorELNS0_4arch9wavefront6targetE0EEEvSK_.num_named_barrier, 0
	.set _ZN7rocprim17ROCPRIM_400000_NS6detail17trampoline_kernelINS0_14default_configENS1_38merge_sort_block_merge_config_selectorItNS0_10empty_typeEEEZZNS1_27merge_sort_block_merge_implIS3_N6thrust23THRUST_200600_302600_NS6detail15normal_iteratorINS9_10device_ptrItEEEEPS5_m11less_div_10ItEEE10hipError_tT0_T1_T2_jT3_P12ihipStream_tbPNSt15iterator_traitsISJ_E10value_typeEPNSP_ISK_E10value_typeEPSL_NS1_7vsmem_tEENKUlT_SJ_SK_SL_E_clIPtSE_SF_SF_EESI_SY_SJ_SK_SL_EUlSY_E_NS1_11comp_targetILNS1_3genE10ELNS1_11target_archE1201ELNS1_3gpuE5ELNS1_3repE0EEENS1_48merge_mergepath_partition_config_static_selectorELNS0_4arch9wavefront6targetE0EEEvSK_.private_seg_size, 0
	.set _ZN7rocprim17ROCPRIM_400000_NS6detail17trampoline_kernelINS0_14default_configENS1_38merge_sort_block_merge_config_selectorItNS0_10empty_typeEEEZZNS1_27merge_sort_block_merge_implIS3_N6thrust23THRUST_200600_302600_NS6detail15normal_iteratorINS9_10device_ptrItEEEEPS5_m11less_div_10ItEEE10hipError_tT0_T1_T2_jT3_P12ihipStream_tbPNSt15iterator_traitsISJ_E10value_typeEPNSP_ISK_E10value_typeEPSL_NS1_7vsmem_tEENKUlT_SJ_SK_SL_E_clIPtSE_SF_SF_EESI_SY_SJ_SK_SL_EUlSY_E_NS1_11comp_targetILNS1_3genE10ELNS1_11target_archE1201ELNS1_3gpuE5ELNS1_3repE0EEENS1_48merge_mergepath_partition_config_static_selectorELNS0_4arch9wavefront6targetE0EEEvSK_.uses_vcc, 0
	.set _ZN7rocprim17ROCPRIM_400000_NS6detail17trampoline_kernelINS0_14default_configENS1_38merge_sort_block_merge_config_selectorItNS0_10empty_typeEEEZZNS1_27merge_sort_block_merge_implIS3_N6thrust23THRUST_200600_302600_NS6detail15normal_iteratorINS9_10device_ptrItEEEEPS5_m11less_div_10ItEEE10hipError_tT0_T1_T2_jT3_P12ihipStream_tbPNSt15iterator_traitsISJ_E10value_typeEPNSP_ISK_E10value_typeEPSL_NS1_7vsmem_tEENKUlT_SJ_SK_SL_E_clIPtSE_SF_SF_EESI_SY_SJ_SK_SL_EUlSY_E_NS1_11comp_targetILNS1_3genE10ELNS1_11target_archE1201ELNS1_3gpuE5ELNS1_3repE0EEENS1_48merge_mergepath_partition_config_static_selectorELNS0_4arch9wavefront6targetE0EEEvSK_.uses_flat_scratch, 0
	.set _ZN7rocprim17ROCPRIM_400000_NS6detail17trampoline_kernelINS0_14default_configENS1_38merge_sort_block_merge_config_selectorItNS0_10empty_typeEEEZZNS1_27merge_sort_block_merge_implIS3_N6thrust23THRUST_200600_302600_NS6detail15normal_iteratorINS9_10device_ptrItEEEEPS5_m11less_div_10ItEEE10hipError_tT0_T1_T2_jT3_P12ihipStream_tbPNSt15iterator_traitsISJ_E10value_typeEPNSP_ISK_E10value_typeEPSL_NS1_7vsmem_tEENKUlT_SJ_SK_SL_E_clIPtSE_SF_SF_EESI_SY_SJ_SK_SL_EUlSY_E_NS1_11comp_targetILNS1_3genE10ELNS1_11target_archE1201ELNS1_3gpuE5ELNS1_3repE0EEENS1_48merge_mergepath_partition_config_static_selectorELNS0_4arch9wavefront6targetE0EEEvSK_.has_dyn_sized_stack, 0
	.set _ZN7rocprim17ROCPRIM_400000_NS6detail17trampoline_kernelINS0_14default_configENS1_38merge_sort_block_merge_config_selectorItNS0_10empty_typeEEEZZNS1_27merge_sort_block_merge_implIS3_N6thrust23THRUST_200600_302600_NS6detail15normal_iteratorINS9_10device_ptrItEEEEPS5_m11less_div_10ItEEE10hipError_tT0_T1_T2_jT3_P12ihipStream_tbPNSt15iterator_traitsISJ_E10value_typeEPNSP_ISK_E10value_typeEPSL_NS1_7vsmem_tEENKUlT_SJ_SK_SL_E_clIPtSE_SF_SF_EESI_SY_SJ_SK_SL_EUlSY_E_NS1_11comp_targetILNS1_3genE10ELNS1_11target_archE1201ELNS1_3gpuE5ELNS1_3repE0EEENS1_48merge_mergepath_partition_config_static_selectorELNS0_4arch9wavefront6targetE0EEEvSK_.has_recursion, 0
	.set _ZN7rocprim17ROCPRIM_400000_NS6detail17trampoline_kernelINS0_14default_configENS1_38merge_sort_block_merge_config_selectorItNS0_10empty_typeEEEZZNS1_27merge_sort_block_merge_implIS3_N6thrust23THRUST_200600_302600_NS6detail15normal_iteratorINS9_10device_ptrItEEEEPS5_m11less_div_10ItEEE10hipError_tT0_T1_T2_jT3_P12ihipStream_tbPNSt15iterator_traitsISJ_E10value_typeEPNSP_ISK_E10value_typeEPSL_NS1_7vsmem_tEENKUlT_SJ_SK_SL_E_clIPtSE_SF_SF_EESI_SY_SJ_SK_SL_EUlSY_E_NS1_11comp_targetILNS1_3genE10ELNS1_11target_archE1201ELNS1_3gpuE5ELNS1_3repE0EEENS1_48merge_mergepath_partition_config_static_selectorELNS0_4arch9wavefront6targetE0EEEvSK_.has_indirect_call, 0
	.section	.AMDGPU.csdata,"",@progbits
; Kernel info:
; codeLenInByte = 0
; TotalNumSgprs: 0
; NumVgprs: 0
; ScratchSize: 0
; MemoryBound: 0
; FloatMode: 240
; IeeeMode: 1
; LDSByteSize: 0 bytes/workgroup (compile time only)
; SGPRBlocks: 0
; VGPRBlocks: 0
; NumSGPRsForWavesPerEU: 1
; NumVGPRsForWavesPerEU: 1
; Occupancy: 16
; WaveLimiterHint : 0
; COMPUTE_PGM_RSRC2:SCRATCH_EN: 0
; COMPUTE_PGM_RSRC2:USER_SGPR: 6
; COMPUTE_PGM_RSRC2:TRAP_HANDLER: 0
; COMPUTE_PGM_RSRC2:TGID_X_EN: 1
; COMPUTE_PGM_RSRC2:TGID_Y_EN: 0
; COMPUTE_PGM_RSRC2:TGID_Z_EN: 0
; COMPUTE_PGM_RSRC2:TIDIG_COMP_CNT: 0
	.section	.text._ZN7rocprim17ROCPRIM_400000_NS6detail17trampoline_kernelINS0_14default_configENS1_38merge_sort_block_merge_config_selectorItNS0_10empty_typeEEEZZNS1_27merge_sort_block_merge_implIS3_N6thrust23THRUST_200600_302600_NS6detail15normal_iteratorINS9_10device_ptrItEEEEPS5_m11less_div_10ItEEE10hipError_tT0_T1_T2_jT3_P12ihipStream_tbPNSt15iterator_traitsISJ_E10value_typeEPNSP_ISK_E10value_typeEPSL_NS1_7vsmem_tEENKUlT_SJ_SK_SL_E_clIPtSE_SF_SF_EESI_SY_SJ_SK_SL_EUlSY_E_NS1_11comp_targetILNS1_3genE5ELNS1_11target_archE942ELNS1_3gpuE9ELNS1_3repE0EEENS1_48merge_mergepath_partition_config_static_selectorELNS0_4arch9wavefront6targetE0EEEvSK_,"axG",@progbits,_ZN7rocprim17ROCPRIM_400000_NS6detail17trampoline_kernelINS0_14default_configENS1_38merge_sort_block_merge_config_selectorItNS0_10empty_typeEEEZZNS1_27merge_sort_block_merge_implIS3_N6thrust23THRUST_200600_302600_NS6detail15normal_iteratorINS9_10device_ptrItEEEEPS5_m11less_div_10ItEEE10hipError_tT0_T1_T2_jT3_P12ihipStream_tbPNSt15iterator_traitsISJ_E10value_typeEPNSP_ISK_E10value_typeEPSL_NS1_7vsmem_tEENKUlT_SJ_SK_SL_E_clIPtSE_SF_SF_EESI_SY_SJ_SK_SL_EUlSY_E_NS1_11comp_targetILNS1_3genE5ELNS1_11target_archE942ELNS1_3gpuE9ELNS1_3repE0EEENS1_48merge_mergepath_partition_config_static_selectorELNS0_4arch9wavefront6targetE0EEEvSK_,comdat
	.protected	_ZN7rocprim17ROCPRIM_400000_NS6detail17trampoline_kernelINS0_14default_configENS1_38merge_sort_block_merge_config_selectorItNS0_10empty_typeEEEZZNS1_27merge_sort_block_merge_implIS3_N6thrust23THRUST_200600_302600_NS6detail15normal_iteratorINS9_10device_ptrItEEEEPS5_m11less_div_10ItEEE10hipError_tT0_T1_T2_jT3_P12ihipStream_tbPNSt15iterator_traitsISJ_E10value_typeEPNSP_ISK_E10value_typeEPSL_NS1_7vsmem_tEENKUlT_SJ_SK_SL_E_clIPtSE_SF_SF_EESI_SY_SJ_SK_SL_EUlSY_E_NS1_11comp_targetILNS1_3genE5ELNS1_11target_archE942ELNS1_3gpuE9ELNS1_3repE0EEENS1_48merge_mergepath_partition_config_static_selectorELNS0_4arch9wavefront6targetE0EEEvSK_ ; -- Begin function _ZN7rocprim17ROCPRIM_400000_NS6detail17trampoline_kernelINS0_14default_configENS1_38merge_sort_block_merge_config_selectorItNS0_10empty_typeEEEZZNS1_27merge_sort_block_merge_implIS3_N6thrust23THRUST_200600_302600_NS6detail15normal_iteratorINS9_10device_ptrItEEEEPS5_m11less_div_10ItEEE10hipError_tT0_T1_T2_jT3_P12ihipStream_tbPNSt15iterator_traitsISJ_E10value_typeEPNSP_ISK_E10value_typeEPSL_NS1_7vsmem_tEENKUlT_SJ_SK_SL_E_clIPtSE_SF_SF_EESI_SY_SJ_SK_SL_EUlSY_E_NS1_11comp_targetILNS1_3genE5ELNS1_11target_archE942ELNS1_3gpuE9ELNS1_3repE0EEENS1_48merge_mergepath_partition_config_static_selectorELNS0_4arch9wavefront6targetE0EEEvSK_
	.globl	_ZN7rocprim17ROCPRIM_400000_NS6detail17trampoline_kernelINS0_14default_configENS1_38merge_sort_block_merge_config_selectorItNS0_10empty_typeEEEZZNS1_27merge_sort_block_merge_implIS3_N6thrust23THRUST_200600_302600_NS6detail15normal_iteratorINS9_10device_ptrItEEEEPS5_m11less_div_10ItEEE10hipError_tT0_T1_T2_jT3_P12ihipStream_tbPNSt15iterator_traitsISJ_E10value_typeEPNSP_ISK_E10value_typeEPSL_NS1_7vsmem_tEENKUlT_SJ_SK_SL_E_clIPtSE_SF_SF_EESI_SY_SJ_SK_SL_EUlSY_E_NS1_11comp_targetILNS1_3genE5ELNS1_11target_archE942ELNS1_3gpuE9ELNS1_3repE0EEENS1_48merge_mergepath_partition_config_static_selectorELNS0_4arch9wavefront6targetE0EEEvSK_
	.p2align	8
	.type	_ZN7rocprim17ROCPRIM_400000_NS6detail17trampoline_kernelINS0_14default_configENS1_38merge_sort_block_merge_config_selectorItNS0_10empty_typeEEEZZNS1_27merge_sort_block_merge_implIS3_N6thrust23THRUST_200600_302600_NS6detail15normal_iteratorINS9_10device_ptrItEEEEPS5_m11less_div_10ItEEE10hipError_tT0_T1_T2_jT3_P12ihipStream_tbPNSt15iterator_traitsISJ_E10value_typeEPNSP_ISK_E10value_typeEPSL_NS1_7vsmem_tEENKUlT_SJ_SK_SL_E_clIPtSE_SF_SF_EESI_SY_SJ_SK_SL_EUlSY_E_NS1_11comp_targetILNS1_3genE5ELNS1_11target_archE942ELNS1_3gpuE9ELNS1_3repE0EEENS1_48merge_mergepath_partition_config_static_selectorELNS0_4arch9wavefront6targetE0EEEvSK_,@function
_ZN7rocprim17ROCPRIM_400000_NS6detail17trampoline_kernelINS0_14default_configENS1_38merge_sort_block_merge_config_selectorItNS0_10empty_typeEEEZZNS1_27merge_sort_block_merge_implIS3_N6thrust23THRUST_200600_302600_NS6detail15normal_iteratorINS9_10device_ptrItEEEEPS5_m11less_div_10ItEEE10hipError_tT0_T1_T2_jT3_P12ihipStream_tbPNSt15iterator_traitsISJ_E10value_typeEPNSP_ISK_E10value_typeEPSL_NS1_7vsmem_tEENKUlT_SJ_SK_SL_E_clIPtSE_SF_SF_EESI_SY_SJ_SK_SL_EUlSY_E_NS1_11comp_targetILNS1_3genE5ELNS1_11target_archE942ELNS1_3gpuE9ELNS1_3repE0EEENS1_48merge_mergepath_partition_config_static_selectorELNS0_4arch9wavefront6targetE0EEEvSK_: ; @_ZN7rocprim17ROCPRIM_400000_NS6detail17trampoline_kernelINS0_14default_configENS1_38merge_sort_block_merge_config_selectorItNS0_10empty_typeEEEZZNS1_27merge_sort_block_merge_implIS3_N6thrust23THRUST_200600_302600_NS6detail15normal_iteratorINS9_10device_ptrItEEEEPS5_m11less_div_10ItEEE10hipError_tT0_T1_T2_jT3_P12ihipStream_tbPNSt15iterator_traitsISJ_E10value_typeEPNSP_ISK_E10value_typeEPSL_NS1_7vsmem_tEENKUlT_SJ_SK_SL_E_clIPtSE_SF_SF_EESI_SY_SJ_SK_SL_EUlSY_E_NS1_11comp_targetILNS1_3genE5ELNS1_11target_archE942ELNS1_3gpuE9ELNS1_3repE0EEENS1_48merge_mergepath_partition_config_static_selectorELNS0_4arch9wavefront6targetE0EEEvSK_
; %bb.0:
	.section	.rodata,"a",@progbits
	.p2align	6, 0x0
	.amdhsa_kernel _ZN7rocprim17ROCPRIM_400000_NS6detail17trampoline_kernelINS0_14default_configENS1_38merge_sort_block_merge_config_selectorItNS0_10empty_typeEEEZZNS1_27merge_sort_block_merge_implIS3_N6thrust23THRUST_200600_302600_NS6detail15normal_iteratorINS9_10device_ptrItEEEEPS5_m11less_div_10ItEEE10hipError_tT0_T1_T2_jT3_P12ihipStream_tbPNSt15iterator_traitsISJ_E10value_typeEPNSP_ISK_E10value_typeEPSL_NS1_7vsmem_tEENKUlT_SJ_SK_SL_E_clIPtSE_SF_SF_EESI_SY_SJ_SK_SL_EUlSY_E_NS1_11comp_targetILNS1_3genE5ELNS1_11target_archE942ELNS1_3gpuE9ELNS1_3repE0EEENS1_48merge_mergepath_partition_config_static_selectorELNS0_4arch9wavefront6targetE0EEEvSK_
		.amdhsa_group_segment_fixed_size 0
		.amdhsa_private_segment_fixed_size 0
		.amdhsa_kernarg_size 48
		.amdhsa_user_sgpr_count 6
		.amdhsa_user_sgpr_private_segment_buffer 1
		.amdhsa_user_sgpr_dispatch_ptr 0
		.amdhsa_user_sgpr_queue_ptr 0
		.amdhsa_user_sgpr_kernarg_segment_ptr 1
		.amdhsa_user_sgpr_dispatch_id 0
		.amdhsa_user_sgpr_flat_scratch_init 0
		.amdhsa_user_sgpr_private_segment_size 0
		.amdhsa_wavefront_size32 1
		.amdhsa_uses_dynamic_stack 0
		.amdhsa_system_sgpr_private_segment_wavefront_offset 0
		.amdhsa_system_sgpr_workgroup_id_x 1
		.amdhsa_system_sgpr_workgroup_id_y 0
		.amdhsa_system_sgpr_workgroup_id_z 0
		.amdhsa_system_sgpr_workgroup_info 0
		.amdhsa_system_vgpr_workitem_id 0
		.amdhsa_next_free_vgpr 1
		.amdhsa_next_free_sgpr 1
		.amdhsa_reserve_vcc 0
		.amdhsa_reserve_flat_scratch 0
		.amdhsa_float_round_mode_32 0
		.amdhsa_float_round_mode_16_64 0
		.amdhsa_float_denorm_mode_32 3
		.amdhsa_float_denorm_mode_16_64 3
		.amdhsa_dx10_clamp 1
		.amdhsa_ieee_mode 1
		.amdhsa_fp16_overflow 0
		.amdhsa_workgroup_processor_mode 1
		.amdhsa_memory_ordered 1
		.amdhsa_forward_progress 1
		.amdhsa_shared_vgpr_count 0
		.amdhsa_exception_fp_ieee_invalid_op 0
		.amdhsa_exception_fp_denorm_src 0
		.amdhsa_exception_fp_ieee_div_zero 0
		.amdhsa_exception_fp_ieee_overflow 0
		.amdhsa_exception_fp_ieee_underflow 0
		.amdhsa_exception_fp_ieee_inexact 0
		.amdhsa_exception_int_div_zero 0
	.end_amdhsa_kernel
	.section	.text._ZN7rocprim17ROCPRIM_400000_NS6detail17trampoline_kernelINS0_14default_configENS1_38merge_sort_block_merge_config_selectorItNS0_10empty_typeEEEZZNS1_27merge_sort_block_merge_implIS3_N6thrust23THRUST_200600_302600_NS6detail15normal_iteratorINS9_10device_ptrItEEEEPS5_m11less_div_10ItEEE10hipError_tT0_T1_T2_jT3_P12ihipStream_tbPNSt15iterator_traitsISJ_E10value_typeEPNSP_ISK_E10value_typeEPSL_NS1_7vsmem_tEENKUlT_SJ_SK_SL_E_clIPtSE_SF_SF_EESI_SY_SJ_SK_SL_EUlSY_E_NS1_11comp_targetILNS1_3genE5ELNS1_11target_archE942ELNS1_3gpuE9ELNS1_3repE0EEENS1_48merge_mergepath_partition_config_static_selectorELNS0_4arch9wavefront6targetE0EEEvSK_,"axG",@progbits,_ZN7rocprim17ROCPRIM_400000_NS6detail17trampoline_kernelINS0_14default_configENS1_38merge_sort_block_merge_config_selectorItNS0_10empty_typeEEEZZNS1_27merge_sort_block_merge_implIS3_N6thrust23THRUST_200600_302600_NS6detail15normal_iteratorINS9_10device_ptrItEEEEPS5_m11less_div_10ItEEE10hipError_tT0_T1_T2_jT3_P12ihipStream_tbPNSt15iterator_traitsISJ_E10value_typeEPNSP_ISK_E10value_typeEPSL_NS1_7vsmem_tEENKUlT_SJ_SK_SL_E_clIPtSE_SF_SF_EESI_SY_SJ_SK_SL_EUlSY_E_NS1_11comp_targetILNS1_3genE5ELNS1_11target_archE942ELNS1_3gpuE9ELNS1_3repE0EEENS1_48merge_mergepath_partition_config_static_selectorELNS0_4arch9wavefront6targetE0EEEvSK_,comdat
.Lfunc_end244:
	.size	_ZN7rocprim17ROCPRIM_400000_NS6detail17trampoline_kernelINS0_14default_configENS1_38merge_sort_block_merge_config_selectorItNS0_10empty_typeEEEZZNS1_27merge_sort_block_merge_implIS3_N6thrust23THRUST_200600_302600_NS6detail15normal_iteratorINS9_10device_ptrItEEEEPS5_m11less_div_10ItEEE10hipError_tT0_T1_T2_jT3_P12ihipStream_tbPNSt15iterator_traitsISJ_E10value_typeEPNSP_ISK_E10value_typeEPSL_NS1_7vsmem_tEENKUlT_SJ_SK_SL_E_clIPtSE_SF_SF_EESI_SY_SJ_SK_SL_EUlSY_E_NS1_11comp_targetILNS1_3genE5ELNS1_11target_archE942ELNS1_3gpuE9ELNS1_3repE0EEENS1_48merge_mergepath_partition_config_static_selectorELNS0_4arch9wavefront6targetE0EEEvSK_, .Lfunc_end244-_ZN7rocprim17ROCPRIM_400000_NS6detail17trampoline_kernelINS0_14default_configENS1_38merge_sort_block_merge_config_selectorItNS0_10empty_typeEEEZZNS1_27merge_sort_block_merge_implIS3_N6thrust23THRUST_200600_302600_NS6detail15normal_iteratorINS9_10device_ptrItEEEEPS5_m11less_div_10ItEEE10hipError_tT0_T1_T2_jT3_P12ihipStream_tbPNSt15iterator_traitsISJ_E10value_typeEPNSP_ISK_E10value_typeEPSL_NS1_7vsmem_tEENKUlT_SJ_SK_SL_E_clIPtSE_SF_SF_EESI_SY_SJ_SK_SL_EUlSY_E_NS1_11comp_targetILNS1_3genE5ELNS1_11target_archE942ELNS1_3gpuE9ELNS1_3repE0EEENS1_48merge_mergepath_partition_config_static_selectorELNS0_4arch9wavefront6targetE0EEEvSK_
                                        ; -- End function
	.set _ZN7rocprim17ROCPRIM_400000_NS6detail17trampoline_kernelINS0_14default_configENS1_38merge_sort_block_merge_config_selectorItNS0_10empty_typeEEEZZNS1_27merge_sort_block_merge_implIS3_N6thrust23THRUST_200600_302600_NS6detail15normal_iteratorINS9_10device_ptrItEEEEPS5_m11less_div_10ItEEE10hipError_tT0_T1_T2_jT3_P12ihipStream_tbPNSt15iterator_traitsISJ_E10value_typeEPNSP_ISK_E10value_typeEPSL_NS1_7vsmem_tEENKUlT_SJ_SK_SL_E_clIPtSE_SF_SF_EESI_SY_SJ_SK_SL_EUlSY_E_NS1_11comp_targetILNS1_3genE5ELNS1_11target_archE942ELNS1_3gpuE9ELNS1_3repE0EEENS1_48merge_mergepath_partition_config_static_selectorELNS0_4arch9wavefront6targetE0EEEvSK_.num_vgpr, 0
	.set _ZN7rocprim17ROCPRIM_400000_NS6detail17trampoline_kernelINS0_14default_configENS1_38merge_sort_block_merge_config_selectorItNS0_10empty_typeEEEZZNS1_27merge_sort_block_merge_implIS3_N6thrust23THRUST_200600_302600_NS6detail15normal_iteratorINS9_10device_ptrItEEEEPS5_m11less_div_10ItEEE10hipError_tT0_T1_T2_jT3_P12ihipStream_tbPNSt15iterator_traitsISJ_E10value_typeEPNSP_ISK_E10value_typeEPSL_NS1_7vsmem_tEENKUlT_SJ_SK_SL_E_clIPtSE_SF_SF_EESI_SY_SJ_SK_SL_EUlSY_E_NS1_11comp_targetILNS1_3genE5ELNS1_11target_archE942ELNS1_3gpuE9ELNS1_3repE0EEENS1_48merge_mergepath_partition_config_static_selectorELNS0_4arch9wavefront6targetE0EEEvSK_.num_agpr, 0
	.set _ZN7rocprim17ROCPRIM_400000_NS6detail17trampoline_kernelINS0_14default_configENS1_38merge_sort_block_merge_config_selectorItNS0_10empty_typeEEEZZNS1_27merge_sort_block_merge_implIS3_N6thrust23THRUST_200600_302600_NS6detail15normal_iteratorINS9_10device_ptrItEEEEPS5_m11less_div_10ItEEE10hipError_tT0_T1_T2_jT3_P12ihipStream_tbPNSt15iterator_traitsISJ_E10value_typeEPNSP_ISK_E10value_typeEPSL_NS1_7vsmem_tEENKUlT_SJ_SK_SL_E_clIPtSE_SF_SF_EESI_SY_SJ_SK_SL_EUlSY_E_NS1_11comp_targetILNS1_3genE5ELNS1_11target_archE942ELNS1_3gpuE9ELNS1_3repE0EEENS1_48merge_mergepath_partition_config_static_selectorELNS0_4arch9wavefront6targetE0EEEvSK_.numbered_sgpr, 0
	.set _ZN7rocprim17ROCPRIM_400000_NS6detail17trampoline_kernelINS0_14default_configENS1_38merge_sort_block_merge_config_selectorItNS0_10empty_typeEEEZZNS1_27merge_sort_block_merge_implIS3_N6thrust23THRUST_200600_302600_NS6detail15normal_iteratorINS9_10device_ptrItEEEEPS5_m11less_div_10ItEEE10hipError_tT0_T1_T2_jT3_P12ihipStream_tbPNSt15iterator_traitsISJ_E10value_typeEPNSP_ISK_E10value_typeEPSL_NS1_7vsmem_tEENKUlT_SJ_SK_SL_E_clIPtSE_SF_SF_EESI_SY_SJ_SK_SL_EUlSY_E_NS1_11comp_targetILNS1_3genE5ELNS1_11target_archE942ELNS1_3gpuE9ELNS1_3repE0EEENS1_48merge_mergepath_partition_config_static_selectorELNS0_4arch9wavefront6targetE0EEEvSK_.num_named_barrier, 0
	.set _ZN7rocprim17ROCPRIM_400000_NS6detail17trampoline_kernelINS0_14default_configENS1_38merge_sort_block_merge_config_selectorItNS0_10empty_typeEEEZZNS1_27merge_sort_block_merge_implIS3_N6thrust23THRUST_200600_302600_NS6detail15normal_iteratorINS9_10device_ptrItEEEEPS5_m11less_div_10ItEEE10hipError_tT0_T1_T2_jT3_P12ihipStream_tbPNSt15iterator_traitsISJ_E10value_typeEPNSP_ISK_E10value_typeEPSL_NS1_7vsmem_tEENKUlT_SJ_SK_SL_E_clIPtSE_SF_SF_EESI_SY_SJ_SK_SL_EUlSY_E_NS1_11comp_targetILNS1_3genE5ELNS1_11target_archE942ELNS1_3gpuE9ELNS1_3repE0EEENS1_48merge_mergepath_partition_config_static_selectorELNS0_4arch9wavefront6targetE0EEEvSK_.private_seg_size, 0
	.set _ZN7rocprim17ROCPRIM_400000_NS6detail17trampoline_kernelINS0_14default_configENS1_38merge_sort_block_merge_config_selectorItNS0_10empty_typeEEEZZNS1_27merge_sort_block_merge_implIS3_N6thrust23THRUST_200600_302600_NS6detail15normal_iteratorINS9_10device_ptrItEEEEPS5_m11less_div_10ItEEE10hipError_tT0_T1_T2_jT3_P12ihipStream_tbPNSt15iterator_traitsISJ_E10value_typeEPNSP_ISK_E10value_typeEPSL_NS1_7vsmem_tEENKUlT_SJ_SK_SL_E_clIPtSE_SF_SF_EESI_SY_SJ_SK_SL_EUlSY_E_NS1_11comp_targetILNS1_3genE5ELNS1_11target_archE942ELNS1_3gpuE9ELNS1_3repE0EEENS1_48merge_mergepath_partition_config_static_selectorELNS0_4arch9wavefront6targetE0EEEvSK_.uses_vcc, 0
	.set _ZN7rocprim17ROCPRIM_400000_NS6detail17trampoline_kernelINS0_14default_configENS1_38merge_sort_block_merge_config_selectorItNS0_10empty_typeEEEZZNS1_27merge_sort_block_merge_implIS3_N6thrust23THRUST_200600_302600_NS6detail15normal_iteratorINS9_10device_ptrItEEEEPS5_m11less_div_10ItEEE10hipError_tT0_T1_T2_jT3_P12ihipStream_tbPNSt15iterator_traitsISJ_E10value_typeEPNSP_ISK_E10value_typeEPSL_NS1_7vsmem_tEENKUlT_SJ_SK_SL_E_clIPtSE_SF_SF_EESI_SY_SJ_SK_SL_EUlSY_E_NS1_11comp_targetILNS1_3genE5ELNS1_11target_archE942ELNS1_3gpuE9ELNS1_3repE0EEENS1_48merge_mergepath_partition_config_static_selectorELNS0_4arch9wavefront6targetE0EEEvSK_.uses_flat_scratch, 0
	.set _ZN7rocprim17ROCPRIM_400000_NS6detail17trampoline_kernelINS0_14default_configENS1_38merge_sort_block_merge_config_selectorItNS0_10empty_typeEEEZZNS1_27merge_sort_block_merge_implIS3_N6thrust23THRUST_200600_302600_NS6detail15normal_iteratorINS9_10device_ptrItEEEEPS5_m11less_div_10ItEEE10hipError_tT0_T1_T2_jT3_P12ihipStream_tbPNSt15iterator_traitsISJ_E10value_typeEPNSP_ISK_E10value_typeEPSL_NS1_7vsmem_tEENKUlT_SJ_SK_SL_E_clIPtSE_SF_SF_EESI_SY_SJ_SK_SL_EUlSY_E_NS1_11comp_targetILNS1_3genE5ELNS1_11target_archE942ELNS1_3gpuE9ELNS1_3repE0EEENS1_48merge_mergepath_partition_config_static_selectorELNS0_4arch9wavefront6targetE0EEEvSK_.has_dyn_sized_stack, 0
	.set _ZN7rocprim17ROCPRIM_400000_NS6detail17trampoline_kernelINS0_14default_configENS1_38merge_sort_block_merge_config_selectorItNS0_10empty_typeEEEZZNS1_27merge_sort_block_merge_implIS3_N6thrust23THRUST_200600_302600_NS6detail15normal_iteratorINS9_10device_ptrItEEEEPS5_m11less_div_10ItEEE10hipError_tT0_T1_T2_jT3_P12ihipStream_tbPNSt15iterator_traitsISJ_E10value_typeEPNSP_ISK_E10value_typeEPSL_NS1_7vsmem_tEENKUlT_SJ_SK_SL_E_clIPtSE_SF_SF_EESI_SY_SJ_SK_SL_EUlSY_E_NS1_11comp_targetILNS1_3genE5ELNS1_11target_archE942ELNS1_3gpuE9ELNS1_3repE0EEENS1_48merge_mergepath_partition_config_static_selectorELNS0_4arch9wavefront6targetE0EEEvSK_.has_recursion, 0
	.set _ZN7rocprim17ROCPRIM_400000_NS6detail17trampoline_kernelINS0_14default_configENS1_38merge_sort_block_merge_config_selectorItNS0_10empty_typeEEEZZNS1_27merge_sort_block_merge_implIS3_N6thrust23THRUST_200600_302600_NS6detail15normal_iteratorINS9_10device_ptrItEEEEPS5_m11less_div_10ItEEE10hipError_tT0_T1_T2_jT3_P12ihipStream_tbPNSt15iterator_traitsISJ_E10value_typeEPNSP_ISK_E10value_typeEPSL_NS1_7vsmem_tEENKUlT_SJ_SK_SL_E_clIPtSE_SF_SF_EESI_SY_SJ_SK_SL_EUlSY_E_NS1_11comp_targetILNS1_3genE5ELNS1_11target_archE942ELNS1_3gpuE9ELNS1_3repE0EEENS1_48merge_mergepath_partition_config_static_selectorELNS0_4arch9wavefront6targetE0EEEvSK_.has_indirect_call, 0
	.section	.AMDGPU.csdata,"",@progbits
; Kernel info:
; codeLenInByte = 0
; TotalNumSgprs: 0
; NumVgprs: 0
; ScratchSize: 0
; MemoryBound: 0
; FloatMode: 240
; IeeeMode: 1
; LDSByteSize: 0 bytes/workgroup (compile time only)
; SGPRBlocks: 0
; VGPRBlocks: 0
; NumSGPRsForWavesPerEU: 1
; NumVGPRsForWavesPerEU: 1
; Occupancy: 16
; WaveLimiterHint : 0
; COMPUTE_PGM_RSRC2:SCRATCH_EN: 0
; COMPUTE_PGM_RSRC2:USER_SGPR: 6
; COMPUTE_PGM_RSRC2:TRAP_HANDLER: 0
; COMPUTE_PGM_RSRC2:TGID_X_EN: 1
; COMPUTE_PGM_RSRC2:TGID_Y_EN: 0
; COMPUTE_PGM_RSRC2:TGID_Z_EN: 0
; COMPUTE_PGM_RSRC2:TIDIG_COMP_CNT: 0
	.section	.text._ZN7rocprim17ROCPRIM_400000_NS6detail17trampoline_kernelINS0_14default_configENS1_38merge_sort_block_merge_config_selectorItNS0_10empty_typeEEEZZNS1_27merge_sort_block_merge_implIS3_N6thrust23THRUST_200600_302600_NS6detail15normal_iteratorINS9_10device_ptrItEEEEPS5_m11less_div_10ItEEE10hipError_tT0_T1_T2_jT3_P12ihipStream_tbPNSt15iterator_traitsISJ_E10value_typeEPNSP_ISK_E10value_typeEPSL_NS1_7vsmem_tEENKUlT_SJ_SK_SL_E_clIPtSE_SF_SF_EESI_SY_SJ_SK_SL_EUlSY_E_NS1_11comp_targetILNS1_3genE4ELNS1_11target_archE910ELNS1_3gpuE8ELNS1_3repE0EEENS1_48merge_mergepath_partition_config_static_selectorELNS0_4arch9wavefront6targetE0EEEvSK_,"axG",@progbits,_ZN7rocprim17ROCPRIM_400000_NS6detail17trampoline_kernelINS0_14default_configENS1_38merge_sort_block_merge_config_selectorItNS0_10empty_typeEEEZZNS1_27merge_sort_block_merge_implIS3_N6thrust23THRUST_200600_302600_NS6detail15normal_iteratorINS9_10device_ptrItEEEEPS5_m11less_div_10ItEEE10hipError_tT0_T1_T2_jT3_P12ihipStream_tbPNSt15iterator_traitsISJ_E10value_typeEPNSP_ISK_E10value_typeEPSL_NS1_7vsmem_tEENKUlT_SJ_SK_SL_E_clIPtSE_SF_SF_EESI_SY_SJ_SK_SL_EUlSY_E_NS1_11comp_targetILNS1_3genE4ELNS1_11target_archE910ELNS1_3gpuE8ELNS1_3repE0EEENS1_48merge_mergepath_partition_config_static_selectorELNS0_4arch9wavefront6targetE0EEEvSK_,comdat
	.protected	_ZN7rocprim17ROCPRIM_400000_NS6detail17trampoline_kernelINS0_14default_configENS1_38merge_sort_block_merge_config_selectorItNS0_10empty_typeEEEZZNS1_27merge_sort_block_merge_implIS3_N6thrust23THRUST_200600_302600_NS6detail15normal_iteratorINS9_10device_ptrItEEEEPS5_m11less_div_10ItEEE10hipError_tT0_T1_T2_jT3_P12ihipStream_tbPNSt15iterator_traitsISJ_E10value_typeEPNSP_ISK_E10value_typeEPSL_NS1_7vsmem_tEENKUlT_SJ_SK_SL_E_clIPtSE_SF_SF_EESI_SY_SJ_SK_SL_EUlSY_E_NS1_11comp_targetILNS1_3genE4ELNS1_11target_archE910ELNS1_3gpuE8ELNS1_3repE0EEENS1_48merge_mergepath_partition_config_static_selectorELNS0_4arch9wavefront6targetE0EEEvSK_ ; -- Begin function _ZN7rocprim17ROCPRIM_400000_NS6detail17trampoline_kernelINS0_14default_configENS1_38merge_sort_block_merge_config_selectorItNS0_10empty_typeEEEZZNS1_27merge_sort_block_merge_implIS3_N6thrust23THRUST_200600_302600_NS6detail15normal_iteratorINS9_10device_ptrItEEEEPS5_m11less_div_10ItEEE10hipError_tT0_T1_T2_jT3_P12ihipStream_tbPNSt15iterator_traitsISJ_E10value_typeEPNSP_ISK_E10value_typeEPSL_NS1_7vsmem_tEENKUlT_SJ_SK_SL_E_clIPtSE_SF_SF_EESI_SY_SJ_SK_SL_EUlSY_E_NS1_11comp_targetILNS1_3genE4ELNS1_11target_archE910ELNS1_3gpuE8ELNS1_3repE0EEENS1_48merge_mergepath_partition_config_static_selectorELNS0_4arch9wavefront6targetE0EEEvSK_
	.globl	_ZN7rocprim17ROCPRIM_400000_NS6detail17trampoline_kernelINS0_14default_configENS1_38merge_sort_block_merge_config_selectorItNS0_10empty_typeEEEZZNS1_27merge_sort_block_merge_implIS3_N6thrust23THRUST_200600_302600_NS6detail15normal_iteratorINS9_10device_ptrItEEEEPS5_m11less_div_10ItEEE10hipError_tT0_T1_T2_jT3_P12ihipStream_tbPNSt15iterator_traitsISJ_E10value_typeEPNSP_ISK_E10value_typeEPSL_NS1_7vsmem_tEENKUlT_SJ_SK_SL_E_clIPtSE_SF_SF_EESI_SY_SJ_SK_SL_EUlSY_E_NS1_11comp_targetILNS1_3genE4ELNS1_11target_archE910ELNS1_3gpuE8ELNS1_3repE0EEENS1_48merge_mergepath_partition_config_static_selectorELNS0_4arch9wavefront6targetE0EEEvSK_
	.p2align	8
	.type	_ZN7rocprim17ROCPRIM_400000_NS6detail17trampoline_kernelINS0_14default_configENS1_38merge_sort_block_merge_config_selectorItNS0_10empty_typeEEEZZNS1_27merge_sort_block_merge_implIS3_N6thrust23THRUST_200600_302600_NS6detail15normal_iteratorINS9_10device_ptrItEEEEPS5_m11less_div_10ItEEE10hipError_tT0_T1_T2_jT3_P12ihipStream_tbPNSt15iterator_traitsISJ_E10value_typeEPNSP_ISK_E10value_typeEPSL_NS1_7vsmem_tEENKUlT_SJ_SK_SL_E_clIPtSE_SF_SF_EESI_SY_SJ_SK_SL_EUlSY_E_NS1_11comp_targetILNS1_3genE4ELNS1_11target_archE910ELNS1_3gpuE8ELNS1_3repE0EEENS1_48merge_mergepath_partition_config_static_selectorELNS0_4arch9wavefront6targetE0EEEvSK_,@function
_ZN7rocprim17ROCPRIM_400000_NS6detail17trampoline_kernelINS0_14default_configENS1_38merge_sort_block_merge_config_selectorItNS0_10empty_typeEEEZZNS1_27merge_sort_block_merge_implIS3_N6thrust23THRUST_200600_302600_NS6detail15normal_iteratorINS9_10device_ptrItEEEEPS5_m11less_div_10ItEEE10hipError_tT0_T1_T2_jT3_P12ihipStream_tbPNSt15iterator_traitsISJ_E10value_typeEPNSP_ISK_E10value_typeEPSL_NS1_7vsmem_tEENKUlT_SJ_SK_SL_E_clIPtSE_SF_SF_EESI_SY_SJ_SK_SL_EUlSY_E_NS1_11comp_targetILNS1_3genE4ELNS1_11target_archE910ELNS1_3gpuE8ELNS1_3repE0EEENS1_48merge_mergepath_partition_config_static_selectorELNS0_4arch9wavefront6targetE0EEEvSK_: ; @_ZN7rocprim17ROCPRIM_400000_NS6detail17trampoline_kernelINS0_14default_configENS1_38merge_sort_block_merge_config_selectorItNS0_10empty_typeEEEZZNS1_27merge_sort_block_merge_implIS3_N6thrust23THRUST_200600_302600_NS6detail15normal_iteratorINS9_10device_ptrItEEEEPS5_m11less_div_10ItEEE10hipError_tT0_T1_T2_jT3_P12ihipStream_tbPNSt15iterator_traitsISJ_E10value_typeEPNSP_ISK_E10value_typeEPSL_NS1_7vsmem_tEENKUlT_SJ_SK_SL_E_clIPtSE_SF_SF_EESI_SY_SJ_SK_SL_EUlSY_E_NS1_11comp_targetILNS1_3genE4ELNS1_11target_archE910ELNS1_3gpuE8ELNS1_3repE0EEENS1_48merge_mergepath_partition_config_static_selectorELNS0_4arch9wavefront6targetE0EEEvSK_
; %bb.0:
	.section	.rodata,"a",@progbits
	.p2align	6, 0x0
	.amdhsa_kernel _ZN7rocprim17ROCPRIM_400000_NS6detail17trampoline_kernelINS0_14default_configENS1_38merge_sort_block_merge_config_selectorItNS0_10empty_typeEEEZZNS1_27merge_sort_block_merge_implIS3_N6thrust23THRUST_200600_302600_NS6detail15normal_iteratorINS9_10device_ptrItEEEEPS5_m11less_div_10ItEEE10hipError_tT0_T1_T2_jT3_P12ihipStream_tbPNSt15iterator_traitsISJ_E10value_typeEPNSP_ISK_E10value_typeEPSL_NS1_7vsmem_tEENKUlT_SJ_SK_SL_E_clIPtSE_SF_SF_EESI_SY_SJ_SK_SL_EUlSY_E_NS1_11comp_targetILNS1_3genE4ELNS1_11target_archE910ELNS1_3gpuE8ELNS1_3repE0EEENS1_48merge_mergepath_partition_config_static_selectorELNS0_4arch9wavefront6targetE0EEEvSK_
		.amdhsa_group_segment_fixed_size 0
		.amdhsa_private_segment_fixed_size 0
		.amdhsa_kernarg_size 48
		.amdhsa_user_sgpr_count 6
		.amdhsa_user_sgpr_private_segment_buffer 1
		.amdhsa_user_sgpr_dispatch_ptr 0
		.amdhsa_user_sgpr_queue_ptr 0
		.amdhsa_user_sgpr_kernarg_segment_ptr 1
		.amdhsa_user_sgpr_dispatch_id 0
		.amdhsa_user_sgpr_flat_scratch_init 0
		.amdhsa_user_sgpr_private_segment_size 0
		.amdhsa_wavefront_size32 1
		.amdhsa_uses_dynamic_stack 0
		.amdhsa_system_sgpr_private_segment_wavefront_offset 0
		.amdhsa_system_sgpr_workgroup_id_x 1
		.amdhsa_system_sgpr_workgroup_id_y 0
		.amdhsa_system_sgpr_workgroup_id_z 0
		.amdhsa_system_sgpr_workgroup_info 0
		.amdhsa_system_vgpr_workitem_id 0
		.amdhsa_next_free_vgpr 1
		.amdhsa_next_free_sgpr 1
		.amdhsa_reserve_vcc 0
		.amdhsa_reserve_flat_scratch 0
		.amdhsa_float_round_mode_32 0
		.amdhsa_float_round_mode_16_64 0
		.amdhsa_float_denorm_mode_32 3
		.amdhsa_float_denorm_mode_16_64 3
		.amdhsa_dx10_clamp 1
		.amdhsa_ieee_mode 1
		.amdhsa_fp16_overflow 0
		.amdhsa_workgroup_processor_mode 1
		.amdhsa_memory_ordered 1
		.amdhsa_forward_progress 1
		.amdhsa_shared_vgpr_count 0
		.amdhsa_exception_fp_ieee_invalid_op 0
		.amdhsa_exception_fp_denorm_src 0
		.amdhsa_exception_fp_ieee_div_zero 0
		.amdhsa_exception_fp_ieee_overflow 0
		.amdhsa_exception_fp_ieee_underflow 0
		.amdhsa_exception_fp_ieee_inexact 0
		.amdhsa_exception_int_div_zero 0
	.end_amdhsa_kernel
	.section	.text._ZN7rocprim17ROCPRIM_400000_NS6detail17trampoline_kernelINS0_14default_configENS1_38merge_sort_block_merge_config_selectorItNS0_10empty_typeEEEZZNS1_27merge_sort_block_merge_implIS3_N6thrust23THRUST_200600_302600_NS6detail15normal_iteratorINS9_10device_ptrItEEEEPS5_m11less_div_10ItEEE10hipError_tT0_T1_T2_jT3_P12ihipStream_tbPNSt15iterator_traitsISJ_E10value_typeEPNSP_ISK_E10value_typeEPSL_NS1_7vsmem_tEENKUlT_SJ_SK_SL_E_clIPtSE_SF_SF_EESI_SY_SJ_SK_SL_EUlSY_E_NS1_11comp_targetILNS1_3genE4ELNS1_11target_archE910ELNS1_3gpuE8ELNS1_3repE0EEENS1_48merge_mergepath_partition_config_static_selectorELNS0_4arch9wavefront6targetE0EEEvSK_,"axG",@progbits,_ZN7rocprim17ROCPRIM_400000_NS6detail17trampoline_kernelINS0_14default_configENS1_38merge_sort_block_merge_config_selectorItNS0_10empty_typeEEEZZNS1_27merge_sort_block_merge_implIS3_N6thrust23THRUST_200600_302600_NS6detail15normal_iteratorINS9_10device_ptrItEEEEPS5_m11less_div_10ItEEE10hipError_tT0_T1_T2_jT3_P12ihipStream_tbPNSt15iterator_traitsISJ_E10value_typeEPNSP_ISK_E10value_typeEPSL_NS1_7vsmem_tEENKUlT_SJ_SK_SL_E_clIPtSE_SF_SF_EESI_SY_SJ_SK_SL_EUlSY_E_NS1_11comp_targetILNS1_3genE4ELNS1_11target_archE910ELNS1_3gpuE8ELNS1_3repE0EEENS1_48merge_mergepath_partition_config_static_selectorELNS0_4arch9wavefront6targetE0EEEvSK_,comdat
.Lfunc_end245:
	.size	_ZN7rocprim17ROCPRIM_400000_NS6detail17trampoline_kernelINS0_14default_configENS1_38merge_sort_block_merge_config_selectorItNS0_10empty_typeEEEZZNS1_27merge_sort_block_merge_implIS3_N6thrust23THRUST_200600_302600_NS6detail15normal_iteratorINS9_10device_ptrItEEEEPS5_m11less_div_10ItEEE10hipError_tT0_T1_T2_jT3_P12ihipStream_tbPNSt15iterator_traitsISJ_E10value_typeEPNSP_ISK_E10value_typeEPSL_NS1_7vsmem_tEENKUlT_SJ_SK_SL_E_clIPtSE_SF_SF_EESI_SY_SJ_SK_SL_EUlSY_E_NS1_11comp_targetILNS1_3genE4ELNS1_11target_archE910ELNS1_3gpuE8ELNS1_3repE0EEENS1_48merge_mergepath_partition_config_static_selectorELNS0_4arch9wavefront6targetE0EEEvSK_, .Lfunc_end245-_ZN7rocprim17ROCPRIM_400000_NS6detail17trampoline_kernelINS0_14default_configENS1_38merge_sort_block_merge_config_selectorItNS0_10empty_typeEEEZZNS1_27merge_sort_block_merge_implIS3_N6thrust23THRUST_200600_302600_NS6detail15normal_iteratorINS9_10device_ptrItEEEEPS5_m11less_div_10ItEEE10hipError_tT0_T1_T2_jT3_P12ihipStream_tbPNSt15iterator_traitsISJ_E10value_typeEPNSP_ISK_E10value_typeEPSL_NS1_7vsmem_tEENKUlT_SJ_SK_SL_E_clIPtSE_SF_SF_EESI_SY_SJ_SK_SL_EUlSY_E_NS1_11comp_targetILNS1_3genE4ELNS1_11target_archE910ELNS1_3gpuE8ELNS1_3repE0EEENS1_48merge_mergepath_partition_config_static_selectorELNS0_4arch9wavefront6targetE0EEEvSK_
                                        ; -- End function
	.set _ZN7rocprim17ROCPRIM_400000_NS6detail17trampoline_kernelINS0_14default_configENS1_38merge_sort_block_merge_config_selectorItNS0_10empty_typeEEEZZNS1_27merge_sort_block_merge_implIS3_N6thrust23THRUST_200600_302600_NS6detail15normal_iteratorINS9_10device_ptrItEEEEPS5_m11less_div_10ItEEE10hipError_tT0_T1_T2_jT3_P12ihipStream_tbPNSt15iterator_traitsISJ_E10value_typeEPNSP_ISK_E10value_typeEPSL_NS1_7vsmem_tEENKUlT_SJ_SK_SL_E_clIPtSE_SF_SF_EESI_SY_SJ_SK_SL_EUlSY_E_NS1_11comp_targetILNS1_3genE4ELNS1_11target_archE910ELNS1_3gpuE8ELNS1_3repE0EEENS1_48merge_mergepath_partition_config_static_selectorELNS0_4arch9wavefront6targetE0EEEvSK_.num_vgpr, 0
	.set _ZN7rocprim17ROCPRIM_400000_NS6detail17trampoline_kernelINS0_14default_configENS1_38merge_sort_block_merge_config_selectorItNS0_10empty_typeEEEZZNS1_27merge_sort_block_merge_implIS3_N6thrust23THRUST_200600_302600_NS6detail15normal_iteratorINS9_10device_ptrItEEEEPS5_m11less_div_10ItEEE10hipError_tT0_T1_T2_jT3_P12ihipStream_tbPNSt15iterator_traitsISJ_E10value_typeEPNSP_ISK_E10value_typeEPSL_NS1_7vsmem_tEENKUlT_SJ_SK_SL_E_clIPtSE_SF_SF_EESI_SY_SJ_SK_SL_EUlSY_E_NS1_11comp_targetILNS1_3genE4ELNS1_11target_archE910ELNS1_3gpuE8ELNS1_3repE0EEENS1_48merge_mergepath_partition_config_static_selectorELNS0_4arch9wavefront6targetE0EEEvSK_.num_agpr, 0
	.set _ZN7rocprim17ROCPRIM_400000_NS6detail17trampoline_kernelINS0_14default_configENS1_38merge_sort_block_merge_config_selectorItNS0_10empty_typeEEEZZNS1_27merge_sort_block_merge_implIS3_N6thrust23THRUST_200600_302600_NS6detail15normal_iteratorINS9_10device_ptrItEEEEPS5_m11less_div_10ItEEE10hipError_tT0_T1_T2_jT3_P12ihipStream_tbPNSt15iterator_traitsISJ_E10value_typeEPNSP_ISK_E10value_typeEPSL_NS1_7vsmem_tEENKUlT_SJ_SK_SL_E_clIPtSE_SF_SF_EESI_SY_SJ_SK_SL_EUlSY_E_NS1_11comp_targetILNS1_3genE4ELNS1_11target_archE910ELNS1_3gpuE8ELNS1_3repE0EEENS1_48merge_mergepath_partition_config_static_selectorELNS0_4arch9wavefront6targetE0EEEvSK_.numbered_sgpr, 0
	.set _ZN7rocprim17ROCPRIM_400000_NS6detail17trampoline_kernelINS0_14default_configENS1_38merge_sort_block_merge_config_selectorItNS0_10empty_typeEEEZZNS1_27merge_sort_block_merge_implIS3_N6thrust23THRUST_200600_302600_NS6detail15normal_iteratorINS9_10device_ptrItEEEEPS5_m11less_div_10ItEEE10hipError_tT0_T1_T2_jT3_P12ihipStream_tbPNSt15iterator_traitsISJ_E10value_typeEPNSP_ISK_E10value_typeEPSL_NS1_7vsmem_tEENKUlT_SJ_SK_SL_E_clIPtSE_SF_SF_EESI_SY_SJ_SK_SL_EUlSY_E_NS1_11comp_targetILNS1_3genE4ELNS1_11target_archE910ELNS1_3gpuE8ELNS1_3repE0EEENS1_48merge_mergepath_partition_config_static_selectorELNS0_4arch9wavefront6targetE0EEEvSK_.num_named_barrier, 0
	.set _ZN7rocprim17ROCPRIM_400000_NS6detail17trampoline_kernelINS0_14default_configENS1_38merge_sort_block_merge_config_selectorItNS0_10empty_typeEEEZZNS1_27merge_sort_block_merge_implIS3_N6thrust23THRUST_200600_302600_NS6detail15normal_iteratorINS9_10device_ptrItEEEEPS5_m11less_div_10ItEEE10hipError_tT0_T1_T2_jT3_P12ihipStream_tbPNSt15iterator_traitsISJ_E10value_typeEPNSP_ISK_E10value_typeEPSL_NS1_7vsmem_tEENKUlT_SJ_SK_SL_E_clIPtSE_SF_SF_EESI_SY_SJ_SK_SL_EUlSY_E_NS1_11comp_targetILNS1_3genE4ELNS1_11target_archE910ELNS1_3gpuE8ELNS1_3repE0EEENS1_48merge_mergepath_partition_config_static_selectorELNS0_4arch9wavefront6targetE0EEEvSK_.private_seg_size, 0
	.set _ZN7rocprim17ROCPRIM_400000_NS6detail17trampoline_kernelINS0_14default_configENS1_38merge_sort_block_merge_config_selectorItNS0_10empty_typeEEEZZNS1_27merge_sort_block_merge_implIS3_N6thrust23THRUST_200600_302600_NS6detail15normal_iteratorINS9_10device_ptrItEEEEPS5_m11less_div_10ItEEE10hipError_tT0_T1_T2_jT3_P12ihipStream_tbPNSt15iterator_traitsISJ_E10value_typeEPNSP_ISK_E10value_typeEPSL_NS1_7vsmem_tEENKUlT_SJ_SK_SL_E_clIPtSE_SF_SF_EESI_SY_SJ_SK_SL_EUlSY_E_NS1_11comp_targetILNS1_3genE4ELNS1_11target_archE910ELNS1_3gpuE8ELNS1_3repE0EEENS1_48merge_mergepath_partition_config_static_selectorELNS0_4arch9wavefront6targetE0EEEvSK_.uses_vcc, 0
	.set _ZN7rocprim17ROCPRIM_400000_NS6detail17trampoline_kernelINS0_14default_configENS1_38merge_sort_block_merge_config_selectorItNS0_10empty_typeEEEZZNS1_27merge_sort_block_merge_implIS3_N6thrust23THRUST_200600_302600_NS6detail15normal_iteratorINS9_10device_ptrItEEEEPS5_m11less_div_10ItEEE10hipError_tT0_T1_T2_jT3_P12ihipStream_tbPNSt15iterator_traitsISJ_E10value_typeEPNSP_ISK_E10value_typeEPSL_NS1_7vsmem_tEENKUlT_SJ_SK_SL_E_clIPtSE_SF_SF_EESI_SY_SJ_SK_SL_EUlSY_E_NS1_11comp_targetILNS1_3genE4ELNS1_11target_archE910ELNS1_3gpuE8ELNS1_3repE0EEENS1_48merge_mergepath_partition_config_static_selectorELNS0_4arch9wavefront6targetE0EEEvSK_.uses_flat_scratch, 0
	.set _ZN7rocprim17ROCPRIM_400000_NS6detail17trampoline_kernelINS0_14default_configENS1_38merge_sort_block_merge_config_selectorItNS0_10empty_typeEEEZZNS1_27merge_sort_block_merge_implIS3_N6thrust23THRUST_200600_302600_NS6detail15normal_iteratorINS9_10device_ptrItEEEEPS5_m11less_div_10ItEEE10hipError_tT0_T1_T2_jT3_P12ihipStream_tbPNSt15iterator_traitsISJ_E10value_typeEPNSP_ISK_E10value_typeEPSL_NS1_7vsmem_tEENKUlT_SJ_SK_SL_E_clIPtSE_SF_SF_EESI_SY_SJ_SK_SL_EUlSY_E_NS1_11comp_targetILNS1_3genE4ELNS1_11target_archE910ELNS1_3gpuE8ELNS1_3repE0EEENS1_48merge_mergepath_partition_config_static_selectorELNS0_4arch9wavefront6targetE0EEEvSK_.has_dyn_sized_stack, 0
	.set _ZN7rocprim17ROCPRIM_400000_NS6detail17trampoline_kernelINS0_14default_configENS1_38merge_sort_block_merge_config_selectorItNS0_10empty_typeEEEZZNS1_27merge_sort_block_merge_implIS3_N6thrust23THRUST_200600_302600_NS6detail15normal_iteratorINS9_10device_ptrItEEEEPS5_m11less_div_10ItEEE10hipError_tT0_T1_T2_jT3_P12ihipStream_tbPNSt15iterator_traitsISJ_E10value_typeEPNSP_ISK_E10value_typeEPSL_NS1_7vsmem_tEENKUlT_SJ_SK_SL_E_clIPtSE_SF_SF_EESI_SY_SJ_SK_SL_EUlSY_E_NS1_11comp_targetILNS1_3genE4ELNS1_11target_archE910ELNS1_3gpuE8ELNS1_3repE0EEENS1_48merge_mergepath_partition_config_static_selectorELNS0_4arch9wavefront6targetE0EEEvSK_.has_recursion, 0
	.set _ZN7rocprim17ROCPRIM_400000_NS6detail17trampoline_kernelINS0_14default_configENS1_38merge_sort_block_merge_config_selectorItNS0_10empty_typeEEEZZNS1_27merge_sort_block_merge_implIS3_N6thrust23THRUST_200600_302600_NS6detail15normal_iteratorINS9_10device_ptrItEEEEPS5_m11less_div_10ItEEE10hipError_tT0_T1_T2_jT3_P12ihipStream_tbPNSt15iterator_traitsISJ_E10value_typeEPNSP_ISK_E10value_typeEPSL_NS1_7vsmem_tEENKUlT_SJ_SK_SL_E_clIPtSE_SF_SF_EESI_SY_SJ_SK_SL_EUlSY_E_NS1_11comp_targetILNS1_3genE4ELNS1_11target_archE910ELNS1_3gpuE8ELNS1_3repE0EEENS1_48merge_mergepath_partition_config_static_selectorELNS0_4arch9wavefront6targetE0EEEvSK_.has_indirect_call, 0
	.section	.AMDGPU.csdata,"",@progbits
; Kernel info:
; codeLenInByte = 0
; TotalNumSgprs: 0
; NumVgprs: 0
; ScratchSize: 0
; MemoryBound: 0
; FloatMode: 240
; IeeeMode: 1
; LDSByteSize: 0 bytes/workgroup (compile time only)
; SGPRBlocks: 0
; VGPRBlocks: 0
; NumSGPRsForWavesPerEU: 1
; NumVGPRsForWavesPerEU: 1
; Occupancy: 16
; WaveLimiterHint : 0
; COMPUTE_PGM_RSRC2:SCRATCH_EN: 0
; COMPUTE_PGM_RSRC2:USER_SGPR: 6
; COMPUTE_PGM_RSRC2:TRAP_HANDLER: 0
; COMPUTE_PGM_RSRC2:TGID_X_EN: 1
; COMPUTE_PGM_RSRC2:TGID_Y_EN: 0
; COMPUTE_PGM_RSRC2:TGID_Z_EN: 0
; COMPUTE_PGM_RSRC2:TIDIG_COMP_CNT: 0
	.section	.text._ZN7rocprim17ROCPRIM_400000_NS6detail17trampoline_kernelINS0_14default_configENS1_38merge_sort_block_merge_config_selectorItNS0_10empty_typeEEEZZNS1_27merge_sort_block_merge_implIS3_N6thrust23THRUST_200600_302600_NS6detail15normal_iteratorINS9_10device_ptrItEEEEPS5_m11less_div_10ItEEE10hipError_tT0_T1_T2_jT3_P12ihipStream_tbPNSt15iterator_traitsISJ_E10value_typeEPNSP_ISK_E10value_typeEPSL_NS1_7vsmem_tEENKUlT_SJ_SK_SL_E_clIPtSE_SF_SF_EESI_SY_SJ_SK_SL_EUlSY_E_NS1_11comp_targetILNS1_3genE3ELNS1_11target_archE908ELNS1_3gpuE7ELNS1_3repE0EEENS1_48merge_mergepath_partition_config_static_selectorELNS0_4arch9wavefront6targetE0EEEvSK_,"axG",@progbits,_ZN7rocprim17ROCPRIM_400000_NS6detail17trampoline_kernelINS0_14default_configENS1_38merge_sort_block_merge_config_selectorItNS0_10empty_typeEEEZZNS1_27merge_sort_block_merge_implIS3_N6thrust23THRUST_200600_302600_NS6detail15normal_iteratorINS9_10device_ptrItEEEEPS5_m11less_div_10ItEEE10hipError_tT0_T1_T2_jT3_P12ihipStream_tbPNSt15iterator_traitsISJ_E10value_typeEPNSP_ISK_E10value_typeEPSL_NS1_7vsmem_tEENKUlT_SJ_SK_SL_E_clIPtSE_SF_SF_EESI_SY_SJ_SK_SL_EUlSY_E_NS1_11comp_targetILNS1_3genE3ELNS1_11target_archE908ELNS1_3gpuE7ELNS1_3repE0EEENS1_48merge_mergepath_partition_config_static_selectorELNS0_4arch9wavefront6targetE0EEEvSK_,comdat
	.protected	_ZN7rocprim17ROCPRIM_400000_NS6detail17trampoline_kernelINS0_14default_configENS1_38merge_sort_block_merge_config_selectorItNS0_10empty_typeEEEZZNS1_27merge_sort_block_merge_implIS3_N6thrust23THRUST_200600_302600_NS6detail15normal_iteratorINS9_10device_ptrItEEEEPS5_m11less_div_10ItEEE10hipError_tT0_T1_T2_jT3_P12ihipStream_tbPNSt15iterator_traitsISJ_E10value_typeEPNSP_ISK_E10value_typeEPSL_NS1_7vsmem_tEENKUlT_SJ_SK_SL_E_clIPtSE_SF_SF_EESI_SY_SJ_SK_SL_EUlSY_E_NS1_11comp_targetILNS1_3genE3ELNS1_11target_archE908ELNS1_3gpuE7ELNS1_3repE0EEENS1_48merge_mergepath_partition_config_static_selectorELNS0_4arch9wavefront6targetE0EEEvSK_ ; -- Begin function _ZN7rocprim17ROCPRIM_400000_NS6detail17trampoline_kernelINS0_14default_configENS1_38merge_sort_block_merge_config_selectorItNS0_10empty_typeEEEZZNS1_27merge_sort_block_merge_implIS3_N6thrust23THRUST_200600_302600_NS6detail15normal_iteratorINS9_10device_ptrItEEEEPS5_m11less_div_10ItEEE10hipError_tT0_T1_T2_jT3_P12ihipStream_tbPNSt15iterator_traitsISJ_E10value_typeEPNSP_ISK_E10value_typeEPSL_NS1_7vsmem_tEENKUlT_SJ_SK_SL_E_clIPtSE_SF_SF_EESI_SY_SJ_SK_SL_EUlSY_E_NS1_11comp_targetILNS1_3genE3ELNS1_11target_archE908ELNS1_3gpuE7ELNS1_3repE0EEENS1_48merge_mergepath_partition_config_static_selectorELNS0_4arch9wavefront6targetE0EEEvSK_
	.globl	_ZN7rocprim17ROCPRIM_400000_NS6detail17trampoline_kernelINS0_14default_configENS1_38merge_sort_block_merge_config_selectorItNS0_10empty_typeEEEZZNS1_27merge_sort_block_merge_implIS3_N6thrust23THRUST_200600_302600_NS6detail15normal_iteratorINS9_10device_ptrItEEEEPS5_m11less_div_10ItEEE10hipError_tT0_T1_T2_jT3_P12ihipStream_tbPNSt15iterator_traitsISJ_E10value_typeEPNSP_ISK_E10value_typeEPSL_NS1_7vsmem_tEENKUlT_SJ_SK_SL_E_clIPtSE_SF_SF_EESI_SY_SJ_SK_SL_EUlSY_E_NS1_11comp_targetILNS1_3genE3ELNS1_11target_archE908ELNS1_3gpuE7ELNS1_3repE0EEENS1_48merge_mergepath_partition_config_static_selectorELNS0_4arch9wavefront6targetE0EEEvSK_
	.p2align	8
	.type	_ZN7rocprim17ROCPRIM_400000_NS6detail17trampoline_kernelINS0_14default_configENS1_38merge_sort_block_merge_config_selectorItNS0_10empty_typeEEEZZNS1_27merge_sort_block_merge_implIS3_N6thrust23THRUST_200600_302600_NS6detail15normal_iteratorINS9_10device_ptrItEEEEPS5_m11less_div_10ItEEE10hipError_tT0_T1_T2_jT3_P12ihipStream_tbPNSt15iterator_traitsISJ_E10value_typeEPNSP_ISK_E10value_typeEPSL_NS1_7vsmem_tEENKUlT_SJ_SK_SL_E_clIPtSE_SF_SF_EESI_SY_SJ_SK_SL_EUlSY_E_NS1_11comp_targetILNS1_3genE3ELNS1_11target_archE908ELNS1_3gpuE7ELNS1_3repE0EEENS1_48merge_mergepath_partition_config_static_selectorELNS0_4arch9wavefront6targetE0EEEvSK_,@function
_ZN7rocprim17ROCPRIM_400000_NS6detail17trampoline_kernelINS0_14default_configENS1_38merge_sort_block_merge_config_selectorItNS0_10empty_typeEEEZZNS1_27merge_sort_block_merge_implIS3_N6thrust23THRUST_200600_302600_NS6detail15normal_iteratorINS9_10device_ptrItEEEEPS5_m11less_div_10ItEEE10hipError_tT0_T1_T2_jT3_P12ihipStream_tbPNSt15iterator_traitsISJ_E10value_typeEPNSP_ISK_E10value_typeEPSL_NS1_7vsmem_tEENKUlT_SJ_SK_SL_E_clIPtSE_SF_SF_EESI_SY_SJ_SK_SL_EUlSY_E_NS1_11comp_targetILNS1_3genE3ELNS1_11target_archE908ELNS1_3gpuE7ELNS1_3repE0EEENS1_48merge_mergepath_partition_config_static_selectorELNS0_4arch9wavefront6targetE0EEEvSK_: ; @_ZN7rocprim17ROCPRIM_400000_NS6detail17trampoline_kernelINS0_14default_configENS1_38merge_sort_block_merge_config_selectorItNS0_10empty_typeEEEZZNS1_27merge_sort_block_merge_implIS3_N6thrust23THRUST_200600_302600_NS6detail15normal_iteratorINS9_10device_ptrItEEEEPS5_m11less_div_10ItEEE10hipError_tT0_T1_T2_jT3_P12ihipStream_tbPNSt15iterator_traitsISJ_E10value_typeEPNSP_ISK_E10value_typeEPSL_NS1_7vsmem_tEENKUlT_SJ_SK_SL_E_clIPtSE_SF_SF_EESI_SY_SJ_SK_SL_EUlSY_E_NS1_11comp_targetILNS1_3genE3ELNS1_11target_archE908ELNS1_3gpuE7ELNS1_3repE0EEENS1_48merge_mergepath_partition_config_static_selectorELNS0_4arch9wavefront6targetE0EEEvSK_
; %bb.0:
	.section	.rodata,"a",@progbits
	.p2align	6, 0x0
	.amdhsa_kernel _ZN7rocprim17ROCPRIM_400000_NS6detail17trampoline_kernelINS0_14default_configENS1_38merge_sort_block_merge_config_selectorItNS0_10empty_typeEEEZZNS1_27merge_sort_block_merge_implIS3_N6thrust23THRUST_200600_302600_NS6detail15normal_iteratorINS9_10device_ptrItEEEEPS5_m11less_div_10ItEEE10hipError_tT0_T1_T2_jT3_P12ihipStream_tbPNSt15iterator_traitsISJ_E10value_typeEPNSP_ISK_E10value_typeEPSL_NS1_7vsmem_tEENKUlT_SJ_SK_SL_E_clIPtSE_SF_SF_EESI_SY_SJ_SK_SL_EUlSY_E_NS1_11comp_targetILNS1_3genE3ELNS1_11target_archE908ELNS1_3gpuE7ELNS1_3repE0EEENS1_48merge_mergepath_partition_config_static_selectorELNS0_4arch9wavefront6targetE0EEEvSK_
		.amdhsa_group_segment_fixed_size 0
		.amdhsa_private_segment_fixed_size 0
		.amdhsa_kernarg_size 48
		.amdhsa_user_sgpr_count 6
		.amdhsa_user_sgpr_private_segment_buffer 1
		.amdhsa_user_sgpr_dispatch_ptr 0
		.amdhsa_user_sgpr_queue_ptr 0
		.amdhsa_user_sgpr_kernarg_segment_ptr 1
		.amdhsa_user_sgpr_dispatch_id 0
		.amdhsa_user_sgpr_flat_scratch_init 0
		.amdhsa_user_sgpr_private_segment_size 0
		.amdhsa_wavefront_size32 1
		.amdhsa_uses_dynamic_stack 0
		.amdhsa_system_sgpr_private_segment_wavefront_offset 0
		.amdhsa_system_sgpr_workgroup_id_x 1
		.amdhsa_system_sgpr_workgroup_id_y 0
		.amdhsa_system_sgpr_workgroup_id_z 0
		.amdhsa_system_sgpr_workgroup_info 0
		.amdhsa_system_vgpr_workitem_id 0
		.amdhsa_next_free_vgpr 1
		.amdhsa_next_free_sgpr 1
		.amdhsa_reserve_vcc 0
		.amdhsa_reserve_flat_scratch 0
		.amdhsa_float_round_mode_32 0
		.amdhsa_float_round_mode_16_64 0
		.amdhsa_float_denorm_mode_32 3
		.amdhsa_float_denorm_mode_16_64 3
		.amdhsa_dx10_clamp 1
		.amdhsa_ieee_mode 1
		.amdhsa_fp16_overflow 0
		.amdhsa_workgroup_processor_mode 1
		.amdhsa_memory_ordered 1
		.amdhsa_forward_progress 1
		.amdhsa_shared_vgpr_count 0
		.amdhsa_exception_fp_ieee_invalid_op 0
		.amdhsa_exception_fp_denorm_src 0
		.amdhsa_exception_fp_ieee_div_zero 0
		.amdhsa_exception_fp_ieee_overflow 0
		.amdhsa_exception_fp_ieee_underflow 0
		.amdhsa_exception_fp_ieee_inexact 0
		.amdhsa_exception_int_div_zero 0
	.end_amdhsa_kernel
	.section	.text._ZN7rocprim17ROCPRIM_400000_NS6detail17trampoline_kernelINS0_14default_configENS1_38merge_sort_block_merge_config_selectorItNS0_10empty_typeEEEZZNS1_27merge_sort_block_merge_implIS3_N6thrust23THRUST_200600_302600_NS6detail15normal_iteratorINS9_10device_ptrItEEEEPS5_m11less_div_10ItEEE10hipError_tT0_T1_T2_jT3_P12ihipStream_tbPNSt15iterator_traitsISJ_E10value_typeEPNSP_ISK_E10value_typeEPSL_NS1_7vsmem_tEENKUlT_SJ_SK_SL_E_clIPtSE_SF_SF_EESI_SY_SJ_SK_SL_EUlSY_E_NS1_11comp_targetILNS1_3genE3ELNS1_11target_archE908ELNS1_3gpuE7ELNS1_3repE0EEENS1_48merge_mergepath_partition_config_static_selectorELNS0_4arch9wavefront6targetE0EEEvSK_,"axG",@progbits,_ZN7rocprim17ROCPRIM_400000_NS6detail17trampoline_kernelINS0_14default_configENS1_38merge_sort_block_merge_config_selectorItNS0_10empty_typeEEEZZNS1_27merge_sort_block_merge_implIS3_N6thrust23THRUST_200600_302600_NS6detail15normal_iteratorINS9_10device_ptrItEEEEPS5_m11less_div_10ItEEE10hipError_tT0_T1_T2_jT3_P12ihipStream_tbPNSt15iterator_traitsISJ_E10value_typeEPNSP_ISK_E10value_typeEPSL_NS1_7vsmem_tEENKUlT_SJ_SK_SL_E_clIPtSE_SF_SF_EESI_SY_SJ_SK_SL_EUlSY_E_NS1_11comp_targetILNS1_3genE3ELNS1_11target_archE908ELNS1_3gpuE7ELNS1_3repE0EEENS1_48merge_mergepath_partition_config_static_selectorELNS0_4arch9wavefront6targetE0EEEvSK_,comdat
.Lfunc_end246:
	.size	_ZN7rocprim17ROCPRIM_400000_NS6detail17trampoline_kernelINS0_14default_configENS1_38merge_sort_block_merge_config_selectorItNS0_10empty_typeEEEZZNS1_27merge_sort_block_merge_implIS3_N6thrust23THRUST_200600_302600_NS6detail15normal_iteratorINS9_10device_ptrItEEEEPS5_m11less_div_10ItEEE10hipError_tT0_T1_T2_jT3_P12ihipStream_tbPNSt15iterator_traitsISJ_E10value_typeEPNSP_ISK_E10value_typeEPSL_NS1_7vsmem_tEENKUlT_SJ_SK_SL_E_clIPtSE_SF_SF_EESI_SY_SJ_SK_SL_EUlSY_E_NS1_11comp_targetILNS1_3genE3ELNS1_11target_archE908ELNS1_3gpuE7ELNS1_3repE0EEENS1_48merge_mergepath_partition_config_static_selectorELNS0_4arch9wavefront6targetE0EEEvSK_, .Lfunc_end246-_ZN7rocprim17ROCPRIM_400000_NS6detail17trampoline_kernelINS0_14default_configENS1_38merge_sort_block_merge_config_selectorItNS0_10empty_typeEEEZZNS1_27merge_sort_block_merge_implIS3_N6thrust23THRUST_200600_302600_NS6detail15normal_iteratorINS9_10device_ptrItEEEEPS5_m11less_div_10ItEEE10hipError_tT0_T1_T2_jT3_P12ihipStream_tbPNSt15iterator_traitsISJ_E10value_typeEPNSP_ISK_E10value_typeEPSL_NS1_7vsmem_tEENKUlT_SJ_SK_SL_E_clIPtSE_SF_SF_EESI_SY_SJ_SK_SL_EUlSY_E_NS1_11comp_targetILNS1_3genE3ELNS1_11target_archE908ELNS1_3gpuE7ELNS1_3repE0EEENS1_48merge_mergepath_partition_config_static_selectorELNS0_4arch9wavefront6targetE0EEEvSK_
                                        ; -- End function
	.set _ZN7rocprim17ROCPRIM_400000_NS6detail17trampoline_kernelINS0_14default_configENS1_38merge_sort_block_merge_config_selectorItNS0_10empty_typeEEEZZNS1_27merge_sort_block_merge_implIS3_N6thrust23THRUST_200600_302600_NS6detail15normal_iteratorINS9_10device_ptrItEEEEPS5_m11less_div_10ItEEE10hipError_tT0_T1_T2_jT3_P12ihipStream_tbPNSt15iterator_traitsISJ_E10value_typeEPNSP_ISK_E10value_typeEPSL_NS1_7vsmem_tEENKUlT_SJ_SK_SL_E_clIPtSE_SF_SF_EESI_SY_SJ_SK_SL_EUlSY_E_NS1_11comp_targetILNS1_3genE3ELNS1_11target_archE908ELNS1_3gpuE7ELNS1_3repE0EEENS1_48merge_mergepath_partition_config_static_selectorELNS0_4arch9wavefront6targetE0EEEvSK_.num_vgpr, 0
	.set _ZN7rocprim17ROCPRIM_400000_NS6detail17trampoline_kernelINS0_14default_configENS1_38merge_sort_block_merge_config_selectorItNS0_10empty_typeEEEZZNS1_27merge_sort_block_merge_implIS3_N6thrust23THRUST_200600_302600_NS6detail15normal_iteratorINS9_10device_ptrItEEEEPS5_m11less_div_10ItEEE10hipError_tT0_T1_T2_jT3_P12ihipStream_tbPNSt15iterator_traitsISJ_E10value_typeEPNSP_ISK_E10value_typeEPSL_NS1_7vsmem_tEENKUlT_SJ_SK_SL_E_clIPtSE_SF_SF_EESI_SY_SJ_SK_SL_EUlSY_E_NS1_11comp_targetILNS1_3genE3ELNS1_11target_archE908ELNS1_3gpuE7ELNS1_3repE0EEENS1_48merge_mergepath_partition_config_static_selectorELNS0_4arch9wavefront6targetE0EEEvSK_.num_agpr, 0
	.set _ZN7rocprim17ROCPRIM_400000_NS6detail17trampoline_kernelINS0_14default_configENS1_38merge_sort_block_merge_config_selectorItNS0_10empty_typeEEEZZNS1_27merge_sort_block_merge_implIS3_N6thrust23THRUST_200600_302600_NS6detail15normal_iteratorINS9_10device_ptrItEEEEPS5_m11less_div_10ItEEE10hipError_tT0_T1_T2_jT3_P12ihipStream_tbPNSt15iterator_traitsISJ_E10value_typeEPNSP_ISK_E10value_typeEPSL_NS1_7vsmem_tEENKUlT_SJ_SK_SL_E_clIPtSE_SF_SF_EESI_SY_SJ_SK_SL_EUlSY_E_NS1_11comp_targetILNS1_3genE3ELNS1_11target_archE908ELNS1_3gpuE7ELNS1_3repE0EEENS1_48merge_mergepath_partition_config_static_selectorELNS0_4arch9wavefront6targetE0EEEvSK_.numbered_sgpr, 0
	.set _ZN7rocprim17ROCPRIM_400000_NS6detail17trampoline_kernelINS0_14default_configENS1_38merge_sort_block_merge_config_selectorItNS0_10empty_typeEEEZZNS1_27merge_sort_block_merge_implIS3_N6thrust23THRUST_200600_302600_NS6detail15normal_iteratorINS9_10device_ptrItEEEEPS5_m11less_div_10ItEEE10hipError_tT0_T1_T2_jT3_P12ihipStream_tbPNSt15iterator_traitsISJ_E10value_typeEPNSP_ISK_E10value_typeEPSL_NS1_7vsmem_tEENKUlT_SJ_SK_SL_E_clIPtSE_SF_SF_EESI_SY_SJ_SK_SL_EUlSY_E_NS1_11comp_targetILNS1_3genE3ELNS1_11target_archE908ELNS1_3gpuE7ELNS1_3repE0EEENS1_48merge_mergepath_partition_config_static_selectorELNS0_4arch9wavefront6targetE0EEEvSK_.num_named_barrier, 0
	.set _ZN7rocprim17ROCPRIM_400000_NS6detail17trampoline_kernelINS0_14default_configENS1_38merge_sort_block_merge_config_selectorItNS0_10empty_typeEEEZZNS1_27merge_sort_block_merge_implIS3_N6thrust23THRUST_200600_302600_NS6detail15normal_iteratorINS9_10device_ptrItEEEEPS5_m11less_div_10ItEEE10hipError_tT0_T1_T2_jT3_P12ihipStream_tbPNSt15iterator_traitsISJ_E10value_typeEPNSP_ISK_E10value_typeEPSL_NS1_7vsmem_tEENKUlT_SJ_SK_SL_E_clIPtSE_SF_SF_EESI_SY_SJ_SK_SL_EUlSY_E_NS1_11comp_targetILNS1_3genE3ELNS1_11target_archE908ELNS1_3gpuE7ELNS1_3repE0EEENS1_48merge_mergepath_partition_config_static_selectorELNS0_4arch9wavefront6targetE0EEEvSK_.private_seg_size, 0
	.set _ZN7rocprim17ROCPRIM_400000_NS6detail17trampoline_kernelINS0_14default_configENS1_38merge_sort_block_merge_config_selectorItNS0_10empty_typeEEEZZNS1_27merge_sort_block_merge_implIS3_N6thrust23THRUST_200600_302600_NS6detail15normal_iteratorINS9_10device_ptrItEEEEPS5_m11less_div_10ItEEE10hipError_tT0_T1_T2_jT3_P12ihipStream_tbPNSt15iterator_traitsISJ_E10value_typeEPNSP_ISK_E10value_typeEPSL_NS1_7vsmem_tEENKUlT_SJ_SK_SL_E_clIPtSE_SF_SF_EESI_SY_SJ_SK_SL_EUlSY_E_NS1_11comp_targetILNS1_3genE3ELNS1_11target_archE908ELNS1_3gpuE7ELNS1_3repE0EEENS1_48merge_mergepath_partition_config_static_selectorELNS0_4arch9wavefront6targetE0EEEvSK_.uses_vcc, 0
	.set _ZN7rocprim17ROCPRIM_400000_NS6detail17trampoline_kernelINS0_14default_configENS1_38merge_sort_block_merge_config_selectorItNS0_10empty_typeEEEZZNS1_27merge_sort_block_merge_implIS3_N6thrust23THRUST_200600_302600_NS6detail15normal_iteratorINS9_10device_ptrItEEEEPS5_m11less_div_10ItEEE10hipError_tT0_T1_T2_jT3_P12ihipStream_tbPNSt15iterator_traitsISJ_E10value_typeEPNSP_ISK_E10value_typeEPSL_NS1_7vsmem_tEENKUlT_SJ_SK_SL_E_clIPtSE_SF_SF_EESI_SY_SJ_SK_SL_EUlSY_E_NS1_11comp_targetILNS1_3genE3ELNS1_11target_archE908ELNS1_3gpuE7ELNS1_3repE0EEENS1_48merge_mergepath_partition_config_static_selectorELNS0_4arch9wavefront6targetE0EEEvSK_.uses_flat_scratch, 0
	.set _ZN7rocprim17ROCPRIM_400000_NS6detail17trampoline_kernelINS0_14default_configENS1_38merge_sort_block_merge_config_selectorItNS0_10empty_typeEEEZZNS1_27merge_sort_block_merge_implIS3_N6thrust23THRUST_200600_302600_NS6detail15normal_iteratorINS9_10device_ptrItEEEEPS5_m11less_div_10ItEEE10hipError_tT0_T1_T2_jT3_P12ihipStream_tbPNSt15iterator_traitsISJ_E10value_typeEPNSP_ISK_E10value_typeEPSL_NS1_7vsmem_tEENKUlT_SJ_SK_SL_E_clIPtSE_SF_SF_EESI_SY_SJ_SK_SL_EUlSY_E_NS1_11comp_targetILNS1_3genE3ELNS1_11target_archE908ELNS1_3gpuE7ELNS1_3repE0EEENS1_48merge_mergepath_partition_config_static_selectorELNS0_4arch9wavefront6targetE0EEEvSK_.has_dyn_sized_stack, 0
	.set _ZN7rocprim17ROCPRIM_400000_NS6detail17trampoline_kernelINS0_14default_configENS1_38merge_sort_block_merge_config_selectorItNS0_10empty_typeEEEZZNS1_27merge_sort_block_merge_implIS3_N6thrust23THRUST_200600_302600_NS6detail15normal_iteratorINS9_10device_ptrItEEEEPS5_m11less_div_10ItEEE10hipError_tT0_T1_T2_jT3_P12ihipStream_tbPNSt15iterator_traitsISJ_E10value_typeEPNSP_ISK_E10value_typeEPSL_NS1_7vsmem_tEENKUlT_SJ_SK_SL_E_clIPtSE_SF_SF_EESI_SY_SJ_SK_SL_EUlSY_E_NS1_11comp_targetILNS1_3genE3ELNS1_11target_archE908ELNS1_3gpuE7ELNS1_3repE0EEENS1_48merge_mergepath_partition_config_static_selectorELNS0_4arch9wavefront6targetE0EEEvSK_.has_recursion, 0
	.set _ZN7rocprim17ROCPRIM_400000_NS6detail17trampoline_kernelINS0_14default_configENS1_38merge_sort_block_merge_config_selectorItNS0_10empty_typeEEEZZNS1_27merge_sort_block_merge_implIS3_N6thrust23THRUST_200600_302600_NS6detail15normal_iteratorINS9_10device_ptrItEEEEPS5_m11less_div_10ItEEE10hipError_tT0_T1_T2_jT3_P12ihipStream_tbPNSt15iterator_traitsISJ_E10value_typeEPNSP_ISK_E10value_typeEPSL_NS1_7vsmem_tEENKUlT_SJ_SK_SL_E_clIPtSE_SF_SF_EESI_SY_SJ_SK_SL_EUlSY_E_NS1_11comp_targetILNS1_3genE3ELNS1_11target_archE908ELNS1_3gpuE7ELNS1_3repE0EEENS1_48merge_mergepath_partition_config_static_selectorELNS0_4arch9wavefront6targetE0EEEvSK_.has_indirect_call, 0
	.section	.AMDGPU.csdata,"",@progbits
; Kernel info:
; codeLenInByte = 0
; TotalNumSgprs: 0
; NumVgprs: 0
; ScratchSize: 0
; MemoryBound: 0
; FloatMode: 240
; IeeeMode: 1
; LDSByteSize: 0 bytes/workgroup (compile time only)
; SGPRBlocks: 0
; VGPRBlocks: 0
; NumSGPRsForWavesPerEU: 1
; NumVGPRsForWavesPerEU: 1
; Occupancy: 16
; WaveLimiterHint : 0
; COMPUTE_PGM_RSRC2:SCRATCH_EN: 0
; COMPUTE_PGM_RSRC2:USER_SGPR: 6
; COMPUTE_PGM_RSRC2:TRAP_HANDLER: 0
; COMPUTE_PGM_RSRC2:TGID_X_EN: 1
; COMPUTE_PGM_RSRC2:TGID_Y_EN: 0
; COMPUTE_PGM_RSRC2:TGID_Z_EN: 0
; COMPUTE_PGM_RSRC2:TIDIG_COMP_CNT: 0
	.section	.text._ZN7rocprim17ROCPRIM_400000_NS6detail17trampoline_kernelINS0_14default_configENS1_38merge_sort_block_merge_config_selectorItNS0_10empty_typeEEEZZNS1_27merge_sort_block_merge_implIS3_N6thrust23THRUST_200600_302600_NS6detail15normal_iteratorINS9_10device_ptrItEEEEPS5_m11less_div_10ItEEE10hipError_tT0_T1_T2_jT3_P12ihipStream_tbPNSt15iterator_traitsISJ_E10value_typeEPNSP_ISK_E10value_typeEPSL_NS1_7vsmem_tEENKUlT_SJ_SK_SL_E_clIPtSE_SF_SF_EESI_SY_SJ_SK_SL_EUlSY_E_NS1_11comp_targetILNS1_3genE2ELNS1_11target_archE906ELNS1_3gpuE6ELNS1_3repE0EEENS1_48merge_mergepath_partition_config_static_selectorELNS0_4arch9wavefront6targetE0EEEvSK_,"axG",@progbits,_ZN7rocprim17ROCPRIM_400000_NS6detail17trampoline_kernelINS0_14default_configENS1_38merge_sort_block_merge_config_selectorItNS0_10empty_typeEEEZZNS1_27merge_sort_block_merge_implIS3_N6thrust23THRUST_200600_302600_NS6detail15normal_iteratorINS9_10device_ptrItEEEEPS5_m11less_div_10ItEEE10hipError_tT0_T1_T2_jT3_P12ihipStream_tbPNSt15iterator_traitsISJ_E10value_typeEPNSP_ISK_E10value_typeEPSL_NS1_7vsmem_tEENKUlT_SJ_SK_SL_E_clIPtSE_SF_SF_EESI_SY_SJ_SK_SL_EUlSY_E_NS1_11comp_targetILNS1_3genE2ELNS1_11target_archE906ELNS1_3gpuE6ELNS1_3repE0EEENS1_48merge_mergepath_partition_config_static_selectorELNS0_4arch9wavefront6targetE0EEEvSK_,comdat
	.protected	_ZN7rocprim17ROCPRIM_400000_NS6detail17trampoline_kernelINS0_14default_configENS1_38merge_sort_block_merge_config_selectorItNS0_10empty_typeEEEZZNS1_27merge_sort_block_merge_implIS3_N6thrust23THRUST_200600_302600_NS6detail15normal_iteratorINS9_10device_ptrItEEEEPS5_m11less_div_10ItEEE10hipError_tT0_T1_T2_jT3_P12ihipStream_tbPNSt15iterator_traitsISJ_E10value_typeEPNSP_ISK_E10value_typeEPSL_NS1_7vsmem_tEENKUlT_SJ_SK_SL_E_clIPtSE_SF_SF_EESI_SY_SJ_SK_SL_EUlSY_E_NS1_11comp_targetILNS1_3genE2ELNS1_11target_archE906ELNS1_3gpuE6ELNS1_3repE0EEENS1_48merge_mergepath_partition_config_static_selectorELNS0_4arch9wavefront6targetE0EEEvSK_ ; -- Begin function _ZN7rocprim17ROCPRIM_400000_NS6detail17trampoline_kernelINS0_14default_configENS1_38merge_sort_block_merge_config_selectorItNS0_10empty_typeEEEZZNS1_27merge_sort_block_merge_implIS3_N6thrust23THRUST_200600_302600_NS6detail15normal_iteratorINS9_10device_ptrItEEEEPS5_m11less_div_10ItEEE10hipError_tT0_T1_T2_jT3_P12ihipStream_tbPNSt15iterator_traitsISJ_E10value_typeEPNSP_ISK_E10value_typeEPSL_NS1_7vsmem_tEENKUlT_SJ_SK_SL_E_clIPtSE_SF_SF_EESI_SY_SJ_SK_SL_EUlSY_E_NS1_11comp_targetILNS1_3genE2ELNS1_11target_archE906ELNS1_3gpuE6ELNS1_3repE0EEENS1_48merge_mergepath_partition_config_static_selectorELNS0_4arch9wavefront6targetE0EEEvSK_
	.globl	_ZN7rocprim17ROCPRIM_400000_NS6detail17trampoline_kernelINS0_14default_configENS1_38merge_sort_block_merge_config_selectorItNS0_10empty_typeEEEZZNS1_27merge_sort_block_merge_implIS3_N6thrust23THRUST_200600_302600_NS6detail15normal_iteratorINS9_10device_ptrItEEEEPS5_m11less_div_10ItEEE10hipError_tT0_T1_T2_jT3_P12ihipStream_tbPNSt15iterator_traitsISJ_E10value_typeEPNSP_ISK_E10value_typeEPSL_NS1_7vsmem_tEENKUlT_SJ_SK_SL_E_clIPtSE_SF_SF_EESI_SY_SJ_SK_SL_EUlSY_E_NS1_11comp_targetILNS1_3genE2ELNS1_11target_archE906ELNS1_3gpuE6ELNS1_3repE0EEENS1_48merge_mergepath_partition_config_static_selectorELNS0_4arch9wavefront6targetE0EEEvSK_
	.p2align	8
	.type	_ZN7rocprim17ROCPRIM_400000_NS6detail17trampoline_kernelINS0_14default_configENS1_38merge_sort_block_merge_config_selectorItNS0_10empty_typeEEEZZNS1_27merge_sort_block_merge_implIS3_N6thrust23THRUST_200600_302600_NS6detail15normal_iteratorINS9_10device_ptrItEEEEPS5_m11less_div_10ItEEE10hipError_tT0_T1_T2_jT3_P12ihipStream_tbPNSt15iterator_traitsISJ_E10value_typeEPNSP_ISK_E10value_typeEPSL_NS1_7vsmem_tEENKUlT_SJ_SK_SL_E_clIPtSE_SF_SF_EESI_SY_SJ_SK_SL_EUlSY_E_NS1_11comp_targetILNS1_3genE2ELNS1_11target_archE906ELNS1_3gpuE6ELNS1_3repE0EEENS1_48merge_mergepath_partition_config_static_selectorELNS0_4arch9wavefront6targetE0EEEvSK_,@function
_ZN7rocprim17ROCPRIM_400000_NS6detail17trampoline_kernelINS0_14default_configENS1_38merge_sort_block_merge_config_selectorItNS0_10empty_typeEEEZZNS1_27merge_sort_block_merge_implIS3_N6thrust23THRUST_200600_302600_NS6detail15normal_iteratorINS9_10device_ptrItEEEEPS5_m11less_div_10ItEEE10hipError_tT0_T1_T2_jT3_P12ihipStream_tbPNSt15iterator_traitsISJ_E10value_typeEPNSP_ISK_E10value_typeEPSL_NS1_7vsmem_tEENKUlT_SJ_SK_SL_E_clIPtSE_SF_SF_EESI_SY_SJ_SK_SL_EUlSY_E_NS1_11comp_targetILNS1_3genE2ELNS1_11target_archE906ELNS1_3gpuE6ELNS1_3repE0EEENS1_48merge_mergepath_partition_config_static_selectorELNS0_4arch9wavefront6targetE0EEEvSK_: ; @_ZN7rocprim17ROCPRIM_400000_NS6detail17trampoline_kernelINS0_14default_configENS1_38merge_sort_block_merge_config_selectorItNS0_10empty_typeEEEZZNS1_27merge_sort_block_merge_implIS3_N6thrust23THRUST_200600_302600_NS6detail15normal_iteratorINS9_10device_ptrItEEEEPS5_m11less_div_10ItEEE10hipError_tT0_T1_T2_jT3_P12ihipStream_tbPNSt15iterator_traitsISJ_E10value_typeEPNSP_ISK_E10value_typeEPSL_NS1_7vsmem_tEENKUlT_SJ_SK_SL_E_clIPtSE_SF_SF_EESI_SY_SJ_SK_SL_EUlSY_E_NS1_11comp_targetILNS1_3genE2ELNS1_11target_archE906ELNS1_3gpuE6ELNS1_3repE0EEENS1_48merge_mergepath_partition_config_static_selectorELNS0_4arch9wavefront6targetE0EEEvSK_
; %bb.0:
	.section	.rodata,"a",@progbits
	.p2align	6, 0x0
	.amdhsa_kernel _ZN7rocprim17ROCPRIM_400000_NS6detail17trampoline_kernelINS0_14default_configENS1_38merge_sort_block_merge_config_selectorItNS0_10empty_typeEEEZZNS1_27merge_sort_block_merge_implIS3_N6thrust23THRUST_200600_302600_NS6detail15normal_iteratorINS9_10device_ptrItEEEEPS5_m11less_div_10ItEEE10hipError_tT0_T1_T2_jT3_P12ihipStream_tbPNSt15iterator_traitsISJ_E10value_typeEPNSP_ISK_E10value_typeEPSL_NS1_7vsmem_tEENKUlT_SJ_SK_SL_E_clIPtSE_SF_SF_EESI_SY_SJ_SK_SL_EUlSY_E_NS1_11comp_targetILNS1_3genE2ELNS1_11target_archE906ELNS1_3gpuE6ELNS1_3repE0EEENS1_48merge_mergepath_partition_config_static_selectorELNS0_4arch9wavefront6targetE0EEEvSK_
		.amdhsa_group_segment_fixed_size 0
		.amdhsa_private_segment_fixed_size 0
		.amdhsa_kernarg_size 48
		.amdhsa_user_sgpr_count 6
		.amdhsa_user_sgpr_private_segment_buffer 1
		.amdhsa_user_sgpr_dispatch_ptr 0
		.amdhsa_user_sgpr_queue_ptr 0
		.amdhsa_user_sgpr_kernarg_segment_ptr 1
		.amdhsa_user_sgpr_dispatch_id 0
		.amdhsa_user_sgpr_flat_scratch_init 0
		.amdhsa_user_sgpr_private_segment_size 0
		.amdhsa_wavefront_size32 1
		.amdhsa_uses_dynamic_stack 0
		.amdhsa_system_sgpr_private_segment_wavefront_offset 0
		.amdhsa_system_sgpr_workgroup_id_x 1
		.amdhsa_system_sgpr_workgroup_id_y 0
		.amdhsa_system_sgpr_workgroup_id_z 0
		.amdhsa_system_sgpr_workgroup_info 0
		.amdhsa_system_vgpr_workitem_id 0
		.amdhsa_next_free_vgpr 1
		.amdhsa_next_free_sgpr 1
		.amdhsa_reserve_vcc 0
		.amdhsa_reserve_flat_scratch 0
		.amdhsa_float_round_mode_32 0
		.amdhsa_float_round_mode_16_64 0
		.amdhsa_float_denorm_mode_32 3
		.amdhsa_float_denorm_mode_16_64 3
		.amdhsa_dx10_clamp 1
		.amdhsa_ieee_mode 1
		.amdhsa_fp16_overflow 0
		.amdhsa_workgroup_processor_mode 1
		.amdhsa_memory_ordered 1
		.amdhsa_forward_progress 1
		.amdhsa_shared_vgpr_count 0
		.amdhsa_exception_fp_ieee_invalid_op 0
		.amdhsa_exception_fp_denorm_src 0
		.amdhsa_exception_fp_ieee_div_zero 0
		.amdhsa_exception_fp_ieee_overflow 0
		.amdhsa_exception_fp_ieee_underflow 0
		.amdhsa_exception_fp_ieee_inexact 0
		.amdhsa_exception_int_div_zero 0
	.end_amdhsa_kernel
	.section	.text._ZN7rocprim17ROCPRIM_400000_NS6detail17trampoline_kernelINS0_14default_configENS1_38merge_sort_block_merge_config_selectorItNS0_10empty_typeEEEZZNS1_27merge_sort_block_merge_implIS3_N6thrust23THRUST_200600_302600_NS6detail15normal_iteratorINS9_10device_ptrItEEEEPS5_m11less_div_10ItEEE10hipError_tT0_T1_T2_jT3_P12ihipStream_tbPNSt15iterator_traitsISJ_E10value_typeEPNSP_ISK_E10value_typeEPSL_NS1_7vsmem_tEENKUlT_SJ_SK_SL_E_clIPtSE_SF_SF_EESI_SY_SJ_SK_SL_EUlSY_E_NS1_11comp_targetILNS1_3genE2ELNS1_11target_archE906ELNS1_3gpuE6ELNS1_3repE0EEENS1_48merge_mergepath_partition_config_static_selectorELNS0_4arch9wavefront6targetE0EEEvSK_,"axG",@progbits,_ZN7rocprim17ROCPRIM_400000_NS6detail17trampoline_kernelINS0_14default_configENS1_38merge_sort_block_merge_config_selectorItNS0_10empty_typeEEEZZNS1_27merge_sort_block_merge_implIS3_N6thrust23THRUST_200600_302600_NS6detail15normal_iteratorINS9_10device_ptrItEEEEPS5_m11less_div_10ItEEE10hipError_tT0_T1_T2_jT3_P12ihipStream_tbPNSt15iterator_traitsISJ_E10value_typeEPNSP_ISK_E10value_typeEPSL_NS1_7vsmem_tEENKUlT_SJ_SK_SL_E_clIPtSE_SF_SF_EESI_SY_SJ_SK_SL_EUlSY_E_NS1_11comp_targetILNS1_3genE2ELNS1_11target_archE906ELNS1_3gpuE6ELNS1_3repE0EEENS1_48merge_mergepath_partition_config_static_selectorELNS0_4arch9wavefront6targetE0EEEvSK_,comdat
.Lfunc_end247:
	.size	_ZN7rocprim17ROCPRIM_400000_NS6detail17trampoline_kernelINS0_14default_configENS1_38merge_sort_block_merge_config_selectorItNS0_10empty_typeEEEZZNS1_27merge_sort_block_merge_implIS3_N6thrust23THRUST_200600_302600_NS6detail15normal_iteratorINS9_10device_ptrItEEEEPS5_m11less_div_10ItEEE10hipError_tT0_T1_T2_jT3_P12ihipStream_tbPNSt15iterator_traitsISJ_E10value_typeEPNSP_ISK_E10value_typeEPSL_NS1_7vsmem_tEENKUlT_SJ_SK_SL_E_clIPtSE_SF_SF_EESI_SY_SJ_SK_SL_EUlSY_E_NS1_11comp_targetILNS1_3genE2ELNS1_11target_archE906ELNS1_3gpuE6ELNS1_3repE0EEENS1_48merge_mergepath_partition_config_static_selectorELNS0_4arch9wavefront6targetE0EEEvSK_, .Lfunc_end247-_ZN7rocprim17ROCPRIM_400000_NS6detail17trampoline_kernelINS0_14default_configENS1_38merge_sort_block_merge_config_selectorItNS0_10empty_typeEEEZZNS1_27merge_sort_block_merge_implIS3_N6thrust23THRUST_200600_302600_NS6detail15normal_iteratorINS9_10device_ptrItEEEEPS5_m11less_div_10ItEEE10hipError_tT0_T1_T2_jT3_P12ihipStream_tbPNSt15iterator_traitsISJ_E10value_typeEPNSP_ISK_E10value_typeEPSL_NS1_7vsmem_tEENKUlT_SJ_SK_SL_E_clIPtSE_SF_SF_EESI_SY_SJ_SK_SL_EUlSY_E_NS1_11comp_targetILNS1_3genE2ELNS1_11target_archE906ELNS1_3gpuE6ELNS1_3repE0EEENS1_48merge_mergepath_partition_config_static_selectorELNS0_4arch9wavefront6targetE0EEEvSK_
                                        ; -- End function
	.set _ZN7rocprim17ROCPRIM_400000_NS6detail17trampoline_kernelINS0_14default_configENS1_38merge_sort_block_merge_config_selectorItNS0_10empty_typeEEEZZNS1_27merge_sort_block_merge_implIS3_N6thrust23THRUST_200600_302600_NS6detail15normal_iteratorINS9_10device_ptrItEEEEPS5_m11less_div_10ItEEE10hipError_tT0_T1_T2_jT3_P12ihipStream_tbPNSt15iterator_traitsISJ_E10value_typeEPNSP_ISK_E10value_typeEPSL_NS1_7vsmem_tEENKUlT_SJ_SK_SL_E_clIPtSE_SF_SF_EESI_SY_SJ_SK_SL_EUlSY_E_NS1_11comp_targetILNS1_3genE2ELNS1_11target_archE906ELNS1_3gpuE6ELNS1_3repE0EEENS1_48merge_mergepath_partition_config_static_selectorELNS0_4arch9wavefront6targetE0EEEvSK_.num_vgpr, 0
	.set _ZN7rocprim17ROCPRIM_400000_NS6detail17trampoline_kernelINS0_14default_configENS1_38merge_sort_block_merge_config_selectorItNS0_10empty_typeEEEZZNS1_27merge_sort_block_merge_implIS3_N6thrust23THRUST_200600_302600_NS6detail15normal_iteratorINS9_10device_ptrItEEEEPS5_m11less_div_10ItEEE10hipError_tT0_T1_T2_jT3_P12ihipStream_tbPNSt15iterator_traitsISJ_E10value_typeEPNSP_ISK_E10value_typeEPSL_NS1_7vsmem_tEENKUlT_SJ_SK_SL_E_clIPtSE_SF_SF_EESI_SY_SJ_SK_SL_EUlSY_E_NS1_11comp_targetILNS1_3genE2ELNS1_11target_archE906ELNS1_3gpuE6ELNS1_3repE0EEENS1_48merge_mergepath_partition_config_static_selectorELNS0_4arch9wavefront6targetE0EEEvSK_.num_agpr, 0
	.set _ZN7rocprim17ROCPRIM_400000_NS6detail17trampoline_kernelINS0_14default_configENS1_38merge_sort_block_merge_config_selectorItNS0_10empty_typeEEEZZNS1_27merge_sort_block_merge_implIS3_N6thrust23THRUST_200600_302600_NS6detail15normal_iteratorINS9_10device_ptrItEEEEPS5_m11less_div_10ItEEE10hipError_tT0_T1_T2_jT3_P12ihipStream_tbPNSt15iterator_traitsISJ_E10value_typeEPNSP_ISK_E10value_typeEPSL_NS1_7vsmem_tEENKUlT_SJ_SK_SL_E_clIPtSE_SF_SF_EESI_SY_SJ_SK_SL_EUlSY_E_NS1_11comp_targetILNS1_3genE2ELNS1_11target_archE906ELNS1_3gpuE6ELNS1_3repE0EEENS1_48merge_mergepath_partition_config_static_selectorELNS0_4arch9wavefront6targetE0EEEvSK_.numbered_sgpr, 0
	.set _ZN7rocprim17ROCPRIM_400000_NS6detail17trampoline_kernelINS0_14default_configENS1_38merge_sort_block_merge_config_selectorItNS0_10empty_typeEEEZZNS1_27merge_sort_block_merge_implIS3_N6thrust23THRUST_200600_302600_NS6detail15normal_iteratorINS9_10device_ptrItEEEEPS5_m11less_div_10ItEEE10hipError_tT0_T1_T2_jT3_P12ihipStream_tbPNSt15iterator_traitsISJ_E10value_typeEPNSP_ISK_E10value_typeEPSL_NS1_7vsmem_tEENKUlT_SJ_SK_SL_E_clIPtSE_SF_SF_EESI_SY_SJ_SK_SL_EUlSY_E_NS1_11comp_targetILNS1_3genE2ELNS1_11target_archE906ELNS1_3gpuE6ELNS1_3repE0EEENS1_48merge_mergepath_partition_config_static_selectorELNS0_4arch9wavefront6targetE0EEEvSK_.num_named_barrier, 0
	.set _ZN7rocprim17ROCPRIM_400000_NS6detail17trampoline_kernelINS0_14default_configENS1_38merge_sort_block_merge_config_selectorItNS0_10empty_typeEEEZZNS1_27merge_sort_block_merge_implIS3_N6thrust23THRUST_200600_302600_NS6detail15normal_iteratorINS9_10device_ptrItEEEEPS5_m11less_div_10ItEEE10hipError_tT0_T1_T2_jT3_P12ihipStream_tbPNSt15iterator_traitsISJ_E10value_typeEPNSP_ISK_E10value_typeEPSL_NS1_7vsmem_tEENKUlT_SJ_SK_SL_E_clIPtSE_SF_SF_EESI_SY_SJ_SK_SL_EUlSY_E_NS1_11comp_targetILNS1_3genE2ELNS1_11target_archE906ELNS1_3gpuE6ELNS1_3repE0EEENS1_48merge_mergepath_partition_config_static_selectorELNS0_4arch9wavefront6targetE0EEEvSK_.private_seg_size, 0
	.set _ZN7rocprim17ROCPRIM_400000_NS6detail17trampoline_kernelINS0_14default_configENS1_38merge_sort_block_merge_config_selectorItNS0_10empty_typeEEEZZNS1_27merge_sort_block_merge_implIS3_N6thrust23THRUST_200600_302600_NS6detail15normal_iteratorINS9_10device_ptrItEEEEPS5_m11less_div_10ItEEE10hipError_tT0_T1_T2_jT3_P12ihipStream_tbPNSt15iterator_traitsISJ_E10value_typeEPNSP_ISK_E10value_typeEPSL_NS1_7vsmem_tEENKUlT_SJ_SK_SL_E_clIPtSE_SF_SF_EESI_SY_SJ_SK_SL_EUlSY_E_NS1_11comp_targetILNS1_3genE2ELNS1_11target_archE906ELNS1_3gpuE6ELNS1_3repE0EEENS1_48merge_mergepath_partition_config_static_selectorELNS0_4arch9wavefront6targetE0EEEvSK_.uses_vcc, 0
	.set _ZN7rocprim17ROCPRIM_400000_NS6detail17trampoline_kernelINS0_14default_configENS1_38merge_sort_block_merge_config_selectorItNS0_10empty_typeEEEZZNS1_27merge_sort_block_merge_implIS3_N6thrust23THRUST_200600_302600_NS6detail15normal_iteratorINS9_10device_ptrItEEEEPS5_m11less_div_10ItEEE10hipError_tT0_T1_T2_jT3_P12ihipStream_tbPNSt15iterator_traitsISJ_E10value_typeEPNSP_ISK_E10value_typeEPSL_NS1_7vsmem_tEENKUlT_SJ_SK_SL_E_clIPtSE_SF_SF_EESI_SY_SJ_SK_SL_EUlSY_E_NS1_11comp_targetILNS1_3genE2ELNS1_11target_archE906ELNS1_3gpuE6ELNS1_3repE0EEENS1_48merge_mergepath_partition_config_static_selectorELNS0_4arch9wavefront6targetE0EEEvSK_.uses_flat_scratch, 0
	.set _ZN7rocprim17ROCPRIM_400000_NS6detail17trampoline_kernelINS0_14default_configENS1_38merge_sort_block_merge_config_selectorItNS0_10empty_typeEEEZZNS1_27merge_sort_block_merge_implIS3_N6thrust23THRUST_200600_302600_NS6detail15normal_iteratorINS9_10device_ptrItEEEEPS5_m11less_div_10ItEEE10hipError_tT0_T1_T2_jT3_P12ihipStream_tbPNSt15iterator_traitsISJ_E10value_typeEPNSP_ISK_E10value_typeEPSL_NS1_7vsmem_tEENKUlT_SJ_SK_SL_E_clIPtSE_SF_SF_EESI_SY_SJ_SK_SL_EUlSY_E_NS1_11comp_targetILNS1_3genE2ELNS1_11target_archE906ELNS1_3gpuE6ELNS1_3repE0EEENS1_48merge_mergepath_partition_config_static_selectorELNS0_4arch9wavefront6targetE0EEEvSK_.has_dyn_sized_stack, 0
	.set _ZN7rocprim17ROCPRIM_400000_NS6detail17trampoline_kernelINS0_14default_configENS1_38merge_sort_block_merge_config_selectorItNS0_10empty_typeEEEZZNS1_27merge_sort_block_merge_implIS3_N6thrust23THRUST_200600_302600_NS6detail15normal_iteratorINS9_10device_ptrItEEEEPS5_m11less_div_10ItEEE10hipError_tT0_T1_T2_jT3_P12ihipStream_tbPNSt15iterator_traitsISJ_E10value_typeEPNSP_ISK_E10value_typeEPSL_NS1_7vsmem_tEENKUlT_SJ_SK_SL_E_clIPtSE_SF_SF_EESI_SY_SJ_SK_SL_EUlSY_E_NS1_11comp_targetILNS1_3genE2ELNS1_11target_archE906ELNS1_3gpuE6ELNS1_3repE0EEENS1_48merge_mergepath_partition_config_static_selectorELNS0_4arch9wavefront6targetE0EEEvSK_.has_recursion, 0
	.set _ZN7rocprim17ROCPRIM_400000_NS6detail17trampoline_kernelINS0_14default_configENS1_38merge_sort_block_merge_config_selectorItNS0_10empty_typeEEEZZNS1_27merge_sort_block_merge_implIS3_N6thrust23THRUST_200600_302600_NS6detail15normal_iteratorINS9_10device_ptrItEEEEPS5_m11less_div_10ItEEE10hipError_tT0_T1_T2_jT3_P12ihipStream_tbPNSt15iterator_traitsISJ_E10value_typeEPNSP_ISK_E10value_typeEPSL_NS1_7vsmem_tEENKUlT_SJ_SK_SL_E_clIPtSE_SF_SF_EESI_SY_SJ_SK_SL_EUlSY_E_NS1_11comp_targetILNS1_3genE2ELNS1_11target_archE906ELNS1_3gpuE6ELNS1_3repE0EEENS1_48merge_mergepath_partition_config_static_selectorELNS0_4arch9wavefront6targetE0EEEvSK_.has_indirect_call, 0
	.section	.AMDGPU.csdata,"",@progbits
; Kernel info:
; codeLenInByte = 0
; TotalNumSgprs: 0
; NumVgprs: 0
; ScratchSize: 0
; MemoryBound: 0
; FloatMode: 240
; IeeeMode: 1
; LDSByteSize: 0 bytes/workgroup (compile time only)
; SGPRBlocks: 0
; VGPRBlocks: 0
; NumSGPRsForWavesPerEU: 1
; NumVGPRsForWavesPerEU: 1
; Occupancy: 16
; WaveLimiterHint : 0
; COMPUTE_PGM_RSRC2:SCRATCH_EN: 0
; COMPUTE_PGM_RSRC2:USER_SGPR: 6
; COMPUTE_PGM_RSRC2:TRAP_HANDLER: 0
; COMPUTE_PGM_RSRC2:TGID_X_EN: 1
; COMPUTE_PGM_RSRC2:TGID_Y_EN: 0
; COMPUTE_PGM_RSRC2:TGID_Z_EN: 0
; COMPUTE_PGM_RSRC2:TIDIG_COMP_CNT: 0
	.section	.text._ZN7rocprim17ROCPRIM_400000_NS6detail17trampoline_kernelINS0_14default_configENS1_38merge_sort_block_merge_config_selectorItNS0_10empty_typeEEEZZNS1_27merge_sort_block_merge_implIS3_N6thrust23THRUST_200600_302600_NS6detail15normal_iteratorINS9_10device_ptrItEEEEPS5_m11less_div_10ItEEE10hipError_tT0_T1_T2_jT3_P12ihipStream_tbPNSt15iterator_traitsISJ_E10value_typeEPNSP_ISK_E10value_typeEPSL_NS1_7vsmem_tEENKUlT_SJ_SK_SL_E_clIPtSE_SF_SF_EESI_SY_SJ_SK_SL_EUlSY_E_NS1_11comp_targetILNS1_3genE9ELNS1_11target_archE1100ELNS1_3gpuE3ELNS1_3repE0EEENS1_48merge_mergepath_partition_config_static_selectorELNS0_4arch9wavefront6targetE0EEEvSK_,"axG",@progbits,_ZN7rocprim17ROCPRIM_400000_NS6detail17trampoline_kernelINS0_14default_configENS1_38merge_sort_block_merge_config_selectorItNS0_10empty_typeEEEZZNS1_27merge_sort_block_merge_implIS3_N6thrust23THRUST_200600_302600_NS6detail15normal_iteratorINS9_10device_ptrItEEEEPS5_m11less_div_10ItEEE10hipError_tT0_T1_T2_jT3_P12ihipStream_tbPNSt15iterator_traitsISJ_E10value_typeEPNSP_ISK_E10value_typeEPSL_NS1_7vsmem_tEENKUlT_SJ_SK_SL_E_clIPtSE_SF_SF_EESI_SY_SJ_SK_SL_EUlSY_E_NS1_11comp_targetILNS1_3genE9ELNS1_11target_archE1100ELNS1_3gpuE3ELNS1_3repE0EEENS1_48merge_mergepath_partition_config_static_selectorELNS0_4arch9wavefront6targetE0EEEvSK_,comdat
	.protected	_ZN7rocprim17ROCPRIM_400000_NS6detail17trampoline_kernelINS0_14default_configENS1_38merge_sort_block_merge_config_selectorItNS0_10empty_typeEEEZZNS1_27merge_sort_block_merge_implIS3_N6thrust23THRUST_200600_302600_NS6detail15normal_iteratorINS9_10device_ptrItEEEEPS5_m11less_div_10ItEEE10hipError_tT0_T1_T2_jT3_P12ihipStream_tbPNSt15iterator_traitsISJ_E10value_typeEPNSP_ISK_E10value_typeEPSL_NS1_7vsmem_tEENKUlT_SJ_SK_SL_E_clIPtSE_SF_SF_EESI_SY_SJ_SK_SL_EUlSY_E_NS1_11comp_targetILNS1_3genE9ELNS1_11target_archE1100ELNS1_3gpuE3ELNS1_3repE0EEENS1_48merge_mergepath_partition_config_static_selectorELNS0_4arch9wavefront6targetE0EEEvSK_ ; -- Begin function _ZN7rocprim17ROCPRIM_400000_NS6detail17trampoline_kernelINS0_14default_configENS1_38merge_sort_block_merge_config_selectorItNS0_10empty_typeEEEZZNS1_27merge_sort_block_merge_implIS3_N6thrust23THRUST_200600_302600_NS6detail15normal_iteratorINS9_10device_ptrItEEEEPS5_m11less_div_10ItEEE10hipError_tT0_T1_T2_jT3_P12ihipStream_tbPNSt15iterator_traitsISJ_E10value_typeEPNSP_ISK_E10value_typeEPSL_NS1_7vsmem_tEENKUlT_SJ_SK_SL_E_clIPtSE_SF_SF_EESI_SY_SJ_SK_SL_EUlSY_E_NS1_11comp_targetILNS1_3genE9ELNS1_11target_archE1100ELNS1_3gpuE3ELNS1_3repE0EEENS1_48merge_mergepath_partition_config_static_selectorELNS0_4arch9wavefront6targetE0EEEvSK_
	.globl	_ZN7rocprim17ROCPRIM_400000_NS6detail17trampoline_kernelINS0_14default_configENS1_38merge_sort_block_merge_config_selectorItNS0_10empty_typeEEEZZNS1_27merge_sort_block_merge_implIS3_N6thrust23THRUST_200600_302600_NS6detail15normal_iteratorINS9_10device_ptrItEEEEPS5_m11less_div_10ItEEE10hipError_tT0_T1_T2_jT3_P12ihipStream_tbPNSt15iterator_traitsISJ_E10value_typeEPNSP_ISK_E10value_typeEPSL_NS1_7vsmem_tEENKUlT_SJ_SK_SL_E_clIPtSE_SF_SF_EESI_SY_SJ_SK_SL_EUlSY_E_NS1_11comp_targetILNS1_3genE9ELNS1_11target_archE1100ELNS1_3gpuE3ELNS1_3repE0EEENS1_48merge_mergepath_partition_config_static_selectorELNS0_4arch9wavefront6targetE0EEEvSK_
	.p2align	8
	.type	_ZN7rocprim17ROCPRIM_400000_NS6detail17trampoline_kernelINS0_14default_configENS1_38merge_sort_block_merge_config_selectorItNS0_10empty_typeEEEZZNS1_27merge_sort_block_merge_implIS3_N6thrust23THRUST_200600_302600_NS6detail15normal_iteratorINS9_10device_ptrItEEEEPS5_m11less_div_10ItEEE10hipError_tT0_T1_T2_jT3_P12ihipStream_tbPNSt15iterator_traitsISJ_E10value_typeEPNSP_ISK_E10value_typeEPSL_NS1_7vsmem_tEENKUlT_SJ_SK_SL_E_clIPtSE_SF_SF_EESI_SY_SJ_SK_SL_EUlSY_E_NS1_11comp_targetILNS1_3genE9ELNS1_11target_archE1100ELNS1_3gpuE3ELNS1_3repE0EEENS1_48merge_mergepath_partition_config_static_selectorELNS0_4arch9wavefront6targetE0EEEvSK_,@function
_ZN7rocprim17ROCPRIM_400000_NS6detail17trampoline_kernelINS0_14default_configENS1_38merge_sort_block_merge_config_selectorItNS0_10empty_typeEEEZZNS1_27merge_sort_block_merge_implIS3_N6thrust23THRUST_200600_302600_NS6detail15normal_iteratorINS9_10device_ptrItEEEEPS5_m11less_div_10ItEEE10hipError_tT0_T1_T2_jT3_P12ihipStream_tbPNSt15iterator_traitsISJ_E10value_typeEPNSP_ISK_E10value_typeEPSL_NS1_7vsmem_tEENKUlT_SJ_SK_SL_E_clIPtSE_SF_SF_EESI_SY_SJ_SK_SL_EUlSY_E_NS1_11comp_targetILNS1_3genE9ELNS1_11target_archE1100ELNS1_3gpuE3ELNS1_3repE0EEENS1_48merge_mergepath_partition_config_static_selectorELNS0_4arch9wavefront6targetE0EEEvSK_: ; @_ZN7rocprim17ROCPRIM_400000_NS6detail17trampoline_kernelINS0_14default_configENS1_38merge_sort_block_merge_config_selectorItNS0_10empty_typeEEEZZNS1_27merge_sort_block_merge_implIS3_N6thrust23THRUST_200600_302600_NS6detail15normal_iteratorINS9_10device_ptrItEEEEPS5_m11less_div_10ItEEE10hipError_tT0_T1_T2_jT3_P12ihipStream_tbPNSt15iterator_traitsISJ_E10value_typeEPNSP_ISK_E10value_typeEPSL_NS1_7vsmem_tEENKUlT_SJ_SK_SL_E_clIPtSE_SF_SF_EESI_SY_SJ_SK_SL_EUlSY_E_NS1_11comp_targetILNS1_3genE9ELNS1_11target_archE1100ELNS1_3gpuE3ELNS1_3repE0EEENS1_48merge_mergepath_partition_config_static_selectorELNS0_4arch9wavefront6targetE0EEEvSK_
; %bb.0:
	.section	.rodata,"a",@progbits
	.p2align	6, 0x0
	.amdhsa_kernel _ZN7rocprim17ROCPRIM_400000_NS6detail17trampoline_kernelINS0_14default_configENS1_38merge_sort_block_merge_config_selectorItNS0_10empty_typeEEEZZNS1_27merge_sort_block_merge_implIS3_N6thrust23THRUST_200600_302600_NS6detail15normal_iteratorINS9_10device_ptrItEEEEPS5_m11less_div_10ItEEE10hipError_tT0_T1_T2_jT3_P12ihipStream_tbPNSt15iterator_traitsISJ_E10value_typeEPNSP_ISK_E10value_typeEPSL_NS1_7vsmem_tEENKUlT_SJ_SK_SL_E_clIPtSE_SF_SF_EESI_SY_SJ_SK_SL_EUlSY_E_NS1_11comp_targetILNS1_3genE9ELNS1_11target_archE1100ELNS1_3gpuE3ELNS1_3repE0EEENS1_48merge_mergepath_partition_config_static_selectorELNS0_4arch9wavefront6targetE0EEEvSK_
		.amdhsa_group_segment_fixed_size 0
		.amdhsa_private_segment_fixed_size 0
		.amdhsa_kernarg_size 48
		.amdhsa_user_sgpr_count 6
		.amdhsa_user_sgpr_private_segment_buffer 1
		.amdhsa_user_sgpr_dispatch_ptr 0
		.amdhsa_user_sgpr_queue_ptr 0
		.amdhsa_user_sgpr_kernarg_segment_ptr 1
		.amdhsa_user_sgpr_dispatch_id 0
		.amdhsa_user_sgpr_flat_scratch_init 0
		.amdhsa_user_sgpr_private_segment_size 0
		.amdhsa_wavefront_size32 1
		.amdhsa_uses_dynamic_stack 0
		.amdhsa_system_sgpr_private_segment_wavefront_offset 0
		.amdhsa_system_sgpr_workgroup_id_x 1
		.amdhsa_system_sgpr_workgroup_id_y 0
		.amdhsa_system_sgpr_workgroup_id_z 0
		.amdhsa_system_sgpr_workgroup_info 0
		.amdhsa_system_vgpr_workitem_id 0
		.amdhsa_next_free_vgpr 1
		.amdhsa_next_free_sgpr 1
		.amdhsa_reserve_vcc 0
		.amdhsa_reserve_flat_scratch 0
		.amdhsa_float_round_mode_32 0
		.amdhsa_float_round_mode_16_64 0
		.amdhsa_float_denorm_mode_32 3
		.amdhsa_float_denorm_mode_16_64 3
		.amdhsa_dx10_clamp 1
		.amdhsa_ieee_mode 1
		.amdhsa_fp16_overflow 0
		.amdhsa_workgroup_processor_mode 1
		.amdhsa_memory_ordered 1
		.amdhsa_forward_progress 1
		.amdhsa_shared_vgpr_count 0
		.amdhsa_exception_fp_ieee_invalid_op 0
		.amdhsa_exception_fp_denorm_src 0
		.amdhsa_exception_fp_ieee_div_zero 0
		.amdhsa_exception_fp_ieee_overflow 0
		.amdhsa_exception_fp_ieee_underflow 0
		.amdhsa_exception_fp_ieee_inexact 0
		.amdhsa_exception_int_div_zero 0
	.end_amdhsa_kernel
	.section	.text._ZN7rocprim17ROCPRIM_400000_NS6detail17trampoline_kernelINS0_14default_configENS1_38merge_sort_block_merge_config_selectorItNS0_10empty_typeEEEZZNS1_27merge_sort_block_merge_implIS3_N6thrust23THRUST_200600_302600_NS6detail15normal_iteratorINS9_10device_ptrItEEEEPS5_m11less_div_10ItEEE10hipError_tT0_T1_T2_jT3_P12ihipStream_tbPNSt15iterator_traitsISJ_E10value_typeEPNSP_ISK_E10value_typeEPSL_NS1_7vsmem_tEENKUlT_SJ_SK_SL_E_clIPtSE_SF_SF_EESI_SY_SJ_SK_SL_EUlSY_E_NS1_11comp_targetILNS1_3genE9ELNS1_11target_archE1100ELNS1_3gpuE3ELNS1_3repE0EEENS1_48merge_mergepath_partition_config_static_selectorELNS0_4arch9wavefront6targetE0EEEvSK_,"axG",@progbits,_ZN7rocprim17ROCPRIM_400000_NS6detail17trampoline_kernelINS0_14default_configENS1_38merge_sort_block_merge_config_selectorItNS0_10empty_typeEEEZZNS1_27merge_sort_block_merge_implIS3_N6thrust23THRUST_200600_302600_NS6detail15normal_iteratorINS9_10device_ptrItEEEEPS5_m11less_div_10ItEEE10hipError_tT0_T1_T2_jT3_P12ihipStream_tbPNSt15iterator_traitsISJ_E10value_typeEPNSP_ISK_E10value_typeEPSL_NS1_7vsmem_tEENKUlT_SJ_SK_SL_E_clIPtSE_SF_SF_EESI_SY_SJ_SK_SL_EUlSY_E_NS1_11comp_targetILNS1_3genE9ELNS1_11target_archE1100ELNS1_3gpuE3ELNS1_3repE0EEENS1_48merge_mergepath_partition_config_static_selectorELNS0_4arch9wavefront6targetE0EEEvSK_,comdat
.Lfunc_end248:
	.size	_ZN7rocprim17ROCPRIM_400000_NS6detail17trampoline_kernelINS0_14default_configENS1_38merge_sort_block_merge_config_selectorItNS0_10empty_typeEEEZZNS1_27merge_sort_block_merge_implIS3_N6thrust23THRUST_200600_302600_NS6detail15normal_iteratorINS9_10device_ptrItEEEEPS5_m11less_div_10ItEEE10hipError_tT0_T1_T2_jT3_P12ihipStream_tbPNSt15iterator_traitsISJ_E10value_typeEPNSP_ISK_E10value_typeEPSL_NS1_7vsmem_tEENKUlT_SJ_SK_SL_E_clIPtSE_SF_SF_EESI_SY_SJ_SK_SL_EUlSY_E_NS1_11comp_targetILNS1_3genE9ELNS1_11target_archE1100ELNS1_3gpuE3ELNS1_3repE0EEENS1_48merge_mergepath_partition_config_static_selectorELNS0_4arch9wavefront6targetE0EEEvSK_, .Lfunc_end248-_ZN7rocprim17ROCPRIM_400000_NS6detail17trampoline_kernelINS0_14default_configENS1_38merge_sort_block_merge_config_selectorItNS0_10empty_typeEEEZZNS1_27merge_sort_block_merge_implIS3_N6thrust23THRUST_200600_302600_NS6detail15normal_iteratorINS9_10device_ptrItEEEEPS5_m11less_div_10ItEEE10hipError_tT0_T1_T2_jT3_P12ihipStream_tbPNSt15iterator_traitsISJ_E10value_typeEPNSP_ISK_E10value_typeEPSL_NS1_7vsmem_tEENKUlT_SJ_SK_SL_E_clIPtSE_SF_SF_EESI_SY_SJ_SK_SL_EUlSY_E_NS1_11comp_targetILNS1_3genE9ELNS1_11target_archE1100ELNS1_3gpuE3ELNS1_3repE0EEENS1_48merge_mergepath_partition_config_static_selectorELNS0_4arch9wavefront6targetE0EEEvSK_
                                        ; -- End function
	.set _ZN7rocprim17ROCPRIM_400000_NS6detail17trampoline_kernelINS0_14default_configENS1_38merge_sort_block_merge_config_selectorItNS0_10empty_typeEEEZZNS1_27merge_sort_block_merge_implIS3_N6thrust23THRUST_200600_302600_NS6detail15normal_iteratorINS9_10device_ptrItEEEEPS5_m11less_div_10ItEEE10hipError_tT0_T1_T2_jT3_P12ihipStream_tbPNSt15iterator_traitsISJ_E10value_typeEPNSP_ISK_E10value_typeEPSL_NS1_7vsmem_tEENKUlT_SJ_SK_SL_E_clIPtSE_SF_SF_EESI_SY_SJ_SK_SL_EUlSY_E_NS1_11comp_targetILNS1_3genE9ELNS1_11target_archE1100ELNS1_3gpuE3ELNS1_3repE0EEENS1_48merge_mergepath_partition_config_static_selectorELNS0_4arch9wavefront6targetE0EEEvSK_.num_vgpr, 0
	.set _ZN7rocprim17ROCPRIM_400000_NS6detail17trampoline_kernelINS0_14default_configENS1_38merge_sort_block_merge_config_selectorItNS0_10empty_typeEEEZZNS1_27merge_sort_block_merge_implIS3_N6thrust23THRUST_200600_302600_NS6detail15normal_iteratorINS9_10device_ptrItEEEEPS5_m11less_div_10ItEEE10hipError_tT0_T1_T2_jT3_P12ihipStream_tbPNSt15iterator_traitsISJ_E10value_typeEPNSP_ISK_E10value_typeEPSL_NS1_7vsmem_tEENKUlT_SJ_SK_SL_E_clIPtSE_SF_SF_EESI_SY_SJ_SK_SL_EUlSY_E_NS1_11comp_targetILNS1_3genE9ELNS1_11target_archE1100ELNS1_3gpuE3ELNS1_3repE0EEENS1_48merge_mergepath_partition_config_static_selectorELNS0_4arch9wavefront6targetE0EEEvSK_.num_agpr, 0
	.set _ZN7rocprim17ROCPRIM_400000_NS6detail17trampoline_kernelINS0_14default_configENS1_38merge_sort_block_merge_config_selectorItNS0_10empty_typeEEEZZNS1_27merge_sort_block_merge_implIS3_N6thrust23THRUST_200600_302600_NS6detail15normal_iteratorINS9_10device_ptrItEEEEPS5_m11less_div_10ItEEE10hipError_tT0_T1_T2_jT3_P12ihipStream_tbPNSt15iterator_traitsISJ_E10value_typeEPNSP_ISK_E10value_typeEPSL_NS1_7vsmem_tEENKUlT_SJ_SK_SL_E_clIPtSE_SF_SF_EESI_SY_SJ_SK_SL_EUlSY_E_NS1_11comp_targetILNS1_3genE9ELNS1_11target_archE1100ELNS1_3gpuE3ELNS1_3repE0EEENS1_48merge_mergepath_partition_config_static_selectorELNS0_4arch9wavefront6targetE0EEEvSK_.numbered_sgpr, 0
	.set _ZN7rocprim17ROCPRIM_400000_NS6detail17trampoline_kernelINS0_14default_configENS1_38merge_sort_block_merge_config_selectorItNS0_10empty_typeEEEZZNS1_27merge_sort_block_merge_implIS3_N6thrust23THRUST_200600_302600_NS6detail15normal_iteratorINS9_10device_ptrItEEEEPS5_m11less_div_10ItEEE10hipError_tT0_T1_T2_jT3_P12ihipStream_tbPNSt15iterator_traitsISJ_E10value_typeEPNSP_ISK_E10value_typeEPSL_NS1_7vsmem_tEENKUlT_SJ_SK_SL_E_clIPtSE_SF_SF_EESI_SY_SJ_SK_SL_EUlSY_E_NS1_11comp_targetILNS1_3genE9ELNS1_11target_archE1100ELNS1_3gpuE3ELNS1_3repE0EEENS1_48merge_mergepath_partition_config_static_selectorELNS0_4arch9wavefront6targetE0EEEvSK_.num_named_barrier, 0
	.set _ZN7rocprim17ROCPRIM_400000_NS6detail17trampoline_kernelINS0_14default_configENS1_38merge_sort_block_merge_config_selectorItNS0_10empty_typeEEEZZNS1_27merge_sort_block_merge_implIS3_N6thrust23THRUST_200600_302600_NS6detail15normal_iteratorINS9_10device_ptrItEEEEPS5_m11less_div_10ItEEE10hipError_tT0_T1_T2_jT3_P12ihipStream_tbPNSt15iterator_traitsISJ_E10value_typeEPNSP_ISK_E10value_typeEPSL_NS1_7vsmem_tEENKUlT_SJ_SK_SL_E_clIPtSE_SF_SF_EESI_SY_SJ_SK_SL_EUlSY_E_NS1_11comp_targetILNS1_3genE9ELNS1_11target_archE1100ELNS1_3gpuE3ELNS1_3repE0EEENS1_48merge_mergepath_partition_config_static_selectorELNS0_4arch9wavefront6targetE0EEEvSK_.private_seg_size, 0
	.set _ZN7rocprim17ROCPRIM_400000_NS6detail17trampoline_kernelINS0_14default_configENS1_38merge_sort_block_merge_config_selectorItNS0_10empty_typeEEEZZNS1_27merge_sort_block_merge_implIS3_N6thrust23THRUST_200600_302600_NS6detail15normal_iteratorINS9_10device_ptrItEEEEPS5_m11less_div_10ItEEE10hipError_tT0_T1_T2_jT3_P12ihipStream_tbPNSt15iterator_traitsISJ_E10value_typeEPNSP_ISK_E10value_typeEPSL_NS1_7vsmem_tEENKUlT_SJ_SK_SL_E_clIPtSE_SF_SF_EESI_SY_SJ_SK_SL_EUlSY_E_NS1_11comp_targetILNS1_3genE9ELNS1_11target_archE1100ELNS1_3gpuE3ELNS1_3repE0EEENS1_48merge_mergepath_partition_config_static_selectorELNS0_4arch9wavefront6targetE0EEEvSK_.uses_vcc, 0
	.set _ZN7rocprim17ROCPRIM_400000_NS6detail17trampoline_kernelINS0_14default_configENS1_38merge_sort_block_merge_config_selectorItNS0_10empty_typeEEEZZNS1_27merge_sort_block_merge_implIS3_N6thrust23THRUST_200600_302600_NS6detail15normal_iteratorINS9_10device_ptrItEEEEPS5_m11less_div_10ItEEE10hipError_tT0_T1_T2_jT3_P12ihipStream_tbPNSt15iterator_traitsISJ_E10value_typeEPNSP_ISK_E10value_typeEPSL_NS1_7vsmem_tEENKUlT_SJ_SK_SL_E_clIPtSE_SF_SF_EESI_SY_SJ_SK_SL_EUlSY_E_NS1_11comp_targetILNS1_3genE9ELNS1_11target_archE1100ELNS1_3gpuE3ELNS1_3repE0EEENS1_48merge_mergepath_partition_config_static_selectorELNS0_4arch9wavefront6targetE0EEEvSK_.uses_flat_scratch, 0
	.set _ZN7rocprim17ROCPRIM_400000_NS6detail17trampoline_kernelINS0_14default_configENS1_38merge_sort_block_merge_config_selectorItNS0_10empty_typeEEEZZNS1_27merge_sort_block_merge_implIS3_N6thrust23THRUST_200600_302600_NS6detail15normal_iteratorINS9_10device_ptrItEEEEPS5_m11less_div_10ItEEE10hipError_tT0_T1_T2_jT3_P12ihipStream_tbPNSt15iterator_traitsISJ_E10value_typeEPNSP_ISK_E10value_typeEPSL_NS1_7vsmem_tEENKUlT_SJ_SK_SL_E_clIPtSE_SF_SF_EESI_SY_SJ_SK_SL_EUlSY_E_NS1_11comp_targetILNS1_3genE9ELNS1_11target_archE1100ELNS1_3gpuE3ELNS1_3repE0EEENS1_48merge_mergepath_partition_config_static_selectorELNS0_4arch9wavefront6targetE0EEEvSK_.has_dyn_sized_stack, 0
	.set _ZN7rocprim17ROCPRIM_400000_NS6detail17trampoline_kernelINS0_14default_configENS1_38merge_sort_block_merge_config_selectorItNS0_10empty_typeEEEZZNS1_27merge_sort_block_merge_implIS3_N6thrust23THRUST_200600_302600_NS6detail15normal_iteratorINS9_10device_ptrItEEEEPS5_m11less_div_10ItEEE10hipError_tT0_T1_T2_jT3_P12ihipStream_tbPNSt15iterator_traitsISJ_E10value_typeEPNSP_ISK_E10value_typeEPSL_NS1_7vsmem_tEENKUlT_SJ_SK_SL_E_clIPtSE_SF_SF_EESI_SY_SJ_SK_SL_EUlSY_E_NS1_11comp_targetILNS1_3genE9ELNS1_11target_archE1100ELNS1_3gpuE3ELNS1_3repE0EEENS1_48merge_mergepath_partition_config_static_selectorELNS0_4arch9wavefront6targetE0EEEvSK_.has_recursion, 0
	.set _ZN7rocprim17ROCPRIM_400000_NS6detail17trampoline_kernelINS0_14default_configENS1_38merge_sort_block_merge_config_selectorItNS0_10empty_typeEEEZZNS1_27merge_sort_block_merge_implIS3_N6thrust23THRUST_200600_302600_NS6detail15normal_iteratorINS9_10device_ptrItEEEEPS5_m11less_div_10ItEEE10hipError_tT0_T1_T2_jT3_P12ihipStream_tbPNSt15iterator_traitsISJ_E10value_typeEPNSP_ISK_E10value_typeEPSL_NS1_7vsmem_tEENKUlT_SJ_SK_SL_E_clIPtSE_SF_SF_EESI_SY_SJ_SK_SL_EUlSY_E_NS1_11comp_targetILNS1_3genE9ELNS1_11target_archE1100ELNS1_3gpuE3ELNS1_3repE0EEENS1_48merge_mergepath_partition_config_static_selectorELNS0_4arch9wavefront6targetE0EEEvSK_.has_indirect_call, 0
	.section	.AMDGPU.csdata,"",@progbits
; Kernel info:
; codeLenInByte = 0
; TotalNumSgprs: 0
; NumVgprs: 0
; ScratchSize: 0
; MemoryBound: 0
; FloatMode: 240
; IeeeMode: 1
; LDSByteSize: 0 bytes/workgroup (compile time only)
; SGPRBlocks: 0
; VGPRBlocks: 0
; NumSGPRsForWavesPerEU: 1
; NumVGPRsForWavesPerEU: 1
; Occupancy: 16
; WaveLimiterHint : 0
; COMPUTE_PGM_RSRC2:SCRATCH_EN: 0
; COMPUTE_PGM_RSRC2:USER_SGPR: 6
; COMPUTE_PGM_RSRC2:TRAP_HANDLER: 0
; COMPUTE_PGM_RSRC2:TGID_X_EN: 1
; COMPUTE_PGM_RSRC2:TGID_Y_EN: 0
; COMPUTE_PGM_RSRC2:TGID_Z_EN: 0
; COMPUTE_PGM_RSRC2:TIDIG_COMP_CNT: 0
	.section	.text._ZN7rocprim17ROCPRIM_400000_NS6detail17trampoline_kernelINS0_14default_configENS1_38merge_sort_block_merge_config_selectorItNS0_10empty_typeEEEZZNS1_27merge_sort_block_merge_implIS3_N6thrust23THRUST_200600_302600_NS6detail15normal_iteratorINS9_10device_ptrItEEEEPS5_m11less_div_10ItEEE10hipError_tT0_T1_T2_jT3_P12ihipStream_tbPNSt15iterator_traitsISJ_E10value_typeEPNSP_ISK_E10value_typeEPSL_NS1_7vsmem_tEENKUlT_SJ_SK_SL_E_clIPtSE_SF_SF_EESI_SY_SJ_SK_SL_EUlSY_E_NS1_11comp_targetILNS1_3genE8ELNS1_11target_archE1030ELNS1_3gpuE2ELNS1_3repE0EEENS1_48merge_mergepath_partition_config_static_selectorELNS0_4arch9wavefront6targetE0EEEvSK_,"axG",@progbits,_ZN7rocprim17ROCPRIM_400000_NS6detail17trampoline_kernelINS0_14default_configENS1_38merge_sort_block_merge_config_selectorItNS0_10empty_typeEEEZZNS1_27merge_sort_block_merge_implIS3_N6thrust23THRUST_200600_302600_NS6detail15normal_iteratorINS9_10device_ptrItEEEEPS5_m11less_div_10ItEEE10hipError_tT0_T1_T2_jT3_P12ihipStream_tbPNSt15iterator_traitsISJ_E10value_typeEPNSP_ISK_E10value_typeEPSL_NS1_7vsmem_tEENKUlT_SJ_SK_SL_E_clIPtSE_SF_SF_EESI_SY_SJ_SK_SL_EUlSY_E_NS1_11comp_targetILNS1_3genE8ELNS1_11target_archE1030ELNS1_3gpuE2ELNS1_3repE0EEENS1_48merge_mergepath_partition_config_static_selectorELNS0_4arch9wavefront6targetE0EEEvSK_,comdat
	.protected	_ZN7rocprim17ROCPRIM_400000_NS6detail17trampoline_kernelINS0_14default_configENS1_38merge_sort_block_merge_config_selectorItNS0_10empty_typeEEEZZNS1_27merge_sort_block_merge_implIS3_N6thrust23THRUST_200600_302600_NS6detail15normal_iteratorINS9_10device_ptrItEEEEPS5_m11less_div_10ItEEE10hipError_tT0_T1_T2_jT3_P12ihipStream_tbPNSt15iterator_traitsISJ_E10value_typeEPNSP_ISK_E10value_typeEPSL_NS1_7vsmem_tEENKUlT_SJ_SK_SL_E_clIPtSE_SF_SF_EESI_SY_SJ_SK_SL_EUlSY_E_NS1_11comp_targetILNS1_3genE8ELNS1_11target_archE1030ELNS1_3gpuE2ELNS1_3repE0EEENS1_48merge_mergepath_partition_config_static_selectorELNS0_4arch9wavefront6targetE0EEEvSK_ ; -- Begin function _ZN7rocprim17ROCPRIM_400000_NS6detail17trampoline_kernelINS0_14default_configENS1_38merge_sort_block_merge_config_selectorItNS0_10empty_typeEEEZZNS1_27merge_sort_block_merge_implIS3_N6thrust23THRUST_200600_302600_NS6detail15normal_iteratorINS9_10device_ptrItEEEEPS5_m11less_div_10ItEEE10hipError_tT0_T1_T2_jT3_P12ihipStream_tbPNSt15iterator_traitsISJ_E10value_typeEPNSP_ISK_E10value_typeEPSL_NS1_7vsmem_tEENKUlT_SJ_SK_SL_E_clIPtSE_SF_SF_EESI_SY_SJ_SK_SL_EUlSY_E_NS1_11comp_targetILNS1_3genE8ELNS1_11target_archE1030ELNS1_3gpuE2ELNS1_3repE0EEENS1_48merge_mergepath_partition_config_static_selectorELNS0_4arch9wavefront6targetE0EEEvSK_
	.globl	_ZN7rocprim17ROCPRIM_400000_NS6detail17trampoline_kernelINS0_14default_configENS1_38merge_sort_block_merge_config_selectorItNS0_10empty_typeEEEZZNS1_27merge_sort_block_merge_implIS3_N6thrust23THRUST_200600_302600_NS6detail15normal_iteratorINS9_10device_ptrItEEEEPS5_m11less_div_10ItEEE10hipError_tT0_T1_T2_jT3_P12ihipStream_tbPNSt15iterator_traitsISJ_E10value_typeEPNSP_ISK_E10value_typeEPSL_NS1_7vsmem_tEENKUlT_SJ_SK_SL_E_clIPtSE_SF_SF_EESI_SY_SJ_SK_SL_EUlSY_E_NS1_11comp_targetILNS1_3genE8ELNS1_11target_archE1030ELNS1_3gpuE2ELNS1_3repE0EEENS1_48merge_mergepath_partition_config_static_selectorELNS0_4arch9wavefront6targetE0EEEvSK_
	.p2align	8
	.type	_ZN7rocprim17ROCPRIM_400000_NS6detail17trampoline_kernelINS0_14default_configENS1_38merge_sort_block_merge_config_selectorItNS0_10empty_typeEEEZZNS1_27merge_sort_block_merge_implIS3_N6thrust23THRUST_200600_302600_NS6detail15normal_iteratorINS9_10device_ptrItEEEEPS5_m11less_div_10ItEEE10hipError_tT0_T1_T2_jT3_P12ihipStream_tbPNSt15iterator_traitsISJ_E10value_typeEPNSP_ISK_E10value_typeEPSL_NS1_7vsmem_tEENKUlT_SJ_SK_SL_E_clIPtSE_SF_SF_EESI_SY_SJ_SK_SL_EUlSY_E_NS1_11comp_targetILNS1_3genE8ELNS1_11target_archE1030ELNS1_3gpuE2ELNS1_3repE0EEENS1_48merge_mergepath_partition_config_static_selectorELNS0_4arch9wavefront6targetE0EEEvSK_,@function
_ZN7rocprim17ROCPRIM_400000_NS6detail17trampoline_kernelINS0_14default_configENS1_38merge_sort_block_merge_config_selectorItNS0_10empty_typeEEEZZNS1_27merge_sort_block_merge_implIS3_N6thrust23THRUST_200600_302600_NS6detail15normal_iteratorINS9_10device_ptrItEEEEPS5_m11less_div_10ItEEE10hipError_tT0_T1_T2_jT3_P12ihipStream_tbPNSt15iterator_traitsISJ_E10value_typeEPNSP_ISK_E10value_typeEPSL_NS1_7vsmem_tEENKUlT_SJ_SK_SL_E_clIPtSE_SF_SF_EESI_SY_SJ_SK_SL_EUlSY_E_NS1_11comp_targetILNS1_3genE8ELNS1_11target_archE1030ELNS1_3gpuE2ELNS1_3repE0EEENS1_48merge_mergepath_partition_config_static_selectorELNS0_4arch9wavefront6targetE0EEEvSK_: ; @_ZN7rocprim17ROCPRIM_400000_NS6detail17trampoline_kernelINS0_14default_configENS1_38merge_sort_block_merge_config_selectorItNS0_10empty_typeEEEZZNS1_27merge_sort_block_merge_implIS3_N6thrust23THRUST_200600_302600_NS6detail15normal_iteratorINS9_10device_ptrItEEEEPS5_m11less_div_10ItEEE10hipError_tT0_T1_T2_jT3_P12ihipStream_tbPNSt15iterator_traitsISJ_E10value_typeEPNSP_ISK_E10value_typeEPSL_NS1_7vsmem_tEENKUlT_SJ_SK_SL_E_clIPtSE_SF_SF_EESI_SY_SJ_SK_SL_EUlSY_E_NS1_11comp_targetILNS1_3genE8ELNS1_11target_archE1030ELNS1_3gpuE2ELNS1_3repE0EEENS1_48merge_mergepath_partition_config_static_selectorELNS0_4arch9wavefront6targetE0EEEvSK_
; %bb.0:
	s_load_dword s0, s[4:5], 0x0
	v_lshl_or_b32 v0, s6, 7, v0
	s_waitcnt lgkmcnt(0)
	v_cmp_gt_u32_e32 vcc_lo, s0, v0
	s_and_saveexec_b32 s0, vcc_lo
	s_cbranch_execz .LBB249_6
; %bb.1:
	s_load_dwordx4 s[0:3], s[4:5], 0x8
	v_mov_b32_e32 v2, 0
	v_mov_b32_e32 v11, v2
	s_waitcnt lgkmcnt(0)
	s_lshr_b64 s[6:7], s[0:1], 9
	s_and_b32 s6, s6, -2
	s_sub_i32 s7, 0, s6
	s_add_i32 s6, s6, -1
	v_and_b32_e32 v1, s7, v0
	v_and_b32_e32 v10, s6, v0
	v_lshlrev_b64 v[4:5], 10, v[1:2]
	v_add_co_u32 v6, vcc_lo, v4, s0
	v_add_co_ci_u32_e64 v7, null, s1, v5, vcc_lo
	v_cmp_lt_u64_e32 vcc_lo, s[2:3], v[6:7]
	v_cndmask_b32_e64 v8, v6, s2, vcc_lo
	v_cndmask_b32_e64 v9, v7, s3, vcc_lo
	v_add_co_u32 v6, vcc_lo, v8, s0
	v_add_co_ci_u32_e64 v7, null, s1, v9, vcc_lo
	v_cmp_lt_u64_e32 vcc_lo, s[2:3], v[4:5]
	s_mov_b32 s1, 0
	v_cmp_lt_u64_e64 s0, s[2:3], v[6:7]
	v_cndmask_b32_e64 v2, v4, s2, vcc_lo
	v_cndmask_b32_e64 v3, v5, s3, vcc_lo
	v_lshlrev_b64 v[4:5], 10, v[10:11]
	v_cndmask_b32_e64 v12, v6, s2, s0
	v_cndmask_b32_e64 v1, v7, s3, s0
	s_load_dwordx2 s[2:3], s[4:5], 0x28
	v_sub_co_u32 v6, vcc_lo, v12, v2
	v_sub_co_ci_u32_e64 v7, null, v1, v3, vcc_lo
	v_cmp_lt_u64_e32 vcc_lo, v[6:7], v[4:5]
	v_cndmask_b32_e32 v11, v5, v7, vcc_lo
	v_cndmask_b32_e32 v10, v4, v6, vcc_lo
	v_sub_co_u32 v4, vcc_lo, v8, v12
	v_sub_co_ci_u32_e64 v1, null, v9, v1, vcc_lo
	v_add_co_u32 v4, vcc_lo, v10, v4
	v_add_co_ci_u32_e64 v5, null, v11, v1, vcc_lo
	v_sub_co_u32 v6, vcc_lo, v8, v2
	v_sub_co_ci_u32_e64 v7, null, v9, v3, vcc_lo
	v_cmp_gt_u64_e32 vcc_lo, v[4:5], v[10:11]
	v_cmp_lt_u64_e64 s0, v[10:11], v[6:7]
	v_cndmask_b32_e64 v5, v5, 0, vcc_lo
	v_cndmask_b32_e64 v4, v4, 0, vcc_lo
	v_cndmask_b32_e64 v7, v7, v11, s0
	v_cndmask_b32_e64 v6, v6, v10, s0
	s_mov_b32 s0, exec_lo
	v_cmpx_lt_u64_e64 v[4:5], v[6:7]
	s_cbranch_execz .LBB249_5
; %bb.2:
	s_load_dwordx2 s[4:5], s[4:5], 0x18
	v_lshlrev_b64 v[8:9], 1, v[8:9]
	v_lshlrev_b64 v[12:13], 1, v[2:3]
	;; [unrolled: 1-line block ×3, first 2 shown]
	s_waitcnt lgkmcnt(0)
	v_add_co_u32 v14, vcc_lo, s4, v8
	v_add_co_ci_u32_e64 v15, null, s5, v9, vcc_lo
	v_add_co_u32 v1, vcc_lo, s4, v12
	v_add_co_ci_u32_e64 v8, null, s5, v13, vcc_lo
	;; [unrolled: 2-line block ×3, first 2 shown]
	s_inst_prefetch 0x1
	.p2align	6
.LBB249_3:                              ; =>This Inner Loop Header: Depth=1
	v_add_co_u32 v11, vcc_lo, v6, v4
	v_add_co_ci_u32_e64 v12, null, v7, v5, vcc_lo
	v_and_b32_e32 v13, -2, v11
	v_xor_b32_e32 v16, -1, v12
	v_xor_b32_e32 v15, -2, v13
	v_add_co_u32 v13, vcc_lo, v1, v13
	v_add_co_ci_u32_e64 v14, null, v8, v12, vcc_lo
	v_add_co_u32 v15, vcc_lo, v9, v15
	v_add_co_ci_u32_e64 v16, null, v10, v16, vcc_lo
	v_lshrrev_b64 v[11:12], 1, v[11:12]
	s_clause 0x1
	global_load_ushort v13, v[13:14], off
	global_load_ushort v14, v[15:16], off
	v_add_co_u32 v15, vcc_lo, v11, 1
	v_add_co_ci_u32_e64 v16, null, 0, v12, vcc_lo
	s_waitcnt vmcnt(1)
	v_mul_u32_u24_e32 v13, 0xcccd, v13
	s_waitcnt vmcnt(0)
	v_mul_u32_u24_e32 v14, 0xcccd, v14
	v_lshrrev_b32_e32 v13, 19, v13
	v_lshrrev_b32_e32 v14, 19, v14
	v_cmp_lt_u16_e32 vcc_lo, v14, v13
	v_cndmask_b32_e32 v7, v7, v12, vcc_lo
	v_cndmask_b32_e32 v6, v6, v11, vcc_lo
	;; [unrolled: 1-line block ×4, first 2 shown]
	v_cmp_ge_u64_e32 vcc_lo, v[4:5], v[6:7]
	s_or_b32 s1, vcc_lo, s1
	s_andn2_b32 exec_lo, exec_lo, s1
	s_cbranch_execnz .LBB249_3
; %bb.4:
	s_inst_prefetch 0x2
	s_or_b32 exec_lo, exec_lo, s1
.LBB249_5:
	s_or_b32 exec_lo, exec_lo, s0
	v_mov_b32_e32 v1, 0
	v_add_co_u32 v2, vcc_lo, v4, v2
	v_add_co_ci_u32_e64 v3, null, v5, v3, vcc_lo
	v_lshlrev_b64 v[0:1], 3, v[0:1]
	s_waitcnt lgkmcnt(0)
	v_add_co_u32 v0, vcc_lo, s2, v0
	v_add_co_ci_u32_e64 v1, null, s3, v1, vcc_lo
	global_store_dwordx2 v[0:1], v[2:3], off
.LBB249_6:
	s_endpgm
	.section	.rodata,"a",@progbits
	.p2align	6, 0x0
	.amdhsa_kernel _ZN7rocprim17ROCPRIM_400000_NS6detail17trampoline_kernelINS0_14default_configENS1_38merge_sort_block_merge_config_selectorItNS0_10empty_typeEEEZZNS1_27merge_sort_block_merge_implIS3_N6thrust23THRUST_200600_302600_NS6detail15normal_iteratorINS9_10device_ptrItEEEEPS5_m11less_div_10ItEEE10hipError_tT0_T1_T2_jT3_P12ihipStream_tbPNSt15iterator_traitsISJ_E10value_typeEPNSP_ISK_E10value_typeEPSL_NS1_7vsmem_tEENKUlT_SJ_SK_SL_E_clIPtSE_SF_SF_EESI_SY_SJ_SK_SL_EUlSY_E_NS1_11comp_targetILNS1_3genE8ELNS1_11target_archE1030ELNS1_3gpuE2ELNS1_3repE0EEENS1_48merge_mergepath_partition_config_static_selectorELNS0_4arch9wavefront6targetE0EEEvSK_
		.amdhsa_group_segment_fixed_size 0
		.amdhsa_private_segment_fixed_size 0
		.amdhsa_kernarg_size 48
		.amdhsa_user_sgpr_count 6
		.amdhsa_user_sgpr_private_segment_buffer 1
		.amdhsa_user_sgpr_dispatch_ptr 0
		.amdhsa_user_sgpr_queue_ptr 0
		.amdhsa_user_sgpr_kernarg_segment_ptr 1
		.amdhsa_user_sgpr_dispatch_id 0
		.amdhsa_user_sgpr_flat_scratch_init 0
		.amdhsa_user_sgpr_private_segment_size 0
		.amdhsa_wavefront_size32 1
		.amdhsa_uses_dynamic_stack 0
		.amdhsa_system_sgpr_private_segment_wavefront_offset 0
		.amdhsa_system_sgpr_workgroup_id_x 1
		.amdhsa_system_sgpr_workgroup_id_y 0
		.amdhsa_system_sgpr_workgroup_id_z 0
		.amdhsa_system_sgpr_workgroup_info 0
		.amdhsa_system_vgpr_workitem_id 0
		.amdhsa_next_free_vgpr 17
		.amdhsa_next_free_sgpr 8
		.amdhsa_reserve_vcc 1
		.amdhsa_reserve_flat_scratch 0
		.amdhsa_float_round_mode_32 0
		.amdhsa_float_round_mode_16_64 0
		.amdhsa_float_denorm_mode_32 3
		.amdhsa_float_denorm_mode_16_64 3
		.amdhsa_dx10_clamp 1
		.amdhsa_ieee_mode 1
		.amdhsa_fp16_overflow 0
		.amdhsa_workgroup_processor_mode 1
		.amdhsa_memory_ordered 1
		.amdhsa_forward_progress 1
		.amdhsa_shared_vgpr_count 0
		.amdhsa_exception_fp_ieee_invalid_op 0
		.amdhsa_exception_fp_denorm_src 0
		.amdhsa_exception_fp_ieee_div_zero 0
		.amdhsa_exception_fp_ieee_overflow 0
		.amdhsa_exception_fp_ieee_underflow 0
		.amdhsa_exception_fp_ieee_inexact 0
		.amdhsa_exception_int_div_zero 0
	.end_amdhsa_kernel
	.section	.text._ZN7rocprim17ROCPRIM_400000_NS6detail17trampoline_kernelINS0_14default_configENS1_38merge_sort_block_merge_config_selectorItNS0_10empty_typeEEEZZNS1_27merge_sort_block_merge_implIS3_N6thrust23THRUST_200600_302600_NS6detail15normal_iteratorINS9_10device_ptrItEEEEPS5_m11less_div_10ItEEE10hipError_tT0_T1_T2_jT3_P12ihipStream_tbPNSt15iterator_traitsISJ_E10value_typeEPNSP_ISK_E10value_typeEPSL_NS1_7vsmem_tEENKUlT_SJ_SK_SL_E_clIPtSE_SF_SF_EESI_SY_SJ_SK_SL_EUlSY_E_NS1_11comp_targetILNS1_3genE8ELNS1_11target_archE1030ELNS1_3gpuE2ELNS1_3repE0EEENS1_48merge_mergepath_partition_config_static_selectorELNS0_4arch9wavefront6targetE0EEEvSK_,"axG",@progbits,_ZN7rocprim17ROCPRIM_400000_NS6detail17trampoline_kernelINS0_14default_configENS1_38merge_sort_block_merge_config_selectorItNS0_10empty_typeEEEZZNS1_27merge_sort_block_merge_implIS3_N6thrust23THRUST_200600_302600_NS6detail15normal_iteratorINS9_10device_ptrItEEEEPS5_m11less_div_10ItEEE10hipError_tT0_T1_T2_jT3_P12ihipStream_tbPNSt15iterator_traitsISJ_E10value_typeEPNSP_ISK_E10value_typeEPSL_NS1_7vsmem_tEENKUlT_SJ_SK_SL_E_clIPtSE_SF_SF_EESI_SY_SJ_SK_SL_EUlSY_E_NS1_11comp_targetILNS1_3genE8ELNS1_11target_archE1030ELNS1_3gpuE2ELNS1_3repE0EEENS1_48merge_mergepath_partition_config_static_selectorELNS0_4arch9wavefront6targetE0EEEvSK_,comdat
.Lfunc_end249:
	.size	_ZN7rocprim17ROCPRIM_400000_NS6detail17trampoline_kernelINS0_14default_configENS1_38merge_sort_block_merge_config_selectorItNS0_10empty_typeEEEZZNS1_27merge_sort_block_merge_implIS3_N6thrust23THRUST_200600_302600_NS6detail15normal_iteratorINS9_10device_ptrItEEEEPS5_m11less_div_10ItEEE10hipError_tT0_T1_T2_jT3_P12ihipStream_tbPNSt15iterator_traitsISJ_E10value_typeEPNSP_ISK_E10value_typeEPSL_NS1_7vsmem_tEENKUlT_SJ_SK_SL_E_clIPtSE_SF_SF_EESI_SY_SJ_SK_SL_EUlSY_E_NS1_11comp_targetILNS1_3genE8ELNS1_11target_archE1030ELNS1_3gpuE2ELNS1_3repE0EEENS1_48merge_mergepath_partition_config_static_selectorELNS0_4arch9wavefront6targetE0EEEvSK_, .Lfunc_end249-_ZN7rocprim17ROCPRIM_400000_NS6detail17trampoline_kernelINS0_14default_configENS1_38merge_sort_block_merge_config_selectorItNS0_10empty_typeEEEZZNS1_27merge_sort_block_merge_implIS3_N6thrust23THRUST_200600_302600_NS6detail15normal_iteratorINS9_10device_ptrItEEEEPS5_m11less_div_10ItEEE10hipError_tT0_T1_T2_jT3_P12ihipStream_tbPNSt15iterator_traitsISJ_E10value_typeEPNSP_ISK_E10value_typeEPSL_NS1_7vsmem_tEENKUlT_SJ_SK_SL_E_clIPtSE_SF_SF_EESI_SY_SJ_SK_SL_EUlSY_E_NS1_11comp_targetILNS1_3genE8ELNS1_11target_archE1030ELNS1_3gpuE2ELNS1_3repE0EEENS1_48merge_mergepath_partition_config_static_selectorELNS0_4arch9wavefront6targetE0EEEvSK_
                                        ; -- End function
	.set _ZN7rocprim17ROCPRIM_400000_NS6detail17trampoline_kernelINS0_14default_configENS1_38merge_sort_block_merge_config_selectorItNS0_10empty_typeEEEZZNS1_27merge_sort_block_merge_implIS3_N6thrust23THRUST_200600_302600_NS6detail15normal_iteratorINS9_10device_ptrItEEEEPS5_m11less_div_10ItEEE10hipError_tT0_T1_T2_jT3_P12ihipStream_tbPNSt15iterator_traitsISJ_E10value_typeEPNSP_ISK_E10value_typeEPSL_NS1_7vsmem_tEENKUlT_SJ_SK_SL_E_clIPtSE_SF_SF_EESI_SY_SJ_SK_SL_EUlSY_E_NS1_11comp_targetILNS1_3genE8ELNS1_11target_archE1030ELNS1_3gpuE2ELNS1_3repE0EEENS1_48merge_mergepath_partition_config_static_selectorELNS0_4arch9wavefront6targetE0EEEvSK_.num_vgpr, 17
	.set _ZN7rocprim17ROCPRIM_400000_NS6detail17trampoline_kernelINS0_14default_configENS1_38merge_sort_block_merge_config_selectorItNS0_10empty_typeEEEZZNS1_27merge_sort_block_merge_implIS3_N6thrust23THRUST_200600_302600_NS6detail15normal_iteratorINS9_10device_ptrItEEEEPS5_m11less_div_10ItEEE10hipError_tT0_T1_T2_jT3_P12ihipStream_tbPNSt15iterator_traitsISJ_E10value_typeEPNSP_ISK_E10value_typeEPSL_NS1_7vsmem_tEENKUlT_SJ_SK_SL_E_clIPtSE_SF_SF_EESI_SY_SJ_SK_SL_EUlSY_E_NS1_11comp_targetILNS1_3genE8ELNS1_11target_archE1030ELNS1_3gpuE2ELNS1_3repE0EEENS1_48merge_mergepath_partition_config_static_selectorELNS0_4arch9wavefront6targetE0EEEvSK_.num_agpr, 0
	.set _ZN7rocprim17ROCPRIM_400000_NS6detail17trampoline_kernelINS0_14default_configENS1_38merge_sort_block_merge_config_selectorItNS0_10empty_typeEEEZZNS1_27merge_sort_block_merge_implIS3_N6thrust23THRUST_200600_302600_NS6detail15normal_iteratorINS9_10device_ptrItEEEEPS5_m11less_div_10ItEEE10hipError_tT0_T1_T2_jT3_P12ihipStream_tbPNSt15iterator_traitsISJ_E10value_typeEPNSP_ISK_E10value_typeEPSL_NS1_7vsmem_tEENKUlT_SJ_SK_SL_E_clIPtSE_SF_SF_EESI_SY_SJ_SK_SL_EUlSY_E_NS1_11comp_targetILNS1_3genE8ELNS1_11target_archE1030ELNS1_3gpuE2ELNS1_3repE0EEENS1_48merge_mergepath_partition_config_static_selectorELNS0_4arch9wavefront6targetE0EEEvSK_.numbered_sgpr, 8
	.set _ZN7rocprim17ROCPRIM_400000_NS6detail17trampoline_kernelINS0_14default_configENS1_38merge_sort_block_merge_config_selectorItNS0_10empty_typeEEEZZNS1_27merge_sort_block_merge_implIS3_N6thrust23THRUST_200600_302600_NS6detail15normal_iteratorINS9_10device_ptrItEEEEPS5_m11less_div_10ItEEE10hipError_tT0_T1_T2_jT3_P12ihipStream_tbPNSt15iterator_traitsISJ_E10value_typeEPNSP_ISK_E10value_typeEPSL_NS1_7vsmem_tEENKUlT_SJ_SK_SL_E_clIPtSE_SF_SF_EESI_SY_SJ_SK_SL_EUlSY_E_NS1_11comp_targetILNS1_3genE8ELNS1_11target_archE1030ELNS1_3gpuE2ELNS1_3repE0EEENS1_48merge_mergepath_partition_config_static_selectorELNS0_4arch9wavefront6targetE0EEEvSK_.num_named_barrier, 0
	.set _ZN7rocprim17ROCPRIM_400000_NS6detail17trampoline_kernelINS0_14default_configENS1_38merge_sort_block_merge_config_selectorItNS0_10empty_typeEEEZZNS1_27merge_sort_block_merge_implIS3_N6thrust23THRUST_200600_302600_NS6detail15normal_iteratorINS9_10device_ptrItEEEEPS5_m11less_div_10ItEEE10hipError_tT0_T1_T2_jT3_P12ihipStream_tbPNSt15iterator_traitsISJ_E10value_typeEPNSP_ISK_E10value_typeEPSL_NS1_7vsmem_tEENKUlT_SJ_SK_SL_E_clIPtSE_SF_SF_EESI_SY_SJ_SK_SL_EUlSY_E_NS1_11comp_targetILNS1_3genE8ELNS1_11target_archE1030ELNS1_3gpuE2ELNS1_3repE0EEENS1_48merge_mergepath_partition_config_static_selectorELNS0_4arch9wavefront6targetE0EEEvSK_.private_seg_size, 0
	.set _ZN7rocprim17ROCPRIM_400000_NS6detail17trampoline_kernelINS0_14default_configENS1_38merge_sort_block_merge_config_selectorItNS0_10empty_typeEEEZZNS1_27merge_sort_block_merge_implIS3_N6thrust23THRUST_200600_302600_NS6detail15normal_iteratorINS9_10device_ptrItEEEEPS5_m11less_div_10ItEEE10hipError_tT0_T1_T2_jT3_P12ihipStream_tbPNSt15iterator_traitsISJ_E10value_typeEPNSP_ISK_E10value_typeEPSL_NS1_7vsmem_tEENKUlT_SJ_SK_SL_E_clIPtSE_SF_SF_EESI_SY_SJ_SK_SL_EUlSY_E_NS1_11comp_targetILNS1_3genE8ELNS1_11target_archE1030ELNS1_3gpuE2ELNS1_3repE0EEENS1_48merge_mergepath_partition_config_static_selectorELNS0_4arch9wavefront6targetE0EEEvSK_.uses_vcc, 1
	.set _ZN7rocprim17ROCPRIM_400000_NS6detail17trampoline_kernelINS0_14default_configENS1_38merge_sort_block_merge_config_selectorItNS0_10empty_typeEEEZZNS1_27merge_sort_block_merge_implIS3_N6thrust23THRUST_200600_302600_NS6detail15normal_iteratorINS9_10device_ptrItEEEEPS5_m11less_div_10ItEEE10hipError_tT0_T1_T2_jT3_P12ihipStream_tbPNSt15iterator_traitsISJ_E10value_typeEPNSP_ISK_E10value_typeEPSL_NS1_7vsmem_tEENKUlT_SJ_SK_SL_E_clIPtSE_SF_SF_EESI_SY_SJ_SK_SL_EUlSY_E_NS1_11comp_targetILNS1_3genE8ELNS1_11target_archE1030ELNS1_3gpuE2ELNS1_3repE0EEENS1_48merge_mergepath_partition_config_static_selectorELNS0_4arch9wavefront6targetE0EEEvSK_.uses_flat_scratch, 0
	.set _ZN7rocprim17ROCPRIM_400000_NS6detail17trampoline_kernelINS0_14default_configENS1_38merge_sort_block_merge_config_selectorItNS0_10empty_typeEEEZZNS1_27merge_sort_block_merge_implIS3_N6thrust23THRUST_200600_302600_NS6detail15normal_iteratorINS9_10device_ptrItEEEEPS5_m11less_div_10ItEEE10hipError_tT0_T1_T2_jT3_P12ihipStream_tbPNSt15iterator_traitsISJ_E10value_typeEPNSP_ISK_E10value_typeEPSL_NS1_7vsmem_tEENKUlT_SJ_SK_SL_E_clIPtSE_SF_SF_EESI_SY_SJ_SK_SL_EUlSY_E_NS1_11comp_targetILNS1_3genE8ELNS1_11target_archE1030ELNS1_3gpuE2ELNS1_3repE0EEENS1_48merge_mergepath_partition_config_static_selectorELNS0_4arch9wavefront6targetE0EEEvSK_.has_dyn_sized_stack, 0
	.set _ZN7rocprim17ROCPRIM_400000_NS6detail17trampoline_kernelINS0_14default_configENS1_38merge_sort_block_merge_config_selectorItNS0_10empty_typeEEEZZNS1_27merge_sort_block_merge_implIS3_N6thrust23THRUST_200600_302600_NS6detail15normal_iteratorINS9_10device_ptrItEEEEPS5_m11less_div_10ItEEE10hipError_tT0_T1_T2_jT3_P12ihipStream_tbPNSt15iterator_traitsISJ_E10value_typeEPNSP_ISK_E10value_typeEPSL_NS1_7vsmem_tEENKUlT_SJ_SK_SL_E_clIPtSE_SF_SF_EESI_SY_SJ_SK_SL_EUlSY_E_NS1_11comp_targetILNS1_3genE8ELNS1_11target_archE1030ELNS1_3gpuE2ELNS1_3repE0EEENS1_48merge_mergepath_partition_config_static_selectorELNS0_4arch9wavefront6targetE0EEEvSK_.has_recursion, 0
	.set _ZN7rocprim17ROCPRIM_400000_NS6detail17trampoline_kernelINS0_14default_configENS1_38merge_sort_block_merge_config_selectorItNS0_10empty_typeEEEZZNS1_27merge_sort_block_merge_implIS3_N6thrust23THRUST_200600_302600_NS6detail15normal_iteratorINS9_10device_ptrItEEEEPS5_m11less_div_10ItEEE10hipError_tT0_T1_T2_jT3_P12ihipStream_tbPNSt15iterator_traitsISJ_E10value_typeEPNSP_ISK_E10value_typeEPSL_NS1_7vsmem_tEENKUlT_SJ_SK_SL_E_clIPtSE_SF_SF_EESI_SY_SJ_SK_SL_EUlSY_E_NS1_11comp_targetILNS1_3genE8ELNS1_11target_archE1030ELNS1_3gpuE2ELNS1_3repE0EEENS1_48merge_mergepath_partition_config_static_selectorELNS0_4arch9wavefront6targetE0EEEvSK_.has_indirect_call, 0
	.section	.AMDGPU.csdata,"",@progbits
; Kernel info:
; codeLenInByte = 692
; TotalNumSgprs: 10
; NumVgprs: 17
; ScratchSize: 0
; MemoryBound: 0
; FloatMode: 240
; IeeeMode: 1
; LDSByteSize: 0 bytes/workgroup (compile time only)
; SGPRBlocks: 0
; VGPRBlocks: 2
; NumSGPRsForWavesPerEU: 10
; NumVGPRsForWavesPerEU: 17
; Occupancy: 16
; WaveLimiterHint : 0
; COMPUTE_PGM_RSRC2:SCRATCH_EN: 0
; COMPUTE_PGM_RSRC2:USER_SGPR: 6
; COMPUTE_PGM_RSRC2:TRAP_HANDLER: 0
; COMPUTE_PGM_RSRC2:TGID_X_EN: 1
; COMPUTE_PGM_RSRC2:TGID_Y_EN: 0
; COMPUTE_PGM_RSRC2:TGID_Z_EN: 0
; COMPUTE_PGM_RSRC2:TIDIG_COMP_CNT: 0
	.section	.text._ZN7rocprim17ROCPRIM_400000_NS6detail17trampoline_kernelINS0_14default_configENS1_38merge_sort_block_merge_config_selectorItNS0_10empty_typeEEEZZNS1_27merge_sort_block_merge_implIS3_N6thrust23THRUST_200600_302600_NS6detail15normal_iteratorINS9_10device_ptrItEEEEPS5_m11less_div_10ItEEE10hipError_tT0_T1_T2_jT3_P12ihipStream_tbPNSt15iterator_traitsISJ_E10value_typeEPNSP_ISK_E10value_typeEPSL_NS1_7vsmem_tEENKUlT_SJ_SK_SL_E_clIPtSE_SF_SF_EESI_SY_SJ_SK_SL_EUlSY_E0_NS1_11comp_targetILNS1_3genE0ELNS1_11target_archE4294967295ELNS1_3gpuE0ELNS1_3repE0EEENS1_38merge_mergepath_config_static_selectorELNS0_4arch9wavefront6targetE0EEEvSK_,"axG",@progbits,_ZN7rocprim17ROCPRIM_400000_NS6detail17trampoline_kernelINS0_14default_configENS1_38merge_sort_block_merge_config_selectorItNS0_10empty_typeEEEZZNS1_27merge_sort_block_merge_implIS3_N6thrust23THRUST_200600_302600_NS6detail15normal_iteratorINS9_10device_ptrItEEEEPS5_m11less_div_10ItEEE10hipError_tT0_T1_T2_jT3_P12ihipStream_tbPNSt15iterator_traitsISJ_E10value_typeEPNSP_ISK_E10value_typeEPSL_NS1_7vsmem_tEENKUlT_SJ_SK_SL_E_clIPtSE_SF_SF_EESI_SY_SJ_SK_SL_EUlSY_E0_NS1_11comp_targetILNS1_3genE0ELNS1_11target_archE4294967295ELNS1_3gpuE0ELNS1_3repE0EEENS1_38merge_mergepath_config_static_selectorELNS0_4arch9wavefront6targetE0EEEvSK_,comdat
	.protected	_ZN7rocprim17ROCPRIM_400000_NS6detail17trampoline_kernelINS0_14default_configENS1_38merge_sort_block_merge_config_selectorItNS0_10empty_typeEEEZZNS1_27merge_sort_block_merge_implIS3_N6thrust23THRUST_200600_302600_NS6detail15normal_iteratorINS9_10device_ptrItEEEEPS5_m11less_div_10ItEEE10hipError_tT0_T1_T2_jT3_P12ihipStream_tbPNSt15iterator_traitsISJ_E10value_typeEPNSP_ISK_E10value_typeEPSL_NS1_7vsmem_tEENKUlT_SJ_SK_SL_E_clIPtSE_SF_SF_EESI_SY_SJ_SK_SL_EUlSY_E0_NS1_11comp_targetILNS1_3genE0ELNS1_11target_archE4294967295ELNS1_3gpuE0ELNS1_3repE0EEENS1_38merge_mergepath_config_static_selectorELNS0_4arch9wavefront6targetE0EEEvSK_ ; -- Begin function _ZN7rocprim17ROCPRIM_400000_NS6detail17trampoline_kernelINS0_14default_configENS1_38merge_sort_block_merge_config_selectorItNS0_10empty_typeEEEZZNS1_27merge_sort_block_merge_implIS3_N6thrust23THRUST_200600_302600_NS6detail15normal_iteratorINS9_10device_ptrItEEEEPS5_m11less_div_10ItEEE10hipError_tT0_T1_T2_jT3_P12ihipStream_tbPNSt15iterator_traitsISJ_E10value_typeEPNSP_ISK_E10value_typeEPSL_NS1_7vsmem_tEENKUlT_SJ_SK_SL_E_clIPtSE_SF_SF_EESI_SY_SJ_SK_SL_EUlSY_E0_NS1_11comp_targetILNS1_3genE0ELNS1_11target_archE4294967295ELNS1_3gpuE0ELNS1_3repE0EEENS1_38merge_mergepath_config_static_selectorELNS0_4arch9wavefront6targetE0EEEvSK_
	.globl	_ZN7rocprim17ROCPRIM_400000_NS6detail17trampoline_kernelINS0_14default_configENS1_38merge_sort_block_merge_config_selectorItNS0_10empty_typeEEEZZNS1_27merge_sort_block_merge_implIS3_N6thrust23THRUST_200600_302600_NS6detail15normal_iteratorINS9_10device_ptrItEEEEPS5_m11less_div_10ItEEE10hipError_tT0_T1_T2_jT3_P12ihipStream_tbPNSt15iterator_traitsISJ_E10value_typeEPNSP_ISK_E10value_typeEPSL_NS1_7vsmem_tEENKUlT_SJ_SK_SL_E_clIPtSE_SF_SF_EESI_SY_SJ_SK_SL_EUlSY_E0_NS1_11comp_targetILNS1_3genE0ELNS1_11target_archE4294967295ELNS1_3gpuE0ELNS1_3repE0EEENS1_38merge_mergepath_config_static_selectorELNS0_4arch9wavefront6targetE0EEEvSK_
	.p2align	8
	.type	_ZN7rocprim17ROCPRIM_400000_NS6detail17trampoline_kernelINS0_14default_configENS1_38merge_sort_block_merge_config_selectorItNS0_10empty_typeEEEZZNS1_27merge_sort_block_merge_implIS3_N6thrust23THRUST_200600_302600_NS6detail15normal_iteratorINS9_10device_ptrItEEEEPS5_m11less_div_10ItEEE10hipError_tT0_T1_T2_jT3_P12ihipStream_tbPNSt15iterator_traitsISJ_E10value_typeEPNSP_ISK_E10value_typeEPSL_NS1_7vsmem_tEENKUlT_SJ_SK_SL_E_clIPtSE_SF_SF_EESI_SY_SJ_SK_SL_EUlSY_E0_NS1_11comp_targetILNS1_3genE0ELNS1_11target_archE4294967295ELNS1_3gpuE0ELNS1_3repE0EEENS1_38merge_mergepath_config_static_selectorELNS0_4arch9wavefront6targetE0EEEvSK_,@function
_ZN7rocprim17ROCPRIM_400000_NS6detail17trampoline_kernelINS0_14default_configENS1_38merge_sort_block_merge_config_selectorItNS0_10empty_typeEEEZZNS1_27merge_sort_block_merge_implIS3_N6thrust23THRUST_200600_302600_NS6detail15normal_iteratorINS9_10device_ptrItEEEEPS5_m11less_div_10ItEEE10hipError_tT0_T1_T2_jT3_P12ihipStream_tbPNSt15iterator_traitsISJ_E10value_typeEPNSP_ISK_E10value_typeEPSL_NS1_7vsmem_tEENKUlT_SJ_SK_SL_E_clIPtSE_SF_SF_EESI_SY_SJ_SK_SL_EUlSY_E0_NS1_11comp_targetILNS1_3genE0ELNS1_11target_archE4294967295ELNS1_3gpuE0ELNS1_3repE0EEENS1_38merge_mergepath_config_static_selectorELNS0_4arch9wavefront6targetE0EEEvSK_: ; @_ZN7rocprim17ROCPRIM_400000_NS6detail17trampoline_kernelINS0_14default_configENS1_38merge_sort_block_merge_config_selectorItNS0_10empty_typeEEEZZNS1_27merge_sort_block_merge_implIS3_N6thrust23THRUST_200600_302600_NS6detail15normal_iteratorINS9_10device_ptrItEEEEPS5_m11less_div_10ItEEE10hipError_tT0_T1_T2_jT3_P12ihipStream_tbPNSt15iterator_traitsISJ_E10value_typeEPNSP_ISK_E10value_typeEPSL_NS1_7vsmem_tEENKUlT_SJ_SK_SL_E_clIPtSE_SF_SF_EESI_SY_SJ_SK_SL_EUlSY_E0_NS1_11comp_targetILNS1_3genE0ELNS1_11target_archE4294967295ELNS1_3gpuE0ELNS1_3repE0EEENS1_38merge_mergepath_config_static_selectorELNS0_4arch9wavefront6targetE0EEEvSK_
; %bb.0:
	.section	.rodata,"a",@progbits
	.p2align	6, 0x0
	.amdhsa_kernel _ZN7rocprim17ROCPRIM_400000_NS6detail17trampoline_kernelINS0_14default_configENS1_38merge_sort_block_merge_config_selectorItNS0_10empty_typeEEEZZNS1_27merge_sort_block_merge_implIS3_N6thrust23THRUST_200600_302600_NS6detail15normal_iteratorINS9_10device_ptrItEEEEPS5_m11less_div_10ItEEE10hipError_tT0_T1_T2_jT3_P12ihipStream_tbPNSt15iterator_traitsISJ_E10value_typeEPNSP_ISK_E10value_typeEPSL_NS1_7vsmem_tEENKUlT_SJ_SK_SL_E_clIPtSE_SF_SF_EESI_SY_SJ_SK_SL_EUlSY_E0_NS1_11comp_targetILNS1_3genE0ELNS1_11target_archE4294967295ELNS1_3gpuE0ELNS1_3repE0EEENS1_38merge_mergepath_config_static_selectorELNS0_4arch9wavefront6targetE0EEEvSK_
		.amdhsa_group_segment_fixed_size 0
		.amdhsa_private_segment_fixed_size 0
		.amdhsa_kernarg_size 72
		.amdhsa_user_sgpr_count 6
		.amdhsa_user_sgpr_private_segment_buffer 1
		.amdhsa_user_sgpr_dispatch_ptr 0
		.amdhsa_user_sgpr_queue_ptr 0
		.amdhsa_user_sgpr_kernarg_segment_ptr 1
		.amdhsa_user_sgpr_dispatch_id 0
		.amdhsa_user_sgpr_flat_scratch_init 0
		.amdhsa_user_sgpr_private_segment_size 0
		.amdhsa_wavefront_size32 1
		.amdhsa_uses_dynamic_stack 0
		.amdhsa_system_sgpr_private_segment_wavefront_offset 0
		.amdhsa_system_sgpr_workgroup_id_x 1
		.amdhsa_system_sgpr_workgroup_id_y 0
		.amdhsa_system_sgpr_workgroup_id_z 0
		.amdhsa_system_sgpr_workgroup_info 0
		.amdhsa_system_vgpr_workitem_id 0
		.amdhsa_next_free_vgpr 1
		.amdhsa_next_free_sgpr 1
		.amdhsa_reserve_vcc 0
		.amdhsa_reserve_flat_scratch 0
		.amdhsa_float_round_mode_32 0
		.amdhsa_float_round_mode_16_64 0
		.amdhsa_float_denorm_mode_32 3
		.amdhsa_float_denorm_mode_16_64 3
		.amdhsa_dx10_clamp 1
		.amdhsa_ieee_mode 1
		.amdhsa_fp16_overflow 0
		.amdhsa_workgroup_processor_mode 1
		.amdhsa_memory_ordered 1
		.amdhsa_forward_progress 1
		.amdhsa_shared_vgpr_count 0
		.amdhsa_exception_fp_ieee_invalid_op 0
		.amdhsa_exception_fp_denorm_src 0
		.amdhsa_exception_fp_ieee_div_zero 0
		.amdhsa_exception_fp_ieee_overflow 0
		.amdhsa_exception_fp_ieee_underflow 0
		.amdhsa_exception_fp_ieee_inexact 0
		.amdhsa_exception_int_div_zero 0
	.end_amdhsa_kernel
	.section	.text._ZN7rocprim17ROCPRIM_400000_NS6detail17trampoline_kernelINS0_14default_configENS1_38merge_sort_block_merge_config_selectorItNS0_10empty_typeEEEZZNS1_27merge_sort_block_merge_implIS3_N6thrust23THRUST_200600_302600_NS6detail15normal_iteratorINS9_10device_ptrItEEEEPS5_m11less_div_10ItEEE10hipError_tT0_T1_T2_jT3_P12ihipStream_tbPNSt15iterator_traitsISJ_E10value_typeEPNSP_ISK_E10value_typeEPSL_NS1_7vsmem_tEENKUlT_SJ_SK_SL_E_clIPtSE_SF_SF_EESI_SY_SJ_SK_SL_EUlSY_E0_NS1_11comp_targetILNS1_3genE0ELNS1_11target_archE4294967295ELNS1_3gpuE0ELNS1_3repE0EEENS1_38merge_mergepath_config_static_selectorELNS0_4arch9wavefront6targetE0EEEvSK_,"axG",@progbits,_ZN7rocprim17ROCPRIM_400000_NS6detail17trampoline_kernelINS0_14default_configENS1_38merge_sort_block_merge_config_selectorItNS0_10empty_typeEEEZZNS1_27merge_sort_block_merge_implIS3_N6thrust23THRUST_200600_302600_NS6detail15normal_iteratorINS9_10device_ptrItEEEEPS5_m11less_div_10ItEEE10hipError_tT0_T1_T2_jT3_P12ihipStream_tbPNSt15iterator_traitsISJ_E10value_typeEPNSP_ISK_E10value_typeEPSL_NS1_7vsmem_tEENKUlT_SJ_SK_SL_E_clIPtSE_SF_SF_EESI_SY_SJ_SK_SL_EUlSY_E0_NS1_11comp_targetILNS1_3genE0ELNS1_11target_archE4294967295ELNS1_3gpuE0ELNS1_3repE0EEENS1_38merge_mergepath_config_static_selectorELNS0_4arch9wavefront6targetE0EEEvSK_,comdat
.Lfunc_end250:
	.size	_ZN7rocprim17ROCPRIM_400000_NS6detail17trampoline_kernelINS0_14default_configENS1_38merge_sort_block_merge_config_selectorItNS0_10empty_typeEEEZZNS1_27merge_sort_block_merge_implIS3_N6thrust23THRUST_200600_302600_NS6detail15normal_iteratorINS9_10device_ptrItEEEEPS5_m11less_div_10ItEEE10hipError_tT0_T1_T2_jT3_P12ihipStream_tbPNSt15iterator_traitsISJ_E10value_typeEPNSP_ISK_E10value_typeEPSL_NS1_7vsmem_tEENKUlT_SJ_SK_SL_E_clIPtSE_SF_SF_EESI_SY_SJ_SK_SL_EUlSY_E0_NS1_11comp_targetILNS1_3genE0ELNS1_11target_archE4294967295ELNS1_3gpuE0ELNS1_3repE0EEENS1_38merge_mergepath_config_static_selectorELNS0_4arch9wavefront6targetE0EEEvSK_, .Lfunc_end250-_ZN7rocprim17ROCPRIM_400000_NS6detail17trampoline_kernelINS0_14default_configENS1_38merge_sort_block_merge_config_selectorItNS0_10empty_typeEEEZZNS1_27merge_sort_block_merge_implIS3_N6thrust23THRUST_200600_302600_NS6detail15normal_iteratorINS9_10device_ptrItEEEEPS5_m11less_div_10ItEEE10hipError_tT0_T1_T2_jT3_P12ihipStream_tbPNSt15iterator_traitsISJ_E10value_typeEPNSP_ISK_E10value_typeEPSL_NS1_7vsmem_tEENKUlT_SJ_SK_SL_E_clIPtSE_SF_SF_EESI_SY_SJ_SK_SL_EUlSY_E0_NS1_11comp_targetILNS1_3genE0ELNS1_11target_archE4294967295ELNS1_3gpuE0ELNS1_3repE0EEENS1_38merge_mergepath_config_static_selectorELNS0_4arch9wavefront6targetE0EEEvSK_
                                        ; -- End function
	.set _ZN7rocprim17ROCPRIM_400000_NS6detail17trampoline_kernelINS0_14default_configENS1_38merge_sort_block_merge_config_selectorItNS0_10empty_typeEEEZZNS1_27merge_sort_block_merge_implIS3_N6thrust23THRUST_200600_302600_NS6detail15normal_iteratorINS9_10device_ptrItEEEEPS5_m11less_div_10ItEEE10hipError_tT0_T1_T2_jT3_P12ihipStream_tbPNSt15iterator_traitsISJ_E10value_typeEPNSP_ISK_E10value_typeEPSL_NS1_7vsmem_tEENKUlT_SJ_SK_SL_E_clIPtSE_SF_SF_EESI_SY_SJ_SK_SL_EUlSY_E0_NS1_11comp_targetILNS1_3genE0ELNS1_11target_archE4294967295ELNS1_3gpuE0ELNS1_3repE0EEENS1_38merge_mergepath_config_static_selectorELNS0_4arch9wavefront6targetE0EEEvSK_.num_vgpr, 0
	.set _ZN7rocprim17ROCPRIM_400000_NS6detail17trampoline_kernelINS0_14default_configENS1_38merge_sort_block_merge_config_selectorItNS0_10empty_typeEEEZZNS1_27merge_sort_block_merge_implIS3_N6thrust23THRUST_200600_302600_NS6detail15normal_iteratorINS9_10device_ptrItEEEEPS5_m11less_div_10ItEEE10hipError_tT0_T1_T2_jT3_P12ihipStream_tbPNSt15iterator_traitsISJ_E10value_typeEPNSP_ISK_E10value_typeEPSL_NS1_7vsmem_tEENKUlT_SJ_SK_SL_E_clIPtSE_SF_SF_EESI_SY_SJ_SK_SL_EUlSY_E0_NS1_11comp_targetILNS1_3genE0ELNS1_11target_archE4294967295ELNS1_3gpuE0ELNS1_3repE0EEENS1_38merge_mergepath_config_static_selectorELNS0_4arch9wavefront6targetE0EEEvSK_.num_agpr, 0
	.set _ZN7rocprim17ROCPRIM_400000_NS6detail17trampoline_kernelINS0_14default_configENS1_38merge_sort_block_merge_config_selectorItNS0_10empty_typeEEEZZNS1_27merge_sort_block_merge_implIS3_N6thrust23THRUST_200600_302600_NS6detail15normal_iteratorINS9_10device_ptrItEEEEPS5_m11less_div_10ItEEE10hipError_tT0_T1_T2_jT3_P12ihipStream_tbPNSt15iterator_traitsISJ_E10value_typeEPNSP_ISK_E10value_typeEPSL_NS1_7vsmem_tEENKUlT_SJ_SK_SL_E_clIPtSE_SF_SF_EESI_SY_SJ_SK_SL_EUlSY_E0_NS1_11comp_targetILNS1_3genE0ELNS1_11target_archE4294967295ELNS1_3gpuE0ELNS1_3repE0EEENS1_38merge_mergepath_config_static_selectorELNS0_4arch9wavefront6targetE0EEEvSK_.numbered_sgpr, 0
	.set _ZN7rocprim17ROCPRIM_400000_NS6detail17trampoline_kernelINS0_14default_configENS1_38merge_sort_block_merge_config_selectorItNS0_10empty_typeEEEZZNS1_27merge_sort_block_merge_implIS3_N6thrust23THRUST_200600_302600_NS6detail15normal_iteratorINS9_10device_ptrItEEEEPS5_m11less_div_10ItEEE10hipError_tT0_T1_T2_jT3_P12ihipStream_tbPNSt15iterator_traitsISJ_E10value_typeEPNSP_ISK_E10value_typeEPSL_NS1_7vsmem_tEENKUlT_SJ_SK_SL_E_clIPtSE_SF_SF_EESI_SY_SJ_SK_SL_EUlSY_E0_NS1_11comp_targetILNS1_3genE0ELNS1_11target_archE4294967295ELNS1_3gpuE0ELNS1_3repE0EEENS1_38merge_mergepath_config_static_selectorELNS0_4arch9wavefront6targetE0EEEvSK_.num_named_barrier, 0
	.set _ZN7rocprim17ROCPRIM_400000_NS6detail17trampoline_kernelINS0_14default_configENS1_38merge_sort_block_merge_config_selectorItNS0_10empty_typeEEEZZNS1_27merge_sort_block_merge_implIS3_N6thrust23THRUST_200600_302600_NS6detail15normal_iteratorINS9_10device_ptrItEEEEPS5_m11less_div_10ItEEE10hipError_tT0_T1_T2_jT3_P12ihipStream_tbPNSt15iterator_traitsISJ_E10value_typeEPNSP_ISK_E10value_typeEPSL_NS1_7vsmem_tEENKUlT_SJ_SK_SL_E_clIPtSE_SF_SF_EESI_SY_SJ_SK_SL_EUlSY_E0_NS1_11comp_targetILNS1_3genE0ELNS1_11target_archE4294967295ELNS1_3gpuE0ELNS1_3repE0EEENS1_38merge_mergepath_config_static_selectorELNS0_4arch9wavefront6targetE0EEEvSK_.private_seg_size, 0
	.set _ZN7rocprim17ROCPRIM_400000_NS6detail17trampoline_kernelINS0_14default_configENS1_38merge_sort_block_merge_config_selectorItNS0_10empty_typeEEEZZNS1_27merge_sort_block_merge_implIS3_N6thrust23THRUST_200600_302600_NS6detail15normal_iteratorINS9_10device_ptrItEEEEPS5_m11less_div_10ItEEE10hipError_tT0_T1_T2_jT3_P12ihipStream_tbPNSt15iterator_traitsISJ_E10value_typeEPNSP_ISK_E10value_typeEPSL_NS1_7vsmem_tEENKUlT_SJ_SK_SL_E_clIPtSE_SF_SF_EESI_SY_SJ_SK_SL_EUlSY_E0_NS1_11comp_targetILNS1_3genE0ELNS1_11target_archE4294967295ELNS1_3gpuE0ELNS1_3repE0EEENS1_38merge_mergepath_config_static_selectorELNS0_4arch9wavefront6targetE0EEEvSK_.uses_vcc, 0
	.set _ZN7rocprim17ROCPRIM_400000_NS6detail17trampoline_kernelINS0_14default_configENS1_38merge_sort_block_merge_config_selectorItNS0_10empty_typeEEEZZNS1_27merge_sort_block_merge_implIS3_N6thrust23THRUST_200600_302600_NS6detail15normal_iteratorINS9_10device_ptrItEEEEPS5_m11less_div_10ItEEE10hipError_tT0_T1_T2_jT3_P12ihipStream_tbPNSt15iterator_traitsISJ_E10value_typeEPNSP_ISK_E10value_typeEPSL_NS1_7vsmem_tEENKUlT_SJ_SK_SL_E_clIPtSE_SF_SF_EESI_SY_SJ_SK_SL_EUlSY_E0_NS1_11comp_targetILNS1_3genE0ELNS1_11target_archE4294967295ELNS1_3gpuE0ELNS1_3repE0EEENS1_38merge_mergepath_config_static_selectorELNS0_4arch9wavefront6targetE0EEEvSK_.uses_flat_scratch, 0
	.set _ZN7rocprim17ROCPRIM_400000_NS6detail17trampoline_kernelINS0_14default_configENS1_38merge_sort_block_merge_config_selectorItNS0_10empty_typeEEEZZNS1_27merge_sort_block_merge_implIS3_N6thrust23THRUST_200600_302600_NS6detail15normal_iteratorINS9_10device_ptrItEEEEPS5_m11less_div_10ItEEE10hipError_tT0_T1_T2_jT3_P12ihipStream_tbPNSt15iterator_traitsISJ_E10value_typeEPNSP_ISK_E10value_typeEPSL_NS1_7vsmem_tEENKUlT_SJ_SK_SL_E_clIPtSE_SF_SF_EESI_SY_SJ_SK_SL_EUlSY_E0_NS1_11comp_targetILNS1_3genE0ELNS1_11target_archE4294967295ELNS1_3gpuE0ELNS1_3repE0EEENS1_38merge_mergepath_config_static_selectorELNS0_4arch9wavefront6targetE0EEEvSK_.has_dyn_sized_stack, 0
	.set _ZN7rocprim17ROCPRIM_400000_NS6detail17trampoline_kernelINS0_14default_configENS1_38merge_sort_block_merge_config_selectorItNS0_10empty_typeEEEZZNS1_27merge_sort_block_merge_implIS3_N6thrust23THRUST_200600_302600_NS6detail15normal_iteratorINS9_10device_ptrItEEEEPS5_m11less_div_10ItEEE10hipError_tT0_T1_T2_jT3_P12ihipStream_tbPNSt15iterator_traitsISJ_E10value_typeEPNSP_ISK_E10value_typeEPSL_NS1_7vsmem_tEENKUlT_SJ_SK_SL_E_clIPtSE_SF_SF_EESI_SY_SJ_SK_SL_EUlSY_E0_NS1_11comp_targetILNS1_3genE0ELNS1_11target_archE4294967295ELNS1_3gpuE0ELNS1_3repE0EEENS1_38merge_mergepath_config_static_selectorELNS0_4arch9wavefront6targetE0EEEvSK_.has_recursion, 0
	.set _ZN7rocprim17ROCPRIM_400000_NS6detail17trampoline_kernelINS0_14default_configENS1_38merge_sort_block_merge_config_selectorItNS0_10empty_typeEEEZZNS1_27merge_sort_block_merge_implIS3_N6thrust23THRUST_200600_302600_NS6detail15normal_iteratorINS9_10device_ptrItEEEEPS5_m11less_div_10ItEEE10hipError_tT0_T1_T2_jT3_P12ihipStream_tbPNSt15iterator_traitsISJ_E10value_typeEPNSP_ISK_E10value_typeEPSL_NS1_7vsmem_tEENKUlT_SJ_SK_SL_E_clIPtSE_SF_SF_EESI_SY_SJ_SK_SL_EUlSY_E0_NS1_11comp_targetILNS1_3genE0ELNS1_11target_archE4294967295ELNS1_3gpuE0ELNS1_3repE0EEENS1_38merge_mergepath_config_static_selectorELNS0_4arch9wavefront6targetE0EEEvSK_.has_indirect_call, 0
	.section	.AMDGPU.csdata,"",@progbits
; Kernel info:
; codeLenInByte = 0
; TotalNumSgprs: 0
; NumVgprs: 0
; ScratchSize: 0
; MemoryBound: 0
; FloatMode: 240
; IeeeMode: 1
; LDSByteSize: 0 bytes/workgroup (compile time only)
; SGPRBlocks: 0
; VGPRBlocks: 0
; NumSGPRsForWavesPerEU: 1
; NumVGPRsForWavesPerEU: 1
; Occupancy: 16
; WaveLimiterHint : 0
; COMPUTE_PGM_RSRC2:SCRATCH_EN: 0
; COMPUTE_PGM_RSRC2:USER_SGPR: 6
; COMPUTE_PGM_RSRC2:TRAP_HANDLER: 0
; COMPUTE_PGM_RSRC2:TGID_X_EN: 1
; COMPUTE_PGM_RSRC2:TGID_Y_EN: 0
; COMPUTE_PGM_RSRC2:TGID_Z_EN: 0
; COMPUTE_PGM_RSRC2:TIDIG_COMP_CNT: 0
	.section	.text._ZN7rocprim17ROCPRIM_400000_NS6detail17trampoline_kernelINS0_14default_configENS1_38merge_sort_block_merge_config_selectorItNS0_10empty_typeEEEZZNS1_27merge_sort_block_merge_implIS3_N6thrust23THRUST_200600_302600_NS6detail15normal_iteratorINS9_10device_ptrItEEEEPS5_m11less_div_10ItEEE10hipError_tT0_T1_T2_jT3_P12ihipStream_tbPNSt15iterator_traitsISJ_E10value_typeEPNSP_ISK_E10value_typeEPSL_NS1_7vsmem_tEENKUlT_SJ_SK_SL_E_clIPtSE_SF_SF_EESI_SY_SJ_SK_SL_EUlSY_E0_NS1_11comp_targetILNS1_3genE10ELNS1_11target_archE1201ELNS1_3gpuE5ELNS1_3repE0EEENS1_38merge_mergepath_config_static_selectorELNS0_4arch9wavefront6targetE0EEEvSK_,"axG",@progbits,_ZN7rocprim17ROCPRIM_400000_NS6detail17trampoline_kernelINS0_14default_configENS1_38merge_sort_block_merge_config_selectorItNS0_10empty_typeEEEZZNS1_27merge_sort_block_merge_implIS3_N6thrust23THRUST_200600_302600_NS6detail15normal_iteratorINS9_10device_ptrItEEEEPS5_m11less_div_10ItEEE10hipError_tT0_T1_T2_jT3_P12ihipStream_tbPNSt15iterator_traitsISJ_E10value_typeEPNSP_ISK_E10value_typeEPSL_NS1_7vsmem_tEENKUlT_SJ_SK_SL_E_clIPtSE_SF_SF_EESI_SY_SJ_SK_SL_EUlSY_E0_NS1_11comp_targetILNS1_3genE10ELNS1_11target_archE1201ELNS1_3gpuE5ELNS1_3repE0EEENS1_38merge_mergepath_config_static_selectorELNS0_4arch9wavefront6targetE0EEEvSK_,comdat
	.protected	_ZN7rocprim17ROCPRIM_400000_NS6detail17trampoline_kernelINS0_14default_configENS1_38merge_sort_block_merge_config_selectorItNS0_10empty_typeEEEZZNS1_27merge_sort_block_merge_implIS3_N6thrust23THRUST_200600_302600_NS6detail15normal_iteratorINS9_10device_ptrItEEEEPS5_m11less_div_10ItEEE10hipError_tT0_T1_T2_jT3_P12ihipStream_tbPNSt15iterator_traitsISJ_E10value_typeEPNSP_ISK_E10value_typeEPSL_NS1_7vsmem_tEENKUlT_SJ_SK_SL_E_clIPtSE_SF_SF_EESI_SY_SJ_SK_SL_EUlSY_E0_NS1_11comp_targetILNS1_3genE10ELNS1_11target_archE1201ELNS1_3gpuE5ELNS1_3repE0EEENS1_38merge_mergepath_config_static_selectorELNS0_4arch9wavefront6targetE0EEEvSK_ ; -- Begin function _ZN7rocprim17ROCPRIM_400000_NS6detail17trampoline_kernelINS0_14default_configENS1_38merge_sort_block_merge_config_selectorItNS0_10empty_typeEEEZZNS1_27merge_sort_block_merge_implIS3_N6thrust23THRUST_200600_302600_NS6detail15normal_iteratorINS9_10device_ptrItEEEEPS5_m11less_div_10ItEEE10hipError_tT0_T1_T2_jT3_P12ihipStream_tbPNSt15iterator_traitsISJ_E10value_typeEPNSP_ISK_E10value_typeEPSL_NS1_7vsmem_tEENKUlT_SJ_SK_SL_E_clIPtSE_SF_SF_EESI_SY_SJ_SK_SL_EUlSY_E0_NS1_11comp_targetILNS1_3genE10ELNS1_11target_archE1201ELNS1_3gpuE5ELNS1_3repE0EEENS1_38merge_mergepath_config_static_selectorELNS0_4arch9wavefront6targetE0EEEvSK_
	.globl	_ZN7rocprim17ROCPRIM_400000_NS6detail17trampoline_kernelINS0_14default_configENS1_38merge_sort_block_merge_config_selectorItNS0_10empty_typeEEEZZNS1_27merge_sort_block_merge_implIS3_N6thrust23THRUST_200600_302600_NS6detail15normal_iteratorINS9_10device_ptrItEEEEPS5_m11less_div_10ItEEE10hipError_tT0_T1_T2_jT3_P12ihipStream_tbPNSt15iterator_traitsISJ_E10value_typeEPNSP_ISK_E10value_typeEPSL_NS1_7vsmem_tEENKUlT_SJ_SK_SL_E_clIPtSE_SF_SF_EESI_SY_SJ_SK_SL_EUlSY_E0_NS1_11comp_targetILNS1_3genE10ELNS1_11target_archE1201ELNS1_3gpuE5ELNS1_3repE0EEENS1_38merge_mergepath_config_static_selectorELNS0_4arch9wavefront6targetE0EEEvSK_
	.p2align	8
	.type	_ZN7rocprim17ROCPRIM_400000_NS6detail17trampoline_kernelINS0_14default_configENS1_38merge_sort_block_merge_config_selectorItNS0_10empty_typeEEEZZNS1_27merge_sort_block_merge_implIS3_N6thrust23THRUST_200600_302600_NS6detail15normal_iteratorINS9_10device_ptrItEEEEPS5_m11less_div_10ItEEE10hipError_tT0_T1_T2_jT3_P12ihipStream_tbPNSt15iterator_traitsISJ_E10value_typeEPNSP_ISK_E10value_typeEPSL_NS1_7vsmem_tEENKUlT_SJ_SK_SL_E_clIPtSE_SF_SF_EESI_SY_SJ_SK_SL_EUlSY_E0_NS1_11comp_targetILNS1_3genE10ELNS1_11target_archE1201ELNS1_3gpuE5ELNS1_3repE0EEENS1_38merge_mergepath_config_static_selectorELNS0_4arch9wavefront6targetE0EEEvSK_,@function
_ZN7rocprim17ROCPRIM_400000_NS6detail17trampoline_kernelINS0_14default_configENS1_38merge_sort_block_merge_config_selectorItNS0_10empty_typeEEEZZNS1_27merge_sort_block_merge_implIS3_N6thrust23THRUST_200600_302600_NS6detail15normal_iteratorINS9_10device_ptrItEEEEPS5_m11less_div_10ItEEE10hipError_tT0_T1_T2_jT3_P12ihipStream_tbPNSt15iterator_traitsISJ_E10value_typeEPNSP_ISK_E10value_typeEPSL_NS1_7vsmem_tEENKUlT_SJ_SK_SL_E_clIPtSE_SF_SF_EESI_SY_SJ_SK_SL_EUlSY_E0_NS1_11comp_targetILNS1_3genE10ELNS1_11target_archE1201ELNS1_3gpuE5ELNS1_3repE0EEENS1_38merge_mergepath_config_static_selectorELNS0_4arch9wavefront6targetE0EEEvSK_: ; @_ZN7rocprim17ROCPRIM_400000_NS6detail17trampoline_kernelINS0_14default_configENS1_38merge_sort_block_merge_config_selectorItNS0_10empty_typeEEEZZNS1_27merge_sort_block_merge_implIS3_N6thrust23THRUST_200600_302600_NS6detail15normal_iteratorINS9_10device_ptrItEEEEPS5_m11less_div_10ItEEE10hipError_tT0_T1_T2_jT3_P12ihipStream_tbPNSt15iterator_traitsISJ_E10value_typeEPNSP_ISK_E10value_typeEPSL_NS1_7vsmem_tEENKUlT_SJ_SK_SL_E_clIPtSE_SF_SF_EESI_SY_SJ_SK_SL_EUlSY_E0_NS1_11comp_targetILNS1_3genE10ELNS1_11target_archE1201ELNS1_3gpuE5ELNS1_3repE0EEENS1_38merge_mergepath_config_static_selectorELNS0_4arch9wavefront6targetE0EEEvSK_
; %bb.0:
	.section	.rodata,"a",@progbits
	.p2align	6, 0x0
	.amdhsa_kernel _ZN7rocprim17ROCPRIM_400000_NS6detail17trampoline_kernelINS0_14default_configENS1_38merge_sort_block_merge_config_selectorItNS0_10empty_typeEEEZZNS1_27merge_sort_block_merge_implIS3_N6thrust23THRUST_200600_302600_NS6detail15normal_iteratorINS9_10device_ptrItEEEEPS5_m11less_div_10ItEEE10hipError_tT0_T1_T2_jT3_P12ihipStream_tbPNSt15iterator_traitsISJ_E10value_typeEPNSP_ISK_E10value_typeEPSL_NS1_7vsmem_tEENKUlT_SJ_SK_SL_E_clIPtSE_SF_SF_EESI_SY_SJ_SK_SL_EUlSY_E0_NS1_11comp_targetILNS1_3genE10ELNS1_11target_archE1201ELNS1_3gpuE5ELNS1_3repE0EEENS1_38merge_mergepath_config_static_selectorELNS0_4arch9wavefront6targetE0EEEvSK_
		.amdhsa_group_segment_fixed_size 0
		.amdhsa_private_segment_fixed_size 0
		.amdhsa_kernarg_size 72
		.amdhsa_user_sgpr_count 6
		.amdhsa_user_sgpr_private_segment_buffer 1
		.amdhsa_user_sgpr_dispatch_ptr 0
		.amdhsa_user_sgpr_queue_ptr 0
		.amdhsa_user_sgpr_kernarg_segment_ptr 1
		.amdhsa_user_sgpr_dispatch_id 0
		.amdhsa_user_sgpr_flat_scratch_init 0
		.amdhsa_user_sgpr_private_segment_size 0
		.amdhsa_wavefront_size32 1
		.amdhsa_uses_dynamic_stack 0
		.amdhsa_system_sgpr_private_segment_wavefront_offset 0
		.amdhsa_system_sgpr_workgroup_id_x 1
		.amdhsa_system_sgpr_workgroup_id_y 0
		.amdhsa_system_sgpr_workgroup_id_z 0
		.amdhsa_system_sgpr_workgroup_info 0
		.amdhsa_system_vgpr_workitem_id 0
		.amdhsa_next_free_vgpr 1
		.amdhsa_next_free_sgpr 1
		.amdhsa_reserve_vcc 0
		.amdhsa_reserve_flat_scratch 0
		.amdhsa_float_round_mode_32 0
		.amdhsa_float_round_mode_16_64 0
		.amdhsa_float_denorm_mode_32 3
		.amdhsa_float_denorm_mode_16_64 3
		.amdhsa_dx10_clamp 1
		.amdhsa_ieee_mode 1
		.amdhsa_fp16_overflow 0
		.amdhsa_workgroup_processor_mode 1
		.amdhsa_memory_ordered 1
		.amdhsa_forward_progress 1
		.amdhsa_shared_vgpr_count 0
		.amdhsa_exception_fp_ieee_invalid_op 0
		.amdhsa_exception_fp_denorm_src 0
		.amdhsa_exception_fp_ieee_div_zero 0
		.amdhsa_exception_fp_ieee_overflow 0
		.amdhsa_exception_fp_ieee_underflow 0
		.amdhsa_exception_fp_ieee_inexact 0
		.amdhsa_exception_int_div_zero 0
	.end_amdhsa_kernel
	.section	.text._ZN7rocprim17ROCPRIM_400000_NS6detail17trampoline_kernelINS0_14default_configENS1_38merge_sort_block_merge_config_selectorItNS0_10empty_typeEEEZZNS1_27merge_sort_block_merge_implIS3_N6thrust23THRUST_200600_302600_NS6detail15normal_iteratorINS9_10device_ptrItEEEEPS5_m11less_div_10ItEEE10hipError_tT0_T1_T2_jT3_P12ihipStream_tbPNSt15iterator_traitsISJ_E10value_typeEPNSP_ISK_E10value_typeEPSL_NS1_7vsmem_tEENKUlT_SJ_SK_SL_E_clIPtSE_SF_SF_EESI_SY_SJ_SK_SL_EUlSY_E0_NS1_11comp_targetILNS1_3genE10ELNS1_11target_archE1201ELNS1_3gpuE5ELNS1_3repE0EEENS1_38merge_mergepath_config_static_selectorELNS0_4arch9wavefront6targetE0EEEvSK_,"axG",@progbits,_ZN7rocprim17ROCPRIM_400000_NS6detail17trampoline_kernelINS0_14default_configENS1_38merge_sort_block_merge_config_selectorItNS0_10empty_typeEEEZZNS1_27merge_sort_block_merge_implIS3_N6thrust23THRUST_200600_302600_NS6detail15normal_iteratorINS9_10device_ptrItEEEEPS5_m11less_div_10ItEEE10hipError_tT0_T1_T2_jT3_P12ihipStream_tbPNSt15iterator_traitsISJ_E10value_typeEPNSP_ISK_E10value_typeEPSL_NS1_7vsmem_tEENKUlT_SJ_SK_SL_E_clIPtSE_SF_SF_EESI_SY_SJ_SK_SL_EUlSY_E0_NS1_11comp_targetILNS1_3genE10ELNS1_11target_archE1201ELNS1_3gpuE5ELNS1_3repE0EEENS1_38merge_mergepath_config_static_selectorELNS0_4arch9wavefront6targetE0EEEvSK_,comdat
.Lfunc_end251:
	.size	_ZN7rocprim17ROCPRIM_400000_NS6detail17trampoline_kernelINS0_14default_configENS1_38merge_sort_block_merge_config_selectorItNS0_10empty_typeEEEZZNS1_27merge_sort_block_merge_implIS3_N6thrust23THRUST_200600_302600_NS6detail15normal_iteratorINS9_10device_ptrItEEEEPS5_m11less_div_10ItEEE10hipError_tT0_T1_T2_jT3_P12ihipStream_tbPNSt15iterator_traitsISJ_E10value_typeEPNSP_ISK_E10value_typeEPSL_NS1_7vsmem_tEENKUlT_SJ_SK_SL_E_clIPtSE_SF_SF_EESI_SY_SJ_SK_SL_EUlSY_E0_NS1_11comp_targetILNS1_3genE10ELNS1_11target_archE1201ELNS1_3gpuE5ELNS1_3repE0EEENS1_38merge_mergepath_config_static_selectorELNS0_4arch9wavefront6targetE0EEEvSK_, .Lfunc_end251-_ZN7rocprim17ROCPRIM_400000_NS6detail17trampoline_kernelINS0_14default_configENS1_38merge_sort_block_merge_config_selectorItNS0_10empty_typeEEEZZNS1_27merge_sort_block_merge_implIS3_N6thrust23THRUST_200600_302600_NS6detail15normal_iteratorINS9_10device_ptrItEEEEPS5_m11less_div_10ItEEE10hipError_tT0_T1_T2_jT3_P12ihipStream_tbPNSt15iterator_traitsISJ_E10value_typeEPNSP_ISK_E10value_typeEPSL_NS1_7vsmem_tEENKUlT_SJ_SK_SL_E_clIPtSE_SF_SF_EESI_SY_SJ_SK_SL_EUlSY_E0_NS1_11comp_targetILNS1_3genE10ELNS1_11target_archE1201ELNS1_3gpuE5ELNS1_3repE0EEENS1_38merge_mergepath_config_static_selectorELNS0_4arch9wavefront6targetE0EEEvSK_
                                        ; -- End function
	.set _ZN7rocprim17ROCPRIM_400000_NS6detail17trampoline_kernelINS0_14default_configENS1_38merge_sort_block_merge_config_selectorItNS0_10empty_typeEEEZZNS1_27merge_sort_block_merge_implIS3_N6thrust23THRUST_200600_302600_NS6detail15normal_iteratorINS9_10device_ptrItEEEEPS5_m11less_div_10ItEEE10hipError_tT0_T1_T2_jT3_P12ihipStream_tbPNSt15iterator_traitsISJ_E10value_typeEPNSP_ISK_E10value_typeEPSL_NS1_7vsmem_tEENKUlT_SJ_SK_SL_E_clIPtSE_SF_SF_EESI_SY_SJ_SK_SL_EUlSY_E0_NS1_11comp_targetILNS1_3genE10ELNS1_11target_archE1201ELNS1_3gpuE5ELNS1_3repE0EEENS1_38merge_mergepath_config_static_selectorELNS0_4arch9wavefront6targetE0EEEvSK_.num_vgpr, 0
	.set _ZN7rocprim17ROCPRIM_400000_NS6detail17trampoline_kernelINS0_14default_configENS1_38merge_sort_block_merge_config_selectorItNS0_10empty_typeEEEZZNS1_27merge_sort_block_merge_implIS3_N6thrust23THRUST_200600_302600_NS6detail15normal_iteratorINS9_10device_ptrItEEEEPS5_m11less_div_10ItEEE10hipError_tT0_T1_T2_jT3_P12ihipStream_tbPNSt15iterator_traitsISJ_E10value_typeEPNSP_ISK_E10value_typeEPSL_NS1_7vsmem_tEENKUlT_SJ_SK_SL_E_clIPtSE_SF_SF_EESI_SY_SJ_SK_SL_EUlSY_E0_NS1_11comp_targetILNS1_3genE10ELNS1_11target_archE1201ELNS1_3gpuE5ELNS1_3repE0EEENS1_38merge_mergepath_config_static_selectorELNS0_4arch9wavefront6targetE0EEEvSK_.num_agpr, 0
	.set _ZN7rocprim17ROCPRIM_400000_NS6detail17trampoline_kernelINS0_14default_configENS1_38merge_sort_block_merge_config_selectorItNS0_10empty_typeEEEZZNS1_27merge_sort_block_merge_implIS3_N6thrust23THRUST_200600_302600_NS6detail15normal_iteratorINS9_10device_ptrItEEEEPS5_m11less_div_10ItEEE10hipError_tT0_T1_T2_jT3_P12ihipStream_tbPNSt15iterator_traitsISJ_E10value_typeEPNSP_ISK_E10value_typeEPSL_NS1_7vsmem_tEENKUlT_SJ_SK_SL_E_clIPtSE_SF_SF_EESI_SY_SJ_SK_SL_EUlSY_E0_NS1_11comp_targetILNS1_3genE10ELNS1_11target_archE1201ELNS1_3gpuE5ELNS1_3repE0EEENS1_38merge_mergepath_config_static_selectorELNS0_4arch9wavefront6targetE0EEEvSK_.numbered_sgpr, 0
	.set _ZN7rocprim17ROCPRIM_400000_NS6detail17trampoline_kernelINS0_14default_configENS1_38merge_sort_block_merge_config_selectorItNS0_10empty_typeEEEZZNS1_27merge_sort_block_merge_implIS3_N6thrust23THRUST_200600_302600_NS6detail15normal_iteratorINS9_10device_ptrItEEEEPS5_m11less_div_10ItEEE10hipError_tT0_T1_T2_jT3_P12ihipStream_tbPNSt15iterator_traitsISJ_E10value_typeEPNSP_ISK_E10value_typeEPSL_NS1_7vsmem_tEENKUlT_SJ_SK_SL_E_clIPtSE_SF_SF_EESI_SY_SJ_SK_SL_EUlSY_E0_NS1_11comp_targetILNS1_3genE10ELNS1_11target_archE1201ELNS1_3gpuE5ELNS1_3repE0EEENS1_38merge_mergepath_config_static_selectorELNS0_4arch9wavefront6targetE0EEEvSK_.num_named_barrier, 0
	.set _ZN7rocprim17ROCPRIM_400000_NS6detail17trampoline_kernelINS0_14default_configENS1_38merge_sort_block_merge_config_selectorItNS0_10empty_typeEEEZZNS1_27merge_sort_block_merge_implIS3_N6thrust23THRUST_200600_302600_NS6detail15normal_iteratorINS9_10device_ptrItEEEEPS5_m11less_div_10ItEEE10hipError_tT0_T1_T2_jT3_P12ihipStream_tbPNSt15iterator_traitsISJ_E10value_typeEPNSP_ISK_E10value_typeEPSL_NS1_7vsmem_tEENKUlT_SJ_SK_SL_E_clIPtSE_SF_SF_EESI_SY_SJ_SK_SL_EUlSY_E0_NS1_11comp_targetILNS1_3genE10ELNS1_11target_archE1201ELNS1_3gpuE5ELNS1_3repE0EEENS1_38merge_mergepath_config_static_selectorELNS0_4arch9wavefront6targetE0EEEvSK_.private_seg_size, 0
	.set _ZN7rocprim17ROCPRIM_400000_NS6detail17trampoline_kernelINS0_14default_configENS1_38merge_sort_block_merge_config_selectorItNS0_10empty_typeEEEZZNS1_27merge_sort_block_merge_implIS3_N6thrust23THRUST_200600_302600_NS6detail15normal_iteratorINS9_10device_ptrItEEEEPS5_m11less_div_10ItEEE10hipError_tT0_T1_T2_jT3_P12ihipStream_tbPNSt15iterator_traitsISJ_E10value_typeEPNSP_ISK_E10value_typeEPSL_NS1_7vsmem_tEENKUlT_SJ_SK_SL_E_clIPtSE_SF_SF_EESI_SY_SJ_SK_SL_EUlSY_E0_NS1_11comp_targetILNS1_3genE10ELNS1_11target_archE1201ELNS1_3gpuE5ELNS1_3repE0EEENS1_38merge_mergepath_config_static_selectorELNS0_4arch9wavefront6targetE0EEEvSK_.uses_vcc, 0
	.set _ZN7rocprim17ROCPRIM_400000_NS6detail17trampoline_kernelINS0_14default_configENS1_38merge_sort_block_merge_config_selectorItNS0_10empty_typeEEEZZNS1_27merge_sort_block_merge_implIS3_N6thrust23THRUST_200600_302600_NS6detail15normal_iteratorINS9_10device_ptrItEEEEPS5_m11less_div_10ItEEE10hipError_tT0_T1_T2_jT3_P12ihipStream_tbPNSt15iterator_traitsISJ_E10value_typeEPNSP_ISK_E10value_typeEPSL_NS1_7vsmem_tEENKUlT_SJ_SK_SL_E_clIPtSE_SF_SF_EESI_SY_SJ_SK_SL_EUlSY_E0_NS1_11comp_targetILNS1_3genE10ELNS1_11target_archE1201ELNS1_3gpuE5ELNS1_3repE0EEENS1_38merge_mergepath_config_static_selectorELNS0_4arch9wavefront6targetE0EEEvSK_.uses_flat_scratch, 0
	.set _ZN7rocprim17ROCPRIM_400000_NS6detail17trampoline_kernelINS0_14default_configENS1_38merge_sort_block_merge_config_selectorItNS0_10empty_typeEEEZZNS1_27merge_sort_block_merge_implIS3_N6thrust23THRUST_200600_302600_NS6detail15normal_iteratorINS9_10device_ptrItEEEEPS5_m11less_div_10ItEEE10hipError_tT0_T1_T2_jT3_P12ihipStream_tbPNSt15iterator_traitsISJ_E10value_typeEPNSP_ISK_E10value_typeEPSL_NS1_7vsmem_tEENKUlT_SJ_SK_SL_E_clIPtSE_SF_SF_EESI_SY_SJ_SK_SL_EUlSY_E0_NS1_11comp_targetILNS1_3genE10ELNS1_11target_archE1201ELNS1_3gpuE5ELNS1_3repE0EEENS1_38merge_mergepath_config_static_selectorELNS0_4arch9wavefront6targetE0EEEvSK_.has_dyn_sized_stack, 0
	.set _ZN7rocprim17ROCPRIM_400000_NS6detail17trampoline_kernelINS0_14default_configENS1_38merge_sort_block_merge_config_selectorItNS0_10empty_typeEEEZZNS1_27merge_sort_block_merge_implIS3_N6thrust23THRUST_200600_302600_NS6detail15normal_iteratorINS9_10device_ptrItEEEEPS5_m11less_div_10ItEEE10hipError_tT0_T1_T2_jT3_P12ihipStream_tbPNSt15iterator_traitsISJ_E10value_typeEPNSP_ISK_E10value_typeEPSL_NS1_7vsmem_tEENKUlT_SJ_SK_SL_E_clIPtSE_SF_SF_EESI_SY_SJ_SK_SL_EUlSY_E0_NS1_11comp_targetILNS1_3genE10ELNS1_11target_archE1201ELNS1_3gpuE5ELNS1_3repE0EEENS1_38merge_mergepath_config_static_selectorELNS0_4arch9wavefront6targetE0EEEvSK_.has_recursion, 0
	.set _ZN7rocprim17ROCPRIM_400000_NS6detail17trampoline_kernelINS0_14default_configENS1_38merge_sort_block_merge_config_selectorItNS0_10empty_typeEEEZZNS1_27merge_sort_block_merge_implIS3_N6thrust23THRUST_200600_302600_NS6detail15normal_iteratorINS9_10device_ptrItEEEEPS5_m11less_div_10ItEEE10hipError_tT0_T1_T2_jT3_P12ihipStream_tbPNSt15iterator_traitsISJ_E10value_typeEPNSP_ISK_E10value_typeEPSL_NS1_7vsmem_tEENKUlT_SJ_SK_SL_E_clIPtSE_SF_SF_EESI_SY_SJ_SK_SL_EUlSY_E0_NS1_11comp_targetILNS1_3genE10ELNS1_11target_archE1201ELNS1_3gpuE5ELNS1_3repE0EEENS1_38merge_mergepath_config_static_selectorELNS0_4arch9wavefront6targetE0EEEvSK_.has_indirect_call, 0
	.section	.AMDGPU.csdata,"",@progbits
; Kernel info:
; codeLenInByte = 0
; TotalNumSgprs: 0
; NumVgprs: 0
; ScratchSize: 0
; MemoryBound: 0
; FloatMode: 240
; IeeeMode: 1
; LDSByteSize: 0 bytes/workgroup (compile time only)
; SGPRBlocks: 0
; VGPRBlocks: 0
; NumSGPRsForWavesPerEU: 1
; NumVGPRsForWavesPerEU: 1
; Occupancy: 16
; WaveLimiterHint : 0
; COMPUTE_PGM_RSRC2:SCRATCH_EN: 0
; COMPUTE_PGM_RSRC2:USER_SGPR: 6
; COMPUTE_PGM_RSRC2:TRAP_HANDLER: 0
; COMPUTE_PGM_RSRC2:TGID_X_EN: 1
; COMPUTE_PGM_RSRC2:TGID_Y_EN: 0
; COMPUTE_PGM_RSRC2:TGID_Z_EN: 0
; COMPUTE_PGM_RSRC2:TIDIG_COMP_CNT: 0
	.section	.text._ZN7rocprim17ROCPRIM_400000_NS6detail17trampoline_kernelINS0_14default_configENS1_38merge_sort_block_merge_config_selectorItNS0_10empty_typeEEEZZNS1_27merge_sort_block_merge_implIS3_N6thrust23THRUST_200600_302600_NS6detail15normal_iteratorINS9_10device_ptrItEEEEPS5_m11less_div_10ItEEE10hipError_tT0_T1_T2_jT3_P12ihipStream_tbPNSt15iterator_traitsISJ_E10value_typeEPNSP_ISK_E10value_typeEPSL_NS1_7vsmem_tEENKUlT_SJ_SK_SL_E_clIPtSE_SF_SF_EESI_SY_SJ_SK_SL_EUlSY_E0_NS1_11comp_targetILNS1_3genE5ELNS1_11target_archE942ELNS1_3gpuE9ELNS1_3repE0EEENS1_38merge_mergepath_config_static_selectorELNS0_4arch9wavefront6targetE0EEEvSK_,"axG",@progbits,_ZN7rocprim17ROCPRIM_400000_NS6detail17trampoline_kernelINS0_14default_configENS1_38merge_sort_block_merge_config_selectorItNS0_10empty_typeEEEZZNS1_27merge_sort_block_merge_implIS3_N6thrust23THRUST_200600_302600_NS6detail15normal_iteratorINS9_10device_ptrItEEEEPS5_m11less_div_10ItEEE10hipError_tT0_T1_T2_jT3_P12ihipStream_tbPNSt15iterator_traitsISJ_E10value_typeEPNSP_ISK_E10value_typeEPSL_NS1_7vsmem_tEENKUlT_SJ_SK_SL_E_clIPtSE_SF_SF_EESI_SY_SJ_SK_SL_EUlSY_E0_NS1_11comp_targetILNS1_3genE5ELNS1_11target_archE942ELNS1_3gpuE9ELNS1_3repE0EEENS1_38merge_mergepath_config_static_selectorELNS0_4arch9wavefront6targetE0EEEvSK_,comdat
	.protected	_ZN7rocprim17ROCPRIM_400000_NS6detail17trampoline_kernelINS0_14default_configENS1_38merge_sort_block_merge_config_selectorItNS0_10empty_typeEEEZZNS1_27merge_sort_block_merge_implIS3_N6thrust23THRUST_200600_302600_NS6detail15normal_iteratorINS9_10device_ptrItEEEEPS5_m11less_div_10ItEEE10hipError_tT0_T1_T2_jT3_P12ihipStream_tbPNSt15iterator_traitsISJ_E10value_typeEPNSP_ISK_E10value_typeEPSL_NS1_7vsmem_tEENKUlT_SJ_SK_SL_E_clIPtSE_SF_SF_EESI_SY_SJ_SK_SL_EUlSY_E0_NS1_11comp_targetILNS1_3genE5ELNS1_11target_archE942ELNS1_3gpuE9ELNS1_3repE0EEENS1_38merge_mergepath_config_static_selectorELNS0_4arch9wavefront6targetE0EEEvSK_ ; -- Begin function _ZN7rocprim17ROCPRIM_400000_NS6detail17trampoline_kernelINS0_14default_configENS1_38merge_sort_block_merge_config_selectorItNS0_10empty_typeEEEZZNS1_27merge_sort_block_merge_implIS3_N6thrust23THRUST_200600_302600_NS6detail15normal_iteratorINS9_10device_ptrItEEEEPS5_m11less_div_10ItEEE10hipError_tT0_T1_T2_jT3_P12ihipStream_tbPNSt15iterator_traitsISJ_E10value_typeEPNSP_ISK_E10value_typeEPSL_NS1_7vsmem_tEENKUlT_SJ_SK_SL_E_clIPtSE_SF_SF_EESI_SY_SJ_SK_SL_EUlSY_E0_NS1_11comp_targetILNS1_3genE5ELNS1_11target_archE942ELNS1_3gpuE9ELNS1_3repE0EEENS1_38merge_mergepath_config_static_selectorELNS0_4arch9wavefront6targetE0EEEvSK_
	.globl	_ZN7rocprim17ROCPRIM_400000_NS6detail17trampoline_kernelINS0_14default_configENS1_38merge_sort_block_merge_config_selectorItNS0_10empty_typeEEEZZNS1_27merge_sort_block_merge_implIS3_N6thrust23THRUST_200600_302600_NS6detail15normal_iteratorINS9_10device_ptrItEEEEPS5_m11less_div_10ItEEE10hipError_tT0_T1_T2_jT3_P12ihipStream_tbPNSt15iterator_traitsISJ_E10value_typeEPNSP_ISK_E10value_typeEPSL_NS1_7vsmem_tEENKUlT_SJ_SK_SL_E_clIPtSE_SF_SF_EESI_SY_SJ_SK_SL_EUlSY_E0_NS1_11comp_targetILNS1_3genE5ELNS1_11target_archE942ELNS1_3gpuE9ELNS1_3repE0EEENS1_38merge_mergepath_config_static_selectorELNS0_4arch9wavefront6targetE0EEEvSK_
	.p2align	8
	.type	_ZN7rocprim17ROCPRIM_400000_NS6detail17trampoline_kernelINS0_14default_configENS1_38merge_sort_block_merge_config_selectorItNS0_10empty_typeEEEZZNS1_27merge_sort_block_merge_implIS3_N6thrust23THRUST_200600_302600_NS6detail15normal_iteratorINS9_10device_ptrItEEEEPS5_m11less_div_10ItEEE10hipError_tT0_T1_T2_jT3_P12ihipStream_tbPNSt15iterator_traitsISJ_E10value_typeEPNSP_ISK_E10value_typeEPSL_NS1_7vsmem_tEENKUlT_SJ_SK_SL_E_clIPtSE_SF_SF_EESI_SY_SJ_SK_SL_EUlSY_E0_NS1_11comp_targetILNS1_3genE5ELNS1_11target_archE942ELNS1_3gpuE9ELNS1_3repE0EEENS1_38merge_mergepath_config_static_selectorELNS0_4arch9wavefront6targetE0EEEvSK_,@function
_ZN7rocprim17ROCPRIM_400000_NS6detail17trampoline_kernelINS0_14default_configENS1_38merge_sort_block_merge_config_selectorItNS0_10empty_typeEEEZZNS1_27merge_sort_block_merge_implIS3_N6thrust23THRUST_200600_302600_NS6detail15normal_iteratorINS9_10device_ptrItEEEEPS5_m11less_div_10ItEEE10hipError_tT0_T1_T2_jT3_P12ihipStream_tbPNSt15iterator_traitsISJ_E10value_typeEPNSP_ISK_E10value_typeEPSL_NS1_7vsmem_tEENKUlT_SJ_SK_SL_E_clIPtSE_SF_SF_EESI_SY_SJ_SK_SL_EUlSY_E0_NS1_11comp_targetILNS1_3genE5ELNS1_11target_archE942ELNS1_3gpuE9ELNS1_3repE0EEENS1_38merge_mergepath_config_static_selectorELNS0_4arch9wavefront6targetE0EEEvSK_: ; @_ZN7rocprim17ROCPRIM_400000_NS6detail17trampoline_kernelINS0_14default_configENS1_38merge_sort_block_merge_config_selectorItNS0_10empty_typeEEEZZNS1_27merge_sort_block_merge_implIS3_N6thrust23THRUST_200600_302600_NS6detail15normal_iteratorINS9_10device_ptrItEEEEPS5_m11less_div_10ItEEE10hipError_tT0_T1_T2_jT3_P12ihipStream_tbPNSt15iterator_traitsISJ_E10value_typeEPNSP_ISK_E10value_typeEPSL_NS1_7vsmem_tEENKUlT_SJ_SK_SL_E_clIPtSE_SF_SF_EESI_SY_SJ_SK_SL_EUlSY_E0_NS1_11comp_targetILNS1_3genE5ELNS1_11target_archE942ELNS1_3gpuE9ELNS1_3repE0EEENS1_38merge_mergepath_config_static_selectorELNS0_4arch9wavefront6targetE0EEEvSK_
; %bb.0:
	.section	.rodata,"a",@progbits
	.p2align	6, 0x0
	.amdhsa_kernel _ZN7rocprim17ROCPRIM_400000_NS6detail17trampoline_kernelINS0_14default_configENS1_38merge_sort_block_merge_config_selectorItNS0_10empty_typeEEEZZNS1_27merge_sort_block_merge_implIS3_N6thrust23THRUST_200600_302600_NS6detail15normal_iteratorINS9_10device_ptrItEEEEPS5_m11less_div_10ItEEE10hipError_tT0_T1_T2_jT3_P12ihipStream_tbPNSt15iterator_traitsISJ_E10value_typeEPNSP_ISK_E10value_typeEPSL_NS1_7vsmem_tEENKUlT_SJ_SK_SL_E_clIPtSE_SF_SF_EESI_SY_SJ_SK_SL_EUlSY_E0_NS1_11comp_targetILNS1_3genE5ELNS1_11target_archE942ELNS1_3gpuE9ELNS1_3repE0EEENS1_38merge_mergepath_config_static_selectorELNS0_4arch9wavefront6targetE0EEEvSK_
		.amdhsa_group_segment_fixed_size 0
		.amdhsa_private_segment_fixed_size 0
		.amdhsa_kernarg_size 72
		.amdhsa_user_sgpr_count 6
		.amdhsa_user_sgpr_private_segment_buffer 1
		.amdhsa_user_sgpr_dispatch_ptr 0
		.amdhsa_user_sgpr_queue_ptr 0
		.amdhsa_user_sgpr_kernarg_segment_ptr 1
		.amdhsa_user_sgpr_dispatch_id 0
		.amdhsa_user_sgpr_flat_scratch_init 0
		.amdhsa_user_sgpr_private_segment_size 0
		.amdhsa_wavefront_size32 1
		.amdhsa_uses_dynamic_stack 0
		.amdhsa_system_sgpr_private_segment_wavefront_offset 0
		.amdhsa_system_sgpr_workgroup_id_x 1
		.amdhsa_system_sgpr_workgroup_id_y 0
		.amdhsa_system_sgpr_workgroup_id_z 0
		.amdhsa_system_sgpr_workgroup_info 0
		.amdhsa_system_vgpr_workitem_id 0
		.amdhsa_next_free_vgpr 1
		.amdhsa_next_free_sgpr 1
		.amdhsa_reserve_vcc 0
		.amdhsa_reserve_flat_scratch 0
		.amdhsa_float_round_mode_32 0
		.amdhsa_float_round_mode_16_64 0
		.amdhsa_float_denorm_mode_32 3
		.amdhsa_float_denorm_mode_16_64 3
		.amdhsa_dx10_clamp 1
		.amdhsa_ieee_mode 1
		.amdhsa_fp16_overflow 0
		.amdhsa_workgroup_processor_mode 1
		.amdhsa_memory_ordered 1
		.amdhsa_forward_progress 1
		.amdhsa_shared_vgpr_count 0
		.amdhsa_exception_fp_ieee_invalid_op 0
		.amdhsa_exception_fp_denorm_src 0
		.amdhsa_exception_fp_ieee_div_zero 0
		.amdhsa_exception_fp_ieee_overflow 0
		.amdhsa_exception_fp_ieee_underflow 0
		.amdhsa_exception_fp_ieee_inexact 0
		.amdhsa_exception_int_div_zero 0
	.end_amdhsa_kernel
	.section	.text._ZN7rocprim17ROCPRIM_400000_NS6detail17trampoline_kernelINS0_14default_configENS1_38merge_sort_block_merge_config_selectorItNS0_10empty_typeEEEZZNS1_27merge_sort_block_merge_implIS3_N6thrust23THRUST_200600_302600_NS6detail15normal_iteratorINS9_10device_ptrItEEEEPS5_m11less_div_10ItEEE10hipError_tT0_T1_T2_jT3_P12ihipStream_tbPNSt15iterator_traitsISJ_E10value_typeEPNSP_ISK_E10value_typeEPSL_NS1_7vsmem_tEENKUlT_SJ_SK_SL_E_clIPtSE_SF_SF_EESI_SY_SJ_SK_SL_EUlSY_E0_NS1_11comp_targetILNS1_3genE5ELNS1_11target_archE942ELNS1_3gpuE9ELNS1_3repE0EEENS1_38merge_mergepath_config_static_selectorELNS0_4arch9wavefront6targetE0EEEvSK_,"axG",@progbits,_ZN7rocprim17ROCPRIM_400000_NS6detail17trampoline_kernelINS0_14default_configENS1_38merge_sort_block_merge_config_selectorItNS0_10empty_typeEEEZZNS1_27merge_sort_block_merge_implIS3_N6thrust23THRUST_200600_302600_NS6detail15normal_iteratorINS9_10device_ptrItEEEEPS5_m11less_div_10ItEEE10hipError_tT0_T1_T2_jT3_P12ihipStream_tbPNSt15iterator_traitsISJ_E10value_typeEPNSP_ISK_E10value_typeEPSL_NS1_7vsmem_tEENKUlT_SJ_SK_SL_E_clIPtSE_SF_SF_EESI_SY_SJ_SK_SL_EUlSY_E0_NS1_11comp_targetILNS1_3genE5ELNS1_11target_archE942ELNS1_3gpuE9ELNS1_3repE0EEENS1_38merge_mergepath_config_static_selectorELNS0_4arch9wavefront6targetE0EEEvSK_,comdat
.Lfunc_end252:
	.size	_ZN7rocprim17ROCPRIM_400000_NS6detail17trampoline_kernelINS0_14default_configENS1_38merge_sort_block_merge_config_selectorItNS0_10empty_typeEEEZZNS1_27merge_sort_block_merge_implIS3_N6thrust23THRUST_200600_302600_NS6detail15normal_iteratorINS9_10device_ptrItEEEEPS5_m11less_div_10ItEEE10hipError_tT0_T1_T2_jT3_P12ihipStream_tbPNSt15iterator_traitsISJ_E10value_typeEPNSP_ISK_E10value_typeEPSL_NS1_7vsmem_tEENKUlT_SJ_SK_SL_E_clIPtSE_SF_SF_EESI_SY_SJ_SK_SL_EUlSY_E0_NS1_11comp_targetILNS1_3genE5ELNS1_11target_archE942ELNS1_3gpuE9ELNS1_3repE0EEENS1_38merge_mergepath_config_static_selectorELNS0_4arch9wavefront6targetE0EEEvSK_, .Lfunc_end252-_ZN7rocprim17ROCPRIM_400000_NS6detail17trampoline_kernelINS0_14default_configENS1_38merge_sort_block_merge_config_selectorItNS0_10empty_typeEEEZZNS1_27merge_sort_block_merge_implIS3_N6thrust23THRUST_200600_302600_NS6detail15normal_iteratorINS9_10device_ptrItEEEEPS5_m11less_div_10ItEEE10hipError_tT0_T1_T2_jT3_P12ihipStream_tbPNSt15iterator_traitsISJ_E10value_typeEPNSP_ISK_E10value_typeEPSL_NS1_7vsmem_tEENKUlT_SJ_SK_SL_E_clIPtSE_SF_SF_EESI_SY_SJ_SK_SL_EUlSY_E0_NS1_11comp_targetILNS1_3genE5ELNS1_11target_archE942ELNS1_3gpuE9ELNS1_3repE0EEENS1_38merge_mergepath_config_static_selectorELNS0_4arch9wavefront6targetE0EEEvSK_
                                        ; -- End function
	.set _ZN7rocprim17ROCPRIM_400000_NS6detail17trampoline_kernelINS0_14default_configENS1_38merge_sort_block_merge_config_selectorItNS0_10empty_typeEEEZZNS1_27merge_sort_block_merge_implIS3_N6thrust23THRUST_200600_302600_NS6detail15normal_iteratorINS9_10device_ptrItEEEEPS5_m11less_div_10ItEEE10hipError_tT0_T1_T2_jT3_P12ihipStream_tbPNSt15iterator_traitsISJ_E10value_typeEPNSP_ISK_E10value_typeEPSL_NS1_7vsmem_tEENKUlT_SJ_SK_SL_E_clIPtSE_SF_SF_EESI_SY_SJ_SK_SL_EUlSY_E0_NS1_11comp_targetILNS1_3genE5ELNS1_11target_archE942ELNS1_3gpuE9ELNS1_3repE0EEENS1_38merge_mergepath_config_static_selectorELNS0_4arch9wavefront6targetE0EEEvSK_.num_vgpr, 0
	.set _ZN7rocprim17ROCPRIM_400000_NS6detail17trampoline_kernelINS0_14default_configENS1_38merge_sort_block_merge_config_selectorItNS0_10empty_typeEEEZZNS1_27merge_sort_block_merge_implIS3_N6thrust23THRUST_200600_302600_NS6detail15normal_iteratorINS9_10device_ptrItEEEEPS5_m11less_div_10ItEEE10hipError_tT0_T1_T2_jT3_P12ihipStream_tbPNSt15iterator_traitsISJ_E10value_typeEPNSP_ISK_E10value_typeEPSL_NS1_7vsmem_tEENKUlT_SJ_SK_SL_E_clIPtSE_SF_SF_EESI_SY_SJ_SK_SL_EUlSY_E0_NS1_11comp_targetILNS1_3genE5ELNS1_11target_archE942ELNS1_3gpuE9ELNS1_3repE0EEENS1_38merge_mergepath_config_static_selectorELNS0_4arch9wavefront6targetE0EEEvSK_.num_agpr, 0
	.set _ZN7rocprim17ROCPRIM_400000_NS6detail17trampoline_kernelINS0_14default_configENS1_38merge_sort_block_merge_config_selectorItNS0_10empty_typeEEEZZNS1_27merge_sort_block_merge_implIS3_N6thrust23THRUST_200600_302600_NS6detail15normal_iteratorINS9_10device_ptrItEEEEPS5_m11less_div_10ItEEE10hipError_tT0_T1_T2_jT3_P12ihipStream_tbPNSt15iterator_traitsISJ_E10value_typeEPNSP_ISK_E10value_typeEPSL_NS1_7vsmem_tEENKUlT_SJ_SK_SL_E_clIPtSE_SF_SF_EESI_SY_SJ_SK_SL_EUlSY_E0_NS1_11comp_targetILNS1_3genE5ELNS1_11target_archE942ELNS1_3gpuE9ELNS1_3repE0EEENS1_38merge_mergepath_config_static_selectorELNS0_4arch9wavefront6targetE0EEEvSK_.numbered_sgpr, 0
	.set _ZN7rocprim17ROCPRIM_400000_NS6detail17trampoline_kernelINS0_14default_configENS1_38merge_sort_block_merge_config_selectorItNS0_10empty_typeEEEZZNS1_27merge_sort_block_merge_implIS3_N6thrust23THRUST_200600_302600_NS6detail15normal_iteratorINS9_10device_ptrItEEEEPS5_m11less_div_10ItEEE10hipError_tT0_T1_T2_jT3_P12ihipStream_tbPNSt15iterator_traitsISJ_E10value_typeEPNSP_ISK_E10value_typeEPSL_NS1_7vsmem_tEENKUlT_SJ_SK_SL_E_clIPtSE_SF_SF_EESI_SY_SJ_SK_SL_EUlSY_E0_NS1_11comp_targetILNS1_3genE5ELNS1_11target_archE942ELNS1_3gpuE9ELNS1_3repE0EEENS1_38merge_mergepath_config_static_selectorELNS0_4arch9wavefront6targetE0EEEvSK_.num_named_barrier, 0
	.set _ZN7rocprim17ROCPRIM_400000_NS6detail17trampoline_kernelINS0_14default_configENS1_38merge_sort_block_merge_config_selectorItNS0_10empty_typeEEEZZNS1_27merge_sort_block_merge_implIS3_N6thrust23THRUST_200600_302600_NS6detail15normal_iteratorINS9_10device_ptrItEEEEPS5_m11less_div_10ItEEE10hipError_tT0_T1_T2_jT3_P12ihipStream_tbPNSt15iterator_traitsISJ_E10value_typeEPNSP_ISK_E10value_typeEPSL_NS1_7vsmem_tEENKUlT_SJ_SK_SL_E_clIPtSE_SF_SF_EESI_SY_SJ_SK_SL_EUlSY_E0_NS1_11comp_targetILNS1_3genE5ELNS1_11target_archE942ELNS1_3gpuE9ELNS1_3repE0EEENS1_38merge_mergepath_config_static_selectorELNS0_4arch9wavefront6targetE0EEEvSK_.private_seg_size, 0
	.set _ZN7rocprim17ROCPRIM_400000_NS6detail17trampoline_kernelINS0_14default_configENS1_38merge_sort_block_merge_config_selectorItNS0_10empty_typeEEEZZNS1_27merge_sort_block_merge_implIS3_N6thrust23THRUST_200600_302600_NS6detail15normal_iteratorINS9_10device_ptrItEEEEPS5_m11less_div_10ItEEE10hipError_tT0_T1_T2_jT3_P12ihipStream_tbPNSt15iterator_traitsISJ_E10value_typeEPNSP_ISK_E10value_typeEPSL_NS1_7vsmem_tEENKUlT_SJ_SK_SL_E_clIPtSE_SF_SF_EESI_SY_SJ_SK_SL_EUlSY_E0_NS1_11comp_targetILNS1_3genE5ELNS1_11target_archE942ELNS1_3gpuE9ELNS1_3repE0EEENS1_38merge_mergepath_config_static_selectorELNS0_4arch9wavefront6targetE0EEEvSK_.uses_vcc, 0
	.set _ZN7rocprim17ROCPRIM_400000_NS6detail17trampoline_kernelINS0_14default_configENS1_38merge_sort_block_merge_config_selectorItNS0_10empty_typeEEEZZNS1_27merge_sort_block_merge_implIS3_N6thrust23THRUST_200600_302600_NS6detail15normal_iteratorINS9_10device_ptrItEEEEPS5_m11less_div_10ItEEE10hipError_tT0_T1_T2_jT3_P12ihipStream_tbPNSt15iterator_traitsISJ_E10value_typeEPNSP_ISK_E10value_typeEPSL_NS1_7vsmem_tEENKUlT_SJ_SK_SL_E_clIPtSE_SF_SF_EESI_SY_SJ_SK_SL_EUlSY_E0_NS1_11comp_targetILNS1_3genE5ELNS1_11target_archE942ELNS1_3gpuE9ELNS1_3repE0EEENS1_38merge_mergepath_config_static_selectorELNS0_4arch9wavefront6targetE0EEEvSK_.uses_flat_scratch, 0
	.set _ZN7rocprim17ROCPRIM_400000_NS6detail17trampoline_kernelINS0_14default_configENS1_38merge_sort_block_merge_config_selectorItNS0_10empty_typeEEEZZNS1_27merge_sort_block_merge_implIS3_N6thrust23THRUST_200600_302600_NS6detail15normal_iteratorINS9_10device_ptrItEEEEPS5_m11less_div_10ItEEE10hipError_tT0_T1_T2_jT3_P12ihipStream_tbPNSt15iterator_traitsISJ_E10value_typeEPNSP_ISK_E10value_typeEPSL_NS1_7vsmem_tEENKUlT_SJ_SK_SL_E_clIPtSE_SF_SF_EESI_SY_SJ_SK_SL_EUlSY_E0_NS1_11comp_targetILNS1_3genE5ELNS1_11target_archE942ELNS1_3gpuE9ELNS1_3repE0EEENS1_38merge_mergepath_config_static_selectorELNS0_4arch9wavefront6targetE0EEEvSK_.has_dyn_sized_stack, 0
	.set _ZN7rocprim17ROCPRIM_400000_NS6detail17trampoline_kernelINS0_14default_configENS1_38merge_sort_block_merge_config_selectorItNS0_10empty_typeEEEZZNS1_27merge_sort_block_merge_implIS3_N6thrust23THRUST_200600_302600_NS6detail15normal_iteratorINS9_10device_ptrItEEEEPS5_m11less_div_10ItEEE10hipError_tT0_T1_T2_jT3_P12ihipStream_tbPNSt15iterator_traitsISJ_E10value_typeEPNSP_ISK_E10value_typeEPSL_NS1_7vsmem_tEENKUlT_SJ_SK_SL_E_clIPtSE_SF_SF_EESI_SY_SJ_SK_SL_EUlSY_E0_NS1_11comp_targetILNS1_3genE5ELNS1_11target_archE942ELNS1_3gpuE9ELNS1_3repE0EEENS1_38merge_mergepath_config_static_selectorELNS0_4arch9wavefront6targetE0EEEvSK_.has_recursion, 0
	.set _ZN7rocprim17ROCPRIM_400000_NS6detail17trampoline_kernelINS0_14default_configENS1_38merge_sort_block_merge_config_selectorItNS0_10empty_typeEEEZZNS1_27merge_sort_block_merge_implIS3_N6thrust23THRUST_200600_302600_NS6detail15normal_iteratorINS9_10device_ptrItEEEEPS5_m11less_div_10ItEEE10hipError_tT0_T1_T2_jT3_P12ihipStream_tbPNSt15iterator_traitsISJ_E10value_typeEPNSP_ISK_E10value_typeEPSL_NS1_7vsmem_tEENKUlT_SJ_SK_SL_E_clIPtSE_SF_SF_EESI_SY_SJ_SK_SL_EUlSY_E0_NS1_11comp_targetILNS1_3genE5ELNS1_11target_archE942ELNS1_3gpuE9ELNS1_3repE0EEENS1_38merge_mergepath_config_static_selectorELNS0_4arch9wavefront6targetE0EEEvSK_.has_indirect_call, 0
	.section	.AMDGPU.csdata,"",@progbits
; Kernel info:
; codeLenInByte = 0
; TotalNumSgprs: 0
; NumVgprs: 0
; ScratchSize: 0
; MemoryBound: 0
; FloatMode: 240
; IeeeMode: 1
; LDSByteSize: 0 bytes/workgroup (compile time only)
; SGPRBlocks: 0
; VGPRBlocks: 0
; NumSGPRsForWavesPerEU: 1
; NumVGPRsForWavesPerEU: 1
; Occupancy: 16
; WaveLimiterHint : 0
; COMPUTE_PGM_RSRC2:SCRATCH_EN: 0
; COMPUTE_PGM_RSRC2:USER_SGPR: 6
; COMPUTE_PGM_RSRC2:TRAP_HANDLER: 0
; COMPUTE_PGM_RSRC2:TGID_X_EN: 1
; COMPUTE_PGM_RSRC2:TGID_Y_EN: 0
; COMPUTE_PGM_RSRC2:TGID_Z_EN: 0
; COMPUTE_PGM_RSRC2:TIDIG_COMP_CNT: 0
	.section	.text._ZN7rocprim17ROCPRIM_400000_NS6detail17trampoline_kernelINS0_14default_configENS1_38merge_sort_block_merge_config_selectorItNS0_10empty_typeEEEZZNS1_27merge_sort_block_merge_implIS3_N6thrust23THRUST_200600_302600_NS6detail15normal_iteratorINS9_10device_ptrItEEEEPS5_m11less_div_10ItEEE10hipError_tT0_T1_T2_jT3_P12ihipStream_tbPNSt15iterator_traitsISJ_E10value_typeEPNSP_ISK_E10value_typeEPSL_NS1_7vsmem_tEENKUlT_SJ_SK_SL_E_clIPtSE_SF_SF_EESI_SY_SJ_SK_SL_EUlSY_E0_NS1_11comp_targetILNS1_3genE4ELNS1_11target_archE910ELNS1_3gpuE8ELNS1_3repE0EEENS1_38merge_mergepath_config_static_selectorELNS0_4arch9wavefront6targetE0EEEvSK_,"axG",@progbits,_ZN7rocprim17ROCPRIM_400000_NS6detail17trampoline_kernelINS0_14default_configENS1_38merge_sort_block_merge_config_selectorItNS0_10empty_typeEEEZZNS1_27merge_sort_block_merge_implIS3_N6thrust23THRUST_200600_302600_NS6detail15normal_iteratorINS9_10device_ptrItEEEEPS5_m11less_div_10ItEEE10hipError_tT0_T1_T2_jT3_P12ihipStream_tbPNSt15iterator_traitsISJ_E10value_typeEPNSP_ISK_E10value_typeEPSL_NS1_7vsmem_tEENKUlT_SJ_SK_SL_E_clIPtSE_SF_SF_EESI_SY_SJ_SK_SL_EUlSY_E0_NS1_11comp_targetILNS1_3genE4ELNS1_11target_archE910ELNS1_3gpuE8ELNS1_3repE0EEENS1_38merge_mergepath_config_static_selectorELNS0_4arch9wavefront6targetE0EEEvSK_,comdat
	.protected	_ZN7rocprim17ROCPRIM_400000_NS6detail17trampoline_kernelINS0_14default_configENS1_38merge_sort_block_merge_config_selectorItNS0_10empty_typeEEEZZNS1_27merge_sort_block_merge_implIS3_N6thrust23THRUST_200600_302600_NS6detail15normal_iteratorINS9_10device_ptrItEEEEPS5_m11less_div_10ItEEE10hipError_tT0_T1_T2_jT3_P12ihipStream_tbPNSt15iterator_traitsISJ_E10value_typeEPNSP_ISK_E10value_typeEPSL_NS1_7vsmem_tEENKUlT_SJ_SK_SL_E_clIPtSE_SF_SF_EESI_SY_SJ_SK_SL_EUlSY_E0_NS1_11comp_targetILNS1_3genE4ELNS1_11target_archE910ELNS1_3gpuE8ELNS1_3repE0EEENS1_38merge_mergepath_config_static_selectorELNS0_4arch9wavefront6targetE0EEEvSK_ ; -- Begin function _ZN7rocprim17ROCPRIM_400000_NS6detail17trampoline_kernelINS0_14default_configENS1_38merge_sort_block_merge_config_selectorItNS0_10empty_typeEEEZZNS1_27merge_sort_block_merge_implIS3_N6thrust23THRUST_200600_302600_NS6detail15normal_iteratorINS9_10device_ptrItEEEEPS5_m11less_div_10ItEEE10hipError_tT0_T1_T2_jT3_P12ihipStream_tbPNSt15iterator_traitsISJ_E10value_typeEPNSP_ISK_E10value_typeEPSL_NS1_7vsmem_tEENKUlT_SJ_SK_SL_E_clIPtSE_SF_SF_EESI_SY_SJ_SK_SL_EUlSY_E0_NS1_11comp_targetILNS1_3genE4ELNS1_11target_archE910ELNS1_3gpuE8ELNS1_3repE0EEENS1_38merge_mergepath_config_static_selectorELNS0_4arch9wavefront6targetE0EEEvSK_
	.globl	_ZN7rocprim17ROCPRIM_400000_NS6detail17trampoline_kernelINS0_14default_configENS1_38merge_sort_block_merge_config_selectorItNS0_10empty_typeEEEZZNS1_27merge_sort_block_merge_implIS3_N6thrust23THRUST_200600_302600_NS6detail15normal_iteratorINS9_10device_ptrItEEEEPS5_m11less_div_10ItEEE10hipError_tT0_T1_T2_jT3_P12ihipStream_tbPNSt15iterator_traitsISJ_E10value_typeEPNSP_ISK_E10value_typeEPSL_NS1_7vsmem_tEENKUlT_SJ_SK_SL_E_clIPtSE_SF_SF_EESI_SY_SJ_SK_SL_EUlSY_E0_NS1_11comp_targetILNS1_3genE4ELNS1_11target_archE910ELNS1_3gpuE8ELNS1_3repE0EEENS1_38merge_mergepath_config_static_selectorELNS0_4arch9wavefront6targetE0EEEvSK_
	.p2align	8
	.type	_ZN7rocprim17ROCPRIM_400000_NS6detail17trampoline_kernelINS0_14default_configENS1_38merge_sort_block_merge_config_selectorItNS0_10empty_typeEEEZZNS1_27merge_sort_block_merge_implIS3_N6thrust23THRUST_200600_302600_NS6detail15normal_iteratorINS9_10device_ptrItEEEEPS5_m11less_div_10ItEEE10hipError_tT0_T1_T2_jT3_P12ihipStream_tbPNSt15iterator_traitsISJ_E10value_typeEPNSP_ISK_E10value_typeEPSL_NS1_7vsmem_tEENKUlT_SJ_SK_SL_E_clIPtSE_SF_SF_EESI_SY_SJ_SK_SL_EUlSY_E0_NS1_11comp_targetILNS1_3genE4ELNS1_11target_archE910ELNS1_3gpuE8ELNS1_3repE0EEENS1_38merge_mergepath_config_static_selectorELNS0_4arch9wavefront6targetE0EEEvSK_,@function
_ZN7rocprim17ROCPRIM_400000_NS6detail17trampoline_kernelINS0_14default_configENS1_38merge_sort_block_merge_config_selectorItNS0_10empty_typeEEEZZNS1_27merge_sort_block_merge_implIS3_N6thrust23THRUST_200600_302600_NS6detail15normal_iteratorINS9_10device_ptrItEEEEPS5_m11less_div_10ItEEE10hipError_tT0_T1_T2_jT3_P12ihipStream_tbPNSt15iterator_traitsISJ_E10value_typeEPNSP_ISK_E10value_typeEPSL_NS1_7vsmem_tEENKUlT_SJ_SK_SL_E_clIPtSE_SF_SF_EESI_SY_SJ_SK_SL_EUlSY_E0_NS1_11comp_targetILNS1_3genE4ELNS1_11target_archE910ELNS1_3gpuE8ELNS1_3repE0EEENS1_38merge_mergepath_config_static_selectorELNS0_4arch9wavefront6targetE0EEEvSK_: ; @_ZN7rocprim17ROCPRIM_400000_NS6detail17trampoline_kernelINS0_14default_configENS1_38merge_sort_block_merge_config_selectorItNS0_10empty_typeEEEZZNS1_27merge_sort_block_merge_implIS3_N6thrust23THRUST_200600_302600_NS6detail15normal_iteratorINS9_10device_ptrItEEEEPS5_m11less_div_10ItEEE10hipError_tT0_T1_T2_jT3_P12ihipStream_tbPNSt15iterator_traitsISJ_E10value_typeEPNSP_ISK_E10value_typeEPSL_NS1_7vsmem_tEENKUlT_SJ_SK_SL_E_clIPtSE_SF_SF_EESI_SY_SJ_SK_SL_EUlSY_E0_NS1_11comp_targetILNS1_3genE4ELNS1_11target_archE910ELNS1_3gpuE8ELNS1_3repE0EEENS1_38merge_mergepath_config_static_selectorELNS0_4arch9wavefront6targetE0EEEvSK_
; %bb.0:
	.section	.rodata,"a",@progbits
	.p2align	6, 0x0
	.amdhsa_kernel _ZN7rocprim17ROCPRIM_400000_NS6detail17trampoline_kernelINS0_14default_configENS1_38merge_sort_block_merge_config_selectorItNS0_10empty_typeEEEZZNS1_27merge_sort_block_merge_implIS3_N6thrust23THRUST_200600_302600_NS6detail15normal_iteratorINS9_10device_ptrItEEEEPS5_m11less_div_10ItEEE10hipError_tT0_T1_T2_jT3_P12ihipStream_tbPNSt15iterator_traitsISJ_E10value_typeEPNSP_ISK_E10value_typeEPSL_NS1_7vsmem_tEENKUlT_SJ_SK_SL_E_clIPtSE_SF_SF_EESI_SY_SJ_SK_SL_EUlSY_E0_NS1_11comp_targetILNS1_3genE4ELNS1_11target_archE910ELNS1_3gpuE8ELNS1_3repE0EEENS1_38merge_mergepath_config_static_selectorELNS0_4arch9wavefront6targetE0EEEvSK_
		.amdhsa_group_segment_fixed_size 0
		.amdhsa_private_segment_fixed_size 0
		.amdhsa_kernarg_size 72
		.amdhsa_user_sgpr_count 6
		.amdhsa_user_sgpr_private_segment_buffer 1
		.amdhsa_user_sgpr_dispatch_ptr 0
		.amdhsa_user_sgpr_queue_ptr 0
		.amdhsa_user_sgpr_kernarg_segment_ptr 1
		.amdhsa_user_sgpr_dispatch_id 0
		.amdhsa_user_sgpr_flat_scratch_init 0
		.amdhsa_user_sgpr_private_segment_size 0
		.amdhsa_wavefront_size32 1
		.amdhsa_uses_dynamic_stack 0
		.amdhsa_system_sgpr_private_segment_wavefront_offset 0
		.amdhsa_system_sgpr_workgroup_id_x 1
		.amdhsa_system_sgpr_workgroup_id_y 0
		.amdhsa_system_sgpr_workgroup_id_z 0
		.amdhsa_system_sgpr_workgroup_info 0
		.amdhsa_system_vgpr_workitem_id 0
		.amdhsa_next_free_vgpr 1
		.amdhsa_next_free_sgpr 1
		.amdhsa_reserve_vcc 0
		.amdhsa_reserve_flat_scratch 0
		.amdhsa_float_round_mode_32 0
		.amdhsa_float_round_mode_16_64 0
		.amdhsa_float_denorm_mode_32 3
		.amdhsa_float_denorm_mode_16_64 3
		.amdhsa_dx10_clamp 1
		.amdhsa_ieee_mode 1
		.amdhsa_fp16_overflow 0
		.amdhsa_workgroup_processor_mode 1
		.amdhsa_memory_ordered 1
		.amdhsa_forward_progress 1
		.amdhsa_shared_vgpr_count 0
		.amdhsa_exception_fp_ieee_invalid_op 0
		.amdhsa_exception_fp_denorm_src 0
		.amdhsa_exception_fp_ieee_div_zero 0
		.amdhsa_exception_fp_ieee_overflow 0
		.amdhsa_exception_fp_ieee_underflow 0
		.amdhsa_exception_fp_ieee_inexact 0
		.amdhsa_exception_int_div_zero 0
	.end_amdhsa_kernel
	.section	.text._ZN7rocprim17ROCPRIM_400000_NS6detail17trampoline_kernelINS0_14default_configENS1_38merge_sort_block_merge_config_selectorItNS0_10empty_typeEEEZZNS1_27merge_sort_block_merge_implIS3_N6thrust23THRUST_200600_302600_NS6detail15normal_iteratorINS9_10device_ptrItEEEEPS5_m11less_div_10ItEEE10hipError_tT0_T1_T2_jT3_P12ihipStream_tbPNSt15iterator_traitsISJ_E10value_typeEPNSP_ISK_E10value_typeEPSL_NS1_7vsmem_tEENKUlT_SJ_SK_SL_E_clIPtSE_SF_SF_EESI_SY_SJ_SK_SL_EUlSY_E0_NS1_11comp_targetILNS1_3genE4ELNS1_11target_archE910ELNS1_3gpuE8ELNS1_3repE0EEENS1_38merge_mergepath_config_static_selectorELNS0_4arch9wavefront6targetE0EEEvSK_,"axG",@progbits,_ZN7rocprim17ROCPRIM_400000_NS6detail17trampoline_kernelINS0_14default_configENS1_38merge_sort_block_merge_config_selectorItNS0_10empty_typeEEEZZNS1_27merge_sort_block_merge_implIS3_N6thrust23THRUST_200600_302600_NS6detail15normal_iteratorINS9_10device_ptrItEEEEPS5_m11less_div_10ItEEE10hipError_tT0_T1_T2_jT3_P12ihipStream_tbPNSt15iterator_traitsISJ_E10value_typeEPNSP_ISK_E10value_typeEPSL_NS1_7vsmem_tEENKUlT_SJ_SK_SL_E_clIPtSE_SF_SF_EESI_SY_SJ_SK_SL_EUlSY_E0_NS1_11comp_targetILNS1_3genE4ELNS1_11target_archE910ELNS1_3gpuE8ELNS1_3repE0EEENS1_38merge_mergepath_config_static_selectorELNS0_4arch9wavefront6targetE0EEEvSK_,comdat
.Lfunc_end253:
	.size	_ZN7rocprim17ROCPRIM_400000_NS6detail17trampoline_kernelINS0_14default_configENS1_38merge_sort_block_merge_config_selectorItNS0_10empty_typeEEEZZNS1_27merge_sort_block_merge_implIS3_N6thrust23THRUST_200600_302600_NS6detail15normal_iteratorINS9_10device_ptrItEEEEPS5_m11less_div_10ItEEE10hipError_tT0_T1_T2_jT3_P12ihipStream_tbPNSt15iterator_traitsISJ_E10value_typeEPNSP_ISK_E10value_typeEPSL_NS1_7vsmem_tEENKUlT_SJ_SK_SL_E_clIPtSE_SF_SF_EESI_SY_SJ_SK_SL_EUlSY_E0_NS1_11comp_targetILNS1_3genE4ELNS1_11target_archE910ELNS1_3gpuE8ELNS1_3repE0EEENS1_38merge_mergepath_config_static_selectorELNS0_4arch9wavefront6targetE0EEEvSK_, .Lfunc_end253-_ZN7rocprim17ROCPRIM_400000_NS6detail17trampoline_kernelINS0_14default_configENS1_38merge_sort_block_merge_config_selectorItNS0_10empty_typeEEEZZNS1_27merge_sort_block_merge_implIS3_N6thrust23THRUST_200600_302600_NS6detail15normal_iteratorINS9_10device_ptrItEEEEPS5_m11less_div_10ItEEE10hipError_tT0_T1_T2_jT3_P12ihipStream_tbPNSt15iterator_traitsISJ_E10value_typeEPNSP_ISK_E10value_typeEPSL_NS1_7vsmem_tEENKUlT_SJ_SK_SL_E_clIPtSE_SF_SF_EESI_SY_SJ_SK_SL_EUlSY_E0_NS1_11comp_targetILNS1_3genE4ELNS1_11target_archE910ELNS1_3gpuE8ELNS1_3repE0EEENS1_38merge_mergepath_config_static_selectorELNS0_4arch9wavefront6targetE0EEEvSK_
                                        ; -- End function
	.set _ZN7rocprim17ROCPRIM_400000_NS6detail17trampoline_kernelINS0_14default_configENS1_38merge_sort_block_merge_config_selectorItNS0_10empty_typeEEEZZNS1_27merge_sort_block_merge_implIS3_N6thrust23THRUST_200600_302600_NS6detail15normal_iteratorINS9_10device_ptrItEEEEPS5_m11less_div_10ItEEE10hipError_tT0_T1_T2_jT3_P12ihipStream_tbPNSt15iterator_traitsISJ_E10value_typeEPNSP_ISK_E10value_typeEPSL_NS1_7vsmem_tEENKUlT_SJ_SK_SL_E_clIPtSE_SF_SF_EESI_SY_SJ_SK_SL_EUlSY_E0_NS1_11comp_targetILNS1_3genE4ELNS1_11target_archE910ELNS1_3gpuE8ELNS1_3repE0EEENS1_38merge_mergepath_config_static_selectorELNS0_4arch9wavefront6targetE0EEEvSK_.num_vgpr, 0
	.set _ZN7rocprim17ROCPRIM_400000_NS6detail17trampoline_kernelINS0_14default_configENS1_38merge_sort_block_merge_config_selectorItNS0_10empty_typeEEEZZNS1_27merge_sort_block_merge_implIS3_N6thrust23THRUST_200600_302600_NS6detail15normal_iteratorINS9_10device_ptrItEEEEPS5_m11less_div_10ItEEE10hipError_tT0_T1_T2_jT3_P12ihipStream_tbPNSt15iterator_traitsISJ_E10value_typeEPNSP_ISK_E10value_typeEPSL_NS1_7vsmem_tEENKUlT_SJ_SK_SL_E_clIPtSE_SF_SF_EESI_SY_SJ_SK_SL_EUlSY_E0_NS1_11comp_targetILNS1_3genE4ELNS1_11target_archE910ELNS1_3gpuE8ELNS1_3repE0EEENS1_38merge_mergepath_config_static_selectorELNS0_4arch9wavefront6targetE0EEEvSK_.num_agpr, 0
	.set _ZN7rocprim17ROCPRIM_400000_NS6detail17trampoline_kernelINS0_14default_configENS1_38merge_sort_block_merge_config_selectorItNS0_10empty_typeEEEZZNS1_27merge_sort_block_merge_implIS3_N6thrust23THRUST_200600_302600_NS6detail15normal_iteratorINS9_10device_ptrItEEEEPS5_m11less_div_10ItEEE10hipError_tT0_T1_T2_jT3_P12ihipStream_tbPNSt15iterator_traitsISJ_E10value_typeEPNSP_ISK_E10value_typeEPSL_NS1_7vsmem_tEENKUlT_SJ_SK_SL_E_clIPtSE_SF_SF_EESI_SY_SJ_SK_SL_EUlSY_E0_NS1_11comp_targetILNS1_3genE4ELNS1_11target_archE910ELNS1_3gpuE8ELNS1_3repE0EEENS1_38merge_mergepath_config_static_selectorELNS0_4arch9wavefront6targetE0EEEvSK_.numbered_sgpr, 0
	.set _ZN7rocprim17ROCPRIM_400000_NS6detail17trampoline_kernelINS0_14default_configENS1_38merge_sort_block_merge_config_selectorItNS0_10empty_typeEEEZZNS1_27merge_sort_block_merge_implIS3_N6thrust23THRUST_200600_302600_NS6detail15normal_iteratorINS9_10device_ptrItEEEEPS5_m11less_div_10ItEEE10hipError_tT0_T1_T2_jT3_P12ihipStream_tbPNSt15iterator_traitsISJ_E10value_typeEPNSP_ISK_E10value_typeEPSL_NS1_7vsmem_tEENKUlT_SJ_SK_SL_E_clIPtSE_SF_SF_EESI_SY_SJ_SK_SL_EUlSY_E0_NS1_11comp_targetILNS1_3genE4ELNS1_11target_archE910ELNS1_3gpuE8ELNS1_3repE0EEENS1_38merge_mergepath_config_static_selectorELNS0_4arch9wavefront6targetE0EEEvSK_.num_named_barrier, 0
	.set _ZN7rocprim17ROCPRIM_400000_NS6detail17trampoline_kernelINS0_14default_configENS1_38merge_sort_block_merge_config_selectorItNS0_10empty_typeEEEZZNS1_27merge_sort_block_merge_implIS3_N6thrust23THRUST_200600_302600_NS6detail15normal_iteratorINS9_10device_ptrItEEEEPS5_m11less_div_10ItEEE10hipError_tT0_T1_T2_jT3_P12ihipStream_tbPNSt15iterator_traitsISJ_E10value_typeEPNSP_ISK_E10value_typeEPSL_NS1_7vsmem_tEENKUlT_SJ_SK_SL_E_clIPtSE_SF_SF_EESI_SY_SJ_SK_SL_EUlSY_E0_NS1_11comp_targetILNS1_3genE4ELNS1_11target_archE910ELNS1_3gpuE8ELNS1_3repE0EEENS1_38merge_mergepath_config_static_selectorELNS0_4arch9wavefront6targetE0EEEvSK_.private_seg_size, 0
	.set _ZN7rocprim17ROCPRIM_400000_NS6detail17trampoline_kernelINS0_14default_configENS1_38merge_sort_block_merge_config_selectorItNS0_10empty_typeEEEZZNS1_27merge_sort_block_merge_implIS3_N6thrust23THRUST_200600_302600_NS6detail15normal_iteratorINS9_10device_ptrItEEEEPS5_m11less_div_10ItEEE10hipError_tT0_T1_T2_jT3_P12ihipStream_tbPNSt15iterator_traitsISJ_E10value_typeEPNSP_ISK_E10value_typeEPSL_NS1_7vsmem_tEENKUlT_SJ_SK_SL_E_clIPtSE_SF_SF_EESI_SY_SJ_SK_SL_EUlSY_E0_NS1_11comp_targetILNS1_3genE4ELNS1_11target_archE910ELNS1_3gpuE8ELNS1_3repE0EEENS1_38merge_mergepath_config_static_selectorELNS0_4arch9wavefront6targetE0EEEvSK_.uses_vcc, 0
	.set _ZN7rocprim17ROCPRIM_400000_NS6detail17trampoline_kernelINS0_14default_configENS1_38merge_sort_block_merge_config_selectorItNS0_10empty_typeEEEZZNS1_27merge_sort_block_merge_implIS3_N6thrust23THRUST_200600_302600_NS6detail15normal_iteratorINS9_10device_ptrItEEEEPS5_m11less_div_10ItEEE10hipError_tT0_T1_T2_jT3_P12ihipStream_tbPNSt15iterator_traitsISJ_E10value_typeEPNSP_ISK_E10value_typeEPSL_NS1_7vsmem_tEENKUlT_SJ_SK_SL_E_clIPtSE_SF_SF_EESI_SY_SJ_SK_SL_EUlSY_E0_NS1_11comp_targetILNS1_3genE4ELNS1_11target_archE910ELNS1_3gpuE8ELNS1_3repE0EEENS1_38merge_mergepath_config_static_selectorELNS0_4arch9wavefront6targetE0EEEvSK_.uses_flat_scratch, 0
	.set _ZN7rocprim17ROCPRIM_400000_NS6detail17trampoline_kernelINS0_14default_configENS1_38merge_sort_block_merge_config_selectorItNS0_10empty_typeEEEZZNS1_27merge_sort_block_merge_implIS3_N6thrust23THRUST_200600_302600_NS6detail15normal_iteratorINS9_10device_ptrItEEEEPS5_m11less_div_10ItEEE10hipError_tT0_T1_T2_jT3_P12ihipStream_tbPNSt15iterator_traitsISJ_E10value_typeEPNSP_ISK_E10value_typeEPSL_NS1_7vsmem_tEENKUlT_SJ_SK_SL_E_clIPtSE_SF_SF_EESI_SY_SJ_SK_SL_EUlSY_E0_NS1_11comp_targetILNS1_3genE4ELNS1_11target_archE910ELNS1_3gpuE8ELNS1_3repE0EEENS1_38merge_mergepath_config_static_selectorELNS0_4arch9wavefront6targetE0EEEvSK_.has_dyn_sized_stack, 0
	.set _ZN7rocprim17ROCPRIM_400000_NS6detail17trampoline_kernelINS0_14default_configENS1_38merge_sort_block_merge_config_selectorItNS0_10empty_typeEEEZZNS1_27merge_sort_block_merge_implIS3_N6thrust23THRUST_200600_302600_NS6detail15normal_iteratorINS9_10device_ptrItEEEEPS5_m11less_div_10ItEEE10hipError_tT0_T1_T2_jT3_P12ihipStream_tbPNSt15iterator_traitsISJ_E10value_typeEPNSP_ISK_E10value_typeEPSL_NS1_7vsmem_tEENKUlT_SJ_SK_SL_E_clIPtSE_SF_SF_EESI_SY_SJ_SK_SL_EUlSY_E0_NS1_11comp_targetILNS1_3genE4ELNS1_11target_archE910ELNS1_3gpuE8ELNS1_3repE0EEENS1_38merge_mergepath_config_static_selectorELNS0_4arch9wavefront6targetE0EEEvSK_.has_recursion, 0
	.set _ZN7rocprim17ROCPRIM_400000_NS6detail17trampoline_kernelINS0_14default_configENS1_38merge_sort_block_merge_config_selectorItNS0_10empty_typeEEEZZNS1_27merge_sort_block_merge_implIS3_N6thrust23THRUST_200600_302600_NS6detail15normal_iteratorINS9_10device_ptrItEEEEPS5_m11less_div_10ItEEE10hipError_tT0_T1_T2_jT3_P12ihipStream_tbPNSt15iterator_traitsISJ_E10value_typeEPNSP_ISK_E10value_typeEPSL_NS1_7vsmem_tEENKUlT_SJ_SK_SL_E_clIPtSE_SF_SF_EESI_SY_SJ_SK_SL_EUlSY_E0_NS1_11comp_targetILNS1_3genE4ELNS1_11target_archE910ELNS1_3gpuE8ELNS1_3repE0EEENS1_38merge_mergepath_config_static_selectorELNS0_4arch9wavefront6targetE0EEEvSK_.has_indirect_call, 0
	.section	.AMDGPU.csdata,"",@progbits
; Kernel info:
; codeLenInByte = 0
; TotalNumSgprs: 0
; NumVgprs: 0
; ScratchSize: 0
; MemoryBound: 0
; FloatMode: 240
; IeeeMode: 1
; LDSByteSize: 0 bytes/workgroup (compile time only)
; SGPRBlocks: 0
; VGPRBlocks: 0
; NumSGPRsForWavesPerEU: 1
; NumVGPRsForWavesPerEU: 1
; Occupancy: 16
; WaveLimiterHint : 0
; COMPUTE_PGM_RSRC2:SCRATCH_EN: 0
; COMPUTE_PGM_RSRC2:USER_SGPR: 6
; COMPUTE_PGM_RSRC2:TRAP_HANDLER: 0
; COMPUTE_PGM_RSRC2:TGID_X_EN: 1
; COMPUTE_PGM_RSRC2:TGID_Y_EN: 0
; COMPUTE_PGM_RSRC2:TGID_Z_EN: 0
; COMPUTE_PGM_RSRC2:TIDIG_COMP_CNT: 0
	.section	.text._ZN7rocprim17ROCPRIM_400000_NS6detail17trampoline_kernelINS0_14default_configENS1_38merge_sort_block_merge_config_selectorItNS0_10empty_typeEEEZZNS1_27merge_sort_block_merge_implIS3_N6thrust23THRUST_200600_302600_NS6detail15normal_iteratorINS9_10device_ptrItEEEEPS5_m11less_div_10ItEEE10hipError_tT0_T1_T2_jT3_P12ihipStream_tbPNSt15iterator_traitsISJ_E10value_typeEPNSP_ISK_E10value_typeEPSL_NS1_7vsmem_tEENKUlT_SJ_SK_SL_E_clIPtSE_SF_SF_EESI_SY_SJ_SK_SL_EUlSY_E0_NS1_11comp_targetILNS1_3genE3ELNS1_11target_archE908ELNS1_3gpuE7ELNS1_3repE0EEENS1_38merge_mergepath_config_static_selectorELNS0_4arch9wavefront6targetE0EEEvSK_,"axG",@progbits,_ZN7rocprim17ROCPRIM_400000_NS6detail17trampoline_kernelINS0_14default_configENS1_38merge_sort_block_merge_config_selectorItNS0_10empty_typeEEEZZNS1_27merge_sort_block_merge_implIS3_N6thrust23THRUST_200600_302600_NS6detail15normal_iteratorINS9_10device_ptrItEEEEPS5_m11less_div_10ItEEE10hipError_tT0_T1_T2_jT3_P12ihipStream_tbPNSt15iterator_traitsISJ_E10value_typeEPNSP_ISK_E10value_typeEPSL_NS1_7vsmem_tEENKUlT_SJ_SK_SL_E_clIPtSE_SF_SF_EESI_SY_SJ_SK_SL_EUlSY_E0_NS1_11comp_targetILNS1_3genE3ELNS1_11target_archE908ELNS1_3gpuE7ELNS1_3repE0EEENS1_38merge_mergepath_config_static_selectorELNS0_4arch9wavefront6targetE0EEEvSK_,comdat
	.protected	_ZN7rocprim17ROCPRIM_400000_NS6detail17trampoline_kernelINS0_14default_configENS1_38merge_sort_block_merge_config_selectorItNS0_10empty_typeEEEZZNS1_27merge_sort_block_merge_implIS3_N6thrust23THRUST_200600_302600_NS6detail15normal_iteratorINS9_10device_ptrItEEEEPS5_m11less_div_10ItEEE10hipError_tT0_T1_T2_jT3_P12ihipStream_tbPNSt15iterator_traitsISJ_E10value_typeEPNSP_ISK_E10value_typeEPSL_NS1_7vsmem_tEENKUlT_SJ_SK_SL_E_clIPtSE_SF_SF_EESI_SY_SJ_SK_SL_EUlSY_E0_NS1_11comp_targetILNS1_3genE3ELNS1_11target_archE908ELNS1_3gpuE7ELNS1_3repE0EEENS1_38merge_mergepath_config_static_selectorELNS0_4arch9wavefront6targetE0EEEvSK_ ; -- Begin function _ZN7rocprim17ROCPRIM_400000_NS6detail17trampoline_kernelINS0_14default_configENS1_38merge_sort_block_merge_config_selectorItNS0_10empty_typeEEEZZNS1_27merge_sort_block_merge_implIS3_N6thrust23THRUST_200600_302600_NS6detail15normal_iteratorINS9_10device_ptrItEEEEPS5_m11less_div_10ItEEE10hipError_tT0_T1_T2_jT3_P12ihipStream_tbPNSt15iterator_traitsISJ_E10value_typeEPNSP_ISK_E10value_typeEPSL_NS1_7vsmem_tEENKUlT_SJ_SK_SL_E_clIPtSE_SF_SF_EESI_SY_SJ_SK_SL_EUlSY_E0_NS1_11comp_targetILNS1_3genE3ELNS1_11target_archE908ELNS1_3gpuE7ELNS1_3repE0EEENS1_38merge_mergepath_config_static_selectorELNS0_4arch9wavefront6targetE0EEEvSK_
	.globl	_ZN7rocprim17ROCPRIM_400000_NS6detail17trampoline_kernelINS0_14default_configENS1_38merge_sort_block_merge_config_selectorItNS0_10empty_typeEEEZZNS1_27merge_sort_block_merge_implIS3_N6thrust23THRUST_200600_302600_NS6detail15normal_iteratorINS9_10device_ptrItEEEEPS5_m11less_div_10ItEEE10hipError_tT0_T1_T2_jT3_P12ihipStream_tbPNSt15iterator_traitsISJ_E10value_typeEPNSP_ISK_E10value_typeEPSL_NS1_7vsmem_tEENKUlT_SJ_SK_SL_E_clIPtSE_SF_SF_EESI_SY_SJ_SK_SL_EUlSY_E0_NS1_11comp_targetILNS1_3genE3ELNS1_11target_archE908ELNS1_3gpuE7ELNS1_3repE0EEENS1_38merge_mergepath_config_static_selectorELNS0_4arch9wavefront6targetE0EEEvSK_
	.p2align	8
	.type	_ZN7rocprim17ROCPRIM_400000_NS6detail17trampoline_kernelINS0_14default_configENS1_38merge_sort_block_merge_config_selectorItNS0_10empty_typeEEEZZNS1_27merge_sort_block_merge_implIS3_N6thrust23THRUST_200600_302600_NS6detail15normal_iteratorINS9_10device_ptrItEEEEPS5_m11less_div_10ItEEE10hipError_tT0_T1_T2_jT3_P12ihipStream_tbPNSt15iterator_traitsISJ_E10value_typeEPNSP_ISK_E10value_typeEPSL_NS1_7vsmem_tEENKUlT_SJ_SK_SL_E_clIPtSE_SF_SF_EESI_SY_SJ_SK_SL_EUlSY_E0_NS1_11comp_targetILNS1_3genE3ELNS1_11target_archE908ELNS1_3gpuE7ELNS1_3repE0EEENS1_38merge_mergepath_config_static_selectorELNS0_4arch9wavefront6targetE0EEEvSK_,@function
_ZN7rocprim17ROCPRIM_400000_NS6detail17trampoline_kernelINS0_14default_configENS1_38merge_sort_block_merge_config_selectorItNS0_10empty_typeEEEZZNS1_27merge_sort_block_merge_implIS3_N6thrust23THRUST_200600_302600_NS6detail15normal_iteratorINS9_10device_ptrItEEEEPS5_m11less_div_10ItEEE10hipError_tT0_T1_T2_jT3_P12ihipStream_tbPNSt15iterator_traitsISJ_E10value_typeEPNSP_ISK_E10value_typeEPSL_NS1_7vsmem_tEENKUlT_SJ_SK_SL_E_clIPtSE_SF_SF_EESI_SY_SJ_SK_SL_EUlSY_E0_NS1_11comp_targetILNS1_3genE3ELNS1_11target_archE908ELNS1_3gpuE7ELNS1_3repE0EEENS1_38merge_mergepath_config_static_selectorELNS0_4arch9wavefront6targetE0EEEvSK_: ; @_ZN7rocprim17ROCPRIM_400000_NS6detail17trampoline_kernelINS0_14default_configENS1_38merge_sort_block_merge_config_selectorItNS0_10empty_typeEEEZZNS1_27merge_sort_block_merge_implIS3_N6thrust23THRUST_200600_302600_NS6detail15normal_iteratorINS9_10device_ptrItEEEEPS5_m11less_div_10ItEEE10hipError_tT0_T1_T2_jT3_P12ihipStream_tbPNSt15iterator_traitsISJ_E10value_typeEPNSP_ISK_E10value_typeEPSL_NS1_7vsmem_tEENKUlT_SJ_SK_SL_E_clIPtSE_SF_SF_EESI_SY_SJ_SK_SL_EUlSY_E0_NS1_11comp_targetILNS1_3genE3ELNS1_11target_archE908ELNS1_3gpuE7ELNS1_3repE0EEENS1_38merge_mergepath_config_static_selectorELNS0_4arch9wavefront6targetE0EEEvSK_
; %bb.0:
	.section	.rodata,"a",@progbits
	.p2align	6, 0x0
	.amdhsa_kernel _ZN7rocprim17ROCPRIM_400000_NS6detail17trampoline_kernelINS0_14default_configENS1_38merge_sort_block_merge_config_selectorItNS0_10empty_typeEEEZZNS1_27merge_sort_block_merge_implIS3_N6thrust23THRUST_200600_302600_NS6detail15normal_iteratorINS9_10device_ptrItEEEEPS5_m11less_div_10ItEEE10hipError_tT0_T1_T2_jT3_P12ihipStream_tbPNSt15iterator_traitsISJ_E10value_typeEPNSP_ISK_E10value_typeEPSL_NS1_7vsmem_tEENKUlT_SJ_SK_SL_E_clIPtSE_SF_SF_EESI_SY_SJ_SK_SL_EUlSY_E0_NS1_11comp_targetILNS1_3genE3ELNS1_11target_archE908ELNS1_3gpuE7ELNS1_3repE0EEENS1_38merge_mergepath_config_static_selectorELNS0_4arch9wavefront6targetE0EEEvSK_
		.amdhsa_group_segment_fixed_size 0
		.amdhsa_private_segment_fixed_size 0
		.amdhsa_kernarg_size 72
		.amdhsa_user_sgpr_count 6
		.amdhsa_user_sgpr_private_segment_buffer 1
		.amdhsa_user_sgpr_dispatch_ptr 0
		.amdhsa_user_sgpr_queue_ptr 0
		.amdhsa_user_sgpr_kernarg_segment_ptr 1
		.amdhsa_user_sgpr_dispatch_id 0
		.amdhsa_user_sgpr_flat_scratch_init 0
		.amdhsa_user_sgpr_private_segment_size 0
		.amdhsa_wavefront_size32 1
		.amdhsa_uses_dynamic_stack 0
		.amdhsa_system_sgpr_private_segment_wavefront_offset 0
		.amdhsa_system_sgpr_workgroup_id_x 1
		.amdhsa_system_sgpr_workgroup_id_y 0
		.amdhsa_system_sgpr_workgroup_id_z 0
		.amdhsa_system_sgpr_workgroup_info 0
		.amdhsa_system_vgpr_workitem_id 0
		.amdhsa_next_free_vgpr 1
		.amdhsa_next_free_sgpr 1
		.amdhsa_reserve_vcc 0
		.amdhsa_reserve_flat_scratch 0
		.amdhsa_float_round_mode_32 0
		.amdhsa_float_round_mode_16_64 0
		.amdhsa_float_denorm_mode_32 3
		.amdhsa_float_denorm_mode_16_64 3
		.amdhsa_dx10_clamp 1
		.amdhsa_ieee_mode 1
		.amdhsa_fp16_overflow 0
		.amdhsa_workgroup_processor_mode 1
		.amdhsa_memory_ordered 1
		.amdhsa_forward_progress 1
		.amdhsa_shared_vgpr_count 0
		.amdhsa_exception_fp_ieee_invalid_op 0
		.amdhsa_exception_fp_denorm_src 0
		.amdhsa_exception_fp_ieee_div_zero 0
		.amdhsa_exception_fp_ieee_overflow 0
		.amdhsa_exception_fp_ieee_underflow 0
		.amdhsa_exception_fp_ieee_inexact 0
		.amdhsa_exception_int_div_zero 0
	.end_amdhsa_kernel
	.section	.text._ZN7rocprim17ROCPRIM_400000_NS6detail17trampoline_kernelINS0_14default_configENS1_38merge_sort_block_merge_config_selectorItNS0_10empty_typeEEEZZNS1_27merge_sort_block_merge_implIS3_N6thrust23THRUST_200600_302600_NS6detail15normal_iteratorINS9_10device_ptrItEEEEPS5_m11less_div_10ItEEE10hipError_tT0_T1_T2_jT3_P12ihipStream_tbPNSt15iterator_traitsISJ_E10value_typeEPNSP_ISK_E10value_typeEPSL_NS1_7vsmem_tEENKUlT_SJ_SK_SL_E_clIPtSE_SF_SF_EESI_SY_SJ_SK_SL_EUlSY_E0_NS1_11comp_targetILNS1_3genE3ELNS1_11target_archE908ELNS1_3gpuE7ELNS1_3repE0EEENS1_38merge_mergepath_config_static_selectorELNS0_4arch9wavefront6targetE0EEEvSK_,"axG",@progbits,_ZN7rocprim17ROCPRIM_400000_NS6detail17trampoline_kernelINS0_14default_configENS1_38merge_sort_block_merge_config_selectorItNS0_10empty_typeEEEZZNS1_27merge_sort_block_merge_implIS3_N6thrust23THRUST_200600_302600_NS6detail15normal_iteratorINS9_10device_ptrItEEEEPS5_m11less_div_10ItEEE10hipError_tT0_T1_T2_jT3_P12ihipStream_tbPNSt15iterator_traitsISJ_E10value_typeEPNSP_ISK_E10value_typeEPSL_NS1_7vsmem_tEENKUlT_SJ_SK_SL_E_clIPtSE_SF_SF_EESI_SY_SJ_SK_SL_EUlSY_E0_NS1_11comp_targetILNS1_3genE3ELNS1_11target_archE908ELNS1_3gpuE7ELNS1_3repE0EEENS1_38merge_mergepath_config_static_selectorELNS0_4arch9wavefront6targetE0EEEvSK_,comdat
.Lfunc_end254:
	.size	_ZN7rocprim17ROCPRIM_400000_NS6detail17trampoline_kernelINS0_14default_configENS1_38merge_sort_block_merge_config_selectorItNS0_10empty_typeEEEZZNS1_27merge_sort_block_merge_implIS3_N6thrust23THRUST_200600_302600_NS6detail15normal_iteratorINS9_10device_ptrItEEEEPS5_m11less_div_10ItEEE10hipError_tT0_T1_T2_jT3_P12ihipStream_tbPNSt15iterator_traitsISJ_E10value_typeEPNSP_ISK_E10value_typeEPSL_NS1_7vsmem_tEENKUlT_SJ_SK_SL_E_clIPtSE_SF_SF_EESI_SY_SJ_SK_SL_EUlSY_E0_NS1_11comp_targetILNS1_3genE3ELNS1_11target_archE908ELNS1_3gpuE7ELNS1_3repE0EEENS1_38merge_mergepath_config_static_selectorELNS0_4arch9wavefront6targetE0EEEvSK_, .Lfunc_end254-_ZN7rocprim17ROCPRIM_400000_NS6detail17trampoline_kernelINS0_14default_configENS1_38merge_sort_block_merge_config_selectorItNS0_10empty_typeEEEZZNS1_27merge_sort_block_merge_implIS3_N6thrust23THRUST_200600_302600_NS6detail15normal_iteratorINS9_10device_ptrItEEEEPS5_m11less_div_10ItEEE10hipError_tT0_T1_T2_jT3_P12ihipStream_tbPNSt15iterator_traitsISJ_E10value_typeEPNSP_ISK_E10value_typeEPSL_NS1_7vsmem_tEENKUlT_SJ_SK_SL_E_clIPtSE_SF_SF_EESI_SY_SJ_SK_SL_EUlSY_E0_NS1_11comp_targetILNS1_3genE3ELNS1_11target_archE908ELNS1_3gpuE7ELNS1_3repE0EEENS1_38merge_mergepath_config_static_selectorELNS0_4arch9wavefront6targetE0EEEvSK_
                                        ; -- End function
	.set _ZN7rocprim17ROCPRIM_400000_NS6detail17trampoline_kernelINS0_14default_configENS1_38merge_sort_block_merge_config_selectorItNS0_10empty_typeEEEZZNS1_27merge_sort_block_merge_implIS3_N6thrust23THRUST_200600_302600_NS6detail15normal_iteratorINS9_10device_ptrItEEEEPS5_m11less_div_10ItEEE10hipError_tT0_T1_T2_jT3_P12ihipStream_tbPNSt15iterator_traitsISJ_E10value_typeEPNSP_ISK_E10value_typeEPSL_NS1_7vsmem_tEENKUlT_SJ_SK_SL_E_clIPtSE_SF_SF_EESI_SY_SJ_SK_SL_EUlSY_E0_NS1_11comp_targetILNS1_3genE3ELNS1_11target_archE908ELNS1_3gpuE7ELNS1_3repE0EEENS1_38merge_mergepath_config_static_selectorELNS0_4arch9wavefront6targetE0EEEvSK_.num_vgpr, 0
	.set _ZN7rocprim17ROCPRIM_400000_NS6detail17trampoline_kernelINS0_14default_configENS1_38merge_sort_block_merge_config_selectorItNS0_10empty_typeEEEZZNS1_27merge_sort_block_merge_implIS3_N6thrust23THRUST_200600_302600_NS6detail15normal_iteratorINS9_10device_ptrItEEEEPS5_m11less_div_10ItEEE10hipError_tT0_T1_T2_jT3_P12ihipStream_tbPNSt15iterator_traitsISJ_E10value_typeEPNSP_ISK_E10value_typeEPSL_NS1_7vsmem_tEENKUlT_SJ_SK_SL_E_clIPtSE_SF_SF_EESI_SY_SJ_SK_SL_EUlSY_E0_NS1_11comp_targetILNS1_3genE3ELNS1_11target_archE908ELNS1_3gpuE7ELNS1_3repE0EEENS1_38merge_mergepath_config_static_selectorELNS0_4arch9wavefront6targetE0EEEvSK_.num_agpr, 0
	.set _ZN7rocprim17ROCPRIM_400000_NS6detail17trampoline_kernelINS0_14default_configENS1_38merge_sort_block_merge_config_selectorItNS0_10empty_typeEEEZZNS1_27merge_sort_block_merge_implIS3_N6thrust23THRUST_200600_302600_NS6detail15normal_iteratorINS9_10device_ptrItEEEEPS5_m11less_div_10ItEEE10hipError_tT0_T1_T2_jT3_P12ihipStream_tbPNSt15iterator_traitsISJ_E10value_typeEPNSP_ISK_E10value_typeEPSL_NS1_7vsmem_tEENKUlT_SJ_SK_SL_E_clIPtSE_SF_SF_EESI_SY_SJ_SK_SL_EUlSY_E0_NS1_11comp_targetILNS1_3genE3ELNS1_11target_archE908ELNS1_3gpuE7ELNS1_3repE0EEENS1_38merge_mergepath_config_static_selectorELNS0_4arch9wavefront6targetE0EEEvSK_.numbered_sgpr, 0
	.set _ZN7rocprim17ROCPRIM_400000_NS6detail17trampoline_kernelINS0_14default_configENS1_38merge_sort_block_merge_config_selectorItNS0_10empty_typeEEEZZNS1_27merge_sort_block_merge_implIS3_N6thrust23THRUST_200600_302600_NS6detail15normal_iteratorINS9_10device_ptrItEEEEPS5_m11less_div_10ItEEE10hipError_tT0_T1_T2_jT3_P12ihipStream_tbPNSt15iterator_traitsISJ_E10value_typeEPNSP_ISK_E10value_typeEPSL_NS1_7vsmem_tEENKUlT_SJ_SK_SL_E_clIPtSE_SF_SF_EESI_SY_SJ_SK_SL_EUlSY_E0_NS1_11comp_targetILNS1_3genE3ELNS1_11target_archE908ELNS1_3gpuE7ELNS1_3repE0EEENS1_38merge_mergepath_config_static_selectorELNS0_4arch9wavefront6targetE0EEEvSK_.num_named_barrier, 0
	.set _ZN7rocprim17ROCPRIM_400000_NS6detail17trampoline_kernelINS0_14default_configENS1_38merge_sort_block_merge_config_selectorItNS0_10empty_typeEEEZZNS1_27merge_sort_block_merge_implIS3_N6thrust23THRUST_200600_302600_NS6detail15normal_iteratorINS9_10device_ptrItEEEEPS5_m11less_div_10ItEEE10hipError_tT0_T1_T2_jT3_P12ihipStream_tbPNSt15iterator_traitsISJ_E10value_typeEPNSP_ISK_E10value_typeEPSL_NS1_7vsmem_tEENKUlT_SJ_SK_SL_E_clIPtSE_SF_SF_EESI_SY_SJ_SK_SL_EUlSY_E0_NS1_11comp_targetILNS1_3genE3ELNS1_11target_archE908ELNS1_3gpuE7ELNS1_3repE0EEENS1_38merge_mergepath_config_static_selectorELNS0_4arch9wavefront6targetE0EEEvSK_.private_seg_size, 0
	.set _ZN7rocprim17ROCPRIM_400000_NS6detail17trampoline_kernelINS0_14default_configENS1_38merge_sort_block_merge_config_selectorItNS0_10empty_typeEEEZZNS1_27merge_sort_block_merge_implIS3_N6thrust23THRUST_200600_302600_NS6detail15normal_iteratorINS9_10device_ptrItEEEEPS5_m11less_div_10ItEEE10hipError_tT0_T1_T2_jT3_P12ihipStream_tbPNSt15iterator_traitsISJ_E10value_typeEPNSP_ISK_E10value_typeEPSL_NS1_7vsmem_tEENKUlT_SJ_SK_SL_E_clIPtSE_SF_SF_EESI_SY_SJ_SK_SL_EUlSY_E0_NS1_11comp_targetILNS1_3genE3ELNS1_11target_archE908ELNS1_3gpuE7ELNS1_3repE0EEENS1_38merge_mergepath_config_static_selectorELNS0_4arch9wavefront6targetE0EEEvSK_.uses_vcc, 0
	.set _ZN7rocprim17ROCPRIM_400000_NS6detail17trampoline_kernelINS0_14default_configENS1_38merge_sort_block_merge_config_selectorItNS0_10empty_typeEEEZZNS1_27merge_sort_block_merge_implIS3_N6thrust23THRUST_200600_302600_NS6detail15normal_iteratorINS9_10device_ptrItEEEEPS5_m11less_div_10ItEEE10hipError_tT0_T1_T2_jT3_P12ihipStream_tbPNSt15iterator_traitsISJ_E10value_typeEPNSP_ISK_E10value_typeEPSL_NS1_7vsmem_tEENKUlT_SJ_SK_SL_E_clIPtSE_SF_SF_EESI_SY_SJ_SK_SL_EUlSY_E0_NS1_11comp_targetILNS1_3genE3ELNS1_11target_archE908ELNS1_3gpuE7ELNS1_3repE0EEENS1_38merge_mergepath_config_static_selectorELNS0_4arch9wavefront6targetE0EEEvSK_.uses_flat_scratch, 0
	.set _ZN7rocprim17ROCPRIM_400000_NS6detail17trampoline_kernelINS0_14default_configENS1_38merge_sort_block_merge_config_selectorItNS0_10empty_typeEEEZZNS1_27merge_sort_block_merge_implIS3_N6thrust23THRUST_200600_302600_NS6detail15normal_iteratorINS9_10device_ptrItEEEEPS5_m11less_div_10ItEEE10hipError_tT0_T1_T2_jT3_P12ihipStream_tbPNSt15iterator_traitsISJ_E10value_typeEPNSP_ISK_E10value_typeEPSL_NS1_7vsmem_tEENKUlT_SJ_SK_SL_E_clIPtSE_SF_SF_EESI_SY_SJ_SK_SL_EUlSY_E0_NS1_11comp_targetILNS1_3genE3ELNS1_11target_archE908ELNS1_3gpuE7ELNS1_3repE0EEENS1_38merge_mergepath_config_static_selectorELNS0_4arch9wavefront6targetE0EEEvSK_.has_dyn_sized_stack, 0
	.set _ZN7rocprim17ROCPRIM_400000_NS6detail17trampoline_kernelINS0_14default_configENS1_38merge_sort_block_merge_config_selectorItNS0_10empty_typeEEEZZNS1_27merge_sort_block_merge_implIS3_N6thrust23THRUST_200600_302600_NS6detail15normal_iteratorINS9_10device_ptrItEEEEPS5_m11less_div_10ItEEE10hipError_tT0_T1_T2_jT3_P12ihipStream_tbPNSt15iterator_traitsISJ_E10value_typeEPNSP_ISK_E10value_typeEPSL_NS1_7vsmem_tEENKUlT_SJ_SK_SL_E_clIPtSE_SF_SF_EESI_SY_SJ_SK_SL_EUlSY_E0_NS1_11comp_targetILNS1_3genE3ELNS1_11target_archE908ELNS1_3gpuE7ELNS1_3repE0EEENS1_38merge_mergepath_config_static_selectorELNS0_4arch9wavefront6targetE0EEEvSK_.has_recursion, 0
	.set _ZN7rocprim17ROCPRIM_400000_NS6detail17trampoline_kernelINS0_14default_configENS1_38merge_sort_block_merge_config_selectorItNS0_10empty_typeEEEZZNS1_27merge_sort_block_merge_implIS3_N6thrust23THRUST_200600_302600_NS6detail15normal_iteratorINS9_10device_ptrItEEEEPS5_m11less_div_10ItEEE10hipError_tT0_T1_T2_jT3_P12ihipStream_tbPNSt15iterator_traitsISJ_E10value_typeEPNSP_ISK_E10value_typeEPSL_NS1_7vsmem_tEENKUlT_SJ_SK_SL_E_clIPtSE_SF_SF_EESI_SY_SJ_SK_SL_EUlSY_E0_NS1_11comp_targetILNS1_3genE3ELNS1_11target_archE908ELNS1_3gpuE7ELNS1_3repE0EEENS1_38merge_mergepath_config_static_selectorELNS0_4arch9wavefront6targetE0EEEvSK_.has_indirect_call, 0
	.section	.AMDGPU.csdata,"",@progbits
; Kernel info:
; codeLenInByte = 0
; TotalNumSgprs: 0
; NumVgprs: 0
; ScratchSize: 0
; MemoryBound: 0
; FloatMode: 240
; IeeeMode: 1
; LDSByteSize: 0 bytes/workgroup (compile time only)
; SGPRBlocks: 0
; VGPRBlocks: 0
; NumSGPRsForWavesPerEU: 1
; NumVGPRsForWavesPerEU: 1
; Occupancy: 16
; WaveLimiterHint : 0
; COMPUTE_PGM_RSRC2:SCRATCH_EN: 0
; COMPUTE_PGM_RSRC2:USER_SGPR: 6
; COMPUTE_PGM_RSRC2:TRAP_HANDLER: 0
; COMPUTE_PGM_RSRC2:TGID_X_EN: 1
; COMPUTE_PGM_RSRC2:TGID_Y_EN: 0
; COMPUTE_PGM_RSRC2:TGID_Z_EN: 0
; COMPUTE_PGM_RSRC2:TIDIG_COMP_CNT: 0
	.section	.text._ZN7rocprim17ROCPRIM_400000_NS6detail17trampoline_kernelINS0_14default_configENS1_38merge_sort_block_merge_config_selectorItNS0_10empty_typeEEEZZNS1_27merge_sort_block_merge_implIS3_N6thrust23THRUST_200600_302600_NS6detail15normal_iteratorINS9_10device_ptrItEEEEPS5_m11less_div_10ItEEE10hipError_tT0_T1_T2_jT3_P12ihipStream_tbPNSt15iterator_traitsISJ_E10value_typeEPNSP_ISK_E10value_typeEPSL_NS1_7vsmem_tEENKUlT_SJ_SK_SL_E_clIPtSE_SF_SF_EESI_SY_SJ_SK_SL_EUlSY_E0_NS1_11comp_targetILNS1_3genE2ELNS1_11target_archE906ELNS1_3gpuE6ELNS1_3repE0EEENS1_38merge_mergepath_config_static_selectorELNS0_4arch9wavefront6targetE0EEEvSK_,"axG",@progbits,_ZN7rocprim17ROCPRIM_400000_NS6detail17trampoline_kernelINS0_14default_configENS1_38merge_sort_block_merge_config_selectorItNS0_10empty_typeEEEZZNS1_27merge_sort_block_merge_implIS3_N6thrust23THRUST_200600_302600_NS6detail15normal_iteratorINS9_10device_ptrItEEEEPS5_m11less_div_10ItEEE10hipError_tT0_T1_T2_jT3_P12ihipStream_tbPNSt15iterator_traitsISJ_E10value_typeEPNSP_ISK_E10value_typeEPSL_NS1_7vsmem_tEENKUlT_SJ_SK_SL_E_clIPtSE_SF_SF_EESI_SY_SJ_SK_SL_EUlSY_E0_NS1_11comp_targetILNS1_3genE2ELNS1_11target_archE906ELNS1_3gpuE6ELNS1_3repE0EEENS1_38merge_mergepath_config_static_selectorELNS0_4arch9wavefront6targetE0EEEvSK_,comdat
	.protected	_ZN7rocprim17ROCPRIM_400000_NS6detail17trampoline_kernelINS0_14default_configENS1_38merge_sort_block_merge_config_selectorItNS0_10empty_typeEEEZZNS1_27merge_sort_block_merge_implIS3_N6thrust23THRUST_200600_302600_NS6detail15normal_iteratorINS9_10device_ptrItEEEEPS5_m11less_div_10ItEEE10hipError_tT0_T1_T2_jT3_P12ihipStream_tbPNSt15iterator_traitsISJ_E10value_typeEPNSP_ISK_E10value_typeEPSL_NS1_7vsmem_tEENKUlT_SJ_SK_SL_E_clIPtSE_SF_SF_EESI_SY_SJ_SK_SL_EUlSY_E0_NS1_11comp_targetILNS1_3genE2ELNS1_11target_archE906ELNS1_3gpuE6ELNS1_3repE0EEENS1_38merge_mergepath_config_static_selectorELNS0_4arch9wavefront6targetE0EEEvSK_ ; -- Begin function _ZN7rocprim17ROCPRIM_400000_NS6detail17trampoline_kernelINS0_14default_configENS1_38merge_sort_block_merge_config_selectorItNS0_10empty_typeEEEZZNS1_27merge_sort_block_merge_implIS3_N6thrust23THRUST_200600_302600_NS6detail15normal_iteratorINS9_10device_ptrItEEEEPS5_m11less_div_10ItEEE10hipError_tT0_T1_T2_jT3_P12ihipStream_tbPNSt15iterator_traitsISJ_E10value_typeEPNSP_ISK_E10value_typeEPSL_NS1_7vsmem_tEENKUlT_SJ_SK_SL_E_clIPtSE_SF_SF_EESI_SY_SJ_SK_SL_EUlSY_E0_NS1_11comp_targetILNS1_3genE2ELNS1_11target_archE906ELNS1_3gpuE6ELNS1_3repE0EEENS1_38merge_mergepath_config_static_selectorELNS0_4arch9wavefront6targetE0EEEvSK_
	.globl	_ZN7rocprim17ROCPRIM_400000_NS6detail17trampoline_kernelINS0_14default_configENS1_38merge_sort_block_merge_config_selectorItNS0_10empty_typeEEEZZNS1_27merge_sort_block_merge_implIS3_N6thrust23THRUST_200600_302600_NS6detail15normal_iteratorINS9_10device_ptrItEEEEPS5_m11less_div_10ItEEE10hipError_tT0_T1_T2_jT3_P12ihipStream_tbPNSt15iterator_traitsISJ_E10value_typeEPNSP_ISK_E10value_typeEPSL_NS1_7vsmem_tEENKUlT_SJ_SK_SL_E_clIPtSE_SF_SF_EESI_SY_SJ_SK_SL_EUlSY_E0_NS1_11comp_targetILNS1_3genE2ELNS1_11target_archE906ELNS1_3gpuE6ELNS1_3repE0EEENS1_38merge_mergepath_config_static_selectorELNS0_4arch9wavefront6targetE0EEEvSK_
	.p2align	8
	.type	_ZN7rocprim17ROCPRIM_400000_NS6detail17trampoline_kernelINS0_14default_configENS1_38merge_sort_block_merge_config_selectorItNS0_10empty_typeEEEZZNS1_27merge_sort_block_merge_implIS3_N6thrust23THRUST_200600_302600_NS6detail15normal_iteratorINS9_10device_ptrItEEEEPS5_m11less_div_10ItEEE10hipError_tT0_T1_T2_jT3_P12ihipStream_tbPNSt15iterator_traitsISJ_E10value_typeEPNSP_ISK_E10value_typeEPSL_NS1_7vsmem_tEENKUlT_SJ_SK_SL_E_clIPtSE_SF_SF_EESI_SY_SJ_SK_SL_EUlSY_E0_NS1_11comp_targetILNS1_3genE2ELNS1_11target_archE906ELNS1_3gpuE6ELNS1_3repE0EEENS1_38merge_mergepath_config_static_selectorELNS0_4arch9wavefront6targetE0EEEvSK_,@function
_ZN7rocprim17ROCPRIM_400000_NS6detail17trampoline_kernelINS0_14default_configENS1_38merge_sort_block_merge_config_selectorItNS0_10empty_typeEEEZZNS1_27merge_sort_block_merge_implIS3_N6thrust23THRUST_200600_302600_NS6detail15normal_iteratorINS9_10device_ptrItEEEEPS5_m11less_div_10ItEEE10hipError_tT0_T1_T2_jT3_P12ihipStream_tbPNSt15iterator_traitsISJ_E10value_typeEPNSP_ISK_E10value_typeEPSL_NS1_7vsmem_tEENKUlT_SJ_SK_SL_E_clIPtSE_SF_SF_EESI_SY_SJ_SK_SL_EUlSY_E0_NS1_11comp_targetILNS1_3genE2ELNS1_11target_archE906ELNS1_3gpuE6ELNS1_3repE0EEENS1_38merge_mergepath_config_static_selectorELNS0_4arch9wavefront6targetE0EEEvSK_: ; @_ZN7rocprim17ROCPRIM_400000_NS6detail17trampoline_kernelINS0_14default_configENS1_38merge_sort_block_merge_config_selectorItNS0_10empty_typeEEEZZNS1_27merge_sort_block_merge_implIS3_N6thrust23THRUST_200600_302600_NS6detail15normal_iteratorINS9_10device_ptrItEEEEPS5_m11less_div_10ItEEE10hipError_tT0_T1_T2_jT3_P12ihipStream_tbPNSt15iterator_traitsISJ_E10value_typeEPNSP_ISK_E10value_typeEPSL_NS1_7vsmem_tEENKUlT_SJ_SK_SL_E_clIPtSE_SF_SF_EESI_SY_SJ_SK_SL_EUlSY_E0_NS1_11comp_targetILNS1_3genE2ELNS1_11target_archE906ELNS1_3gpuE6ELNS1_3repE0EEENS1_38merge_mergepath_config_static_selectorELNS0_4arch9wavefront6targetE0EEEvSK_
; %bb.0:
	.section	.rodata,"a",@progbits
	.p2align	6, 0x0
	.amdhsa_kernel _ZN7rocprim17ROCPRIM_400000_NS6detail17trampoline_kernelINS0_14default_configENS1_38merge_sort_block_merge_config_selectorItNS0_10empty_typeEEEZZNS1_27merge_sort_block_merge_implIS3_N6thrust23THRUST_200600_302600_NS6detail15normal_iteratorINS9_10device_ptrItEEEEPS5_m11less_div_10ItEEE10hipError_tT0_T1_T2_jT3_P12ihipStream_tbPNSt15iterator_traitsISJ_E10value_typeEPNSP_ISK_E10value_typeEPSL_NS1_7vsmem_tEENKUlT_SJ_SK_SL_E_clIPtSE_SF_SF_EESI_SY_SJ_SK_SL_EUlSY_E0_NS1_11comp_targetILNS1_3genE2ELNS1_11target_archE906ELNS1_3gpuE6ELNS1_3repE0EEENS1_38merge_mergepath_config_static_selectorELNS0_4arch9wavefront6targetE0EEEvSK_
		.amdhsa_group_segment_fixed_size 0
		.amdhsa_private_segment_fixed_size 0
		.amdhsa_kernarg_size 72
		.amdhsa_user_sgpr_count 6
		.amdhsa_user_sgpr_private_segment_buffer 1
		.amdhsa_user_sgpr_dispatch_ptr 0
		.amdhsa_user_sgpr_queue_ptr 0
		.amdhsa_user_sgpr_kernarg_segment_ptr 1
		.amdhsa_user_sgpr_dispatch_id 0
		.amdhsa_user_sgpr_flat_scratch_init 0
		.amdhsa_user_sgpr_private_segment_size 0
		.amdhsa_wavefront_size32 1
		.amdhsa_uses_dynamic_stack 0
		.amdhsa_system_sgpr_private_segment_wavefront_offset 0
		.amdhsa_system_sgpr_workgroup_id_x 1
		.amdhsa_system_sgpr_workgroup_id_y 0
		.amdhsa_system_sgpr_workgroup_id_z 0
		.amdhsa_system_sgpr_workgroup_info 0
		.amdhsa_system_vgpr_workitem_id 0
		.amdhsa_next_free_vgpr 1
		.amdhsa_next_free_sgpr 1
		.amdhsa_reserve_vcc 0
		.amdhsa_reserve_flat_scratch 0
		.amdhsa_float_round_mode_32 0
		.amdhsa_float_round_mode_16_64 0
		.amdhsa_float_denorm_mode_32 3
		.amdhsa_float_denorm_mode_16_64 3
		.amdhsa_dx10_clamp 1
		.amdhsa_ieee_mode 1
		.amdhsa_fp16_overflow 0
		.amdhsa_workgroup_processor_mode 1
		.amdhsa_memory_ordered 1
		.amdhsa_forward_progress 1
		.amdhsa_shared_vgpr_count 0
		.amdhsa_exception_fp_ieee_invalid_op 0
		.amdhsa_exception_fp_denorm_src 0
		.amdhsa_exception_fp_ieee_div_zero 0
		.amdhsa_exception_fp_ieee_overflow 0
		.amdhsa_exception_fp_ieee_underflow 0
		.amdhsa_exception_fp_ieee_inexact 0
		.amdhsa_exception_int_div_zero 0
	.end_amdhsa_kernel
	.section	.text._ZN7rocprim17ROCPRIM_400000_NS6detail17trampoline_kernelINS0_14default_configENS1_38merge_sort_block_merge_config_selectorItNS0_10empty_typeEEEZZNS1_27merge_sort_block_merge_implIS3_N6thrust23THRUST_200600_302600_NS6detail15normal_iteratorINS9_10device_ptrItEEEEPS5_m11less_div_10ItEEE10hipError_tT0_T1_T2_jT3_P12ihipStream_tbPNSt15iterator_traitsISJ_E10value_typeEPNSP_ISK_E10value_typeEPSL_NS1_7vsmem_tEENKUlT_SJ_SK_SL_E_clIPtSE_SF_SF_EESI_SY_SJ_SK_SL_EUlSY_E0_NS1_11comp_targetILNS1_3genE2ELNS1_11target_archE906ELNS1_3gpuE6ELNS1_3repE0EEENS1_38merge_mergepath_config_static_selectorELNS0_4arch9wavefront6targetE0EEEvSK_,"axG",@progbits,_ZN7rocprim17ROCPRIM_400000_NS6detail17trampoline_kernelINS0_14default_configENS1_38merge_sort_block_merge_config_selectorItNS0_10empty_typeEEEZZNS1_27merge_sort_block_merge_implIS3_N6thrust23THRUST_200600_302600_NS6detail15normal_iteratorINS9_10device_ptrItEEEEPS5_m11less_div_10ItEEE10hipError_tT0_T1_T2_jT3_P12ihipStream_tbPNSt15iterator_traitsISJ_E10value_typeEPNSP_ISK_E10value_typeEPSL_NS1_7vsmem_tEENKUlT_SJ_SK_SL_E_clIPtSE_SF_SF_EESI_SY_SJ_SK_SL_EUlSY_E0_NS1_11comp_targetILNS1_3genE2ELNS1_11target_archE906ELNS1_3gpuE6ELNS1_3repE0EEENS1_38merge_mergepath_config_static_selectorELNS0_4arch9wavefront6targetE0EEEvSK_,comdat
.Lfunc_end255:
	.size	_ZN7rocprim17ROCPRIM_400000_NS6detail17trampoline_kernelINS0_14default_configENS1_38merge_sort_block_merge_config_selectorItNS0_10empty_typeEEEZZNS1_27merge_sort_block_merge_implIS3_N6thrust23THRUST_200600_302600_NS6detail15normal_iteratorINS9_10device_ptrItEEEEPS5_m11less_div_10ItEEE10hipError_tT0_T1_T2_jT3_P12ihipStream_tbPNSt15iterator_traitsISJ_E10value_typeEPNSP_ISK_E10value_typeEPSL_NS1_7vsmem_tEENKUlT_SJ_SK_SL_E_clIPtSE_SF_SF_EESI_SY_SJ_SK_SL_EUlSY_E0_NS1_11comp_targetILNS1_3genE2ELNS1_11target_archE906ELNS1_3gpuE6ELNS1_3repE0EEENS1_38merge_mergepath_config_static_selectorELNS0_4arch9wavefront6targetE0EEEvSK_, .Lfunc_end255-_ZN7rocprim17ROCPRIM_400000_NS6detail17trampoline_kernelINS0_14default_configENS1_38merge_sort_block_merge_config_selectorItNS0_10empty_typeEEEZZNS1_27merge_sort_block_merge_implIS3_N6thrust23THRUST_200600_302600_NS6detail15normal_iteratorINS9_10device_ptrItEEEEPS5_m11less_div_10ItEEE10hipError_tT0_T1_T2_jT3_P12ihipStream_tbPNSt15iterator_traitsISJ_E10value_typeEPNSP_ISK_E10value_typeEPSL_NS1_7vsmem_tEENKUlT_SJ_SK_SL_E_clIPtSE_SF_SF_EESI_SY_SJ_SK_SL_EUlSY_E0_NS1_11comp_targetILNS1_3genE2ELNS1_11target_archE906ELNS1_3gpuE6ELNS1_3repE0EEENS1_38merge_mergepath_config_static_selectorELNS0_4arch9wavefront6targetE0EEEvSK_
                                        ; -- End function
	.set _ZN7rocprim17ROCPRIM_400000_NS6detail17trampoline_kernelINS0_14default_configENS1_38merge_sort_block_merge_config_selectorItNS0_10empty_typeEEEZZNS1_27merge_sort_block_merge_implIS3_N6thrust23THRUST_200600_302600_NS6detail15normal_iteratorINS9_10device_ptrItEEEEPS5_m11less_div_10ItEEE10hipError_tT0_T1_T2_jT3_P12ihipStream_tbPNSt15iterator_traitsISJ_E10value_typeEPNSP_ISK_E10value_typeEPSL_NS1_7vsmem_tEENKUlT_SJ_SK_SL_E_clIPtSE_SF_SF_EESI_SY_SJ_SK_SL_EUlSY_E0_NS1_11comp_targetILNS1_3genE2ELNS1_11target_archE906ELNS1_3gpuE6ELNS1_3repE0EEENS1_38merge_mergepath_config_static_selectorELNS0_4arch9wavefront6targetE0EEEvSK_.num_vgpr, 0
	.set _ZN7rocprim17ROCPRIM_400000_NS6detail17trampoline_kernelINS0_14default_configENS1_38merge_sort_block_merge_config_selectorItNS0_10empty_typeEEEZZNS1_27merge_sort_block_merge_implIS3_N6thrust23THRUST_200600_302600_NS6detail15normal_iteratorINS9_10device_ptrItEEEEPS5_m11less_div_10ItEEE10hipError_tT0_T1_T2_jT3_P12ihipStream_tbPNSt15iterator_traitsISJ_E10value_typeEPNSP_ISK_E10value_typeEPSL_NS1_7vsmem_tEENKUlT_SJ_SK_SL_E_clIPtSE_SF_SF_EESI_SY_SJ_SK_SL_EUlSY_E0_NS1_11comp_targetILNS1_3genE2ELNS1_11target_archE906ELNS1_3gpuE6ELNS1_3repE0EEENS1_38merge_mergepath_config_static_selectorELNS0_4arch9wavefront6targetE0EEEvSK_.num_agpr, 0
	.set _ZN7rocprim17ROCPRIM_400000_NS6detail17trampoline_kernelINS0_14default_configENS1_38merge_sort_block_merge_config_selectorItNS0_10empty_typeEEEZZNS1_27merge_sort_block_merge_implIS3_N6thrust23THRUST_200600_302600_NS6detail15normal_iteratorINS9_10device_ptrItEEEEPS5_m11less_div_10ItEEE10hipError_tT0_T1_T2_jT3_P12ihipStream_tbPNSt15iterator_traitsISJ_E10value_typeEPNSP_ISK_E10value_typeEPSL_NS1_7vsmem_tEENKUlT_SJ_SK_SL_E_clIPtSE_SF_SF_EESI_SY_SJ_SK_SL_EUlSY_E0_NS1_11comp_targetILNS1_3genE2ELNS1_11target_archE906ELNS1_3gpuE6ELNS1_3repE0EEENS1_38merge_mergepath_config_static_selectorELNS0_4arch9wavefront6targetE0EEEvSK_.numbered_sgpr, 0
	.set _ZN7rocprim17ROCPRIM_400000_NS6detail17trampoline_kernelINS0_14default_configENS1_38merge_sort_block_merge_config_selectorItNS0_10empty_typeEEEZZNS1_27merge_sort_block_merge_implIS3_N6thrust23THRUST_200600_302600_NS6detail15normal_iteratorINS9_10device_ptrItEEEEPS5_m11less_div_10ItEEE10hipError_tT0_T1_T2_jT3_P12ihipStream_tbPNSt15iterator_traitsISJ_E10value_typeEPNSP_ISK_E10value_typeEPSL_NS1_7vsmem_tEENKUlT_SJ_SK_SL_E_clIPtSE_SF_SF_EESI_SY_SJ_SK_SL_EUlSY_E0_NS1_11comp_targetILNS1_3genE2ELNS1_11target_archE906ELNS1_3gpuE6ELNS1_3repE0EEENS1_38merge_mergepath_config_static_selectorELNS0_4arch9wavefront6targetE0EEEvSK_.num_named_barrier, 0
	.set _ZN7rocprim17ROCPRIM_400000_NS6detail17trampoline_kernelINS0_14default_configENS1_38merge_sort_block_merge_config_selectorItNS0_10empty_typeEEEZZNS1_27merge_sort_block_merge_implIS3_N6thrust23THRUST_200600_302600_NS6detail15normal_iteratorINS9_10device_ptrItEEEEPS5_m11less_div_10ItEEE10hipError_tT0_T1_T2_jT3_P12ihipStream_tbPNSt15iterator_traitsISJ_E10value_typeEPNSP_ISK_E10value_typeEPSL_NS1_7vsmem_tEENKUlT_SJ_SK_SL_E_clIPtSE_SF_SF_EESI_SY_SJ_SK_SL_EUlSY_E0_NS1_11comp_targetILNS1_3genE2ELNS1_11target_archE906ELNS1_3gpuE6ELNS1_3repE0EEENS1_38merge_mergepath_config_static_selectorELNS0_4arch9wavefront6targetE0EEEvSK_.private_seg_size, 0
	.set _ZN7rocprim17ROCPRIM_400000_NS6detail17trampoline_kernelINS0_14default_configENS1_38merge_sort_block_merge_config_selectorItNS0_10empty_typeEEEZZNS1_27merge_sort_block_merge_implIS3_N6thrust23THRUST_200600_302600_NS6detail15normal_iteratorINS9_10device_ptrItEEEEPS5_m11less_div_10ItEEE10hipError_tT0_T1_T2_jT3_P12ihipStream_tbPNSt15iterator_traitsISJ_E10value_typeEPNSP_ISK_E10value_typeEPSL_NS1_7vsmem_tEENKUlT_SJ_SK_SL_E_clIPtSE_SF_SF_EESI_SY_SJ_SK_SL_EUlSY_E0_NS1_11comp_targetILNS1_3genE2ELNS1_11target_archE906ELNS1_3gpuE6ELNS1_3repE0EEENS1_38merge_mergepath_config_static_selectorELNS0_4arch9wavefront6targetE0EEEvSK_.uses_vcc, 0
	.set _ZN7rocprim17ROCPRIM_400000_NS6detail17trampoline_kernelINS0_14default_configENS1_38merge_sort_block_merge_config_selectorItNS0_10empty_typeEEEZZNS1_27merge_sort_block_merge_implIS3_N6thrust23THRUST_200600_302600_NS6detail15normal_iteratorINS9_10device_ptrItEEEEPS5_m11less_div_10ItEEE10hipError_tT0_T1_T2_jT3_P12ihipStream_tbPNSt15iterator_traitsISJ_E10value_typeEPNSP_ISK_E10value_typeEPSL_NS1_7vsmem_tEENKUlT_SJ_SK_SL_E_clIPtSE_SF_SF_EESI_SY_SJ_SK_SL_EUlSY_E0_NS1_11comp_targetILNS1_3genE2ELNS1_11target_archE906ELNS1_3gpuE6ELNS1_3repE0EEENS1_38merge_mergepath_config_static_selectorELNS0_4arch9wavefront6targetE0EEEvSK_.uses_flat_scratch, 0
	.set _ZN7rocprim17ROCPRIM_400000_NS6detail17trampoline_kernelINS0_14default_configENS1_38merge_sort_block_merge_config_selectorItNS0_10empty_typeEEEZZNS1_27merge_sort_block_merge_implIS3_N6thrust23THRUST_200600_302600_NS6detail15normal_iteratorINS9_10device_ptrItEEEEPS5_m11less_div_10ItEEE10hipError_tT0_T1_T2_jT3_P12ihipStream_tbPNSt15iterator_traitsISJ_E10value_typeEPNSP_ISK_E10value_typeEPSL_NS1_7vsmem_tEENKUlT_SJ_SK_SL_E_clIPtSE_SF_SF_EESI_SY_SJ_SK_SL_EUlSY_E0_NS1_11comp_targetILNS1_3genE2ELNS1_11target_archE906ELNS1_3gpuE6ELNS1_3repE0EEENS1_38merge_mergepath_config_static_selectorELNS0_4arch9wavefront6targetE0EEEvSK_.has_dyn_sized_stack, 0
	.set _ZN7rocprim17ROCPRIM_400000_NS6detail17trampoline_kernelINS0_14default_configENS1_38merge_sort_block_merge_config_selectorItNS0_10empty_typeEEEZZNS1_27merge_sort_block_merge_implIS3_N6thrust23THRUST_200600_302600_NS6detail15normal_iteratorINS9_10device_ptrItEEEEPS5_m11less_div_10ItEEE10hipError_tT0_T1_T2_jT3_P12ihipStream_tbPNSt15iterator_traitsISJ_E10value_typeEPNSP_ISK_E10value_typeEPSL_NS1_7vsmem_tEENKUlT_SJ_SK_SL_E_clIPtSE_SF_SF_EESI_SY_SJ_SK_SL_EUlSY_E0_NS1_11comp_targetILNS1_3genE2ELNS1_11target_archE906ELNS1_3gpuE6ELNS1_3repE0EEENS1_38merge_mergepath_config_static_selectorELNS0_4arch9wavefront6targetE0EEEvSK_.has_recursion, 0
	.set _ZN7rocprim17ROCPRIM_400000_NS6detail17trampoline_kernelINS0_14default_configENS1_38merge_sort_block_merge_config_selectorItNS0_10empty_typeEEEZZNS1_27merge_sort_block_merge_implIS3_N6thrust23THRUST_200600_302600_NS6detail15normal_iteratorINS9_10device_ptrItEEEEPS5_m11less_div_10ItEEE10hipError_tT0_T1_T2_jT3_P12ihipStream_tbPNSt15iterator_traitsISJ_E10value_typeEPNSP_ISK_E10value_typeEPSL_NS1_7vsmem_tEENKUlT_SJ_SK_SL_E_clIPtSE_SF_SF_EESI_SY_SJ_SK_SL_EUlSY_E0_NS1_11comp_targetILNS1_3genE2ELNS1_11target_archE906ELNS1_3gpuE6ELNS1_3repE0EEENS1_38merge_mergepath_config_static_selectorELNS0_4arch9wavefront6targetE0EEEvSK_.has_indirect_call, 0
	.section	.AMDGPU.csdata,"",@progbits
; Kernel info:
; codeLenInByte = 0
; TotalNumSgprs: 0
; NumVgprs: 0
; ScratchSize: 0
; MemoryBound: 0
; FloatMode: 240
; IeeeMode: 1
; LDSByteSize: 0 bytes/workgroup (compile time only)
; SGPRBlocks: 0
; VGPRBlocks: 0
; NumSGPRsForWavesPerEU: 1
; NumVGPRsForWavesPerEU: 1
; Occupancy: 16
; WaveLimiterHint : 0
; COMPUTE_PGM_RSRC2:SCRATCH_EN: 0
; COMPUTE_PGM_RSRC2:USER_SGPR: 6
; COMPUTE_PGM_RSRC2:TRAP_HANDLER: 0
; COMPUTE_PGM_RSRC2:TGID_X_EN: 1
; COMPUTE_PGM_RSRC2:TGID_Y_EN: 0
; COMPUTE_PGM_RSRC2:TGID_Z_EN: 0
; COMPUTE_PGM_RSRC2:TIDIG_COMP_CNT: 0
	.section	.text._ZN7rocprim17ROCPRIM_400000_NS6detail17trampoline_kernelINS0_14default_configENS1_38merge_sort_block_merge_config_selectorItNS0_10empty_typeEEEZZNS1_27merge_sort_block_merge_implIS3_N6thrust23THRUST_200600_302600_NS6detail15normal_iteratorINS9_10device_ptrItEEEEPS5_m11less_div_10ItEEE10hipError_tT0_T1_T2_jT3_P12ihipStream_tbPNSt15iterator_traitsISJ_E10value_typeEPNSP_ISK_E10value_typeEPSL_NS1_7vsmem_tEENKUlT_SJ_SK_SL_E_clIPtSE_SF_SF_EESI_SY_SJ_SK_SL_EUlSY_E0_NS1_11comp_targetILNS1_3genE9ELNS1_11target_archE1100ELNS1_3gpuE3ELNS1_3repE0EEENS1_38merge_mergepath_config_static_selectorELNS0_4arch9wavefront6targetE0EEEvSK_,"axG",@progbits,_ZN7rocprim17ROCPRIM_400000_NS6detail17trampoline_kernelINS0_14default_configENS1_38merge_sort_block_merge_config_selectorItNS0_10empty_typeEEEZZNS1_27merge_sort_block_merge_implIS3_N6thrust23THRUST_200600_302600_NS6detail15normal_iteratorINS9_10device_ptrItEEEEPS5_m11less_div_10ItEEE10hipError_tT0_T1_T2_jT3_P12ihipStream_tbPNSt15iterator_traitsISJ_E10value_typeEPNSP_ISK_E10value_typeEPSL_NS1_7vsmem_tEENKUlT_SJ_SK_SL_E_clIPtSE_SF_SF_EESI_SY_SJ_SK_SL_EUlSY_E0_NS1_11comp_targetILNS1_3genE9ELNS1_11target_archE1100ELNS1_3gpuE3ELNS1_3repE0EEENS1_38merge_mergepath_config_static_selectorELNS0_4arch9wavefront6targetE0EEEvSK_,comdat
	.protected	_ZN7rocprim17ROCPRIM_400000_NS6detail17trampoline_kernelINS0_14default_configENS1_38merge_sort_block_merge_config_selectorItNS0_10empty_typeEEEZZNS1_27merge_sort_block_merge_implIS3_N6thrust23THRUST_200600_302600_NS6detail15normal_iteratorINS9_10device_ptrItEEEEPS5_m11less_div_10ItEEE10hipError_tT0_T1_T2_jT3_P12ihipStream_tbPNSt15iterator_traitsISJ_E10value_typeEPNSP_ISK_E10value_typeEPSL_NS1_7vsmem_tEENKUlT_SJ_SK_SL_E_clIPtSE_SF_SF_EESI_SY_SJ_SK_SL_EUlSY_E0_NS1_11comp_targetILNS1_3genE9ELNS1_11target_archE1100ELNS1_3gpuE3ELNS1_3repE0EEENS1_38merge_mergepath_config_static_selectorELNS0_4arch9wavefront6targetE0EEEvSK_ ; -- Begin function _ZN7rocprim17ROCPRIM_400000_NS6detail17trampoline_kernelINS0_14default_configENS1_38merge_sort_block_merge_config_selectorItNS0_10empty_typeEEEZZNS1_27merge_sort_block_merge_implIS3_N6thrust23THRUST_200600_302600_NS6detail15normal_iteratorINS9_10device_ptrItEEEEPS5_m11less_div_10ItEEE10hipError_tT0_T1_T2_jT3_P12ihipStream_tbPNSt15iterator_traitsISJ_E10value_typeEPNSP_ISK_E10value_typeEPSL_NS1_7vsmem_tEENKUlT_SJ_SK_SL_E_clIPtSE_SF_SF_EESI_SY_SJ_SK_SL_EUlSY_E0_NS1_11comp_targetILNS1_3genE9ELNS1_11target_archE1100ELNS1_3gpuE3ELNS1_3repE0EEENS1_38merge_mergepath_config_static_selectorELNS0_4arch9wavefront6targetE0EEEvSK_
	.globl	_ZN7rocprim17ROCPRIM_400000_NS6detail17trampoline_kernelINS0_14default_configENS1_38merge_sort_block_merge_config_selectorItNS0_10empty_typeEEEZZNS1_27merge_sort_block_merge_implIS3_N6thrust23THRUST_200600_302600_NS6detail15normal_iteratorINS9_10device_ptrItEEEEPS5_m11less_div_10ItEEE10hipError_tT0_T1_T2_jT3_P12ihipStream_tbPNSt15iterator_traitsISJ_E10value_typeEPNSP_ISK_E10value_typeEPSL_NS1_7vsmem_tEENKUlT_SJ_SK_SL_E_clIPtSE_SF_SF_EESI_SY_SJ_SK_SL_EUlSY_E0_NS1_11comp_targetILNS1_3genE9ELNS1_11target_archE1100ELNS1_3gpuE3ELNS1_3repE0EEENS1_38merge_mergepath_config_static_selectorELNS0_4arch9wavefront6targetE0EEEvSK_
	.p2align	8
	.type	_ZN7rocprim17ROCPRIM_400000_NS6detail17trampoline_kernelINS0_14default_configENS1_38merge_sort_block_merge_config_selectorItNS0_10empty_typeEEEZZNS1_27merge_sort_block_merge_implIS3_N6thrust23THRUST_200600_302600_NS6detail15normal_iteratorINS9_10device_ptrItEEEEPS5_m11less_div_10ItEEE10hipError_tT0_T1_T2_jT3_P12ihipStream_tbPNSt15iterator_traitsISJ_E10value_typeEPNSP_ISK_E10value_typeEPSL_NS1_7vsmem_tEENKUlT_SJ_SK_SL_E_clIPtSE_SF_SF_EESI_SY_SJ_SK_SL_EUlSY_E0_NS1_11comp_targetILNS1_3genE9ELNS1_11target_archE1100ELNS1_3gpuE3ELNS1_3repE0EEENS1_38merge_mergepath_config_static_selectorELNS0_4arch9wavefront6targetE0EEEvSK_,@function
_ZN7rocprim17ROCPRIM_400000_NS6detail17trampoline_kernelINS0_14default_configENS1_38merge_sort_block_merge_config_selectorItNS0_10empty_typeEEEZZNS1_27merge_sort_block_merge_implIS3_N6thrust23THRUST_200600_302600_NS6detail15normal_iteratorINS9_10device_ptrItEEEEPS5_m11less_div_10ItEEE10hipError_tT0_T1_T2_jT3_P12ihipStream_tbPNSt15iterator_traitsISJ_E10value_typeEPNSP_ISK_E10value_typeEPSL_NS1_7vsmem_tEENKUlT_SJ_SK_SL_E_clIPtSE_SF_SF_EESI_SY_SJ_SK_SL_EUlSY_E0_NS1_11comp_targetILNS1_3genE9ELNS1_11target_archE1100ELNS1_3gpuE3ELNS1_3repE0EEENS1_38merge_mergepath_config_static_selectorELNS0_4arch9wavefront6targetE0EEEvSK_: ; @_ZN7rocprim17ROCPRIM_400000_NS6detail17trampoline_kernelINS0_14default_configENS1_38merge_sort_block_merge_config_selectorItNS0_10empty_typeEEEZZNS1_27merge_sort_block_merge_implIS3_N6thrust23THRUST_200600_302600_NS6detail15normal_iteratorINS9_10device_ptrItEEEEPS5_m11less_div_10ItEEE10hipError_tT0_T1_T2_jT3_P12ihipStream_tbPNSt15iterator_traitsISJ_E10value_typeEPNSP_ISK_E10value_typeEPSL_NS1_7vsmem_tEENKUlT_SJ_SK_SL_E_clIPtSE_SF_SF_EESI_SY_SJ_SK_SL_EUlSY_E0_NS1_11comp_targetILNS1_3genE9ELNS1_11target_archE1100ELNS1_3gpuE3ELNS1_3repE0EEENS1_38merge_mergepath_config_static_selectorELNS0_4arch9wavefront6targetE0EEEvSK_
; %bb.0:
	.section	.rodata,"a",@progbits
	.p2align	6, 0x0
	.amdhsa_kernel _ZN7rocprim17ROCPRIM_400000_NS6detail17trampoline_kernelINS0_14default_configENS1_38merge_sort_block_merge_config_selectorItNS0_10empty_typeEEEZZNS1_27merge_sort_block_merge_implIS3_N6thrust23THRUST_200600_302600_NS6detail15normal_iteratorINS9_10device_ptrItEEEEPS5_m11less_div_10ItEEE10hipError_tT0_T1_T2_jT3_P12ihipStream_tbPNSt15iterator_traitsISJ_E10value_typeEPNSP_ISK_E10value_typeEPSL_NS1_7vsmem_tEENKUlT_SJ_SK_SL_E_clIPtSE_SF_SF_EESI_SY_SJ_SK_SL_EUlSY_E0_NS1_11comp_targetILNS1_3genE9ELNS1_11target_archE1100ELNS1_3gpuE3ELNS1_3repE0EEENS1_38merge_mergepath_config_static_selectorELNS0_4arch9wavefront6targetE0EEEvSK_
		.amdhsa_group_segment_fixed_size 0
		.amdhsa_private_segment_fixed_size 0
		.amdhsa_kernarg_size 72
		.amdhsa_user_sgpr_count 6
		.amdhsa_user_sgpr_private_segment_buffer 1
		.amdhsa_user_sgpr_dispatch_ptr 0
		.amdhsa_user_sgpr_queue_ptr 0
		.amdhsa_user_sgpr_kernarg_segment_ptr 1
		.amdhsa_user_sgpr_dispatch_id 0
		.amdhsa_user_sgpr_flat_scratch_init 0
		.amdhsa_user_sgpr_private_segment_size 0
		.amdhsa_wavefront_size32 1
		.amdhsa_uses_dynamic_stack 0
		.amdhsa_system_sgpr_private_segment_wavefront_offset 0
		.amdhsa_system_sgpr_workgroup_id_x 1
		.amdhsa_system_sgpr_workgroup_id_y 0
		.amdhsa_system_sgpr_workgroup_id_z 0
		.amdhsa_system_sgpr_workgroup_info 0
		.amdhsa_system_vgpr_workitem_id 0
		.amdhsa_next_free_vgpr 1
		.amdhsa_next_free_sgpr 1
		.amdhsa_reserve_vcc 0
		.amdhsa_reserve_flat_scratch 0
		.amdhsa_float_round_mode_32 0
		.amdhsa_float_round_mode_16_64 0
		.amdhsa_float_denorm_mode_32 3
		.amdhsa_float_denorm_mode_16_64 3
		.amdhsa_dx10_clamp 1
		.amdhsa_ieee_mode 1
		.amdhsa_fp16_overflow 0
		.amdhsa_workgroup_processor_mode 1
		.amdhsa_memory_ordered 1
		.amdhsa_forward_progress 1
		.amdhsa_shared_vgpr_count 0
		.amdhsa_exception_fp_ieee_invalid_op 0
		.amdhsa_exception_fp_denorm_src 0
		.amdhsa_exception_fp_ieee_div_zero 0
		.amdhsa_exception_fp_ieee_overflow 0
		.amdhsa_exception_fp_ieee_underflow 0
		.amdhsa_exception_fp_ieee_inexact 0
		.amdhsa_exception_int_div_zero 0
	.end_amdhsa_kernel
	.section	.text._ZN7rocprim17ROCPRIM_400000_NS6detail17trampoline_kernelINS0_14default_configENS1_38merge_sort_block_merge_config_selectorItNS0_10empty_typeEEEZZNS1_27merge_sort_block_merge_implIS3_N6thrust23THRUST_200600_302600_NS6detail15normal_iteratorINS9_10device_ptrItEEEEPS5_m11less_div_10ItEEE10hipError_tT0_T1_T2_jT3_P12ihipStream_tbPNSt15iterator_traitsISJ_E10value_typeEPNSP_ISK_E10value_typeEPSL_NS1_7vsmem_tEENKUlT_SJ_SK_SL_E_clIPtSE_SF_SF_EESI_SY_SJ_SK_SL_EUlSY_E0_NS1_11comp_targetILNS1_3genE9ELNS1_11target_archE1100ELNS1_3gpuE3ELNS1_3repE0EEENS1_38merge_mergepath_config_static_selectorELNS0_4arch9wavefront6targetE0EEEvSK_,"axG",@progbits,_ZN7rocprim17ROCPRIM_400000_NS6detail17trampoline_kernelINS0_14default_configENS1_38merge_sort_block_merge_config_selectorItNS0_10empty_typeEEEZZNS1_27merge_sort_block_merge_implIS3_N6thrust23THRUST_200600_302600_NS6detail15normal_iteratorINS9_10device_ptrItEEEEPS5_m11less_div_10ItEEE10hipError_tT0_T1_T2_jT3_P12ihipStream_tbPNSt15iterator_traitsISJ_E10value_typeEPNSP_ISK_E10value_typeEPSL_NS1_7vsmem_tEENKUlT_SJ_SK_SL_E_clIPtSE_SF_SF_EESI_SY_SJ_SK_SL_EUlSY_E0_NS1_11comp_targetILNS1_3genE9ELNS1_11target_archE1100ELNS1_3gpuE3ELNS1_3repE0EEENS1_38merge_mergepath_config_static_selectorELNS0_4arch9wavefront6targetE0EEEvSK_,comdat
.Lfunc_end256:
	.size	_ZN7rocprim17ROCPRIM_400000_NS6detail17trampoline_kernelINS0_14default_configENS1_38merge_sort_block_merge_config_selectorItNS0_10empty_typeEEEZZNS1_27merge_sort_block_merge_implIS3_N6thrust23THRUST_200600_302600_NS6detail15normal_iteratorINS9_10device_ptrItEEEEPS5_m11less_div_10ItEEE10hipError_tT0_T1_T2_jT3_P12ihipStream_tbPNSt15iterator_traitsISJ_E10value_typeEPNSP_ISK_E10value_typeEPSL_NS1_7vsmem_tEENKUlT_SJ_SK_SL_E_clIPtSE_SF_SF_EESI_SY_SJ_SK_SL_EUlSY_E0_NS1_11comp_targetILNS1_3genE9ELNS1_11target_archE1100ELNS1_3gpuE3ELNS1_3repE0EEENS1_38merge_mergepath_config_static_selectorELNS0_4arch9wavefront6targetE0EEEvSK_, .Lfunc_end256-_ZN7rocprim17ROCPRIM_400000_NS6detail17trampoline_kernelINS0_14default_configENS1_38merge_sort_block_merge_config_selectorItNS0_10empty_typeEEEZZNS1_27merge_sort_block_merge_implIS3_N6thrust23THRUST_200600_302600_NS6detail15normal_iteratorINS9_10device_ptrItEEEEPS5_m11less_div_10ItEEE10hipError_tT0_T1_T2_jT3_P12ihipStream_tbPNSt15iterator_traitsISJ_E10value_typeEPNSP_ISK_E10value_typeEPSL_NS1_7vsmem_tEENKUlT_SJ_SK_SL_E_clIPtSE_SF_SF_EESI_SY_SJ_SK_SL_EUlSY_E0_NS1_11comp_targetILNS1_3genE9ELNS1_11target_archE1100ELNS1_3gpuE3ELNS1_3repE0EEENS1_38merge_mergepath_config_static_selectorELNS0_4arch9wavefront6targetE0EEEvSK_
                                        ; -- End function
	.set _ZN7rocprim17ROCPRIM_400000_NS6detail17trampoline_kernelINS0_14default_configENS1_38merge_sort_block_merge_config_selectorItNS0_10empty_typeEEEZZNS1_27merge_sort_block_merge_implIS3_N6thrust23THRUST_200600_302600_NS6detail15normal_iteratorINS9_10device_ptrItEEEEPS5_m11less_div_10ItEEE10hipError_tT0_T1_T2_jT3_P12ihipStream_tbPNSt15iterator_traitsISJ_E10value_typeEPNSP_ISK_E10value_typeEPSL_NS1_7vsmem_tEENKUlT_SJ_SK_SL_E_clIPtSE_SF_SF_EESI_SY_SJ_SK_SL_EUlSY_E0_NS1_11comp_targetILNS1_3genE9ELNS1_11target_archE1100ELNS1_3gpuE3ELNS1_3repE0EEENS1_38merge_mergepath_config_static_selectorELNS0_4arch9wavefront6targetE0EEEvSK_.num_vgpr, 0
	.set _ZN7rocprim17ROCPRIM_400000_NS6detail17trampoline_kernelINS0_14default_configENS1_38merge_sort_block_merge_config_selectorItNS0_10empty_typeEEEZZNS1_27merge_sort_block_merge_implIS3_N6thrust23THRUST_200600_302600_NS6detail15normal_iteratorINS9_10device_ptrItEEEEPS5_m11less_div_10ItEEE10hipError_tT0_T1_T2_jT3_P12ihipStream_tbPNSt15iterator_traitsISJ_E10value_typeEPNSP_ISK_E10value_typeEPSL_NS1_7vsmem_tEENKUlT_SJ_SK_SL_E_clIPtSE_SF_SF_EESI_SY_SJ_SK_SL_EUlSY_E0_NS1_11comp_targetILNS1_3genE9ELNS1_11target_archE1100ELNS1_3gpuE3ELNS1_3repE0EEENS1_38merge_mergepath_config_static_selectorELNS0_4arch9wavefront6targetE0EEEvSK_.num_agpr, 0
	.set _ZN7rocprim17ROCPRIM_400000_NS6detail17trampoline_kernelINS0_14default_configENS1_38merge_sort_block_merge_config_selectorItNS0_10empty_typeEEEZZNS1_27merge_sort_block_merge_implIS3_N6thrust23THRUST_200600_302600_NS6detail15normal_iteratorINS9_10device_ptrItEEEEPS5_m11less_div_10ItEEE10hipError_tT0_T1_T2_jT3_P12ihipStream_tbPNSt15iterator_traitsISJ_E10value_typeEPNSP_ISK_E10value_typeEPSL_NS1_7vsmem_tEENKUlT_SJ_SK_SL_E_clIPtSE_SF_SF_EESI_SY_SJ_SK_SL_EUlSY_E0_NS1_11comp_targetILNS1_3genE9ELNS1_11target_archE1100ELNS1_3gpuE3ELNS1_3repE0EEENS1_38merge_mergepath_config_static_selectorELNS0_4arch9wavefront6targetE0EEEvSK_.numbered_sgpr, 0
	.set _ZN7rocprim17ROCPRIM_400000_NS6detail17trampoline_kernelINS0_14default_configENS1_38merge_sort_block_merge_config_selectorItNS0_10empty_typeEEEZZNS1_27merge_sort_block_merge_implIS3_N6thrust23THRUST_200600_302600_NS6detail15normal_iteratorINS9_10device_ptrItEEEEPS5_m11less_div_10ItEEE10hipError_tT0_T1_T2_jT3_P12ihipStream_tbPNSt15iterator_traitsISJ_E10value_typeEPNSP_ISK_E10value_typeEPSL_NS1_7vsmem_tEENKUlT_SJ_SK_SL_E_clIPtSE_SF_SF_EESI_SY_SJ_SK_SL_EUlSY_E0_NS1_11comp_targetILNS1_3genE9ELNS1_11target_archE1100ELNS1_3gpuE3ELNS1_3repE0EEENS1_38merge_mergepath_config_static_selectorELNS0_4arch9wavefront6targetE0EEEvSK_.num_named_barrier, 0
	.set _ZN7rocprim17ROCPRIM_400000_NS6detail17trampoline_kernelINS0_14default_configENS1_38merge_sort_block_merge_config_selectorItNS0_10empty_typeEEEZZNS1_27merge_sort_block_merge_implIS3_N6thrust23THRUST_200600_302600_NS6detail15normal_iteratorINS9_10device_ptrItEEEEPS5_m11less_div_10ItEEE10hipError_tT0_T1_T2_jT3_P12ihipStream_tbPNSt15iterator_traitsISJ_E10value_typeEPNSP_ISK_E10value_typeEPSL_NS1_7vsmem_tEENKUlT_SJ_SK_SL_E_clIPtSE_SF_SF_EESI_SY_SJ_SK_SL_EUlSY_E0_NS1_11comp_targetILNS1_3genE9ELNS1_11target_archE1100ELNS1_3gpuE3ELNS1_3repE0EEENS1_38merge_mergepath_config_static_selectorELNS0_4arch9wavefront6targetE0EEEvSK_.private_seg_size, 0
	.set _ZN7rocprim17ROCPRIM_400000_NS6detail17trampoline_kernelINS0_14default_configENS1_38merge_sort_block_merge_config_selectorItNS0_10empty_typeEEEZZNS1_27merge_sort_block_merge_implIS3_N6thrust23THRUST_200600_302600_NS6detail15normal_iteratorINS9_10device_ptrItEEEEPS5_m11less_div_10ItEEE10hipError_tT0_T1_T2_jT3_P12ihipStream_tbPNSt15iterator_traitsISJ_E10value_typeEPNSP_ISK_E10value_typeEPSL_NS1_7vsmem_tEENKUlT_SJ_SK_SL_E_clIPtSE_SF_SF_EESI_SY_SJ_SK_SL_EUlSY_E0_NS1_11comp_targetILNS1_3genE9ELNS1_11target_archE1100ELNS1_3gpuE3ELNS1_3repE0EEENS1_38merge_mergepath_config_static_selectorELNS0_4arch9wavefront6targetE0EEEvSK_.uses_vcc, 0
	.set _ZN7rocprim17ROCPRIM_400000_NS6detail17trampoline_kernelINS0_14default_configENS1_38merge_sort_block_merge_config_selectorItNS0_10empty_typeEEEZZNS1_27merge_sort_block_merge_implIS3_N6thrust23THRUST_200600_302600_NS6detail15normal_iteratorINS9_10device_ptrItEEEEPS5_m11less_div_10ItEEE10hipError_tT0_T1_T2_jT3_P12ihipStream_tbPNSt15iterator_traitsISJ_E10value_typeEPNSP_ISK_E10value_typeEPSL_NS1_7vsmem_tEENKUlT_SJ_SK_SL_E_clIPtSE_SF_SF_EESI_SY_SJ_SK_SL_EUlSY_E0_NS1_11comp_targetILNS1_3genE9ELNS1_11target_archE1100ELNS1_3gpuE3ELNS1_3repE0EEENS1_38merge_mergepath_config_static_selectorELNS0_4arch9wavefront6targetE0EEEvSK_.uses_flat_scratch, 0
	.set _ZN7rocprim17ROCPRIM_400000_NS6detail17trampoline_kernelINS0_14default_configENS1_38merge_sort_block_merge_config_selectorItNS0_10empty_typeEEEZZNS1_27merge_sort_block_merge_implIS3_N6thrust23THRUST_200600_302600_NS6detail15normal_iteratorINS9_10device_ptrItEEEEPS5_m11less_div_10ItEEE10hipError_tT0_T1_T2_jT3_P12ihipStream_tbPNSt15iterator_traitsISJ_E10value_typeEPNSP_ISK_E10value_typeEPSL_NS1_7vsmem_tEENKUlT_SJ_SK_SL_E_clIPtSE_SF_SF_EESI_SY_SJ_SK_SL_EUlSY_E0_NS1_11comp_targetILNS1_3genE9ELNS1_11target_archE1100ELNS1_3gpuE3ELNS1_3repE0EEENS1_38merge_mergepath_config_static_selectorELNS0_4arch9wavefront6targetE0EEEvSK_.has_dyn_sized_stack, 0
	.set _ZN7rocprim17ROCPRIM_400000_NS6detail17trampoline_kernelINS0_14default_configENS1_38merge_sort_block_merge_config_selectorItNS0_10empty_typeEEEZZNS1_27merge_sort_block_merge_implIS3_N6thrust23THRUST_200600_302600_NS6detail15normal_iteratorINS9_10device_ptrItEEEEPS5_m11less_div_10ItEEE10hipError_tT0_T1_T2_jT3_P12ihipStream_tbPNSt15iterator_traitsISJ_E10value_typeEPNSP_ISK_E10value_typeEPSL_NS1_7vsmem_tEENKUlT_SJ_SK_SL_E_clIPtSE_SF_SF_EESI_SY_SJ_SK_SL_EUlSY_E0_NS1_11comp_targetILNS1_3genE9ELNS1_11target_archE1100ELNS1_3gpuE3ELNS1_3repE0EEENS1_38merge_mergepath_config_static_selectorELNS0_4arch9wavefront6targetE0EEEvSK_.has_recursion, 0
	.set _ZN7rocprim17ROCPRIM_400000_NS6detail17trampoline_kernelINS0_14default_configENS1_38merge_sort_block_merge_config_selectorItNS0_10empty_typeEEEZZNS1_27merge_sort_block_merge_implIS3_N6thrust23THRUST_200600_302600_NS6detail15normal_iteratorINS9_10device_ptrItEEEEPS5_m11less_div_10ItEEE10hipError_tT0_T1_T2_jT3_P12ihipStream_tbPNSt15iterator_traitsISJ_E10value_typeEPNSP_ISK_E10value_typeEPSL_NS1_7vsmem_tEENKUlT_SJ_SK_SL_E_clIPtSE_SF_SF_EESI_SY_SJ_SK_SL_EUlSY_E0_NS1_11comp_targetILNS1_3genE9ELNS1_11target_archE1100ELNS1_3gpuE3ELNS1_3repE0EEENS1_38merge_mergepath_config_static_selectorELNS0_4arch9wavefront6targetE0EEEvSK_.has_indirect_call, 0
	.section	.AMDGPU.csdata,"",@progbits
; Kernel info:
; codeLenInByte = 0
; TotalNumSgprs: 0
; NumVgprs: 0
; ScratchSize: 0
; MemoryBound: 0
; FloatMode: 240
; IeeeMode: 1
; LDSByteSize: 0 bytes/workgroup (compile time only)
; SGPRBlocks: 0
; VGPRBlocks: 0
; NumSGPRsForWavesPerEU: 1
; NumVGPRsForWavesPerEU: 1
; Occupancy: 16
; WaveLimiterHint : 0
; COMPUTE_PGM_RSRC2:SCRATCH_EN: 0
; COMPUTE_PGM_RSRC2:USER_SGPR: 6
; COMPUTE_PGM_RSRC2:TRAP_HANDLER: 0
; COMPUTE_PGM_RSRC2:TGID_X_EN: 1
; COMPUTE_PGM_RSRC2:TGID_Y_EN: 0
; COMPUTE_PGM_RSRC2:TGID_Z_EN: 0
; COMPUTE_PGM_RSRC2:TIDIG_COMP_CNT: 0
	.section	.text._ZN7rocprim17ROCPRIM_400000_NS6detail17trampoline_kernelINS0_14default_configENS1_38merge_sort_block_merge_config_selectorItNS0_10empty_typeEEEZZNS1_27merge_sort_block_merge_implIS3_N6thrust23THRUST_200600_302600_NS6detail15normal_iteratorINS9_10device_ptrItEEEEPS5_m11less_div_10ItEEE10hipError_tT0_T1_T2_jT3_P12ihipStream_tbPNSt15iterator_traitsISJ_E10value_typeEPNSP_ISK_E10value_typeEPSL_NS1_7vsmem_tEENKUlT_SJ_SK_SL_E_clIPtSE_SF_SF_EESI_SY_SJ_SK_SL_EUlSY_E0_NS1_11comp_targetILNS1_3genE8ELNS1_11target_archE1030ELNS1_3gpuE2ELNS1_3repE0EEENS1_38merge_mergepath_config_static_selectorELNS0_4arch9wavefront6targetE0EEEvSK_,"axG",@progbits,_ZN7rocprim17ROCPRIM_400000_NS6detail17trampoline_kernelINS0_14default_configENS1_38merge_sort_block_merge_config_selectorItNS0_10empty_typeEEEZZNS1_27merge_sort_block_merge_implIS3_N6thrust23THRUST_200600_302600_NS6detail15normal_iteratorINS9_10device_ptrItEEEEPS5_m11less_div_10ItEEE10hipError_tT0_T1_T2_jT3_P12ihipStream_tbPNSt15iterator_traitsISJ_E10value_typeEPNSP_ISK_E10value_typeEPSL_NS1_7vsmem_tEENKUlT_SJ_SK_SL_E_clIPtSE_SF_SF_EESI_SY_SJ_SK_SL_EUlSY_E0_NS1_11comp_targetILNS1_3genE8ELNS1_11target_archE1030ELNS1_3gpuE2ELNS1_3repE0EEENS1_38merge_mergepath_config_static_selectorELNS0_4arch9wavefront6targetE0EEEvSK_,comdat
	.protected	_ZN7rocprim17ROCPRIM_400000_NS6detail17trampoline_kernelINS0_14default_configENS1_38merge_sort_block_merge_config_selectorItNS0_10empty_typeEEEZZNS1_27merge_sort_block_merge_implIS3_N6thrust23THRUST_200600_302600_NS6detail15normal_iteratorINS9_10device_ptrItEEEEPS5_m11less_div_10ItEEE10hipError_tT0_T1_T2_jT3_P12ihipStream_tbPNSt15iterator_traitsISJ_E10value_typeEPNSP_ISK_E10value_typeEPSL_NS1_7vsmem_tEENKUlT_SJ_SK_SL_E_clIPtSE_SF_SF_EESI_SY_SJ_SK_SL_EUlSY_E0_NS1_11comp_targetILNS1_3genE8ELNS1_11target_archE1030ELNS1_3gpuE2ELNS1_3repE0EEENS1_38merge_mergepath_config_static_selectorELNS0_4arch9wavefront6targetE0EEEvSK_ ; -- Begin function _ZN7rocprim17ROCPRIM_400000_NS6detail17trampoline_kernelINS0_14default_configENS1_38merge_sort_block_merge_config_selectorItNS0_10empty_typeEEEZZNS1_27merge_sort_block_merge_implIS3_N6thrust23THRUST_200600_302600_NS6detail15normal_iteratorINS9_10device_ptrItEEEEPS5_m11less_div_10ItEEE10hipError_tT0_T1_T2_jT3_P12ihipStream_tbPNSt15iterator_traitsISJ_E10value_typeEPNSP_ISK_E10value_typeEPSL_NS1_7vsmem_tEENKUlT_SJ_SK_SL_E_clIPtSE_SF_SF_EESI_SY_SJ_SK_SL_EUlSY_E0_NS1_11comp_targetILNS1_3genE8ELNS1_11target_archE1030ELNS1_3gpuE2ELNS1_3repE0EEENS1_38merge_mergepath_config_static_selectorELNS0_4arch9wavefront6targetE0EEEvSK_
	.globl	_ZN7rocprim17ROCPRIM_400000_NS6detail17trampoline_kernelINS0_14default_configENS1_38merge_sort_block_merge_config_selectorItNS0_10empty_typeEEEZZNS1_27merge_sort_block_merge_implIS3_N6thrust23THRUST_200600_302600_NS6detail15normal_iteratorINS9_10device_ptrItEEEEPS5_m11less_div_10ItEEE10hipError_tT0_T1_T2_jT3_P12ihipStream_tbPNSt15iterator_traitsISJ_E10value_typeEPNSP_ISK_E10value_typeEPSL_NS1_7vsmem_tEENKUlT_SJ_SK_SL_E_clIPtSE_SF_SF_EESI_SY_SJ_SK_SL_EUlSY_E0_NS1_11comp_targetILNS1_3genE8ELNS1_11target_archE1030ELNS1_3gpuE2ELNS1_3repE0EEENS1_38merge_mergepath_config_static_selectorELNS0_4arch9wavefront6targetE0EEEvSK_
	.p2align	8
	.type	_ZN7rocprim17ROCPRIM_400000_NS6detail17trampoline_kernelINS0_14default_configENS1_38merge_sort_block_merge_config_selectorItNS0_10empty_typeEEEZZNS1_27merge_sort_block_merge_implIS3_N6thrust23THRUST_200600_302600_NS6detail15normal_iteratorINS9_10device_ptrItEEEEPS5_m11less_div_10ItEEE10hipError_tT0_T1_T2_jT3_P12ihipStream_tbPNSt15iterator_traitsISJ_E10value_typeEPNSP_ISK_E10value_typeEPSL_NS1_7vsmem_tEENKUlT_SJ_SK_SL_E_clIPtSE_SF_SF_EESI_SY_SJ_SK_SL_EUlSY_E0_NS1_11comp_targetILNS1_3genE8ELNS1_11target_archE1030ELNS1_3gpuE2ELNS1_3repE0EEENS1_38merge_mergepath_config_static_selectorELNS0_4arch9wavefront6targetE0EEEvSK_,@function
_ZN7rocprim17ROCPRIM_400000_NS6detail17trampoline_kernelINS0_14default_configENS1_38merge_sort_block_merge_config_selectorItNS0_10empty_typeEEEZZNS1_27merge_sort_block_merge_implIS3_N6thrust23THRUST_200600_302600_NS6detail15normal_iteratorINS9_10device_ptrItEEEEPS5_m11less_div_10ItEEE10hipError_tT0_T1_T2_jT3_P12ihipStream_tbPNSt15iterator_traitsISJ_E10value_typeEPNSP_ISK_E10value_typeEPSL_NS1_7vsmem_tEENKUlT_SJ_SK_SL_E_clIPtSE_SF_SF_EESI_SY_SJ_SK_SL_EUlSY_E0_NS1_11comp_targetILNS1_3genE8ELNS1_11target_archE1030ELNS1_3gpuE2ELNS1_3repE0EEENS1_38merge_mergepath_config_static_selectorELNS0_4arch9wavefront6targetE0EEEvSK_: ; @_ZN7rocprim17ROCPRIM_400000_NS6detail17trampoline_kernelINS0_14default_configENS1_38merge_sort_block_merge_config_selectorItNS0_10empty_typeEEEZZNS1_27merge_sort_block_merge_implIS3_N6thrust23THRUST_200600_302600_NS6detail15normal_iteratorINS9_10device_ptrItEEEEPS5_m11less_div_10ItEEE10hipError_tT0_T1_T2_jT3_P12ihipStream_tbPNSt15iterator_traitsISJ_E10value_typeEPNSP_ISK_E10value_typeEPSL_NS1_7vsmem_tEENKUlT_SJ_SK_SL_E_clIPtSE_SF_SF_EESI_SY_SJ_SK_SL_EUlSY_E0_NS1_11comp_targetILNS1_3genE8ELNS1_11target_archE1030ELNS1_3gpuE2ELNS1_3repE0EEENS1_38merge_mergepath_config_static_selectorELNS0_4arch9wavefront6targetE0EEEvSK_
; %bb.0:
	s_clause 0x1
	s_load_dwordx2 s[22:23], s[4:5], 0x48
	s_load_dword s0, s[4:5], 0x38
	s_add_u32 s20, s4, 0x48
	s_addc_u32 s21, s5, 0
	s_waitcnt lgkmcnt(0)
	s_mul_i32 s1, s23, s8
	s_add_i32 s1, s1, s7
	s_mul_i32 s1, s1, s22
	s_add_i32 s18, s1, s6
	s_cmp_ge_u32 s18, s0
	s_cbranch_scc1 .LBB257_75
; %bb.1:
	s_clause 0x1
	s_load_dwordx2 s[0:1], s[4:5], 0x40
	s_load_dwordx4 s[8:11], s[4:5], 0x28
	s_mov_b32 s19, 0
	s_lshl_b64 s[2:3], s[18:19], 3
	s_waitcnt lgkmcnt(0)
	s_add_u32 s0, s0, s2
	s_addc_u32 s1, s1, s3
	s_lshr_b64 s[12:13], s[10:11], 9
	s_load_dwordx4 s[0:3], s[0:1], 0x0
	s_and_b32 s7, s12, -2
	s_mov_b32 s13, s19
	s_sub_i32 s30, 0, s7
	s_lshl_b64 s[16:17], s[18:19], 10
	s_and_b32 s12, s18, s30
	s_lshl_b64 s[24:25], s[12:13], 10
	s_sub_u32 s23, s16, s24
	s_subb_u32 s28, s17, s25
	s_lshl_b64 s[26:27], s[12:13], 11
	s_load_dwordx4 s[12:15], s[4:5], 0x8
	s_add_u32 s7, s26, s10
	s_addc_u32 s26, s27, s11
	s_add_u32 s4, s7, s23
	s_addc_u32 s5, s26, s28
	s_waitcnt lgkmcnt(0)
	s_sub_u32 s23, s4, s2
	s_subb_u32 s3, s5, s3
	s_add_u32 s28, s23, 0x400
	s_addc_u32 s29, s3, 0
	v_cmp_lt_u64_e64 s3, s[8:9], s[28:29]
	s_and_b32 s3, s3, exec_lo
	s_cselect_b32 s23, s8, s28
	s_or_b32 s3, s18, s30
	s_cmp_lg_u32 s3, -1
	s_mov_b32 s3, -1
	s_cbranch_scc1 .LBB257_3
; %bb.2:
	s_sub_u32 s24, s7, s24
	s_subb_u32 s25, s26, s25
	v_cmp_lt_u64_e64 s2, s[8:9], s[24:25]
	s_and_b32 s2, s2, exec_lo
	s_cselect_b32 s2, s8, s24
	s_add_u32 s10, s24, s10
	s_addc_u32 s11, s25, s11
	v_cmp_lt_u64_e64 s7, s[8:9], s[10:11]
	s_and_b32 s7, s7, exec_lo
	s_cselect_b32 s23, s8, s10
.LBB257_3:
	s_lshr_b64 s[26:27], s[8:9], 10
	v_mov_b32_e32 v10, 0
	s_cmp_lg_u64 s[26:27], s[18:19]
	v_lshlrev_b32_e32 v11, 1, v0
	s_cselect_b32 s7, -1, 0
	s_sub_u32 s4, s4, s0
	s_subb_u32 s5, s5, s1
	global_load_dword v1, v10, s[20:21] offset:14
	v_cmp_lt_u64_e64 s10, s[8:9], s[4:5]
	s_and_b32 s10, s10, exec_lo
	s_cselect_b32 s4, s8, s4
	s_cselect_b32 s5, s9, s5
	s_sub_i32 s9, s2, s0
	s_lshl_b64 s[0:1], s[0:1], 1
	s_sub_i32 s10, s23, s4
	s_add_u32 s23, s12, s0
	s_addc_u32 s24, s13, s1
	s_lshl_b64 s[0:1], s[4:5], 1
	s_add_u32 s11, s12, s0
	s_addc_u32 s12, s13, s1
	s_cmp_lt_u32 s6, s22
	s_cselect_b32 s0, 12, 18
	s_add_u32 s0, s20, s0
	s_addc_u32 s1, s21, 0
	s_cmp_eq_u64 s[26:27], s[18:19]
	global_load_ushort v2, v10, s[0:1]
	s_waitcnt vmcnt(1)
	v_lshrrev_b32_e32 v3, 16, v1
	v_and_b32_e32 v1, 0xffff, v1
	v_mul_lo_u32 v1, v1, v3
	s_waitcnt vmcnt(0)
	v_mul_lo_u32 v12, v1, v2
	v_add_nc_u32_e32 v7, v12, v0
	v_add_nc_u32_e32 v5, v7, v12
	s_cbranch_scc1 .LBB257_5
; %bb.4:
	v_mov_b32_e32 v8, v10
	v_mov_b32_e32 v6, v10
	v_add_co_u32 v19, s0, s23, v11
	v_add_co_ci_u32_e64 v21, null, s24, 0, s0
	v_lshlrev_b64 v[1:2], 1, v[7:8]
	v_sub_co_u32 v9, vcc_lo, v0, s9
	v_mov_b32_e32 v20, v10
	v_lshlrev_b64 v[3:4], 1, v[9:10]
	v_add_co_u32 v8, s0, s23, v1
	v_add_co_ci_u32_e64 v23, null, s24, v2, s0
	v_lshlrev_b64 v[1:2], 1, v[5:6]
	v_sub_co_u32 v9, s0, v7, s9
	v_add_co_u32 v31, s5, s11, v3
	v_add_co_ci_u32_e64 v22, null, s12, v4, s5
	v_add_co_u32 v6, s1, s23, v1
	v_lshlrev_b64 v[13:14], 1, v[9:10]
	v_add_co_ci_u32_e64 v24, null, s24, v2, s1
	v_sub_co_u32 v9, s1, v5, s9
	v_cndmask_b32_e32 v22, v22, v21, vcc_lo
	v_cndmask_b32_e32 v21, v31, v19, vcc_lo
	v_lshlrev_b64 v[1:2], 1, v[9:10]
	v_add_nc_u32_e32 v9, v5, v12
	v_lshlrev_b64 v[15:16], 1, v[9:10]
	v_add_co_u32 v32, s5, s11, v1
	v_add_co_u32 v25, s2, s23, v15
	v_add_co_ci_u32_e64 v26, null, s24, v16, s2
	v_sub_co_u32 v15, s2, v9, s9
	v_add_nc_u32_e32 v9, v9, v12
	v_lshlrev_b64 v[16:17], 1, v[9:10]
	v_add_co_u32 v27, s3, s23, v16
	v_add_co_ci_u32_e64 v28, null, s24, v17, s3
	v_sub_co_u32 v16, s3, v9, s9
	v_add_nc_u32_e32 v9, v9, v12
	v_lshlrev_b64 v[17:18], 1, v[9:10]
	v_add_co_u32 v29, s4, s23, v17
	v_add_co_ci_u32_e64 v30, null, s24, v18, s4
	v_sub_co_u32 v18, s4, v9, s9
	v_add_nc_u32_e32 v9, v9, v12
	v_mov_b32_e32 v17, v10
	v_lshlrev_b64 v[3:4], 1, v[9:10]
	v_lshlrev_b64 v[16:17], 1, v[16:17]
	v_add_co_u32 v31, vcc_lo, s23, v3
	v_add_co_ci_u32_e64 v4, null, s24, v4, vcc_lo
	v_sub_co_u32 v19, vcc_lo, v9, s9
	v_add_co_ci_u32_e64 v3, null, s12, v2, s5
	v_add_co_u32 v16, s5, s11, v16
	v_lshlrev_b64 v[1:2], 1, v[19:20]
	v_add_co_ci_u32_e64 v17, null, s12, v17, s5
	v_cndmask_b32_e64 v3, v3, v24, s1
	v_cndmask_b32_e64 v16, v16, v27, s3
	v_add_nc_u32_e32 v9, v9, v12
	v_add_co_u32 v1, s5, s11, v1
	v_add_co_ci_u32_e64 v19, null, s12, v2, s5
	v_cndmask_b32_e64 v2, v32, v6, s1
	v_cndmask_b32_e64 v17, v17, v28, s3
	s_add_i32 s1, s9, s10
	v_cndmask_b32_e32 v20, v19, v4, vcc_lo
	v_cndmask_b32_e32 v19, v1, v31, vcc_lo
	global_load_ushort v1, v[21:22], off
	global_load_ushort v2, v[2:3], off
	;; [unrolled: 1-line block ×4, first 2 shown]
	v_add_co_u32 v6, vcc_lo, s11, v13
	v_add_co_ci_u32_e64 v17, null, s12, v14, vcc_lo
	v_lshlrev_b64 v[13:14], 1, v[9:10]
	v_mov_b32_e32 v19, v10
	v_mov_b32_e32 v16, v10
	v_cndmask_b32_e64 v20, v6, v8, s0
	v_cndmask_b32_e64 v21, v17, v23, s0
	v_add_co_u32 v6, vcc_lo, s23, v13
	v_lshlrev_b64 v[17:18], 1, v[18:19]
	v_add_co_ci_u32_e64 v19, null, s24, v14, vcc_lo
	v_sub_co_u32 v9, vcc_lo, v9, s9
	v_lshlrev_b64 v[15:16], 1, v[15:16]
	v_lshlrev_b64 v[8:9], 1, v[9:10]
	v_add_co_u32 v13, s0, s11, v15
	v_add_co_ci_u32_e64 v14, null, s12, v16, s0
	v_add_co_u32 v10, s0, s11, v17
	v_add_co_ci_u32_e64 v15, null, s12, v18, s0
	;; [unrolled: 2-line block ×3, first 2 shown]
	v_cndmask_b32_e64 v9, v14, v26, s2
	v_cndmask_b32_e64 v8, v13, v25, s2
	;; [unrolled: 1-line block ×4, first 2 shown]
	v_cndmask_b32_e32 v16, v16, v19, vcc_lo
	v_cndmask_b32_e32 v15, v17, v6, vcc_lo
	global_load_short_d16_hi v1, v[20:21], off
	global_load_short_d16_hi v2, v[8:9], off
	;; [unrolled: 1-line block ×4, first 2 shown]
	s_cbranch_execz .LBB257_6
	s_branch .LBB257_21
.LBB257_5:
                                        ; implicit-def: $vgpr1_vgpr2_vgpr3_vgpr4
                                        ; implicit-def: $sgpr1
	s_andn2_b32 vcc_lo, exec_lo, s3
	s_cbranch_vccnz .LBB257_21
.LBB257_6:
	s_waitcnt vmcnt(3)
	v_mov_b32_e32 v1, 0
	s_add_i32 s1, s9, s10
	s_mov_b32 s2, exec_lo
	s_waitcnt vmcnt(2)
	v_mov_b32_e32 v2, v1
	s_waitcnt vmcnt(1)
	v_mov_b32_e32 v3, v1
	;; [unrolled: 2-line block ×3, first 2 shown]
	v_cmpx_gt_u32_e64 s1, v0
	s_cbranch_execnz .LBB257_76
; %bb.7:
	s_or_b32 exec_lo, exec_lo, s2
	s_mov_b32 s2, exec_lo
	v_cmpx_gt_u32_e64 s1, v7
	s_cbranch_execnz .LBB257_77
.LBB257_8:
	s_or_b32 exec_lo, exec_lo, s2
	s_mov_b32 s2, exec_lo
	v_cmpx_gt_u32_e64 s1, v5
	s_cbranch_execz .LBB257_10
.LBB257_9:
	v_mov_b32_e32 v6, 0
	v_lshlrev_b64 v[7:8], 1, v[5:6]
	v_mov_b32_e32 v9, v6
	v_add_co_u32 v10, vcc_lo, s23, v7
	v_add_co_ci_u32_e64 v13, null, s24, v8, vcc_lo
	v_sub_co_u32 v8, vcc_lo, v5, s9
	v_lshlrev_b64 v[6:7], 1, v[8:9]
	v_add_co_u32 v6, s0, s11, v6
	v_add_co_ci_u32_e64 v7, null, s12, v7, s0
	v_cndmask_b32_e32 v6, v6, v10, vcc_lo
	v_cndmask_b32_e32 v7, v7, v13, vcc_lo
	global_load_short_d16 v2, v[6:7], off
.LBB257_10:
	s_or_b32 exec_lo, exec_lo, s2
	v_add_nc_u32_e32 v5, v5, v12
	s_mov_b32 s2, exec_lo
	v_cmpx_gt_u32_e64 s1, v5
	s_cbranch_execz .LBB257_12
; %bb.11:
	v_mov_b32_e32 v6, 0
	v_lshlrev_b64 v[7:8], 1, v[5:6]
	v_mov_b32_e32 v9, v6
	v_add_co_u32 v10, vcc_lo, s23, v7
	v_add_co_ci_u32_e64 v13, null, s24, v8, vcc_lo
	v_sub_co_u32 v8, vcc_lo, v5, s9
	v_lshlrev_b64 v[6:7], 1, v[8:9]
	v_add_co_u32 v6, s0, s11, v6
	v_add_co_ci_u32_e64 v7, null, s12, v7, s0
	v_cndmask_b32_e32 v6, v6, v10, vcc_lo
	v_cndmask_b32_e32 v7, v7, v13, vcc_lo
	global_load_short_d16_hi v2, v[6:7], off
.LBB257_12:
	s_or_b32 exec_lo, exec_lo, s2
	v_add_nc_u32_e32 v5, v5, v12
	s_mov_b32 s2, exec_lo
	v_cmpx_gt_u32_e64 s1, v5
	s_cbranch_execz .LBB257_14
; %bb.13:
	v_mov_b32_e32 v6, 0
	v_lshlrev_b64 v[7:8], 1, v[5:6]
	v_mov_b32_e32 v9, v6
	v_add_co_u32 v10, vcc_lo, s23, v7
	v_add_co_ci_u32_e64 v13, null, s24, v8, vcc_lo
	v_sub_co_u32 v8, vcc_lo, v5, s9
	v_lshlrev_b64 v[6:7], 1, v[8:9]
	v_add_co_u32 v6, s0, s11, v6
	v_add_co_ci_u32_e64 v7, null, s12, v7, s0
	v_cndmask_b32_e32 v6, v6, v10, vcc_lo
	v_cndmask_b32_e32 v7, v7, v13, vcc_lo
	global_load_short_d16 v3, v[6:7], off
.LBB257_14:
	s_or_b32 exec_lo, exec_lo, s2
	v_add_nc_u32_e32 v5, v5, v12
	s_mov_b32 s2, exec_lo
	v_cmpx_gt_u32_e64 s1, v5
	s_cbranch_execz .LBB257_16
; %bb.15:
	v_mov_b32_e32 v6, 0
	v_lshlrev_b64 v[7:8], 1, v[5:6]
	v_mov_b32_e32 v9, v6
	v_add_co_u32 v10, vcc_lo, s23, v7
	v_add_co_ci_u32_e64 v13, null, s24, v8, vcc_lo
	v_sub_co_u32 v8, vcc_lo, v5, s9
	v_lshlrev_b64 v[6:7], 1, v[8:9]
	v_add_co_u32 v6, s0, s11, v6
	v_add_co_ci_u32_e64 v7, null, s12, v7, s0
	v_cndmask_b32_e32 v6, v6, v10, vcc_lo
	v_cndmask_b32_e32 v7, v7, v13, vcc_lo
	global_load_short_d16_hi v3, v[6:7], off
.LBB257_16:
	s_or_b32 exec_lo, exec_lo, s2
	v_add_nc_u32_e32 v5, v5, v12
	s_mov_b32 s2, exec_lo
	v_cmpx_gt_u32_e64 s1, v5
	s_cbranch_execz .LBB257_18
; %bb.17:
	v_mov_b32_e32 v6, 0
	v_lshlrev_b64 v[7:8], 1, v[5:6]
	v_mov_b32_e32 v9, v6
	v_add_co_u32 v10, vcc_lo, s23, v7
	v_add_co_ci_u32_e64 v13, null, s24, v8, vcc_lo
	v_sub_co_u32 v8, vcc_lo, v5, s9
	v_lshlrev_b64 v[6:7], 1, v[8:9]
	v_add_co_u32 v6, s0, s11, v6
	v_add_co_ci_u32_e64 v7, null, s12, v7, s0
	v_cndmask_b32_e32 v6, v6, v10, vcc_lo
	v_cndmask_b32_e32 v7, v7, v13, vcc_lo
	global_load_short_d16 v4, v[6:7], off
.LBB257_18:
	s_or_b32 exec_lo, exec_lo, s2
	v_add_nc_u32_e32 v5, v5, v12
	s_mov_b32 s2, exec_lo
	v_cmpx_gt_u32_e64 s1, v5
	s_cbranch_execz .LBB257_20
; %bb.19:
	v_mov_b32_e32 v6, 0
	v_lshlrev_b64 v[7:8], 1, v[5:6]
	v_add_co_u32 v7, vcc_lo, s23, v7
	v_add_co_ci_u32_e64 v8, null, s24, v8, vcc_lo
	v_sub_co_u32 v5, vcc_lo, v5, s9
	v_lshlrev_b64 v[5:6], 1, v[5:6]
	v_add_co_u32 v5, s0, s11, v5
	v_add_co_ci_u32_e64 v6, null, s12, v6, s0
	v_cndmask_b32_e32 v5, v5, v7, vcc_lo
	v_cndmask_b32_e32 v6, v6, v8, vcc_lo
	global_load_short_d16_hi v4, v[5:6], off
.LBB257_20:
	s_or_b32 exec_lo, exec_lo, s2
.LBB257_21:
	v_lshlrev_b32_e32 v5, 3, v0
	s_waitcnt vmcnt(0)
	v_lshrrev_b32_e32 v7, 16, v1
	v_lshrrev_b32_e32 v9, 16, v2
	;; [unrolled: 1-line block ×4, first 2 shown]
	v_min_u32_e32 v8, s1, v5
	s_mov_b32 s0, exec_lo
	ds_write_b16 v11, v1
	ds_write_b16 v11, v2 offset:512
	ds_write_b16 v11, v7 offset:256
	;; [unrolled: 1-line block ×3, first 2 shown]
	v_sub_nc_u32_e64 v6, v8, s10 clamp
	v_min_u32_e32 v10, s9, v8
	ds_write_b16 v11, v3 offset:1024
	ds_write_b16 v11, v14 offset:1280
	ds_write_b16 v11, v4 offset:1536
	ds_write_b16 v11, v13 offset:1792
	s_waitcnt lgkmcnt(0)
	s_barrier
	buffer_gl0_inv
	v_cmpx_lt_u32_e64 v6, v10
	s_cbranch_execz .LBB257_25
; %bb.22:
	v_lshlrev_b32_e32 v12, 1, v8
	s_mov_b32 s2, 0
	v_lshl_add_u32 v12, s9, 1, v12
	.p2align	6
.LBB257_23:                             ; =>This Inner Loop Header: Depth=1
	v_add_nc_u32_e32 v15, v10, v6
	v_lshrrev_b32_e32 v16, 1, v15
	v_and_b32_e32 v15, -2, v15
	v_not_b32_e32 v17, v16
	v_add_nc_u32_e32 v18, 1, v16
	v_lshl_add_u32 v17, v17, 1, v12
	ds_read_u16 v15, v15
	ds_read_u16 v17, v17
	s_waitcnt lgkmcnt(1)
	v_mul_u32_u24_e32 v15, 0xcccd, v15
	s_waitcnt lgkmcnt(0)
	v_mul_u32_u24_e32 v17, 0xcccd, v17
	v_lshrrev_b32_e32 v15, 19, v15
	v_lshrrev_b32_e32 v17, 19, v17
	v_cmp_lt_u16_e32 vcc_lo, v17, v15
	v_cndmask_b32_e32 v10, v10, v16, vcc_lo
	v_cndmask_b32_e32 v6, v18, v6, vcc_lo
	v_cmp_ge_u32_e32 vcc_lo, v6, v10
	s_or_b32 s2, vcc_lo, s2
	s_andn2_b32 exec_lo, exec_lo, s2
	s_cbranch_execnz .LBB257_23
; %bb.24:
	s_or_b32 exec_lo, exec_lo, s2
.LBB257_25:
	s_or_b32 exec_lo, exec_lo, s0
	v_sub_nc_u32_e32 v8, v8, v6
	v_cmp_ge_u32_e32 vcc_lo, s9, v6
	v_add_nc_u32_e32 v8, s9, v8
	v_cmp_ge_u32_e64 s0, s1, v8
	s_or_b32 s0, vcc_lo, s0
	s_and_saveexec_b32 s2, s0
	s_cbranch_execz .LBB257_61
; %bb.26:
	s_mov_b32 s3, exec_lo
	v_cmp_le_u32_e32 vcc_lo, s9, v6
                                        ; implicit-def: $vgpr1
	v_cmpx_gt_u32_e64 s9, v6
; %bb.27:
	v_lshlrev_b32_e32 v1, 1, v6
	ds_read_u16 v1, v1
; %bb.28:
	s_or_b32 exec_lo, exec_lo, s3
	v_cmp_le_u32_e64 s3, s1, v8
	s_mov_b32 s4, exec_lo
                                        ; implicit-def: $vgpr4
	v_cmpx_gt_u32_e64 s1, v8
; %bb.29:
	v_lshlrev_b32_e32 v2, 1, v8
	ds_read_u16 v4, v2
; %bb.30:
	s_or_b32 exec_lo, exec_lo, s4
	s_nor_b32 s4, vcc_lo, s3
	s_and_saveexec_b32 s0, s4
	s_cbranch_execz .LBB257_32
; %bb.31:
	v_mov_b32_e32 v2, 0xcccd
	s_andn2_b32 s3, s3, exec_lo
	s_waitcnt lgkmcnt(0)
	v_mul_u32_u24_sdwa v3, v4, v2 dst_sel:DWORD dst_unused:UNUSED_PAD src0_sel:WORD_0 src1_sel:DWORD
	v_mul_u32_u24_sdwa v2, v1, v2 dst_sel:DWORD dst_unused:UNUSED_PAD src0_sel:WORD_0 src1_sel:DWORD
	v_lshrrev_b32_e32 v3, 19, v3
	v_lshrrev_b32_e32 v2, 19, v2
	v_cmp_ge_u16_e32 vcc_lo, v3, v2
	s_and_b32 s4, vcc_lo, exec_lo
	s_or_b32 s3, s3, s4
.LBB257_32:
	s_or_b32 exec_lo, exec_lo, s0
	v_mov_b32_e32 v2, s9
	v_cndmask_b32_e64 v3, v8, v6, s3
	s_mov_b32 s4, -1
	s_mov_b32 s0, -1
	s_mov_b32 s5, exec_lo
	v_cndmask_b32_e64 v2, s1, v2, s3
	v_add_nc_u32_e32 v3, 1, v3
	v_add_nc_u32_e32 v2, -1, v2
	v_min_u32_e32 v2, v3, v2
	v_lshlrev_b32_e32 v2, 1, v2
	ds_read_u16 v7, v2
	v_cndmask_b32_e64 v2, v3, v8, s3
	v_cndmask_b32_e64 v3, v6, v3, s3
	s_waitcnt lgkmcnt(0)
	v_cndmask_b32_e64 v6, v7, v4, s3
	v_cndmask_b32_e64 v7, v1, v7, s3
	v_cmpx_gt_u32_e64 s1, v2
	s_cbranch_execz .LBB257_36
; %bb.33:
	s_mov_b32 s6, 0
	s_mov_b32 s0, exec_lo
	v_cmpx_gt_u32_e64 s9, v3
; %bb.34:
	v_mov_b32_e32 v8, 0xcccd
	v_mul_u32_u24_sdwa v9, v6, v8 dst_sel:DWORD dst_unused:UNUSED_PAD src0_sel:WORD_0 src1_sel:DWORD
	v_mul_u32_u24_sdwa v8, v7, v8 dst_sel:DWORD dst_unused:UNUSED_PAD src0_sel:WORD_0 src1_sel:DWORD
	v_lshrrev_b32_e32 v9, 19, v9
	v_lshrrev_b32_e32 v8, 19, v8
	v_cmp_ge_u16_e32 vcc_lo, v9, v8
	s_and_b32 s6, vcc_lo, exec_lo
; %bb.35:
	s_or_b32 exec_lo, exec_lo, s0
	s_orn2_b32 s0, s6, exec_lo
.LBB257_36:
	s_or_b32 exec_lo, exec_lo, s5
	v_mov_b32_e32 v8, s9
	v_cndmask_b32_e64 v9, v2, v3, s0
	s_mov_b32 s5, exec_lo
	v_cndmask_b32_e64 v8, s1, v8, s0
	v_add_nc_u32_e32 v10, 1, v9
	v_add_nc_u32_e32 v8, -1, v8
	v_cndmask_b32_e64 v9, v10, v2, s0
	v_cndmask_b32_e64 v3, v3, v10, s0
	v_min_u32_e32 v8, v10, v8
	v_lshlrev_b32_e32 v8, 1, v8
	ds_read_u16 v8, v8
	s_waitcnt lgkmcnt(0)
	v_cndmask_b32_e64 v2, v8, v6, s0
	v_cndmask_b32_e64 v8, v7, v8, s0
	v_cmpx_gt_u32_e64 s1, v9
	s_cbranch_execz .LBB257_40
; %bb.37:
	s_mov_b32 s6, 0
	s_mov_b32 s4, exec_lo
	v_cmpx_gt_u32_e64 s9, v3
; %bb.38:
	v_mov_b32_e32 v10, 0xcccd
	v_mul_u32_u24_sdwa v12, v2, v10 dst_sel:DWORD dst_unused:UNUSED_PAD src0_sel:WORD_0 src1_sel:DWORD
	v_mul_u32_u24_sdwa v10, v8, v10 dst_sel:DWORD dst_unused:UNUSED_PAD src0_sel:WORD_0 src1_sel:DWORD
	v_lshrrev_b32_e32 v12, 19, v12
	v_lshrrev_b32_e32 v10, 19, v10
	v_cmp_ge_u16_e32 vcc_lo, v12, v10
	s_and_b32 s6, vcc_lo, exec_lo
; %bb.39:
	s_or_b32 exec_lo, exec_lo, s4
	s_orn2_b32 s4, s6, exec_lo
.LBB257_40:
	s_or_b32 exec_lo, exec_lo, s5
	v_mov_b32_e32 v10, s9
	v_cndmask_b32_e64 v12, v9, v3, s4
	s_mov_b32 s6, -1
	s_mov_b32 s5, -1
	s_mov_b32 s10, exec_lo
	v_cndmask_b32_e64 v10, s1, v10, s4
	v_add_nc_u32_e32 v13, 1, v12
	v_add_nc_u32_e32 v10, -1, v10
	v_cndmask_b32_e64 v12, v13, v9, s4
	v_cndmask_b32_e64 v3, v3, v13, s4
	v_min_u32_e32 v10, v13, v10
	v_lshlrev_b32_e32 v10, 1, v10
	ds_read_u16 v10, v10
	s_waitcnt lgkmcnt(0)
	v_cndmask_b32_e64 v9, v10, v2, s4
	v_cndmask_b32_e64 v10, v8, v10, s4
	v_cmpx_gt_u32_e64 s1, v12
	s_cbranch_execz .LBB257_44
; %bb.41:
	s_mov_b32 s11, 0
	s_mov_b32 s5, exec_lo
	v_cmpx_gt_u32_e64 s9, v3
; %bb.42:
	v_mov_b32_e32 v13, 0xcccd
	v_mul_u32_u24_sdwa v14, v9, v13 dst_sel:DWORD dst_unused:UNUSED_PAD src0_sel:WORD_0 src1_sel:DWORD
	v_mul_u32_u24_sdwa v13, v10, v13 dst_sel:DWORD dst_unused:UNUSED_PAD src0_sel:WORD_0 src1_sel:DWORD
	v_lshrrev_b32_e32 v14, 19, v14
	v_lshrrev_b32_e32 v13, 19, v13
	v_cmp_ge_u16_e32 vcc_lo, v14, v13
	s_and_b32 s11, vcc_lo, exec_lo
; %bb.43:
	s_or_b32 exec_lo, exec_lo, s5
	s_orn2_b32 s5, s11, exec_lo
.LBB257_44:
	s_or_b32 exec_lo, exec_lo, s10
	v_mov_b32_e32 v13, s9
	v_cndmask_b32_e64 v14, v12, v3, s5
	s_mov_b32 s10, exec_lo
	v_cndmask_b32_e64 v13, s1, v13, s5
	v_add_nc_u32_e32 v14, 1, v14
	v_add_nc_u32_e32 v13, -1, v13
	v_min_u32_e32 v13, v14, v13
	v_lshlrev_b32_e32 v13, 1, v13
	ds_read_u16 v15, v13
	v_cndmask_b32_e64 v13, v14, v12, s5
	v_cndmask_b32_e64 v14, v3, v14, s5
	s_waitcnt lgkmcnt(0)
	v_cndmask_b32_e64 v3, v15, v9, s5
	v_cndmask_b32_e64 v12, v10, v15, s5
	v_cmpx_gt_u32_e64 s1, v13
	s_cbranch_execz .LBB257_48
; %bb.45:
	s_mov_b32 s11, 0
	s_mov_b32 s6, exec_lo
	v_cmpx_gt_u32_e64 s9, v14
; %bb.46:
	v_mov_b32_e32 v15, 0xcccd
	v_mul_u32_u24_sdwa v16, v3, v15 dst_sel:DWORD dst_unused:UNUSED_PAD src0_sel:WORD_0 src1_sel:DWORD
	v_mul_u32_u24_sdwa v15, v12, v15 dst_sel:DWORD dst_unused:UNUSED_PAD src0_sel:WORD_0 src1_sel:DWORD
	v_lshrrev_b32_e32 v16, 19, v16
	v_lshrrev_b32_e32 v15, 19, v15
	v_cmp_ge_u16_e32 vcc_lo, v16, v15
	s_and_b32 s11, vcc_lo, exec_lo
; %bb.47:
	s_or_b32 exec_lo, exec_lo, s6
	s_orn2_b32 s6, s11, exec_lo
.LBB257_48:
	s_or_b32 exec_lo, exec_lo, s10
	v_mov_b32_e32 v15, s9
	v_cndmask_b32_e64 v16, v13, v14, s6
	s_mov_b32 s10, -1
	s_mov_b32 s11, -1
	s_mov_b32 s12, exec_lo
	v_cndmask_b32_e64 v15, s1, v15, s6
	v_add_nc_u32_e32 v16, 1, v16
	v_add_nc_u32_e32 v15, -1, v15
	v_cndmask_b32_e64 v13, v16, v13, s6
	v_min_u32_e32 v15, v16, v15
	v_cndmask_b32_e64 v16, v14, v16, s6
	v_lshlrev_b32_e32 v15, 1, v15
	ds_read_u16 v15, v15
	s_waitcnt lgkmcnt(0)
	v_cndmask_b32_e64 v14, v15, v3, s6
	v_cndmask_b32_e64 v15, v12, v15, s6
	v_cmpx_gt_u32_e64 s1, v13
	s_cbranch_execz .LBB257_52
; %bb.49:
	s_mov_b32 s13, 0
	s_mov_b32 s11, exec_lo
	v_cmpx_gt_u32_e64 s9, v16
; %bb.50:
	v_mov_b32_e32 v17, 0xcccd
	v_mul_u32_u24_sdwa v18, v14, v17 dst_sel:DWORD dst_unused:UNUSED_PAD src0_sel:WORD_0 src1_sel:DWORD
	v_mul_u32_u24_sdwa v17, v15, v17 dst_sel:DWORD dst_unused:UNUSED_PAD src0_sel:WORD_0 src1_sel:DWORD
	v_lshrrev_b32_e32 v18, 19, v18
	v_lshrrev_b32_e32 v17, 19, v17
	v_cmp_ge_u16_e32 vcc_lo, v18, v17
	s_and_b32 s13, vcc_lo, exec_lo
; %bb.51:
	s_or_b32 exec_lo, exec_lo, s11
	s_orn2_b32 s11, s13, exec_lo
.LBB257_52:
	s_or_b32 exec_lo, exec_lo, s12
	v_mov_b32_e32 v17, s9
	v_cndmask_b32_e64 v18, v13, v16, s11
	s_mov_b32 s12, exec_lo
	v_cndmask_b32_e64 v17, s1, v17, s11
	v_add_nc_u32_e32 v18, 1, v18
	v_add_nc_u32_e32 v17, -1, v17
	v_cndmask_b32_e64 v13, v18, v13, s11
	v_min_u32_e32 v17, v18, v17
	v_cndmask_b32_e64 v18, v16, v18, s11
	v_lshlrev_b32_e32 v17, 1, v17
	ds_read_u16 v17, v17
	s_waitcnt lgkmcnt(0)
	v_cndmask_b32_e64 v16, v17, v14, s11
	v_cndmask_b32_e64 v17, v15, v17, s11
	v_cmpx_gt_u32_e64 s1, v13
	s_cbranch_execz .LBB257_56
; %bb.53:
	s_mov_b32 s13, 0
	s_mov_b32 s10, exec_lo
	v_cmpx_gt_u32_e64 s9, v18
; %bb.54:
	v_mov_b32_e32 v19, 0xcccd
	v_mul_u32_u24_sdwa v20, v16, v19 dst_sel:DWORD dst_unused:UNUSED_PAD src0_sel:WORD_0 src1_sel:DWORD
	v_mul_u32_u24_sdwa v19, v17, v19 dst_sel:DWORD dst_unused:UNUSED_PAD src0_sel:WORD_0 src1_sel:DWORD
	v_lshrrev_b32_e32 v20, 19, v20
	v_lshrrev_b32_e32 v19, 19, v19
	v_cmp_ge_u16_e32 vcc_lo, v20, v19
	s_and_b32 s13, vcc_lo, exec_lo
; %bb.55:
	s_or_b32 exec_lo, exec_lo, s10
	s_orn2_b32 s10, s13, exec_lo
.LBB257_56:
	s_or_b32 exec_lo, exec_lo, s12
	v_mov_b32_e32 v19, s9
	v_cndmask_b32_e64 v20, v13, v18, s10
	v_cndmask_b32_e64 v21, s1, v19, s10
	v_add_nc_u32_e32 v19, 1, v20
	v_add_nc_u32_e32 v20, -1, v21
	v_cndmask_b32_e64 v21, v19, v13, s10
	v_min_u32_e32 v20, v19, v20
	v_cmp_gt_u32_e32 vcc_lo, s1, v21
	v_lshlrev_b32_e32 v20, 1, v20
	ds_read_u16 v20, v20
	s_waitcnt lgkmcnt(0)
	v_cndmask_b32_e64 v13, v17, v20, s10
	s_and_saveexec_b32 s1, vcc_lo
	s_cbranch_execz .LBB257_60
; %bb.57:
	v_cndmask_b32_e64 v19, v18, v19, s10
	v_cndmask_b32_e64 v18, v20, v16, s10
	v_cmp_gt_u32_e32 vcc_lo, s9, v19
	s_and_saveexec_b32 s9, vcc_lo
	s_cbranch_execz .LBB257_59
; %bb.58:
	v_mov_b32_e32 v19, 0xcccd
	v_mul_u32_u24_sdwa v20, v18, v19 dst_sel:DWORD dst_unused:UNUSED_PAD src0_sel:WORD_0 src1_sel:DWORD
	v_mul_u32_u24_sdwa v19, v13, v19 dst_sel:DWORD dst_unused:UNUSED_PAD src0_sel:WORD_0 src1_sel:DWORD
	v_lshrrev_b32_e32 v20, 19, v20
	v_lshrrev_b32_e32 v19, 19, v19
	v_cmp_lt_u16_e32 vcc_lo, v20, v19
	v_cndmask_b32_e32 v18, v13, v18, vcc_lo
.LBB257_59:
	s_or_b32 exec_lo, exec_lo, s9
	v_mov_b32_e32 v13, v18
.LBB257_60:
	s_or_b32 exec_lo, exec_lo, s1
	v_cndmask_b32_e64 v14, v14, v15, s11
	v_cndmask_b32_e64 v3, v3, v12, s6
	;; [unrolled: 1-line block ×7, first 2 shown]
.LBB257_61:
	s_or_b32 exec_lo, exec_lo, s2
	v_lshrrev_b32_e32 v6, 1, v0
	v_or_b32_e32 v8, 0x80, v0
	v_perm_b32 v2, v9, v2, 0x5040100
	v_perm_b32 v1, v7, v1, 0x5040100
	v_lshrrev_b32_e32 v7, 4, v0
	v_and_b32_e32 v6, 60, v6
	v_lshrrev_b32_e32 v9, 4, v8
	v_perm_b32 v4, v13, v4, 0x5040100
	v_perm_b32 v3, v14, v3, 0x5040100
	v_and_b32_e32 v7, 4, v7
	v_lshl_add_u32 v5, v5, 1, v6
	v_or_b32_e32 v6, 0x100, v0
	v_and_b32_e32 v9, 12, v9
	s_barrier
	buffer_gl0_inv
	v_lshrrev_b32_e32 v10, 4, v6
	v_add_nc_u32_e32 v12, v9, v11
	v_or_b32_e32 v9, 0x180, v0
	s_barrier
	buffer_gl0_inv
	v_and_b32_e32 v13, 20, v10
	ds_write2_b32 v5, v1, v2 offset1:1
	ds_write2_b32 v5, v3, v4 offset0:2 offset1:3
	v_add_nc_u32_e32 v10, v7, v11
	v_or_b32_e32 v7, 0x200, v0
	v_or_b32_e32 v5, 0x280, v0
	;; [unrolled: 1-line block ×4, first 2 shown]
	v_lshrrev_b32_e32 v1, 4, v9
	v_lshrrev_b32_e32 v2, 4, v7
	;; [unrolled: 1-line block ×5, first 2 shown]
	v_and_b32_e32 v1, 28, v1
	s_lshl_b64 s[0:1], s[16:17], 1
	v_and_b32_e32 v2, 36, v2
	v_and_b32_e32 v17, 44, v14
	;; [unrolled: 1-line block ×4, first 2 shown]
	s_add_u32 s0, s14, s0
	s_addc_u32 s1, s15, s1
	v_add_nc_u32_e32 v14, v1, v11
	v_add_co_u32 v1, s0, s0, v11
	v_add_nc_u32_e32 v13, v13, v11
	v_add_nc_u32_e32 v15, v2, v11
	;; [unrolled: 1-line block ×5, first 2 shown]
	v_add_co_ci_u32_e64 v2, null, s1, 0, s0
	s_and_b32 vcc_lo, exec_lo, s7
	s_waitcnt lgkmcnt(0)
	s_cbranch_vccz .LBB257_63
; %bb.62:
	s_barrier
	buffer_gl0_inv
	ds_read_u16 v19, v17 offset:1536
	s_mov_b32 s0, -1
	s_waitcnt lgkmcnt(0)
	v_mov_b32_e32 v11, v19
	ds_read_u16 v20, v10
	ds_read_u16 v21, v12 offset:256
	ds_read_u16 v22, v13 offset:512
	;; [unrolled: 1-line block ×5, first 2 shown]
	ds_read_u16_d16_hi v11, v18 offset:1792
	s_waitcnt lgkmcnt(6)
	global_store_short v[1:2], v20, off
	s_waitcnt lgkmcnt(5)
	global_store_short v[1:2], v21, off offset:256
	s_waitcnt lgkmcnt(4)
	global_store_short v[1:2], v22, off offset:512
	;; [unrolled: 2-line block ×5, first 2 shown]
	global_store_short v[1:2], v19, off offset:1536
	s_cbranch_execz .LBB257_64
	s_branch .LBB257_73
.LBB257_63:
	s_mov_b32 s0, 0
                                        ; implicit-def: $vgpr11
.LBB257_64:
	s_barrier
	s_waitcnt lgkmcnt(0)
	s_waitcnt_vscnt null, 0x0
	buffer_gl0_inv
	ds_read_u16 v21, v10
	ds_read_u16 v20, v12 offset:256
	ds_read_u16 v19, v13 offset:512
	;; [unrolled: 1-line block ×7, first 2 shown]
	s_sub_i32 s0, s8, s16
	s_mov_b32 s1, exec_lo
	v_cmpx_gt_u32_e64 s0, v0
	s_cbranch_execnz .LBB257_78
; %bb.65:
	s_or_b32 exec_lo, exec_lo, s1
	s_mov_b32 s1, exec_lo
	v_cmpx_gt_u32_e64 s0, v8
	s_cbranch_execnz .LBB257_79
.LBB257_66:
	s_or_b32 exec_lo, exec_lo, s1
	s_mov_b32 s1, exec_lo
	v_cmpx_gt_u32_e64 s0, v6
	s_cbranch_execnz .LBB257_80
.LBB257_67:
	s_or_b32 exec_lo, exec_lo, s1
	s_mov_b32 s1, exec_lo
	v_cmpx_gt_u32_e64 s0, v9
	s_cbranch_execnz .LBB257_81
.LBB257_68:
	s_or_b32 exec_lo, exec_lo, s1
	s_mov_b32 s1, exec_lo
	v_cmpx_gt_u32_e64 s0, v7
	s_cbranch_execnz .LBB257_82
.LBB257_69:
	s_or_b32 exec_lo, exec_lo, s1
	s_mov_b32 s1, exec_lo
	v_cmpx_gt_u32_e64 s0, v5
	s_cbranch_execnz .LBB257_83
.LBB257_70:
	s_or_b32 exec_lo, exec_lo, s1
	s_mov_b32 s1, exec_lo
	v_cmpx_gt_u32_e64 s0, v4
	s_cbranch_execz .LBB257_72
.LBB257_71:
	s_waitcnt lgkmcnt(1)
	global_store_short v[1:2], v10, off offset:1536
.LBB257_72:
	s_or_b32 exec_lo, exec_lo, s1
	v_cmp_gt_u32_e64 s0, s0, v3
	s_waitcnt lgkmcnt(0)
	v_perm_b32 v11, v11, v10, 0x5040100
.LBB257_73:
	s_and_saveexec_b32 s1, s0
	s_cbranch_execz .LBB257_75
; %bb.74:
	s_waitcnt lgkmcnt(0)
	global_store_short_d16_hi v[1:2], v11, off offset:1792
.LBB257_75:
	s_endpgm
.LBB257_76:
	v_sub_co_u32 v2, vcc_lo, v0, s9
	v_mov_b32_e32 v3, v1
	v_add_co_u32 v4, s0, s23, v11
	v_add_co_ci_u32_e64 v6, null, s24, 0, s0
	v_lshlrev_b64 v[2:3], 1, v[2:3]
	v_mov_b32_e32 v13, v1
	v_mov_b32_e32 v14, v1
	;; [unrolled: 1-line block ×4, first 2 shown]
	v_add_co_u32 v2, s0, s11, v2
	v_add_co_ci_u32_e64 v3, null, s12, v3, s0
	v_cndmask_b32_e32 v2, v2, v4, vcc_lo
	v_cndmask_b32_e32 v3, v3, v6, vcc_lo
	global_load_short_d16 v13, v[2:3], off
	s_waitcnt vmcnt(0)
	v_mov_b32_e32 v1, v13
	v_mov_b32_e32 v2, v14
	;; [unrolled: 1-line block ×4, first 2 shown]
	s_or_b32 exec_lo, exec_lo, s2
	s_mov_b32 s2, exec_lo
	v_cmpx_gt_u32_e64 s1, v7
	s_cbranch_execz .LBB257_8
.LBB257_77:
	v_mov_b32_e32 v8, 0
	v_lshlrev_b64 v[9:10], 1, v[7:8]
	v_add_co_u32 v9, vcc_lo, s23, v9
	v_add_co_ci_u32_e64 v10, null, s24, v10, vcc_lo
	v_sub_co_u32 v7, vcc_lo, v7, s9
	v_lshlrev_b64 v[6:7], 1, v[7:8]
	v_add_co_u32 v6, s0, s11, v6
	v_add_co_ci_u32_e64 v7, null, s12, v7, s0
	v_cndmask_b32_e32 v6, v6, v9, vcc_lo
	v_cndmask_b32_e32 v7, v7, v10, vcc_lo
	global_load_short_d16_hi v1, v[6:7], off
	s_or_b32 exec_lo, exec_lo, s2
	s_mov_b32 s2, exec_lo
	v_cmpx_gt_u32_e64 s1, v5
	s_cbranch_execnz .LBB257_9
	s_branch .LBB257_10
.LBB257_78:
	s_waitcnt lgkmcnt(7)
	global_store_short v[1:2], v21, off
	s_or_b32 exec_lo, exec_lo, s1
	s_mov_b32 s1, exec_lo
	v_cmpx_gt_u32_e64 s0, v8
	s_cbranch_execz .LBB257_66
.LBB257_79:
	s_waitcnt lgkmcnt(6)
	global_store_short v[1:2], v20, off offset:256
	s_or_b32 exec_lo, exec_lo, s1
	s_mov_b32 s1, exec_lo
	v_cmpx_gt_u32_e64 s0, v6
	s_cbranch_execz .LBB257_67
.LBB257_80:
	s_waitcnt lgkmcnt(5)
	global_store_short v[1:2], v19, off offset:512
	s_or_b32 exec_lo, exec_lo, s1
	s_mov_b32 s1, exec_lo
	v_cmpx_gt_u32_e64 s0, v9
	s_cbranch_execz .LBB257_68
.LBB257_81:
	s_waitcnt lgkmcnt(4)
	global_store_short v[1:2], v14, off offset:768
	s_or_b32 exec_lo, exec_lo, s1
	s_mov_b32 s1, exec_lo
	v_cmpx_gt_u32_e64 s0, v7
	s_cbranch_execz .LBB257_69
.LBB257_82:
	s_waitcnt lgkmcnt(3)
	global_store_short v[1:2], v13, off offset:1024
	s_or_b32 exec_lo, exec_lo, s1
	s_mov_b32 s1, exec_lo
	v_cmpx_gt_u32_e64 s0, v5
	s_cbranch_execz .LBB257_70
.LBB257_83:
	s_waitcnt lgkmcnt(2)
	global_store_short v[1:2], v12, off offset:1280
	s_or_b32 exec_lo, exec_lo, s1
	s_mov_b32 s1, exec_lo
	v_cmpx_gt_u32_e64 s0, v4
	s_cbranch_execnz .LBB257_71
	s_branch .LBB257_72
	.section	.rodata,"a",@progbits
	.p2align	6, 0x0
	.amdhsa_kernel _ZN7rocprim17ROCPRIM_400000_NS6detail17trampoline_kernelINS0_14default_configENS1_38merge_sort_block_merge_config_selectorItNS0_10empty_typeEEEZZNS1_27merge_sort_block_merge_implIS3_N6thrust23THRUST_200600_302600_NS6detail15normal_iteratorINS9_10device_ptrItEEEEPS5_m11less_div_10ItEEE10hipError_tT0_T1_T2_jT3_P12ihipStream_tbPNSt15iterator_traitsISJ_E10value_typeEPNSP_ISK_E10value_typeEPSL_NS1_7vsmem_tEENKUlT_SJ_SK_SL_E_clIPtSE_SF_SF_EESI_SY_SJ_SK_SL_EUlSY_E0_NS1_11comp_targetILNS1_3genE8ELNS1_11target_archE1030ELNS1_3gpuE2ELNS1_3repE0EEENS1_38merge_mergepath_config_static_selectorELNS0_4arch9wavefront6targetE0EEEvSK_
		.amdhsa_group_segment_fixed_size 2112
		.amdhsa_private_segment_fixed_size 0
		.amdhsa_kernarg_size 328
		.amdhsa_user_sgpr_count 6
		.amdhsa_user_sgpr_private_segment_buffer 1
		.amdhsa_user_sgpr_dispatch_ptr 0
		.amdhsa_user_sgpr_queue_ptr 0
		.amdhsa_user_sgpr_kernarg_segment_ptr 1
		.amdhsa_user_sgpr_dispatch_id 0
		.amdhsa_user_sgpr_flat_scratch_init 0
		.amdhsa_user_sgpr_private_segment_size 0
		.amdhsa_wavefront_size32 1
		.amdhsa_uses_dynamic_stack 0
		.amdhsa_system_sgpr_private_segment_wavefront_offset 0
		.amdhsa_system_sgpr_workgroup_id_x 1
		.amdhsa_system_sgpr_workgroup_id_y 1
		.amdhsa_system_sgpr_workgroup_id_z 1
		.amdhsa_system_sgpr_workgroup_info 0
		.amdhsa_system_vgpr_workitem_id 0
		.amdhsa_next_free_vgpr 33
		.amdhsa_next_free_sgpr 31
		.amdhsa_reserve_vcc 1
		.amdhsa_reserve_flat_scratch 0
		.amdhsa_float_round_mode_32 0
		.amdhsa_float_round_mode_16_64 0
		.amdhsa_float_denorm_mode_32 3
		.amdhsa_float_denorm_mode_16_64 3
		.amdhsa_dx10_clamp 1
		.amdhsa_ieee_mode 1
		.amdhsa_fp16_overflow 0
		.amdhsa_workgroup_processor_mode 1
		.amdhsa_memory_ordered 1
		.amdhsa_forward_progress 1
		.amdhsa_shared_vgpr_count 0
		.amdhsa_exception_fp_ieee_invalid_op 0
		.amdhsa_exception_fp_denorm_src 0
		.amdhsa_exception_fp_ieee_div_zero 0
		.amdhsa_exception_fp_ieee_overflow 0
		.amdhsa_exception_fp_ieee_underflow 0
		.amdhsa_exception_fp_ieee_inexact 0
		.amdhsa_exception_int_div_zero 0
	.end_amdhsa_kernel
	.section	.text._ZN7rocprim17ROCPRIM_400000_NS6detail17trampoline_kernelINS0_14default_configENS1_38merge_sort_block_merge_config_selectorItNS0_10empty_typeEEEZZNS1_27merge_sort_block_merge_implIS3_N6thrust23THRUST_200600_302600_NS6detail15normal_iteratorINS9_10device_ptrItEEEEPS5_m11less_div_10ItEEE10hipError_tT0_T1_T2_jT3_P12ihipStream_tbPNSt15iterator_traitsISJ_E10value_typeEPNSP_ISK_E10value_typeEPSL_NS1_7vsmem_tEENKUlT_SJ_SK_SL_E_clIPtSE_SF_SF_EESI_SY_SJ_SK_SL_EUlSY_E0_NS1_11comp_targetILNS1_3genE8ELNS1_11target_archE1030ELNS1_3gpuE2ELNS1_3repE0EEENS1_38merge_mergepath_config_static_selectorELNS0_4arch9wavefront6targetE0EEEvSK_,"axG",@progbits,_ZN7rocprim17ROCPRIM_400000_NS6detail17trampoline_kernelINS0_14default_configENS1_38merge_sort_block_merge_config_selectorItNS0_10empty_typeEEEZZNS1_27merge_sort_block_merge_implIS3_N6thrust23THRUST_200600_302600_NS6detail15normal_iteratorINS9_10device_ptrItEEEEPS5_m11less_div_10ItEEE10hipError_tT0_T1_T2_jT3_P12ihipStream_tbPNSt15iterator_traitsISJ_E10value_typeEPNSP_ISK_E10value_typeEPSL_NS1_7vsmem_tEENKUlT_SJ_SK_SL_E_clIPtSE_SF_SF_EESI_SY_SJ_SK_SL_EUlSY_E0_NS1_11comp_targetILNS1_3genE8ELNS1_11target_archE1030ELNS1_3gpuE2ELNS1_3repE0EEENS1_38merge_mergepath_config_static_selectorELNS0_4arch9wavefront6targetE0EEEvSK_,comdat
.Lfunc_end257:
	.size	_ZN7rocprim17ROCPRIM_400000_NS6detail17trampoline_kernelINS0_14default_configENS1_38merge_sort_block_merge_config_selectorItNS0_10empty_typeEEEZZNS1_27merge_sort_block_merge_implIS3_N6thrust23THRUST_200600_302600_NS6detail15normal_iteratorINS9_10device_ptrItEEEEPS5_m11less_div_10ItEEE10hipError_tT0_T1_T2_jT3_P12ihipStream_tbPNSt15iterator_traitsISJ_E10value_typeEPNSP_ISK_E10value_typeEPSL_NS1_7vsmem_tEENKUlT_SJ_SK_SL_E_clIPtSE_SF_SF_EESI_SY_SJ_SK_SL_EUlSY_E0_NS1_11comp_targetILNS1_3genE8ELNS1_11target_archE1030ELNS1_3gpuE2ELNS1_3repE0EEENS1_38merge_mergepath_config_static_selectorELNS0_4arch9wavefront6targetE0EEEvSK_, .Lfunc_end257-_ZN7rocprim17ROCPRIM_400000_NS6detail17trampoline_kernelINS0_14default_configENS1_38merge_sort_block_merge_config_selectorItNS0_10empty_typeEEEZZNS1_27merge_sort_block_merge_implIS3_N6thrust23THRUST_200600_302600_NS6detail15normal_iteratorINS9_10device_ptrItEEEEPS5_m11less_div_10ItEEE10hipError_tT0_T1_T2_jT3_P12ihipStream_tbPNSt15iterator_traitsISJ_E10value_typeEPNSP_ISK_E10value_typeEPSL_NS1_7vsmem_tEENKUlT_SJ_SK_SL_E_clIPtSE_SF_SF_EESI_SY_SJ_SK_SL_EUlSY_E0_NS1_11comp_targetILNS1_3genE8ELNS1_11target_archE1030ELNS1_3gpuE2ELNS1_3repE0EEENS1_38merge_mergepath_config_static_selectorELNS0_4arch9wavefront6targetE0EEEvSK_
                                        ; -- End function
	.set _ZN7rocprim17ROCPRIM_400000_NS6detail17trampoline_kernelINS0_14default_configENS1_38merge_sort_block_merge_config_selectorItNS0_10empty_typeEEEZZNS1_27merge_sort_block_merge_implIS3_N6thrust23THRUST_200600_302600_NS6detail15normal_iteratorINS9_10device_ptrItEEEEPS5_m11less_div_10ItEEE10hipError_tT0_T1_T2_jT3_P12ihipStream_tbPNSt15iterator_traitsISJ_E10value_typeEPNSP_ISK_E10value_typeEPSL_NS1_7vsmem_tEENKUlT_SJ_SK_SL_E_clIPtSE_SF_SF_EESI_SY_SJ_SK_SL_EUlSY_E0_NS1_11comp_targetILNS1_3genE8ELNS1_11target_archE1030ELNS1_3gpuE2ELNS1_3repE0EEENS1_38merge_mergepath_config_static_selectorELNS0_4arch9wavefront6targetE0EEEvSK_.num_vgpr, 33
	.set _ZN7rocprim17ROCPRIM_400000_NS6detail17trampoline_kernelINS0_14default_configENS1_38merge_sort_block_merge_config_selectorItNS0_10empty_typeEEEZZNS1_27merge_sort_block_merge_implIS3_N6thrust23THRUST_200600_302600_NS6detail15normal_iteratorINS9_10device_ptrItEEEEPS5_m11less_div_10ItEEE10hipError_tT0_T1_T2_jT3_P12ihipStream_tbPNSt15iterator_traitsISJ_E10value_typeEPNSP_ISK_E10value_typeEPSL_NS1_7vsmem_tEENKUlT_SJ_SK_SL_E_clIPtSE_SF_SF_EESI_SY_SJ_SK_SL_EUlSY_E0_NS1_11comp_targetILNS1_3genE8ELNS1_11target_archE1030ELNS1_3gpuE2ELNS1_3repE0EEENS1_38merge_mergepath_config_static_selectorELNS0_4arch9wavefront6targetE0EEEvSK_.num_agpr, 0
	.set _ZN7rocprim17ROCPRIM_400000_NS6detail17trampoline_kernelINS0_14default_configENS1_38merge_sort_block_merge_config_selectorItNS0_10empty_typeEEEZZNS1_27merge_sort_block_merge_implIS3_N6thrust23THRUST_200600_302600_NS6detail15normal_iteratorINS9_10device_ptrItEEEEPS5_m11less_div_10ItEEE10hipError_tT0_T1_T2_jT3_P12ihipStream_tbPNSt15iterator_traitsISJ_E10value_typeEPNSP_ISK_E10value_typeEPSL_NS1_7vsmem_tEENKUlT_SJ_SK_SL_E_clIPtSE_SF_SF_EESI_SY_SJ_SK_SL_EUlSY_E0_NS1_11comp_targetILNS1_3genE8ELNS1_11target_archE1030ELNS1_3gpuE2ELNS1_3repE0EEENS1_38merge_mergepath_config_static_selectorELNS0_4arch9wavefront6targetE0EEEvSK_.numbered_sgpr, 31
	.set _ZN7rocprim17ROCPRIM_400000_NS6detail17trampoline_kernelINS0_14default_configENS1_38merge_sort_block_merge_config_selectorItNS0_10empty_typeEEEZZNS1_27merge_sort_block_merge_implIS3_N6thrust23THRUST_200600_302600_NS6detail15normal_iteratorINS9_10device_ptrItEEEEPS5_m11less_div_10ItEEE10hipError_tT0_T1_T2_jT3_P12ihipStream_tbPNSt15iterator_traitsISJ_E10value_typeEPNSP_ISK_E10value_typeEPSL_NS1_7vsmem_tEENKUlT_SJ_SK_SL_E_clIPtSE_SF_SF_EESI_SY_SJ_SK_SL_EUlSY_E0_NS1_11comp_targetILNS1_3genE8ELNS1_11target_archE1030ELNS1_3gpuE2ELNS1_3repE0EEENS1_38merge_mergepath_config_static_selectorELNS0_4arch9wavefront6targetE0EEEvSK_.num_named_barrier, 0
	.set _ZN7rocprim17ROCPRIM_400000_NS6detail17trampoline_kernelINS0_14default_configENS1_38merge_sort_block_merge_config_selectorItNS0_10empty_typeEEEZZNS1_27merge_sort_block_merge_implIS3_N6thrust23THRUST_200600_302600_NS6detail15normal_iteratorINS9_10device_ptrItEEEEPS5_m11less_div_10ItEEE10hipError_tT0_T1_T2_jT3_P12ihipStream_tbPNSt15iterator_traitsISJ_E10value_typeEPNSP_ISK_E10value_typeEPSL_NS1_7vsmem_tEENKUlT_SJ_SK_SL_E_clIPtSE_SF_SF_EESI_SY_SJ_SK_SL_EUlSY_E0_NS1_11comp_targetILNS1_3genE8ELNS1_11target_archE1030ELNS1_3gpuE2ELNS1_3repE0EEENS1_38merge_mergepath_config_static_selectorELNS0_4arch9wavefront6targetE0EEEvSK_.private_seg_size, 0
	.set _ZN7rocprim17ROCPRIM_400000_NS6detail17trampoline_kernelINS0_14default_configENS1_38merge_sort_block_merge_config_selectorItNS0_10empty_typeEEEZZNS1_27merge_sort_block_merge_implIS3_N6thrust23THRUST_200600_302600_NS6detail15normal_iteratorINS9_10device_ptrItEEEEPS5_m11less_div_10ItEEE10hipError_tT0_T1_T2_jT3_P12ihipStream_tbPNSt15iterator_traitsISJ_E10value_typeEPNSP_ISK_E10value_typeEPSL_NS1_7vsmem_tEENKUlT_SJ_SK_SL_E_clIPtSE_SF_SF_EESI_SY_SJ_SK_SL_EUlSY_E0_NS1_11comp_targetILNS1_3genE8ELNS1_11target_archE1030ELNS1_3gpuE2ELNS1_3repE0EEENS1_38merge_mergepath_config_static_selectorELNS0_4arch9wavefront6targetE0EEEvSK_.uses_vcc, 1
	.set _ZN7rocprim17ROCPRIM_400000_NS6detail17trampoline_kernelINS0_14default_configENS1_38merge_sort_block_merge_config_selectorItNS0_10empty_typeEEEZZNS1_27merge_sort_block_merge_implIS3_N6thrust23THRUST_200600_302600_NS6detail15normal_iteratorINS9_10device_ptrItEEEEPS5_m11less_div_10ItEEE10hipError_tT0_T1_T2_jT3_P12ihipStream_tbPNSt15iterator_traitsISJ_E10value_typeEPNSP_ISK_E10value_typeEPSL_NS1_7vsmem_tEENKUlT_SJ_SK_SL_E_clIPtSE_SF_SF_EESI_SY_SJ_SK_SL_EUlSY_E0_NS1_11comp_targetILNS1_3genE8ELNS1_11target_archE1030ELNS1_3gpuE2ELNS1_3repE0EEENS1_38merge_mergepath_config_static_selectorELNS0_4arch9wavefront6targetE0EEEvSK_.uses_flat_scratch, 0
	.set _ZN7rocprim17ROCPRIM_400000_NS6detail17trampoline_kernelINS0_14default_configENS1_38merge_sort_block_merge_config_selectorItNS0_10empty_typeEEEZZNS1_27merge_sort_block_merge_implIS3_N6thrust23THRUST_200600_302600_NS6detail15normal_iteratorINS9_10device_ptrItEEEEPS5_m11less_div_10ItEEE10hipError_tT0_T1_T2_jT3_P12ihipStream_tbPNSt15iterator_traitsISJ_E10value_typeEPNSP_ISK_E10value_typeEPSL_NS1_7vsmem_tEENKUlT_SJ_SK_SL_E_clIPtSE_SF_SF_EESI_SY_SJ_SK_SL_EUlSY_E0_NS1_11comp_targetILNS1_3genE8ELNS1_11target_archE1030ELNS1_3gpuE2ELNS1_3repE0EEENS1_38merge_mergepath_config_static_selectorELNS0_4arch9wavefront6targetE0EEEvSK_.has_dyn_sized_stack, 0
	.set _ZN7rocprim17ROCPRIM_400000_NS6detail17trampoline_kernelINS0_14default_configENS1_38merge_sort_block_merge_config_selectorItNS0_10empty_typeEEEZZNS1_27merge_sort_block_merge_implIS3_N6thrust23THRUST_200600_302600_NS6detail15normal_iteratorINS9_10device_ptrItEEEEPS5_m11less_div_10ItEEE10hipError_tT0_T1_T2_jT3_P12ihipStream_tbPNSt15iterator_traitsISJ_E10value_typeEPNSP_ISK_E10value_typeEPSL_NS1_7vsmem_tEENKUlT_SJ_SK_SL_E_clIPtSE_SF_SF_EESI_SY_SJ_SK_SL_EUlSY_E0_NS1_11comp_targetILNS1_3genE8ELNS1_11target_archE1030ELNS1_3gpuE2ELNS1_3repE0EEENS1_38merge_mergepath_config_static_selectorELNS0_4arch9wavefront6targetE0EEEvSK_.has_recursion, 0
	.set _ZN7rocprim17ROCPRIM_400000_NS6detail17trampoline_kernelINS0_14default_configENS1_38merge_sort_block_merge_config_selectorItNS0_10empty_typeEEEZZNS1_27merge_sort_block_merge_implIS3_N6thrust23THRUST_200600_302600_NS6detail15normal_iteratorINS9_10device_ptrItEEEEPS5_m11less_div_10ItEEE10hipError_tT0_T1_T2_jT3_P12ihipStream_tbPNSt15iterator_traitsISJ_E10value_typeEPNSP_ISK_E10value_typeEPSL_NS1_7vsmem_tEENKUlT_SJ_SK_SL_E_clIPtSE_SF_SF_EESI_SY_SJ_SK_SL_EUlSY_E0_NS1_11comp_targetILNS1_3genE8ELNS1_11target_archE1030ELNS1_3gpuE2ELNS1_3repE0EEENS1_38merge_mergepath_config_static_selectorELNS0_4arch9wavefront6targetE0EEEvSK_.has_indirect_call, 0
	.section	.AMDGPU.csdata,"",@progbits
; Kernel info:
; codeLenInByte = 4672
; TotalNumSgprs: 33
; NumVgprs: 33
; ScratchSize: 0
; MemoryBound: 0
; FloatMode: 240
; IeeeMode: 1
; LDSByteSize: 2112 bytes/workgroup (compile time only)
; SGPRBlocks: 0
; VGPRBlocks: 4
; NumSGPRsForWavesPerEU: 33
; NumVGPRsForWavesPerEU: 33
; Occupancy: 16
; WaveLimiterHint : 1
; COMPUTE_PGM_RSRC2:SCRATCH_EN: 0
; COMPUTE_PGM_RSRC2:USER_SGPR: 6
; COMPUTE_PGM_RSRC2:TRAP_HANDLER: 0
; COMPUTE_PGM_RSRC2:TGID_X_EN: 1
; COMPUTE_PGM_RSRC2:TGID_Y_EN: 1
; COMPUTE_PGM_RSRC2:TGID_Z_EN: 1
; COMPUTE_PGM_RSRC2:TIDIG_COMP_CNT: 0
	.section	.text._ZN7rocprim17ROCPRIM_400000_NS6detail17trampoline_kernelINS0_14default_configENS1_38merge_sort_block_merge_config_selectorItNS0_10empty_typeEEEZZNS1_27merge_sort_block_merge_implIS3_N6thrust23THRUST_200600_302600_NS6detail15normal_iteratorINS9_10device_ptrItEEEEPS5_m11less_div_10ItEEE10hipError_tT0_T1_T2_jT3_P12ihipStream_tbPNSt15iterator_traitsISJ_E10value_typeEPNSP_ISK_E10value_typeEPSL_NS1_7vsmem_tEENKUlT_SJ_SK_SL_E_clIPtSE_SF_SF_EESI_SY_SJ_SK_SL_EUlSY_E1_NS1_11comp_targetILNS1_3genE0ELNS1_11target_archE4294967295ELNS1_3gpuE0ELNS1_3repE0EEENS1_36merge_oddeven_config_static_selectorELNS0_4arch9wavefront6targetE0EEEvSK_,"axG",@progbits,_ZN7rocprim17ROCPRIM_400000_NS6detail17trampoline_kernelINS0_14default_configENS1_38merge_sort_block_merge_config_selectorItNS0_10empty_typeEEEZZNS1_27merge_sort_block_merge_implIS3_N6thrust23THRUST_200600_302600_NS6detail15normal_iteratorINS9_10device_ptrItEEEEPS5_m11less_div_10ItEEE10hipError_tT0_T1_T2_jT3_P12ihipStream_tbPNSt15iterator_traitsISJ_E10value_typeEPNSP_ISK_E10value_typeEPSL_NS1_7vsmem_tEENKUlT_SJ_SK_SL_E_clIPtSE_SF_SF_EESI_SY_SJ_SK_SL_EUlSY_E1_NS1_11comp_targetILNS1_3genE0ELNS1_11target_archE4294967295ELNS1_3gpuE0ELNS1_3repE0EEENS1_36merge_oddeven_config_static_selectorELNS0_4arch9wavefront6targetE0EEEvSK_,comdat
	.protected	_ZN7rocprim17ROCPRIM_400000_NS6detail17trampoline_kernelINS0_14default_configENS1_38merge_sort_block_merge_config_selectorItNS0_10empty_typeEEEZZNS1_27merge_sort_block_merge_implIS3_N6thrust23THRUST_200600_302600_NS6detail15normal_iteratorINS9_10device_ptrItEEEEPS5_m11less_div_10ItEEE10hipError_tT0_T1_T2_jT3_P12ihipStream_tbPNSt15iterator_traitsISJ_E10value_typeEPNSP_ISK_E10value_typeEPSL_NS1_7vsmem_tEENKUlT_SJ_SK_SL_E_clIPtSE_SF_SF_EESI_SY_SJ_SK_SL_EUlSY_E1_NS1_11comp_targetILNS1_3genE0ELNS1_11target_archE4294967295ELNS1_3gpuE0ELNS1_3repE0EEENS1_36merge_oddeven_config_static_selectorELNS0_4arch9wavefront6targetE0EEEvSK_ ; -- Begin function _ZN7rocprim17ROCPRIM_400000_NS6detail17trampoline_kernelINS0_14default_configENS1_38merge_sort_block_merge_config_selectorItNS0_10empty_typeEEEZZNS1_27merge_sort_block_merge_implIS3_N6thrust23THRUST_200600_302600_NS6detail15normal_iteratorINS9_10device_ptrItEEEEPS5_m11less_div_10ItEEE10hipError_tT0_T1_T2_jT3_P12ihipStream_tbPNSt15iterator_traitsISJ_E10value_typeEPNSP_ISK_E10value_typeEPSL_NS1_7vsmem_tEENKUlT_SJ_SK_SL_E_clIPtSE_SF_SF_EESI_SY_SJ_SK_SL_EUlSY_E1_NS1_11comp_targetILNS1_3genE0ELNS1_11target_archE4294967295ELNS1_3gpuE0ELNS1_3repE0EEENS1_36merge_oddeven_config_static_selectorELNS0_4arch9wavefront6targetE0EEEvSK_
	.globl	_ZN7rocprim17ROCPRIM_400000_NS6detail17trampoline_kernelINS0_14default_configENS1_38merge_sort_block_merge_config_selectorItNS0_10empty_typeEEEZZNS1_27merge_sort_block_merge_implIS3_N6thrust23THRUST_200600_302600_NS6detail15normal_iteratorINS9_10device_ptrItEEEEPS5_m11less_div_10ItEEE10hipError_tT0_T1_T2_jT3_P12ihipStream_tbPNSt15iterator_traitsISJ_E10value_typeEPNSP_ISK_E10value_typeEPSL_NS1_7vsmem_tEENKUlT_SJ_SK_SL_E_clIPtSE_SF_SF_EESI_SY_SJ_SK_SL_EUlSY_E1_NS1_11comp_targetILNS1_3genE0ELNS1_11target_archE4294967295ELNS1_3gpuE0ELNS1_3repE0EEENS1_36merge_oddeven_config_static_selectorELNS0_4arch9wavefront6targetE0EEEvSK_
	.p2align	8
	.type	_ZN7rocprim17ROCPRIM_400000_NS6detail17trampoline_kernelINS0_14default_configENS1_38merge_sort_block_merge_config_selectorItNS0_10empty_typeEEEZZNS1_27merge_sort_block_merge_implIS3_N6thrust23THRUST_200600_302600_NS6detail15normal_iteratorINS9_10device_ptrItEEEEPS5_m11less_div_10ItEEE10hipError_tT0_T1_T2_jT3_P12ihipStream_tbPNSt15iterator_traitsISJ_E10value_typeEPNSP_ISK_E10value_typeEPSL_NS1_7vsmem_tEENKUlT_SJ_SK_SL_E_clIPtSE_SF_SF_EESI_SY_SJ_SK_SL_EUlSY_E1_NS1_11comp_targetILNS1_3genE0ELNS1_11target_archE4294967295ELNS1_3gpuE0ELNS1_3repE0EEENS1_36merge_oddeven_config_static_selectorELNS0_4arch9wavefront6targetE0EEEvSK_,@function
_ZN7rocprim17ROCPRIM_400000_NS6detail17trampoline_kernelINS0_14default_configENS1_38merge_sort_block_merge_config_selectorItNS0_10empty_typeEEEZZNS1_27merge_sort_block_merge_implIS3_N6thrust23THRUST_200600_302600_NS6detail15normal_iteratorINS9_10device_ptrItEEEEPS5_m11less_div_10ItEEE10hipError_tT0_T1_T2_jT3_P12ihipStream_tbPNSt15iterator_traitsISJ_E10value_typeEPNSP_ISK_E10value_typeEPSL_NS1_7vsmem_tEENKUlT_SJ_SK_SL_E_clIPtSE_SF_SF_EESI_SY_SJ_SK_SL_EUlSY_E1_NS1_11comp_targetILNS1_3genE0ELNS1_11target_archE4294967295ELNS1_3gpuE0ELNS1_3repE0EEENS1_36merge_oddeven_config_static_selectorELNS0_4arch9wavefront6targetE0EEEvSK_: ; @_ZN7rocprim17ROCPRIM_400000_NS6detail17trampoline_kernelINS0_14default_configENS1_38merge_sort_block_merge_config_selectorItNS0_10empty_typeEEEZZNS1_27merge_sort_block_merge_implIS3_N6thrust23THRUST_200600_302600_NS6detail15normal_iteratorINS9_10device_ptrItEEEEPS5_m11less_div_10ItEEE10hipError_tT0_T1_T2_jT3_P12ihipStream_tbPNSt15iterator_traitsISJ_E10value_typeEPNSP_ISK_E10value_typeEPSL_NS1_7vsmem_tEENKUlT_SJ_SK_SL_E_clIPtSE_SF_SF_EESI_SY_SJ_SK_SL_EUlSY_E1_NS1_11comp_targetILNS1_3genE0ELNS1_11target_archE4294967295ELNS1_3gpuE0ELNS1_3repE0EEENS1_36merge_oddeven_config_static_selectorELNS0_4arch9wavefront6targetE0EEEvSK_
; %bb.0:
	.section	.rodata,"a",@progbits
	.p2align	6, 0x0
	.amdhsa_kernel _ZN7rocprim17ROCPRIM_400000_NS6detail17trampoline_kernelINS0_14default_configENS1_38merge_sort_block_merge_config_selectorItNS0_10empty_typeEEEZZNS1_27merge_sort_block_merge_implIS3_N6thrust23THRUST_200600_302600_NS6detail15normal_iteratorINS9_10device_ptrItEEEEPS5_m11less_div_10ItEEE10hipError_tT0_T1_T2_jT3_P12ihipStream_tbPNSt15iterator_traitsISJ_E10value_typeEPNSP_ISK_E10value_typeEPSL_NS1_7vsmem_tEENKUlT_SJ_SK_SL_E_clIPtSE_SF_SF_EESI_SY_SJ_SK_SL_EUlSY_E1_NS1_11comp_targetILNS1_3genE0ELNS1_11target_archE4294967295ELNS1_3gpuE0ELNS1_3repE0EEENS1_36merge_oddeven_config_static_selectorELNS0_4arch9wavefront6targetE0EEEvSK_
		.amdhsa_group_segment_fixed_size 0
		.amdhsa_private_segment_fixed_size 0
		.amdhsa_kernarg_size 56
		.amdhsa_user_sgpr_count 6
		.amdhsa_user_sgpr_private_segment_buffer 1
		.amdhsa_user_sgpr_dispatch_ptr 0
		.amdhsa_user_sgpr_queue_ptr 0
		.amdhsa_user_sgpr_kernarg_segment_ptr 1
		.amdhsa_user_sgpr_dispatch_id 0
		.amdhsa_user_sgpr_flat_scratch_init 0
		.amdhsa_user_sgpr_private_segment_size 0
		.amdhsa_wavefront_size32 1
		.amdhsa_uses_dynamic_stack 0
		.amdhsa_system_sgpr_private_segment_wavefront_offset 0
		.amdhsa_system_sgpr_workgroup_id_x 1
		.amdhsa_system_sgpr_workgroup_id_y 0
		.amdhsa_system_sgpr_workgroup_id_z 0
		.amdhsa_system_sgpr_workgroup_info 0
		.amdhsa_system_vgpr_workitem_id 0
		.amdhsa_next_free_vgpr 1
		.amdhsa_next_free_sgpr 1
		.amdhsa_reserve_vcc 0
		.amdhsa_reserve_flat_scratch 0
		.amdhsa_float_round_mode_32 0
		.amdhsa_float_round_mode_16_64 0
		.amdhsa_float_denorm_mode_32 3
		.amdhsa_float_denorm_mode_16_64 3
		.amdhsa_dx10_clamp 1
		.amdhsa_ieee_mode 1
		.amdhsa_fp16_overflow 0
		.amdhsa_workgroup_processor_mode 1
		.amdhsa_memory_ordered 1
		.amdhsa_forward_progress 1
		.amdhsa_shared_vgpr_count 0
		.amdhsa_exception_fp_ieee_invalid_op 0
		.amdhsa_exception_fp_denorm_src 0
		.amdhsa_exception_fp_ieee_div_zero 0
		.amdhsa_exception_fp_ieee_overflow 0
		.amdhsa_exception_fp_ieee_underflow 0
		.amdhsa_exception_fp_ieee_inexact 0
		.amdhsa_exception_int_div_zero 0
	.end_amdhsa_kernel
	.section	.text._ZN7rocprim17ROCPRIM_400000_NS6detail17trampoline_kernelINS0_14default_configENS1_38merge_sort_block_merge_config_selectorItNS0_10empty_typeEEEZZNS1_27merge_sort_block_merge_implIS3_N6thrust23THRUST_200600_302600_NS6detail15normal_iteratorINS9_10device_ptrItEEEEPS5_m11less_div_10ItEEE10hipError_tT0_T1_T2_jT3_P12ihipStream_tbPNSt15iterator_traitsISJ_E10value_typeEPNSP_ISK_E10value_typeEPSL_NS1_7vsmem_tEENKUlT_SJ_SK_SL_E_clIPtSE_SF_SF_EESI_SY_SJ_SK_SL_EUlSY_E1_NS1_11comp_targetILNS1_3genE0ELNS1_11target_archE4294967295ELNS1_3gpuE0ELNS1_3repE0EEENS1_36merge_oddeven_config_static_selectorELNS0_4arch9wavefront6targetE0EEEvSK_,"axG",@progbits,_ZN7rocprim17ROCPRIM_400000_NS6detail17trampoline_kernelINS0_14default_configENS1_38merge_sort_block_merge_config_selectorItNS0_10empty_typeEEEZZNS1_27merge_sort_block_merge_implIS3_N6thrust23THRUST_200600_302600_NS6detail15normal_iteratorINS9_10device_ptrItEEEEPS5_m11less_div_10ItEEE10hipError_tT0_T1_T2_jT3_P12ihipStream_tbPNSt15iterator_traitsISJ_E10value_typeEPNSP_ISK_E10value_typeEPSL_NS1_7vsmem_tEENKUlT_SJ_SK_SL_E_clIPtSE_SF_SF_EESI_SY_SJ_SK_SL_EUlSY_E1_NS1_11comp_targetILNS1_3genE0ELNS1_11target_archE4294967295ELNS1_3gpuE0ELNS1_3repE0EEENS1_36merge_oddeven_config_static_selectorELNS0_4arch9wavefront6targetE0EEEvSK_,comdat
.Lfunc_end258:
	.size	_ZN7rocprim17ROCPRIM_400000_NS6detail17trampoline_kernelINS0_14default_configENS1_38merge_sort_block_merge_config_selectorItNS0_10empty_typeEEEZZNS1_27merge_sort_block_merge_implIS3_N6thrust23THRUST_200600_302600_NS6detail15normal_iteratorINS9_10device_ptrItEEEEPS5_m11less_div_10ItEEE10hipError_tT0_T1_T2_jT3_P12ihipStream_tbPNSt15iterator_traitsISJ_E10value_typeEPNSP_ISK_E10value_typeEPSL_NS1_7vsmem_tEENKUlT_SJ_SK_SL_E_clIPtSE_SF_SF_EESI_SY_SJ_SK_SL_EUlSY_E1_NS1_11comp_targetILNS1_3genE0ELNS1_11target_archE4294967295ELNS1_3gpuE0ELNS1_3repE0EEENS1_36merge_oddeven_config_static_selectorELNS0_4arch9wavefront6targetE0EEEvSK_, .Lfunc_end258-_ZN7rocprim17ROCPRIM_400000_NS6detail17trampoline_kernelINS0_14default_configENS1_38merge_sort_block_merge_config_selectorItNS0_10empty_typeEEEZZNS1_27merge_sort_block_merge_implIS3_N6thrust23THRUST_200600_302600_NS6detail15normal_iteratorINS9_10device_ptrItEEEEPS5_m11less_div_10ItEEE10hipError_tT0_T1_T2_jT3_P12ihipStream_tbPNSt15iterator_traitsISJ_E10value_typeEPNSP_ISK_E10value_typeEPSL_NS1_7vsmem_tEENKUlT_SJ_SK_SL_E_clIPtSE_SF_SF_EESI_SY_SJ_SK_SL_EUlSY_E1_NS1_11comp_targetILNS1_3genE0ELNS1_11target_archE4294967295ELNS1_3gpuE0ELNS1_3repE0EEENS1_36merge_oddeven_config_static_selectorELNS0_4arch9wavefront6targetE0EEEvSK_
                                        ; -- End function
	.set _ZN7rocprim17ROCPRIM_400000_NS6detail17trampoline_kernelINS0_14default_configENS1_38merge_sort_block_merge_config_selectorItNS0_10empty_typeEEEZZNS1_27merge_sort_block_merge_implIS3_N6thrust23THRUST_200600_302600_NS6detail15normal_iteratorINS9_10device_ptrItEEEEPS5_m11less_div_10ItEEE10hipError_tT0_T1_T2_jT3_P12ihipStream_tbPNSt15iterator_traitsISJ_E10value_typeEPNSP_ISK_E10value_typeEPSL_NS1_7vsmem_tEENKUlT_SJ_SK_SL_E_clIPtSE_SF_SF_EESI_SY_SJ_SK_SL_EUlSY_E1_NS1_11comp_targetILNS1_3genE0ELNS1_11target_archE4294967295ELNS1_3gpuE0ELNS1_3repE0EEENS1_36merge_oddeven_config_static_selectorELNS0_4arch9wavefront6targetE0EEEvSK_.num_vgpr, 0
	.set _ZN7rocprim17ROCPRIM_400000_NS6detail17trampoline_kernelINS0_14default_configENS1_38merge_sort_block_merge_config_selectorItNS0_10empty_typeEEEZZNS1_27merge_sort_block_merge_implIS3_N6thrust23THRUST_200600_302600_NS6detail15normal_iteratorINS9_10device_ptrItEEEEPS5_m11less_div_10ItEEE10hipError_tT0_T1_T2_jT3_P12ihipStream_tbPNSt15iterator_traitsISJ_E10value_typeEPNSP_ISK_E10value_typeEPSL_NS1_7vsmem_tEENKUlT_SJ_SK_SL_E_clIPtSE_SF_SF_EESI_SY_SJ_SK_SL_EUlSY_E1_NS1_11comp_targetILNS1_3genE0ELNS1_11target_archE4294967295ELNS1_3gpuE0ELNS1_3repE0EEENS1_36merge_oddeven_config_static_selectorELNS0_4arch9wavefront6targetE0EEEvSK_.num_agpr, 0
	.set _ZN7rocprim17ROCPRIM_400000_NS6detail17trampoline_kernelINS0_14default_configENS1_38merge_sort_block_merge_config_selectorItNS0_10empty_typeEEEZZNS1_27merge_sort_block_merge_implIS3_N6thrust23THRUST_200600_302600_NS6detail15normal_iteratorINS9_10device_ptrItEEEEPS5_m11less_div_10ItEEE10hipError_tT0_T1_T2_jT3_P12ihipStream_tbPNSt15iterator_traitsISJ_E10value_typeEPNSP_ISK_E10value_typeEPSL_NS1_7vsmem_tEENKUlT_SJ_SK_SL_E_clIPtSE_SF_SF_EESI_SY_SJ_SK_SL_EUlSY_E1_NS1_11comp_targetILNS1_3genE0ELNS1_11target_archE4294967295ELNS1_3gpuE0ELNS1_3repE0EEENS1_36merge_oddeven_config_static_selectorELNS0_4arch9wavefront6targetE0EEEvSK_.numbered_sgpr, 0
	.set _ZN7rocprim17ROCPRIM_400000_NS6detail17trampoline_kernelINS0_14default_configENS1_38merge_sort_block_merge_config_selectorItNS0_10empty_typeEEEZZNS1_27merge_sort_block_merge_implIS3_N6thrust23THRUST_200600_302600_NS6detail15normal_iteratorINS9_10device_ptrItEEEEPS5_m11less_div_10ItEEE10hipError_tT0_T1_T2_jT3_P12ihipStream_tbPNSt15iterator_traitsISJ_E10value_typeEPNSP_ISK_E10value_typeEPSL_NS1_7vsmem_tEENKUlT_SJ_SK_SL_E_clIPtSE_SF_SF_EESI_SY_SJ_SK_SL_EUlSY_E1_NS1_11comp_targetILNS1_3genE0ELNS1_11target_archE4294967295ELNS1_3gpuE0ELNS1_3repE0EEENS1_36merge_oddeven_config_static_selectorELNS0_4arch9wavefront6targetE0EEEvSK_.num_named_barrier, 0
	.set _ZN7rocprim17ROCPRIM_400000_NS6detail17trampoline_kernelINS0_14default_configENS1_38merge_sort_block_merge_config_selectorItNS0_10empty_typeEEEZZNS1_27merge_sort_block_merge_implIS3_N6thrust23THRUST_200600_302600_NS6detail15normal_iteratorINS9_10device_ptrItEEEEPS5_m11less_div_10ItEEE10hipError_tT0_T1_T2_jT3_P12ihipStream_tbPNSt15iterator_traitsISJ_E10value_typeEPNSP_ISK_E10value_typeEPSL_NS1_7vsmem_tEENKUlT_SJ_SK_SL_E_clIPtSE_SF_SF_EESI_SY_SJ_SK_SL_EUlSY_E1_NS1_11comp_targetILNS1_3genE0ELNS1_11target_archE4294967295ELNS1_3gpuE0ELNS1_3repE0EEENS1_36merge_oddeven_config_static_selectorELNS0_4arch9wavefront6targetE0EEEvSK_.private_seg_size, 0
	.set _ZN7rocprim17ROCPRIM_400000_NS6detail17trampoline_kernelINS0_14default_configENS1_38merge_sort_block_merge_config_selectorItNS0_10empty_typeEEEZZNS1_27merge_sort_block_merge_implIS3_N6thrust23THRUST_200600_302600_NS6detail15normal_iteratorINS9_10device_ptrItEEEEPS5_m11less_div_10ItEEE10hipError_tT0_T1_T2_jT3_P12ihipStream_tbPNSt15iterator_traitsISJ_E10value_typeEPNSP_ISK_E10value_typeEPSL_NS1_7vsmem_tEENKUlT_SJ_SK_SL_E_clIPtSE_SF_SF_EESI_SY_SJ_SK_SL_EUlSY_E1_NS1_11comp_targetILNS1_3genE0ELNS1_11target_archE4294967295ELNS1_3gpuE0ELNS1_3repE0EEENS1_36merge_oddeven_config_static_selectorELNS0_4arch9wavefront6targetE0EEEvSK_.uses_vcc, 0
	.set _ZN7rocprim17ROCPRIM_400000_NS6detail17trampoline_kernelINS0_14default_configENS1_38merge_sort_block_merge_config_selectorItNS0_10empty_typeEEEZZNS1_27merge_sort_block_merge_implIS3_N6thrust23THRUST_200600_302600_NS6detail15normal_iteratorINS9_10device_ptrItEEEEPS5_m11less_div_10ItEEE10hipError_tT0_T1_T2_jT3_P12ihipStream_tbPNSt15iterator_traitsISJ_E10value_typeEPNSP_ISK_E10value_typeEPSL_NS1_7vsmem_tEENKUlT_SJ_SK_SL_E_clIPtSE_SF_SF_EESI_SY_SJ_SK_SL_EUlSY_E1_NS1_11comp_targetILNS1_3genE0ELNS1_11target_archE4294967295ELNS1_3gpuE0ELNS1_3repE0EEENS1_36merge_oddeven_config_static_selectorELNS0_4arch9wavefront6targetE0EEEvSK_.uses_flat_scratch, 0
	.set _ZN7rocprim17ROCPRIM_400000_NS6detail17trampoline_kernelINS0_14default_configENS1_38merge_sort_block_merge_config_selectorItNS0_10empty_typeEEEZZNS1_27merge_sort_block_merge_implIS3_N6thrust23THRUST_200600_302600_NS6detail15normal_iteratorINS9_10device_ptrItEEEEPS5_m11less_div_10ItEEE10hipError_tT0_T1_T2_jT3_P12ihipStream_tbPNSt15iterator_traitsISJ_E10value_typeEPNSP_ISK_E10value_typeEPSL_NS1_7vsmem_tEENKUlT_SJ_SK_SL_E_clIPtSE_SF_SF_EESI_SY_SJ_SK_SL_EUlSY_E1_NS1_11comp_targetILNS1_3genE0ELNS1_11target_archE4294967295ELNS1_3gpuE0ELNS1_3repE0EEENS1_36merge_oddeven_config_static_selectorELNS0_4arch9wavefront6targetE0EEEvSK_.has_dyn_sized_stack, 0
	.set _ZN7rocprim17ROCPRIM_400000_NS6detail17trampoline_kernelINS0_14default_configENS1_38merge_sort_block_merge_config_selectorItNS0_10empty_typeEEEZZNS1_27merge_sort_block_merge_implIS3_N6thrust23THRUST_200600_302600_NS6detail15normal_iteratorINS9_10device_ptrItEEEEPS5_m11less_div_10ItEEE10hipError_tT0_T1_T2_jT3_P12ihipStream_tbPNSt15iterator_traitsISJ_E10value_typeEPNSP_ISK_E10value_typeEPSL_NS1_7vsmem_tEENKUlT_SJ_SK_SL_E_clIPtSE_SF_SF_EESI_SY_SJ_SK_SL_EUlSY_E1_NS1_11comp_targetILNS1_3genE0ELNS1_11target_archE4294967295ELNS1_3gpuE0ELNS1_3repE0EEENS1_36merge_oddeven_config_static_selectorELNS0_4arch9wavefront6targetE0EEEvSK_.has_recursion, 0
	.set _ZN7rocprim17ROCPRIM_400000_NS6detail17trampoline_kernelINS0_14default_configENS1_38merge_sort_block_merge_config_selectorItNS0_10empty_typeEEEZZNS1_27merge_sort_block_merge_implIS3_N6thrust23THRUST_200600_302600_NS6detail15normal_iteratorINS9_10device_ptrItEEEEPS5_m11less_div_10ItEEE10hipError_tT0_T1_T2_jT3_P12ihipStream_tbPNSt15iterator_traitsISJ_E10value_typeEPNSP_ISK_E10value_typeEPSL_NS1_7vsmem_tEENKUlT_SJ_SK_SL_E_clIPtSE_SF_SF_EESI_SY_SJ_SK_SL_EUlSY_E1_NS1_11comp_targetILNS1_3genE0ELNS1_11target_archE4294967295ELNS1_3gpuE0ELNS1_3repE0EEENS1_36merge_oddeven_config_static_selectorELNS0_4arch9wavefront6targetE0EEEvSK_.has_indirect_call, 0
	.section	.AMDGPU.csdata,"",@progbits
; Kernel info:
; codeLenInByte = 0
; TotalNumSgprs: 0
; NumVgprs: 0
; ScratchSize: 0
; MemoryBound: 0
; FloatMode: 240
; IeeeMode: 1
; LDSByteSize: 0 bytes/workgroup (compile time only)
; SGPRBlocks: 0
; VGPRBlocks: 0
; NumSGPRsForWavesPerEU: 1
; NumVGPRsForWavesPerEU: 1
; Occupancy: 16
; WaveLimiterHint : 0
; COMPUTE_PGM_RSRC2:SCRATCH_EN: 0
; COMPUTE_PGM_RSRC2:USER_SGPR: 6
; COMPUTE_PGM_RSRC2:TRAP_HANDLER: 0
; COMPUTE_PGM_RSRC2:TGID_X_EN: 1
; COMPUTE_PGM_RSRC2:TGID_Y_EN: 0
; COMPUTE_PGM_RSRC2:TGID_Z_EN: 0
; COMPUTE_PGM_RSRC2:TIDIG_COMP_CNT: 0
	.section	.text._ZN7rocprim17ROCPRIM_400000_NS6detail17trampoline_kernelINS0_14default_configENS1_38merge_sort_block_merge_config_selectorItNS0_10empty_typeEEEZZNS1_27merge_sort_block_merge_implIS3_N6thrust23THRUST_200600_302600_NS6detail15normal_iteratorINS9_10device_ptrItEEEEPS5_m11less_div_10ItEEE10hipError_tT0_T1_T2_jT3_P12ihipStream_tbPNSt15iterator_traitsISJ_E10value_typeEPNSP_ISK_E10value_typeEPSL_NS1_7vsmem_tEENKUlT_SJ_SK_SL_E_clIPtSE_SF_SF_EESI_SY_SJ_SK_SL_EUlSY_E1_NS1_11comp_targetILNS1_3genE10ELNS1_11target_archE1201ELNS1_3gpuE5ELNS1_3repE0EEENS1_36merge_oddeven_config_static_selectorELNS0_4arch9wavefront6targetE0EEEvSK_,"axG",@progbits,_ZN7rocprim17ROCPRIM_400000_NS6detail17trampoline_kernelINS0_14default_configENS1_38merge_sort_block_merge_config_selectorItNS0_10empty_typeEEEZZNS1_27merge_sort_block_merge_implIS3_N6thrust23THRUST_200600_302600_NS6detail15normal_iteratorINS9_10device_ptrItEEEEPS5_m11less_div_10ItEEE10hipError_tT0_T1_T2_jT3_P12ihipStream_tbPNSt15iterator_traitsISJ_E10value_typeEPNSP_ISK_E10value_typeEPSL_NS1_7vsmem_tEENKUlT_SJ_SK_SL_E_clIPtSE_SF_SF_EESI_SY_SJ_SK_SL_EUlSY_E1_NS1_11comp_targetILNS1_3genE10ELNS1_11target_archE1201ELNS1_3gpuE5ELNS1_3repE0EEENS1_36merge_oddeven_config_static_selectorELNS0_4arch9wavefront6targetE0EEEvSK_,comdat
	.protected	_ZN7rocprim17ROCPRIM_400000_NS6detail17trampoline_kernelINS0_14default_configENS1_38merge_sort_block_merge_config_selectorItNS0_10empty_typeEEEZZNS1_27merge_sort_block_merge_implIS3_N6thrust23THRUST_200600_302600_NS6detail15normal_iteratorINS9_10device_ptrItEEEEPS5_m11less_div_10ItEEE10hipError_tT0_T1_T2_jT3_P12ihipStream_tbPNSt15iterator_traitsISJ_E10value_typeEPNSP_ISK_E10value_typeEPSL_NS1_7vsmem_tEENKUlT_SJ_SK_SL_E_clIPtSE_SF_SF_EESI_SY_SJ_SK_SL_EUlSY_E1_NS1_11comp_targetILNS1_3genE10ELNS1_11target_archE1201ELNS1_3gpuE5ELNS1_3repE0EEENS1_36merge_oddeven_config_static_selectorELNS0_4arch9wavefront6targetE0EEEvSK_ ; -- Begin function _ZN7rocprim17ROCPRIM_400000_NS6detail17trampoline_kernelINS0_14default_configENS1_38merge_sort_block_merge_config_selectorItNS0_10empty_typeEEEZZNS1_27merge_sort_block_merge_implIS3_N6thrust23THRUST_200600_302600_NS6detail15normal_iteratorINS9_10device_ptrItEEEEPS5_m11less_div_10ItEEE10hipError_tT0_T1_T2_jT3_P12ihipStream_tbPNSt15iterator_traitsISJ_E10value_typeEPNSP_ISK_E10value_typeEPSL_NS1_7vsmem_tEENKUlT_SJ_SK_SL_E_clIPtSE_SF_SF_EESI_SY_SJ_SK_SL_EUlSY_E1_NS1_11comp_targetILNS1_3genE10ELNS1_11target_archE1201ELNS1_3gpuE5ELNS1_3repE0EEENS1_36merge_oddeven_config_static_selectorELNS0_4arch9wavefront6targetE0EEEvSK_
	.globl	_ZN7rocprim17ROCPRIM_400000_NS6detail17trampoline_kernelINS0_14default_configENS1_38merge_sort_block_merge_config_selectorItNS0_10empty_typeEEEZZNS1_27merge_sort_block_merge_implIS3_N6thrust23THRUST_200600_302600_NS6detail15normal_iteratorINS9_10device_ptrItEEEEPS5_m11less_div_10ItEEE10hipError_tT0_T1_T2_jT3_P12ihipStream_tbPNSt15iterator_traitsISJ_E10value_typeEPNSP_ISK_E10value_typeEPSL_NS1_7vsmem_tEENKUlT_SJ_SK_SL_E_clIPtSE_SF_SF_EESI_SY_SJ_SK_SL_EUlSY_E1_NS1_11comp_targetILNS1_3genE10ELNS1_11target_archE1201ELNS1_3gpuE5ELNS1_3repE0EEENS1_36merge_oddeven_config_static_selectorELNS0_4arch9wavefront6targetE0EEEvSK_
	.p2align	8
	.type	_ZN7rocprim17ROCPRIM_400000_NS6detail17trampoline_kernelINS0_14default_configENS1_38merge_sort_block_merge_config_selectorItNS0_10empty_typeEEEZZNS1_27merge_sort_block_merge_implIS3_N6thrust23THRUST_200600_302600_NS6detail15normal_iteratorINS9_10device_ptrItEEEEPS5_m11less_div_10ItEEE10hipError_tT0_T1_T2_jT3_P12ihipStream_tbPNSt15iterator_traitsISJ_E10value_typeEPNSP_ISK_E10value_typeEPSL_NS1_7vsmem_tEENKUlT_SJ_SK_SL_E_clIPtSE_SF_SF_EESI_SY_SJ_SK_SL_EUlSY_E1_NS1_11comp_targetILNS1_3genE10ELNS1_11target_archE1201ELNS1_3gpuE5ELNS1_3repE0EEENS1_36merge_oddeven_config_static_selectorELNS0_4arch9wavefront6targetE0EEEvSK_,@function
_ZN7rocprim17ROCPRIM_400000_NS6detail17trampoline_kernelINS0_14default_configENS1_38merge_sort_block_merge_config_selectorItNS0_10empty_typeEEEZZNS1_27merge_sort_block_merge_implIS3_N6thrust23THRUST_200600_302600_NS6detail15normal_iteratorINS9_10device_ptrItEEEEPS5_m11less_div_10ItEEE10hipError_tT0_T1_T2_jT3_P12ihipStream_tbPNSt15iterator_traitsISJ_E10value_typeEPNSP_ISK_E10value_typeEPSL_NS1_7vsmem_tEENKUlT_SJ_SK_SL_E_clIPtSE_SF_SF_EESI_SY_SJ_SK_SL_EUlSY_E1_NS1_11comp_targetILNS1_3genE10ELNS1_11target_archE1201ELNS1_3gpuE5ELNS1_3repE0EEENS1_36merge_oddeven_config_static_selectorELNS0_4arch9wavefront6targetE0EEEvSK_: ; @_ZN7rocprim17ROCPRIM_400000_NS6detail17trampoline_kernelINS0_14default_configENS1_38merge_sort_block_merge_config_selectorItNS0_10empty_typeEEEZZNS1_27merge_sort_block_merge_implIS3_N6thrust23THRUST_200600_302600_NS6detail15normal_iteratorINS9_10device_ptrItEEEEPS5_m11less_div_10ItEEE10hipError_tT0_T1_T2_jT3_P12ihipStream_tbPNSt15iterator_traitsISJ_E10value_typeEPNSP_ISK_E10value_typeEPSL_NS1_7vsmem_tEENKUlT_SJ_SK_SL_E_clIPtSE_SF_SF_EESI_SY_SJ_SK_SL_EUlSY_E1_NS1_11comp_targetILNS1_3genE10ELNS1_11target_archE1201ELNS1_3gpuE5ELNS1_3repE0EEENS1_36merge_oddeven_config_static_selectorELNS0_4arch9wavefront6targetE0EEEvSK_
; %bb.0:
	.section	.rodata,"a",@progbits
	.p2align	6, 0x0
	.amdhsa_kernel _ZN7rocprim17ROCPRIM_400000_NS6detail17trampoline_kernelINS0_14default_configENS1_38merge_sort_block_merge_config_selectorItNS0_10empty_typeEEEZZNS1_27merge_sort_block_merge_implIS3_N6thrust23THRUST_200600_302600_NS6detail15normal_iteratorINS9_10device_ptrItEEEEPS5_m11less_div_10ItEEE10hipError_tT0_T1_T2_jT3_P12ihipStream_tbPNSt15iterator_traitsISJ_E10value_typeEPNSP_ISK_E10value_typeEPSL_NS1_7vsmem_tEENKUlT_SJ_SK_SL_E_clIPtSE_SF_SF_EESI_SY_SJ_SK_SL_EUlSY_E1_NS1_11comp_targetILNS1_3genE10ELNS1_11target_archE1201ELNS1_3gpuE5ELNS1_3repE0EEENS1_36merge_oddeven_config_static_selectorELNS0_4arch9wavefront6targetE0EEEvSK_
		.amdhsa_group_segment_fixed_size 0
		.amdhsa_private_segment_fixed_size 0
		.amdhsa_kernarg_size 56
		.amdhsa_user_sgpr_count 6
		.amdhsa_user_sgpr_private_segment_buffer 1
		.amdhsa_user_sgpr_dispatch_ptr 0
		.amdhsa_user_sgpr_queue_ptr 0
		.amdhsa_user_sgpr_kernarg_segment_ptr 1
		.amdhsa_user_sgpr_dispatch_id 0
		.amdhsa_user_sgpr_flat_scratch_init 0
		.amdhsa_user_sgpr_private_segment_size 0
		.amdhsa_wavefront_size32 1
		.amdhsa_uses_dynamic_stack 0
		.amdhsa_system_sgpr_private_segment_wavefront_offset 0
		.amdhsa_system_sgpr_workgroup_id_x 1
		.amdhsa_system_sgpr_workgroup_id_y 0
		.amdhsa_system_sgpr_workgroup_id_z 0
		.amdhsa_system_sgpr_workgroup_info 0
		.amdhsa_system_vgpr_workitem_id 0
		.amdhsa_next_free_vgpr 1
		.amdhsa_next_free_sgpr 1
		.amdhsa_reserve_vcc 0
		.amdhsa_reserve_flat_scratch 0
		.amdhsa_float_round_mode_32 0
		.amdhsa_float_round_mode_16_64 0
		.amdhsa_float_denorm_mode_32 3
		.amdhsa_float_denorm_mode_16_64 3
		.amdhsa_dx10_clamp 1
		.amdhsa_ieee_mode 1
		.amdhsa_fp16_overflow 0
		.amdhsa_workgroup_processor_mode 1
		.amdhsa_memory_ordered 1
		.amdhsa_forward_progress 1
		.amdhsa_shared_vgpr_count 0
		.amdhsa_exception_fp_ieee_invalid_op 0
		.amdhsa_exception_fp_denorm_src 0
		.amdhsa_exception_fp_ieee_div_zero 0
		.amdhsa_exception_fp_ieee_overflow 0
		.amdhsa_exception_fp_ieee_underflow 0
		.amdhsa_exception_fp_ieee_inexact 0
		.amdhsa_exception_int_div_zero 0
	.end_amdhsa_kernel
	.section	.text._ZN7rocprim17ROCPRIM_400000_NS6detail17trampoline_kernelINS0_14default_configENS1_38merge_sort_block_merge_config_selectorItNS0_10empty_typeEEEZZNS1_27merge_sort_block_merge_implIS3_N6thrust23THRUST_200600_302600_NS6detail15normal_iteratorINS9_10device_ptrItEEEEPS5_m11less_div_10ItEEE10hipError_tT0_T1_T2_jT3_P12ihipStream_tbPNSt15iterator_traitsISJ_E10value_typeEPNSP_ISK_E10value_typeEPSL_NS1_7vsmem_tEENKUlT_SJ_SK_SL_E_clIPtSE_SF_SF_EESI_SY_SJ_SK_SL_EUlSY_E1_NS1_11comp_targetILNS1_3genE10ELNS1_11target_archE1201ELNS1_3gpuE5ELNS1_3repE0EEENS1_36merge_oddeven_config_static_selectorELNS0_4arch9wavefront6targetE0EEEvSK_,"axG",@progbits,_ZN7rocprim17ROCPRIM_400000_NS6detail17trampoline_kernelINS0_14default_configENS1_38merge_sort_block_merge_config_selectorItNS0_10empty_typeEEEZZNS1_27merge_sort_block_merge_implIS3_N6thrust23THRUST_200600_302600_NS6detail15normal_iteratorINS9_10device_ptrItEEEEPS5_m11less_div_10ItEEE10hipError_tT0_T1_T2_jT3_P12ihipStream_tbPNSt15iterator_traitsISJ_E10value_typeEPNSP_ISK_E10value_typeEPSL_NS1_7vsmem_tEENKUlT_SJ_SK_SL_E_clIPtSE_SF_SF_EESI_SY_SJ_SK_SL_EUlSY_E1_NS1_11comp_targetILNS1_3genE10ELNS1_11target_archE1201ELNS1_3gpuE5ELNS1_3repE0EEENS1_36merge_oddeven_config_static_selectorELNS0_4arch9wavefront6targetE0EEEvSK_,comdat
.Lfunc_end259:
	.size	_ZN7rocprim17ROCPRIM_400000_NS6detail17trampoline_kernelINS0_14default_configENS1_38merge_sort_block_merge_config_selectorItNS0_10empty_typeEEEZZNS1_27merge_sort_block_merge_implIS3_N6thrust23THRUST_200600_302600_NS6detail15normal_iteratorINS9_10device_ptrItEEEEPS5_m11less_div_10ItEEE10hipError_tT0_T1_T2_jT3_P12ihipStream_tbPNSt15iterator_traitsISJ_E10value_typeEPNSP_ISK_E10value_typeEPSL_NS1_7vsmem_tEENKUlT_SJ_SK_SL_E_clIPtSE_SF_SF_EESI_SY_SJ_SK_SL_EUlSY_E1_NS1_11comp_targetILNS1_3genE10ELNS1_11target_archE1201ELNS1_3gpuE5ELNS1_3repE0EEENS1_36merge_oddeven_config_static_selectorELNS0_4arch9wavefront6targetE0EEEvSK_, .Lfunc_end259-_ZN7rocprim17ROCPRIM_400000_NS6detail17trampoline_kernelINS0_14default_configENS1_38merge_sort_block_merge_config_selectorItNS0_10empty_typeEEEZZNS1_27merge_sort_block_merge_implIS3_N6thrust23THRUST_200600_302600_NS6detail15normal_iteratorINS9_10device_ptrItEEEEPS5_m11less_div_10ItEEE10hipError_tT0_T1_T2_jT3_P12ihipStream_tbPNSt15iterator_traitsISJ_E10value_typeEPNSP_ISK_E10value_typeEPSL_NS1_7vsmem_tEENKUlT_SJ_SK_SL_E_clIPtSE_SF_SF_EESI_SY_SJ_SK_SL_EUlSY_E1_NS1_11comp_targetILNS1_3genE10ELNS1_11target_archE1201ELNS1_3gpuE5ELNS1_3repE0EEENS1_36merge_oddeven_config_static_selectorELNS0_4arch9wavefront6targetE0EEEvSK_
                                        ; -- End function
	.set _ZN7rocprim17ROCPRIM_400000_NS6detail17trampoline_kernelINS0_14default_configENS1_38merge_sort_block_merge_config_selectorItNS0_10empty_typeEEEZZNS1_27merge_sort_block_merge_implIS3_N6thrust23THRUST_200600_302600_NS6detail15normal_iteratorINS9_10device_ptrItEEEEPS5_m11less_div_10ItEEE10hipError_tT0_T1_T2_jT3_P12ihipStream_tbPNSt15iterator_traitsISJ_E10value_typeEPNSP_ISK_E10value_typeEPSL_NS1_7vsmem_tEENKUlT_SJ_SK_SL_E_clIPtSE_SF_SF_EESI_SY_SJ_SK_SL_EUlSY_E1_NS1_11comp_targetILNS1_3genE10ELNS1_11target_archE1201ELNS1_3gpuE5ELNS1_3repE0EEENS1_36merge_oddeven_config_static_selectorELNS0_4arch9wavefront6targetE0EEEvSK_.num_vgpr, 0
	.set _ZN7rocprim17ROCPRIM_400000_NS6detail17trampoline_kernelINS0_14default_configENS1_38merge_sort_block_merge_config_selectorItNS0_10empty_typeEEEZZNS1_27merge_sort_block_merge_implIS3_N6thrust23THRUST_200600_302600_NS6detail15normal_iteratorINS9_10device_ptrItEEEEPS5_m11less_div_10ItEEE10hipError_tT0_T1_T2_jT3_P12ihipStream_tbPNSt15iterator_traitsISJ_E10value_typeEPNSP_ISK_E10value_typeEPSL_NS1_7vsmem_tEENKUlT_SJ_SK_SL_E_clIPtSE_SF_SF_EESI_SY_SJ_SK_SL_EUlSY_E1_NS1_11comp_targetILNS1_3genE10ELNS1_11target_archE1201ELNS1_3gpuE5ELNS1_3repE0EEENS1_36merge_oddeven_config_static_selectorELNS0_4arch9wavefront6targetE0EEEvSK_.num_agpr, 0
	.set _ZN7rocprim17ROCPRIM_400000_NS6detail17trampoline_kernelINS0_14default_configENS1_38merge_sort_block_merge_config_selectorItNS0_10empty_typeEEEZZNS1_27merge_sort_block_merge_implIS3_N6thrust23THRUST_200600_302600_NS6detail15normal_iteratorINS9_10device_ptrItEEEEPS5_m11less_div_10ItEEE10hipError_tT0_T1_T2_jT3_P12ihipStream_tbPNSt15iterator_traitsISJ_E10value_typeEPNSP_ISK_E10value_typeEPSL_NS1_7vsmem_tEENKUlT_SJ_SK_SL_E_clIPtSE_SF_SF_EESI_SY_SJ_SK_SL_EUlSY_E1_NS1_11comp_targetILNS1_3genE10ELNS1_11target_archE1201ELNS1_3gpuE5ELNS1_3repE0EEENS1_36merge_oddeven_config_static_selectorELNS0_4arch9wavefront6targetE0EEEvSK_.numbered_sgpr, 0
	.set _ZN7rocprim17ROCPRIM_400000_NS6detail17trampoline_kernelINS0_14default_configENS1_38merge_sort_block_merge_config_selectorItNS0_10empty_typeEEEZZNS1_27merge_sort_block_merge_implIS3_N6thrust23THRUST_200600_302600_NS6detail15normal_iteratorINS9_10device_ptrItEEEEPS5_m11less_div_10ItEEE10hipError_tT0_T1_T2_jT3_P12ihipStream_tbPNSt15iterator_traitsISJ_E10value_typeEPNSP_ISK_E10value_typeEPSL_NS1_7vsmem_tEENKUlT_SJ_SK_SL_E_clIPtSE_SF_SF_EESI_SY_SJ_SK_SL_EUlSY_E1_NS1_11comp_targetILNS1_3genE10ELNS1_11target_archE1201ELNS1_3gpuE5ELNS1_3repE0EEENS1_36merge_oddeven_config_static_selectorELNS0_4arch9wavefront6targetE0EEEvSK_.num_named_barrier, 0
	.set _ZN7rocprim17ROCPRIM_400000_NS6detail17trampoline_kernelINS0_14default_configENS1_38merge_sort_block_merge_config_selectorItNS0_10empty_typeEEEZZNS1_27merge_sort_block_merge_implIS3_N6thrust23THRUST_200600_302600_NS6detail15normal_iteratorINS9_10device_ptrItEEEEPS5_m11less_div_10ItEEE10hipError_tT0_T1_T2_jT3_P12ihipStream_tbPNSt15iterator_traitsISJ_E10value_typeEPNSP_ISK_E10value_typeEPSL_NS1_7vsmem_tEENKUlT_SJ_SK_SL_E_clIPtSE_SF_SF_EESI_SY_SJ_SK_SL_EUlSY_E1_NS1_11comp_targetILNS1_3genE10ELNS1_11target_archE1201ELNS1_3gpuE5ELNS1_3repE0EEENS1_36merge_oddeven_config_static_selectorELNS0_4arch9wavefront6targetE0EEEvSK_.private_seg_size, 0
	.set _ZN7rocprim17ROCPRIM_400000_NS6detail17trampoline_kernelINS0_14default_configENS1_38merge_sort_block_merge_config_selectorItNS0_10empty_typeEEEZZNS1_27merge_sort_block_merge_implIS3_N6thrust23THRUST_200600_302600_NS6detail15normal_iteratorINS9_10device_ptrItEEEEPS5_m11less_div_10ItEEE10hipError_tT0_T1_T2_jT3_P12ihipStream_tbPNSt15iterator_traitsISJ_E10value_typeEPNSP_ISK_E10value_typeEPSL_NS1_7vsmem_tEENKUlT_SJ_SK_SL_E_clIPtSE_SF_SF_EESI_SY_SJ_SK_SL_EUlSY_E1_NS1_11comp_targetILNS1_3genE10ELNS1_11target_archE1201ELNS1_3gpuE5ELNS1_3repE0EEENS1_36merge_oddeven_config_static_selectorELNS0_4arch9wavefront6targetE0EEEvSK_.uses_vcc, 0
	.set _ZN7rocprim17ROCPRIM_400000_NS6detail17trampoline_kernelINS0_14default_configENS1_38merge_sort_block_merge_config_selectorItNS0_10empty_typeEEEZZNS1_27merge_sort_block_merge_implIS3_N6thrust23THRUST_200600_302600_NS6detail15normal_iteratorINS9_10device_ptrItEEEEPS5_m11less_div_10ItEEE10hipError_tT0_T1_T2_jT3_P12ihipStream_tbPNSt15iterator_traitsISJ_E10value_typeEPNSP_ISK_E10value_typeEPSL_NS1_7vsmem_tEENKUlT_SJ_SK_SL_E_clIPtSE_SF_SF_EESI_SY_SJ_SK_SL_EUlSY_E1_NS1_11comp_targetILNS1_3genE10ELNS1_11target_archE1201ELNS1_3gpuE5ELNS1_3repE0EEENS1_36merge_oddeven_config_static_selectorELNS0_4arch9wavefront6targetE0EEEvSK_.uses_flat_scratch, 0
	.set _ZN7rocprim17ROCPRIM_400000_NS6detail17trampoline_kernelINS0_14default_configENS1_38merge_sort_block_merge_config_selectorItNS0_10empty_typeEEEZZNS1_27merge_sort_block_merge_implIS3_N6thrust23THRUST_200600_302600_NS6detail15normal_iteratorINS9_10device_ptrItEEEEPS5_m11less_div_10ItEEE10hipError_tT0_T1_T2_jT3_P12ihipStream_tbPNSt15iterator_traitsISJ_E10value_typeEPNSP_ISK_E10value_typeEPSL_NS1_7vsmem_tEENKUlT_SJ_SK_SL_E_clIPtSE_SF_SF_EESI_SY_SJ_SK_SL_EUlSY_E1_NS1_11comp_targetILNS1_3genE10ELNS1_11target_archE1201ELNS1_3gpuE5ELNS1_3repE0EEENS1_36merge_oddeven_config_static_selectorELNS0_4arch9wavefront6targetE0EEEvSK_.has_dyn_sized_stack, 0
	.set _ZN7rocprim17ROCPRIM_400000_NS6detail17trampoline_kernelINS0_14default_configENS1_38merge_sort_block_merge_config_selectorItNS0_10empty_typeEEEZZNS1_27merge_sort_block_merge_implIS3_N6thrust23THRUST_200600_302600_NS6detail15normal_iteratorINS9_10device_ptrItEEEEPS5_m11less_div_10ItEEE10hipError_tT0_T1_T2_jT3_P12ihipStream_tbPNSt15iterator_traitsISJ_E10value_typeEPNSP_ISK_E10value_typeEPSL_NS1_7vsmem_tEENKUlT_SJ_SK_SL_E_clIPtSE_SF_SF_EESI_SY_SJ_SK_SL_EUlSY_E1_NS1_11comp_targetILNS1_3genE10ELNS1_11target_archE1201ELNS1_3gpuE5ELNS1_3repE0EEENS1_36merge_oddeven_config_static_selectorELNS0_4arch9wavefront6targetE0EEEvSK_.has_recursion, 0
	.set _ZN7rocprim17ROCPRIM_400000_NS6detail17trampoline_kernelINS0_14default_configENS1_38merge_sort_block_merge_config_selectorItNS0_10empty_typeEEEZZNS1_27merge_sort_block_merge_implIS3_N6thrust23THRUST_200600_302600_NS6detail15normal_iteratorINS9_10device_ptrItEEEEPS5_m11less_div_10ItEEE10hipError_tT0_T1_T2_jT3_P12ihipStream_tbPNSt15iterator_traitsISJ_E10value_typeEPNSP_ISK_E10value_typeEPSL_NS1_7vsmem_tEENKUlT_SJ_SK_SL_E_clIPtSE_SF_SF_EESI_SY_SJ_SK_SL_EUlSY_E1_NS1_11comp_targetILNS1_3genE10ELNS1_11target_archE1201ELNS1_3gpuE5ELNS1_3repE0EEENS1_36merge_oddeven_config_static_selectorELNS0_4arch9wavefront6targetE0EEEvSK_.has_indirect_call, 0
	.section	.AMDGPU.csdata,"",@progbits
; Kernel info:
; codeLenInByte = 0
; TotalNumSgprs: 0
; NumVgprs: 0
; ScratchSize: 0
; MemoryBound: 0
; FloatMode: 240
; IeeeMode: 1
; LDSByteSize: 0 bytes/workgroup (compile time only)
; SGPRBlocks: 0
; VGPRBlocks: 0
; NumSGPRsForWavesPerEU: 1
; NumVGPRsForWavesPerEU: 1
; Occupancy: 16
; WaveLimiterHint : 0
; COMPUTE_PGM_RSRC2:SCRATCH_EN: 0
; COMPUTE_PGM_RSRC2:USER_SGPR: 6
; COMPUTE_PGM_RSRC2:TRAP_HANDLER: 0
; COMPUTE_PGM_RSRC2:TGID_X_EN: 1
; COMPUTE_PGM_RSRC2:TGID_Y_EN: 0
; COMPUTE_PGM_RSRC2:TGID_Z_EN: 0
; COMPUTE_PGM_RSRC2:TIDIG_COMP_CNT: 0
	.section	.text._ZN7rocprim17ROCPRIM_400000_NS6detail17trampoline_kernelINS0_14default_configENS1_38merge_sort_block_merge_config_selectorItNS0_10empty_typeEEEZZNS1_27merge_sort_block_merge_implIS3_N6thrust23THRUST_200600_302600_NS6detail15normal_iteratorINS9_10device_ptrItEEEEPS5_m11less_div_10ItEEE10hipError_tT0_T1_T2_jT3_P12ihipStream_tbPNSt15iterator_traitsISJ_E10value_typeEPNSP_ISK_E10value_typeEPSL_NS1_7vsmem_tEENKUlT_SJ_SK_SL_E_clIPtSE_SF_SF_EESI_SY_SJ_SK_SL_EUlSY_E1_NS1_11comp_targetILNS1_3genE5ELNS1_11target_archE942ELNS1_3gpuE9ELNS1_3repE0EEENS1_36merge_oddeven_config_static_selectorELNS0_4arch9wavefront6targetE0EEEvSK_,"axG",@progbits,_ZN7rocprim17ROCPRIM_400000_NS6detail17trampoline_kernelINS0_14default_configENS1_38merge_sort_block_merge_config_selectorItNS0_10empty_typeEEEZZNS1_27merge_sort_block_merge_implIS3_N6thrust23THRUST_200600_302600_NS6detail15normal_iteratorINS9_10device_ptrItEEEEPS5_m11less_div_10ItEEE10hipError_tT0_T1_T2_jT3_P12ihipStream_tbPNSt15iterator_traitsISJ_E10value_typeEPNSP_ISK_E10value_typeEPSL_NS1_7vsmem_tEENKUlT_SJ_SK_SL_E_clIPtSE_SF_SF_EESI_SY_SJ_SK_SL_EUlSY_E1_NS1_11comp_targetILNS1_3genE5ELNS1_11target_archE942ELNS1_3gpuE9ELNS1_3repE0EEENS1_36merge_oddeven_config_static_selectorELNS0_4arch9wavefront6targetE0EEEvSK_,comdat
	.protected	_ZN7rocprim17ROCPRIM_400000_NS6detail17trampoline_kernelINS0_14default_configENS1_38merge_sort_block_merge_config_selectorItNS0_10empty_typeEEEZZNS1_27merge_sort_block_merge_implIS3_N6thrust23THRUST_200600_302600_NS6detail15normal_iteratorINS9_10device_ptrItEEEEPS5_m11less_div_10ItEEE10hipError_tT0_T1_T2_jT3_P12ihipStream_tbPNSt15iterator_traitsISJ_E10value_typeEPNSP_ISK_E10value_typeEPSL_NS1_7vsmem_tEENKUlT_SJ_SK_SL_E_clIPtSE_SF_SF_EESI_SY_SJ_SK_SL_EUlSY_E1_NS1_11comp_targetILNS1_3genE5ELNS1_11target_archE942ELNS1_3gpuE9ELNS1_3repE0EEENS1_36merge_oddeven_config_static_selectorELNS0_4arch9wavefront6targetE0EEEvSK_ ; -- Begin function _ZN7rocprim17ROCPRIM_400000_NS6detail17trampoline_kernelINS0_14default_configENS1_38merge_sort_block_merge_config_selectorItNS0_10empty_typeEEEZZNS1_27merge_sort_block_merge_implIS3_N6thrust23THRUST_200600_302600_NS6detail15normal_iteratorINS9_10device_ptrItEEEEPS5_m11less_div_10ItEEE10hipError_tT0_T1_T2_jT3_P12ihipStream_tbPNSt15iterator_traitsISJ_E10value_typeEPNSP_ISK_E10value_typeEPSL_NS1_7vsmem_tEENKUlT_SJ_SK_SL_E_clIPtSE_SF_SF_EESI_SY_SJ_SK_SL_EUlSY_E1_NS1_11comp_targetILNS1_3genE5ELNS1_11target_archE942ELNS1_3gpuE9ELNS1_3repE0EEENS1_36merge_oddeven_config_static_selectorELNS0_4arch9wavefront6targetE0EEEvSK_
	.globl	_ZN7rocprim17ROCPRIM_400000_NS6detail17trampoline_kernelINS0_14default_configENS1_38merge_sort_block_merge_config_selectorItNS0_10empty_typeEEEZZNS1_27merge_sort_block_merge_implIS3_N6thrust23THRUST_200600_302600_NS6detail15normal_iteratorINS9_10device_ptrItEEEEPS5_m11less_div_10ItEEE10hipError_tT0_T1_T2_jT3_P12ihipStream_tbPNSt15iterator_traitsISJ_E10value_typeEPNSP_ISK_E10value_typeEPSL_NS1_7vsmem_tEENKUlT_SJ_SK_SL_E_clIPtSE_SF_SF_EESI_SY_SJ_SK_SL_EUlSY_E1_NS1_11comp_targetILNS1_3genE5ELNS1_11target_archE942ELNS1_3gpuE9ELNS1_3repE0EEENS1_36merge_oddeven_config_static_selectorELNS0_4arch9wavefront6targetE0EEEvSK_
	.p2align	8
	.type	_ZN7rocprim17ROCPRIM_400000_NS6detail17trampoline_kernelINS0_14default_configENS1_38merge_sort_block_merge_config_selectorItNS0_10empty_typeEEEZZNS1_27merge_sort_block_merge_implIS3_N6thrust23THRUST_200600_302600_NS6detail15normal_iteratorINS9_10device_ptrItEEEEPS5_m11less_div_10ItEEE10hipError_tT0_T1_T2_jT3_P12ihipStream_tbPNSt15iterator_traitsISJ_E10value_typeEPNSP_ISK_E10value_typeEPSL_NS1_7vsmem_tEENKUlT_SJ_SK_SL_E_clIPtSE_SF_SF_EESI_SY_SJ_SK_SL_EUlSY_E1_NS1_11comp_targetILNS1_3genE5ELNS1_11target_archE942ELNS1_3gpuE9ELNS1_3repE0EEENS1_36merge_oddeven_config_static_selectorELNS0_4arch9wavefront6targetE0EEEvSK_,@function
_ZN7rocprim17ROCPRIM_400000_NS6detail17trampoline_kernelINS0_14default_configENS1_38merge_sort_block_merge_config_selectorItNS0_10empty_typeEEEZZNS1_27merge_sort_block_merge_implIS3_N6thrust23THRUST_200600_302600_NS6detail15normal_iteratorINS9_10device_ptrItEEEEPS5_m11less_div_10ItEEE10hipError_tT0_T1_T2_jT3_P12ihipStream_tbPNSt15iterator_traitsISJ_E10value_typeEPNSP_ISK_E10value_typeEPSL_NS1_7vsmem_tEENKUlT_SJ_SK_SL_E_clIPtSE_SF_SF_EESI_SY_SJ_SK_SL_EUlSY_E1_NS1_11comp_targetILNS1_3genE5ELNS1_11target_archE942ELNS1_3gpuE9ELNS1_3repE0EEENS1_36merge_oddeven_config_static_selectorELNS0_4arch9wavefront6targetE0EEEvSK_: ; @_ZN7rocprim17ROCPRIM_400000_NS6detail17trampoline_kernelINS0_14default_configENS1_38merge_sort_block_merge_config_selectorItNS0_10empty_typeEEEZZNS1_27merge_sort_block_merge_implIS3_N6thrust23THRUST_200600_302600_NS6detail15normal_iteratorINS9_10device_ptrItEEEEPS5_m11less_div_10ItEEE10hipError_tT0_T1_T2_jT3_P12ihipStream_tbPNSt15iterator_traitsISJ_E10value_typeEPNSP_ISK_E10value_typeEPSL_NS1_7vsmem_tEENKUlT_SJ_SK_SL_E_clIPtSE_SF_SF_EESI_SY_SJ_SK_SL_EUlSY_E1_NS1_11comp_targetILNS1_3genE5ELNS1_11target_archE942ELNS1_3gpuE9ELNS1_3repE0EEENS1_36merge_oddeven_config_static_selectorELNS0_4arch9wavefront6targetE0EEEvSK_
; %bb.0:
	.section	.rodata,"a",@progbits
	.p2align	6, 0x0
	.amdhsa_kernel _ZN7rocprim17ROCPRIM_400000_NS6detail17trampoline_kernelINS0_14default_configENS1_38merge_sort_block_merge_config_selectorItNS0_10empty_typeEEEZZNS1_27merge_sort_block_merge_implIS3_N6thrust23THRUST_200600_302600_NS6detail15normal_iteratorINS9_10device_ptrItEEEEPS5_m11less_div_10ItEEE10hipError_tT0_T1_T2_jT3_P12ihipStream_tbPNSt15iterator_traitsISJ_E10value_typeEPNSP_ISK_E10value_typeEPSL_NS1_7vsmem_tEENKUlT_SJ_SK_SL_E_clIPtSE_SF_SF_EESI_SY_SJ_SK_SL_EUlSY_E1_NS1_11comp_targetILNS1_3genE5ELNS1_11target_archE942ELNS1_3gpuE9ELNS1_3repE0EEENS1_36merge_oddeven_config_static_selectorELNS0_4arch9wavefront6targetE0EEEvSK_
		.amdhsa_group_segment_fixed_size 0
		.amdhsa_private_segment_fixed_size 0
		.amdhsa_kernarg_size 56
		.amdhsa_user_sgpr_count 6
		.amdhsa_user_sgpr_private_segment_buffer 1
		.amdhsa_user_sgpr_dispatch_ptr 0
		.amdhsa_user_sgpr_queue_ptr 0
		.amdhsa_user_sgpr_kernarg_segment_ptr 1
		.amdhsa_user_sgpr_dispatch_id 0
		.amdhsa_user_sgpr_flat_scratch_init 0
		.amdhsa_user_sgpr_private_segment_size 0
		.amdhsa_wavefront_size32 1
		.amdhsa_uses_dynamic_stack 0
		.amdhsa_system_sgpr_private_segment_wavefront_offset 0
		.amdhsa_system_sgpr_workgroup_id_x 1
		.amdhsa_system_sgpr_workgroup_id_y 0
		.amdhsa_system_sgpr_workgroup_id_z 0
		.amdhsa_system_sgpr_workgroup_info 0
		.amdhsa_system_vgpr_workitem_id 0
		.amdhsa_next_free_vgpr 1
		.amdhsa_next_free_sgpr 1
		.amdhsa_reserve_vcc 0
		.amdhsa_reserve_flat_scratch 0
		.amdhsa_float_round_mode_32 0
		.amdhsa_float_round_mode_16_64 0
		.amdhsa_float_denorm_mode_32 3
		.amdhsa_float_denorm_mode_16_64 3
		.amdhsa_dx10_clamp 1
		.amdhsa_ieee_mode 1
		.amdhsa_fp16_overflow 0
		.amdhsa_workgroup_processor_mode 1
		.amdhsa_memory_ordered 1
		.amdhsa_forward_progress 1
		.amdhsa_shared_vgpr_count 0
		.amdhsa_exception_fp_ieee_invalid_op 0
		.amdhsa_exception_fp_denorm_src 0
		.amdhsa_exception_fp_ieee_div_zero 0
		.amdhsa_exception_fp_ieee_overflow 0
		.amdhsa_exception_fp_ieee_underflow 0
		.amdhsa_exception_fp_ieee_inexact 0
		.amdhsa_exception_int_div_zero 0
	.end_amdhsa_kernel
	.section	.text._ZN7rocprim17ROCPRIM_400000_NS6detail17trampoline_kernelINS0_14default_configENS1_38merge_sort_block_merge_config_selectorItNS0_10empty_typeEEEZZNS1_27merge_sort_block_merge_implIS3_N6thrust23THRUST_200600_302600_NS6detail15normal_iteratorINS9_10device_ptrItEEEEPS5_m11less_div_10ItEEE10hipError_tT0_T1_T2_jT3_P12ihipStream_tbPNSt15iterator_traitsISJ_E10value_typeEPNSP_ISK_E10value_typeEPSL_NS1_7vsmem_tEENKUlT_SJ_SK_SL_E_clIPtSE_SF_SF_EESI_SY_SJ_SK_SL_EUlSY_E1_NS1_11comp_targetILNS1_3genE5ELNS1_11target_archE942ELNS1_3gpuE9ELNS1_3repE0EEENS1_36merge_oddeven_config_static_selectorELNS0_4arch9wavefront6targetE0EEEvSK_,"axG",@progbits,_ZN7rocprim17ROCPRIM_400000_NS6detail17trampoline_kernelINS0_14default_configENS1_38merge_sort_block_merge_config_selectorItNS0_10empty_typeEEEZZNS1_27merge_sort_block_merge_implIS3_N6thrust23THRUST_200600_302600_NS6detail15normal_iteratorINS9_10device_ptrItEEEEPS5_m11less_div_10ItEEE10hipError_tT0_T1_T2_jT3_P12ihipStream_tbPNSt15iterator_traitsISJ_E10value_typeEPNSP_ISK_E10value_typeEPSL_NS1_7vsmem_tEENKUlT_SJ_SK_SL_E_clIPtSE_SF_SF_EESI_SY_SJ_SK_SL_EUlSY_E1_NS1_11comp_targetILNS1_3genE5ELNS1_11target_archE942ELNS1_3gpuE9ELNS1_3repE0EEENS1_36merge_oddeven_config_static_selectorELNS0_4arch9wavefront6targetE0EEEvSK_,comdat
.Lfunc_end260:
	.size	_ZN7rocprim17ROCPRIM_400000_NS6detail17trampoline_kernelINS0_14default_configENS1_38merge_sort_block_merge_config_selectorItNS0_10empty_typeEEEZZNS1_27merge_sort_block_merge_implIS3_N6thrust23THRUST_200600_302600_NS6detail15normal_iteratorINS9_10device_ptrItEEEEPS5_m11less_div_10ItEEE10hipError_tT0_T1_T2_jT3_P12ihipStream_tbPNSt15iterator_traitsISJ_E10value_typeEPNSP_ISK_E10value_typeEPSL_NS1_7vsmem_tEENKUlT_SJ_SK_SL_E_clIPtSE_SF_SF_EESI_SY_SJ_SK_SL_EUlSY_E1_NS1_11comp_targetILNS1_3genE5ELNS1_11target_archE942ELNS1_3gpuE9ELNS1_3repE0EEENS1_36merge_oddeven_config_static_selectorELNS0_4arch9wavefront6targetE0EEEvSK_, .Lfunc_end260-_ZN7rocprim17ROCPRIM_400000_NS6detail17trampoline_kernelINS0_14default_configENS1_38merge_sort_block_merge_config_selectorItNS0_10empty_typeEEEZZNS1_27merge_sort_block_merge_implIS3_N6thrust23THRUST_200600_302600_NS6detail15normal_iteratorINS9_10device_ptrItEEEEPS5_m11less_div_10ItEEE10hipError_tT0_T1_T2_jT3_P12ihipStream_tbPNSt15iterator_traitsISJ_E10value_typeEPNSP_ISK_E10value_typeEPSL_NS1_7vsmem_tEENKUlT_SJ_SK_SL_E_clIPtSE_SF_SF_EESI_SY_SJ_SK_SL_EUlSY_E1_NS1_11comp_targetILNS1_3genE5ELNS1_11target_archE942ELNS1_3gpuE9ELNS1_3repE0EEENS1_36merge_oddeven_config_static_selectorELNS0_4arch9wavefront6targetE0EEEvSK_
                                        ; -- End function
	.set _ZN7rocprim17ROCPRIM_400000_NS6detail17trampoline_kernelINS0_14default_configENS1_38merge_sort_block_merge_config_selectorItNS0_10empty_typeEEEZZNS1_27merge_sort_block_merge_implIS3_N6thrust23THRUST_200600_302600_NS6detail15normal_iteratorINS9_10device_ptrItEEEEPS5_m11less_div_10ItEEE10hipError_tT0_T1_T2_jT3_P12ihipStream_tbPNSt15iterator_traitsISJ_E10value_typeEPNSP_ISK_E10value_typeEPSL_NS1_7vsmem_tEENKUlT_SJ_SK_SL_E_clIPtSE_SF_SF_EESI_SY_SJ_SK_SL_EUlSY_E1_NS1_11comp_targetILNS1_3genE5ELNS1_11target_archE942ELNS1_3gpuE9ELNS1_3repE0EEENS1_36merge_oddeven_config_static_selectorELNS0_4arch9wavefront6targetE0EEEvSK_.num_vgpr, 0
	.set _ZN7rocprim17ROCPRIM_400000_NS6detail17trampoline_kernelINS0_14default_configENS1_38merge_sort_block_merge_config_selectorItNS0_10empty_typeEEEZZNS1_27merge_sort_block_merge_implIS3_N6thrust23THRUST_200600_302600_NS6detail15normal_iteratorINS9_10device_ptrItEEEEPS5_m11less_div_10ItEEE10hipError_tT0_T1_T2_jT3_P12ihipStream_tbPNSt15iterator_traitsISJ_E10value_typeEPNSP_ISK_E10value_typeEPSL_NS1_7vsmem_tEENKUlT_SJ_SK_SL_E_clIPtSE_SF_SF_EESI_SY_SJ_SK_SL_EUlSY_E1_NS1_11comp_targetILNS1_3genE5ELNS1_11target_archE942ELNS1_3gpuE9ELNS1_3repE0EEENS1_36merge_oddeven_config_static_selectorELNS0_4arch9wavefront6targetE0EEEvSK_.num_agpr, 0
	.set _ZN7rocprim17ROCPRIM_400000_NS6detail17trampoline_kernelINS0_14default_configENS1_38merge_sort_block_merge_config_selectorItNS0_10empty_typeEEEZZNS1_27merge_sort_block_merge_implIS3_N6thrust23THRUST_200600_302600_NS6detail15normal_iteratorINS9_10device_ptrItEEEEPS5_m11less_div_10ItEEE10hipError_tT0_T1_T2_jT3_P12ihipStream_tbPNSt15iterator_traitsISJ_E10value_typeEPNSP_ISK_E10value_typeEPSL_NS1_7vsmem_tEENKUlT_SJ_SK_SL_E_clIPtSE_SF_SF_EESI_SY_SJ_SK_SL_EUlSY_E1_NS1_11comp_targetILNS1_3genE5ELNS1_11target_archE942ELNS1_3gpuE9ELNS1_3repE0EEENS1_36merge_oddeven_config_static_selectorELNS0_4arch9wavefront6targetE0EEEvSK_.numbered_sgpr, 0
	.set _ZN7rocprim17ROCPRIM_400000_NS6detail17trampoline_kernelINS0_14default_configENS1_38merge_sort_block_merge_config_selectorItNS0_10empty_typeEEEZZNS1_27merge_sort_block_merge_implIS3_N6thrust23THRUST_200600_302600_NS6detail15normal_iteratorINS9_10device_ptrItEEEEPS5_m11less_div_10ItEEE10hipError_tT0_T1_T2_jT3_P12ihipStream_tbPNSt15iterator_traitsISJ_E10value_typeEPNSP_ISK_E10value_typeEPSL_NS1_7vsmem_tEENKUlT_SJ_SK_SL_E_clIPtSE_SF_SF_EESI_SY_SJ_SK_SL_EUlSY_E1_NS1_11comp_targetILNS1_3genE5ELNS1_11target_archE942ELNS1_3gpuE9ELNS1_3repE0EEENS1_36merge_oddeven_config_static_selectorELNS0_4arch9wavefront6targetE0EEEvSK_.num_named_barrier, 0
	.set _ZN7rocprim17ROCPRIM_400000_NS6detail17trampoline_kernelINS0_14default_configENS1_38merge_sort_block_merge_config_selectorItNS0_10empty_typeEEEZZNS1_27merge_sort_block_merge_implIS3_N6thrust23THRUST_200600_302600_NS6detail15normal_iteratorINS9_10device_ptrItEEEEPS5_m11less_div_10ItEEE10hipError_tT0_T1_T2_jT3_P12ihipStream_tbPNSt15iterator_traitsISJ_E10value_typeEPNSP_ISK_E10value_typeEPSL_NS1_7vsmem_tEENKUlT_SJ_SK_SL_E_clIPtSE_SF_SF_EESI_SY_SJ_SK_SL_EUlSY_E1_NS1_11comp_targetILNS1_3genE5ELNS1_11target_archE942ELNS1_3gpuE9ELNS1_3repE0EEENS1_36merge_oddeven_config_static_selectorELNS0_4arch9wavefront6targetE0EEEvSK_.private_seg_size, 0
	.set _ZN7rocprim17ROCPRIM_400000_NS6detail17trampoline_kernelINS0_14default_configENS1_38merge_sort_block_merge_config_selectorItNS0_10empty_typeEEEZZNS1_27merge_sort_block_merge_implIS3_N6thrust23THRUST_200600_302600_NS6detail15normal_iteratorINS9_10device_ptrItEEEEPS5_m11less_div_10ItEEE10hipError_tT0_T1_T2_jT3_P12ihipStream_tbPNSt15iterator_traitsISJ_E10value_typeEPNSP_ISK_E10value_typeEPSL_NS1_7vsmem_tEENKUlT_SJ_SK_SL_E_clIPtSE_SF_SF_EESI_SY_SJ_SK_SL_EUlSY_E1_NS1_11comp_targetILNS1_3genE5ELNS1_11target_archE942ELNS1_3gpuE9ELNS1_3repE0EEENS1_36merge_oddeven_config_static_selectorELNS0_4arch9wavefront6targetE0EEEvSK_.uses_vcc, 0
	.set _ZN7rocprim17ROCPRIM_400000_NS6detail17trampoline_kernelINS0_14default_configENS1_38merge_sort_block_merge_config_selectorItNS0_10empty_typeEEEZZNS1_27merge_sort_block_merge_implIS3_N6thrust23THRUST_200600_302600_NS6detail15normal_iteratorINS9_10device_ptrItEEEEPS5_m11less_div_10ItEEE10hipError_tT0_T1_T2_jT3_P12ihipStream_tbPNSt15iterator_traitsISJ_E10value_typeEPNSP_ISK_E10value_typeEPSL_NS1_7vsmem_tEENKUlT_SJ_SK_SL_E_clIPtSE_SF_SF_EESI_SY_SJ_SK_SL_EUlSY_E1_NS1_11comp_targetILNS1_3genE5ELNS1_11target_archE942ELNS1_3gpuE9ELNS1_3repE0EEENS1_36merge_oddeven_config_static_selectorELNS0_4arch9wavefront6targetE0EEEvSK_.uses_flat_scratch, 0
	.set _ZN7rocprim17ROCPRIM_400000_NS6detail17trampoline_kernelINS0_14default_configENS1_38merge_sort_block_merge_config_selectorItNS0_10empty_typeEEEZZNS1_27merge_sort_block_merge_implIS3_N6thrust23THRUST_200600_302600_NS6detail15normal_iteratorINS9_10device_ptrItEEEEPS5_m11less_div_10ItEEE10hipError_tT0_T1_T2_jT3_P12ihipStream_tbPNSt15iterator_traitsISJ_E10value_typeEPNSP_ISK_E10value_typeEPSL_NS1_7vsmem_tEENKUlT_SJ_SK_SL_E_clIPtSE_SF_SF_EESI_SY_SJ_SK_SL_EUlSY_E1_NS1_11comp_targetILNS1_3genE5ELNS1_11target_archE942ELNS1_3gpuE9ELNS1_3repE0EEENS1_36merge_oddeven_config_static_selectorELNS0_4arch9wavefront6targetE0EEEvSK_.has_dyn_sized_stack, 0
	.set _ZN7rocprim17ROCPRIM_400000_NS6detail17trampoline_kernelINS0_14default_configENS1_38merge_sort_block_merge_config_selectorItNS0_10empty_typeEEEZZNS1_27merge_sort_block_merge_implIS3_N6thrust23THRUST_200600_302600_NS6detail15normal_iteratorINS9_10device_ptrItEEEEPS5_m11less_div_10ItEEE10hipError_tT0_T1_T2_jT3_P12ihipStream_tbPNSt15iterator_traitsISJ_E10value_typeEPNSP_ISK_E10value_typeEPSL_NS1_7vsmem_tEENKUlT_SJ_SK_SL_E_clIPtSE_SF_SF_EESI_SY_SJ_SK_SL_EUlSY_E1_NS1_11comp_targetILNS1_3genE5ELNS1_11target_archE942ELNS1_3gpuE9ELNS1_3repE0EEENS1_36merge_oddeven_config_static_selectorELNS0_4arch9wavefront6targetE0EEEvSK_.has_recursion, 0
	.set _ZN7rocprim17ROCPRIM_400000_NS6detail17trampoline_kernelINS0_14default_configENS1_38merge_sort_block_merge_config_selectorItNS0_10empty_typeEEEZZNS1_27merge_sort_block_merge_implIS3_N6thrust23THRUST_200600_302600_NS6detail15normal_iteratorINS9_10device_ptrItEEEEPS5_m11less_div_10ItEEE10hipError_tT0_T1_T2_jT3_P12ihipStream_tbPNSt15iterator_traitsISJ_E10value_typeEPNSP_ISK_E10value_typeEPSL_NS1_7vsmem_tEENKUlT_SJ_SK_SL_E_clIPtSE_SF_SF_EESI_SY_SJ_SK_SL_EUlSY_E1_NS1_11comp_targetILNS1_3genE5ELNS1_11target_archE942ELNS1_3gpuE9ELNS1_3repE0EEENS1_36merge_oddeven_config_static_selectorELNS0_4arch9wavefront6targetE0EEEvSK_.has_indirect_call, 0
	.section	.AMDGPU.csdata,"",@progbits
; Kernel info:
; codeLenInByte = 0
; TotalNumSgprs: 0
; NumVgprs: 0
; ScratchSize: 0
; MemoryBound: 0
; FloatMode: 240
; IeeeMode: 1
; LDSByteSize: 0 bytes/workgroup (compile time only)
; SGPRBlocks: 0
; VGPRBlocks: 0
; NumSGPRsForWavesPerEU: 1
; NumVGPRsForWavesPerEU: 1
; Occupancy: 16
; WaveLimiterHint : 0
; COMPUTE_PGM_RSRC2:SCRATCH_EN: 0
; COMPUTE_PGM_RSRC2:USER_SGPR: 6
; COMPUTE_PGM_RSRC2:TRAP_HANDLER: 0
; COMPUTE_PGM_RSRC2:TGID_X_EN: 1
; COMPUTE_PGM_RSRC2:TGID_Y_EN: 0
; COMPUTE_PGM_RSRC2:TGID_Z_EN: 0
; COMPUTE_PGM_RSRC2:TIDIG_COMP_CNT: 0
	.section	.text._ZN7rocprim17ROCPRIM_400000_NS6detail17trampoline_kernelINS0_14default_configENS1_38merge_sort_block_merge_config_selectorItNS0_10empty_typeEEEZZNS1_27merge_sort_block_merge_implIS3_N6thrust23THRUST_200600_302600_NS6detail15normal_iteratorINS9_10device_ptrItEEEEPS5_m11less_div_10ItEEE10hipError_tT0_T1_T2_jT3_P12ihipStream_tbPNSt15iterator_traitsISJ_E10value_typeEPNSP_ISK_E10value_typeEPSL_NS1_7vsmem_tEENKUlT_SJ_SK_SL_E_clIPtSE_SF_SF_EESI_SY_SJ_SK_SL_EUlSY_E1_NS1_11comp_targetILNS1_3genE4ELNS1_11target_archE910ELNS1_3gpuE8ELNS1_3repE0EEENS1_36merge_oddeven_config_static_selectorELNS0_4arch9wavefront6targetE0EEEvSK_,"axG",@progbits,_ZN7rocprim17ROCPRIM_400000_NS6detail17trampoline_kernelINS0_14default_configENS1_38merge_sort_block_merge_config_selectorItNS0_10empty_typeEEEZZNS1_27merge_sort_block_merge_implIS3_N6thrust23THRUST_200600_302600_NS6detail15normal_iteratorINS9_10device_ptrItEEEEPS5_m11less_div_10ItEEE10hipError_tT0_T1_T2_jT3_P12ihipStream_tbPNSt15iterator_traitsISJ_E10value_typeEPNSP_ISK_E10value_typeEPSL_NS1_7vsmem_tEENKUlT_SJ_SK_SL_E_clIPtSE_SF_SF_EESI_SY_SJ_SK_SL_EUlSY_E1_NS1_11comp_targetILNS1_3genE4ELNS1_11target_archE910ELNS1_3gpuE8ELNS1_3repE0EEENS1_36merge_oddeven_config_static_selectorELNS0_4arch9wavefront6targetE0EEEvSK_,comdat
	.protected	_ZN7rocprim17ROCPRIM_400000_NS6detail17trampoline_kernelINS0_14default_configENS1_38merge_sort_block_merge_config_selectorItNS0_10empty_typeEEEZZNS1_27merge_sort_block_merge_implIS3_N6thrust23THRUST_200600_302600_NS6detail15normal_iteratorINS9_10device_ptrItEEEEPS5_m11less_div_10ItEEE10hipError_tT0_T1_T2_jT3_P12ihipStream_tbPNSt15iterator_traitsISJ_E10value_typeEPNSP_ISK_E10value_typeEPSL_NS1_7vsmem_tEENKUlT_SJ_SK_SL_E_clIPtSE_SF_SF_EESI_SY_SJ_SK_SL_EUlSY_E1_NS1_11comp_targetILNS1_3genE4ELNS1_11target_archE910ELNS1_3gpuE8ELNS1_3repE0EEENS1_36merge_oddeven_config_static_selectorELNS0_4arch9wavefront6targetE0EEEvSK_ ; -- Begin function _ZN7rocprim17ROCPRIM_400000_NS6detail17trampoline_kernelINS0_14default_configENS1_38merge_sort_block_merge_config_selectorItNS0_10empty_typeEEEZZNS1_27merge_sort_block_merge_implIS3_N6thrust23THRUST_200600_302600_NS6detail15normal_iteratorINS9_10device_ptrItEEEEPS5_m11less_div_10ItEEE10hipError_tT0_T1_T2_jT3_P12ihipStream_tbPNSt15iterator_traitsISJ_E10value_typeEPNSP_ISK_E10value_typeEPSL_NS1_7vsmem_tEENKUlT_SJ_SK_SL_E_clIPtSE_SF_SF_EESI_SY_SJ_SK_SL_EUlSY_E1_NS1_11comp_targetILNS1_3genE4ELNS1_11target_archE910ELNS1_3gpuE8ELNS1_3repE0EEENS1_36merge_oddeven_config_static_selectorELNS0_4arch9wavefront6targetE0EEEvSK_
	.globl	_ZN7rocprim17ROCPRIM_400000_NS6detail17trampoline_kernelINS0_14default_configENS1_38merge_sort_block_merge_config_selectorItNS0_10empty_typeEEEZZNS1_27merge_sort_block_merge_implIS3_N6thrust23THRUST_200600_302600_NS6detail15normal_iteratorINS9_10device_ptrItEEEEPS5_m11less_div_10ItEEE10hipError_tT0_T1_T2_jT3_P12ihipStream_tbPNSt15iterator_traitsISJ_E10value_typeEPNSP_ISK_E10value_typeEPSL_NS1_7vsmem_tEENKUlT_SJ_SK_SL_E_clIPtSE_SF_SF_EESI_SY_SJ_SK_SL_EUlSY_E1_NS1_11comp_targetILNS1_3genE4ELNS1_11target_archE910ELNS1_3gpuE8ELNS1_3repE0EEENS1_36merge_oddeven_config_static_selectorELNS0_4arch9wavefront6targetE0EEEvSK_
	.p2align	8
	.type	_ZN7rocprim17ROCPRIM_400000_NS6detail17trampoline_kernelINS0_14default_configENS1_38merge_sort_block_merge_config_selectorItNS0_10empty_typeEEEZZNS1_27merge_sort_block_merge_implIS3_N6thrust23THRUST_200600_302600_NS6detail15normal_iteratorINS9_10device_ptrItEEEEPS5_m11less_div_10ItEEE10hipError_tT0_T1_T2_jT3_P12ihipStream_tbPNSt15iterator_traitsISJ_E10value_typeEPNSP_ISK_E10value_typeEPSL_NS1_7vsmem_tEENKUlT_SJ_SK_SL_E_clIPtSE_SF_SF_EESI_SY_SJ_SK_SL_EUlSY_E1_NS1_11comp_targetILNS1_3genE4ELNS1_11target_archE910ELNS1_3gpuE8ELNS1_3repE0EEENS1_36merge_oddeven_config_static_selectorELNS0_4arch9wavefront6targetE0EEEvSK_,@function
_ZN7rocprim17ROCPRIM_400000_NS6detail17trampoline_kernelINS0_14default_configENS1_38merge_sort_block_merge_config_selectorItNS0_10empty_typeEEEZZNS1_27merge_sort_block_merge_implIS3_N6thrust23THRUST_200600_302600_NS6detail15normal_iteratorINS9_10device_ptrItEEEEPS5_m11less_div_10ItEEE10hipError_tT0_T1_T2_jT3_P12ihipStream_tbPNSt15iterator_traitsISJ_E10value_typeEPNSP_ISK_E10value_typeEPSL_NS1_7vsmem_tEENKUlT_SJ_SK_SL_E_clIPtSE_SF_SF_EESI_SY_SJ_SK_SL_EUlSY_E1_NS1_11comp_targetILNS1_3genE4ELNS1_11target_archE910ELNS1_3gpuE8ELNS1_3repE0EEENS1_36merge_oddeven_config_static_selectorELNS0_4arch9wavefront6targetE0EEEvSK_: ; @_ZN7rocprim17ROCPRIM_400000_NS6detail17trampoline_kernelINS0_14default_configENS1_38merge_sort_block_merge_config_selectorItNS0_10empty_typeEEEZZNS1_27merge_sort_block_merge_implIS3_N6thrust23THRUST_200600_302600_NS6detail15normal_iteratorINS9_10device_ptrItEEEEPS5_m11less_div_10ItEEE10hipError_tT0_T1_T2_jT3_P12ihipStream_tbPNSt15iterator_traitsISJ_E10value_typeEPNSP_ISK_E10value_typeEPSL_NS1_7vsmem_tEENKUlT_SJ_SK_SL_E_clIPtSE_SF_SF_EESI_SY_SJ_SK_SL_EUlSY_E1_NS1_11comp_targetILNS1_3genE4ELNS1_11target_archE910ELNS1_3gpuE8ELNS1_3repE0EEENS1_36merge_oddeven_config_static_selectorELNS0_4arch9wavefront6targetE0EEEvSK_
; %bb.0:
	.section	.rodata,"a",@progbits
	.p2align	6, 0x0
	.amdhsa_kernel _ZN7rocprim17ROCPRIM_400000_NS6detail17trampoline_kernelINS0_14default_configENS1_38merge_sort_block_merge_config_selectorItNS0_10empty_typeEEEZZNS1_27merge_sort_block_merge_implIS3_N6thrust23THRUST_200600_302600_NS6detail15normal_iteratorINS9_10device_ptrItEEEEPS5_m11less_div_10ItEEE10hipError_tT0_T1_T2_jT3_P12ihipStream_tbPNSt15iterator_traitsISJ_E10value_typeEPNSP_ISK_E10value_typeEPSL_NS1_7vsmem_tEENKUlT_SJ_SK_SL_E_clIPtSE_SF_SF_EESI_SY_SJ_SK_SL_EUlSY_E1_NS1_11comp_targetILNS1_3genE4ELNS1_11target_archE910ELNS1_3gpuE8ELNS1_3repE0EEENS1_36merge_oddeven_config_static_selectorELNS0_4arch9wavefront6targetE0EEEvSK_
		.amdhsa_group_segment_fixed_size 0
		.amdhsa_private_segment_fixed_size 0
		.amdhsa_kernarg_size 56
		.amdhsa_user_sgpr_count 6
		.amdhsa_user_sgpr_private_segment_buffer 1
		.amdhsa_user_sgpr_dispatch_ptr 0
		.amdhsa_user_sgpr_queue_ptr 0
		.amdhsa_user_sgpr_kernarg_segment_ptr 1
		.amdhsa_user_sgpr_dispatch_id 0
		.amdhsa_user_sgpr_flat_scratch_init 0
		.amdhsa_user_sgpr_private_segment_size 0
		.amdhsa_wavefront_size32 1
		.amdhsa_uses_dynamic_stack 0
		.amdhsa_system_sgpr_private_segment_wavefront_offset 0
		.amdhsa_system_sgpr_workgroup_id_x 1
		.amdhsa_system_sgpr_workgroup_id_y 0
		.amdhsa_system_sgpr_workgroup_id_z 0
		.amdhsa_system_sgpr_workgroup_info 0
		.amdhsa_system_vgpr_workitem_id 0
		.amdhsa_next_free_vgpr 1
		.amdhsa_next_free_sgpr 1
		.amdhsa_reserve_vcc 0
		.amdhsa_reserve_flat_scratch 0
		.amdhsa_float_round_mode_32 0
		.amdhsa_float_round_mode_16_64 0
		.amdhsa_float_denorm_mode_32 3
		.amdhsa_float_denorm_mode_16_64 3
		.amdhsa_dx10_clamp 1
		.amdhsa_ieee_mode 1
		.amdhsa_fp16_overflow 0
		.amdhsa_workgroup_processor_mode 1
		.amdhsa_memory_ordered 1
		.amdhsa_forward_progress 1
		.amdhsa_shared_vgpr_count 0
		.amdhsa_exception_fp_ieee_invalid_op 0
		.amdhsa_exception_fp_denorm_src 0
		.amdhsa_exception_fp_ieee_div_zero 0
		.amdhsa_exception_fp_ieee_overflow 0
		.amdhsa_exception_fp_ieee_underflow 0
		.amdhsa_exception_fp_ieee_inexact 0
		.amdhsa_exception_int_div_zero 0
	.end_amdhsa_kernel
	.section	.text._ZN7rocprim17ROCPRIM_400000_NS6detail17trampoline_kernelINS0_14default_configENS1_38merge_sort_block_merge_config_selectorItNS0_10empty_typeEEEZZNS1_27merge_sort_block_merge_implIS3_N6thrust23THRUST_200600_302600_NS6detail15normal_iteratorINS9_10device_ptrItEEEEPS5_m11less_div_10ItEEE10hipError_tT0_T1_T2_jT3_P12ihipStream_tbPNSt15iterator_traitsISJ_E10value_typeEPNSP_ISK_E10value_typeEPSL_NS1_7vsmem_tEENKUlT_SJ_SK_SL_E_clIPtSE_SF_SF_EESI_SY_SJ_SK_SL_EUlSY_E1_NS1_11comp_targetILNS1_3genE4ELNS1_11target_archE910ELNS1_3gpuE8ELNS1_3repE0EEENS1_36merge_oddeven_config_static_selectorELNS0_4arch9wavefront6targetE0EEEvSK_,"axG",@progbits,_ZN7rocprim17ROCPRIM_400000_NS6detail17trampoline_kernelINS0_14default_configENS1_38merge_sort_block_merge_config_selectorItNS0_10empty_typeEEEZZNS1_27merge_sort_block_merge_implIS3_N6thrust23THRUST_200600_302600_NS6detail15normal_iteratorINS9_10device_ptrItEEEEPS5_m11less_div_10ItEEE10hipError_tT0_T1_T2_jT3_P12ihipStream_tbPNSt15iterator_traitsISJ_E10value_typeEPNSP_ISK_E10value_typeEPSL_NS1_7vsmem_tEENKUlT_SJ_SK_SL_E_clIPtSE_SF_SF_EESI_SY_SJ_SK_SL_EUlSY_E1_NS1_11comp_targetILNS1_3genE4ELNS1_11target_archE910ELNS1_3gpuE8ELNS1_3repE0EEENS1_36merge_oddeven_config_static_selectorELNS0_4arch9wavefront6targetE0EEEvSK_,comdat
.Lfunc_end261:
	.size	_ZN7rocprim17ROCPRIM_400000_NS6detail17trampoline_kernelINS0_14default_configENS1_38merge_sort_block_merge_config_selectorItNS0_10empty_typeEEEZZNS1_27merge_sort_block_merge_implIS3_N6thrust23THRUST_200600_302600_NS6detail15normal_iteratorINS9_10device_ptrItEEEEPS5_m11less_div_10ItEEE10hipError_tT0_T1_T2_jT3_P12ihipStream_tbPNSt15iterator_traitsISJ_E10value_typeEPNSP_ISK_E10value_typeEPSL_NS1_7vsmem_tEENKUlT_SJ_SK_SL_E_clIPtSE_SF_SF_EESI_SY_SJ_SK_SL_EUlSY_E1_NS1_11comp_targetILNS1_3genE4ELNS1_11target_archE910ELNS1_3gpuE8ELNS1_3repE0EEENS1_36merge_oddeven_config_static_selectorELNS0_4arch9wavefront6targetE0EEEvSK_, .Lfunc_end261-_ZN7rocprim17ROCPRIM_400000_NS6detail17trampoline_kernelINS0_14default_configENS1_38merge_sort_block_merge_config_selectorItNS0_10empty_typeEEEZZNS1_27merge_sort_block_merge_implIS3_N6thrust23THRUST_200600_302600_NS6detail15normal_iteratorINS9_10device_ptrItEEEEPS5_m11less_div_10ItEEE10hipError_tT0_T1_T2_jT3_P12ihipStream_tbPNSt15iterator_traitsISJ_E10value_typeEPNSP_ISK_E10value_typeEPSL_NS1_7vsmem_tEENKUlT_SJ_SK_SL_E_clIPtSE_SF_SF_EESI_SY_SJ_SK_SL_EUlSY_E1_NS1_11comp_targetILNS1_3genE4ELNS1_11target_archE910ELNS1_3gpuE8ELNS1_3repE0EEENS1_36merge_oddeven_config_static_selectorELNS0_4arch9wavefront6targetE0EEEvSK_
                                        ; -- End function
	.set _ZN7rocprim17ROCPRIM_400000_NS6detail17trampoline_kernelINS0_14default_configENS1_38merge_sort_block_merge_config_selectorItNS0_10empty_typeEEEZZNS1_27merge_sort_block_merge_implIS3_N6thrust23THRUST_200600_302600_NS6detail15normal_iteratorINS9_10device_ptrItEEEEPS5_m11less_div_10ItEEE10hipError_tT0_T1_T2_jT3_P12ihipStream_tbPNSt15iterator_traitsISJ_E10value_typeEPNSP_ISK_E10value_typeEPSL_NS1_7vsmem_tEENKUlT_SJ_SK_SL_E_clIPtSE_SF_SF_EESI_SY_SJ_SK_SL_EUlSY_E1_NS1_11comp_targetILNS1_3genE4ELNS1_11target_archE910ELNS1_3gpuE8ELNS1_3repE0EEENS1_36merge_oddeven_config_static_selectorELNS0_4arch9wavefront6targetE0EEEvSK_.num_vgpr, 0
	.set _ZN7rocprim17ROCPRIM_400000_NS6detail17trampoline_kernelINS0_14default_configENS1_38merge_sort_block_merge_config_selectorItNS0_10empty_typeEEEZZNS1_27merge_sort_block_merge_implIS3_N6thrust23THRUST_200600_302600_NS6detail15normal_iteratorINS9_10device_ptrItEEEEPS5_m11less_div_10ItEEE10hipError_tT0_T1_T2_jT3_P12ihipStream_tbPNSt15iterator_traitsISJ_E10value_typeEPNSP_ISK_E10value_typeEPSL_NS1_7vsmem_tEENKUlT_SJ_SK_SL_E_clIPtSE_SF_SF_EESI_SY_SJ_SK_SL_EUlSY_E1_NS1_11comp_targetILNS1_3genE4ELNS1_11target_archE910ELNS1_3gpuE8ELNS1_3repE0EEENS1_36merge_oddeven_config_static_selectorELNS0_4arch9wavefront6targetE0EEEvSK_.num_agpr, 0
	.set _ZN7rocprim17ROCPRIM_400000_NS6detail17trampoline_kernelINS0_14default_configENS1_38merge_sort_block_merge_config_selectorItNS0_10empty_typeEEEZZNS1_27merge_sort_block_merge_implIS3_N6thrust23THRUST_200600_302600_NS6detail15normal_iteratorINS9_10device_ptrItEEEEPS5_m11less_div_10ItEEE10hipError_tT0_T1_T2_jT3_P12ihipStream_tbPNSt15iterator_traitsISJ_E10value_typeEPNSP_ISK_E10value_typeEPSL_NS1_7vsmem_tEENKUlT_SJ_SK_SL_E_clIPtSE_SF_SF_EESI_SY_SJ_SK_SL_EUlSY_E1_NS1_11comp_targetILNS1_3genE4ELNS1_11target_archE910ELNS1_3gpuE8ELNS1_3repE0EEENS1_36merge_oddeven_config_static_selectorELNS0_4arch9wavefront6targetE0EEEvSK_.numbered_sgpr, 0
	.set _ZN7rocprim17ROCPRIM_400000_NS6detail17trampoline_kernelINS0_14default_configENS1_38merge_sort_block_merge_config_selectorItNS0_10empty_typeEEEZZNS1_27merge_sort_block_merge_implIS3_N6thrust23THRUST_200600_302600_NS6detail15normal_iteratorINS9_10device_ptrItEEEEPS5_m11less_div_10ItEEE10hipError_tT0_T1_T2_jT3_P12ihipStream_tbPNSt15iterator_traitsISJ_E10value_typeEPNSP_ISK_E10value_typeEPSL_NS1_7vsmem_tEENKUlT_SJ_SK_SL_E_clIPtSE_SF_SF_EESI_SY_SJ_SK_SL_EUlSY_E1_NS1_11comp_targetILNS1_3genE4ELNS1_11target_archE910ELNS1_3gpuE8ELNS1_3repE0EEENS1_36merge_oddeven_config_static_selectorELNS0_4arch9wavefront6targetE0EEEvSK_.num_named_barrier, 0
	.set _ZN7rocprim17ROCPRIM_400000_NS6detail17trampoline_kernelINS0_14default_configENS1_38merge_sort_block_merge_config_selectorItNS0_10empty_typeEEEZZNS1_27merge_sort_block_merge_implIS3_N6thrust23THRUST_200600_302600_NS6detail15normal_iteratorINS9_10device_ptrItEEEEPS5_m11less_div_10ItEEE10hipError_tT0_T1_T2_jT3_P12ihipStream_tbPNSt15iterator_traitsISJ_E10value_typeEPNSP_ISK_E10value_typeEPSL_NS1_7vsmem_tEENKUlT_SJ_SK_SL_E_clIPtSE_SF_SF_EESI_SY_SJ_SK_SL_EUlSY_E1_NS1_11comp_targetILNS1_3genE4ELNS1_11target_archE910ELNS1_3gpuE8ELNS1_3repE0EEENS1_36merge_oddeven_config_static_selectorELNS0_4arch9wavefront6targetE0EEEvSK_.private_seg_size, 0
	.set _ZN7rocprim17ROCPRIM_400000_NS6detail17trampoline_kernelINS0_14default_configENS1_38merge_sort_block_merge_config_selectorItNS0_10empty_typeEEEZZNS1_27merge_sort_block_merge_implIS3_N6thrust23THRUST_200600_302600_NS6detail15normal_iteratorINS9_10device_ptrItEEEEPS5_m11less_div_10ItEEE10hipError_tT0_T1_T2_jT3_P12ihipStream_tbPNSt15iterator_traitsISJ_E10value_typeEPNSP_ISK_E10value_typeEPSL_NS1_7vsmem_tEENKUlT_SJ_SK_SL_E_clIPtSE_SF_SF_EESI_SY_SJ_SK_SL_EUlSY_E1_NS1_11comp_targetILNS1_3genE4ELNS1_11target_archE910ELNS1_3gpuE8ELNS1_3repE0EEENS1_36merge_oddeven_config_static_selectorELNS0_4arch9wavefront6targetE0EEEvSK_.uses_vcc, 0
	.set _ZN7rocprim17ROCPRIM_400000_NS6detail17trampoline_kernelINS0_14default_configENS1_38merge_sort_block_merge_config_selectorItNS0_10empty_typeEEEZZNS1_27merge_sort_block_merge_implIS3_N6thrust23THRUST_200600_302600_NS6detail15normal_iteratorINS9_10device_ptrItEEEEPS5_m11less_div_10ItEEE10hipError_tT0_T1_T2_jT3_P12ihipStream_tbPNSt15iterator_traitsISJ_E10value_typeEPNSP_ISK_E10value_typeEPSL_NS1_7vsmem_tEENKUlT_SJ_SK_SL_E_clIPtSE_SF_SF_EESI_SY_SJ_SK_SL_EUlSY_E1_NS1_11comp_targetILNS1_3genE4ELNS1_11target_archE910ELNS1_3gpuE8ELNS1_3repE0EEENS1_36merge_oddeven_config_static_selectorELNS0_4arch9wavefront6targetE0EEEvSK_.uses_flat_scratch, 0
	.set _ZN7rocprim17ROCPRIM_400000_NS6detail17trampoline_kernelINS0_14default_configENS1_38merge_sort_block_merge_config_selectorItNS0_10empty_typeEEEZZNS1_27merge_sort_block_merge_implIS3_N6thrust23THRUST_200600_302600_NS6detail15normal_iteratorINS9_10device_ptrItEEEEPS5_m11less_div_10ItEEE10hipError_tT0_T1_T2_jT3_P12ihipStream_tbPNSt15iterator_traitsISJ_E10value_typeEPNSP_ISK_E10value_typeEPSL_NS1_7vsmem_tEENKUlT_SJ_SK_SL_E_clIPtSE_SF_SF_EESI_SY_SJ_SK_SL_EUlSY_E1_NS1_11comp_targetILNS1_3genE4ELNS1_11target_archE910ELNS1_3gpuE8ELNS1_3repE0EEENS1_36merge_oddeven_config_static_selectorELNS0_4arch9wavefront6targetE0EEEvSK_.has_dyn_sized_stack, 0
	.set _ZN7rocprim17ROCPRIM_400000_NS6detail17trampoline_kernelINS0_14default_configENS1_38merge_sort_block_merge_config_selectorItNS0_10empty_typeEEEZZNS1_27merge_sort_block_merge_implIS3_N6thrust23THRUST_200600_302600_NS6detail15normal_iteratorINS9_10device_ptrItEEEEPS5_m11less_div_10ItEEE10hipError_tT0_T1_T2_jT3_P12ihipStream_tbPNSt15iterator_traitsISJ_E10value_typeEPNSP_ISK_E10value_typeEPSL_NS1_7vsmem_tEENKUlT_SJ_SK_SL_E_clIPtSE_SF_SF_EESI_SY_SJ_SK_SL_EUlSY_E1_NS1_11comp_targetILNS1_3genE4ELNS1_11target_archE910ELNS1_3gpuE8ELNS1_3repE0EEENS1_36merge_oddeven_config_static_selectorELNS0_4arch9wavefront6targetE0EEEvSK_.has_recursion, 0
	.set _ZN7rocprim17ROCPRIM_400000_NS6detail17trampoline_kernelINS0_14default_configENS1_38merge_sort_block_merge_config_selectorItNS0_10empty_typeEEEZZNS1_27merge_sort_block_merge_implIS3_N6thrust23THRUST_200600_302600_NS6detail15normal_iteratorINS9_10device_ptrItEEEEPS5_m11less_div_10ItEEE10hipError_tT0_T1_T2_jT3_P12ihipStream_tbPNSt15iterator_traitsISJ_E10value_typeEPNSP_ISK_E10value_typeEPSL_NS1_7vsmem_tEENKUlT_SJ_SK_SL_E_clIPtSE_SF_SF_EESI_SY_SJ_SK_SL_EUlSY_E1_NS1_11comp_targetILNS1_3genE4ELNS1_11target_archE910ELNS1_3gpuE8ELNS1_3repE0EEENS1_36merge_oddeven_config_static_selectorELNS0_4arch9wavefront6targetE0EEEvSK_.has_indirect_call, 0
	.section	.AMDGPU.csdata,"",@progbits
; Kernel info:
; codeLenInByte = 0
; TotalNumSgprs: 0
; NumVgprs: 0
; ScratchSize: 0
; MemoryBound: 0
; FloatMode: 240
; IeeeMode: 1
; LDSByteSize: 0 bytes/workgroup (compile time only)
; SGPRBlocks: 0
; VGPRBlocks: 0
; NumSGPRsForWavesPerEU: 1
; NumVGPRsForWavesPerEU: 1
; Occupancy: 16
; WaveLimiterHint : 0
; COMPUTE_PGM_RSRC2:SCRATCH_EN: 0
; COMPUTE_PGM_RSRC2:USER_SGPR: 6
; COMPUTE_PGM_RSRC2:TRAP_HANDLER: 0
; COMPUTE_PGM_RSRC2:TGID_X_EN: 1
; COMPUTE_PGM_RSRC2:TGID_Y_EN: 0
; COMPUTE_PGM_RSRC2:TGID_Z_EN: 0
; COMPUTE_PGM_RSRC2:TIDIG_COMP_CNT: 0
	.section	.text._ZN7rocprim17ROCPRIM_400000_NS6detail17trampoline_kernelINS0_14default_configENS1_38merge_sort_block_merge_config_selectorItNS0_10empty_typeEEEZZNS1_27merge_sort_block_merge_implIS3_N6thrust23THRUST_200600_302600_NS6detail15normal_iteratorINS9_10device_ptrItEEEEPS5_m11less_div_10ItEEE10hipError_tT0_T1_T2_jT3_P12ihipStream_tbPNSt15iterator_traitsISJ_E10value_typeEPNSP_ISK_E10value_typeEPSL_NS1_7vsmem_tEENKUlT_SJ_SK_SL_E_clIPtSE_SF_SF_EESI_SY_SJ_SK_SL_EUlSY_E1_NS1_11comp_targetILNS1_3genE3ELNS1_11target_archE908ELNS1_3gpuE7ELNS1_3repE0EEENS1_36merge_oddeven_config_static_selectorELNS0_4arch9wavefront6targetE0EEEvSK_,"axG",@progbits,_ZN7rocprim17ROCPRIM_400000_NS6detail17trampoline_kernelINS0_14default_configENS1_38merge_sort_block_merge_config_selectorItNS0_10empty_typeEEEZZNS1_27merge_sort_block_merge_implIS3_N6thrust23THRUST_200600_302600_NS6detail15normal_iteratorINS9_10device_ptrItEEEEPS5_m11less_div_10ItEEE10hipError_tT0_T1_T2_jT3_P12ihipStream_tbPNSt15iterator_traitsISJ_E10value_typeEPNSP_ISK_E10value_typeEPSL_NS1_7vsmem_tEENKUlT_SJ_SK_SL_E_clIPtSE_SF_SF_EESI_SY_SJ_SK_SL_EUlSY_E1_NS1_11comp_targetILNS1_3genE3ELNS1_11target_archE908ELNS1_3gpuE7ELNS1_3repE0EEENS1_36merge_oddeven_config_static_selectorELNS0_4arch9wavefront6targetE0EEEvSK_,comdat
	.protected	_ZN7rocprim17ROCPRIM_400000_NS6detail17trampoline_kernelINS0_14default_configENS1_38merge_sort_block_merge_config_selectorItNS0_10empty_typeEEEZZNS1_27merge_sort_block_merge_implIS3_N6thrust23THRUST_200600_302600_NS6detail15normal_iteratorINS9_10device_ptrItEEEEPS5_m11less_div_10ItEEE10hipError_tT0_T1_T2_jT3_P12ihipStream_tbPNSt15iterator_traitsISJ_E10value_typeEPNSP_ISK_E10value_typeEPSL_NS1_7vsmem_tEENKUlT_SJ_SK_SL_E_clIPtSE_SF_SF_EESI_SY_SJ_SK_SL_EUlSY_E1_NS1_11comp_targetILNS1_3genE3ELNS1_11target_archE908ELNS1_3gpuE7ELNS1_3repE0EEENS1_36merge_oddeven_config_static_selectorELNS0_4arch9wavefront6targetE0EEEvSK_ ; -- Begin function _ZN7rocprim17ROCPRIM_400000_NS6detail17trampoline_kernelINS0_14default_configENS1_38merge_sort_block_merge_config_selectorItNS0_10empty_typeEEEZZNS1_27merge_sort_block_merge_implIS3_N6thrust23THRUST_200600_302600_NS6detail15normal_iteratorINS9_10device_ptrItEEEEPS5_m11less_div_10ItEEE10hipError_tT0_T1_T2_jT3_P12ihipStream_tbPNSt15iterator_traitsISJ_E10value_typeEPNSP_ISK_E10value_typeEPSL_NS1_7vsmem_tEENKUlT_SJ_SK_SL_E_clIPtSE_SF_SF_EESI_SY_SJ_SK_SL_EUlSY_E1_NS1_11comp_targetILNS1_3genE3ELNS1_11target_archE908ELNS1_3gpuE7ELNS1_3repE0EEENS1_36merge_oddeven_config_static_selectorELNS0_4arch9wavefront6targetE0EEEvSK_
	.globl	_ZN7rocprim17ROCPRIM_400000_NS6detail17trampoline_kernelINS0_14default_configENS1_38merge_sort_block_merge_config_selectorItNS0_10empty_typeEEEZZNS1_27merge_sort_block_merge_implIS3_N6thrust23THRUST_200600_302600_NS6detail15normal_iteratorINS9_10device_ptrItEEEEPS5_m11less_div_10ItEEE10hipError_tT0_T1_T2_jT3_P12ihipStream_tbPNSt15iterator_traitsISJ_E10value_typeEPNSP_ISK_E10value_typeEPSL_NS1_7vsmem_tEENKUlT_SJ_SK_SL_E_clIPtSE_SF_SF_EESI_SY_SJ_SK_SL_EUlSY_E1_NS1_11comp_targetILNS1_3genE3ELNS1_11target_archE908ELNS1_3gpuE7ELNS1_3repE0EEENS1_36merge_oddeven_config_static_selectorELNS0_4arch9wavefront6targetE0EEEvSK_
	.p2align	8
	.type	_ZN7rocprim17ROCPRIM_400000_NS6detail17trampoline_kernelINS0_14default_configENS1_38merge_sort_block_merge_config_selectorItNS0_10empty_typeEEEZZNS1_27merge_sort_block_merge_implIS3_N6thrust23THRUST_200600_302600_NS6detail15normal_iteratorINS9_10device_ptrItEEEEPS5_m11less_div_10ItEEE10hipError_tT0_T1_T2_jT3_P12ihipStream_tbPNSt15iterator_traitsISJ_E10value_typeEPNSP_ISK_E10value_typeEPSL_NS1_7vsmem_tEENKUlT_SJ_SK_SL_E_clIPtSE_SF_SF_EESI_SY_SJ_SK_SL_EUlSY_E1_NS1_11comp_targetILNS1_3genE3ELNS1_11target_archE908ELNS1_3gpuE7ELNS1_3repE0EEENS1_36merge_oddeven_config_static_selectorELNS0_4arch9wavefront6targetE0EEEvSK_,@function
_ZN7rocprim17ROCPRIM_400000_NS6detail17trampoline_kernelINS0_14default_configENS1_38merge_sort_block_merge_config_selectorItNS0_10empty_typeEEEZZNS1_27merge_sort_block_merge_implIS3_N6thrust23THRUST_200600_302600_NS6detail15normal_iteratorINS9_10device_ptrItEEEEPS5_m11less_div_10ItEEE10hipError_tT0_T1_T2_jT3_P12ihipStream_tbPNSt15iterator_traitsISJ_E10value_typeEPNSP_ISK_E10value_typeEPSL_NS1_7vsmem_tEENKUlT_SJ_SK_SL_E_clIPtSE_SF_SF_EESI_SY_SJ_SK_SL_EUlSY_E1_NS1_11comp_targetILNS1_3genE3ELNS1_11target_archE908ELNS1_3gpuE7ELNS1_3repE0EEENS1_36merge_oddeven_config_static_selectorELNS0_4arch9wavefront6targetE0EEEvSK_: ; @_ZN7rocprim17ROCPRIM_400000_NS6detail17trampoline_kernelINS0_14default_configENS1_38merge_sort_block_merge_config_selectorItNS0_10empty_typeEEEZZNS1_27merge_sort_block_merge_implIS3_N6thrust23THRUST_200600_302600_NS6detail15normal_iteratorINS9_10device_ptrItEEEEPS5_m11less_div_10ItEEE10hipError_tT0_T1_T2_jT3_P12ihipStream_tbPNSt15iterator_traitsISJ_E10value_typeEPNSP_ISK_E10value_typeEPSL_NS1_7vsmem_tEENKUlT_SJ_SK_SL_E_clIPtSE_SF_SF_EESI_SY_SJ_SK_SL_EUlSY_E1_NS1_11comp_targetILNS1_3genE3ELNS1_11target_archE908ELNS1_3gpuE7ELNS1_3repE0EEENS1_36merge_oddeven_config_static_selectorELNS0_4arch9wavefront6targetE0EEEvSK_
; %bb.0:
	.section	.rodata,"a",@progbits
	.p2align	6, 0x0
	.amdhsa_kernel _ZN7rocprim17ROCPRIM_400000_NS6detail17trampoline_kernelINS0_14default_configENS1_38merge_sort_block_merge_config_selectorItNS0_10empty_typeEEEZZNS1_27merge_sort_block_merge_implIS3_N6thrust23THRUST_200600_302600_NS6detail15normal_iteratorINS9_10device_ptrItEEEEPS5_m11less_div_10ItEEE10hipError_tT0_T1_T2_jT3_P12ihipStream_tbPNSt15iterator_traitsISJ_E10value_typeEPNSP_ISK_E10value_typeEPSL_NS1_7vsmem_tEENKUlT_SJ_SK_SL_E_clIPtSE_SF_SF_EESI_SY_SJ_SK_SL_EUlSY_E1_NS1_11comp_targetILNS1_3genE3ELNS1_11target_archE908ELNS1_3gpuE7ELNS1_3repE0EEENS1_36merge_oddeven_config_static_selectorELNS0_4arch9wavefront6targetE0EEEvSK_
		.amdhsa_group_segment_fixed_size 0
		.amdhsa_private_segment_fixed_size 0
		.amdhsa_kernarg_size 56
		.amdhsa_user_sgpr_count 6
		.amdhsa_user_sgpr_private_segment_buffer 1
		.amdhsa_user_sgpr_dispatch_ptr 0
		.amdhsa_user_sgpr_queue_ptr 0
		.amdhsa_user_sgpr_kernarg_segment_ptr 1
		.amdhsa_user_sgpr_dispatch_id 0
		.amdhsa_user_sgpr_flat_scratch_init 0
		.amdhsa_user_sgpr_private_segment_size 0
		.amdhsa_wavefront_size32 1
		.amdhsa_uses_dynamic_stack 0
		.amdhsa_system_sgpr_private_segment_wavefront_offset 0
		.amdhsa_system_sgpr_workgroup_id_x 1
		.amdhsa_system_sgpr_workgroup_id_y 0
		.amdhsa_system_sgpr_workgroup_id_z 0
		.amdhsa_system_sgpr_workgroup_info 0
		.amdhsa_system_vgpr_workitem_id 0
		.amdhsa_next_free_vgpr 1
		.amdhsa_next_free_sgpr 1
		.amdhsa_reserve_vcc 0
		.amdhsa_reserve_flat_scratch 0
		.amdhsa_float_round_mode_32 0
		.amdhsa_float_round_mode_16_64 0
		.amdhsa_float_denorm_mode_32 3
		.amdhsa_float_denorm_mode_16_64 3
		.amdhsa_dx10_clamp 1
		.amdhsa_ieee_mode 1
		.amdhsa_fp16_overflow 0
		.amdhsa_workgroup_processor_mode 1
		.amdhsa_memory_ordered 1
		.amdhsa_forward_progress 1
		.amdhsa_shared_vgpr_count 0
		.amdhsa_exception_fp_ieee_invalid_op 0
		.amdhsa_exception_fp_denorm_src 0
		.amdhsa_exception_fp_ieee_div_zero 0
		.amdhsa_exception_fp_ieee_overflow 0
		.amdhsa_exception_fp_ieee_underflow 0
		.amdhsa_exception_fp_ieee_inexact 0
		.amdhsa_exception_int_div_zero 0
	.end_amdhsa_kernel
	.section	.text._ZN7rocprim17ROCPRIM_400000_NS6detail17trampoline_kernelINS0_14default_configENS1_38merge_sort_block_merge_config_selectorItNS0_10empty_typeEEEZZNS1_27merge_sort_block_merge_implIS3_N6thrust23THRUST_200600_302600_NS6detail15normal_iteratorINS9_10device_ptrItEEEEPS5_m11less_div_10ItEEE10hipError_tT0_T1_T2_jT3_P12ihipStream_tbPNSt15iterator_traitsISJ_E10value_typeEPNSP_ISK_E10value_typeEPSL_NS1_7vsmem_tEENKUlT_SJ_SK_SL_E_clIPtSE_SF_SF_EESI_SY_SJ_SK_SL_EUlSY_E1_NS1_11comp_targetILNS1_3genE3ELNS1_11target_archE908ELNS1_3gpuE7ELNS1_3repE0EEENS1_36merge_oddeven_config_static_selectorELNS0_4arch9wavefront6targetE0EEEvSK_,"axG",@progbits,_ZN7rocprim17ROCPRIM_400000_NS6detail17trampoline_kernelINS0_14default_configENS1_38merge_sort_block_merge_config_selectorItNS0_10empty_typeEEEZZNS1_27merge_sort_block_merge_implIS3_N6thrust23THRUST_200600_302600_NS6detail15normal_iteratorINS9_10device_ptrItEEEEPS5_m11less_div_10ItEEE10hipError_tT0_T1_T2_jT3_P12ihipStream_tbPNSt15iterator_traitsISJ_E10value_typeEPNSP_ISK_E10value_typeEPSL_NS1_7vsmem_tEENKUlT_SJ_SK_SL_E_clIPtSE_SF_SF_EESI_SY_SJ_SK_SL_EUlSY_E1_NS1_11comp_targetILNS1_3genE3ELNS1_11target_archE908ELNS1_3gpuE7ELNS1_3repE0EEENS1_36merge_oddeven_config_static_selectorELNS0_4arch9wavefront6targetE0EEEvSK_,comdat
.Lfunc_end262:
	.size	_ZN7rocprim17ROCPRIM_400000_NS6detail17trampoline_kernelINS0_14default_configENS1_38merge_sort_block_merge_config_selectorItNS0_10empty_typeEEEZZNS1_27merge_sort_block_merge_implIS3_N6thrust23THRUST_200600_302600_NS6detail15normal_iteratorINS9_10device_ptrItEEEEPS5_m11less_div_10ItEEE10hipError_tT0_T1_T2_jT3_P12ihipStream_tbPNSt15iterator_traitsISJ_E10value_typeEPNSP_ISK_E10value_typeEPSL_NS1_7vsmem_tEENKUlT_SJ_SK_SL_E_clIPtSE_SF_SF_EESI_SY_SJ_SK_SL_EUlSY_E1_NS1_11comp_targetILNS1_3genE3ELNS1_11target_archE908ELNS1_3gpuE7ELNS1_3repE0EEENS1_36merge_oddeven_config_static_selectorELNS0_4arch9wavefront6targetE0EEEvSK_, .Lfunc_end262-_ZN7rocprim17ROCPRIM_400000_NS6detail17trampoline_kernelINS0_14default_configENS1_38merge_sort_block_merge_config_selectorItNS0_10empty_typeEEEZZNS1_27merge_sort_block_merge_implIS3_N6thrust23THRUST_200600_302600_NS6detail15normal_iteratorINS9_10device_ptrItEEEEPS5_m11less_div_10ItEEE10hipError_tT0_T1_T2_jT3_P12ihipStream_tbPNSt15iterator_traitsISJ_E10value_typeEPNSP_ISK_E10value_typeEPSL_NS1_7vsmem_tEENKUlT_SJ_SK_SL_E_clIPtSE_SF_SF_EESI_SY_SJ_SK_SL_EUlSY_E1_NS1_11comp_targetILNS1_3genE3ELNS1_11target_archE908ELNS1_3gpuE7ELNS1_3repE0EEENS1_36merge_oddeven_config_static_selectorELNS0_4arch9wavefront6targetE0EEEvSK_
                                        ; -- End function
	.set _ZN7rocprim17ROCPRIM_400000_NS6detail17trampoline_kernelINS0_14default_configENS1_38merge_sort_block_merge_config_selectorItNS0_10empty_typeEEEZZNS1_27merge_sort_block_merge_implIS3_N6thrust23THRUST_200600_302600_NS6detail15normal_iteratorINS9_10device_ptrItEEEEPS5_m11less_div_10ItEEE10hipError_tT0_T1_T2_jT3_P12ihipStream_tbPNSt15iterator_traitsISJ_E10value_typeEPNSP_ISK_E10value_typeEPSL_NS1_7vsmem_tEENKUlT_SJ_SK_SL_E_clIPtSE_SF_SF_EESI_SY_SJ_SK_SL_EUlSY_E1_NS1_11comp_targetILNS1_3genE3ELNS1_11target_archE908ELNS1_3gpuE7ELNS1_3repE0EEENS1_36merge_oddeven_config_static_selectorELNS0_4arch9wavefront6targetE0EEEvSK_.num_vgpr, 0
	.set _ZN7rocprim17ROCPRIM_400000_NS6detail17trampoline_kernelINS0_14default_configENS1_38merge_sort_block_merge_config_selectorItNS0_10empty_typeEEEZZNS1_27merge_sort_block_merge_implIS3_N6thrust23THRUST_200600_302600_NS6detail15normal_iteratorINS9_10device_ptrItEEEEPS5_m11less_div_10ItEEE10hipError_tT0_T1_T2_jT3_P12ihipStream_tbPNSt15iterator_traitsISJ_E10value_typeEPNSP_ISK_E10value_typeEPSL_NS1_7vsmem_tEENKUlT_SJ_SK_SL_E_clIPtSE_SF_SF_EESI_SY_SJ_SK_SL_EUlSY_E1_NS1_11comp_targetILNS1_3genE3ELNS1_11target_archE908ELNS1_3gpuE7ELNS1_3repE0EEENS1_36merge_oddeven_config_static_selectorELNS0_4arch9wavefront6targetE0EEEvSK_.num_agpr, 0
	.set _ZN7rocprim17ROCPRIM_400000_NS6detail17trampoline_kernelINS0_14default_configENS1_38merge_sort_block_merge_config_selectorItNS0_10empty_typeEEEZZNS1_27merge_sort_block_merge_implIS3_N6thrust23THRUST_200600_302600_NS6detail15normal_iteratorINS9_10device_ptrItEEEEPS5_m11less_div_10ItEEE10hipError_tT0_T1_T2_jT3_P12ihipStream_tbPNSt15iterator_traitsISJ_E10value_typeEPNSP_ISK_E10value_typeEPSL_NS1_7vsmem_tEENKUlT_SJ_SK_SL_E_clIPtSE_SF_SF_EESI_SY_SJ_SK_SL_EUlSY_E1_NS1_11comp_targetILNS1_3genE3ELNS1_11target_archE908ELNS1_3gpuE7ELNS1_3repE0EEENS1_36merge_oddeven_config_static_selectorELNS0_4arch9wavefront6targetE0EEEvSK_.numbered_sgpr, 0
	.set _ZN7rocprim17ROCPRIM_400000_NS6detail17trampoline_kernelINS0_14default_configENS1_38merge_sort_block_merge_config_selectorItNS0_10empty_typeEEEZZNS1_27merge_sort_block_merge_implIS3_N6thrust23THRUST_200600_302600_NS6detail15normal_iteratorINS9_10device_ptrItEEEEPS5_m11less_div_10ItEEE10hipError_tT0_T1_T2_jT3_P12ihipStream_tbPNSt15iterator_traitsISJ_E10value_typeEPNSP_ISK_E10value_typeEPSL_NS1_7vsmem_tEENKUlT_SJ_SK_SL_E_clIPtSE_SF_SF_EESI_SY_SJ_SK_SL_EUlSY_E1_NS1_11comp_targetILNS1_3genE3ELNS1_11target_archE908ELNS1_3gpuE7ELNS1_3repE0EEENS1_36merge_oddeven_config_static_selectorELNS0_4arch9wavefront6targetE0EEEvSK_.num_named_barrier, 0
	.set _ZN7rocprim17ROCPRIM_400000_NS6detail17trampoline_kernelINS0_14default_configENS1_38merge_sort_block_merge_config_selectorItNS0_10empty_typeEEEZZNS1_27merge_sort_block_merge_implIS3_N6thrust23THRUST_200600_302600_NS6detail15normal_iteratorINS9_10device_ptrItEEEEPS5_m11less_div_10ItEEE10hipError_tT0_T1_T2_jT3_P12ihipStream_tbPNSt15iterator_traitsISJ_E10value_typeEPNSP_ISK_E10value_typeEPSL_NS1_7vsmem_tEENKUlT_SJ_SK_SL_E_clIPtSE_SF_SF_EESI_SY_SJ_SK_SL_EUlSY_E1_NS1_11comp_targetILNS1_3genE3ELNS1_11target_archE908ELNS1_3gpuE7ELNS1_3repE0EEENS1_36merge_oddeven_config_static_selectorELNS0_4arch9wavefront6targetE0EEEvSK_.private_seg_size, 0
	.set _ZN7rocprim17ROCPRIM_400000_NS6detail17trampoline_kernelINS0_14default_configENS1_38merge_sort_block_merge_config_selectorItNS0_10empty_typeEEEZZNS1_27merge_sort_block_merge_implIS3_N6thrust23THRUST_200600_302600_NS6detail15normal_iteratorINS9_10device_ptrItEEEEPS5_m11less_div_10ItEEE10hipError_tT0_T1_T2_jT3_P12ihipStream_tbPNSt15iterator_traitsISJ_E10value_typeEPNSP_ISK_E10value_typeEPSL_NS1_7vsmem_tEENKUlT_SJ_SK_SL_E_clIPtSE_SF_SF_EESI_SY_SJ_SK_SL_EUlSY_E1_NS1_11comp_targetILNS1_3genE3ELNS1_11target_archE908ELNS1_3gpuE7ELNS1_3repE0EEENS1_36merge_oddeven_config_static_selectorELNS0_4arch9wavefront6targetE0EEEvSK_.uses_vcc, 0
	.set _ZN7rocprim17ROCPRIM_400000_NS6detail17trampoline_kernelINS0_14default_configENS1_38merge_sort_block_merge_config_selectorItNS0_10empty_typeEEEZZNS1_27merge_sort_block_merge_implIS3_N6thrust23THRUST_200600_302600_NS6detail15normal_iteratorINS9_10device_ptrItEEEEPS5_m11less_div_10ItEEE10hipError_tT0_T1_T2_jT3_P12ihipStream_tbPNSt15iterator_traitsISJ_E10value_typeEPNSP_ISK_E10value_typeEPSL_NS1_7vsmem_tEENKUlT_SJ_SK_SL_E_clIPtSE_SF_SF_EESI_SY_SJ_SK_SL_EUlSY_E1_NS1_11comp_targetILNS1_3genE3ELNS1_11target_archE908ELNS1_3gpuE7ELNS1_3repE0EEENS1_36merge_oddeven_config_static_selectorELNS0_4arch9wavefront6targetE0EEEvSK_.uses_flat_scratch, 0
	.set _ZN7rocprim17ROCPRIM_400000_NS6detail17trampoline_kernelINS0_14default_configENS1_38merge_sort_block_merge_config_selectorItNS0_10empty_typeEEEZZNS1_27merge_sort_block_merge_implIS3_N6thrust23THRUST_200600_302600_NS6detail15normal_iteratorINS9_10device_ptrItEEEEPS5_m11less_div_10ItEEE10hipError_tT0_T1_T2_jT3_P12ihipStream_tbPNSt15iterator_traitsISJ_E10value_typeEPNSP_ISK_E10value_typeEPSL_NS1_7vsmem_tEENKUlT_SJ_SK_SL_E_clIPtSE_SF_SF_EESI_SY_SJ_SK_SL_EUlSY_E1_NS1_11comp_targetILNS1_3genE3ELNS1_11target_archE908ELNS1_3gpuE7ELNS1_3repE0EEENS1_36merge_oddeven_config_static_selectorELNS0_4arch9wavefront6targetE0EEEvSK_.has_dyn_sized_stack, 0
	.set _ZN7rocprim17ROCPRIM_400000_NS6detail17trampoline_kernelINS0_14default_configENS1_38merge_sort_block_merge_config_selectorItNS0_10empty_typeEEEZZNS1_27merge_sort_block_merge_implIS3_N6thrust23THRUST_200600_302600_NS6detail15normal_iteratorINS9_10device_ptrItEEEEPS5_m11less_div_10ItEEE10hipError_tT0_T1_T2_jT3_P12ihipStream_tbPNSt15iterator_traitsISJ_E10value_typeEPNSP_ISK_E10value_typeEPSL_NS1_7vsmem_tEENKUlT_SJ_SK_SL_E_clIPtSE_SF_SF_EESI_SY_SJ_SK_SL_EUlSY_E1_NS1_11comp_targetILNS1_3genE3ELNS1_11target_archE908ELNS1_3gpuE7ELNS1_3repE0EEENS1_36merge_oddeven_config_static_selectorELNS0_4arch9wavefront6targetE0EEEvSK_.has_recursion, 0
	.set _ZN7rocprim17ROCPRIM_400000_NS6detail17trampoline_kernelINS0_14default_configENS1_38merge_sort_block_merge_config_selectorItNS0_10empty_typeEEEZZNS1_27merge_sort_block_merge_implIS3_N6thrust23THRUST_200600_302600_NS6detail15normal_iteratorINS9_10device_ptrItEEEEPS5_m11less_div_10ItEEE10hipError_tT0_T1_T2_jT3_P12ihipStream_tbPNSt15iterator_traitsISJ_E10value_typeEPNSP_ISK_E10value_typeEPSL_NS1_7vsmem_tEENKUlT_SJ_SK_SL_E_clIPtSE_SF_SF_EESI_SY_SJ_SK_SL_EUlSY_E1_NS1_11comp_targetILNS1_3genE3ELNS1_11target_archE908ELNS1_3gpuE7ELNS1_3repE0EEENS1_36merge_oddeven_config_static_selectorELNS0_4arch9wavefront6targetE0EEEvSK_.has_indirect_call, 0
	.section	.AMDGPU.csdata,"",@progbits
; Kernel info:
; codeLenInByte = 0
; TotalNumSgprs: 0
; NumVgprs: 0
; ScratchSize: 0
; MemoryBound: 0
; FloatMode: 240
; IeeeMode: 1
; LDSByteSize: 0 bytes/workgroup (compile time only)
; SGPRBlocks: 0
; VGPRBlocks: 0
; NumSGPRsForWavesPerEU: 1
; NumVGPRsForWavesPerEU: 1
; Occupancy: 16
; WaveLimiterHint : 0
; COMPUTE_PGM_RSRC2:SCRATCH_EN: 0
; COMPUTE_PGM_RSRC2:USER_SGPR: 6
; COMPUTE_PGM_RSRC2:TRAP_HANDLER: 0
; COMPUTE_PGM_RSRC2:TGID_X_EN: 1
; COMPUTE_PGM_RSRC2:TGID_Y_EN: 0
; COMPUTE_PGM_RSRC2:TGID_Z_EN: 0
; COMPUTE_PGM_RSRC2:TIDIG_COMP_CNT: 0
	.section	.text._ZN7rocprim17ROCPRIM_400000_NS6detail17trampoline_kernelINS0_14default_configENS1_38merge_sort_block_merge_config_selectorItNS0_10empty_typeEEEZZNS1_27merge_sort_block_merge_implIS3_N6thrust23THRUST_200600_302600_NS6detail15normal_iteratorINS9_10device_ptrItEEEEPS5_m11less_div_10ItEEE10hipError_tT0_T1_T2_jT3_P12ihipStream_tbPNSt15iterator_traitsISJ_E10value_typeEPNSP_ISK_E10value_typeEPSL_NS1_7vsmem_tEENKUlT_SJ_SK_SL_E_clIPtSE_SF_SF_EESI_SY_SJ_SK_SL_EUlSY_E1_NS1_11comp_targetILNS1_3genE2ELNS1_11target_archE906ELNS1_3gpuE6ELNS1_3repE0EEENS1_36merge_oddeven_config_static_selectorELNS0_4arch9wavefront6targetE0EEEvSK_,"axG",@progbits,_ZN7rocprim17ROCPRIM_400000_NS6detail17trampoline_kernelINS0_14default_configENS1_38merge_sort_block_merge_config_selectorItNS0_10empty_typeEEEZZNS1_27merge_sort_block_merge_implIS3_N6thrust23THRUST_200600_302600_NS6detail15normal_iteratorINS9_10device_ptrItEEEEPS5_m11less_div_10ItEEE10hipError_tT0_T1_T2_jT3_P12ihipStream_tbPNSt15iterator_traitsISJ_E10value_typeEPNSP_ISK_E10value_typeEPSL_NS1_7vsmem_tEENKUlT_SJ_SK_SL_E_clIPtSE_SF_SF_EESI_SY_SJ_SK_SL_EUlSY_E1_NS1_11comp_targetILNS1_3genE2ELNS1_11target_archE906ELNS1_3gpuE6ELNS1_3repE0EEENS1_36merge_oddeven_config_static_selectorELNS0_4arch9wavefront6targetE0EEEvSK_,comdat
	.protected	_ZN7rocprim17ROCPRIM_400000_NS6detail17trampoline_kernelINS0_14default_configENS1_38merge_sort_block_merge_config_selectorItNS0_10empty_typeEEEZZNS1_27merge_sort_block_merge_implIS3_N6thrust23THRUST_200600_302600_NS6detail15normal_iteratorINS9_10device_ptrItEEEEPS5_m11less_div_10ItEEE10hipError_tT0_T1_T2_jT3_P12ihipStream_tbPNSt15iterator_traitsISJ_E10value_typeEPNSP_ISK_E10value_typeEPSL_NS1_7vsmem_tEENKUlT_SJ_SK_SL_E_clIPtSE_SF_SF_EESI_SY_SJ_SK_SL_EUlSY_E1_NS1_11comp_targetILNS1_3genE2ELNS1_11target_archE906ELNS1_3gpuE6ELNS1_3repE0EEENS1_36merge_oddeven_config_static_selectorELNS0_4arch9wavefront6targetE0EEEvSK_ ; -- Begin function _ZN7rocprim17ROCPRIM_400000_NS6detail17trampoline_kernelINS0_14default_configENS1_38merge_sort_block_merge_config_selectorItNS0_10empty_typeEEEZZNS1_27merge_sort_block_merge_implIS3_N6thrust23THRUST_200600_302600_NS6detail15normal_iteratorINS9_10device_ptrItEEEEPS5_m11less_div_10ItEEE10hipError_tT0_T1_T2_jT3_P12ihipStream_tbPNSt15iterator_traitsISJ_E10value_typeEPNSP_ISK_E10value_typeEPSL_NS1_7vsmem_tEENKUlT_SJ_SK_SL_E_clIPtSE_SF_SF_EESI_SY_SJ_SK_SL_EUlSY_E1_NS1_11comp_targetILNS1_3genE2ELNS1_11target_archE906ELNS1_3gpuE6ELNS1_3repE0EEENS1_36merge_oddeven_config_static_selectorELNS0_4arch9wavefront6targetE0EEEvSK_
	.globl	_ZN7rocprim17ROCPRIM_400000_NS6detail17trampoline_kernelINS0_14default_configENS1_38merge_sort_block_merge_config_selectorItNS0_10empty_typeEEEZZNS1_27merge_sort_block_merge_implIS3_N6thrust23THRUST_200600_302600_NS6detail15normal_iteratorINS9_10device_ptrItEEEEPS5_m11less_div_10ItEEE10hipError_tT0_T1_T2_jT3_P12ihipStream_tbPNSt15iterator_traitsISJ_E10value_typeEPNSP_ISK_E10value_typeEPSL_NS1_7vsmem_tEENKUlT_SJ_SK_SL_E_clIPtSE_SF_SF_EESI_SY_SJ_SK_SL_EUlSY_E1_NS1_11comp_targetILNS1_3genE2ELNS1_11target_archE906ELNS1_3gpuE6ELNS1_3repE0EEENS1_36merge_oddeven_config_static_selectorELNS0_4arch9wavefront6targetE0EEEvSK_
	.p2align	8
	.type	_ZN7rocprim17ROCPRIM_400000_NS6detail17trampoline_kernelINS0_14default_configENS1_38merge_sort_block_merge_config_selectorItNS0_10empty_typeEEEZZNS1_27merge_sort_block_merge_implIS3_N6thrust23THRUST_200600_302600_NS6detail15normal_iteratorINS9_10device_ptrItEEEEPS5_m11less_div_10ItEEE10hipError_tT0_T1_T2_jT3_P12ihipStream_tbPNSt15iterator_traitsISJ_E10value_typeEPNSP_ISK_E10value_typeEPSL_NS1_7vsmem_tEENKUlT_SJ_SK_SL_E_clIPtSE_SF_SF_EESI_SY_SJ_SK_SL_EUlSY_E1_NS1_11comp_targetILNS1_3genE2ELNS1_11target_archE906ELNS1_3gpuE6ELNS1_3repE0EEENS1_36merge_oddeven_config_static_selectorELNS0_4arch9wavefront6targetE0EEEvSK_,@function
_ZN7rocprim17ROCPRIM_400000_NS6detail17trampoline_kernelINS0_14default_configENS1_38merge_sort_block_merge_config_selectorItNS0_10empty_typeEEEZZNS1_27merge_sort_block_merge_implIS3_N6thrust23THRUST_200600_302600_NS6detail15normal_iteratorINS9_10device_ptrItEEEEPS5_m11less_div_10ItEEE10hipError_tT0_T1_T2_jT3_P12ihipStream_tbPNSt15iterator_traitsISJ_E10value_typeEPNSP_ISK_E10value_typeEPSL_NS1_7vsmem_tEENKUlT_SJ_SK_SL_E_clIPtSE_SF_SF_EESI_SY_SJ_SK_SL_EUlSY_E1_NS1_11comp_targetILNS1_3genE2ELNS1_11target_archE906ELNS1_3gpuE6ELNS1_3repE0EEENS1_36merge_oddeven_config_static_selectorELNS0_4arch9wavefront6targetE0EEEvSK_: ; @_ZN7rocprim17ROCPRIM_400000_NS6detail17trampoline_kernelINS0_14default_configENS1_38merge_sort_block_merge_config_selectorItNS0_10empty_typeEEEZZNS1_27merge_sort_block_merge_implIS3_N6thrust23THRUST_200600_302600_NS6detail15normal_iteratorINS9_10device_ptrItEEEEPS5_m11less_div_10ItEEE10hipError_tT0_T1_T2_jT3_P12ihipStream_tbPNSt15iterator_traitsISJ_E10value_typeEPNSP_ISK_E10value_typeEPSL_NS1_7vsmem_tEENKUlT_SJ_SK_SL_E_clIPtSE_SF_SF_EESI_SY_SJ_SK_SL_EUlSY_E1_NS1_11comp_targetILNS1_3genE2ELNS1_11target_archE906ELNS1_3gpuE6ELNS1_3repE0EEENS1_36merge_oddeven_config_static_selectorELNS0_4arch9wavefront6targetE0EEEvSK_
; %bb.0:
	.section	.rodata,"a",@progbits
	.p2align	6, 0x0
	.amdhsa_kernel _ZN7rocprim17ROCPRIM_400000_NS6detail17trampoline_kernelINS0_14default_configENS1_38merge_sort_block_merge_config_selectorItNS0_10empty_typeEEEZZNS1_27merge_sort_block_merge_implIS3_N6thrust23THRUST_200600_302600_NS6detail15normal_iteratorINS9_10device_ptrItEEEEPS5_m11less_div_10ItEEE10hipError_tT0_T1_T2_jT3_P12ihipStream_tbPNSt15iterator_traitsISJ_E10value_typeEPNSP_ISK_E10value_typeEPSL_NS1_7vsmem_tEENKUlT_SJ_SK_SL_E_clIPtSE_SF_SF_EESI_SY_SJ_SK_SL_EUlSY_E1_NS1_11comp_targetILNS1_3genE2ELNS1_11target_archE906ELNS1_3gpuE6ELNS1_3repE0EEENS1_36merge_oddeven_config_static_selectorELNS0_4arch9wavefront6targetE0EEEvSK_
		.amdhsa_group_segment_fixed_size 0
		.amdhsa_private_segment_fixed_size 0
		.amdhsa_kernarg_size 56
		.amdhsa_user_sgpr_count 6
		.amdhsa_user_sgpr_private_segment_buffer 1
		.amdhsa_user_sgpr_dispatch_ptr 0
		.amdhsa_user_sgpr_queue_ptr 0
		.amdhsa_user_sgpr_kernarg_segment_ptr 1
		.amdhsa_user_sgpr_dispatch_id 0
		.amdhsa_user_sgpr_flat_scratch_init 0
		.amdhsa_user_sgpr_private_segment_size 0
		.amdhsa_wavefront_size32 1
		.amdhsa_uses_dynamic_stack 0
		.amdhsa_system_sgpr_private_segment_wavefront_offset 0
		.amdhsa_system_sgpr_workgroup_id_x 1
		.amdhsa_system_sgpr_workgroup_id_y 0
		.amdhsa_system_sgpr_workgroup_id_z 0
		.amdhsa_system_sgpr_workgroup_info 0
		.amdhsa_system_vgpr_workitem_id 0
		.amdhsa_next_free_vgpr 1
		.amdhsa_next_free_sgpr 1
		.amdhsa_reserve_vcc 0
		.amdhsa_reserve_flat_scratch 0
		.amdhsa_float_round_mode_32 0
		.amdhsa_float_round_mode_16_64 0
		.amdhsa_float_denorm_mode_32 3
		.amdhsa_float_denorm_mode_16_64 3
		.amdhsa_dx10_clamp 1
		.amdhsa_ieee_mode 1
		.amdhsa_fp16_overflow 0
		.amdhsa_workgroup_processor_mode 1
		.amdhsa_memory_ordered 1
		.amdhsa_forward_progress 1
		.amdhsa_shared_vgpr_count 0
		.amdhsa_exception_fp_ieee_invalid_op 0
		.amdhsa_exception_fp_denorm_src 0
		.amdhsa_exception_fp_ieee_div_zero 0
		.amdhsa_exception_fp_ieee_overflow 0
		.amdhsa_exception_fp_ieee_underflow 0
		.amdhsa_exception_fp_ieee_inexact 0
		.amdhsa_exception_int_div_zero 0
	.end_amdhsa_kernel
	.section	.text._ZN7rocprim17ROCPRIM_400000_NS6detail17trampoline_kernelINS0_14default_configENS1_38merge_sort_block_merge_config_selectorItNS0_10empty_typeEEEZZNS1_27merge_sort_block_merge_implIS3_N6thrust23THRUST_200600_302600_NS6detail15normal_iteratorINS9_10device_ptrItEEEEPS5_m11less_div_10ItEEE10hipError_tT0_T1_T2_jT3_P12ihipStream_tbPNSt15iterator_traitsISJ_E10value_typeEPNSP_ISK_E10value_typeEPSL_NS1_7vsmem_tEENKUlT_SJ_SK_SL_E_clIPtSE_SF_SF_EESI_SY_SJ_SK_SL_EUlSY_E1_NS1_11comp_targetILNS1_3genE2ELNS1_11target_archE906ELNS1_3gpuE6ELNS1_3repE0EEENS1_36merge_oddeven_config_static_selectorELNS0_4arch9wavefront6targetE0EEEvSK_,"axG",@progbits,_ZN7rocprim17ROCPRIM_400000_NS6detail17trampoline_kernelINS0_14default_configENS1_38merge_sort_block_merge_config_selectorItNS0_10empty_typeEEEZZNS1_27merge_sort_block_merge_implIS3_N6thrust23THRUST_200600_302600_NS6detail15normal_iteratorINS9_10device_ptrItEEEEPS5_m11less_div_10ItEEE10hipError_tT0_T1_T2_jT3_P12ihipStream_tbPNSt15iterator_traitsISJ_E10value_typeEPNSP_ISK_E10value_typeEPSL_NS1_7vsmem_tEENKUlT_SJ_SK_SL_E_clIPtSE_SF_SF_EESI_SY_SJ_SK_SL_EUlSY_E1_NS1_11comp_targetILNS1_3genE2ELNS1_11target_archE906ELNS1_3gpuE6ELNS1_3repE0EEENS1_36merge_oddeven_config_static_selectorELNS0_4arch9wavefront6targetE0EEEvSK_,comdat
.Lfunc_end263:
	.size	_ZN7rocprim17ROCPRIM_400000_NS6detail17trampoline_kernelINS0_14default_configENS1_38merge_sort_block_merge_config_selectorItNS0_10empty_typeEEEZZNS1_27merge_sort_block_merge_implIS3_N6thrust23THRUST_200600_302600_NS6detail15normal_iteratorINS9_10device_ptrItEEEEPS5_m11less_div_10ItEEE10hipError_tT0_T1_T2_jT3_P12ihipStream_tbPNSt15iterator_traitsISJ_E10value_typeEPNSP_ISK_E10value_typeEPSL_NS1_7vsmem_tEENKUlT_SJ_SK_SL_E_clIPtSE_SF_SF_EESI_SY_SJ_SK_SL_EUlSY_E1_NS1_11comp_targetILNS1_3genE2ELNS1_11target_archE906ELNS1_3gpuE6ELNS1_3repE0EEENS1_36merge_oddeven_config_static_selectorELNS0_4arch9wavefront6targetE0EEEvSK_, .Lfunc_end263-_ZN7rocprim17ROCPRIM_400000_NS6detail17trampoline_kernelINS0_14default_configENS1_38merge_sort_block_merge_config_selectorItNS0_10empty_typeEEEZZNS1_27merge_sort_block_merge_implIS3_N6thrust23THRUST_200600_302600_NS6detail15normal_iteratorINS9_10device_ptrItEEEEPS5_m11less_div_10ItEEE10hipError_tT0_T1_T2_jT3_P12ihipStream_tbPNSt15iterator_traitsISJ_E10value_typeEPNSP_ISK_E10value_typeEPSL_NS1_7vsmem_tEENKUlT_SJ_SK_SL_E_clIPtSE_SF_SF_EESI_SY_SJ_SK_SL_EUlSY_E1_NS1_11comp_targetILNS1_3genE2ELNS1_11target_archE906ELNS1_3gpuE6ELNS1_3repE0EEENS1_36merge_oddeven_config_static_selectorELNS0_4arch9wavefront6targetE0EEEvSK_
                                        ; -- End function
	.set _ZN7rocprim17ROCPRIM_400000_NS6detail17trampoline_kernelINS0_14default_configENS1_38merge_sort_block_merge_config_selectorItNS0_10empty_typeEEEZZNS1_27merge_sort_block_merge_implIS3_N6thrust23THRUST_200600_302600_NS6detail15normal_iteratorINS9_10device_ptrItEEEEPS5_m11less_div_10ItEEE10hipError_tT0_T1_T2_jT3_P12ihipStream_tbPNSt15iterator_traitsISJ_E10value_typeEPNSP_ISK_E10value_typeEPSL_NS1_7vsmem_tEENKUlT_SJ_SK_SL_E_clIPtSE_SF_SF_EESI_SY_SJ_SK_SL_EUlSY_E1_NS1_11comp_targetILNS1_3genE2ELNS1_11target_archE906ELNS1_3gpuE6ELNS1_3repE0EEENS1_36merge_oddeven_config_static_selectorELNS0_4arch9wavefront6targetE0EEEvSK_.num_vgpr, 0
	.set _ZN7rocprim17ROCPRIM_400000_NS6detail17trampoline_kernelINS0_14default_configENS1_38merge_sort_block_merge_config_selectorItNS0_10empty_typeEEEZZNS1_27merge_sort_block_merge_implIS3_N6thrust23THRUST_200600_302600_NS6detail15normal_iteratorINS9_10device_ptrItEEEEPS5_m11less_div_10ItEEE10hipError_tT0_T1_T2_jT3_P12ihipStream_tbPNSt15iterator_traitsISJ_E10value_typeEPNSP_ISK_E10value_typeEPSL_NS1_7vsmem_tEENKUlT_SJ_SK_SL_E_clIPtSE_SF_SF_EESI_SY_SJ_SK_SL_EUlSY_E1_NS1_11comp_targetILNS1_3genE2ELNS1_11target_archE906ELNS1_3gpuE6ELNS1_3repE0EEENS1_36merge_oddeven_config_static_selectorELNS0_4arch9wavefront6targetE0EEEvSK_.num_agpr, 0
	.set _ZN7rocprim17ROCPRIM_400000_NS6detail17trampoline_kernelINS0_14default_configENS1_38merge_sort_block_merge_config_selectorItNS0_10empty_typeEEEZZNS1_27merge_sort_block_merge_implIS3_N6thrust23THRUST_200600_302600_NS6detail15normal_iteratorINS9_10device_ptrItEEEEPS5_m11less_div_10ItEEE10hipError_tT0_T1_T2_jT3_P12ihipStream_tbPNSt15iterator_traitsISJ_E10value_typeEPNSP_ISK_E10value_typeEPSL_NS1_7vsmem_tEENKUlT_SJ_SK_SL_E_clIPtSE_SF_SF_EESI_SY_SJ_SK_SL_EUlSY_E1_NS1_11comp_targetILNS1_3genE2ELNS1_11target_archE906ELNS1_3gpuE6ELNS1_3repE0EEENS1_36merge_oddeven_config_static_selectorELNS0_4arch9wavefront6targetE0EEEvSK_.numbered_sgpr, 0
	.set _ZN7rocprim17ROCPRIM_400000_NS6detail17trampoline_kernelINS0_14default_configENS1_38merge_sort_block_merge_config_selectorItNS0_10empty_typeEEEZZNS1_27merge_sort_block_merge_implIS3_N6thrust23THRUST_200600_302600_NS6detail15normal_iteratorINS9_10device_ptrItEEEEPS5_m11less_div_10ItEEE10hipError_tT0_T1_T2_jT3_P12ihipStream_tbPNSt15iterator_traitsISJ_E10value_typeEPNSP_ISK_E10value_typeEPSL_NS1_7vsmem_tEENKUlT_SJ_SK_SL_E_clIPtSE_SF_SF_EESI_SY_SJ_SK_SL_EUlSY_E1_NS1_11comp_targetILNS1_3genE2ELNS1_11target_archE906ELNS1_3gpuE6ELNS1_3repE0EEENS1_36merge_oddeven_config_static_selectorELNS0_4arch9wavefront6targetE0EEEvSK_.num_named_barrier, 0
	.set _ZN7rocprim17ROCPRIM_400000_NS6detail17trampoline_kernelINS0_14default_configENS1_38merge_sort_block_merge_config_selectorItNS0_10empty_typeEEEZZNS1_27merge_sort_block_merge_implIS3_N6thrust23THRUST_200600_302600_NS6detail15normal_iteratorINS9_10device_ptrItEEEEPS5_m11less_div_10ItEEE10hipError_tT0_T1_T2_jT3_P12ihipStream_tbPNSt15iterator_traitsISJ_E10value_typeEPNSP_ISK_E10value_typeEPSL_NS1_7vsmem_tEENKUlT_SJ_SK_SL_E_clIPtSE_SF_SF_EESI_SY_SJ_SK_SL_EUlSY_E1_NS1_11comp_targetILNS1_3genE2ELNS1_11target_archE906ELNS1_3gpuE6ELNS1_3repE0EEENS1_36merge_oddeven_config_static_selectorELNS0_4arch9wavefront6targetE0EEEvSK_.private_seg_size, 0
	.set _ZN7rocprim17ROCPRIM_400000_NS6detail17trampoline_kernelINS0_14default_configENS1_38merge_sort_block_merge_config_selectorItNS0_10empty_typeEEEZZNS1_27merge_sort_block_merge_implIS3_N6thrust23THRUST_200600_302600_NS6detail15normal_iteratorINS9_10device_ptrItEEEEPS5_m11less_div_10ItEEE10hipError_tT0_T1_T2_jT3_P12ihipStream_tbPNSt15iterator_traitsISJ_E10value_typeEPNSP_ISK_E10value_typeEPSL_NS1_7vsmem_tEENKUlT_SJ_SK_SL_E_clIPtSE_SF_SF_EESI_SY_SJ_SK_SL_EUlSY_E1_NS1_11comp_targetILNS1_3genE2ELNS1_11target_archE906ELNS1_3gpuE6ELNS1_3repE0EEENS1_36merge_oddeven_config_static_selectorELNS0_4arch9wavefront6targetE0EEEvSK_.uses_vcc, 0
	.set _ZN7rocprim17ROCPRIM_400000_NS6detail17trampoline_kernelINS0_14default_configENS1_38merge_sort_block_merge_config_selectorItNS0_10empty_typeEEEZZNS1_27merge_sort_block_merge_implIS3_N6thrust23THRUST_200600_302600_NS6detail15normal_iteratorINS9_10device_ptrItEEEEPS5_m11less_div_10ItEEE10hipError_tT0_T1_T2_jT3_P12ihipStream_tbPNSt15iterator_traitsISJ_E10value_typeEPNSP_ISK_E10value_typeEPSL_NS1_7vsmem_tEENKUlT_SJ_SK_SL_E_clIPtSE_SF_SF_EESI_SY_SJ_SK_SL_EUlSY_E1_NS1_11comp_targetILNS1_3genE2ELNS1_11target_archE906ELNS1_3gpuE6ELNS1_3repE0EEENS1_36merge_oddeven_config_static_selectorELNS0_4arch9wavefront6targetE0EEEvSK_.uses_flat_scratch, 0
	.set _ZN7rocprim17ROCPRIM_400000_NS6detail17trampoline_kernelINS0_14default_configENS1_38merge_sort_block_merge_config_selectorItNS0_10empty_typeEEEZZNS1_27merge_sort_block_merge_implIS3_N6thrust23THRUST_200600_302600_NS6detail15normal_iteratorINS9_10device_ptrItEEEEPS5_m11less_div_10ItEEE10hipError_tT0_T1_T2_jT3_P12ihipStream_tbPNSt15iterator_traitsISJ_E10value_typeEPNSP_ISK_E10value_typeEPSL_NS1_7vsmem_tEENKUlT_SJ_SK_SL_E_clIPtSE_SF_SF_EESI_SY_SJ_SK_SL_EUlSY_E1_NS1_11comp_targetILNS1_3genE2ELNS1_11target_archE906ELNS1_3gpuE6ELNS1_3repE0EEENS1_36merge_oddeven_config_static_selectorELNS0_4arch9wavefront6targetE0EEEvSK_.has_dyn_sized_stack, 0
	.set _ZN7rocprim17ROCPRIM_400000_NS6detail17trampoline_kernelINS0_14default_configENS1_38merge_sort_block_merge_config_selectorItNS0_10empty_typeEEEZZNS1_27merge_sort_block_merge_implIS3_N6thrust23THRUST_200600_302600_NS6detail15normal_iteratorINS9_10device_ptrItEEEEPS5_m11less_div_10ItEEE10hipError_tT0_T1_T2_jT3_P12ihipStream_tbPNSt15iterator_traitsISJ_E10value_typeEPNSP_ISK_E10value_typeEPSL_NS1_7vsmem_tEENKUlT_SJ_SK_SL_E_clIPtSE_SF_SF_EESI_SY_SJ_SK_SL_EUlSY_E1_NS1_11comp_targetILNS1_3genE2ELNS1_11target_archE906ELNS1_3gpuE6ELNS1_3repE0EEENS1_36merge_oddeven_config_static_selectorELNS0_4arch9wavefront6targetE0EEEvSK_.has_recursion, 0
	.set _ZN7rocprim17ROCPRIM_400000_NS6detail17trampoline_kernelINS0_14default_configENS1_38merge_sort_block_merge_config_selectorItNS0_10empty_typeEEEZZNS1_27merge_sort_block_merge_implIS3_N6thrust23THRUST_200600_302600_NS6detail15normal_iteratorINS9_10device_ptrItEEEEPS5_m11less_div_10ItEEE10hipError_tT0_T1_T2_jT3_P12ihipStream_tbPNSt15iterator_traitsISJ_E10value_typeEPNSP_ISK_E10value_typeEPSL_NS1_7vsmem_tEENKUlT_SJ_SK_SL_E_clIPtSE_SF_SF_EESI_SY_SJ_SK_SL_EUlSY_E1_NS1_11comp_targetILNS1_3genE2ELNS1_11target_archE906ELNS1_3gpuE6ELNS1_3repE0EEENS1_36merge_oddeven_config_static_selectorELNS0_4arch9wavefront6targetE0EEEvSK_.has_indirect_call, 0
	.section	.AMDGPU.csdata,"",@progbits
; Kernel info:
; codeLenInByte = 0
; TotalNumSgprs: 0
; NumVgprs: 0
; ScratchSize: 0
; MemoryBound: 0
; FloatMode: 240
; IeeeMode: 1
; LDSByteSize: 0 bytes/workgroup (compile time only)
; SGPRBlocks: 0
; VGPRBlocks: 0
; NumSGPRsForWavesPerEU: 1
; NumVGPRsForWavesPerEU: 1
; Occupancy: 16
; WaveLimiterHint : 0
; COMPUTE_PGM_RSRC2:SCRATCH_EN: 0
; COMPUTE_PGM_RSRC2:USER_SGPR: 6
; COMPUTE_PGM_RSRC2:TRAP_HANDLER: 0
; COMPUTE_PGM_RSRC2:TGID_X_EN: 1
; COMPUTE_PGM_RSRC2:TGID_Y_EN: 0
; COMPUTE_PGM_RSRC2:TGID_Z_EN: 0
; COMPUTE_PGM_RSRC2:TIDIG_COMP_CNT: 0
	.section	.text._ZN7rocprim17ROCPRIM_400000_NS6detail17trampoline_kernelINS0_14default_configENS1_38merge_sort_block_merge_config_selectorItNS0_10empty_typeEEEZZNS1_27merge_sort_block_merge_implIS3_N6thrust23THRUST_200600_302600_NS6detail15normal_iteratorINS9_10device_ptrItEEEEPS5_m11less_div_10ItEEE10hipError_tT0_T1_T2_jT3_P12ihipStream_tbPNSt15iterator_traitsISJ_E10value_typeEPNSP_ISK_E10value_typeEPSL_NS1_7vsmem_tEENKUlT_SJ_SK_SL_E_clIPtSE_SF_SF_EESI_SY_SJ_SK_SL_EUlSY_E1_NS1_11comp_targetILNS1_3genE9ELNS1_11target_archE1100ELNS1_3gpuE3ELNS1_3repE0EEENS1_36merge_oddeven_config_static_selectorELNS0_4arch9wavefront6targetE0EEEvSK_,"axG",@progbits,_ZN7rocprim17ROCPRIM_400000_NS6detail17trampoline_kernelINS0_14default_configENS1_38merge_sort_block_merge_config_selectorItNS0_10empty_typeEEEZZNS1_27merge_sort_block_merge_implIS3_N6thrust23THRUST_200600_302600_NS6detail15normal_iteratorINS9_10device_ptrItEEEEPS5_m11less_div_10ItEEE10hipError_tT0_T1_T2_jT3_P12ihipStream_tbPNSt15iterator_traitsISJ_E10value_typeEPNSP_ISK_E10value_typeEPSL_NS1_7vsmem_tEENKUlT_SJ_SK_SL_E_clIPtSE_SF_SF_EESI_SY_SJ_SK_SL_EUlSY_E1_NS1_11comp_targetILNS1_3genE9ELNS1_11target_archE1100ELNS1_3gpuE3ELNS1_3repE0EEENS1_36merge_oddeven_config_static_selectorELNS0_4arch9wavefront6targetE0EEEvSK_,comdat
	.protected	_ZN7rocprim17ROCPRIM_400000_NS6detail17trampoline_kernelINS0_14default_configENS1_38merge_sort_block_merge_config_selectorItNS0_10empty_typeEEEZZNS1_27merge_sort_block_merge_implIS3_N6thrust23THRUST_200600_302600_NS6detail15normal_iteratorINS9_10device_ptrItEEEEPS5_m11less_div_10ItEEE10hipError_tT0_T1_T2_jT3_P12ihipStream_tbPNSt15iterator_traitsISJ_E10value_typeEPNSP_ISK_E10value_typeEPSL_NS1_7vsmem_tEENKUlT_SJ_SK_SL_E_clIPtSE_SF_SF_EESI_SY_SJ_SK_SL_EUlSY_E1_NS1_11comp_targetILNS1_3genE9ELNS1_11target_archE1100ELNS1_3gpuE3ELNS1_3repE0EEENS1_36merge_oddeven_config_static_selectorELNS0_4arch9wavefront6targetE0EEEvSK_ ; -- Begin function _ZN7rocprim17ROCPRIM_400000_NS6detail17trampoline_kernelINS0_14default_configENS1_38merge_sort_block_merge_config_selectorItNS0_10empty_typeEEEZZNS1_27merge_sort_block_merge_implIS3_N6thrust23THRUST_200600_302600_NS6detail15normal_iteratorINS9_10device_ptrItEEEEPS5_m11less_div_10ItEEE10hipError_tT0_T1_T2_jT3_P12ihipStream_tbPNSt15iterator_traitsISJ_E10value_typeEPNSP_ISK_E10value_typeEPSL_NS1_7vsmem_tEENKUlT_SJ_SK_SL_E_clIPtSE_SF_SF_EESI_SY_SJ_SK_SL_EUlSY_E1_NS1_11comp_targetILNS1_3genE9ELNS1_11target_archE1100ELNS1_3gpuE3ELNS1_3repE0EEENS1_36merge_oddeven_config_static_selectorELNS0_4arch9wavefront6targetE0EEEvSK_
	.globl	_ZN7rocprim17ROCPRIM_400000_NS6detail17trampoline_kernelINS0_14default_configENS1_38merge_sort_block_merge_config_selectorItNS0_10empty_typeEEEZZNS1_27merge_sort_block_merge_implIS3_N6thrust23THRUST_200600_302600_NS6detail15normal_iteratorINS9_10device_ptrItEEEEPS5_m11less_div_10ItEEE10hipError_tT0_T1_T2_jT3_P12ihipStream_tbPNSt15iterator_traitsISJ_E10value_typeEPNSP_ISK_E10value_typeEPSL_NS1_7vsmem_tEENKUlT_SJ_SK_SL_E_clIPtSE_SF_SF_EESI_SY_SJ_SK_SL_EUlSY_E1_NS1_11comp_targetILNS1_3genE9ELNS1_11target_archE1100ELNS1_3gpuE3ELNS1_3repE0EEENS1_36merge_oddeven_config_static_selectorELNS0_4arch9wavefront6targetE0EEEvSK_
	.p2align	8
	.type	_ZN7rocprim17ROCPRIM_400000_NS6detail17trampoline_kernelINS0_14default_configENS1_38merge_sort_block_merge_config_selectorItNS0_10empty_typeEEEZZNS1_27merge_sort_block_merge_implIS3_N6thrust23THRUST_200600_302600_NS6detail15normal_iteratorINS9_10device_ptrItEEEEPS5_m11less_div_10ItEEE10hipError_tT0_T1_T2_jT3_P12ihipStream_tbPNSt15iterator_traitsISJ_E10value_typeEPNSP_ISK_E10value_typeEPSL_NS1_7vsmem_tEENKUlT_SJ_SK_SL_E_clIPtSE_SF_SF_EESI_SY_SJ_SK_SL_EUlSY_E1_NS1_11comp_targetILNS1_3genE9ELNS1_11target_archE1100ELNS1_3gpuE3ELNS1_3repE0EEENS1_36merge_oddeven_config_static_selectorELNS0_4arch9wavefront6targetE0EEEvSK_,@function
_ZN7rocprim17ROCPRIM_400000_NS6detail17trampoline_kernelINS0_14default_configENS1_38merge_sort_block_merge_config_selectorItNS0_10empty_typeEEEZZNS1_27merge_sort_block_merge_implIS3_N6thrust23THRUST_200600_302600_NS6detail15normal_iteratorINS9_10device_ptrItEEEEPS5_m11less_div_10ItEEE10hipError_tT0_T1_T2_jT3_P12ihipStream_tbPNSt15iterator_traitsISJ_E10value_typeEPNSP_ISK_E10value_typeEPSL_NS1_7vsmem_tEENKUlT_SJ_SK_SL_E_clIPtSE_SF_SF_EESI_SY_SJ_SK_SL_EUlSY_E1_NS1_11comp_targetILNS1_3genE9ELNS1_11target_archE1100ELNS1_3gpuE3ELNS1_3repE0EEENS1_36merge_oddeven_config_static_selectorELNS0_4arch9wavefront6targetE0EEEvSK_: ; @_ZN7rocprim17ROCPRIM_400000_NS6detail17trampoline_kernelINS0_14default_configENS1_38merge_sort_block_merge_config_selectorItNS0_10empty_typeEEEZZNS1_27merge_sort_block_merge_implIS3_N6thrust23THRUST_200600_302600_NS6detail15normal_iteratorINS9_10device_ptrItEEEEPS5_m11less_div_10ItEEE10hipError_tT0_T1_T2_jT3_P12ihipStream_tbPNSt15iterator_traitsISJ_E10value_typeEPNSP_ISK_E10value_typeEPSL_NS1_7vsmem_tEENKUlT_SJ_SK_SL_E_clIPtSE_SF_SF_EESI_SY_SJ_SK_SL_EUlSY_E1_NS1_11comp_targetILNS1_3genE9ELNS1_11target_archE1100ELNS1_3gpuE3ELNS1_3repE0EEENS1_36merge_oddeven_config_static_selectorELNS0_4arch9wavefront6targetE0EEEvSK_
; %bb.0:
	.section	.rodata,"a",@progbits
	.p2align	6, 0x0
	.amdhsa_kernel _ZN7rocprim17ROCPRIM_400000_NS6detail17trampoline_kernelINS0_14default_configENS1_38merge_sort_block_merge_config_selectorItNS0_10empty_typeEEEZZNS1_27merge_sort_block_merge_implIS3_N6thrust23THRUST_200600_302600_NS6detail15normal_iteratorINS9_10device_ptrItEEEEPS5_m11less_div_10ItEEE10hipError_tT0_T1_T2_jT3_P12ihipStream_tbPNSt15iterator_traitsISJ_E10value_typeEPNSP_ISK_E10value_typeEPSL_NS1_7vsmem_tEENKUlT_SJ_SK_SL_E_clIPtSE_SF_SF_EESI_SY_SJ_SK_SL_EUlSY_E1_NS1_11comp_targetILNS1_3genE9ELNS1_11target_archE1100ELNS1_3gpuE3ELNS1_3repE0EEENS1_36merge_oddeven_config_static_selectorELNS0_4arch9wavefront6targetE0EEEvSK_
		.amdhsa_group_segment_fixed_size 0
		.amdhsa_private_segment_fixed_size 0
		.amdhsa_kernarg_size 56
		.amdhsa_user_sgpr_count 6
		.amdhsa_user_sgpr_private_segment_buffer 1
		.amdhsa_user_sgpr_dispatch_ptr 0
		.amdhsa_user_sgpr_queue_ptr 0
		.amdhsa_user_sgpr_kernarg_segment_ptr 1
		.amdhsa_user_sgpr_dispatch_id 0
		.amdhsa_user_sgpr_flat_scratch_init 0
		.amdhsa_user_sgpr_private_segment_size 0
		.amdhsa_wavefront_size32 1
		.amdhsa_uses_dynamic_stack 0
		.amdhsa_system_sgpr_private_segment_wavefront_offset 0
		.amdhsa_system_sgpr_workgroup_id_x 1
		.amdhsa_system_sgpr_workgroup_id_y 0
		.amdhsa_system_sgpr_workgroup_id_z 0
		.amdhsa_system_sgpr_workgroup_info 0
		.amdhsa_system_vgpr_workitem_id 0
		.amdhsa_next_free_vgpr 1
		.amdhsa_next_free_sgpr 1
		.amdhsa_reserve_vcc 0
		.amdhsa_reserve_flat_scratch 0
		.amdhsa_float_round_mode_32 0
		.amdhsa_float_round_mode_16_64 0
		.amdhsa_float_denorm_mode_32 3
		.amdhsa_float_denorm_mode_16_64 3
		.amdhsa_dx10_clamp 1
		.amdhsa_ieee_mode 1
		.amdhsa_fp16_overflow 0
		.amdhsa_workgroup_processor_mode 1
		.amdhsa_memory_ordered 1
		.amdhsa_forward_progress 1
		.amdhsa_shared_vgpr_count 0
		.amdhsa_exception_fp_ieee_invalid_op 0
		.amdhsa_exception_fp_denorm_src 0
		.amdhsa_exception_fp_ieee_div_zero 0
		.amdhsa_exception_fp_ieee_overflow 0
		.amdhsa_exception_fp_ieee_underflow 0
		.amdhsa_exception_fp_ieee_inexact 0
		.amdhsa_exception_int_div_zero 0
	.end_amdhsa_kernel
	.section	.text._ZN7rocprim17ROCPRIM_400000_NS6detail17trampoline_kernelINS0_14default_configENS1_38merge_sort_block_merge_config_selectorItNS0_10empty_typeEEEZZNS1_27merge_sort_block_merge_implIS3_N6thrust23THRUST_200600_302600_NS6detail15normal_iteratorINS9_10device_ptrItEEEEPS5_m11less_div_10ItEEE10hipError_tT0_T1_T2_jT3_P12ihipStream_tbPNSt15iterator_traitsISJ_E10value_typeEPNSP_ISK_E10value_typeEPSL_NS1_7vsmem_tEENKUlT_SJ_SK_SL_E_clIPtSE_SF_SF_EESI_SY_SJ_SK_SL_EUlSY_E1_NS1_11comp_targetILNS1_3genE9ELNS1_11target_archE1100ELNS1_3gpuE3ELNS1_3repE0EEENS1_36merge_oddeven_config_static_selectorELNS0_4arch9wavefront6targetE0EEEvSK_,"axG",@progbits,_ZN7rocprim17ROCPRIM_400000_NS6detail17trampoline_kernelINS0_14default_configENS1_38merge_sort_block_merge_config_selectorItNS0_10empty_typeEEEZZNS1_27merge_sort_block_merge_implIS3_N6thrust23THRUST_200600_302600_NS6detail15normal_iteratorINS9_10device_ptrItEEEEPS5_m11less_div_10ItEEE10hipError_tT0_T1_T2_jT3_P12ihipStream_tbPNSt15iterator_traitsISJ_E10value_typeEPNSP_ISK_E10value_typeEPSL_NS1_7vsmem_tEENKUlT_SJ_SK_SL_E_clIPtSE_SF_SF_EESI_SY_SJ_SK_SL_EUlSY_E1_NS1_11comp_targetILNS1_3genE9ELNS1_11target_archE1100ELNS1_3gpuE3ELNS1_3repE0EEENS1_36merge_oddeven_config_static_selectorELNS0_4arch9wavefront6targetE0EEEvSK_,comdat
.Lfunc_end264:
	.size	_ZN7rocprim17ROCPRIM_400000_NS6detail17trampoline_kernelINS0_14default_configENS1_38merge_sort_block_merge_config_selectorItNS0_10empty_typeEEEZZNS1_27merge_sort_block_merge_implIS3_N6thrust23THRUST_200600_302600_NS6detail15normal_iteratorINS9_10device_ptrItEEEEPS5_m11less_div_10ItEEE10hipError_tT0_T1_T2_jT3_P12ihipStream_tbPNSt15iterator_traitsISJ_E10value_typeEPNSP_ISK_E10value_typeEPSL_NS1_7vsmem_tEENKUlT_SJ_SK_SL_E_clIPtSE_SF_SF_EESI_SY_SJ_SK_SL_EUlSY_E1_NS1_11comp_targetILNS1_3genE9ELNS1_11target_archE1100ELNS1_3gpuE3ELNS1_3repE0EEENS1_36merge_oddeven_config_static_selectorELNS0_4arch9wavefront6targetE0EEEvSK_, .Lfunc_end264-_ZN7rocprim17ROCPRIM_400000_NS6detail17trampoline_kernelINS0_14default_configENS1_38merge_sort_block_merge_config_selectorItNS0_10empty_typeEEEZZNS1_27merge_sort_block_merge_implIS3_N6thrust23THRUST_200600_302600_NS6detail15normal_iteratorINS9_10device_ptrItEEEEPS5_m11less_div_10ItEEE10hipError_tT0_T1_T2_jT3_P12ihipStream_tbPNSt15iterator_traitsISJ_E10value_typeEPNSP_ISK_E10value_typeEPSL_NS1_7vsmem_tEENKUlT_SJ_SK_SL_E_clIPtSE_SF_SF_EESI_SY_SJ_SK_SL_EUlSY_E1_NS1_11comp_targetILNS1_3genE9ELNS1_11target_archE1100ELNS1_3gpuE3ELNS1_3repE0EEENS1_36merge_oddeven_config_static_selectorELNS0_4arch9wavefront6targetE0EEEvSK_
                                        ; -- End function
	.set _ZN7rocprim17ROCPRIM_400000_NS6detail17trampoline_kernelINS0_14default_configENS1_38merge_sort_block_merge_config_selectorItNS0_10empty_typeEEEZZNS1_27merge_sort_block_merge_implIS3_N6thrust23THRUST_200600_302600_NS6detail15normal_iteratorINS9_10device_ptrItEEEEPS5_m11less_div_10ItEEE10hipError_tT0_T1_T2_jT3_P12ihipStream_tbPNSt15iterator_traitsISJ_E10value_typeEPNSP_ISK_E10value_typeEPSL_NS1_7vsmem_tEENKUlT_SJ_SK_SL_E_clIPtSE_SF_SF_EESI_SY_SJ_SK_SL_EUlSY_E1_NS1_11comp_targetILNS1_3genE9ELNS1_11target_archE1100ELNS1_3gpuE3ELNS1_3repE0EEENS1_36merge_oddeven_config_static_selectorELNS0_4arch9wavefront6targetE0EEEvSK_.num_vgpr, 0
	.set _ZN7rocprim17ROCPRIM_400000_NS6detail17trampoline_kernelINS0_14default_configENS1_38merge_sort_block_merge_config_selectorItNS0_10empty_typeEEEZZNS1_27merge_sort_block_merge_implIS3_N6thrust23THRUST_200600_302600_NS6detail15normal_iteratorINS9_10device_ptrItEEEEPS5_m11less_div_10ItEEE10hipError_tT0_T1_T2_jT3_P12ihipStream_tbPNSt15iterator_traitsISJ_E10value_typeEPNSP_ISK_E10value_typeEPSL_NS1_7vsmem_tEENKUlT_SJ_SK_SL_E_clIPtSE_SF_SF_EESI_SY_SJ_SK_SL_EUlSY_E1_NS1_11comp_targetILNS1_3genE9ELNS1_11target_archE1100ELNS1_3gpuE3ELNS1_3repE0EEENS1_36merge_oddeven_config_static_selectorELNS0_4arch9wavefront6targetE0EEEvSK_.num_agpr, 0
	.set _ZN7rocprim17ROCPRIM_400000_NS6detail17trampoline_kernelINS0_14default_configENS1_38merge_sort_block_merge_config_selectorItNS0_10empty_typeEEEZZNS1_27merge_sort_block_merge_implIS3_N6thrust23THRUST_200600_302600_NS6detail15normal_iteratorINS9_10device_ptrItEEEEPS5_m11less_div_10ItEEE10hipError_tT0_T1_T2_jT3_P12ihipStream_tbPNSt15iterator_traitsISJ_E10value_typeEPNSP_ISK_E10value_typeEPSL_NS1_7vsmem_tEENKUlT_SJ_SK_SL_E_clIPtSE_SF_SF_EESI_SY_SJ_SK_SL_EUlSY_E1_NS1_11comp_targetILNS1_3genE9ELNS1_11target_archE1100ELNS1_3gpuE3ELNS1_3repE0EEENS1_36merge_oddeven_config_static_selectorELNS0_4arch9wavefront6targetE0EEEvSK_.numbered_sgpr, 0
	.set _ZN7rocprim17ROCPRIM_400000_NS6detail17trampoline_kernelINS0_14default_configENS1_38merge_sort_block_merge_config_selectorItNS0_10empty_typeEEEZZNS1_27merge_sort_block_merge_implIS3_N6thrust23THRUST_200600_302600_NS6detail15normal_iteratorINS9_10device_ptrItEEEEPS5_m11less_div_10ItEEE10hipError_tT0_T1_T2_jT3_P12ihipStream_tbPNSt15iterator_traitsISJ_E10value_typeEPNSP_ISK_E10value_typeEPSL_NS1_7vsmem_tEENKUlT_SJ_SK_SL_E_clIPtSE_SF_SF_EESI_SY_SJ_SK_SL_EUlSY_E1_NS1_11comp_targetILNS1_3genE9ELNS1_11target_archE1100ELNS1_3gpuE3ELNS1_3repE0EEENS1_36merge_oddeven_config_static_selectorELNS0_4arch9wavefront6targetE0EEEvSK_.num_named_barrier, 0
	.set _ZN7rocprim17ROCPRIM_400000_NS6detail17trampoline_kernelINS0_14default_configENS1_38merge_sort_block_merge_config_selectorItNS0_10empty_typeEEEZZNS1_27merge_sort_block_merge_implIS3_N6thrust23THRUST_200600_302600_NS6detail15normal_iteratorINS9_10device_ptrItEEEEPS5_m11less_div_10ItEEE10hipError_tT0_T1_T2_jT3_P12ihipStream_tbPNSt15iterator_traitsISJ_E10value_typeEPNSP_ISK_E10value_typeEPSL_NS1_7vsmem_tEENKUlT_SJ_SK_SL_E_clIPtSE_SF_SF_EESI_SY_SJ_SK_SL_EUlSY_E1_NS1_11comp_targetILNS1_3genE9ELNS1_11target_archE1100ELNS1_3gpuE3ELNS1_3repE0EEENS1_36merge_oddeven_config_static_selectorELNS0_4arch9wavefront6targetE0EEEvSK_.private_seg_size, 0
	.set _ZN7rocprim17ROCPRIM_400000_NS6detail17trampoline_kernelINS0_14default_configENS1_38merge_sort_block_merge_config_selectorItNS0_10empty_typeEEEZZNS1_27merge_sort_block_merge_implIS3_N6thrust23THRUST_200600_302600_NS6detail15normal_iteratorINS9_10device_ptrItEEEEPS5_m11less_div_10ItEEE10hipError_tT0_T1_T2_jT3_P12ihipStream_tbPNSt15iterator_traitsISJ_E10value_typeEPNSP_ISK_E10value_typeEPSL_NS1_7vsmem_tEENKUlT_SJ_SK_SL_E_clIPtSE_SF_SF_EESI_SY_SJ_SK_SL_EUlSY_E1_NS1_11comp_targetILNS1_3genE9ELNS1_11target_archE1100ELNS1_3gpuE3ELNS1_3repE0EEENS1_36merge_oddeven_config_static_selectorELNS0_4arch9wavefront6targetE0EEEvSK_.uses_vcc, 0
	.set _ZN7rocprim17ROCPRIM_400000_NS6detail17trampoline_kernelINS0_14default_configENS1_38merge_sort_block_merge_config_selectorItNS0_10empty_typeEEEZZNS1_27merge_sort_block_merge_implIS3_N6thrust23THRUST_200600_302600_NS6detail15normal_iteratorINS9_10device_ptrItEEEEPS5_m11less_div_10ItEEE10hipError_tT0_T1_T2_jT3_P12ihipStream_tbPNSt15iterator_traitsISJ_E10value_typeEPNSP_ISK_E10value_typeEPSL_NS1_7vsmem_tEENKUlT_SJ_SK_SL_E_clIPtSE_SF_SF_EESI_SY_SJ_SK_SL_EUlSY_E1_NS1_11comp_targetILNS1_3genE9ELNS1_11target_archE1100ELNS1_3gpuE3ELNS1_3repE0EEENS1_36merge_oddeven_config_static_selectorELNS0_4arch9wavefront6targetE0EEEvSK_.uses_flat_scratch, 0
	.set _ZN7rocprim17ROCPRIM_400000_NS6detail17trampoline_kernelINS0_14default_configENS1_38merge_sort_block_merge_config_selectorItNS0_10empty_typeEEEZZNS1_27merge_sort_block_merge_implIS3_N6thrust23THRUST_200600_302600_NS6detail15normal_iteratorINS9_10device_ptrItEEEEPS5_m11less_div_10ItEEE10hipError_tT0_T1_T2_jT3_P12ihipStream_tbPNSt15iterator_traitsISJ_E10value_typeEPNSP_ISK_E10value_typeEPSL_NS1_7vsmem_tEENKUlT_SJ_SK_SL_E_clIPtSE_SF_SF_EESI_SY_SJ_SK_SL_EUlSY_E1_NS1_11comp_targetILNS1_3genE9ELNS1_11target_archE1100ELNS1_3gpuE3ELNS1_3repE0EEENS1_36merge_oddeven_config_static_selectorELNS0_4arch9wavefront6targetE0EEEvSK_.has_dyn_sized_stack, 0
	.set _ZN7rocprim17ROCPRIM_400000_NS6detail17trampoline_kernelINS0_14default_configENS1_38merge_sort_block_merge_config_selectorItNS0_10empty_typeEEEZZNS1_27merge_sort_block_merge_implIS3_N6thrust23THRUST_200600_302600_NS6detail15normal_iteratorINS9_10device_ptrItEEEEPS5_m11less_div_10ItEEE10hipError_tT0_T1_T2_jT3_P12ihipStream_tbPNSt15iterator_traitsISJ_E10value_typeEPNSP_ISK_E10value_typeEPSL_NS1_7vsmem_tEENKUlT_SJ_SK_SL_E_clIPtSE_SF_SF_EESI_SY_SJ_SK_SL_EUlSY_E1_NS1_11comp_targetILNS1_3genE9ELNS1_11target_archE1100ELNS1_3gpuE3ELNS1_3repE0EEENS1_36merge_oddeven_config_static_selectorELNS0_4arch9wavefront6targetE0EEEvSK_.has_recursion, 0
	.set _ZN7rocprim17ROCPRIM_400000_NS6detail17trampoline_kernelINS0_14default_configENS1_38merge_sort_block_merge_config_selectorItNS0_10empty_typeEEEZZNS1_27merge_sort_block_merge_implIS3_N6thrust23THRUST_200600_302600_NS6detail15normal_iteratorINS9_10device_ptrItEEEEPS5_m11less_div_10ItEEE10hipError_tT0_T1_T2_jT3_P12ihipStream_tbPNSt15iterator_traitsISJ_E10value_typeEPNSP_ISK_E10value_typeEPSL_NS1_7vsmem_tEENKUlT_SJ_SK_SL_E_clIPtSE_SF_SF_EESI_SY_SJ_SK_SL_EUlSY_E1_NS1_11comp_targetILNS1_3genE9ELNS1_11target_archE1100ELNS1_3gpuE3ELNS1_3repE0EEENS1_36merge_oddeven_config_static_selectorELNS0_4arch9wavefront6targetE0EEEvSK_.has_indirect_call, 0
	.section	.AMDGPU.csdata,"",@progbits
; Kernel info:
; codeLenInByte = 0
; TotalNumSgprs: 0
; NumVgprs: 0
; ScratchSize: 0
; MemoryBound: 0
; FloatMode: 240
; IeeeMode: 1
; LDSByteSize: 0 bytes/workgroup (compile time only)
; SGPRBlocks: 0
; VGPRBlocks: 0
; NumSGPRsForWavesPerEU: 1
; NumVGPRsForWavesPerEU: 1
; Occupancy: 16
; WaveLimiterHint : 0
; COMPUTE_PGM_RSRC2:SCRATCH_EN: 0
; COMPUTE_PGM_RSRC2:USER_SGPR: 6
; COMPUTE_PGM_RSRC2:TRAP_HANDLER: 0
; COMPUTE_PGM_RSRC2:TGID_X_EN: 1
; COMPUTE_PGM_RSRC2:TGID_Y_EN: 0
; COMPUTE_PGM_RSRC2:TGID_Z_EN: 0
; COMPUTE_PGM_RSRC2:TIDIG_COMP_CNT: 0
	.section	.text._ZN7rocprim17ROCPRIM_400000_NS6detail17trampoline_kernelINS0_14default_configENS1_38merge_sort_block_merge_config_selectorItNS0_10empty_typeEEEZZNS1_27merge_sort_block_merge_implIS3_N6thrust23THRUST_200600_302600_NS6detail15normal_iteratorINS9_10device_ptrItEEEEPS5_m11less_div_10ItEEE10hipError_tT0_T1_T2_jT3_P12ihipStream_tbPNSt15iterator_traitsISJ_E10value_typeEPNSP_ISK_E10value_typeEPSL_NS1_7vsmem_tEENKUlT_SJ_SK_SL_E_clIPtSE_SF_SF_EESI_SY_SJ_SK_SL_EUlSY_E1_NS1_11comp_targetILNS1_3genE8ELNS1_11target_archE1030ELNS1_3gpuE2ELNS1_3repE0EEENS1_36merge_oddeven_config_static_selectorELNS0_4arch9wavefront6targetE0EEEvSK_,"axG",@progbits,_ZN7rocprim17ROCPRIM_400000_NS6detail17trampoline_kernelINS0_14default_configENS1_38merge_sort_block_merge_config_selectorItNS0_10empty_typeEEEZZNS1_27merge_sort_block_merge_implIS3_N6thrust23THRUST_200600_302600_NS6detail15normal_iteratorINS9_10device_ptrItEEEEPS5_m11less_div_10ItEEE10hipError_tT0_T1_T2_jT3_P12ihipStream_tbPNSt15iterator_traitsISJ_E10value_typeEPNSP_ISK_E10value_typeEPSL_NS1_7vsmem_tEENKUlT_SJ_SK_SL_E_clIPtSE_SF_SF_EESI_SY_SJ_SK_SL_EUlSY_E1_NS1_11comp_targetILNS1_3genE8ELNS1_11target_archE1030ELNS1_3gpuE2ELNS1_3repE0EEENS1_36merge_oddeven_config_static_selectorELNS0_4arch9wavefront6targetE0EEEvSK_,comdat
	.protected	_ZN7rocprim17ROCPRIM_400000_NS6detail17trampoline_kernelINS0_14default_configENS1_38merge_sort_block_merge_config_selectorItNS0_10empty_typeEEEZZNS1_27merge_sort_block_merge_implIS3_N6thrust23THRUST_200600_302600_NS6detail15normal_iteratorINS9_10device_ptrItEEEEPS5_m11less_div_10ItEEE10hipError_tT0_T1_T2_jT3_P12ihipStream_tbPNSt15iterator_traitsISJ_E10value_typeEPNSP_ISK_E10value_typeEPSL_NS1_7vsmem_tEENKUlT_SJ_SK_SL_E_clIPtSE_SF_SF_EESI_SY_SJ_SK_SL_EUlSY_E1_NS1_11comp_targetILNS1_3genE8ELNS1_11target_archE1030ELNS1_3gpuE2ELNS1_3repE0EEENS1_36merge_oddeven_config_static_selectorELNS0_4arch9wavefront6targetE0EEEvSK_ ; -- Begin function _ZN7rocprim17ROCPRIM_400000_NS6detail17trampoline_kernelINS0_14default_configENS1_38merge_sort_block_merge_config_selectorItNS0_10empty_typeEEEZZNS1_27merge_sort_block_merge_implIS3_N6thrust23THRUST_200600_302600_NS6detail15normal_iteratorINS9_10device_ptrItEEEEPS5_m11less_div_10ItEEE10hipError_tT0_T1_T2_jT3_P12ihipStream_tbPNSt15iterator_traitsISJ_E10value_typeEPNSP_ISK_E10value_typeEPSL_NS1_7vsmem_tEENKUlT_SJ_SK_SL_E_clIPtSE_SF_SF_EESI_SY_SJ_SK_SL_EUlSY_E1_NS1_11comp_targetILNS1_3genE8ELNS1_11target_archE1030ELNS1_3gpuE2ELNS1_3repE0EEENS1_36merge_oddeven_config_static_selectorELNS0_4arch9wavefront6targetE0EEEvSK_
	.globl	_ZN7rocprim17ROCPRIM_400000_NS6detail17trampoline_kernelINS0_14default_configENS1_38merge_sort_block_merge_config_selectorItNS0_10empty_typeEEEZZNS1_27merge_sort_block_merge_implIS3_N6thrust23THRUST_200600_302600_NS6detail15normal_iteratorINS9_10device_ptrItEEEEPS5_m11less_div_10ItEEE10hipError_tT0_T1_T2_jT3_P12ihipStream_tbPNSt15iterator_traitsISJ_E10value_typeEPNSP_ISK_E10value_typeEPSL_NS1_7vsmem_tEENKUlT_SJ_SK_SL_E_clIPtSE_SF_SF_EESI_SY_SJ_SK_SL_EUlSY_E1_NS1_11comp_targetILNS1_3genE8ELNS1_11target_archE1030ELNS1_3gpuE2ELNS1_3repE0EEENS1_36merge_oddeven_config_static_selectorELNS0_4arch9wavefront6targetE0EEEvSK_
	.p2align	8
	.type	_ZN7rocprim17ROCPRIM_400000_NS6detail17trampoline_kernelINS0_14default_configENS1_38merge_sort_block_merge_config_selectorItNS0_10empty_typeEEEZZNS1_27merge_sort_block_merge_implIS3_N6thrust23THRUST_200600_302600_NS6detail15normal_iteratorINS9_10device_ptrItEEEEPS5_m11less_div_10ItEEE10hipError_tT0_T1_T2_jT3_P12ihipStream_tbPNSt15iterator_traitsISJ_E10value_typeEPNSP_ISK_E10value_typeEPSL_NS1_7vsmem_tEENKUlT_SJ_SK_SL_E_clIPtSE_SF_SF_EESI_SY_SJ_SK_SL_EUlSY_E1_NS1_11comp_targetILNS1_3genE8ELNS1_11target_archE1030ELNS1_3gpuE2ELNS1_3repE0EEENS1_36merge_oddeven_config_static_selectorELNS0_4arch9wavefront6targetE0EEEvSK_,@function
_ZN7rocprim17ROCPRIM_400000_NS6detail17trampoline_kernelINS0_14default_configENS1_38merge_sort_block_merge_config_selectorItNS0_10empty_typeEEEZZNS1_27merge_sort_block_merge_implIS3_N6thrust23THRUST_200600_302600_NS6detail15normal_iteratorINS9_10device_ptrItEEEEPS5_m11less_div_10ItEEE10hipError_tT0_T1_T2_jT3_P12ihipStream_tbPNSt15iterator_traitsISJ_E10value_typeEPNSP_ISK_E10value_typeEPSL_NS1_7vsmem_tEENKUlT_SJ_SK_SL_E_clIPtSE_SF_SF_EESI_SY_SJ_SK_SL_EUlSY_E1_NS1_11comp_targetILNS1_3genE8ELNS1_11target_archE1030ELNS1_3gpuE2ELNS1_3repE0EEENS1_36merge_oddeven_config_static_selectorELNS0_4arch9wavefront6targetE0EEEvSK_: ; @_ZN7rocprim17ROCPRIM_400000_NS6detail17trampoline_kernelINS0_14default_configENS1_38merge_sort_block_merge_config_selectorItNS0_10empty_typeEEEZZNS1_27merge_sort_block_merge_implIS3_N6thrust23THRUST_200600_302600_NS6detail15normal_iteratorINS9_10device_ptrItEEEEPS5_m11less_div_10ItEEE10hipError_tT0_T1_T2_jT3_P12ihipStream_tbPNSt15iterator_traitsISJ_E10value_typeEPNSP_ISK_E10value_typeEPSL_NS1_7vsmem_tEENKUlT_SJ_SK_SL_E_clIPtSE_SF_SF_EESI_SY_SJ_SK_SL_EUlSY_E1_NS1_11comp_targetILNS1_3genE8ELNS1_11target_archE1030ELNS1_3gpuE2ELNS1_3repE0EEENS1_36merge_oddeven_config_static_selectorELNS0_4arch9wavefront6targetE0EEEvSK_
; %bb.0:
	s_load_dword s7, s[4:5], 0x20
	s_waitcnt lgkmcnt(0)
	s_lshr_b32 s0, s7, 8
	s_cmp_lg_u32 s6, s0
	s_cselect_b32 s13, -1, 0
	s_cmp_eq_u32 s6, s0
	s_cselect_b32 s12, -1, 0
	s_lshl_b32 s2, s6, 8
	s_sub_i32 s0, s7, s2
	v_cmp_gt_u32_e64 s1, s0, v0
	s_or_b32 s0, s13, s1
	s_and_saveexec_b32 s3, s0
	s_cbranch_execz .LBB265_20
; %bb.1:
	s_load_dwordx4 s[8:11], s[4:5], 0x0
	s_mov_b32 s3, 0
	v_lshlrev_b32_e32 v1, 1, v0
	s_lshl_b64 s[14:15], s[2:3], 1
	s_load_dword s5, s[4:5], 0x28
	v_add_nc_u32_e32 v0, s2, v0
	s_waitcnt lgkmcnt(0)
	s_add_u32 s14, s8, s14
	s_addc_u32 s15, s9, s15
	global_load_ushort v2, v1, s[14:15]
	s_lshr_b32 s0, s5, 8
	s_sub_i32 s4, 0, s0
	s_and_b32 s4, s6, s4
	s_and_b32 s0, s4, s0
	s_lshl_b32 s6, s4, 8
	s_sub_i32 s4, 0, s5
	s_cmp_eq_u32 s0, 0
	s_cselect_b32 s0, -1, 0
	s_and_b32 s14, s0, exec_lo
	s_cselect_b32 s4, s5, s4
	s_add_i32 s4, s4, s6
	s_cmp_lt_u32 s4, s7
	s_cbranch_scc1 .LBB265_3
; %bb.2:
	v_cmp_gt_u32_e32 vcc_lo, s7, v0
	s_or_b32 s3, vcc_lo, s13
	s_and_b32 s3, s3, exec_lo
	s_cbranch_execz .LBB265_4
	s_branch .LBB265_18
.LBB265_3:
.LBB265_4:
	v_mov_b32_e32 v1, 0xcccd
	s_min_u32 s2, s4, s7
	s_and_b32 vcc_lo, exec_lo, s12
	s_add_i32 s13, s6, s2
	s_min_u32 s6, s6, s2
	v_subrev_nc_u32_e32 v0, s13, v0
	s_waitcnt vmcnt(0)
	v_mul_u32_u24_sdwa v3, v2, v1 dst_sel:DWORD dst_unused:UNUSED_PAD src0_sel:WORD_0 src1_sel:DWORD
	s_add_i32 s5, s2, s5
	s_min_u32 s5, s5, s7
	v_add_nc_u32_e32 v1, s6, v0
	v_lshrrev_b32_e32 v3, 19, v3
	s_cbranch_vccz .LBB265_12
; %bb.5:
                                        ; implicit-def: $vgpr0
	s_and_saveexec_b32 s6, s1
	s_cbranch_execz .LBB265_11
; %bb.6:
	v_mov_b32_e32 v0, s2
	s_cmp_ge_u32 s4, s5
	s_cbranch_scc1 .LBB265_10
; %bb.7:
	v_mov_b32_e32 v4, s5
	v_mov_b32_e32 v0, s2
	s_mov_b32 s1, 0
	.p2align	6
.LBB265_8:                              ; =>This Inner Loop Header: Depth=1
	v_add_nc_u32_e32 v5, v0, v4
	v_and_b32_e32 v6, -2, v5
	v_lshrrev_b32_e32 v5, 1, v5
	global_load_ushort v6, v6, s[8:9]
	s_waitcnt vmcnt(0)
	v_mul_u32_u24_e32 v6, 0xcccd, v6
	v_lshrrev_b32_e32 v6, 19, v6
	v_cmp_lt_u16_e32 vcc_lo, v6, v3
	v_cndmask_b32_e64 v7, 0, 1, vcc_lo
	v_cmp_ge_u16_e32 vcc_lo, v3, v6
	v_cndmask_b32_e64 v6, 0, 1, vcc_lo
	v_cndmask_b32_e64 v6, v6, v7, s0
	v_add_nc_u32_e32 v7, 1, v5
	v_and_b32_e32 v6, 1, v6
	v_cmp_eq_u32_e32 vcc_lo, 1, v6
	v_cndmask_b32_e32 v4, v5, v4, vcc_lo
	v_cndmask_b32_e32 v0, v0, v7, vcc_lo
	v_cmp_ge_u32_e32 vcc_lo, v0, v4
	s_or_b32 s1, vcc_lo, s1
	s_andn2_b32 exec_lo, exec_lo, s1
	s_cbranch_execnz .LBB265_8
; %bb.9:
	s_or_b32 exec_lo, exec_lo, s1
.LBB265_10:
	v_add_nc_u32_e32 v0, v0, v1
	s_or_b32 s3, s3, exec_lo
.LBB265_11:
	s_or_b32 exec_lo, exec_lo, s6
	s_branch .LBB265_18
.LBB265_12:
                                        ; implicit-def: $vgpr0
	s_cbranch_execz .LBB265_18
; %bb.13:
	v_mov_b32_e32 v0, s2
	s_cmp_ge_u32 s4, s5
	s_cbranch_scc1 .LBB265_17
; %bb.14:
	v_mov_b32_e32 v4, s5
	v_mov_b32_e32 v0, s2
	s_mov_b32 s1, 0
	.p2align	6
.LBB265_15:                             ; =>This Inner Loop Header: Depth=1
	v_add_nc_u32_e32 v5, v0, v4
	v_and_b32_e32 v6, -2, v5
	v_lshrrev_b32_e32 v5, 1, v5
	global_load_ushort v6, v6, s[8:9]
	s_waitcnt vmcnt(0)
	v_mul_u32_u24_e32 v6, 0xcccd, v6
	v_lshrrev_b32_e32 v6, 19, v6
	v_cmp_lt_u16_e32 vcc_lo, v6, v3
	v_cndmask_b32_e64 v7, 0, 1, vcc_lo
	v_cmp_ge_u16_e32 vcc_lo, v3, v6
	v_cndmask_b32_e64 v6, 0, 1, vcc_lo
	v_cndmask_b32_e64 v6, v6, v7, s0
	v_add_nc_u32_e32 v7, 1, v5
	v_and_b32_e32 v6, 1, v6
	v_cmp_eq_u32_e32 vcc_lo, 1, v6
	v_cndmask_b32_e32 v4, v5, v4, vcc_lo
	v_cndmask_b32_e32 v0, v0, v7, vcc_lo
	v_cmp_ge_u32_e32 vcc_lo, v0, v4
	s_or_b32 s1, vcc_lo, s1
	s_andn2_b32 exec_lo, exec_lo, s1
	s_cbranch_execnz .LBB265_15
; %bb.16:
	s_or_b32 exec_lo, exec_lo, s1
.LBB265_17:
	v_add_nc_u32_e32 v0, v0, v1
	s_mov_b32 s3, -1
.LBB265_18:
	s_and_b32 exec_lo, exec_lo, s3
	s_cbranch_execz .LBB265_20
; %bb.19:
	v_mov_b32_e32 v1, 0
	v_lshlrev_b64 v[0:1], 1, v[0:1]
	v_add_co_u32 v0, vcc_lo, s10, v0
	v_add_co_ci_u32_e64 v1, null, s11, v1, vcc_lo
	s_waitcnt vmcnt(0)
	global_store_short v[0:1], v2, off
.LBB265_20:
	s_endpgm
	.section	.rodata,"a",@progbits
	.p2align	6, 0x0
	.amdhsa_kernel _ZN7rocprim17ROCPRIM_400000_NS6detail17trampoline_kernelINS0_14default_configENS1_38merge_sort_block_merge_config_selectorItNS0_10empty_typeEEEZZNS1_27merge_sort_block_merge_implIS3_N6thrust23THRUST_200600_302600_NS6detail15normal_iteratorINS9_10device_ptrItEEEEPS5_m11less_div_10ItEEE10hipError_tT0_T1_T2_jT3_P12ihipStream_tbPNSt15iterator_traitsISJ_E10value_typeEPNSP_ISK_E10value_typeEPSL_NS1_7vsmem_tEENKUlT_SJ_SK_SL_E_clIPtSE_SF_SF_EESI_SY_SJ_SK_SL_EUlSY_E1_NS1_11comp_targetILNS1_3genE8ELNS1_11target_archE1030ELNS1_3gpuE2ELNS1_3repE0EEENS1_36merge_oddeven_config_static_selectorELNS0_4arch9wavefront6targetE0EEEvSK_
		.amdhsa_group_segment_fixed_size 0
		.amdhsa_private_segment_fixed_size 0
		.amdhsa_kernarg_size 56
		.amdhsa_user_sgpr_count 6
		.amdhsa_user_sgpr_private_segment_buffer 1
		.amdhsa_user_sgpr_dispatch_ptr 0
		.amdhsa_user_sgpr_queue_ptr 0
		.amdhsa_user_sgpr_kernarg_segment_ptr 1
		.amdhsa_user_sgpr_dispatch_id 0
		.amdhsa_user_sgpr_flat_scratch_init 0
		.amdhsa_user_sgpr_private_segment_size 0
		.amdhsa_wavefront_size32 1
		.amdhsa_uses_dynamic_stack 0
		.amdhsa_system_sgpr_private_segment_wavefront_offset 0
		.amdhsa_system_sgpr_workgroup_id_x 1
		.amdhsa_system_sgpr_workgroup_id_y 0
		.amdhsa_system_sgpr_workgroup_id_z 0
		.amdhsa_system_sgpr_workgroup_info 0
		.amdhsa_system_vgpr_workitem_id 0
		.amdhsa_next_free_vgpr 8
		.amdhsa_next_free_sgpr 16
		.amdhsa_reserve_vcc 1
		.amdhsa_reserve_flat_scratch 0
		.amdhsa_float_round_mode_32 0
		.amdhsa_float_round_mode_16_64 0
		.amdhsa_float_denorm_mode_32 3
		.amdhsa_float_denorm_mode_16_64 3
		.amdhsa_dx10_clamp 1
		.amdhsa_ieee_mode 1
		.amdhsa_fp16_overflow 0
		.amdhsa_workgroup_processor_mode 1
		.amdhsa_memory_ordered 1
		.amdhsa_forward_progress 1
		.amdhsa_shared_vgpr_count 0
		.amdhsa_exception_fp_ieee_invalid_op 0
		.amdhsa_exception_fp_denorm_src 0
		.amdhsa_exception_fp_ieee_div_zero 0
		.amdhsa_exception_fp_ieee_overflow 0
		.amdhsa_exception_fp_ieee_underflow 0
		.amdhsa_exception_fp_ieee_inexact 0
		.amdhsa_exception_int_div_zero 0
	.end_amdhsa_kernel
	.section	.text._ZN7rocprim17ROCPRIM_400000_NS6detail17trampoline_kernelINS0_14default_configENS1_38merge_sort_block_merge_config_selectorItNS0_10empty_typeEEEZZNS1_27merge_sort_block_merge_implIS3_N6thrust23THRUST_200600_302600_NS6detail15normal_iteratorINS9_10device_ptrItEEEEPS5_m11less_div_10ItEEE10hipError_tT0_T1_T2_jT3_P12ihipStream_tbPNSt15iterator_traitsISJ_E10value_typeEPNSP_ISK_E10value_typeEPSL_NS1_7vsmem_tEENKUlT_SJ_SK_SL_E_clIPtSE_SF_SF_EESI_SY_SJ_SK_SL_EUlSY_E1_NS1_11comp_targetILNS1_3genE8ELNS1_11target_archE1030ELNS1_3gpuE2ELNS1_3repE0EEENS1_36merge_oddeven_config_static_selectorELNS0_4arch9wavefront6targetE0EEEvSK_,"axG",@progbits,_ZN7rocprim17ROCPRIM_400000_NS6detail17trampoline_kernelINS0_14default_configENS1_38merge_sort_block_merge_config_selectorItNS0_10empty_typeEEEZZNS1_27merge_sort_block_merge_implIS3_N6thrust23THRUST_200600_302600_NS6detail15normal_iteratorINS9_10device_ptrItEEEEPS5_m11less_div_10ItEEE10hipError_tT0_T1_T2_jT3_P12ihipStream_tbPNSt15iterator_traitsISJ_E10value_typeEPNSP_ISK_E10value_typeEPSL_NS1_7vsmem_tEENKUlT_SJ_SK_SL_E_clIPtSE_SF_SF_EESI_SY_SJ_SK_SL_EUlSY_E1_NS1_11comp_targetILNS1_3genE8ELNS1_11target_archE1030ELNS1_3gpuE2ELNS1_3repE0EEENS1_36merge_oddeven_config_static_selectorELNS0_4arch9wavefront6targetE0EEEvSK_,comdat
.Lfunc_end265:
	.size	_ZN7rocprim17ROCPRIM_400000_NS6detail17trampoline_kernelINS0_14default_configENS1_38merge_sort_block_merge_config_selectorItNS0_10empty_typeEEEZZNS1_27merge_sort_block_merge_implIS3_N6thrust23THRUST_200600_302600_NS6detail15normal_iteratorINS9_10device_ptrItEEEEPS5_m11less_div_10ItEEE10hipError_tT0_T1_T2_jT3_P12ihipStream_tbPNSt15iterator_traitsISJ_E10value_typeEPNSP_ISK_E10value_typeEPSL_NS1_7vsmem_tEENKUlT_SJ_SK_SL_E_clIPtSE_SF_SF_EESI_SY_SJ_SK_SL_EUlSY_E1_NS1_11comp_targetILNS1_3genE8ELNS1_11target_archE1030ELNS1_3gpuE2ELNS1_3repE0EEENS1_36merge_oddeven_config_static_selectorELNS0_4arch9wavefront6targetE0EEEvSK_, .Lfunc_end265-_ZN7rocprim17ROCPRIM_400000_NS6detail17trampoline_kernelINS0_14default_configENS1_38merge_sort_block_merge_config_selectorItNS0_10empty_typeEEEZZNS1_27merge_sort_block_merge_implIS3_N6thrust23THRUST_200600_302600_NS6detail15normal_iteratorINS9_10device_ptrItEEEEPS5_m11less_div_10ItEEE10hipError_tT0_T1_T2_jT3_P12ihipStream_tbPNSt15iterator_traitsISJ_E10value_typeEPNSP_ISK_E10value_typeEPSL_NS1_7vsmem_tEENKUlT_SJ_SK_SL_E_clIPtSE_SF_SF_EESI_SY_SJ_SK_SL_EUlSY_E1_NS1_11comp_targetILNS1_3genE8ELNS1_11target_archE1030ELNS1_3gpuE2ELNS1_3repE0EEENS1_36merge_oddeven_config_static_selectorELNS0_4arch9wavefront6targetE0EEEvSK_
                                        ; -- End function
	.set _ZN7rocprim17ROCPRIM_400000_NS6detail17trampoline_kernelINS0_14default_configENS1_38merge_sort_block_merge_config_selectorItNS0_10empty_typeEEEZZNS1_27merge_sort_block_merge_implIS3_N6thrust23THRUST_200600_302600_NS6detail15normal_iteratorINS9_10device_ptrItEEEEPS5_m11less_div_10ItEEE10hipError_tT0_T1_T2_jT3_P12ihipStream_tbPNSt15iterator_traitsISJ_E10value_typeEPNSP_ISK_E10value_typeEPSL_NS1_7vsmem_tEENKUlT_SJ_SK_SL_E_clIPtSE_SF_SF_EESI_SY_SJ_SK_SL_EUlSY_E1_NS1_11comp_targetILNS1_3genE8ELNS1_11target_archE1030ELNS1_3gpuE2ELNS1_3repE0EEENS1_36merge_oddeven_config_static_selectorELNS0_4arch9wavefront6targetE0EEEvSK_.num_vgpr, 8
	.set _ZN7rocprim17ROCPRIM_400000_NS6detail17trampoline_kernelINS0_14default_configENS1_38merge_sort_block_merge_config_selectorItNS0_10empty_typeEEEZZNS1_27merge_sort_block_merge_implIS3_N6thrust23THRUST_200600_302600_NS6detail15normal_iteratorINS9_10device_ptrItEEEEPS5_m11less_div_10ItEEE10hipError_tT0_T1_T2_jT3_P12ihipStream_tbPNSt15iterator_traitsISJ_E10value_typeEPNSP_ISK_E10value_typeEPSL_NS1_7vsmem_tEENKUlT_SJ_SK_SL_E_clIPtSE_SF_SF_EESI_SY_SJ_SK_SL_EUlSY_E1_NS1_11comp_targetILNS1_3genE8ELNS1_11target_archE1030ELNS1_3gpuE2ELNS1_3repE0EEENS1_36merge_oddeven_config_static_selectorELNS0_4arch9wavefront6targetE0EEEvSK_.num_agpr, 0
	.set _ZN7rocprim17ROCPRIM_400000_NS6detail17trampoline_kernelINS0_14default_configENS1_38merge_sort_block_merge_config_selectorItNS0_10empty_typeEEEZZNS1_27merge_sort_block_merge_implIS3_N6thrust23THRUST_200600_302600_NS6detail15normal_iteratorINS9_10device_ptrItEEEEPS5_m11less_div_10ItEEE10hipError_tT0_T1_T2_jT3_P12ihipStream_tbPNSt15iterator_traitsISJ_E10value_typeEPNSP_ISK_E10value_typeEPSL_NS1_7vsmem_tEENKUlT_SJ_SK_SL_E_clIPtSE_SF_SF_EESI_SY_SJ_SK_SL_EUlSY_E1_NS1_11comp_targetILNS1_3genE8ELNS1_11target_archE1030ELNS1_3gpuE2ELNS1_3repE0EEENS1_36merge_oddeven_config_static_selectorELNS0_4arch9wavefront6targetE0EEEvSK_.numbered_sgpr, 16
	.set _ZN7rocprim17ROCPRIM_400000_NS6detail17trampoline_kernelINS0_14default_configENS1_38merge_sort_block_merge_config_selectorItNS0_10empty_typeEEEZZNS1_27merge_sort_block_merge_implIS3_N6thrust23THRUST_200600_302600_NS6detail15normal_iteratorINS9_10device_ptrItEEEEPS5_m11less_div_10ItEEE10hipError_tT0_T1_T2_jT3_P12ihipStream_tbPNSt15iterator_traitsISJ_E10value_typeEPNSP_ISK_E10value_typeEPSL_NS1_7vsmem_tEENKUlT_SJ_SK_SL_E_clIPtSE_SF_SF_EESI_SY_SJ_SK_SL_EUlSY_E1_NS1_11comp_targetILNS1_3genE8ELNS1_11target_archE1030ELNS1_3gpuE2ELNS1_3repE0EEENS1_36merge_oddeven_config_static_selectorELNS0_4arch9wavefront6targetE0EEEvSK_.num_named_barrier, 0
	.set _ZN7rocprim17ROCPRIM_400000_NS6detail17trampoline_kernelINS0_14default_configENS1_38merge_sort_block_merge_config_selectorItNS0_10empty_typeEEEZZNS1_27merge_sort_block_merge_implIS3_N6thrust23THRUST_200600_302600_NS6detail15normal_iteratorINS9_10device_ptrItEEEEPS5_m11less_div_10ItEEE10hipError_tT0_T1_T2_jT3_P12ihipStream_tbPNSt15iterator_traitsISJ_E10value_typeEPNSP_ISK_E10value_typeEPSL_NS1_7vsmem_tEENKUlT_SJ_SK_SL_E_clIPtSE_SF_SF_EESI_SY_SJ_SK_SL_EUlSY_E1_NS1_11comp_targetILNS1_3genE8ELNS1_11target_archE1030ELNS1_3gpuE2ELNS1_3repE0EEENS1_36merge_oddeven_config_static_selectorELNS0_4arch9wavefront6targetE0EEEvSK_.private_seg_size, 0
	.set _ZN7rocprim17ROCPRIM_400000_NS6detail17trampoline_kernelINS0_14default_configENS1_38merge_sort_block_merge_config_selectorItNS0_10empty_typeEEEZZNS1_27merge_sort_block_merge_implIS3_N6thrust23THRUST_200600_302600_NS6detail15normal_iteratorINS9_10device_ptrItEEEEPS5_m11less_div_10ItEEE10hipError_tT0_T1_T2_jT3_P12ihipStream_tbPNSt15iterator_traitsISJ_E10value_typeEPNSP_ISK_E10value_typeEPSL_NS1_7vsmem_tEENKUlT_SJ_SK_SL_E_clIPtSE_SF_SF_EESI_SY_SJ_SK_SL_EUlSY_E1_NS1_11comp_targetILNS1_3genE8ELNS1_11target_archE1030ELNS1_3gpuE2ELNS1_3repE0EEENS1_36merge_oddeven_config_static_selectorELNS0_4arch9wavefront6targetE0EEEvSK_.uses_vcc, 1
	.set _ZN7rocprim17ROCPRIM_400000_NS6detail17trampoline_kernelINS0_14default_configENS1_38merge_sort_block_merge_config_selectorItNS0_10empty_typeEEEZZNS1_27merge_sort_block_merge_implIS3_N6thrust23THRUST_200600_302600_NS6detail15normal_iteratorINS9_10device_ptrItEEEEPS5_m11less_div_10ItEEE10hipError_tT0_T1_T2_jT3_P12ihipStream_tbPNSt15iterator_traitsISJ_E10value_typeEPNSP_ISK_E10value_typeEPSL_NS1_7vsmem_tEENKUlT_SJ_SK_SL_E_clIPtSE_SF_SF_EESI_SY_SJ_SK_SL_EUlSY_E1_NS1_11comp_targetILNS1_3genE8ELNS1_11target_archE1030ELNS1_3gpuE2ELNS1_3repE0EEENS1_36merge_oddeven_config_static_selectorELNS0_4arch9wavefront6targetE0EEEvSK_.uses_flat_scratch, 0
	.set _ZN7rocprim17ROCPRIM_400000_NS6detail17trampoline_kernelINS0_14default_configENS1_38merge_sort_block_merge_config_selectorItNS0_10empty_typeEEEZZNS1_27merge_sort_block_merge_implIS3_N6thrust23THRUST_200600_302600_NS6detail15normal_iteratorINS9_10device_ptrItEEEEPS5_m11less_div_10ItEEE10hipError_tT0_T1_T2_jT3_P12ihipStream_tbPNSt15iterator_traitsISJ_E10value_typeEPNSP_ISK_E10value_typeEPSL_NS1_7vsmem_tEENKUlT_SJ_SK_SL_E_clIPtSE_SF_SF_EESI_SY_SJ_SK_SL_EUlSY_E1_NS1_11comp_targetILNS1_3genE8ELNS1_11target_archE1030ELNS1_3gpuE2ELNS1_3repE0EEENS1_36merge_oddeven_config_static_selectorELNS0_4arch9wavefront6targetE0EEEvSK_.has_dyn_sized_stack, 0
	.set _ZN7rocprim17ROCPRIM_400000_NS6detail17trampoline_kernelINS0_14default_configENS1_38merge_sort_block_merge_config_selectorItNS0_10empty_typeEEEZZNS1_27merge_sort_block_merge_implIS3_N6thrust23THRUST_200600_302600_NS6detail15normal_iteratorINS9_10device_ptrItEEEEPS5_m11less_div_10ItEEE10hipError_tT0_T1_T2_jT3_P12ihipStream_tbPNSt15iterator_traitsISJ_E10value_typeEPNSP_ISK_E10value_typeEPSL_NS1_7vsmem_tEENKUlT_SJ_SK_SL_E_clIPtSE_SF_SF_EESI_SY_SJ_SK_SL_EUlSY_E1_NS1_11comp_targetILNS1_3genE8ELNS1_11target_archE1030ELNS1_3gpuE2ELNS1_3repE0EEENS1_36merge_oddeven_config_static_selectorELNS0_4arch9wavefront6targetE0EEEvSK_.has_recursion, 0
	.set _ZN7rocprim17ROCPRIM_400000_NS6detail17trampoline_kernelINS0_14default_configENS1_38merge_sort_block_merge_config_selectorItNS0_10empty_typeEEEZZNS1_27merge_sort_block_merge_implIS3_N6thrust23THRUST_200600_302600_NS6detail15normal_iteratorINS9_10device_ptrItEEEEPS5_m11less_div_10ItEEE10hipError_tT0_T1_T2_jT3_P12ihipStream_tbPNSt15iterator_traitsISJ_E10value_typeEPNSP_ISK_E10value_typeEPSL_NS1_7vsmem_tEENKUlT_SJ_SK_SL_E_clIPtSE_SF_SF_EESI_SY_SJ_SK_SL_EUlSY_E1_NS1_11comp_targetILNS1_3genE8ELNS1_11target_archE1030ELNS1_3gpuE2ELNS1_3repE0EEENS1_36merge_oddeven_config_static_selectorELNS0_4arch9wavefront6targetE0EEEvSK_.has_indirect_call, 0
	.section	.AMDGPU.csdata,"",@progbits
; Kernel info:
; codeLenInByte = 680
; TotalNumSgprs: 18
; NumVgprs: 8
; ScratchSize: 0
; MemoryBound: 0
; FloatMode: 240
; IeeeMode: 1
; LDSByteSize: 0 bytes/workgroup (compile time only)
; SGPRBlocks: 0
; VGPRBlocks: 0
; NumSGPRsForWavesPerEU: 18
; NumVGPRsForWavesPerEU: 8
; Occupancy: 16
; WaveLimiterHint : 0
; COMPUTE_PGM_RSRC2:SCRATCH_EN: 0
; COMPUTE_PGM_RSRC2:USER_SGPR: 6
; COMPUTE_PGM_RSRC2:TRAP_HANDLER: 0
; COMPUTE_PGM_RSRC2:TGID_X_EN: 1
; COMPUTE_PGM_RSRC2:TGID_Y_EN: 0
; COMPUTE_PGM_RSRC2:TGID_Z_EN: 0
; COMPUTE_PGM_RSRC2:TIDIG_COMP_CNT: 0
	.section	.text._ZN7rocprim17ROCPRIM_400000_NS6detail17trampoline_kernelINS0_14default_configENS1_38merge_sort_block_merge_config_selectorItNS0_10empty_typeEEEZZNS1_27merge_sort_block_merge_implIS3_N6thrust23THRUST_200600_302600_NS6detail15normal_iteratorINS9_10device_ptrItEEEEPS5_m11less_div_10ItEEE10hipError_tT0_T1_T2_jT3_P12ihipStream_tbPNSt15iterator_traitsISJ_E10value_typeEPNSP_ISK_E10value_typeEPSL_NS1_7vsmem_tEENKUlT_SJ_SK_SL_E_clISE_PtSF_SF_EESI_SY_SJ_SK_SL_EUlSY_E_NS1_11comp_targetILNS1_3genE0ELNS1_11target_archE4294967295ELNS1_3gpuE0ELNS1_3repE0EEENS1_48merge_mergepath_partition_config_static_selectorELNS0_4arch9wavefront6targetE0EEEvSK_,"axG",@progbits,_ZN7rocprim17ROCPRIM_400000_NS6detail17trampoline_kernelINS0_14default_configENS1_38merge_sort_block_merge_config_selectorItNS0_10empty_typeEEEZZNS1_27merge_sort_block_merge_implIS3_N6thrust23THRUST_200600_302600_NS6detail15normal_iteratorINS9_10device_ptrItEEEEPS5_m11less_div_10ItEEE10hipError_tT0_T1_T2_jT3_P12ihipStream_tbPNSt15iterator_traitsISJ_E10value_typeEPNSP_ISK_E10value_typeEPSL_NS1_7vsmem_tEENKUlT_SJ_SK_SL_E_clISE_PtSF_SF_EESI_SY_SJ_SK_SL_EUlSY_E_NS1_11comp_targetILNS1_3genE0ELNS1_11target_archE4294967295ELNS1_3gpuE0ELNS1_3repE0EEENS1_48merge_mergepath_partition_config_static_selectorELNS0_4arch9wavefront6targetE0EEEvSK_,comdat
	.protected	_ZN7rocprim17ROCPRIM_400000_NS6detail17trampoline_kernelINS0_14default_configENS1_38merge_sort_block_merge_config_selectorItNS0_10empty_typeEEEZZNS1_27merge_sort_block_merge_implIS3_N6thrust23THRUST_200600_302600_NS6detail15normal_iteratorINS9_10device_ptrItEEEEPS5_m11less_div_10ItEEE10hipError_tT0_T1_T2_jT3_P12ihipStream_tbPNSt15iterator_traitsISJ_E10value_typeEPNSP_ISK_E10value_typeEPSL_NS1_7vsmem_tEENKUlT_SJ_SK_SL_E_clISE_PtSF_SF_EESI_SY_SJ_SK_SL_EUlSY_E_NS1_11comp_targetILNS1_3genE0ELNS1_11target_archE4294967295ELNS1_3gpuE0ELNS1_3repE0EEENS1_48merge_mergepath_partition_config_static_selectorELNS0_4arch9wavefront6targetE0EEEvSK_ ; -- Begin function _ZN7rocprim17ROCPRIM_400000_NS6detail17trampoline_kernelINS0_14default_configENS1_38merge_sort_block_merge_config_selectorItNS0_10empty_typeEEEZZNS1_27merge_sort_block_merge_implIS3_N6thrust23THRUST_200600_302600_NS6detail15normal_iteratorINS9_10device_ptrItEEEEPS5_m11less_div_10ItEEE10hipError_tT0_T1_T2_jT3_P12ihipStream_tbPNSt15iterator_traitsISJ_E10value_typeEPNSP_ISK_E10value_typeEPSL_NS1_7vsmem_tEENKUlT_SJ_SK_SL_E_clISE_PtSF_SF_EESI_SY_SJ_SK_SL_EUlSY_E_NS1_11comp_targetILNS1_3genE0ELNS1_11target_archE4294967295ELNS1_3gpuE0ELNS1_3repE0EEENS1_48merge_mergepath_partition_config_static_selectorELNS0_4arch9wavefront6targetE0EEEvSK_
	.globl	_ZN7rocprim17ROCPRIM_400000_NS6detail17trampoline_kernelINS0_14default_configENS1_38merge_sort_block_merge_config_selectorItNS0_10empty_typeEEEZZNS1_27merge_sort_block_merge_implIS3_N6thrust23THRUST_200600_302600_NS6detail15normal_iteratorINS9_10device_ptrItEEEEPS5_m11less_div_10ItEEE10hipError_tT0_T1_T2_jT3_P12ihipStream_tbPNSt15iterator_traitsISJ_E10value_typeEPNSP_ISK_E10value_typeEPSL_NS1_7vsmem_tEENKUlT_SJ_SK_SL_E_clISE_PtSF_SF_EESI_SY_SJ_SK_SL_EUlSY_E_NS1_11comp_targetILNS1_3genE0ELNS1_11target_archE4294967295ELNS1_3gpuE0ELNS1_3repE0EEENS1_48merge_mergepath_partition_config_static_selectorELNS0_4arch9wavefront6targetE0EEEvSK_
	.p2align	8
	.type	_ZN7rocprim17ROCPRIM_400000_NS6detail17trampoline_kernelINS0_14default_configENS1_38merge_sort_block_merge_config_selectorItNS0_10empty_typeEEEZZNS1_27merge_sort_block_merge_implIS3_N6thrust23THRUST_200600_302600_NS6detail15normal_iteratorINS9_10device_ptrItEEEEPS5_m11less_div_10ItEEE10hipError_tT0_T1_T2_jT3_P12ihipStream_tbPNSt15iterator_traitsISJ_E10value_typeEPNSP_ISK_E10value_typeEPSL_NS1_7vsmem_tEENKUlT_SJ_SK_SL_E_clISE_PtSF_SF_EESI_SY_SJ_SK_SL_EUlSY_E_NS1_11comp_targetILNS1_3genE0ELNS1_11target_archE4294967295ELNS1_3gpuE0ELNS1_3repE0EEENS1_48merge_mergepath_partition_config_static_selectorELNS0_4arch9wavefront6targetE0EEEvSK_,@function
_ZN7rocprim17ROCPRIM_400000_NS6detail17trampoline_kernelINS0_14default_configENS1_38merge_sort_block_merge_config_selectorItNS0_10empty_typeEEEZZNS1_27merge_sort_block_merge_implIS3_N6thrust23THRUST_200600_302600_NS6detail15normal_iteratorINS9_10device_ptrItEEEEPS5_m11less_div_10ItEEE10hipError_tT0_T1_T2_jT3_P12ihipStream_tbPNSt15iterator_traitsISJ_E10value_typeEPNSP_ISK_E10value_typeEPSL_NS1_7vsmem_tEENKUlT_SJ_SK_SL_E_clISE_PtSF_SF_EESI_SY_SJ_SK_SL_EUlSY_E_NS1_11comp_targetILNS1_3genE0ELNS1_11target_archE4294967295ELNS1_3gpuE0ELNS1_3repE0EEENS1_48merge_mergepath_partition_config_static_selectorELNS0_4arch9wavefront6targetE0EEEvSK_: ; @_ZN7rocprim17ROCPRIM_400000_NS6detail17trampoline_kernelINS0_14default_configENS1_38merge_sort_block_merge_config_selectorItNS0_10empty_typeEEEZZNS1_27merge_sort_block_merge_implIS3_N6thrust23THRUST_200600_302600_NS6detail15normal_iteratorINS9_10device_ptrItEEEEPS5_m11less_div_10ItEEE10hipError_tT0_T1_T2_jT3_P12ihipStream_tbPNSt15iterator_traitsISJ_E10value_typeEPNSP_ISK_E10value_typeEPSL_NS1_7vsmem_tEENKUlT_SJ_SK_SL_E_clISE_PtSF_SF_EESI_SY_SJ_SK_SL_EUlSY_E_NS1_11comp_targetILNS1_3genE0ELNS1_11target_archE4294967295ELNS1_3gpuE0ELNS1_3repE0EEENS1_48merge_mergepath_partition_config_static_selectorELNS0_4arch9wavefront6targetE0EEEvSK_
; %bb.0:
	.section	.rodata,"a",@progbits
	.p2align	6, 0x0
	.amdhsa_kernel _ZN7rocprim17ROCPRIM_400000_NS6detail17trampoline_kernelINS0_14default_configENS1_38merge_sort_block_merge_config_selectorItNS0_10empty_typeEEEZZNS1_27merge_sort_block_merge_implIS3_N6thrust23THRUST_200600_302600_NS6detail15normal_iteratorINS9_10device_ptrItEEEEPS5_m11less_div_10ItEEE10hipError_tT0_T1_T2_jT3_P12ihipStream_tbPNSt15iterator_traitsISJ_E10value_typeEPNSP_ISK_E10value_typeEPSL_NS1_7vsmem_tEENKUlT_SJ_SK_SL_E_clISE_PtSF_SF_EESI_SY_SJ_SK_SL_EUlSY_E_NS1_11comp_targetILNS1_3genE0ELNS1_11target_archE4294967295ELNS1_3gpuE0ELNS1_3repE0EEENS1_48merge_mergepath_partition_config_static_selectorELNS0_4arch9wavefront6targetE0EEEvSK_
		.amdhsa_group_segment_fixed_size 0
		.amdhsa_private_segment_fixed_size 0
		.amdhsa_kernarg_size 48
		.amdhsa_user_sgpr_count 6
		.amdhsa_user_sgpr_private_segment_buffer 1
		.amdhsa_user_sgpr_dispatch_ptr 0
		.amdhsa_user_sgpr_queue_ptr 0
		.amdhsa_user_sgpr_kernarg_segment_ptr 1
		.amdhsa_user_sgpr_dispatch_id 0
		.amdhsa_user_sgpr_flat_scratch_init 0
		.amdhsa_user_sgpr_private_segment_size 0
		.amdhsa_wavefront_size32 1
		.amdhsa_uses_dynamic_stack 0
		.amdhsa_system_sgpr_private_segment_wavefront_offset 0
		.amdhsa_system_sgpr_workgroup_id_x 1
		.amdhsa_system_sgpr_workgroup_id_y 0
		.amdhsa_system_sgpr_workgroup_id_z 0
		.amdhsa_system_sgpr_workgroup_info 0
		.amdhsa_system_vgpr_workitem_id 0
		.amdhsa_next_free_vgpr 1
		.amdhsa_next_free_sgpr 1
		.amdhsa_reserve_vcc 0
		.amdhsa_reserve_flat_scratch 0
		.amdhsa_float_round_mode_32 0
		.amdhsa_float_round_mode_16_64 0
		.amdhsa_float_denorm_mode_32 3
		.amdhsa_float_denorm_mode_16_64 3
		.amdhsa_dx10_clamp 1
		.amdhsa_ieee_mode 1
		.amdhsa_fp16_overflow 0
		.amdhsa_workgroup_processor_mode 1
		.amdhsa_memory_ordered 1
		.amdhsa_forward_progress 1
		.amdhsa_shared_vgpr_count 0
		.amdhsa_exception_fp_ieee_invalid_op 0
		.amdhsa_exception_fp_denorm_src 0
		.amdhsa_exception_fp_ieee_div_zero 0
		.amdhsa_exception_fp_ieee_overflow 0
		.amdhsa_exception_fp_ieee_underflow 0
		.amdhsa_exception_fp_ieee_inexact 0
		.amdhsa_exception_int_div_zero 0
	.end_amdhsa_kernel
	.section	.text._ZN7rocprim17ROCPRIM_400000_NS6detail17trampoline_kernelINS0_14default_configENS1_38merge_sort_block_merge_config_selectorItNS0_10empty_typeEEEZZNS1_27merge_sort_block_merge_implIS3_N6thrust23THRUST_200600_302600_NS6detail15normal_iteratorINS9_10device_ptrItEEEEPS5_m11less_div_10ItEEE10hipError_tT0_T1_T2_jT3_P12ihipStream_tbPNSt15iterator_traitsISJ_E10value_typeEPNSP_ISK_E10value_typeEPSL_NS1_7vsmem_tEENKUlT_SJ_SK_SL_E_clISE_PtSF_SF_EESI_SY_SJ_SK_SL_EUlSY_E_NS1_11comp_targetILNS1_3genE0ELNS1_11target_archE4294967295ELNS1_3gpuE0ELNS1_3repE0EEENS1_48merge_mergepath_partition_config_static_selectorELNS0_4arch9wavefront6targetE0EEEvSK_,"axG",@progbits,_ZN7rocprim17ROCPRIM_400000_NS6detail17trampoline_kernelINS0_14default_configENS1_38merge_sort_block_merge_config_selectorItNS0_10empty_typeEEEZZNS1_27merge_sort_block_merge_implIS3_N6thrust23THRUST_200600_302600_NS6detail15normal_iteratorINS9_10device_ptrItEEEEPS5_m11less_div_10ItEEE10hipError_tT0_T1_T2_jT3_P12ihipStream_tbPNSt15iterator_traitsISJ_E10value_typeEPNSP_ISK_E10value_typeEPSL_NS1_7vsmem_tEENKUlT_SJ_SK_SL_E_clISE_PtSF_SF_EESI_SY_SJ_SK_SL_EUlSY_E_NS1_11comp_targetILNS1_3genE0ELNS1_11target_archE4294967295ELNS1_3gpuE0ELNS1_3repE0EEENS1_48merge_mergepath_partition_config_static_selectorELNS0_4arch9wavefront6targetE0EEEvSK_,comdat
.Lfunc_end266:
	.size	_ZN7rocprim17ROCPRIM_400000_NS6detail17trampoline_kernelINS0_14default_configENS1_38merge_sort_block_merge_config_selectorItNS0_10empty_typeEEEZZNS1_27merge_sort_block_merge_implIS3_N6thrust23THRUST_200600_302600_NS6detail15normal_iteratorINS9_10device_ptrItEEEEPS5_m11less_div_10ItEEE10hipError_tT0_T1_T2_jT3_P12ihipStream_tbPNSt15iterator_traitsISJ_E10value_typeEPNSP_ISK_E10value_typeEPSL_NS1_7vsmem_tEENKUlT_SJ_SK_SL_E_clISE_PtSF_SF_EESI_SY_SJ_SK_SL_EUlSY_E_NS1_11comp_targetILNS1_3genE0ELNS1_11target_archE4294967295ELNS1_3gpuE0ELNS1_3repE0EEENS1_48merge_mergepath_partition_config_static_selectorELNS0_4arch9wavefront6targetE0EEEvSK_, .Lfunc_end266-_ZN7rocprim17ROCPRIM_400000_NS6detail17trampoline_kernelINS0_14default_configENS1_38merge_sort_block_merge_config_selectorItNS0_10empty_typeEEEZZNS1_27merge_sort_block_merge_implIS3_N6thrust23THRUST_200600_302600_NS6detail15normal_iteratorINS9_10device_ptrItEEEEPS5_m11less_div_10ItEEE10hipError_tT0_T1_T2_jT3_P12ihipStream_tbPNSt15iterator_traitsISJ_E10value_typeEPNSP_ISK_E10value_typeEPSL_NS1_7vsmem_tEENKUlT_SJ_SK_SL_E_clISE_PtSF_SF_EESI_SY_SJ_SK_SL_EUlSY_E_NS1_11comp_targetILNS1_3genE0ELNS1_11target_archE4294967295ELNS1_3gpuE0ELNS1_3repE0EEENS1_48merge_mergepath_partition_config_static_selectorELNS0_4arch9wavefront6targetE0EEEvSK_
                                        ; -- End function
	.set _ZN7rocprim17ROCPRIM_400000_NS6detail17trampoline_kernelINS0_14default_configENS1_38merge_sort_block_merge_config_selectorItNS0_10empty_typeEEEZZNS1_27merge_sort_block_merge_implIS3_N6thrust23THRUST_200600_302600_NS6detail15normal_iteratorINS9_10device_ptrItEEEEPS5_m11less_div_10ItEEE10hipError_tT0_T1_T2_jT3_P12ihipStream_tbPNSt15iterator_traitsISJ_E10value_typeEPNSP_ISK_E10value_typeEPSL_NS1_7vsmem_tEENKUlT_SJ_SK_SL_E_clISE_PtSF_SF_EESI_SY_SJ_SK_SL_EUlSY_E_NS1_11comp_targetILNS1_3genE0ELNS1_11target_archE4294967295ELNS1_3gpuE0ELNS1_3repE0EEENS1_48merge_mergepath_partition_config_static_selectorELNS0_4arch9wavefront6targetE0EEEvSK_.num_vgpr, 0
	.set _ZN7rocprim17ROCPRIM_400000_NS6detail17trampoline_kernelINS0_14default_configENS1_38merge_sort_block_merge_config_selectorItNS0_10empty_typeEEEZZNS1_27merge_sort_block_merge_implIS3_N6thrust23THRUST_200600_302600_NS6detail15normal_iteratorINS9_10device_ptrItEEEEPS5_m11less_div_10ItEEE10hipError_tT0_T1_T2_jT3_P12ihipStream_tbPNSt15iterator_traitsISJ_E10value_typeEPNSP_ISK_E10value_typeEPSL_NS1_7vsmem_tEENKUlT_SJ_SK_SL_E_clISE_PtSF_SF_EESI_SY_SJ_SK_SL_EUlSY_E_NS1_11comp_targetILNS1_3genE0ELNS1_11target_archE4294967295ELNS1_3gpuE0ELNS1_3repE0EEENS1_48merge_mergepath_partition_config_static_selectorELNS0_4arch9wavefront6targetE0EEEvSK_.num_agpr, 0
	.set _ZN7rocprim17ROCPRIM_400000_NS6detail17trampoline_kernelINS0_14default_configENS1_38merge_sort_block_merge_config_selectorItNS0_10empty_typeEEEZZNS1_27merge_sort_block_merge_implIS3_N6thrust23THRUST_200600_302600_NS6detail15normal_iteratorINS9_10device_ptrItEEEEPS5_m11less_div_10ItEEE10hipError_tT0_T1_T2_jT3_P12ihipStream_tbPNSt15iterator_traitsISJ_E10value_typeEPNSP_ISK_E10value_typeEPSL_NS1_7vsmem_tEENKUlT_SJ_SK_SL_E_clISE_PtSF_SF_EESI_SY_SJ_SK_SL_EUlSY_E_NS1_11comp_targetILNS1_3genE0ELNS1_11target_archE4294967295ELNS1_3gpuE0ELNS1_3repE0EEENS1_48merge_mergepath_partition_config_static_selectorELNS0_4arch9wavefront6targetE0EEEvSK_.numbered_sgpr, 0
	.set _ZN7rocprim17ROCPRIM_400000_NS6detail17trampoline_kernelINS0_14default_configENS1_38merge_sort_block_merge_config_selectorItNS0_10empty_typeEEEZZNS1_27merge_sort_block_merge_implIS3_N6thrust23THRUST_200600_302600_NS6detail15normal_iteratorINS9_10device_ptrItEEEEPS5_m11less_div_10ItEEE10hipError_tT0_T1_T2_jT3_P12ihipStream_tbPNSt15iterator_traitsISJ_E10value_typeEPNSP_ISK_E10value_typeEPSL_NS1_7vsmem_tEENKUlT_SJ_SK_SL_E_clISE_PtSF_SF_EESI_SY_SJ_SK_SL_EUlSY_E_NS1_11comp_targetILNS1_3genE0ELNS1_11target_archE4294967295ELNS1_3gpuE0ELNS1_3repE0EEENS1_48merge_mergepath_partition_config_static_selectorELNS0_4arch9wavefront6targetE0EEEvSK_.num_named_barrier, 0
	.set _ZN7rocprim17ROCPRIM_400000_NS6detail17trampoline_kernelINS0_14default_configENS1_38merge_sort_block_merge_config_selectorItNS0_10empty_typeEEEZZNS1_27merge_sort_block_merge_implIS3_N6thrust23THRUST_200600_302600_NS6detail15normal_iteratorINS9_10device_ptrItEEEEPS5_m11less_div_10ItEEE10hipError_tT0_T1_T2_jT3_P12ihipStream_tbPNSt15iterator_traitsISJ_E10value_typeEPNSP_ISK_E10value_typeEPSL_NS1_7vsmem_tEENKUlT_SJ_SK_SL_E_clISE_PtSF_SF_EESI_SY_SJ_SK_SL_EUlSY_E_NS1_11comp_targetILNS1_3genE0ELNS1_11target_archE4294967295ELNS1_3gpuE0ELNS1_3repE0EEENS1_48merge_mergepath_partition_config_static_selectorELNS0_4arch9wavefront6targetE0EEEvSK_.private_seg_size, 0
	.set _ZN7rocprim17ROCPRIM_400000_NS6detail17trampoline_kernelINS0_14default_configENS1_38merge_sort_block_merge_config_selectorItNS0_10empty_typeEEEZZNS1_27merge_sort_block_merge_implIS3_N6thrust23THRUST_200600_302600_NS6detail15normal_iteratorINS9_10device_ptrItEEEEPS5_m11less_div_10ItEEE10hipError_tT0_T1_T2_jT3_P12ihipStream_tbPNSt15iterator_traitsISJ_E10value_typeEPNSP_ISK_E10value_typeEPSL_NS1_7vsmem_tEENKUlT_SJ_SK_SL_E_clISE_PtSF_SF_EESI_SY_SJ_SK_SL_EUlSY_E_NS1_11comp_targetILNS1_3genE0ELNS1_11target_archE4294967295ELNS1_3gpuE0ELNS1_3repE0EEENS1_48merge_mergepath_partition_config_static_selectorELNS0_4arch9wavefront6targetE0EEEvSK_.uses_vcc, 0
	.set _ZN7rocprim17ROCPRIM_400000_NS6detail17trampoline_kernelINS0_14default_configENS1_38merge_sort_block_merge_config_selectorItNS0_10empty_typeEEEZZNS1_27merge_sort_block_merge_implIS3_N6thrust23THRUST_200600_302600_NS6detail15normal_iteratorINS9_10device_ptrItEEEEPS5_m11less_div_10ItEEE10hipError_tT0_T1_T2_jT3_P12ihipStream_tbPNSt15iterator_traitsISJ_E10value_typeEPNSP_ISK_E10value_typeEPSL_NS1_7vsmem_tEENKUlT_SJ_SK_SL_E_clISE_PtSF_SF_EESI_SY_SJ_SK_SL_EUlSY_E_NS1_11comp_targetILNS1_3genE0ELNS1_11target_archE4294967295ELNS1_3gpuE0ELNS1_3repE0EEENS1_48merge_mergepath_partition_config_static_selectorELNS0_4arch9wavefront6targetE0EEEvSK_.uses_flat_scratch, 0
	.set _ZN7rocprim17ROCPRIM_400000_NS6detail17trampoline_kernelINS0_14default_configENS1_38merge_sort_block_merge_config_selectorItNS0_10empty_typeEEEZZNS1_27merge_sort_block_merge_implIS3_N6thrust23THRUST_200600_302600_NS6detail15normal_iteratorINS9_10device_ptrItEEEEPS5_m11less_div_10ItEEE10hipError_tT0_T1_T2_jT3_P12ihipStream_tbPNSt15iterator_traitsISJ_E10value_typeEPNSP_ISK_E10value_typeEPSL_NS1_7vsmem_tEENKUlT_SJ_SK_SL_E_clISE_PtSF_SF_EESI_SY_SJ_SK_SL_EUlSY_E_NS1_11comp_targetILNS1_3genE0ELNS1_11target_archE4294967295ELNS1_3gpuE0ELNS1_3repE0EEENS1_48merge_mergepath_partition_config_static_selectorELNS0_4arch9wavefront6targetE0EEEvSK_.has_dyn_sized_stack, 0
	.set _ZN7rocprim17ROCPRIM_400000_NS6detail17trampoline_kernelINS0_14default_configENS1_38merge_sort_block_merge_config_selectorItNS0_10empty_typeEEEZZNS1_27merge_sort_block_merge_implIS3_N6thrust23THRUST_200600_302600_NS6detail15normal_iteratorINS9_10device_ptrItEEEEPS5_m11less_div_10ItEEE10hipError_tT0_T1_T2_jT3_P12ihipStream_tbPNSt15iterator_traitsISJ_E10value_typeEPNSP_ISK_E10value_typeEPSL_NS1_7vsmem_tEENKUlT_SJ_SK_SL_E_clISE_PtSF_SF_EESI_SY_SJ_SK_SL_EUlSY_E_NS1_11comp_targetILNS1_3genE0ELNS1_11target_archE4294967295ELNS1_3gpuE0ELNS1_3repE0EEENS1_48merge_mergepath_partition_config_static_selectorELNS0_4arch9wavefront6targetE0EEEvSK_.has_recursion, 0
	.set _ZN7rocprim17ROCPRIM_400000_NS6detail17trampoline_kernelINS0_14default_configENS1_38merge_sort_block_merge_config_selectorItNS0_10empty_typeEEEZZNS1_27merge_sort_block_merge_implIS3_N6thrust23THRUST_200600_302600_NS6detail15normal_iteratorINS9_10device_ptrItEEEEPS5_m11less_div_10ItEEE10hipError_tT0_T1_T2_jT3_P12ihipStream_tbPNSt15iterator_traitsISJ_E10value_typeEPNSP_ISK_E10value_typeEPSL_NS1_7vsmem_tEENKUlT_SJ_SK_SL_E_clISE_PtSF_SF_EESI_SY_SJ_SK_SL_EUlSY_E_NS1_11comp_targetILNS1_3genE0ELNS1_11target_archE4294967295ELNS1_3gpuE0ELNS1_3repE0EEENS1_48merge_mergepath_partition_config_static_selectorELNS0_4arch9wavefront6targetE0EEEvSK_.has_indirect_call, 0
	.section	.AMDGPU.csdata,"",@progbits
; Kernel info:
; codeLenInByte = 0
; TotalNumSgprs: 0
; NumVgprs: 0
; ScratchSize: 0
; MemoryBound: 0
; FloatMode: 240
; IeeeMode: 1
; LDSByteSize: 0 bytes/workgroup (compile time only)
; SGPRBlocks: 0
; VGPRBlocks: 0
; NumSGPRsForWavesPerEU: 1
; NumVGPRsForWavesPerEU: 1
; Occupancy: 16
; WaveLimiterHint : 0
; COMPUTE_PGM_RSRC2:SCRATCH_EN: 0
; COMPUTE_PGM_RSRC2:USER_SGPR: 6
; COMPUTE_PGM_RSRC2:TRAP_HANDLER: 0
; COMPUTE_PGM_RSRC2:TGID_X_EN: 1
; COMPUTE_PGM_RSRC2:TGID_Y_EN: 0
; COMPUTE_PGM_RSRC2:TGID_Z_EN: 0
; COMPUTE_PGM_RSRC2:TIDIG_COMP_CNT: 0
	.section	.text._ZN7rocprim17ROCPRIM_400000_NS6detail17trampoline_kernelINS0_14default_configENS1_38merge_sort_block_merge_config_selectorItNS0_10empty_typeEEEZZNS1_27merge_sort_block_merge_implIS3_N6thrust23THRUST_200600_302600_NS6detail15normal_iteratorINS9_10device_ptrItEEEEPS5_m11less_div_10ItEEE10hipError_tT0_T1_T2_jT3_P12ihipStream_tbPNSt15iterator_traitsISJ_E10value_typeEPNSP_ISK_E10value_typeEPSL_NS1_7vsmem_tEENKUlT_SJ_SK_SL_E_clISE_PtSF_SF_EESI_SY_SJ_SK_SL_EUlSY_E_NS1_11comp_targetILNS1_3genE10ELNS1_11target_archE1201ELNS1_3gpuE5ELNS1_3repE0EEENS1_48merge_mergepath_partition_config_static_selectorELNS0_4arch9wavefront6targetE0EEEvSK_,"axG",@progbits,_ZN7rocprim17ROCPRIM_400000_NS6detail17trampoline_kernelINS0_14default_configENS1_38merge_sort_block_merge_config_selectorItNS0_10empty_typeEEEZZNS1_27merge_sort_block_merge_implIS3_N6thrust23THRUST_200600_302600_NS6detail15normal_iteratorINS9_10device_ptrItEEEEPS5_m11less_div_10ItEEE10hipError_tT0_T1_T2_jT3_P12ihipStream_tbPNSt15iterator_traitsISJ_E10value_typeEPNSP_ISK_E10value_typeEPSL_NS1_7vsmem_tEENKUlT_SJ_SK_SL_E_clISE_PtSF_SF_EESI_SY_SJ_SK_SL_EUlSY_E_NS1_11comp_targetILNS1_3genE10ELNS1_11target_archE1201ELNS1_3gpuE5ELNS1_3repE0EEENS1_48merge_mergepath_partition_config_static_selectorELNS0_4arch9wavefront6targetE0EEEvSK_,comdat
	.protected	_ZN7rocprim17ROCPRIM_400000_NS6detail17trampoline_kernelINS0_14default_configENS1_38merge_sort_block_merge_config_selectorItNS0_10empty_typeEEEZZNS1_27merge_sort_block_merge_implIS3_N6thrust23THRUST_200600_302600_NS6detail15normal_iteratorINS9_10device_ptrItEEEEPS5_m11less_div_10ItEEE10hipError_tT0_T1_T2_jT3_P12ihipStream_tbPNSt15iterator_traitsISJ_E10value_typeEPNSP_ISK_E10value_typeEPSL_NS1_7vsmem_tEENKUlT_SJ_SK_SL_E_clISE_PtSF_SF_EESI_SY_SJ_SK_SL_EUlSY_E_NS1_11comp_targetILNS1_3genE10ELNS1_11target_archE1201ELNS1_3gpuE5ELNS1_3repE0EEENS1_48merge_mergepath_partition_config_static_selectorELNS0_4arch9wavefront6targetE0EEEvSK_ ; -- Begin function _ZN7rocprim17ROCPRIM_400000_NS6detail17trampoline_kernelINS0_14default_configENS1_38merge_sort_block_merge_config_selectorItNS0_10empty_typeEEEZZNS1_27merge_sort_block_merge_implIS3_N6thrust23THRUST_200600_302600_NS6detail15normal_iteratorINS9_10device_ptrItEEEEPS5_m11less_div_10ItEEE10hipError_tT0_T1_T2_jT3_P12ihipStream_tbPNSt15iterator_traitsISJ_E10value_typeEPNSP_ISK_E10value_typeEPSL_NS1_7vsmem_tEENKUlT_SJ_SK_SL_E_clISE_PtSF_SF_EESI_SY_SJ_SK_SL_EUlSY_E_NS1_11comp_targetILNS1_3genE10ELNS1_11target_archE1201ELNS1_3gpuE5ELNS1_3repE0EEENS1_48merge_mergepath_partition_config_static_selectorELNS0_4arch9wavefront6targetE0EEEvSK_
	.globl	_ZN7rocprim17ROCPRIM_400000_NS6detail17trampoline_kernelINS0_14default_configENS1_38merge_sort_block_merge_config_selectorItNS0_10empty_typeEEEZZNS1_27merge_sort_block_merge_implIS3_N6thrust23THRUST_200600_302600_NS6detail15normal_iteratorINS9_10device_ptrItEEEEPS5_m11less_div_10ItEEE10hipError_tT0_T1_T2_jT3_P12ihipStream_tbPNSt15iterator_traitsISJ_E10value_typeEPNSP_ISK_E10value_typeEPSL_NS1_7vsmem_tEENKUlT_SJ_SK_SL_E_clISE_PtSF_SF_EESI_SY_SJ_SK_SL_EUlSY_E_NS1_11comp_targetILNS1_3genE10ELNS1_11target_archE1201ELNS1_3gpuE5ELNS1_3repE0EEENS1_48merge_mergepath_partition_config_static_selectorELNS0_4arch9wavefront6targetE0EEEvSK_
	.p2align	8
	.type	_ZN7rocprim17ROCPRIM_400000_NS6detail17trampoline_kernelINS0_14default_configENS1_38merge_sort_block_merge_config_selectorItNS0_10empty_typeEEEZZNS1_27merge_sort_block_merge_implIS3_N6thrust23THRUST_200600_302600_NS6detail15normal_iteratorINS9_10device_ptrItEEEEPS5_m11less_div_10ItEEE10hipError_tT0_T1_T2_jT3_P12ihipStream_tbPNSt15iterator_traitsISJ_E10value_typeEPNSP_ISK_E10value_typeEPSL_NS1_7vsmem_tEENKUlT_SJ_SK_SL_E_clISE_PtSF_SF_EESI_SY_SJ_SK_SL_EUlSY_E_NS1_11comp_targetILNS1_3genE10ELNS1_11target_archE1201ELNS1_3gpuE5ELNS1_3repE0EEENS1_48merge_mergepath_partition_config_static_selectorELNS0_4arch9wavefront6targetE0EEEvSK_,@function
_ZN7rocprim17ROCPRIM_400000_NS6detail17trampoline_kernelINS0_14default_configENS1_38merge_sort_block_merge_config_selectorItNS0_10empty_typeEEEZZNS1_27merge_sort_block_merge_implIS3_N6thrust23THRUST_200600_302600_NS6detail15normal_iteratorINS9_10device_ptrItEEEEPS5_m11less_div_10ItEEE10hipError_tT0_T1_T2_jT3_P12ihipStream_tbPNSt15iterator_traitsISJ_E10value_typeEPNSP_ISK_E10value_typeEPSL_NS1_7vsmem_tEENKUlT_SJ_SK_SL_E_clISE_PtSF_SF_EESI_SY_SJ_SK_SL_EUlSY_E_NS1_11comp_targetILNS1_3genE10ELNS1_11target_archE1201ELNS1_3gpuE5ELNS1_3repE0EEENS1_48merge_mergepath_partition_config_static_selectorELNS0_4arch9wavefront6targetE0EEEvSK_: ; @_ZN7rocprim17ROCPRIM_400000_NS6detail17trampoline_kernelINS0_14default_configENS1_38merge_sort_block_merge_config_selectorItNS0_10empty_typeEEEZZNS1_27merge_sort_block_merge_implIS3_N6thrust23THRUST_200600_302600_NS6detail15normal_iteratorINS9_10device_ptrItEEEEPS5_m11less_div_10ItEEE10hipError_tT0_T1_T2_jT3_P12ihipStream_tbPNSt15iterator_traitsISJ_E10value_typeEPNSP_ISK_E10value_typeEPSL_NS1_7vsmem_tEENKUlT_SJ_SK_SL_E_clISE_PtSF_SF_EESI_SY_SJ_SK_SL_EUlSY_E_NS1_11comp_targetILNS1_3genE10ELNS1_11target_archE1201ELNS1_3gpuE5ELNS1_3repE0EEENS1_48merge_mergepath_partition_config_static_selectorELNS0_4arch9wavefront6targetE0EEEvSK_
; %bb.0:
	.section	.rodata,"a",@progbits
	.p2align	6, 0x0
	.amdhsa_kernel _ZN7rocprim17ROCPRIM_400000_NS6detail17trampoline_kernelINS0_14default_configENS1_38merge_sort_block_merge_config_selectorItNS0_10empty_typeEEEZZNS1_27merge_sort_block_merge_implIS3_N6thrust23THRUST_200600_302600_NS6detail15normal_iteratorINS9_10device_ptrItEEEEPS5_m11less_div_10ItEEE10hipError_tT0_T1_T2_jT3_P12ihipStream_tbPNSt15iterator_traitsISJ_E10value_typeEPNSP_ISK_E10value_typeEPSL_NS1_7vsmem_tEENKUlT_SJ_SK_SL_E_clISE_PtSF_SF_EESI_SY_SJ_SK_SL_EUlSY_E_NS1_11comp_targetILNS1_3genE10ELNS1_11target_archE1201ELNS1_3gpuE5ELNS1_3repE0EEENS1_48merge_mergepath_partition_config_static_selectorELNS0_4arch9wavefront6targetE0EEEvSK_
		.amdhsa_group_segment_fixed_size 0
		.amdhsa_private_segment_fixed_size 0
		.amdhsa_kernarg_size 48
		.amdhsa_user_sgpr_count 6
		.amdhsa_user_sgpr_private_segment_buffer 1
		.amdhsa_user_sgpr_dispatch_ptr 0
		.amdhsa_user_sgpr_queue_ptr 0
		.amdhsa_user_sgpr_kernarg_segment_ptr 1
		.amdhsa_user_sgpr_dispatch_id 0
		.amdhsa_user_sgpr_flat_scratch_init 0
		.amdhsa_user_sgpr_private_segment_size 0
		.amdhsa_wavefront_size32 1
		.amdhsa_uses_dynamic_stack 0
		.amdhsa_system_sgpr_private_segment_wavefront_offset 0
		.amdhsa_system_sgpr_workgroup_id_x 1
		.amdhsa_system_sgpr_workgroup_id_y 0
		.amdhsa_system_sgpr_workgroup_id_z 0
		.amdhsa_system_sgpr_workgroup_info 0
		.amdhsa_system_vgpr_workitem_id 0
		.amdhsa_next_free_vgpr 1
		.amdhsa_next_free_sgpr 1
		.amdhsa_reserve_vcc 0
		.amdhsa_reserve_flat_scratch 0
		.amdhsa_float_round_mode_32 0
		.amdhsa_float_round_mode_16_64 0
		.amdhsa_float_denorm_mode_32 3
		.amdhsa_float_denorm_mode_16_64 3
		.amdhsa_dx10_clamp 1
		.amdhsa_ieee_mode 1
		.amdhsa_fp16_overflow 0
		.amdhsa_workgroup_processor_mode 1
		.amdhsa_memory_ordered 1
		.amdhsa_forward_progress 1
		.amdhsa_shared_vgpr_count 0
		.amdhsa_exception_fp_ieee_invalid_op 0
		.amdhsa_exception_fp_denorm_src 0
		.amdhsa_exception_fp_ieee_div_zero 0
		.amdhsa_exception_fp_ieee_overflow 0
		.amdhsa_exception_fp_ieee_underflow 0
		.amdhsa_exception_fp_ieee_inexact 0
		.amdhsa_exception_int_div_zero 0
	.end_amdhsa_kernel
	.section	.text._ZN7rocprim17ROCPRIM_400000_NS6detail17trampoline_kernelINS0_14default_configENS1_38merge_sort_block_merge_config_selectorItNS0_10empty_typeEEEZZNS1_27merge_sort_block_merge_implIS3_N6thrust23THRUST_200600_302600_NS6detail15normal_iteratorINS9_10device_ptrItEEEEPS5_m11less_div_10ItEEE10hipError_tT0_T1_T2_jT3_P12ihipStream_tbPNSt15iterator_traitsISJ_E10value_typeEPNSP_ISK_E10value_typeEPSL_NS1_7vsmem_tEENKUlT_SJ_SK_SL_E_clISE_PtSF_SF_EESI_SY_SJ_SK_SL_EUlSY_E_NS1_11comp_targetILNS1_3genE10ELNS1_11target_archE1201ELNS1_3gpuE5ELNS1_3repE0EEENS1_48merge_mergepath_partition_config_static_selectorELNS0_4arch9wavefront6targetE0EEEvSK_,"axG",@progbits,_ZN7rocprim17ROCPRIM_400000_NS6detail17trampoline_kernelINS0_14default_configENS1_38merge_sort_block_merge_config_selectorItNS0_10empty_typeEEEZZNS1_27merge_sort_block_merge_implIS3_N6thrust23THRUST_200600_302600_NS6detail15normal_iteratorINS9_10device_ptrItEEEEPS5_m11less_div_10ItEEE10hipError_tT0_T1_T2_jT3_P12ihipStream_tbPNSt15iterator_traitsISJ_E10value_typeEPNSP_ISK_E10value_typeEPSL_NS1_7vsmem_tEENKUlT_SJ_SK_SL_E_clISE_PtSF_SF_EESI_SY_SJ_SK_SL_EUlSY_E_NS1_11comp_targetILNS1_3genE10ELNS1_11target_archE1201ELNS1_3gpuE5ELNS1_3repE0EEENS1_48merge_mergepath_partition_config_static_selectorELNS0_4arch9wavefront6targetE0EEEvSK_,comdat
.Lfunc_end267:
	.size	_ZN7rocprim17ROCPRIM_400000_NS6detail17trampoline_kernelINS0_14default_configENS1_38merge_sort_block_merge_config_selectorItNS0_10empty_typeEEEZZNS1_27merge_sort_block_merge_implIS3_N6thrust23THRUST_200600_302600_NS6detail15normal_iteratorINS9_10device_ptrItEEEEPS5_m11less_div_10ItEEE10hipError_tT0_T1_T2_jT3_P12ihipStream_tbPNSt15iterator_traitsISJ_E10value_typeEPNSP_ISK_E10value_typeEPSL_NS1_7vsmem_tEENKUlT_SJ_SK_SL_E_clISE_PtSF_SF_EESI_SY_SJ_SK_SL_EUlSY_E_NS1_11comp_targetILNS1_3genE10ELNS1_11target_archE1201ELNS1_3gpuE5ELNS1_3repE0EEENS1_48merge_mergepath_partition_config_static_selectorELNS0_4arch9wavefront6targetE0EEEvSK_, .Lfunc_end267-_ZN7rocprim17ROCPRIM_400000_NS6detail17trampoline_kernelINS0_14default_configENS1_38merge_sort_block_merge_config_selectorItNS0_10empty_typeEEEZZNS1_27merge_sort_block_merge_implIS3_N6thrust23THRUST_200600_302600_NS6detail15normal_iteratorINS9_10device_ptrItEEEEPS5_m11less_div_10ItEEE10hipError_tT0_T1_T2_jT3_P12ihipStream_tbPNSt15iterator_traitsISJ_E10value_typeEPNSP_ISK_E10value_typeEPSL_NS1_7vsmem_tEENKUlT_SJ_SK_SL_E_clISE_PtSF_SF_EESI_SY_SJ_SK_SL_EUlSY_E_NS1_11comp_targetILNS1_3genE10ELNS1_11target_archE1201ELNS1_3gpuE5ELNS1_3repE0EEENS1_48merge_mergepath_partition_config_static_selectorELNS0_4arch9wavefront6targetE0EEEvSK_
                                        ; -- End function
	.set _ZN7rocprim17ROCPRIM_400000_NS6detail17trampoline_kernelINS0_14default_configENS1_38merge_sort_block_merge_config_selectorItNS0_10empty_typeEEEZZNS1_27merge_sort_block_merge_implIS3_N6thrust23THRUST_200600_302600_NS6detail15normal_iteratorINS9_10device_ptrItEEEEPS5_m11less_div_10ItEEE10hipError_tT0_T1_T2_jT3_P12ihipStream_tbPNSt15iterator_traitsISJ_E10value_typeEPNSP_ISK_E10value_typeEPSL_NS1_7vsmem_tEENKUlT_SJ_SK_SL_E_clISE_PtSF_SF_EESI_SY_SJ_SK_SL_EUlSY_E_NS1_11comp_targetILNS1_3genE10ELNS1_11target_archE1201ELNS1_3gpuE5ELNS1_3repE0EEENS1_48merge_mergepath_partition_config_static_selectorELNS0_4arch9wavefront6targetE0EEEvSK_.num_vgpr, 0
	.set _ZN7rocprim17ROCPRIM_400000_NS6detail17trampoline_kernelINS0_14default_configENS1_38merge_sort_block_merge_config_selectorItNS0_10empty_typeEEEZZNS1_27merge_sort_block_merge_implIS3_N6thrust23THRUST_200600_302600_NS6detail15normal_iteratorINS9_10device_ptrItEEEEPS5_m11less_div_10ItEEE10hipError_tT0_T1_T2_jT3_P12ihipStream_tbPNSt15iterator_traitsISJ_E10value_typeEPNSP_ISK_E10value_typeEPSL_NS1_7vsmem_tEENKUlT_SJ_SK_SL_E_clISE_PtSF_SF_EESI_SY_SJ_SK_SL_EUlSY_E_NS1_11comp_targetILNS1_3genE10ELNS1_11target_archE1201ELNS1_3gpuE5ELNS1_3repE0EEENS1_48merge_mergepath_partition_config_static_selectorELNS0_4arch9wavefront6targetE0EEEvSK_.num_agpr, 0
	.set _ZN7rocprim17ROCPRIM_400000_NS6detail17trampoline_kernelINS0_14default_configENS1_38merge_sort_block_merge_config_selectorItNS0_10empty_typeEEEZZNS1_27merge_sort_block_merge_implIS3_N6thrust23THRUST_200600_302600_NS6detail15normal_iteratorINS9_10device_ptrItEEEEPS5_m11less_div_10ItEEE10hipError_tT0_T1_T2_jT3_P12ihipStream_tbPNSt15iterator_traitsISJ_E10value_typeEPNSP_ISK_E10value_typeEPSL_NS1_7vsmem_tEENKUlT_SJ_SK_SL_E_clISE_PtSF_SF_EESI_SY_SJ_SK_SL_EUlSY_E_NS1_11comp_targetILNS1_3genE10ELNS1_11target_archE1201ELNS1_3gpuE5ELNS1_3repE0EEENS1_48merge_mergepath_partition_config_static_selectorELNS0_4arch9wavefront6targetE0EEEvSK_.numbered_sgpr, 0
	.set _ZN7rocprim17ROCPRIM_400000_NS6detail17trampoline_kernelINS0_14default_configENS1_38merge_sort_block_merge_config_selectorItNS0_10empty_typeEEEZZNS1_27merge_sort_block_merge_implIS3_N6thrust23THRUST_200600_302600_NS6detail15normal_iteratorINS9_10device_ptrItEEEEPS5_m11less_div_10ItEEE10hipError_tT0_T1_T2_jT3_P12ihipStream_tbPNSt15iterator_traitsISJ_E10value_typeEPNSP_ISK_E10value_typeEPSL_NS1_7vsmem_tEENKUlT_SJ_SK_SL_E_clISE_PtSF_SF_EESI_SY_SJ_SK_SL_EUlSY_E_NS1_11comp_targetILNS1_3genE10ELNS1_11target_archE1201ELNS1_3gpuE5ELNS1_3repE0EEENS1_48merge_mergepath_partition_config_static_selectorELNS0_4arch9wavefront6targetE0EEEvSK_.num_named_barrier, 0
	.set _ZN7rocprim17ROCPRIM_400000_NS6detail17trampoline_kernelINS0_14default_configENS1_38merge_sort_block_merge_config_selectorItNS0_10empty_typeEEEZZNS1_27merge_sort_block_merge_implIS3_N6thrust23THRUST_200600_302600_NS6detail15normal_iteratorINS9_10device_ptrItEEEEPS5_m11less_div_10ItEEE10hipError_tT0_T1_T2_jT3_P12ihipStream_tbPNSt15iterator_traitsISJ_E10value_typeEPNSP_ISK_E10value_typeEPSL_NS1_7vsmem_tEENKUlT_SJ_SK_SL_E_clISE_PtSF_SF_EESI_SY_SJ_SK_SL_EUlSY_E_NS1_11comp_targetILNS1_3genE10ELNS1_11target_archE1201ELNS1_3gpuE5ELNS1_3repE0EEENS1_48merge_mergepath_partition_config_static_selectorELNS0_4arch9wavefront6targetE0EEEvSK_.private_seg_size, 0
	.set _ZN7rocprim17ROCPRIM_400000_NS6detail17trampoline_kernelINS0_14default_configENS1_38merge_sort_block_merge_config_selectorItNS0_10empty_typeEEEZZNS1_27merge_sort_block_merge_implIS3_N6thrust23THRUST_200600_302600_NS6detail15normal_iteratorINS9_10device_ptrItEEEEPS5_m11less_div_10ItEEE10hipError_tT0_T1_T2_jT3_P12ihipStream_tbPNSt15iterator_traitsISJ_E10value_typeEPNSP_ISK_E10value_typeEPSL_NS1_7vsmem_tEENKUlT_SJ_SK_SL_E_clISE_PtSF_SF_EESI_SY_SJ_SK_SL_EUlSY_E_NS1_11comp_targetILNS1_3genE10ELNS1_11target_archE1201ELNS1_3gpuE5ELNS1_3repE0EEENS1_48merge_mergepath_partition_config_static_selectorELNS0_4arch9wavefront6targetE0EEEvSK_.uses_vcc, 0
	.set _ZN7rocprim17ROCPRIM_400000_NS6detail17trampoline_kernelINS0_14default_configENS1_38merge_sort_block_merge_config_selectorItNS0_10empty_typeEEEZZNS1_27merge_sort_block_merge_implIS3_N6thrust23THRUST_200600_302600_NS6detail15normal_iteratorINS9_10device_ptrItEEEEPS5_m11less_div_10ItEEE10hipError_tT0_T1_T2_jT3_P12ihipStream_tbPNSt15iterator_traitsISJ_E10value_typeEPNSP_ISK_E10value_typeEPSL_NS1_7vsmem_tEENKUlT_SJ_SK_SL_E_clISE_PtSF_SF_EESI_SY_SJ_SK_SL_EUlSY_E_NS1_11comp_targetILNS1_3genE10ELNS1_11target_archE1201ELNS1_3gpuE5ELNS1_3repE0EEENS1_48merge_mergepath_partition_config_static_selectorELNS0_4arch9wavefront6targetE0EEEvSK_.uses_flat_scratch, 0
	.set _ZN7rocprim17ROCPRIM_400000_NS6detail17trampoline_kernelINS0_14default_configENS1_38merge_sort_block_merge_config_selectorItNS0_10empty_typeEEEZZNS1_27merge_sort_block_merge_implIS3_N6thrust23THRUST_200600_302600_NS6detail15normal_iteratorINS9_10device_ptrItEEEEPS5_m11less_div_10ItEEE10hipError_tT0_T1_T2_jT3_P12ihipStream_tbPNSt15iterator_traitsISJ_E10value_typeEPNSP_ISK_E10value_typeEPSL_NS1_7vsmem_tEENKUlT_SJ_SK_SL_E_clISE_PtSF_SF_EESI_SY_SJ_SK_SL_EUlSY_E_NS1_11comp_targetILNS1_3genE10ELNS1_11target_archE1201ELNS1_3gpuE5ELNS1_3repE0EEENS1_48merge_mergepath_partition_config_static_selectorELNS0_4arch9wavefront6targetE0EEEvSK_.has_dyn_sized_stack, 0
	.set _ZN7rocprim17ROCPRIM_400000_NS6detail17trampoline_kernelINS0_14default_configENS1_38merge_sort_block_merge_config_selectorItNS0_10empty_typeEEEZZNS1_27merge_sort_block_merge_implIS3_N6thrust23THRUST_200600_302600_NS6detail15normal_iteratorINS9_10device_ptrItEEEEPS5_m11less_div_10ItEEE10hipError_tT0_T1_T2_jT3_P12ihipStream_tbPNSt15iterator_traitsISJ_E10value_typeEPNSP_ISK_E10value_typeEPSL_NS1_7vsmem_tEENKUlT_SJ_SK_SL_E_clISE_PtSF_SF_EESI_SY_SJ_SK_SL_EUlSY_E_NS1_11comp_targetILNS1_3genE10ELNS1_11target_archE1201ELNS1_3gpuE5ELNS1_3repE0EEENS1_48merge_mergepath_partition_config_static_selectorELNS0_4arch9wavefront6targetE0EEEvSK_.has_recursion, 0
	.set _ZN7rocprim17ROCPRIM_400000_NS6detail17trampoline_kernelINS0_14default_configENS1_38merge_sort_block_merge_config_selectorItNS0_10empty_typeEEEZZNS1_27merge_sort_block_merge_implIS3_N6thrust23THRUST_200600_302600_NS6detail15normal_iteratorINS9_10device_ptrItEEEEPS5_m11less_div_10ItEEE10hipError_tT0_T1_T2_jT3_P12ihipStream_tbPNSt15iterator_traitsISJ_E10value_typeEPNSP_ISK_E10value_typeEPSL_NS1_7vsmem_tEENKUlT_SJ_SK_SL_E_clISE_PtSF_SF_EESI_SY_SJ_SK_SL_EUlSY_E_NS1_11comp_targetILNS1_3genE10ELNS1_11target_archE1201ELNS1_3gpuE5ELNS1_3repE0EEENS1_48merge_mergepath_partition_config_static_selectorELNS0_4arch9wavefront6targetE0EEEvSK_.has_indirect_call, 0
	.section	.AMDGPU.csdata,"",@progbits
; Kernel info:
; codeLenInByte = 0
; TotalNumSgprs: 0
; NumVgprs: 0
; ScratchSize: 0
; MemoryBound: 0
; FloatMode: 240
; IeeeMode: 1
; LDSByteSize: 0 bytes/workgroup (compile time only)
; SGPRBlocks: 0
; VGPRBlocks: 0
; NumSGPRsForWavesPerEU: 1
; NumVGPRsForWavesPerEU: 1
; Occupancy: 16
; WaveLimiterHint : 0
; COMPUTE_PGM_RSRC2:SCRATCH_EN: 0
; COMPUTE_PGM_RSRC2:USER_SGPR: 6
; COMPUTE_PGM_RSRC2:TRAP_HANDLER: 0
; COMPUTE_PGM_RSRC2:TGID_X_EN: 1
; COMPUTE_PGM_RSRC2:TGID_Y_EN: 0
; COMPUTE_PGM_RSRC2:TGID_Z_EN: 0
; COMPUTE_PGM_RSRC2:TIDIG_COMP_CNT: 0
	.section	.text._ZN7rocprim17ROCPRIM_400000_NS6detail17trampoline_kernelINS0_14default_configENS1_38merge_sort_block_merge_config_selectorItNS0_10empty_typeEEEZZNS1_27merge_sort_block_merge_implIS3_N6thrust23THRUST_200600_302600_NS6detail15normal_iteratorINS9_10device_ptrItEEEEPS5_m11less_div_10ItEEE10hipError_tT0_T1_T2_jT3_P12ihipStream_tbPNSt15iterator_traitsISJ_E10value_typeEPNSP_ISK_E10value_typeEPSL_NS1_7vsmem_tEENKUlT_SJ_SK_SL_E_clISE_PtSF_SF_EESI_SY_SJ_SK_SL_EUlSY_E_NS1_11comp_targetILNS1_3genE5ELNS1_11target_archE942ELNS1_3gpuE9ELNS1_3repE0EEENS1_48merge_mergepath_partition_config_static_selectorELNS0_4arch9wavefront6targetE0EEEvSK_,"axG",@progbits,_ZN7rocprim17ROCPRIM_400000_NS6detail17trampoline_kernelINS0_14default_configENS1_38merge_sort_block_merge_config_selectorItNS0_10empty_typeEEEZZNS1_27merge_sort_block_merge_implIS3_N6thrust23THRUST_200600_302600_NS6detail15normal_iteratorINS9_10device_ptrItEEEEPS5_m11less_div_10ItEEE10hipError_tT0_T1_T2_jT3_P12ihipStream_tbPNSt15iterator_traitsISJ_E10value_typeEPNSP_ISK_E10value_typeEPSL_NS1_7vsmem_tEENKUlT_SJ_SK_SL_E_clISE_PtSF_SF_EESI_SY_SJ_SK_SL_EUlSY_E_NS1_11comp_targetILNS1_3genE5ELNS1_11target_archE942ELNS1_3gpuE9ELNS1_3repE0EEENS1_48merge_mergepath_partition_config_static_selectorELNS0_4arch9wavefront6targetE0EEEvSK_,comdat
	.protected	_ZN7rocprim17ROCPRIM_400000_NS6detail17trampoline_kernelINS0_14default_configENS1_38merge_sort_block_merge_config_selectorItNS0_10empty_typeEEEZZNS1_27merge_sort_block_merge_implIS3_N6thrust23THRUST_200600_302600_NS6detail15normal_iteratorINS9_10device_ptrItEEEEPS5_m11less_div_10ItEEE10hipError_tT0_T1_T2_jT3_P12ihipStream_tbPNSt15iterator_traitsISJ_E10value_typeEPNSP_ISK_E10value_typeEPSL_NS1_7vsmem_tEENKUlT_SJ_SK_SL_E_clISE_PtSF_SF_EESI_SY_SJ_SK_SL_EUlSY_E_NS1_11comp_targetILNS1_3genE5ELNS1_11target_archE942ELNS1_3gpuE9ELNS1_3repE0EEENS1_48merge_mergepath_partition_config_static_selectorELNS0_4arch9wavefront6targetE0EEEvSK_ ; -- Begin function _ZN7rocprim17ROCPRIM_400000_NS6detail17trampoline_kernelINS0_14default_configENS1_38merge_sort_block_merge_config_selectorItNS0_10empty_typeEEEZZNS1_27merge_sort_block_merge_implIS3_N6thrust23THRUST_200600_302600_NS6detail15normal_iteratorINS9_10device_ptrItEEEEPS5_m11less_div_10ItEEE10hipError_tT0_T1_T2_jT3_P12ihipStream_tbPNSt15iterator_traitsISJ_E10value_typeEPNSP_ISK_E10value_typeEPSL_NS1_7vsmem_tEENKUlT_SJ_SK_SL_E_clISE_PtSF_SF_EESI_SY_SJ_SK_SL_EUlSY_E_NS1_11comp_targetILNS1_3genE5ELNS1_11target_archE942ELNS1_3gpuE9ELNS1_3repE0EEENS1_48merge_mergepath_partition_config_static_selectorELNS0_4arch9wavefront6targetE0EEEvSK_
	.globl	_ZN7rocprim17ROCPRIM_400000_NS6detail17trampoline_kernelINS0_14default_configENS1_38merge_sort_block_merge_config_selectorItNS0_10empty_typeEEEZZNS1_27merge_sort_block_merge_implIS3_N6thrust23THRUST_200600_302600_NS6detail15normal_iteratorINS9_10device_ptrItEEEEPS5_m11less_div_10ItEEE10hipError_tT0_T1_T2_jT3_P12ihipStream_tbPNSt15iterator_traitsISJ_E10value_typeEPNSP_ISK_E10value_typeEPSL_NS1_7vsmem_tEENKUlT_SJ_SK_SL_E_clISE_PtSF_SF_EESI_SY_SJ_SK_SL_EUlSY_E_NS1_11comp_targetILNS1_3genE5ELNS1_11target_archE942ELNS1_3gpuE9ELNS1_3repE0EEENS1_48merge_mergepath_partition_config_static_selectorELNS0_4arch9wavefront6targetE0EEEvSK_
	.p2align	8
	.type	_ZN7rocprim17ROCPRIM_400000_NS6detail17trampoline_kernelINS0_14default_configENS1_38merge_sort_block_merge_config_selectorItNS0_10empty_typeEEEZZNS1_27merge_sort_block_merge_implIS3_N6thrust23THRUST_200600_302600_NS6detail15normal_iteratorINS9_10device_ptrItEEEEPS5_m11less_div_10ItEEE10hipError_tT0_T1_T2_jT3_P12ihipStream_tbPNSt15iterator_traitsISJ_E10value_typeEPNSP_ISK_E10value_typeEPSL_NS1_7vsmem_tEENKUlT_SJ_SK_SL_E_clISE_PtSF_SF_EESI_SY_SJ_SK_SL_EUlSY_E_NS1_11comp_targetILNS1_3genE5ELNS1_11target_archE942ELNS1_3gpuE9ELNS1_3repE0EEENS1_48merge_mergepath_partition_config_static_selectorELNS0_4arch9wavefront6targetE0EEEvSK_,@function
_ZN7rocprim17ROCPRIM_400000_NS6detail17trampoline_kernelINS0_14default_configENS1_38merge_sort_block_merge_config_selectorItNS0_10empty_typeEEEZZNS1_27merge_sort_block_merge_implIS3_N6thrust23THRUST_200600_302600_NS6detail15normal_iteratorINS9_10device_ptrItEEEEPS5_m11less_div_10ItEEE10hipError_tT0_T1_T2_jT3_P12ihipStream_tbPNSt15iterator_traitsISJ_E10value_typeEPNSP_ISK_E10value_typeEPSL_NS1_7vsmem_tEENKUlT_SJ_SK_SL_E_clISE_PtSF_SF_EESI_SY_SJ_SK_SL_EUlSY_E_NS1_11comp_targetILNS1_3genE5ELNS1_11target_archE942ELNS1_3gpuE9ELNS1_3repE0EEENS1_48merge_mergepath_partition_config_static_selectorELNS0_4arch9wavefront6targetE0EEEvSK_: ; @_ZN7rocprim17ROCPRIM_400000_NS6detail17trampoline_kernelINS0_14default_configENS1_38merge_sort_block_merge_config_selectorItNS0_10empty_typeEEEZZNS1_27merge_sort_block_merge_implIS3_N6thrust23THRUST_200600_302600_NS6detail15normal_iteratorINS9_10device_ptrItEEEEPS5_m11less_div_10ItEEE10hipError_tT0_T1_T2_jT3_P12ihipStream_tbPNSt15iterator_traitsISJ_E10value_typeEPNSP_ISK_E10value_typeEPSL_NS1_7vsmem_tEENKUlT_SJ_SK_SL_E_clISE_PtSF_SF_EESI_SY_SJ_SK_SL_EUlSY_E_NS1_11comp_targetILNS1_3genE5ELNS1_11target_archE942ELNS1_3gpuE9ELNS1_3repE0EEENS1_48merge_mergepath_partition_config_static_selectorELNS0_4arch9wavefront6targetE0EEEvSK_
; %bb.0:
	.section	.rodata,"a",@progbits
	.p2align	6, 0x0
	.amdhsa_kernel _ZN7rocprim17ROCPRIM_400000_NS6detail17trampoline_kernelINS0_14default_configENS1_38merge_sort_block_merge_config_selectorItNS0_10empty_typeEEEZZNS1_27merge_sort_block_merge_implIS3_N6thrust23THRUST_200600_302600_NS6detail15normal_iteratorINS9_10device_ptrItEEEEPS5_m11less_div_10ItEEE10hipError_tT0_T1_T2_jT3_P12ihipStream_tbPNSt15iterator_traitsISJ_E10value_typeEPNSP_ISK_E10value_typeEPSL_NS1_7vsmem_tEENKUlT_SJ_SK_SL_E_clISE_PtSF_SF_EESI_SY_SJ_SK_SL_EUlSY_E_NS1_11comp_targetILNS1_3genE5ELNS1_11target_archE942ELNS1_3gpuE9ELNS1_3repE0EEENS1_48merge_mergepath_partition_config_static_selectorELNS0_4arch9wavefront6targetE0EEEvSK_
		.amdhsa_group_segment_fixed_size 0
		.amdhsa_private_segment_fixed_size 0
		.amdhsa_kernarg_size 48
		.amdhsa_user_sgpr_count 6
		.amdhsa_user_sgpr_private_segment_buffer 1
		.amdhsa_user_sgpr_dispatch_ptr 0
		.amdhsa_user_sgpr_queue_ptr 0
		.amdhsa_user_sgpr_kernarg_segment_ptr 1
		.amdhsa_user_sgpr_dispatch_id 0
		.amdhsa_user_sgpr_flat_scratch_init 0
		.amdhsa_user_sgpr_private_segment_size 0
		.amdhsa_wavefront_size32 1
		.amdhsa_uses_dynamic_stack 0
		.amdhsa_system_sgpr_private_segment_wavefront_offset 0
		.amdhsa_system_sgpr_workgroup_id_x 1
		.amdhsa_system_sgpr_workgroup_id_y 0
		.amdhsa_system_sgpr_workgroup_id_z 0
		.amdhsa_system_sgpr_workgroup_info 0
		.amdhsa_system_vgpr_workitem_id 0
		.amdhsa_next_free_vgpr 1
		.amdhsa_next_free_sgpr 1
		.amdhsa_reserve_vcc 0
		.amdhsa_reserve_flat_scratch 0
		.amdhsa_float_round_mode_32 0
		.amdhsa_float_round_mode_16_64 0
		.amdhsa_float_denorm_mode_32 3
		.amdhsa_float_denorm_mode_16_64 3
		.amdhsa_dx10_clamp 1
		.amdhsa_ieee_mode 1
		.amdhsa_fp16_overflow 0
		.amdhsa_workgroup_processor_mode 1
		.amdhsa_memory_ordered 1
		.amdhsa_forward_progress 1
		.amdhsa_shared_vgpr_count 0
		.amdhsa_exception_fp_ieee_invalid_op 0
		.amdhsa_exception_fp_denorm_src 0
		.amdhsa_exception_fp_ieee_div_zero 0
		.amdhsa_exception_fp_ieee_overflow 0
		.amdhsa_exception_fp_ieee_underflow 0
		.amdhsa_exception_fp_ieee_inexact 0
		.amdhsa_exception_int_div_zero 0
	.end_amdhsa_kernel
	.section	.text._ZN7rocprim17ROCPRIM_400000_NS6detail17trampoline_kernelINS0_14default_configENS1_38merge_sort_block_merge_config_selectorItNS0_10empty_typeEEEZZNS1_27merge_sort_block_merge_implIS3_N6thrust23THRUST_200600_302600_NS6detail15normal_iteratorINS9_10device_ptrItEEEEPS5_m11less_div_10ItEEE10hipError_tT0_T1_T2_jT3_P12ihipStream_tbPNSt15iterator_traitsISJ_E10value_typeEPNSP_ISK_E10value_typeEPSL_NS1_7vsmem_tEENKUlT_SJ_SK_SL_E_clISE_PtSF_SF_EESI_SY_SJ_SK_SL_EUlSY_E_NS1_11comp_targetILNS1_3genE5ELNS1_11target_archE942ELNS1_3gpuE9ELNS1_3repE0EEENS1_48merge_mergepath_partition_config_static_selectorELNS0_4arch9wavefront6targetE0EEEvSK_,"axG",@progbits,_ZN7rocprim17ROCPRIM_400000_NS6detail17trampoline_kernelINS0_14default_configENS1_38merge_sort_block_merge_config_selectorItNS0_10empty_typeEEEZZNS1_27merge_sort_block_merge_implIS3_N6thrust23THRUST_200600_302600_NS6detail15normal_iteratorINS9_10device_ptrItEEEEPS5_m11less_div_10ItEEE10hipError_tT0_T1_T2_jT3_P12ihipStream_tbPNSt15iterator_traitsISJ_E10value_typeEPNSP_ISK_E10value_typeEPSL_NS1_7vsmem_tEENKUlT_SJ_SK_SL_E_clISE_PtSF_SF_EESI_SY_SJ_SK_SL_EUlSY_E_NS1_11comp_targetILNS1_3genE5ELNS1_11target_archE942ELNS1_3gpuE9ELNS1_3repE0EEENS1_48merge_mergepath_partition_config_static_selectorELNS0_4arch9wavefront6targetE0EEEvSK_,comdat
.Lfunc_end268:
	.size	_ZN7rocprim17ROCPRIM_400000_NS6detail17trampoline_kernelINS0_14default_configENS1_38merge_sort_block_merge_config_selectorItNS0_10empty_typeEEEZZNS1_27merge_sort_block_merge_implIS3_N6thrust23THRUST_200600_302600_NS6detail15normal_iteratorINS9_10device_ptrItEEEEPS5_m11less_div_10ItEEE10hipError_tT0_T1_T2_jT3_P12ihipStream_tbPNSt15iterator_traitsISJ_E10value_typeEPNSP_ISK_E10value_typeEPSL_NS1_7vsmem_tEENKUlT_SJ_SK_SL_E_clISE_PtSF_SF_EESI_SY_SJ_SK_SL_EUlSY_E_NS1_11comp_targetILNS1_3genE5ELNS1_11target_archE942ELNS1_3gpuE9ELNS1_3repE0EEENS1_48merge_mergepath_partition_config_static_selectorELNS0_4arch9wavefront6targetE0EEEvSK_, .Lfunc_end268-_ZN7rocprim17ROCPRIM_400000_NS6detail17trampoline_kernelINS0_14default_configENS1_38merge_sort_block_merge_config_selectorItNS0_10empty_typeEEEZZNS1_27merge_sort_block_merge_implIS3_N6thrust23THRUST_200600_302600_NS6detail15normal_iteratorINS9_10device_ptrItEEEEPS5_m11less_div_10ItEEE10hipError_tT0_T1_T2_jT3_P12ihipStream_tbPNSt15iterator_traitsISJ_E10value_typeEPNSP_ISK_E10value_typeEPSL_NS1_7vsmem_tEENKUlT_SJ_SK_SL_E_clISE_PtSF_SF_EESI_SY_SJ_SK_SL_EUlSY_E_NS1_11comp_targetILNS1_3genE5ELNS1_11target_archE942ELNS1_3gpuE9ELNS1_3repE0EEENS1_48merge_mergepath_partition_config_static_selectorELNS0_4arch9wavefront6targetE0EEEvSK_
                                        ; -- End function
	.set _ZN7rocprim17ROCPRIM_400000_NS6detail17trampoline_kernelINS0_14default_configENS1_38merge_sort_block_merge_config_selectorItNS0_10empty_typeEEEZZNS1_27merge_sort_block_merge_implIS3_N6thrust23THRUST_200600_302600_NS6detail15normal_iteratorINS9_10device_ptrItEEEEPS5_m11less_div_10ItEEE10hipError_tT0_T1_T2_jT3_P12ihipStream_tbPNSt15iterator_traitsISJ_E10value_typeEPNSP_ISK_E10value_typeEPSL_NS1_7vsmem_tEENKUlT_SJ_SK_SL_E_clISE_PtSF_SF_EESI_SY_SJ_SK_SL_EUlSY_E_NS1_11comp_targetILNS1_3genE5ELNS1_11target_archE942ELNS1_3gpuE9ELNS1_3repE0EEENS1_48merge_mergepath_partition_config_static_selectorELNS0_4arch9wavefront6targetE0EEEvSK_.num_vgpr, 0
	.set _ZN7rocprim17ROCPRIM_400000_NS6detail17trampoline_kernelINS0_14default_configENS1_38merge_sort_block_merge_config_selectorItNS0_10empty_typeEEEZZNS1_27merge_sort_block_merge_implIS3_N6thrust23THRUST_200600_302600_NS6detail15normal_iteratorINS9_10device_ptrItEEEEPS5_m11less_div_10ItEEE10hipError_tT0_T1_T2_jT3_P12ihipStream_tbPNSt15iterator_traitsISJ_E10value_typeEPNSP_ISK_E10value_typeEPSL_NS1_7vsmem_tEENKUlT_SJ_SK_SL_E_clISE_PtSF_SF_EESI_SY_SJ_SK_SL_EUlSY_E_NS1_11comp_targetILNS1_3genE5ELNS1_11target_archE942ELNS1_3gpuE9ELNS1_3repE0EEENS1_48merge_mergepath_partition_config_static_selectorELNS0_4arch9wavefront6targetE0EEEvSK_.num_agpr, 0
	.set _ZN7rocprim17ROCPRIM_400000_NS6detail17trampoline_kernelINS0_14default_configENS1_38merge_sort_block_merge_config_selectorItNS0_10empty_typeEEEZZNS1_27merge_sort_block_merge_implIS3_N6thrust23THRUST_200600_302600_NS6detail15normal_iteratorINS9_10device_ptrItEEEEPS5_m11less_div_10ItEEE10hipError_tT0_T1_T2_jT3_P12ihipStream_tbPNSt15iterator_traitsISJ_E10value_typeEPNSP_ISK_E10value_typeEPSL_NS1_7vsmem_tEENKUlT_SJ_SK_SL_E_clISE_PtSF_SF_EESI_SY_SJ_SK_SL_EUlSY_E_NS1_11comp_targetILNS1_3genE5ELNS1_11target_archE942ELNS1_3gpuE9ELNS1_3repE0EEENS1_48merge_mergepath_partition_config_static_selectorELNS0_4arch9wavefront6targetE0EEEvSK_.numbered_sgpr, 0
	.set _ZN7rocprim17ROCPRIM_400000_NS6detail17trampoline_kernelINS0_14default_configENS1_38merge_sort_block_merge_config_selectorItNS0_10empty_typeEEEZZNS1_27merge_sort_block_merge_implIS3_N6thrust23THRUST_200600_302600_NS6detail15normal_iteratorINS9_10device_ptrItEEEEPS5_m11less_div_10ItEEE10hipError_tT0_T1_T2_jT3_P12ihipStream_tbPNSt15iterator_traitsISJ_E10value_typeEPNSP_ISK_E10value_typeEPSL_NS1_7vsmem_tEENKUlT_SJ_SK_SL_E_clISE_PtSF_SF_EESI_SY_SJ_SK_SL_EUlSY_E_NS1_11comp_targetILNS1_3genE5ELNS1_11target_archE942ELNS1_3gpuE9ELNS1_3repE0EEENS1_48merge_mergepath_partition_config_static_selectorELNS0_4arch9wavefront6targetE0EEEvSK_.num_named_barrier, 0
	.set _ZN7rocprim17ROCPRIM_400000_NS6detail17trampoline_kernelINS0_14default_configENS1_38merge_sort_block_merge_config_selectorItNS0_10empty_typeEEEZZNS1_27merge_sort_block_merge_implIS3_N6thrust23THRUST_200600_302600_NS6detail15normal_iteratorINS9_10device_ptrItEEEEPS5_m11less_div_10ItEEE10hipError_tT0_T1_T2_jT3_P12ihipStream_tbPNSt15iterator_traitsISJ_E10value_typeEPNSP_ISK_E10value_typeEPSL_NS1_7vsmem_tEENKUlT_SJ_SK_SL_E_clISE_PtSF_SF_EESI_SY_SJ_SK_SL_EUlSY_E_NS1_11comp_targetILNS1_3genE5ELNS1_11target_archE942ELNS1_3gpuE9ELNS1_3repE0EEENS1_48merge_mergepath_partition_config_static_selectorELNS0_4arch9wavefront6targetE0EEEvSK_.private_seg_size, 0
	.set _ZN7rocprim17ROCPRIM_400000_NS6detail17trampoline_kernelINS0_14default_configENS1_38merge_sort_block_merge_config_selectorItNS0_10empty_typeEEEZZNS1_27merge_sort_block_merge_implIS3_N6thrust23THRUST_200600_302600_NS6detail15normal_iteratorINS9_10device_ptrItEEEEPS5_m11less_div_10ItEEE10hipError_tT0_T1_T2_jT3_P12ihipStream_tbPNSt15iterator_traitsISJ_E10value_typeEPNSP_ISK_E10value_typeEPSL_NS1_7vsmem_tEENKUlT_SJ_SK_SL_E_clISE_PtSF_SF_EESI_SY_SJ_SK_SL_EUlSY_E_NS1_11comp_targetILNS1_3genE5ELNS1_11target_archE942ELNS1_3gpuE9ELNS1_3repE0EEENS1_48merge_mergepath_partition_config_static_selectorELNS0_4arch9wavefront6targetE0EEEvSK_.uses_vcc, 0
	.set _ZN7rocprim17ROCPRIM_400000_NS6detail17trampoline_kernelINS0_14default_configENS1_38merge_sort_block_merge_config_selectorItNS0_10empty_typeEEEZZNS1_27merge_sort_block_merge_implIS3_N6thrust23THRUST_200600_302600_NS6detail15normal_iteratorINS9_10device_ptrItEEEEPS5_m11less_div_10ItEEE10hipError_tT0_T1_T2_jT3_P12ihipStream_tbPNSt15iterator_traitsISJ_E10value_typeEPNSP_ISK_E10value_typeEPSL_NS1_7vsmem_tEENKUlT_SJ_SK_SL_E_clISE_PtSF_SF_EESI_SY_SJ_SK_SL_EUlSY_E_NS1_11comp_targetILNS1_3genE5ELNS1_11target_archE942ELNS1_3gpuE9ELNS1_3repE0EEENS1_48merge_mergepath_partition_config_static_selectorELNS0_4arch9wavefront6targetE0EEEvSK_.uses_flat_scratch, 0
	.set _ZN7rocprim17ROCPRIM_400000_NS6detail17trampoline_kernelINS0_14default_configENS1_38merge_sort_block_merge_config_selectorItNS0_10empty_typeEEEZZNS1_27merge_sort_block_merge_implIS3_N6thrust23THRUST_200600_302600_NS6detail15normal_iteratorINS9_10device_ptrItEEEEPS5_m11less_div_10ItEEE10hipError_tT0_T1_T2_jT3_P12ihipStream_tbPNSt15iterator_traitsISJ_E10value_typeEPNSP_ISK_E10value_typeEPSL_NS1_7vsmem_tEENKUlT_SJ_SK_SL_E_clISE_PtSF_SF_EESI_SY_SJ_SK_SL_EUlSY_E_NS1_11comp_targetILNS1_3genE5ELNS1_11target_archE942ELNS1_3gpuE9ELNS1_3repE0EEENS1_48merge_mergepath_partition_config_static_selectorELNS0_4arch9wavefront6targetE0EEEvSK_.has_dyn_sized_stack, 0
	.set _ZN7rocprim17ROCPRIM_400000_NS6detail17trampoline_kernelINS0_14default_configENS1_38merge_sort_block_merge_config_selectorItNS0_10empty_typeEEEZZNS1_27merge_sort_block_merge_implIS3_N6thrust23THRUST_200600_302600_NS6detail15normal_iteratorINS9_10device_ptrItEEEEPS5_m11less_div_10ItEEE10hipError_tT0_T1_T2_jT3_P12ihipStream_tbPNSt15iterator_traitsISJ_E10value_typeEPNSP_ISK_E10value_typeEPSL_NS1_7vsmem_tEENKUlT_SJ_SK_SL_E_clISE_PtSF_SF_EESI_SY_SJ_SK_SL_EUlSY_E_NS1_11comp_targetILNS1_3genE5ELNS1_11target_archE942ELNS1_3gpuE9ELNS1_3repE0EEENS1_48merge_mergepath_partition_config_static_selectorELNS0_4arch9wavefront6targetE0EEEvSK_.has_recursion, 0
	.set _ZN7rocprim17ROCPRIM_400000_NS6detail17trampoline_kernelINS0_14default_configENS1_38merge_sort_block_merge_config_selectorItNS0_10empty_typeEEEZZNS1_27merge_sort_block_merge_implIS3_N6thrust23THRUST_200600_302600_NS6detail15normal_iteratorINS9_10device_ptrItEEEEPS5_m11less_div_10ItEEE10hipError_tT0_T1_T2_jT3_P12ihipStream_tbPNSt15iterator_traitsISJ_E10value_typeEPNSP_ISK_E10value_typeEPSL_NS1_7vsmem_tEENKUlT_SJ_SK_SL_E_clISE_PtSF_SF_EESI_SY_SJ_SK_SL_EUlSY_E_NS1_11comp_targetILNS1_3genE5ELNS1_11target_archE942ELNS1_3gpuE9ELNS1_3repE0EEENS1_48merge_mergepath_partition_config_static_selectorELNS0_4arch9wavefront6targetE0EEEvSK_.has_indirect_call, 0
	.section	.AMDGPU.csdata,"",@progbits
; Kernel info:
; codeLenInByte = 0
; TotalNumSgprs: 0
; NumVgprs: 0
; ScratchSize: 0
; MemoryBound: 0
; FloatMode: 240
; IeeeMode: 1
; LDSByteSize: 0 bytes/workgroup (compile time only)
; SGPRBlocks: 0
; VGPRBlocks: 0
; NumSGPRsForWavesPerEU: 1
; NumVGPRsForWavesPerEU: 1
; Occupancy: 16
; WaveLimiterHint : 0
; COMPUTE_PGM_RSRC2:SCRATCH_EN: 0
; COMPUTE_PGM_RSRC2:USER_SGPR: 6
; COMPUTE_PGM_RSRC2:TRAP_HANDLER: 0
; COMPUTE_PGM_RSRC2:TGID_X_EN: 1
; COMPUTE_PGM_RSRC2:TGID_Y_EN: 0
; COMPUTE_PGM_RSRC2:TGID_Z_EN: 0
; COMPUTE_PGM_RSRC2:TIDIG_COMP_CNT: 0
	.section	.text._ZN7rocprim17ROCPRIM_400000_NS6detail17trampoline_kernelINS0_14default_configENS1_38merge_sort_block_merge_config_selectorItNS0_10empty_typeEEEZZNS1_27merge_sort_block_merge_implIS3_N6thrust23THRUST_200600_302600_NS6detail15normal_iteratorINS9_10device_ptrItEEEEPS5_m11less_div_10ItEEE10hipError_tT0_T1_T2_jT3_P12ihipStream_tbPNSt15iterator_traitsISJ_E10value_typeEPNSP_ISK_E10value_typeEPSL_NS1_7vsmem_tEENKUlT_SJ_SK_SL_E_clISE_PtSF_SF_EESI_SY_SJ_SK_SL_EUlSY_E_NS1_11comp_targetILNS1_3genE4ELNS1_11target_archE910ELNS1_3gpuE8ELNS1_3repE0EEENS1_48merge_mergepath_partition_config_static_selectorELNS0_4arch9wavefront6targetE0EEEvSK_,"axG",@progbits,_ZN7rocprim17ROCPRIM_400000_NS6detail17trampoline_kernelINS0_14default_configENS1_38merge_sort_block_merge_config_selectorItNS0_10empty_typeEEEZZNS1_27merge_sort_block_merge_implIS3_N6thrust23THRUST_200600_302600_NS6detail15normal_iteratorINS9_10device_ptrItEEEEPS5_m11less_div_10ItEEE10hipError_tT0_T1_T2_jT3_P12ihipStream_tbPNSt15iterator_traitsISJ_E10value_typeEPNSP_ISK_E10value_typeEPSL_NS1_7vsmem_tEENKUlT_SJ_SK_SL_E_clISE_PtSF_SF_EESI_SY_SJ_SK_SL_EUlSY_E_NS1_11comp_targetILNS1_3genE4ELNS1_11target_archE910ELNS1_3gpuE8ELNS1_3repE0EEENS1_48merge_mergepath_partition_config_static_selectorELNS0_4arch9wavefront6targetE0EEEvSK_,comdat
	.protected	_ZN7rocprim17ROCPRIM_400000_NS6detail17trampoline_kernelINS0_14default_configENS1_38merge_sort_block_merge_config_selectorItNS0_10empty_typeEEEZZNS1_27merge_sort_block_merge_implIS3_N6thrust23THRUST_200600_302600_NS6detail15normal_iteratorINS9_10device_ptrItEEEEPS5_m11less_div_10ItEEE10hipError_tT0_T1_T2_jT3_P12ihipStream_tbPNSt15iterator_traitsISJ_E10value_typeEPNSP_ISK_E10value_typeEPSL_NS1_7vsmem_tEENKUlT_SJ_SK_SL_E_clISE_PtSF_SF_EESI_SY_SJ_SK_SL_EUlSY_E_NS1_11comp_targetILNS1_3genE4ELNS1_11target_archE910ELNS1_3gpuE8ELNS1_3repE0EEENS1_48merge_mergepath_partition_config_static_selectorELNS0_4arch9wavefront6targetE0EEEvSK_ ; -- Begin function _ZN7rocprim17ROCPRIM_400000_NS6detail17trampoline_kernelINS0_14default_configENS1_38merge_sort_block_merge_config_selectorItNS0_10empty_typeEEEZZNS1_27merge_sort_block_merge_implIS3_N6thrust23THRUST_200600_302600_NS6detail15normal_iteratorINS9_10device_ptrItEEEEPS5_m11less_div_10ItEEE10hipError_tT0_T1_T2_jT3_P12ihipStream_tbPNSt15iterator_traitsISJ_E10value_typeEPNSP_ISK_E10value_typeEPSL_NS1_7vsmem_tEENKUlT_SJ_SK_SL_E_clISE_PtSF_SF_EESI_SY_SJ_SK_SL_EUlSY_E_NS1_11comp_targetILNS1_3genE4ELNS1_11target_archE910ELNS1_3gpuE8ELNS1_3repE0EEENS1_48merge_mergepath_partition_config_static_selectorELNS0_4arch9wavefront6targetE0EEEvSK_
	.globl	_ZN7rocprim17ROCPRIM_400000_NS6detail17trampoline_kernelINS0_14default_configENS1_38merge_sort_block_merge_config_selectorItNS0_10empty_typeEEEZZNS1_27merge_sort_block_merge_implIS3_N6thrust23THRUST_200600_302600_NS6detail15normal_iteratorINS9_10device_ptrItEEEEPS5_m11less_div_10ItEEE10hipError_tT0_T1_T2_jT3_P12ihipStream_tbPNSt15iterator_traitsISJ_E10value_typeEPNSP_ISK_E10value_typeEPSL_NS1_7vsmem_tEENKUlT_SJ_SK_SL_E_clISE_PtSF_SF_EESI_SY_SJ_SK_SL_EUlSY_E_NS1_11comp_targetILNS1_3genE4ELNS1_11target_archE910ELNS1_3gpuE8ELNS1_3repE0EEENS1_48merge_mergepath_partition_config_static_selectorELNS0_4arch9wavefront6targetE0EEEvSK_
	.p2align	8
	.type	_ZN7rocprim17ROCPRIM_400000_NS6detail17trampoline_kernelINS0_14default_configENS1_38merge_sort_block_merge_config_selectorItNS0_10empty_typeEEEZZNS1_27merge_sort_block_merge_implIS3_N6thrust23THRUST_200600_302600_NS6detail15normal_iteratorINS9_10device_ptrItEEEEPS5_m11less_div_10ItEEE10hipError_tT0_T1_T2_jT3_P12ihipStream_tbPNSt15iterator_traitsISJ_E10value_typeEPNSP_ISK_E10value_typeEPSL_NS1_7vsmem_tEENKUlT_SJ_SK_SL_E_clISE_PtSF_SF_EESI_SY_SJ_SK_SL_EUlSY_E_NS1_11comp_targetILNS1_3genE4ELNS1_11target_archE910ELNS1_3gpuE8ELNS1_3repE0EEENS1_48merge_mergepath_partition_config_static_selectorELNS0_4arch9wavefront6targetE0EEEvSK_,@function
_ZN7rocprim17ROCPRIM_400000_NS6detail17trampoline_kernelINS0_14default_configENS1_38merge_sort_block_merge_config_selectorItNS0_10empty_typeEEEZZNS1_27merge_sort_block_merge_implIS3_N6thrust23THRUST_200600_302600_NS6detail15normal_iteratorINS9_10device_ptrItEEEEPS5_m11less_div_10ItEEE10hipError_tT0_T1_T2_jT3_P12ihipStream_tbPNSt15iterator_traitsISJ_E10value_typeEPNSP_ISK_E10value_typeEPSL_NS1_7vsmem_tEENKUlT_SJ_SK_SL_E_clISE_PtSF_SF_EESI_SY_SJ_SK_SL_EUlSY_E_NS1_11comp_targetILNS1_3genE4ELNS1_11target_archE910ELNS1_3gpuE8ELNS1_3repE0EEENS1_48merge_mergepath_partition_config_static_selectorELNS0_4arch9wavefront6targetE0EEEvSK_: ; @_ZN7rocprim17ROCPRIM_400000_NS6detail17trampoline_kernelINS0_14default_configENS1_38merge_sort_block_merge_config_selectorItNS0_10empty_typeEEEZZNS1_27merge_sort_block_merge_implIS3_N6thrust23THRUST_200600_302600_NS6detail15normal_iteratorINS9_10device_ptrItEEEEPS5_m11less_div_10ItEEE10hipError_tT0_T1_T2_jT3_P12ihipStream_tbPNSt15iterator_traitsISJ_E10value_typeEPNSP_ISK_E10value_typeEPSL_NS1_7vsmem_tEENKUlT_SJ_SK_SL_E_clISE_PtSF_SF_EESI_SY_SJ_SK_SL_EUlSY_E_NS1_11comp_targetILNS1_3genE4ELNS1_11target_archE910ELNS1_3gpuE8ELNS1_3repE0EEENS1_48merge_mergepath_partition_config_static_selectorELNS0_4arch9wavefront6targetE0EEEvSK_
; %bb.0:
	.section	.rodata,"a",@progbits
	.p2align	6, 0x0
	.amdhsa_kernel _ZN7rocprim17ROCPRIM_400000_NS6detail17trampoline_kernelINS0_14default_configENS1_38merge_sort_block_merge_config_selectorItNS0_10empty_typeEEEZZNS1_27merge_sort_block_merge_implIS3_N6thrust23THRUST_200600_302600_NS6detail15normal_iteratorINS9_10device_ptrItEEEEPS5_m11less_div_10ItEEE10hipError_tT0_T1_T2_jT3_P12ihipStream_tbPNSt15iterator_traitsISJ_E10value_typeEPNSP_ISK_E10value_typeEPSL_NS1_7vsmem_tEENKUlT_SJ_SK_SL_E_clISE_PtSF_SF_EESI_SY_SJ_SK_SL_EUlSY_E_NS1_11comp_targetILNS1_3genE4ELNS1_11target_archE910ELNS1_3gpuE8ELNS1_3repE0EEENS1_48merge_mergepath_partition_config_static_selectorELNS0_4arch9wavefront6targetE0EEEvSK_
		.amdhsa_group_segment_fixed_size 0
		.amdhsa_private_segment_fixed_size 0
		.amdhsa_kernarg_size 48
		.amdhsa_user_sgpr_count 6
		.amdhsa_user_sgpr_private_segment_buffer 1
		.amdhsa_user_sgpr_dispatch_ptr 0
		.amdhsa_user_sgpr_queue_ptr 0
		.amdhsa_user_sgpr_kernarg_segment_ptr 1
		.amdhsa_user_sgpr_dispatch_id 0
		.amdhsa_user_sgpr_flat_scratch_init 0
		.amdhsa_user_sgpr_private_segment_size 0
		.amdhsa_wavefront_size32 1
		.amdhsa_uses_dynamic_stack 0
		.amdhsa_system_sgpr_private_segment_wavefront_offset 0
		.amdhsa_system_sgpr_workgroup_id_x 1
		.amdhsa_system_sgpr_workgroup_id_y 0
		.amdhsa_system_sgpr_workgroup_id_z 0
		.amdhsa_system_sgpr_workgroup_info 0
		.amdhsa_system_vgpr_workitem_id 0
		.amdhsa_next_free_vgpr 1
		.amdhsa_next_free_sgpr 1
		.amdhsa_reserve_vcc 0
		.amdhsa_reserve_flat_scratch 0
		.amdhsa_float_round_mode_32 0
		.amdhsa_float_round_mode_16_64 0
		.amdhsa_float_denorm_mode_32 3
		.amdhsa_float_denorm_mode_16_64 3
		.amdhsa_dx10_clamp 1
		.amdhsa_ieee_mode 1
		.amdhsa_fp16_overflow 0
		.amdhsa_workgroup_processor_mode 1
		.amdhsa_memory_ordered 1
		.amdhsa_forward_progress 1
		.amdhsa_shared_vgpr_count 0
		.amdhsa_exception_fp_ieee_invalid_op 0
		.amdhsa_exception_fp_denorm_src 0
		.amdhsa_exception_fp_ieee_div_zero 0
		.amdhsa_exception_fp_ieee_overflow 0
		.amdhsa_exception_fp_ieee_underflow 0
		.amdhsa_exception_fp_ieee_inexact 0
		.amdhsa_exception_int_div_zero 0
	.end_amdhsa_kernel
	.section	.text._ZN7rocprim17ROCPRIM_400000_NS6detail17trampoline_kernelINS0_14default_configENS1_38merge_sort_block_merge_config_selectorItNS0_10empty_typeEEEZZNS1_27merge_sort_block_merge_implIS3_N6thrust23THRUST_200600_302600_NS6detail15normal_iteratorINS9_10device_ptrItEEEEPS5_m11less_div_10ItEEE10hipError_tT0_T1_T2_jT3_P12ihipStream_tbPNSt15iterator_traitsISJ_E10value_typeEPNSP_ISK_E10value_typeEPSL_NS1_7vsmem_tEENKUlT_SJ_SK_SL_E_clISE_PtSF_SF_EESI_SY_SJ_SK_SL_EUlSY_E_NS1_11comp_targetILNS1_3genE4ELNS1_11target_archE910ELNS1_3gpuE8ELNS1_3repE0EEENS1_48merge_mergepath_partition_config_static_selectorELNS0_4arch9wavefront6targetE0EEEvSK_,"axG",@progbits,_ZN7rocprim17ROCPRIM_400000_NS6detail17trampoline_kernelINS0_14default_configENS1_38merge_sort_block_merge_config_selectorItNS0_10empty_typeEEEZZNS1_27merge_sort_block_merge_implIS3_N6thrust23THRUST_200600_302600_NS6detail15normal_iteratorINS9_10device_ptrItEEEEPS5_m11less_div_10ItEEE10hipError_tT0_T1_T2_jT3_P12ihipStream_tbPNSt15iterator_traitsISJ_E10value_typeEPNSP_ISK_E10value_typeEPSL_NS1_7vsmem_tEENKUlT_SJ_SK_SL_E_clISE_PtSF_SF_EESI_SY_SJ_SK_SL_EUlSY_E_NS1_11comp_targetILNS1_3genE4ELNS1_11target_archE910ELNS1_3gpuE8ELNS1_3repE0EEENS1_48merge_mergepath_partition_config_static_selectorELNS0_4arch9wavefront6targetE0EEEvSK_,comdat
.Lfunc_end269:
	.size	_ZN7rocprim17ROCPRIM_400000_NS6detail17trampoline_kernelINS0_14default_configENS1_38merge_sort_block_merge_config_selectorItNS0_10empty_typeEEEZZNS1_27merge_sort_block_merge_implIS3_N6thrust23THRUST_200600_302600_NS6detail15normal_iteratorINS9_10device_ptrItEEEEPS5_m11less_div_10ItEEE10hipError_tT0_T1_T2_jT3_P12ihipStream_tbPNSt15iterator_traitsISJ_E10value_typeEPNSP_ISK_E10value_typeEPSL_NS1_7vsmem_tEENKUlT_SJ_SK_SL_E_clISE_PtSF_SF_EESI_SY_SJ_SK_SL_EUlSY_E_NS1_11comp_targetILNS1_3genE4ELNS1_11target_archE910ELNS1_3gpuE8ELNS1_3repE0EEENS1_48merge_mergepath_partition_config_static_selectorELNS0_4arch9wavefront6targetE0EEEvSK_, .Lfunc_end269-_ZN7rocprim17ROCPRIM_400000_NS6detail17trampoline_kernelINS0_14default_configENS1_38merge_sort_block_merge_config_selectorItNS0_10empty_typeEEEZZNS1_27merge_sort_block_merge_implIS3_N6thrust23THRUST_200600_302600_NS6detail15normal_iteratorINS9_10device_ptrItEEEEPS5_m11less_div_10ItEEE10hipError_tT0_T1_T2_jT3_P12ihipStream_tbPNSt15iterator_traitsISJ_E10value_typeEPNSP_ISK_E10value_typeEPSL_NS1_7vsmem_tEENKUlT_SJ_SK_SL_E_clISE_PtSF_SF_EESI_SY_SJ_SK_SL_EUlSY_E_NS1_11comp_targetILNS1_3genE4ELNS1_11target_archE910ELNS1_3gpuE8ELNS1_3repE0EEENS1_48merge_mergepath_partition_config_static_selectorELNS0_4arch9wavefront6targetE0EEEvSK_
                                        ; -- End function
	.set _ZN7rocprim17ROCPRIM_400000_NS6detail17trampoline_kernelINS0_14default_configENS1_38merge_sort_block_merge_config_selectorItNS0_10empty_typeEEEZZNS1_27merge_sort_block_merge_implIS3_N6thrust23THRUST_200600_302600_NS6detail15normal_iteratorINS9_10device_ptrItEEEEPS5_m11less_div_10ItEEE10hipError_tT0_T1_T2_jT3_P12ihipStream_tbPNSt15iterator_traitsISJ_E10value_typeEPNSP_ISK_E10value_typeEPSL_NS1_7vsmem_tEENKUlT_SJ_SK_SL_E_clISE_PtSF_SF_EESI_SY_SJ_SK_SL_EUlSY_E_NS1_11comp_targetILNS1_3genE4ELNS1_11target_archE910ELNS1_3gpuE8ELNS1_3repE0EEENS1_48merge_mergepath_partition_config_static_selectorELNS0_4arch9wavefront6targetE0EEEvSK_.num_vgpr, 0
	.set _ZN7rocprim17ROCPRIM_400000_NS6detail17trampoline_kernelINS0_14default_configENS1_38merge_sort_block_merge_config_selectorItNS0_10empty_typeEEEZZNS1_27merge_sort_block_merge_implIS3_N6thrust23THRUST_200600_302600_NS6detail15normal_iteratorINS9_10device_ptrItEEEEPS5_m11less_div_10ItEEE10hipError_tT0_T1_T2_jT3_P12ihipStream_tbPNSt15iterator_traitsISJ_E10value_typeEPNSP_ISK_E10value_typeEPSL_NS1_7vsmem_tEENKUlT_SJ_SK_SL_E_clISE_PtSF_SF_EESI_SY_SJ_SK_SL_EUlSY_E_NS1_11comp_targetILNS1_3genE4ELNS1_11target_archE910ELNS1_3gpuE8ELNS1_3repE0EEENS1_48merge_mergepath_partition_config_static_selectorELNS0_4arch9wavefront6targetE0EEEvSK_.num_agpr, 0
	.set _ZN7rocprim17ROCPRIM_400000_NS6detail17trampoline_kernelINS0_14default_configENS1_38merge_sort_block_merge_config_selectorItNS0_10empty_typeEEEZZNS1_27merge_sort_block_merge_implIS3_N6thrust23THRUST_200600_302600_NS6detail15normal_iteratorINS9_10device_ptrItEEEEPS5_m11less_div_10ItEEE10hipError_tT0_T1_T2_jT3_P12ihipStream_tbPNSt15iterator_traitsISJ_E10value_typeEPNSP_ISK_E10value_typeEPSL_NS1_7vsmem_tEENKUlT_SJ_SK_SL_E_clISE_PtSF_SF_EESI_SY_SJ_SK_SL_EUlSY_E_NS1_11comp_targetILNS1_3genE4ELNS1_11target_archE910ELNS1_3gpuE8ELNS1_3repE0EEENS1_48merge_mergepath_partition_config_static_selectorELNS0_4arch9wavefront6targetE0EEEvSK_.numbered_sgpr, 0
	.set _ZN7rocprim17ROCPRIM_400000_NS6detail17trampoline_kernelINS0_14default_configENS1_38merge_sort_block_merge_config_selectorItNS0_10empty_typeEEEZZNS1_27merge_sort_block_merge_implIS3_N6thrust23THRUST_200600_302600_NS6detail15normal_iteratorINS9_10device_ptrItEEEEPS5_m11less_div_10ItEEE10hipError_tT0_T1_T2_jT3_P12ihipStream_tbPNSt15iterator_traitsISJ_E10value_typeEPNSP_ISK_E10value_typeEPSL_NS1_7vsmem_tEENKUlT_SJ_SK_SL_E_clISE_PtSF_SF_EESI_SY_SJ_SK_SL_EUlSY_E_NS1_11comp_targetILNS1_3genE4ELNS1_11target_archE910ELNS1_3gpuE8ELNS1_3repE0EEENS1_48merge_mergepath_partition_config_static_selectorELNS0_4arch9wavefront6targetE0EEEvSK_.num_named_barrier, 0
	.set _ZN7rocprim17ROCPRIM_400000_NS6detail17trampoline_kernelINS0_14default_configENS1_38merge_sort_block_merge_config_selectorItNS0_10empty_typeEEEZZNS1_27merge_sort_block_merge_implIS3_N6thrust23THRUST_200600_302600_NS6detail15normal_iteratorINS9_10device_ptrItEEEEPS5_m11less_div_10ItEEE10hipError_tT0_T1_T2_jT3_P12ihipStream_tbPNSt15iterator_traitsISJ_E10value_typeEPNSP_ISK_E10value_typeEPSL_NS1_7vsmem_tEENKUlT_SJ_SK_SL_E_clISE_PtSF_SF_EESI_SY_SJ_SK_SL_EUlSY_E_NS1_11comp_targetILNS1_3genE4ELNS1_11target_archE910ELNS1_3gpuE8ELNS1_3repE0EEENS1_48merge_mergepath_partition_config_static_selectorELNS0_4arch9wavefront6targetE0EEEvSK_.private_seg_size, 0
	.set _ZN7rocprim17ROCPRIM_400000_NS6detail17trampoline_kernelINS0_14default_configENS1_38merge_sort_block_merge_config_selectorItNS0_10empty_typeEEEZZNS1_27merge_sort_block_merge_implIS3_N6thrust23THRUST_200600_302600_NS6detail15normal_iteratorINS9_10device_ptrItEEEEPS5_m11less_div_10ItEEE10hipError_tT0_T1_T2_jT3_P12ihipStream_tbPNSt15iterator_traitsISJ_E10value_typeEPNSP_ISK_E10value_typeEPSL_NS1_7vsmem_tEENKUlT_SJ_SK_SL_E_clISE_PtSF_SF_EESI_SY_SJ_SK_SL_EUlSY_E_NS1_11comp_targetILNS1_3genE4ELNS1_11target_archE910ELNS1_3gpuE8ELNS1_3repE0EEENS1_48merge_mergepath_partition_config_static_selectorELNS0_4arch9wavefront6targetE0EEEvSK_.uses_vcc, 0
	.set _ZN7rocprim17ROCPRIM_400000_NS6detail17trampoline_kernelINS0_14default_configENS1_38merge_sort_block_merge_config_selectorItNS0_10empty_typeEEEZZNS1_27merge_sort_block_merge_implIS3_N6thrust23THRUST_200600_302600_NS6detail15normal_iteratorINS9_10device_ptrItEEEEPS5_m11less_div_10ItEEE10hipError_tT0_T1_T2_jT3_P12ihipStream_tbPNSt15iterator_traitsISJ_E10value_typeEPNSP_ISK_E10value_typeEPSL_NS1_7vsmem_tEENKUlT_SJ_SK_SL_E_clISE_PtSF_SF_EESI_SY_SJ_SK_SL_EUlSY_E_NS1_11comp_targetILNS1_3genE4ELNS1_11target_archE910ELNS1_3gpuE8ELNS1_3repE0EEENS1_48merge_mergepath_partition_config_static_selectorELNS0_4arch9wavefront6targetE0EEEvSK_.uses_flat_scratch, 0
	.set _ZN7rocprim17ROCPRIM_400000_NS6detail17trampoline_kernelINS0_14default_configENS1_38merge_sort_block_merge_config_selectorItNS0_10empty_typeEEEZZNS1_27merge_sort_block_merge_implIS3_N6thrust23THRUST_200600_302600_NS6detail15normal_iteratorINS9_10device_ptrItEEEEPS5_m11less_div_10ItEEE10hipError_tT0_T1_T2_jT3_P12ihipStream_tbPNSt15iterator_traitsISJ_E10value_typeEPNSP_ISK_E10value_typeEPSL_NS1_7vsmem_tEENKUlT_SJ_SK_SL_E_clISE_PtSF_SF_EESI_SY_SJ_SK_SL_EUlSY_E_NS1_11comp_targetILNS1_3genE4ELNS1_11target_archE910ELNS1_3gpuE8ELNS1_3repE0EEENS1_48merge_mergepath_partition_config_static_selectorELNS0_4arch9wavefront6targetE0EEEvSK_.has_dyn_sized_stack, 0
	.set _ZN7rocprim17ROCPRIM_400000_NS6detail17trampoline_kernelINS0_14default_configENS1_38merge_sort_block_merge_config_selectorItNS0_10empty_typeEEEZZNS1_27merge_sort_block_merge_implIS3_N6thrust23THRUST_200600_302600_NS6detail15normal_iteratorINS9_10device_ptrItEEEEPS5_m11less_div_10ItEEE10hipError_tT0_T1_T2_jT3_P12ihipStream_tbPNSt15iterator_traitsISJ_E10value_typeEPNSP_ISK_E10value_typeEPSL_NS1_7vsmem_tEENKUlT_SJ_SK_SL_E_clISE_PtSF_SF_EESI_SY_SJ_SK_SL_EUlSY_E_NS1_11comp_targetILNS1_3genE4ELNS1_11target_archE910ELNS1_3gpuE8ELNS1_3repE0EEENS1_48merge_mergepath_partition_config_static_selectorELNS0_4arch9wavefront6targetE0EEEvSK_.has_recursion, 0
	.set _ZN7rocprim17ROCPRIM_400000_NS6detail17trampoline_kernelINS0_14default_configENS1_38merge_sort_block_merge_config_selectorItNS0_10empty_typeEEEZZNS1_27merge_sort_block_merge_implIS3_N6thrust23THRUST_200600_302600_NS6detail15normal_iteratorINS9_10device_ptrItEEEEPS5_m11less_div_10ItEEE10hipError_tT0_T1_T2_jT3_P12ihipStream_tbPNSt15iterator_traitsISJ_E10value_typeEPNSP_ISK_E10value_typeEPSL_NS1_7vsmem_tEENKUlT_SJ_SK_SL_E_clISE_PtSF_SF_EESI_SY_SJ_SK_SL_EUlSY_E_NS1_11comp_targetILNS1_3genE4ELNS1_11target_archE910ELNS1_3gpuE8ELNS1_3repE0EEENS1_48merge_mergepath_partition_config_static_selectorELNS0_4arch9wavefront6targetE0EEEvSK_.has_indirect_call, 0
	.section	.AMDGPU.csdata,"",@progbits
; Kernel info:
; codeLenInByte = 0
; TotalNumSgprs: 0
; NumVgprs: 0
; ScratchSize: 0
; MemoryBound: 0
; FloatMode: 240
; IeeeMode: 1
; LDSByteSize: 0 bytes/workgroup (compile time only)
; SGPRBlocks: 0
; VGPRBlocks: 0
; NumSGPRsForWavesPerEU: 1
; NumVGPRsForWavesPerEU: 1
; Occupancy: 16
; WaveLimiterHint : 0
; COMPUTE_PGM_RSRC2:SCRATCH_EN: 0
; COMPUTE_PGM_RSRC2:USER_SGPR: 6
; COMPUTE_PGM_RSRC2:TRAP_HANDLER: 0
; COMPUTE_PGM_RSRC2:TGID_X_EN: 1
; COMPUTE_PGM_RSRC2:TGID_Y_EN: 0
; COMPUTE_PGM_RSRC2:TGID_Z_EN: 0
; COMPUTE_PGM_RSRC2:TIDIG_COMP_CNT: 0
	.section	.text._ZN7rocprim17ROCPRIM_400000_NS6detail17trampoline_kernelINS0_14default_configENS1_38merge_sort_block_merge_config_selectorItNS0_10empty_typeEEEZZNS1_27merge_sort_block_merge_implIS3_N6thrust23THRUST_200600_302600_NS6detail15normal_iteratorINS9_10device_ptrItEEEEPS5_m11less_div_10ItEEE10hipError_tT0_T1_T2_jT3_P12ihipStream_tbPNSt15iterator_traitsISJ_E10value_typeEPNSP_ISK_E10value_typeEPSL_NS1_7vsmem_tEENKUlT_SJ_SK_SL_E_clISE_PtSF_SF_EESI_SY_SJ_SK_SL_EUlSY_E_NS1_11comp_targetILNS1_3genE3ELNS1_11target_archE908ELNS1_3gpuE7ELNS1_3repE0EEENS1_48merge_mergepath_partition_config_static_selectorELNS0_4arch9wavefront6targetE0EEEvSK_,"axG",@progbits,_ZN7rocprim17ROCPRIM_400000_NS6detail17trampoline_kernelINS0_14default_configENS1_38merge_sort_block_merge_config_selectorItNS0_10empty_typeEEEZZNS1_27merge_sort_block_merge_implIS3_N6thrust23THRUST_200600_302600_NS6detail15normal_iteratorINS9_10device_ptrItEEEEPS5_m11less_div_10ItEEE10hipError_tT0_T1_T2_jT3_P12ihipStream_tbPNSt15iterator_traitsISJ_E10value_typeEPNSP_ISK_E10value_typeEPSL_NS1_7vsmem_tEENKUlT_SJ_SK_SL_E_clISE_PtSF_SF_EESI_SY_SJ_SK_SL_EUlSY_E_NS1_11comp_targetILNS1_3genE3ELNS1_11target_archE908ELNS1_3gpuE7ELNS1_3repE0EEENS1_48merge_mergepath_partition_config_static_selectorELNS0_4arch9wavefront6targetE0EEEvSK_,comdat
	.protected	_ZN7rocprim17ROCPRIM_400000_NS6detail17trampoline_kernelINS0_14default_configENS1_38merge_sort_block_merge_config_selectorItNS0_10empty_typeEEEZZNS1_27merge_sort_block_merge_implIS3_N6thrust23THRUST_200600_302600_NS6detail15normal_iteratorINS9_10device_ptrItEEEEPS5_m11less_div_10ItEEE10hipError_tT0_T1_T2_jT3_P12ihipStream_tbPNSt15iterator_traitsISJ_E10value_typeEPNSP_ISK_E10value_typeEPSL_NS1_7vsmem_tEENKUlT_SJ_SK_SL_E_clISE_PtSF_SF_EESI_SY_SJ_SK_SL_EUlSY_E_NS1_11comp_targetILNS1_3genE3ELNS1_11target_archE908ELNS1_3gpuE7ELNS1_3repE0EEENS1_48merge_mergepath_partition_config_static_selectorELNS0_4arch9wavefront6targetE0EEEvSK_ ; -- Begin function _ZN7rocprim17ROCPRIM_400000_NS6detail17trampoline_kernelINS0_14default_configENS1_38merge_sort_block_merge_config_selectorItNS0_10empty_typeEEEZZNS1_27merge_sort_block_merge_implIS3_N6thrust23THRUST_200600_302600_NS6detail15normal_iteratorINS9_10device_ptrItEEEEPS5_m11less_div_10ItEEE10hipError_tT0_T1_T2_jT3_P12ihipStream_tbPNSt15iterator_traitsISJ_E10value_typeEPNSP_ISK_E10value_typeEPSL_NS1_7vsmem_tEENKUlT_SJ_SK_SL_E_clISE_PtSF_SF_EESI_SY_SJ_SK_SL_EUlSY_E_NS1_11comp_targetILNS1_3genE3ELNS1_11target_archE908ELNS1_3gpuE7ELNS1_3repE0EEENS1_48merge_mergepath_partition_config_static_selectorELNS0_4arch9wavefront6targetE0EEEvSK_
	.globl	_ZN7rocprim17ROCPRIM_400000_NS6detail17trampoline_kernelINS0_14default_configENS1_38merge_sort_block_merge_config_selectorItNS0_10empty_typeEEEZZNS1_27merge_sort_block_merge_implIS3_N6thrust23THRUST_200600_302600_NS6detail15normal_iteratorINS9_10device_ptrItEEEEPS5_m11less_div_10ItEEE10hipError_tT0_T1_T2_jT3_P12ihipStream_tbPNSt15iterator_traitsISJ_E10value_typeEPNSP_ISK_E10value_typeEPSL_NS1_7vsmem_tEENKUlT_SJ_SK_SL_E_clISE_PtSF_SF_EESI_SY_SJ_SK_SL_EUlSY_E_NS1_11comp_targetILNS1_3genE3ELNS1_11target_archE908ELNS1_3gpuE7ELNS1_3repE0EEENS1_48merge_mergepath_partition_config_static_selectorELNS0_4arch9wavefront6targetE0EEEvSK_
	.p2align	8
	.type	_ZN7rocprim17ROCPRIM_400000_NS6detail17trampoline_kernelINS0_14default_configENS1_38merge_sort_block_merge_config_selectorItNS0_10empty_typeEEEZZNS1_27merge_sort_block_merge_implIS3_N6thrust23THRUST_200600_302600_NS6detail15normal_iteratorINS9_10device_ptrItEEEEPS5_m11less_div_10ItEEE10hipError_tT0_T1_T2_jT3_P12ihipStream_tbPNSt15iterator_traitsISJ_E10value_typeEPNSP_ISK_E10value_typeEPSL_NS1_7vsmem_tEENKUlT_SJ_SK_SL_E_clISE_PtSF_SF_EESI_SY_SJ_SK_SL_EUlSY_E_NS1_11comp_targetILNS1_3genE3ELNS1_11target_archE908ELNS1_3gpuE7ELNS1_3repE0EEENS1_48merge_mergepath_partition_config_static_selectorELNS0_4arch9wavefront6targetE0EEEvSK_,@function
_ZN7rocprim17ROCPRIM_400000_NS6detail17trampoline_kernelINS0_14default_configENS1_38merge_sort_block_merge_config_selectorItNS0_10empty_typeEEEZZNS1_27merge_sort_block_merge_implIS3_N6thrust23THRUST_200600_302600_NS6detail15normal_iteratorINS9_10device_ptrItEEEEPS5_m11less_div_10ItEEE10hipError_tT0_T1_T2_jT3_P12ihipStream_tbPNSt15iterator_traitsISJ_E10value_typeEPNSP_ISK_E10value_typeEPSL_NS1_7vsmem_tEENKUlT_SJ_SK_SL_E_clISE_PtSF_SF_EESI_SY_SJ_SK_SL_EUlSY_E_NS1_11comp_targetILNS1_3genE3ELNS1_11target_archE908ELNS1_3gpuE7ELNS1_3repE0EEENS1_48merge_mergepath_partition_config_static_selectorELNS0_4arch9wavefront6targetE0EEEvSK_: ; @_ZN7rocprim17ROCPRIM_400000_NS6detail17trampoline_kernelINS0_14default_configENS1_38merge_sort_block_merge_config_selectorItNS0_10empty_typeEEEZZNS1_27merge_sort_block_merge_implIS3_N6thrust23THRUST_200600_302600_NS6detail15normal_iteratorINS9_10device_ptrItEEEEPS5_m11less_div_10ItEEE10hipError_tT0_T1_T2_jT3_P12ihipStream_tbPNSt15iterator_traitsISJ_E10value_typeEPNSP_ISK_E10value_typeEPSL_NS1_7vsmem_tEENKUlT_SJ_SK_SL_E_clISE_PtSF_SF_EESI_SY_SJ_SK_SL_EUlSY_E_NS1_11comp_targetILNS1_3genE3ELNS1_11target_archE908ELNS1_3gpuE7ELNS1_3repE0EEENS1_48merge_mergepath_partition_config_static_selectorELNS0_4arch9wavefront6targetE0EEEvSK_
; %bb.0:
	.section	.rodata,"a",@progbits
	.p2align	6, 0x0
	.amdhsa_kernel _ZN7rocprim17ROCPRIM_400000_NS6detail17trampoline_kernelINS0_14default_configENS1_38merge_sort_block_merge_config_selectorItNS0_10empty_typeEEEZZNS1_27merge_sort_block_merge_implIS3_N6thrust23THRUST_200600_302600_NS6detail15normal_iteratorINS9_10device_ptrItEEEEPS5_m11less_div_10ItEEE10hipError_tT0_T1_T2_jT3_P12ihipStream_tbPNSt15iterator_traitsISJ_E10value_typeEPNSP_ISK_E10value_typeEPSL_NS1_7vsmem_tEENKUlT_SJ_SK_SL_E_clISE_PtSF_SF_EESI_SY_SJ_SK_SL_EUlSY_E_NS1_11comp_targetILNS1_3genE3ELNS1_11target_archE908ELNS1_3gpuE7ELNS1_3repE0EEENS1_48merge_mergepath_partition_config_static_selectorELNS0_4arch9wavefront6targetE0EEEvSK_
		.amdhsa_group_segment_fixed_size 0
		.amdhsa_private_segment_fixed_size 0
		.amdhsa_kernarg_size 48
		.amdhsa_user_sgpr_count 6
		.amdhsa_user_sgpr_private_segment_buffer 1
		.amdhsa_user_sgpr_dispatch_ptr 0
		.amdhsa_user_sgpr_queue_ptr 0
		.amdhsa_user_sgpr_kernarg_segment_ptr 1
		.amdhsa_user_sgpr_dispatch_id 0
		.amdhsa_user_sgpr_flat_scratch_init 0
		.amdhsa_user_sgpr_private_segment_size 0
		.amdhsa_wavefront_size32 1
		.amdhsa_uses_dynamic_stack 0
		.amdhsa_system_sgpr_private_segment_wavefront_offset 0
		.amdhsa_system_sgpr_workgroup_id_x 1
		.amdhsa_system_sgpr_workgroup_id_y 0
		.amdhsa_system_sgpr_workgroup_id_z 0
		.amdhsa_system_sgpr_workgroup_info 0
		.amdhsa_system_vgpr_workitem_id 0
		.amdhsa_next_free_vgpr 1
		.amdhsa_next_free_sgpr 1
		.amdhsa_reserve_vcc 0
		.amdhsa_reserve_flat_scratch 0
		.amdhsa_float_round_mode_32 0
		.amdhsa_float_round_mode_16_64 0
		.amdhsa_float_denorm_mode_32 3
		.amdhsa_float_denorm_mode_16_64 3
		.amdhsa_dx10_clamp 1
		.amdhsa_ieee_mode 1
		.amdhsa_fp16_overflow 0
		.amdhsa_workgroup_processor_mode 1
		.amdhsa_memory_ordered 1
		.amdhsa_forward_progress 1
		.amdhsa_shared_vgpr_count 0
		.amdhsa_exception_fp_ieee_invalid_op 0
		.amdhsa_exception_fp_denorm_src 0
		.amdhsa_exception_fp_ieee_div_zero 0
		.amdhsa_exception_fp_ieee_overflow 0
		.amdhsa_exception_fp_ieee_underflow 0
		.amdhsa_exception_fp_ieee_inexact 0
		.amdhsa_exception_int_div_zero 0
	.end_amdhsa_kernel
	.section	.text._ZN7rocprim17ROCPRIM_400000_NS6detail17trampoline_kernelINS0_14default_configENS1_38merge_sort_block_merge_config_selectorItNS0_10empty_typeEEEZZNS1_27merge_sort_block_merge_implIS3_N6thrust23THRUST_200600_302600_NS6detail15normal_iteratorINS9_10device_ptrItEEEEPS5_m11less_div_10ItEEE10hipError_tT0_T1_T2_jT3_P12ihipStream_tbPNSt15iterator_traitsISJ_E10value_typeEPNSP_ISK_E10value_typeEPSL_NS1_7vsmem_tEENKUlT_SJ_SK_SL_E_clISE_PtSF_SF_EESI_SY_SJ_SK_SL_EUlSY_E_NS1_11comp_targetILNS1_3genE3ELNS1_11target_archE908ELNS1_3gpuE7ELNS1_3repE0EEENS1_48merge_mergepath_partition_config_static_selectorELNS0_4arch9wavefront6targetE0EEEvSK_,"axG",@progbits,_ZN7rocprim17ROCPRIM_400000_NS6detail17trampoline_kernelINS0_14default_configENS1_38merge_sort_block_merge_config_selectorItNS0_10empty_typeEEEZZNS1_27merge_sort_block_merge_implIS3_N6thrust23THRUST_200600_302600_NS6detail15normal_iteratorINS9_10device_ptrItEEEEPS5_m11less_div_10ItEEE10hipError_tT0_T1_T2_jT3_P12ihipStream_tbPNSt15iterator_traitsISJ_E10value_typeEPNSP_ISK_E10value_typeEPSL_NS1_7vsmem_tEENKUlT_SJ_SK_SL_E_clISE_PtSF_SF_EESI_SY_SJ_SK_SL_EUlSY_E_NS1_11comp_targetILNS1_3genE3ELNS1_11target_archE908ELNS1_3gpuE7ELNS1_3repE0EEENS1_48merge_mergepath_partition_config_static_selectorELNS0_4arch9wavefront6targetE0EEEvSK_,comdat
.Lfunc_end270:
	.size	_ZN7rocprim17ROCPRIM_400000_NS6detail17trampoline_kernelINS0_14default_configENS1_38merge_sort_block_merge_config_selectorItNS0_10empty_typeEEEZZNS1_27merge_sort_block_merge_implIS3_N6thrust23THRUST_200600_302600_NS6detail15normal_iteratorINS9_10device_ptrItEEEEPS5_m11less_div_10ItEEE10hipError_tT0_T1_T2_jT3_P12ihipStream_tbPNSt15iterator_traitsISJ_E10value_typeEPNSP_ISK_E10value_typeEPSL_NS1_7vsmem_tEENKUlT_SJ_SK_SL_E_clISE_PtSF_SF_EESI_SY_SJ_SK_SL_EUlSY_E_NS1_11comp_targetILNS1_3genE3ELNS1_11target_archE908ELNS1_3gpuE7ELNS1_3repE0EEENS1_48merge_mergepath_partition_config_static_selectorELNS0_4arch9wavefront6targetE0EEEvSK_, .Lfunc_end270-_ZN7rocprim17ROCPRIM_400000_NS6detail17trampoline_kernelINS0_14default_configENS1_38merge_sort_block_merge_config_selectorItNS0_10empty_typeEEEZZNS1_27merge_sort_block_merge_implIS3_N6thrust23THRUST_200600_302600_NS6detail15normal_iteratorINS9_10device_ptrItEEEEPS5_m11less_div_10ItEEE10hipError_tT0_T1_T2_jT3_P12ihipStream_tbPNSt15iterator_traitsISJ_E10value_typeEPNSP_ISK_E10value_typeEPSL_NS1_7vsmem_tEENKUlT_SJ_SK_SL_E_clISE_PtSF_SF_EESI_SY_SJ_SK_SL_EUlSY_E_NS1_11comp_targetILNS1_3genE3ELNS1_11target_archE908ELNS1_3gpuE7ELNS1_3repE0EEENS1_48merge_mergepath_partition_config_static_selectorELNS0_4arch9wavefront6targetE0EEEvSK_
                                        ; -- End function
	.set _ZN7rocprim17ROCPRIM_400000_NS6detail17trampoline_kernelINS0_14default_configENS1_38merge_sort_block_merge_config_selectorItNS0_10empty_typeEEEZZNS1_27merge_sort_block_merge_implIS3_N6thrust23THRUST_200600_302600_NS6detail15normal_iteratorINS9_10device_ptrItEEEEPS5_m11less_div_10ItEEE10hipError_tT0_T1_T2_jT3_P12ihipStream_tbPNSt15iterator_traitsISJ_E10value_typeEPNSP_ISK_E10value_typeEPSL_NS1_7vsmem_tEENKUlT_SJ_SK_SL_E_clISE_PtSF_SF_EESI_SY_SJ_SK_SL_EUlSY_E_NS1_11comp_targetILNS1_3genE3ELNS1_11target_archE908ELNS1_3gpuE7ELNS1_3repE0EEENS1_48merge_mergepath_partition_config_static_selectorELNS0_4arch9wavefront6targetE0EEEvSK_.num_vgpr, 0
	.set _ZN7rocprim17ROCPRIM_400000_NS6detail17trampoline_kernelINS0_14default_configENS1_38merge_sort_block_merge_config_selectorItNS0_10empty_typeEEEZZNS1_27merge_sort_block_merge_implIS3_N6thrust23THRUST_200600_302600_NS6detail15normal_iteratorINS9_10device_ptrItEEEEPS5_m11less_div_10ItEEE10hipError_tT0_T1_T2_jT3_P12ihipStream_tbPNSt15iterator_traitsISJ_E10value_typeEPNSP_ISK_E10value_typeEPSL_NS1_7vsmem_tEENKUlT_SJ_SK_SL_E_clISE_PtSF_SF_EESI_SY_SJ_SK_SL_EUlSY_E_NS1_11comp_targetILNS1_3genE3ELNS1_11target_archE908ELNS1_3gpuE7ELNS1_3repE0EEENS1_48merge_mergepath_partition_config_static_selectorELNS0_4arch9wavefront6targetE0EEEvSK_.num_agpr, 0
	.set _ZN7rocprim17ROCPRIM_400000_NS6detail17trampoline_kernelINS0_14default_configENS1_38merge_sort_block_merge_config_selectorItNS0_10empty_typeEEEZZNS1_27merge_sort_block_merge_implIS3_N6thrust23THRUST_200600_302600_NS6detail15normal_iteratorINS9_10device_ptrItEEEEPS5_m11less_div_10ItEEE10hipError_tT0_T1_T2_jT3_P12ihipStream_tbPNSt15iterator_traitsISJ_E10value_typeEPNSP_ISK_E10value_typeEPSL_NS1_7vsmem_tEENKUlT_SJ_SK_SL_E_clISE_PtSF_SF_EESI_SY_SJ_SK_SL_EUlSY_E_NS1_11comp_targetILNS1_3genE3ELNS1_11target_archE908ELNS1_3gpuE7ELNS1_3repE0EEENS1_48merge_mergepath_partition_config_static_selectorELNS0_4arch9wavefront6targetE0EEEvSK_.numbered_sgpr, 0
	.set _ZN7rocprim17ROCPRIM_400000_NS6detail17trampoline_kernelINS0_14default_configENS1_38merge_sort_block_merge_config_selectorItNS0_10empty_typeEEEZZNS1_27merge_sort_block_merge_implIS3_N6thrust23THRUST_200600_302600_NS6detail15normal_iteratorINS9_10device_ptrItEEEEPS5_m11less_div_10ItEEE10hipError_tT0_T1_T2_jT3_P12ihipStream_tbPNSt15iterator_traitsISJ_E10value_typeEPNSP_ISK_E10value_typeEPSL_NS1_7vsmem_tEENKUlT_SJ_SK_SL_E_clISE_PtSF_SF_EESI_SY_SJ_SK_SL_EUlSY_E_NS1_11comp_targetILNS1_3genE3ELNS1_11target_archE908ELNS1_3gpuE7ELNS1_3repE0EEENS1_48merge_mergepath_partition_config_static_selectorELNS0_4arch9wavefront6targetE0EEEvSK_.num_named_barrier, 0
	.set _ZN7rocprim17ROCPRIM_400000_NS6detail17trampoline_kernelINS0_14default_configENS1_38merge_sort_block_merge_config_selectorItNS0_10empty_typeEEEZZNS1_27merge_sort_block_merge_implIS3_N6thrust23THRUST_200600_302600_NS6detail15normal_iteratorINS9_10device_ptrItEEEEPS5_m11less_div_10ItEEE10hipError_tT0_T1_T2_jT3_P12ihipStream_tbPNSt15iterator_traitsISJ_E10value_typeEPNSP_ISK_E10value_typeEPSL_NS1_7vsmem_tEENKUlT_SJ_SK_SL_E_clISE_PtSF_SF_EESI_SY_SJ_SK_SL_EUlSY_E_NS1_11comp_targetILNS1_3genE3ELNS1_11target_archE908ELNS1_3gpuE7ELNS1_3repE0EEENS1_48merge_mergepath_partition_config_static_selectorELNS0_4arch9wavefront6targetE0EEEvSK_.private_seg_size, 0
	.set _ZN7rocprim17ROCPRIM_400000_NS6detail17trampoline_kernelINS0_14default_configENS1_38merge_sort_block_merge_config_selectorItNS0_10empty_typeEEEZZNS1_27merge_sort_block_merge_implIS3_N6thrust23THRUST_200600_302600_NS6detail15normal_iteratorINS9_10device_ptrItEEEEPS5_m11less_div_10ItEEE10hipError_tT0_T1_T2_jT3_P12ihipStream_tbPNSt15iterator_traitsISJ_E10value_typeEPNSP_ISK_E10value_typeEPSL_NS1_7vsmem_tEENKUlT_SJ_SK_SL_E_clISE_PtSF_SF_EESI_SY_SJ_SK_SL_EUlSY_E_NS1_11comp_targetILNS1_3genE3ELNS1_11target_archE908ELNS1_3gpuE7ELNS1_3repE0EEENS1_48merge_mergepath_partition_config_static_selectorELNS0_4arch9wavefront6targetE0EEEvSK_.uses_vcc, 0
	.set _ZN7rocprim17ROCPRIM_400000_NS6detail17trampoline_kernelINS0_14default_configENS1_38merge_sort_block_merge_config_selectorItNS0_10empty_typeEEEZZNS1_27merge_sort_block_merge_implIS3_N6thrust23THRUST_200600_302600_NS6detail15normal_iteratorINS9_10device_ptrItEEEEPS5_m11less_div_10ItEEE10hipError_tT0_T1_T2_jT3_P12ihipStream_tbPNSt15iterator_traitsISJ_E10value_typeEPNSP_ISK_E10value_typeEPSL_NS1_7vsmem_tEENKUlT_SJ_SK_SL_E_clISE_PtSF_SF_EESI_SY_SJ_SK_SL_EUlSY_E_NS1_11comp_targetILNS1_3genE3ELNS1_11target_archE908ELNS1_3gpuE7ELNS1_3repE0EEENS1_48merge_mergepath_partition_config_static_selectorELNS0_4arch9wavefront6targetE0EEEvSK_.uses_flat_scratch, 0
	.set _ZN7rocprim17ROCPRIM_400000_NS6detail17trampoline_kernelINS0_14default_configENS1_38merge_sort_block_merge_config_selectorItNS0_10empty_typeEEEZZNS1_27merge_sort_block_merge_implIS3_N6thrust23THRUST_200600_302600_NS6detail15normal_iteratorINS9_10device_ptrItEEEEPS5_m11less_div_10ItEEE10hipError_tT0_T1_T2_jT3_P12ihipStream_tbPNSt15iterator_traitsISJ_E10value_typeEPNSP_ISK_E10value_typeEPSL_NS1_7vsmem_tEENKUlT_SJ_SK_SL_E_clISE_PtSF_SF_EESI_SY_SJ_SK_SL_EUlSY_E_NS1_11comp_targetILNS1_3genE3ELNS1_11target_archE908ELNS1_3gpuE7ELNS1_3repE0EEENS1_48merge_mergepath_partition_config_static_selectorELNS0_4arch9wavefront6targetE0EEEvSK_.has_dyn_sized_stack, 0
	.set _ZN7rocprim17ROCPRIM_400000_NS6detail17trampoline_kernelINS0_14default_configENS1_38merge_sort_block_merge_config_selectorItNS0_10empty_typeEEEZZNS1_27merge_sort_block_merge_implIS3_N6thrust23THRUST_200600_302600_NS6detail15normal_iteratorINS9_10device_ptrItEEEEPS5_m11less_div_10ItEEE10hipError_tT0_T1_T2_jT3_P12ihipStream_tbPNSt15iterator_traitsISJ_E10value_typeEPNSP_ISK_E10value_typeEPSL_NS1_7vsmem_tEENKUlT_SJ_SK_SL_E_clISE_PtSF_SF_EESI_SY_SJ_SK_SL_EUlSY_E_NS1_11comp_targetILNS1_3genE3ELNS1_11target_archE908ELNS1_3gpuE7ELNS1_3repE0EEENS1_48merge_mergepath_partition_config_static_selectorELNS0_4arch9wavefront6targetE0EEEvSK_.has_recursion, 0
	.set _ZN7rocprim17ROCPRIM_400000_NS6detail17trampoline_kernelINS0_14default_configENS1_38merge_sort_block_merge_config_selectorItNS0_10empty_typeEEEZZNS1_27merge_sort_block_merge_implIS3_N6thrust23THRUST_200600_302600_NS6detail15normal_iteratorINS9_10device_ptrItEEEEPS5_m11less_div_10ItEEE10hipError_tT0_T1_T2_jT3_P12ihipStream_tbPNSt15iterator_traitsISJ_E10value_typeEPNSP_ISK_E10value_typeEPSL_NS1_7vsmem_tEENKUlT_SJ_SK_SL_E_clISE_PtSF_SF_EESI_SY_SJ_SK_SL_EUlSY_E_NS1_11comp_targetILNS1_3genE3ELNS1_11target_archE908ELNS1_3gpuE7ELNS1_3repE0EEENS1_48merge_mergepath_partition_config_static_selectorELNS0_4arch9wavefront6targetE0EEEvSK_.has_indirect_call, 0
	.section	.AMDGPU.csdata,"",@progbits
; Kernel info:
; codeLenInByte = 0
; TotalNumSgprs: 0
; NumVgprs: 0
; ScratchSize: 0
; MemoryBound: 0
; FloatMode: 240
; IeeeMode: 1
; LDSByteSize: 0 bytes/workgroup (compile time only)
; SGPRBlocks: 0
; VGPRBlocks: 0
; NumSGPRsForWavesPerEU: 1
; NumVGPRsForWavesPerEU: 1
; Occupancy: 16
; WaveLimiterHint : 0
; COMPUTE_PGM_RSRC2:SCRATCH_EN: 0
; COMPUTE_PGM_RSRC2:USER_SGPR: 6
; COMPUTE_PGM_RSRC2:TRAP_HANDLER: 0
; COMPUTE_PGM_RSRC2:TGID_X_EN: 1
; COMPUTE_PGM_RSRC2:TGID_Y_EN: 0
; COMPUTE_PGM_RSRC2:TGID_Z_EN: 0
; COMPUTE_PGM_RSRC2:TIDIG_COMP_CNT: 0
	.section	.text._ZN7rocprim17ROCPRIM_400000_NS6detail17trampoline_kernelINS0_14default_configENS1_38merge_sort_block_merge_config_selectorItNS0_10empty_typeEEEZZNS1_27merge_sort_block_merge_implIS3_N6thrust23THRUST_200600_302600_NS6detail15normal_iteratorINS9_10device_ptrItEEEEPS5_m11less_div_10ItEEE10hipError_tT0_T1_T2_jT3_P12ihipStream_tbPNSt15iterator_traitsISJ_E10value_typeEPNSP_ISK_E10value_typeEPSL_NS1_7vsmem_tEENKUlT_SJ_SK_SL_E_clISE_PtSF_SF_EESI_SY_SJ_SK_SL_EUlSY_E_NS1_11comp_targetILNS1_3genE2ELNS1_11target_archE906ELNS1_3gpuE6ELNS1_3repE0EEENS1_48merge_mergepath_partition_config_static_selectorELNS0_4arch9wavefront6targetE0EEEvSK_,"axG",@progbits,_ZN7rocprim17ROCPRIM_400000_NS6detail17trampoline_kernelINS0_14default_configENS1_38merge_sort_block_merge_config_selectorItNS0_10empty_typeEEEZZNS1_27merge_sort_block_merge_implIS3_N6thrust23THRUST_200600_302600_NS6detail15normal_iteratorINS9_10device_ptrItEEEEPS5_m11less_div_10ItEEE10hipError_tT0_T1_T2_jT3_P12ihipStream_tbPNSt15iterator_traitsISJ_E10value_typeEPNSP_ISK_E10value_typeEPSL_NS1_7vsmem_tEENKUlT_SJ_SK_SL_E_clISE_PtSF_SF_EESI_SY_SJ_SK_SL_EUlSY_E_NS1_11comp_targetILNS1_3genE2ELNS1_11target_archE906ELNS1_3gpuE6ELNS1_3repE0EEENS1_48merge_mergepath_partition_config_static_selectorELNS0_4arch9wavefront6targetE0EEEvSK_,comdat
	.protected	_ZN7rocprim17ROCPRIM_400000_NS6detail17trampoline_kernelINS0_14default_configENS1_38merge_sort_block_merge_config_selectorItNS0_10empty_typeEEEZZNS1_27merge_sort_block_merge_implIS3_N6thrust23THRUST_200600_302600_NS6detail15normal_iteratorINS9_10device_ptrItEEEEPS5_m11less_div_10ItEEE10hipError_tT0_T1_T2_jT3_P12ihipStream_tbPNSt15iterator_traitsISJ_E10value_typeEPNSP_ISK_E10value_typeEPSL_NS1_7vsmem_tEENKUlT_SJ_SK_SL_E_clISE_PtSF_SF_EESI_SY_SJ_SK_SL_EUlSY_E_NS1_11comp_targetILNS1_3genE2ELNS1_11target_archE906ELNS1_3gpuE6ELNS1_3repE0EEENS1_48merge_mergepath_partition_config_static_selectorELNS0_4arch9wavefront6targetE0EEEvSK_ ; -- Begin function _ZN7rocprim17ROCPRIM_400000_NS6detail17trampoline_kernelINS0_14default_configENS1_38merge_sort_block_merge_config_selectorItNS0_10empty_typeEEEZZNS1_27merge_sort_block_merge_implIS3_N6thrust23THRUST_200600_302600_NS6detail15normal_iteratorINS9_10device_ptrItEEEEPS5_m11less_div_10ItEEE10hipError_tT0_T1_T2_jT3_P12ihipStream_tbPNSt15iterator_traitsISJ_E10value_typeEPNSP_ISK_E10value_typeEPSL_NS1_7vsmem_tEENKUlT_SJ_SK_SL_E_clISE_PtSF_SF_EESI_SY_SJ_SK_SL_EUlSY_E_NS1_11comp_targetILNS1_3genE2ELNS1_11target_archE906ELNS1_3gpuE6ELNS1_3repE0EEENS1_48merge_mergepath_partition_config_static_selectorELNS0_4arch9wavefront6targetE0EEEvSK_
	.globl	_ZN7rocprim17ROCPRIM_400000_NS6detail17trampoline_kernelINS0_14default_configENS1_38merge_sort_block_merge_config_selectorItNS0_10empty_typeEEEZZNS1_27merge_sort_block_merge_implIS3_N6thrust23THRUST_200600_302600_NS6detail15normal_iteratorINS9_10device_ptrItEEEEPS5_m11less_div_10ItEEE10hipError_tT0_T1_T2_jT3_P12ihipStream_tbPNSt15iterator_traitsISJ_E10value_typeEPNSP_ISK_E10value_typeEPSL_NS1_7vsmem_tEENKUlT_SJ_SK_SL_E_clISE_PtSF_SF_EESI_SY_SJ_SK_SL_EUlSY_E_NS1_11comp_targetILNS1_3genE2ELNS1_11target_archE906ELNS1_3gpuE6ELNS1_3repE0EEENS1_48merge_mergepath_partition_config_static_selectorELNS0_4arch9wavefront6targetE0EEEvSK_
	.p2align	8
	.type	_ZN7rocprim17ROCPRIM_400000_NS6detail17trampoline_kernelINS0_14default_configENS1_38merge_sort_block_merge_config_selectorItNS0_10empty_typeEEEZZNS1_27merge_sort_block_merge_implIS3_N6thrust23THRUST_200600_302600_NS6detail15normal_iteratorINS9_10device_ptrItEEEEPS5_m11less_div_10ItEEE10hipError_tT0_T1_T2_jT3_P12ihipStream_tbPNSt15iterator_traitsISJ_E10value_typeEPNSP_ISK_E10value_typeEPSL_NS1_7vsmem_tEENKUlT_SJ_SK_SL_E_clISE_PtSF_SF_EESI_SY_SJ_SK_SL_EUlSY_E_NS1_11comp_targetILNS1_3genE2ELNS1_11target_archE906ELNS1_3gpuE6ELNS1_3repE0EEENS1_48merge_mergepath_partition_config_static_selectorELNS0_4arch9wavefront6targetE0EEEvSK_,@function
_ZN7rocprim17ROCPRIM_400000_NS6detail17trampoline_kernelINS0_14default_configENS1_38merge_sort_block_merge_config_selectorItNS0_10empty_typeEEEZZNS1_27merge_sort_block_merge_implIS3_N6thrust23THRUST_200600_302600_NS6detail15normal_iteratorINS9_10device_ptrItEEEEPS5_m11less_div_10ItEEE10hipError_tT0_T1_T2_jT3_P12ihipStream_tbPNSt15iterator_traitsISJ_E10value_typeEPNSP_ISK_E10value_typeEPSL_NS1_7vsmem_tEENKUlT_SJ_SK_SL_E_clISE_PtSF_SF_EESI_SY_SJ_SK_SL_EUlSY_E_NS1_11comp_targetILNS1_3genE2ELNS1_11target_archE906ELNS1_3gpuE6ELNS1_3repE0EEENS1_48merge_mergepath_partition_config_static_selectorELNS0_4arch9wavefront6targetE0EEEvSK_: ; @_ZN7rocprim17ROCPRIM_400000_NS6detail17trampoline_kernelINS0_14default_configENS1_38merge_sort_block_merge_config_selectorItNS0_10empty_typeEEEZZNS1_27merge_sort_block_merge_implIS3_N6thrust23THRUST_200600_302600_NS6detail15normal_iteratorINS9_10device_ptrItEEEEPS5_m11less_div_10ItEEE10hipError_tT0_T1_T2_jT3_P12ihipStream_tbPNSt15iterator_traitsISJ_E10value_typeEPNSP_ISK_E10value_typeEPSL_NS1_7vsmem_tEENKUlT_SJ_SK_SL_E_clISE_PtSF_SF_EESI_SY_SJ_SK_SL_EUlSY_E_NS1_11comp_targetILNS1_3genE2ELNS1_11target_archE906ELNS1_3gpuE6ELNS1_3repE0EEENS1_48merge_mergepath_partition_config_static_selectorELNS0_4arch9wavefront6targetE0EEEvSK_
; %bb.0:
	.section	.rodata,"a",@progbits
	.p2align	6, 0x0
	.amdhsa_kernel _ZN7rocprim17ROCPRIM_400000_NS6detail17trampoline_kernelINS0_14default_configENS1_38merge_sort_block_merge_config_selectorItNS0_10empty_typeEEEZZNS1_27merge_sort_block_merge_implIS3_N6thrust23THRUST_200600_302600_NS6detail15normal_iteratorINS9_10device_ptrItEEEEPS5_m11less_div_10ItEEE10hipError_tT0_T1_T2_jT3_P12ihipStream_tbPNSt15iterator_traitsISJ_E10value_typeEPNSP_ISK_E10value_typeEPSL_NS1_7vsmem_tEENKUlT_SJ_SK_SL_E_clISE_PtSF_SF_EESI_SY_SJ_SK_SL_EUlSY_E_NS1_11comp_targetILNS1_3genE2ELNS1_11target_archE906ELNS1_3gpuE6ELNS1_3repE0EEENS1_48merge_mergepath_partition_config_static_selectorELNS0_4arch9wavefront6targetE0EEEvSK_
		.amdhsa_group_segment_fixed_size 0
		.amdhsa_private_segment_fixed_size 0
		.amdhsa_kernarg_size 48
		.amdhsa_user_sgpr_count 6
		.amdhsa_user_sgpr_private_segment_buffer 1
		.amdhsa_user_sgpr_dispatch_ptr 0
		.amdhsa_user_sgpr_queue_ptr 0
		.amdhsa_user_sgpr_kernarg_segment_ptr 1
		.amdhsa_user_sgpr_dispatch_id 0
		.amdhsa_user_sgpr_flat_scratch_init 0
		.amdhsa_user_sgpr_private_segment_size 0
		.amdhsa_wavefront_size32 1
		.amdhsa_uses_dynamic_stack 0
		.amdhsa_system_sgpr_private_segment_wavefront_offset 0
		.amdhsa_system_sgpr_workgroup_id_x 1
		.amdhsa_system_sgpr_workgroup_id_y 0
		.amdhsa_system_sgpr_workgroup_id_z 0
		.amdhsa_system_sgpr_workgroup_info 0
		.amdhsa_system_vgpr_workitem_id 0
		.amdhsa_next_free_vgpr 1
		.amdhsa_next_free_sgpr 1
		.amdhsa_reserve_vcc 0
		.amdhsa_reserve_flat_scratch 0
		.amdhsa_float_round_mode_32 0
		.amdhsa_float_round_mode_16_64 0
		.amdhsa_float_denorm_mode_32 3
		.amdhsa_float_denorm_mode_16_64 3
		.amdhsa_dx10_clamp 1
		.amdhsa_ieee_mode 1
		.amdhsa_fp16_overflow 0
		.amdhsa_workgroup_processor_mode 1
		.amdhsa_memory_ordered 1
		.amdhsa_forward_progress 1
		.amdhsa_shared_vgpr_count 0
		.amdhsa_exception_fp_ieee_invalid_op 0
		.amdhsa_exception_fp_denorm_src 0
		.amdhsa_exception_fp_ieee_div_zero 0
		.amdhsa_exception_fp_ieee_overflow 0
		.amdhsa_exception_fp_ieee_underflow 0
		.amdhsa_exception_fp_ieee_inexact 0
		.amdhsa_exception_int_div_zero 0
	.end_amdhsa_kernel
	.section	.text._ZN7rocprim17ROCPRIM_400000_NS6detail17trampoline_kernelINS0_14default_configENS1_38merge_sort_block_merge_config_selectorItNS0_10empty_typeEEEZZNS1_27merge_sort_block_merge_implIS3_N6thrust23THRUST_200600_302600_NS6detail15normal_iteratorINS9_10device_ptrItEEEEPS5_m11less_div_10ItEEE10hipError_tT0_T1_T2_jT3_P12ihipStream_tbPNSt15iterator_traitsISJ_E10value_typeEPNSP_ISK_E10value_typeEPSL_NS1_7vsmem_tEENKUlT_SJ_SK_SL_E_clISE_PtSF_SF_EESI_SY_SJ_SK_SL_EUlSY_E_NS1_11comp_targetILNS1_3genE2ELNS1_11target_archE906ELNS1_3gpuE6ELNS1_3repE0EEENS1_48merge_mergepath_partition_config_static_selectorELNS0_4arch9wavefront6targetE0EEEvSK_,"axG",@progbits,_ZN7rocprim17ROCPRIM_400000_NS6detail17trampoline_kernelINS0_14default_configENS1_38merge_sort_block_merge_config_selectorItNS0_10empty_typeEEEZZNS1_27merge_sort_block_merge_implIS3_N6thrust23THRUST_200600_302600_NS6detail15normal_iteratorINS9_10device_ptrItEEEEPS5_m11less_div_10ItEEE10hipError_tT0_T1_T2_jT3_P12ihipStream_tbPNSt15iterator_traitsISJ_E10value_typeEPNSP_ISK_E10value_typeEPSL_NS1_7vsmem_tEENKUlT_SJ_SK_SL_E_clISE_PtSF_SF_EESI_SY_SJ_SK_SL_EUlSY_E_NS1_11comp_targetILNS1_3genE2ELNS1_11target_archE906ELNS1_3gpuE6ELNS1_3repE0EEENS1_48merge_mergepath_partition_config_static_selectorELNS0_4arch9wavefront6targetE0EEEvSK_,comdat
.Lfunc_end271:
	.size	_ZN7rocprim17ROCPRIM_400000_NS6detail17trampoline_kernelINS0_14default_configENS1_38merge_sort_block_merge_config_selectorItNS0_10empty_typeEEEZZNS1_27merge_sort_block_merge_implIS3_N6thrust23THRUST_200600_302600_NS6detail15normal_iteratorINS9_10device_ptrItEEEEPS5_m11less_div_10ItEEE10hipError_tT0_T1_T2_jT3_P12ihipStream_tbPNSt15iterator_traitsISJ_E10value_typeEPNSP_ISK_E10value_typeEPSL_NS1_7vsmem_tEENKUlT_SJ_SK_SL_E_clISE_PtSF_SF_EESI_SY_SJ_SK_SL_EUlSY_E_NS1_11comp_targetILNS1_3genE2ELNS1_11target_archE906ELNS1_3gpuE6ELNS1_3repE0EEENS1_48merge_mergepath_partition_config_static_selectorELNS0_4arch9wavefront6targetE0EEEvSK_, .Lfunc_end271-_ZN7rocprim17ROCPRIM_400000_NS6detail17trampoline_kernelINS0_14default_configENS1_38merge_sort_block_merge_config_selectorItNS0_10empty_typeEEEZZNS1_27merge_sort_block_merge_implIS3_N6thrust23THRUST_200600_302600_NS6detail15normal_iteratorINS9_10device_ptrItEEEEPS5_m11less_div_10ItEEE10hipError_tT0_T1_T2_jT3_P12ihipStream_tbPNSt15iterator_traitsISJ_E10value_typeEPNSP_ISK_E10value_typeEPSL_NS1_7vsmem_tEENKUlT_SJ_SK_SL_E_clISE_PtSF_SF_EESI_SY_SJ_SK_SL_EUlSY_E_NS1_11comp_targetILNS1_3genE2ELNS1_11target_archE906ELNS1_3gpuE6ELNS1_3repE0EEENS1_48merge_mergepath_partition_config_static_selectorELNS0_4arch9wavefront6targetE0EEEvSK_
                                        ; -- End function
	.set _ZN7rocprim17ROCPRIM_400000_NS6detail17trampoline_kernelINS0_14default_configENS1_38merge_sort_block_merge_config_selectorItNS0_10empty_typeEEEZZNS1_27merge_sort_block_merge_implIS3_N6thrust23THRUST_200600_302600_NS6detail15normal_iteratorINS9_10device_ptrItEEEEPS5_m11less_div_10ItEEE10hipError_tT0_T1_T2_jT3_P12ihipStream_tbPNSt15iterator_traitsISJ_E10value_typeEPNSP_ISK_E10value_typeEPSL_NS1_7vsmem_tEENKUlT_SJ_SK_SL_E_clISE_PtSF_SF_EESI_SY_SJ_SK_SL_EUlSY_E_NS1_11comp_targetILNS1_3genE2ELNS1_11target_archE906ELNS1_3gpuE6ELNS1_3repE0EEENS1_48merge_mergepath_partition_config_static_selectorELNS0_4arch9wavefront6targetE0EEEvSK_.num_vgpr, 0
	.set _ZN7rocprim17ROCPRIM_400000_NS6detail17trampoline_kernelINS0_14default_configENS1_38merge_sort_block_merge_config_selectorItNS0_10empty_typeEEEZZNS1_27merge_sort_block_merge_implIS3_N6thrust23THRUST_200600_302600_NS6detail15normal_iteratorINS9_10device_ptrItEEEEPS5_m11less_div_10ItEEE10hipError_tT0_T1_T2_jT3_P12ihipStream_tbPNSt15iterator_traitsISJ_E10value_typeEPNSP_ISK_E10value_typeEPSL_NS1_7vsmem_tEENKUlT_SJ_SK_SL_E_clISE_PtSF_SF_EESI_SY_SJ_SK_SL_EUlSY_E_NS1_11comp_targetILNS1_3genE2ELNS1_11target_archE906ELNS1_3gpuE6ELNS1_3repE0EEENS1_48merge_mergepath_partition_config_static_selectorELNS0_4arch9wavefront6targetE0EEEvSK_.num_agpr, 0
	.set _ZN7rocprim17ROCPRIM_400000_NS6detail17trampoline_kernelINS0_14default_configENS1_38merge_sort_block_merge_config_selectorItNS0_10empty_typeEEEZZNS1_27merge_sort_block_merge_implIS3_N6thrust23THRUST_200600_302600_NS6detail15normal_iteratorINS9_10device_ptrItEEEEPS5_m11less_div_10ItEEE10hipError_tT0_T1_T2_jT3_P12ihipStream_tbPNSt15iterator_traitsISJ_E10value_typeEPNSP_ISK_E10value_typeEPSL_NS1_7vsmem_tEENKUlT_SJ_SK_SL_E_clISE_PtSF_SF_EESI_SY_SJ_SK_SL_EUlSY_E_NS1_11comp_targetILNS1_3genE2ELNS1_11target_archE906ELNS1_3gpuE6ELNS1_3repE0EEENS1_48merge_mergepath_partition_config_static_selectorELNS0_4arch9wavefront6targetE0EEEvSK_.numbered_sgpr, 0
	.set _ZN7rocprim17ROCPRIM_400000_NS6detail17trampoline_kernelINS0_14default_configENS1_38merge_sort_block_merge_config_selectorItNS0_10empty_typeEEEZZNS1_27merge_sort_block_merge_implIS3_N6thrust23THRUST_200600_302600_NS6detail15normal_iteratorINS9_10device_ptrItEEEEPS5_m11less_div_10ItEEE10hipError_tT0_T1_T2_jT3_P12ihipStream_tbPNSt15iterator_traitsISJ_E10value_typeEPNSP_ISK_E10value_typeEPSL_NS1_7vsmem_tEENKUlT_SJ_SK_SL_E_clISE_PtSF_SF_EESI_SY_SJ_SK_SL_EUlSY_E_NS1_11comp_targetILNS1_3genE2ELNS1_11target_archE906ELNS1_3gpuE6ELNS1_3repE0EEENS1_48merge_mergepath_partition_config_static_selectorELNS0_4arch9wavefront6targetE0EEEvSK_.num_named_barrier, 0
	.set _ZN7rocprim17ROCPRIM_400000_NS6detail17trampoline_kernelINS0_14default_configENS1_38merge_sort_block_merge_config_selectorItNS0_10empty_typeEEEZZNS1_27merge_sort_block_merge_implIS3_N6thrust23THRUST_200600_302600_NS6detail15normal_iteratorINS9_10device_ptrItEEEEPS5_m11less_div_10ItEEE10hipError_tT0_T1_T2_jT3_P12ihipStream_tbPNSt15iterator_traitsISJ_E10value_typeEPNSP_ISK_E10value_typeEPSL_NS1_7vsmem_tEENKUlT_SJ_SK_SL_E_clISE_PtSF_SF_EESI_SY_SJ_SK_SL_EUlSY_E_NS1_11comp_targetILNS1_3genE2ELNS1_11target_archE906ELNS1_3gpuE6ELNS1_3repE0EEENS1_48merge_mergepath_partition_config_static_selectorELNS0_4arch9wavefront6targetE0EEEvSK_.private_seg_size, 0
	.set _ZN7rocprim17ROCPRIM_400000_NS6detail17trampoline_kernelINS0_14default_configENS1_38merge_sort_block_merge_config_selectorItNS0_10empty_typeEEEZZNS1_27merge_sort_block_merge_implIS3_N6thrust23THRUST_200600_302600_NS6detail15normal_iteratorINS9_10device_ptrItEEEEPS5_m11less_div_10ItEEE10hipError_tT0_T1_T2_jT3_P12ihipStream_tbPNSt15iterator_traitsISJ_E10value_typeEPNSP_ISK_E10value_typeEPSL_NS1_7vsmem_tEENKUlT_SJ_SK_SL_E_clISE_PtSF_SF_EESI_SY_SJ_SK_SL_EUlSY_E_NS1_11comp_targetILNS1_3genE2ELNS1_11target_archE906ELNS1_3gpuE6ELNS1_3repE0EEENS1_48merge_mergepath_partition_config_static_selectorELNS0_4arch9wavefront6targetE0EEEvSK_.uses_vcc, 0
	.set _ZN7rocprim17ROCPRIM_400000_NS6detail17trampoline_kernelINS0_14default_configENS1_38merge_sort_block_merge_config_selectorItNS0_10empty_typeEEEZZNS1_27merge_sort_block_merge_implIS3_N6thrust23THRUST_200600_302600_NS6detail15normal_iteratorINS9_10device_ptrItEEEEPS5_m11less_div_10ItEEE10hipError_tT0_T1_T2_jT3_P12ihipStream_tbPNSt15iterator_traitsISJ_E10value_typeEPNSP_ISK_E10value_typeEPSL_NS1_7vsmem_tEENKUlT_SJ_SK_SL_E_clISE_PtSF_SF_EESI_SY_SJ_SK_SL_EUlSY_E_NS1_11comp_targetILNS1_3genE2ELNS1_11target_archE906ELNS1_3gpuE6ELNS1_3repE0EEENS1_48merge_mergepath_partition_config_static_selectorELNS0_4arch9wavefront6targetE0EEEvSK_.uses_flat_scratch, 0
	.set _ZN7rocprim17ROCPRIM_400000_NS6detail17trampoline_kernelINS0_14default_configENS1_38merge_sort_block_merge_config_selectorItNS0_10empty_typeEEEZZNS1_27merge_sort_block_merge_implIS3_N6thrust23THRUST_200600_302600_NS6detail15normal_iteratorINS9_10device_ptrItEEEEPS5_m11less_div_10ItEEE10hipError_tT0_T1_T2_jT3_P12ihipStream_tbPNSt15iterator_traitsISJ_E10value_typeEPNSP_ISK_E10value_typeEPSL_NS1_7vsmem_tEENKUlT_SJ_SK_SL_E_clISE_PtSF_SF_EESI_SY_SJ_SK_SL_EUlSY_E_NS1_11comp_targetILNS1_3genE2ELNS1_11target_archE906ELNS1_3gpuE6ELNS1_3repE0EEENS1_48merge_mergepath_partition_config_static_selectorELNS0_4arch9wavefront6targetE0EEEvSK_.has_dyn_sized_stack, 0
	.set _ZN7rocprim17ROCPRIM_400000_NS6detail17trampoline_kernelINS0_14default_configENS1_38merge_sort_block_merge_config_selectorItNS0_10empty_typeEEEZZNS1_27merge_sort_block_merge_implIS3_N6thrust23THRUST_200600_302600_NS6detail15normal_iteratorINS9_10device_ptrItEEEEPS5_m11less_div_10ItEEE10hipError_tT0_T1_T2_jT3_P12ihipStream_tbPNSt15iterator_traitsISJ_E10value_typeEPNSP_ISK_E10value_typeEPSL_NS1_7vsmem_tEENKUlT_SJ_SK_SL_E_clISE_PtSF_SF_EESI_SY_SJ_SK_SL_EUlSY_E_NS1_11comp_targetILNS1_3genE2ELNS1_11target_archE906ELNS1_3gpuE6ELNS1_3repE0EEENS1_48merge_mergepath_partition_config_static_selectorELNS0_4arch9wavefront6targetE0EEEvSK_.has_recursion, 0
	.set _ZN7rocprim17ROCPRIM_400000_NS6detail17trampoline_kernelINS0_14default_configENS1_38merge_sort_block_merge_config_selectorItNS0_10empty_typeEEEZZNS1_27merge_sort_block_merge_implIS3_N6thrust23THRUST_200600_302600_NS6detail15normal_iteratorINS9_10device_ptrItEEEEPS5_m11less_div_10ItEEE10hipError_tT0_T1_T2_jT3_P12ihipStream_tbPNSt15iterator_traitsISJ_E10value_typeEPNSP_ISK_E10value_typeEPSL_NS1_7vsmem_tEENKUlT_SJ_SK_SL_E_clISE_PtSF_SF_EESI_SY_SJ_SK_SL_EUlSY_E_NS1_11comp_targetILNS1_3genE2ELNS1_11target_archE906ELNS1_3gpuE6ELNS1_3repE0EEENS1_48merge_mergepath_partition_config_static_selectorELNS0_4arch9wavefront6targetE0EEEvSK_.has_indirect_call, 0
	.section	.AMDGPU.csdata,"",@progbits
; Kernel info:
; codeLenInByte = 0
; TotalNumSgprs: 0
; NumVgprs: 0
; ScratchSize: 0
; MemoryBound: 0
; FloatMode: 240
; IeeeMode: 1
; LDSByteSize: 0 bytes/workgroup (compile time only)
; SGPRBlocks: 0
; VGPRBlocks: 0
; NumSGPRsForWavesPerEU: 1
; NumVGPRsForWavesPerEU: 1
; Occupancy: 16
; WaveLimiterHint : 0
; COMPUTE_PGM_RSRC2:SCRATCH_EN: 0
; COMPUTE_PGM_RSRC2:USER_SGPR: 6
; COMPUTE_PGM_RSRC2:TRAP_HANDLER: 0
; COMPUTE_PGM_RSRC2:TGID_X_EN: 1
; COMPUTE_PGM_RSRC2:TGID_Y_EN: 0
; COMPUTE_PGM_RSRC2:TGID_Z_EN: 0
; COMPUTE_PGM_RSRC2:TIDIG_COMP_CNT: 0
	.section	.text._ZN7rocprim17ROCPRIM_400000_NS6detail17trampoline_kernelINS0_14default_configENS1_38merge_sort_block_merge_config_selectorItNS0_10empty_typeEEEZZNS1_27merge_sort_block_merge_implIS3_N6thrust23THRUST_200600_302600_NS6detail15normal_iteratorINS9_10device_ptrItEEEEPS5_m11less_div_10ItEEE10hipError_tT0_T1_T2_jT3_P12ihipStream_tbPNSt15iterator_traitsISJ_E10value_typeEPNSP_ISK_E10value_typeEPSL_NS1_7vsmem_tEENKUlT_SJ_SK_SL_E_clISE_PtSF_SF_EESI_SY_SJ_SK_SL_EUlSY_E_NS1_11comp_targetILNS1_3genE9ELNS1_11target_archE1100ELNS1_3gpuE3ELNS1_3repE0EEENS1_48merge_mergepath_partition_config_static_selectorELNS0_4arch9wavefront6targetE0EEEvSK_,"axG",@progbits,_ZN7rocprim17ROCPRIM_400000_NS6detail17trampoline_kernelINS0_14default_configENS1_38merge_sort_block_merge_config_selectorItNS0_10empty_typeEEEZZNS1_27merge_sort_block_merge_implIS3_N6thrust23THRUST_200600_302600_NS6detail15normal_iteratorINS9_10device_ptrItEEEEPS5_m11less_div_10ItEEE10hipError_tT0_T1_T2_jT3_P12ihipStream_tbPNSt15iterator_traitsISJ_E10value_typeEPNSP_ISK_E10value_typeEPSL_NS1_7vsmem_tEENKUlT_SJ_SK_SL_E_clISE_PtSF_SF_EESI_SY_SJ_SK_SL_EUlSY_E_NS1_11comp_targetILNS1_3genE9ELNS1_11target_archE1100ELNS1_3gpuE3ELNS1_3repE0EEENS1_48merge_mergepath_partition_config_static_selectorELNS0_4arch9wavefront6targetE0EEEvSK_,comdat
	.protected	_ZN7rocprim17ROCPRIM_400000_NS6detail17trampoline_kernelINS0_14default_configENS1_38merge_sort_block_merge_config_selectorItNS0_10empty_typeEEEZZNS1_27merge_sort_block_merge_implIS3_N6thrust23THRUST_200600_302600_NS6detail15normal_iteratorINS9_10device_ptrItEEEEPS5_m11less_div_10ItEEE10hipError_tT0_T1_T2_jT3_P12ihipStream_tbPNSt15iterator_traitsISJ_E10value_typeEPNSP_ISK_E10value_typeEPSL_NS1_7vsmem_tEENKUlT_SJ_SK_SL_E_clISE_PtSF_SF_EESI_SY_SJ_SK_SL_EUlSY_E_NS1_11comp_targetILNS1_3genE9ELNS1_11target_archE1100ELNS1_3gpuE3ELNS1_3repE0EEENS1_48merge_mergepath_partition_config_static_selectorELNS0_4arch9wavefront6targetE0EEEvSK_ ; -- Begin function _ZN7rocprim17ROCPRIM_400000_NS6detail17trampoline_kernelINS0_14default_configENS1_38merge_sort_block_merge_config_selectorItNS0_10empty_typeEEEZZNS1_27merge_sort_block_merge_implIS3_N6thrust23THRUST_200600_302600_NS6detail15normal_iteratorINS9_10device_ptrItEEEEPS5_m11less_div_10ItEEE10hipError_tT0_T1_T2_jT3_P12ihipStream_tbPNSt15iterator_traitsISJ_E10value_typeEPNSP_ISK_E10value_typeEPSL_NS1_7vsmem_tEENKUlT_SJ_SK_SL_E_clISE_PtSF_SF_EESI_SY_SJ_SK_SL_EUlSY_E_NS1_11comp_targetILNS1_3genE9ELNS1_11target_archE1100ELNS1_3gpuE3ELNS1_3repE0EEENS1_48merge_mergepath_partition_config_static_selectorELNS0_4arch9wavefront6targetE0EEEvSK_
	.globl	_ZN7rocprim17ROCPRIM_400000_NS6detail17trampoline_kernelINS0_14default_configENS1_38merge_sort_block_merge_config_selectorItNS0_10empty_typeEEEZZNS1_27merge_sort_block_merge_implIS3_N6thrust23THRUST_200600_302600_NS6detail15normal_iteratorINS9_10device_ptrItEEEEPS5_m11less_div_10ItEEE10hipError_tT0_T1_T2_jT3_P12ihipStream_tbPNSt15iterator_traitsISJ_E10value_typeEPNSP_ISK_E10value_typeEPSL_NS1_7vsmem_tEENKUlT_SJ_SK_SL_E_clISE_PtSF_SF_EESI_SY_SJ_SK_SL_EUlSY_E_NS1_11comp_targetILNS1_3genE9ELNS1_11target_archE1100ELNS1_3gpuE3ELNS1_3repE0EEENS1_48merge_mergepath_partition_config_static_selectorELNS0_4arch9wavefront6targetE0EEEvSK_
	.p2align	8
	.type	_ZN7rocprim17ROCPRIM_400000_NS6detail17trampoline_kernelINS0_14default_configENS1_38merge_sort_block_merge_config_selectorItNS0_10empty_typeEEEZZNS1_27merge_sort_block_merge_implIS3_N6thrust23THRUST_200600_302600_NS6detail15normal_iteratorINS9_10device_ptrItEEEEPS5_m11less_div_10ItEEE10hipError_tT0_T1_T2_jT3_P12ihipStream_tbPNSt15iterator_traitsISJ_E10value_typeEPNSP_ISK_E10value_typeEPSL_NS1_7vsmem_tEENKUlT_SJ_SK_SL_E_clISE_PtSF_SF_EESI_SY_SJ_SK_SL_EUlSY_E_NS1_11comp_targetILNS1_3genE9ELNS1_11target_archE1100ELNS1_3gpuE3ELNS1_3repE0EEENS1_48merge_mergepath_partition_config_static_selectorELNS0_4arch9wavefront6targetE0EEEvSK_,@function
_ZN7rocprim17ROCPRIM_400000_NS6detail17trampoline_kernelINS0_14default_configENS1_38merge_sort_block_merge_config_selectorItNS0_10empty_typeEEEZZNS1_27merge_sort_block_merge_implIS3_N6thrust23THRUST_200600_302600_NS6detail15normal_iteratorINS9_10device_ptrItEEEEPS5_m11less_div_10ItEEE10hipError_tT0_T1_T2_jT3_P12ihipStream_tbPNSt15iterator_traitsISJ_E10value_typeEPNSP_ISK_E10value_typeEPSL_NS1_7vsmem_tEENKUlT_SJ_SK_SL_E_clISE_PtSF_SF_EESI_SY_SJ_SK_SL_EUlSY_E_NS1_11comp_targetILNS1_3genE9ELNS1_11target_archE1100ELNS1_3gpuE3ELNS1_3repE0EEENS1_48merge_mergepath_partition_config_static_selectorELNS0_4arch9wavefront6targetE0EEEvSK_: ; @_ZN7rocprim17ROCPRIM_400000_NS6detail17trampoline_kernelINS0_14default_configENS1_38merge_sort_block_merge_config_selectorItNS0_10empty_typeEEEZZNS1_27merge_sort_block_merge_implIS3_N6thrust23THRUST_200600_302600_NS6detail15normal_iteratorINS9_10device_ptrItEEEEPS5_m11less_div_10ItEEE10hipError_tT0_T1_T2_jT3_P12ihipStream_tbPNSt15iterator_traitsISJ_E10value_typeEPNSP_ISK_E10value_typeEPSL_NS1_7vsmem_tEENKUlT_SJ_SK_SL_E_clISE_PtSF_SF_EESI_SY_SJ_SK_SL_EUlSY_E_NS1_11comp_targetILNS1_3genE9ELNS1_11target_archE1100ELNS1_3gpuE3ELNS1_3repE0EEENS1_48merge_mergepath_partition_config_static_selectorELNS0_4arch9wavefront6targetE0EEEvSK_
; %bb.0:
	.section	.rodata,"a",@progbits
	.p2align	6, 0x0
	.amdhsa_kernel _ZN7rocprim17ROCPRIM_400000_NS6detail17trampoline_kernelINS0_14default_configENS1_38merge_sort_block_merge_config_selectorItNS0_10empty_typeEEEZZNS1_27merge_sort_block_merge_implIS3_N6thrust23THRUST_200600_302600_NS6detail15normal_iteratorINS9_10device_ptrItEEEEPS5_m11less_div_10ItEEE10hipError_tT0_T1_T2_jT3_P12ihipStream_tbPNSt15iterator_traitsISJ_E10value_typeEPNSP_ISK_E10value_typeEPSL_NS1_7vsmem_tEENKUlT_SJ_SK_SL_E_clISE_PtSF_SF_EESI_SY_SJ_SK_SL_EUlSY_E_NS1_11comp_targetILNS1_3genE9ELNS1_11target_archE1100ELNS1_3gpuE3ELNS1_3repE0EEENS1_48merge_mergepath_partition_config_static_selectorELNS0_4arch9wavefront6targetE0EEEvSK_
		.amdhsa_group_segment_fixed_size 0
		.amdhsa_private_segment_fixed_size 0
		.amdhsa_kernarg_size 48
		.amdhsa_user_sgpr_count 6
		.amdhsa_user_sgpr_private_segment_buffer 1
		.amdhsa_user_sgpr_dispatch_ptr 0
		.amdhsa_user_sgpr_queue_ptr 0
		.amdhsa_user_sgpr_kernarg_segment_ptr 1
		.amdhsa_user_sgpr_dispatch_id 0
		.amdhsa_user_sgpr_flat_scratch_init 0
		.amdhsa_user_sgpr_private_segment_size 0
		.amdhsa_wavefront_size32 1
		.amdhsa_uses_dynamic_stack 0
		.amdhsa_system_sgpr_private_segment_wavefront_offset 0
		.amdhsa_system_sgpr_workgroup_id_x 1
		.amdhsa_system_sgpr_workgroup_id_y 0
		.amdhsa_system_sgpr_workgroup_id_z 0
		.amdhsa_system_sgpr_workgroup_info 0
		.amdhsa_system_vgpr_workitem_id 0
		.amdhsa_next_free_vgpr 1
		.amdhsa_next_free_sgpr 1
		.amdhsa_reserve_vcc 0
		.amdhsa_reserve_flat_scratch 0
		.amdhsa_float_round_mode_32 0
		.amdhsa_float_round_mode_16_64 0
		.amdhsa_float_denorm_mode_32 3
		.amdhsa_float_denorm_mode_16_64 3
		.amdhsa_dx10_clamp 1
		.amdhsa_ieee_mode 1
		.amdhsa_fp16_overflow 0
		.amdhsa_workgroup_processor_mode 1
		.amdhsa_memory_ordered 1
		.amdhsa_forward_progress 1
		.amdhsa_shared_vgpr_count 0
		.amdhsa_exception_fp_ieee_invalid_op 0
		.amdhsa_exception_fp_denorm_src 0
		.amdhsa_exception_fp_ieee_div_zero 0
		.amdhsa_exception_fp_ieee_overflow 0
		.amdhsa_exception_fp_ieee_underflow 0
		.amdhsa_exception_fp_ieee_inexact 0
		.amdhsa_exception_int_div_zero 0
	.end_amdhsa_kernel
	.section	.text._ZN7rocprim17ROCPRIM_400000_NS6detail17trampoline_kernelINS0_14default_configENS1_38merge_sort_block_merge_config_selectorItNS0_10empty_typeEEEZZNS1_27merge_sort_block_merge_implIS3_N6thrust23THRUST_200600_302600_NS6detail15normal_iteratorINS9_10device_ptrItEEEEPS5_m11less_div_10ItEEE10hipError_tT0_T1_T2_jT3_P12ihipStream_tbPNSt15iterator_traitsISJ_E10value_typeEPNSP_ISK_E10value_typeEPSL_NS1_7vsmem_tEENKUlT_SJ_SK_SL_E_clISE_PtSF_SF_EESI_SY_SJ_SK_SL_EUlSY_E_NS1_11comp_targetILNS1_3genE9ELNS1_11target_archE1100ELNS1_3gpuE3ELNS1_3repE0EEENS1_48merge_mergepath_partition_config_static_selectorELNS0_4arch9wavefront6targetE0EEEvSK_,"axG",@progbits,_ZN7rocprim17ROCPRIM_400000_NS6detail17trampoline_kernelINS0_14default_configENS1_38merge_sort_block_merge_config_selectorItNS0_10empty_typeEEEZZNS1_27merge_sort_block_merge_implIS3_N6thrust23THRUST_200600_302600_NS6detail15normal_iteratorINS9_10device_ptrItEEEEPS5_m11less_div_10ItEEE10hipError_tT0_T1_T2_jT3_P12ihipStream_tbPNSt15iterator_traitsISJ_E10value_typeEPNSP_ISK_E10value_typeEPSL_NS1_7vsmem_tEENKUlT_SJ_SK_SL_E_clISE_PtSF_SF_EESI_SY_SJ_SK_SL_EUlSY_E_NS1_11comp_targetILNS1_3genE9ELNS1_11target_archE1100ELNS1_3gpuE3ELNS1_3repE0EEENS1_48merge_mergepath_partition_config_static_selectorELNS0_4arch9wavefront6targetE0EEEvSK_,comdat
.Lfunc_end272:
	.size	_ZN7rocprim17ROCPRIM_400000_NS6detail17trampoline_kernelINS0_14default_configENS1_38merge_sort_block_merge_config_selectorItNS0_10empty_typeEEEZZNS1_27merge_sort_block_merge_implIS3_N6thrust23THRUST_200600_302600_NS6detail15normal_iteratorINS9_10device_ptrItEEEEPS5_m11less_div_10ItEEE10hipError_tT0_T1_T2_jT3_P12ihipStream_tbPNSt15iterator_traitsISJ_E10value_typeEPNSP_ISK_E10value_typeEPSL_NS1_7vsmem_tEENKUlT_SJ_SK_SL_E_clISE_PtSF_SF_EESI_SY_SJ_SK_SL_EUlSY_E_NS1_11comp_targetILNS1_3genE9ELNS1_11target_archE1100ELNS1_3gpuE3ELNS1_3repE0EEENS1_48merge_mergepath_partition_config_static_selectorELNS0_4arch9wavefront6targetE0EEEvSK_, .Lfunc_end272-_ZN7rocprim17ROCPRIM_400000_NS6detail17trampoline_kernelINS0_14default_configENS1_38merge_sort_block_merge_config_selectorItNS0_10empty_typeEEEZZNS1_27merge_sort_block_merge_implIS3_N6thrust23THRUST_200600_302600_NS6detail15normal_iteratorINS9_10device_ptrItEEEEPS5_m11less_div_10ItEEE10hipError_tT0_T1_T2_jT3_P12ihipStream_tbPNSt15iterator_traitsISJ_E10value_typeEPNSP_ISK_E10value_typeEPSL_NS1_7vsmem_tEENKUlT_SJ_SK_SL_E_clISE_PtSF_SF_EESI_SY_SJ_SK_SL_EUlSY_E_NS1_11comp_targetILNS1_3genE9ELNS1_11target_archE1100ELNS1_3gpuE3ELNS1_3repE0EEENS1_48merge_mergepath_partition_config_static_selectorELNS0_4arch9wavefront6targetE0EEEvSK_
                                        ; -- End function
	.set _ZN7rocprim17ROCPRIM_400000_NS6detail17trampoline_kernelINS0_14default_configENS1_38merge_sort_block_merge_config_selectorItNS0_10empty_typeEEEZZNS1_27merge_sort_block_merge_implIS3_N6thrust23THRUST_200600_302600_NS6detail15normal_iteratorINS9_10device_ptrItEEEEPS5_m11less_div_10ItEEE10hipError_tT0_T1_T2_jT3_P12ihipStream_tbPNSt15iterator_traitsISJ_E10value_typeEPNSP_ISK_E10value_typeEPSL_NS1_7vsmem_tEENKUlT_SJ_SK_SL_E_clISE_PtSF_SF_EESI_SY_SJ_SK_SL_EUlSY_E_NS1_11comp_targetILNS1_3genE9ELNS1_11target_archE1100ELNS1_3gpuE3ELNS1_3repE0EEENS1_48merge_mergepath_partition_config_static_selectorELNS0_4arch9wavefront6targetE0EEEvSK_.num_vgpr, 0
	.set _ZN7rocprim17ROCPRIM_400000_NS6detail17trampoline_kernelINS0_14default_configENS1_38merge_sort_block_merge_config_selectorItNS0_10empty_typeEEEZZNS1_27merge_sort_block_merge_implIS3_N6thrust23THRUST_200600_302600_NS6detail15normal_iteratorINS9_10device_ptrItEEEEPS5_m11less_div_10ItEEE10hipError_tT0_T1_T2_jT3_P12ihipStream_tbPNSt15iterator_traitsISJ_E10value_typeEPNSP_ISK_E10value_typeEPSL_NS1_7vsmem_tEENKUlT_SJ_SK_SL_E_clISE_PtSF_SF_EESI_SY_SJ_SK_SL_EUlSY_E_NS1_11comp_targetILNS1_3genE9ELNS1_11target_archE1100ELNS1_3gpuE3ELNS1_3repE0EEENS1_48merge_mergepath_partition_config_static_selectorELNS0_4arch9wavefront6targetE0EEEvSK_.num_agpr, 0
	.set _ZN7rocprim17ROCPRIM_400000_NS6detail17trampoline_kernelINS0_14default_configENS1_38merge_sort_block_merge_config_selectorItNS0_10empty_typeEEEZZNS1_27merge_sort_block_merge_implIS3_N6thrust23THRUST_200600_302600_NS6detail15normal_iteratorINS9_10device_ptrItEEEEPS5_m11less_div_10ItEEE10hipError_tT0_T1_T2_jT3_P12ihipStream_tbPNSt15iterator_traitsISJ_E10value_typeEPNSP_ISK_E10value_typeEPSL_NS1_7vsmem_tEENKUlT_SJ_SK_SL_E_clISE_PtSF_SF_EESI_SY_SJ_SK_SL_EUlSY_E_NS1_11comp_targetILNS1_3genE9ELNS1_11target_archE1100ELNS1_3gpuE3ELNS1_3repE0EEENS1_48merge_mergepath_partition_config_static_selectorELNS0_4arch9wavefront6targetE0EEEvSK_.numbered_sgpr, 0
	.set _ZN7rocprim17ROCPRIM_400000_NS6detail17trampoline_kernelINS0_14default_configENS1_38merge_sort_block_merge_config_selectorItNS0_10empty_typeEEEZZNS1_27merge_sort_block_merge_implIS3_N6thrust23THRUST_200600_302600_NS6detail15normal_iteratorINS9_10device_ptrItEEEEPS5_m11less_div_10ItEEE10hipError_tT0_T1_T2_jT3_P12ihipStream_tbPNSt15iterator_traitsISJ_E10value_typeEPNSP_ISK_E10value_typeEPSL_NS1_7vsmem_tEENKUlT_SJ_SK_SL_E_clISE_PtSF_SF_EESI_SY_SJ_SK_SL_EUlSY_E_NS1_11comp_targetILNS1_3genE9ELNS1_11target_archE1100ELNS1_3gpuE3ELNS1_3repE0EEENS1_48merge_mergepath_partition_config_static_selectorELNS0_4arch9wavefront6targetE0EEEvSK_.num_named_barrier, 0
	.set _ZN7rocprim17ROCPRIM_400000_NS6detail17trampoline_kernelINS0_14default_configENS1_38merge_sort_block_merge_config_selectorItNS0_10empty_typeEEEZZNS1_27merge_sort_block_merge_implIS3_N6thrust23THRUST_200600_302600_NS6detail15normal_iteratorINS9_10device_ptrItEEEEPS5_m11less_div_10ItEEE10hipError_tT0_T1_T2_jT3_P12ihipStream_tbPNSt15iterator_traitsISJ_E10value_typeEPNSP_ISK_E10value_typeEPSL_NS1_7vsmem_tEENKUlT_SJ_SK_SL_E_clISE_PtSF_SF_EESI_SY_SJ_SK_SL_EUlSY_E_NS1_11comp_targetILNS1_3genE9ELNS1_11target_archE1100ELNS1_3gpuE3ELNS1_3repE0EEENS1_48merge_mergepath_partition_config_static_selectorELNS0_4arch9wavefront6targetE0EEEvSK_.private_seg_size, 0
	.set _ZN7rocprim17ROCPRIM_400000_NS6detail17trampoline_kernelINS0_14default_configENS1_38merge_sort_block_merge_config_selectorItNS0_10empty_typeEEEZZNS1_27merge_sort_block_merge_implIS3_N6thrust23THRUST_200600_302600_NS6detail15normal_iteratorINS9_10device_ptrItEEEEPS5_m11less_div_10ItEEE10hipError_tT0_T1_T2_jT3_P12ihipStream_tbPNSt15iterator_traitsISJ_E10value_typeEPNSP_ISK_E10value_typeEPSL_NS1_7vsmem_tEENKUlT_SJ_SK_SL_E_clISE_PtSF_SF_EESI_SY_SJ_SK_SL_EUlSY_E_NS1_11comp_targetILNS1_3genE9ELNS1_11target_archE1100ELNS1_3gpuE3ELNS1_3repE0EEENS1_48merge_mergepath_partition_config_static_selectorELNS0_4arch9wavefront6targetE0EEEvSK_.uses_vcc, 0
	.set _ZN7rocprim17ROCPRIM_400000_NS6detail17trampoline_kernelINS0_14default_configENS1_38merge_sort_block_merge_config_selectorItNS0_10empty_typeEEEZZNS1_27merge_sort_block_merge_implIS3_N6thrust23THRUST_200600_302600_NS6detail15normal_iteratorINS9_10device_ptrItEEEEPS5_m11less_div_10ItEEE10hipError_tT0_T1_T2_jT3_P12ihipStream_tbPNSt15iterator_traitsISJ_E10value_typeEPNSP_ISK_E10value_typeEPSL_NS1_7vsmem_tEENKUlT_SJ_SK_SL_E_clISE_PtSF_SF_EESI_SY_SJ_SK_SL_EUlSY_E_NS1_11comp_targetILNS1_3genE9ELNS1_11target_archE1100ELNS1_3gpuE3ELNS1_3repE0EEENS1_48merge_mergepath_partition_config_static_selectorELNS0_4arch9wavefront6targetE0EEEvSK_.uses_flat_scratch, 0
	.set _ZN7rocprim17ROCPRIM_400000_NS6detail17trampoline_kernelINS0_14default_configENS1_38merge_sort_block_merge_config_selectorItNS0_10empty_typeEEEZZNS1_27merge_sort_block_merge_implIS3_N6thrust23THRUST_200600_302600_NS6detail15normal_iteratorINS9_10device_ptrItEEEEPS5_m11less_div_10ItEEE10hipError_tT0_T1_T2_jT3_P12ihipStream_tbPNSt15iterator_traitsISJ_E10value_typeEPNSP_ISK_E10value_typeEPSL_NS1_7vsmem_tEENKUlT_SJ_SK_SL_E_clISE_PtSF_SF_EESI_SY_SJ_SK_SL_EUlSY_E_NS1_11comp_targetILNS1_3genE9ELNS1_11target_archE1100ELNS1_3gpuE3ELNS1_3repE0EEENS1_48merge_mergepath_partition_config_static_selectorELNS0_4arch9wavefront6targetE0EEEvSK_.has_dyn_sized_stack, 0
	.set _ZN7rocprim17ROCPRIM_400000_NS6detail17trampoline_kernelINS0_14default_configENS1_38merge_sort_block_merge_config_selectorItNS0_10empty_typeEEEZZNS1_27merge_sort_block_merge_implIS3_N6thrust23THRUST_200600_302600_NS6detail15normal_iteratorINS9_10device_ptrItEEEEPS5_m11less_div_10ItEEE10hipError_tT0_T1_T2_jT3_P12ihipStream_tbPNSt15iterator_traitsISJ_E10value_typeEPNSP_ISK_E10value_typeEPSL_NS1_7vsmem_tEENKUlT_SJ_SK_SL_E_clISE_PtSF_SF_EESI_SY_SJ_SK_SL_EUlSY_E_NS1_11comp_targetILNS1_3genE9ELNS1_11target_archE1100ELNS1_3gpuE3ELNS1_3repE0EEENS1_48merge_mergepath_partition_config_static_selectorELNS0_4arch9wavefront6targetE0EEEvSK_.has_recursion, 0
	.set _ZN7rocprim17ROCPRIM_400000_NS6detail17trampoline_kernelINS0_14default_configENS1_38merge_sort_block_merge_config_selectorItNS0_10empty_typeEEEZZNS1_27merge_sort_block_merge_implIS3_N6thrust23THRUST_200600_302600_NS6detail15normal_iteratorINS9_10device_ptrItEEEEPS5_m11less_div_10ItEEE10hipError_tT0_T1_T2_jT3_P12ihipStream_tbPNSt15iterator_traitsISJ_E10value_typeEPNSP_ISK_E10value_typeEPSL_NS1_7vsmem_tEENKUlT_SJ_SK_SL_E_clISE_PtSF_SF_EESI_SY_SJ_SK_SL_EUlSY_E_NS1_11comp_targetILNS1_3genE9ELNS1_11target_archE1100ELNS1_3gpuE3ELNS1_3repE0EEENS1_48merge_mergepath_partition_config_static_selectorELNS0_4arch9wavefront6targetE0EEEvSK_.has_indirect_call, 0
	.section	.AMDGPU.csdata,"",@progbits
; Kernel info:
; codeLenInByte = 0
; TotalNumSgprs: 0
; NumVgprs: 0
; ScratchSize: 0
; MemoryBound: 0
; FloatMode: 240
; IeeeMode: 1
; LDSByteSize: 0 bytes/workgroup (compile time only)
; SGPRBlocks: 0
; VGPRBlocks: 0
; NumSGPRsForWavesPerEU: 1
; NumVGPRsForWavesPerEU: 1
; Occupancy: 16
; WaveLimiterHint : 0
; COMPUTE_PGM_RSRC2:SCRATCH_EN: 0
; COMPUTE_PGM_RSRC2:USER_SGPR: 6
; COMPUTE_PGM_RSRC2:TRAP_HANDLER: 0
; COMPUTE_PGM_RSRC2:TGID_X_EN: 1
; COMPUTE_PGM_RSRC2:TGID_Y_EN: 0
; COMPUTE_PGM_RSRC2:TGID_Z_EN: 0
; COMPUTE_PGM_RSRC2:TIDIG_COMP_CNT: 0
	.section	.text._ZN7rocprim17ROCPRIM_400000_NS6detail17trampoline_kernelINS0_14default_configENS1_38merge_sort_block_merge_config_selectorItNS0_10empty_typeEEEZZNS1_27merge_sort_block_merge_implIS3_N6thrust23THRUST_200600_302600_NS6detail15normal_iteratorINS9_10device_ptrItEEEEPS5_m11less_div_10ItEEE10hipError_tT0_T1_T2_jT3_P12ihipStream_tbPNSt15iterator_traitsISJ_E10value_typeEPNSP_ISK_E10value_typeEPSL_NS1_7vsmem_tEENKUlT_SJ_SK_SL_E_clISE_PtSF_SF_EESI_SY_SJ_SK_SL_EUlSY_E_NS1_11comp_targetILNS1_3genE8ELNS1_11target_archE1030ELNS1_3gpuE2ELNS1_3repE0EEENS1_48merge_mergepath_partition_config_static_selectorELNS0_4arch9wavefront6targetE0EEEvSK_,"axG",@progbits,_ZN7rocprim17ROCPRIM_400000_NS6detail17trampoline_kernelINS0_14default_configENS1_38merge_sort_block_merge_config_selectorItNS0_10empty_typeEEEZZNS1_27merge_sort_block_merge_implIS3_N6thrust23THRUST_200600_302600_NS6detail15normal_iteratorINS9_10device_ptrItEEEEPS5_m11less_div_10ItEEE10hipError_tT0_T1_T2_jT3_P12ihipStream_tbPNSt15iterator_traitsISJ_E10value_typeEPNSP_ISK_E10value_typeEPSL_NS1_7vsmem_tEENKUlT_SJ_SK_SL_E_clISE_PtSF_SF_EESI_SY_SJ_SK_SL_EUlSY_E_NS1_11comp_targetILNS1_3genE8ELNS1_11target_archE1030ELNS1_3gpuE2ELNS1_3repE0EEENS1_48merge_mergepath_partition_config_static_selectorELNS0_4arch9wavefront6targetE0EEEvSK_,comdat
	.protected	_ZN7rocprim17ROCPRIM_400000_NS6detail17trampoline_kernelINS0_14default_configENS1_38merge_sort_block_merge_config_selectorItNS0_10empty_typeEEEZZNS1_27merge_sort_block_merge_implIS3_N6thrust23THRUST_200600_302600_NS6detail15normal_iteratorINS9_10device_ptrItEEEEPS5_m11less_div_10ItEEE10hipError_tT0_T1_T2_jT3_P12ihipStream_tbPNSt15iterator_traitsISJ_E10value_typeEPNSP_ISK_E10value_typeEPSL_NS1_7vsmem_tEENKUlT_SJ_SK_SL_E_clISE_PtSF_SF_EESI_SY_SJ_SK_SL_EUlSY_E_NS1_11comp_targetILNS1_3genE8ELNS1_11target_archE1030ELNS1_3gpuE2ELNS1_3repE0EEENS1_48merge_mergepath_partition_config_static_selectorELNS0_4arch9wavefront6targetE0EEEvSK_ ; -- Begin function _ZN7rocprim17ROCPRIM_400000_NS6detail17trampoline_kernelINS0_14default_configENS1_38merge_sort_block_merge_config_selectorItNS0_10empty_typeEEEZZNS1_27merge_sort_block_merge_implIS3_N6thrust23THRUST_200600_302600_NS6detail15normal_iteratorINS9_10device_ptrItEEEEPS5_m11less_div_10ItEEE10hipError_tT0_T1_T2_jT3_P12ihipStream_tbPNSt15iterator_traitsISJ_E10value_typeEPNSP_ISK_E10value_typeEPSL_NS1_7vsmem_tEENKUlT_SJ_SK_SL_E_clISE_PtSF_SF_EESI_SY_SJ_SK_SL_EUlSY_E_NS1_11comp_targetILNS1_3genE8ELNS1_11target_archE1030ELNS1_3gpuE2ELNS1_3repE0EEENS1_48merge_mergepath_partition_config_static_selectorELNS0_4arch9wavefront6targetE0EEEvSK_
	.globl	_ZN7rocprim17ROCPRIM_400000_NS6detail17trampoline_kernelINS0_14default_configENS1_38merge_sort_block_merge_config_selectorItNS0_10empty_typeEEEZZNS1_27merge_sort_block_merge_implIS3_N6thrust23THRUST_200600_302600_NS6detail15normal_iteratorINS9_10device_ptrItEEEEPS5_m11less_div_10ItEEE10hipError_tT0_T1_T2_jT3_P12ihipStream_tbPNSt15iterator_traitsISJ_E10value_typeEPNSP_ISK_E10value_typeEPSL_NS1_7vsmem_tEENKUlT_SJ_SK_SL_E_clISE_PtSF_SF_EESI_SY_SJ_SK_SL_EUlSY_E_NS1_11comp_targetILNS1_3genE8ELNS1_11target_archE1030ELNS1_3gpuE2ELNS1_3repE0EEENS1_48merge_mergepath_partition_config_static_selectorELNS0_4arch9wavefront6targetE0EEEvSK_
	.p2align	8
	.type	_ZN7rocprim17ROCPRIM_400000_NS6detail17trampoline_kernelINS0_14default_configENS1_38merge_sort_block_merge_config_selectorItNS0_10empty_typeEEEZZNS1_27merge_sort_block_merge_implIS3_N6thrust23THRUST_200600_302600_NS6detail15normal_iteratorINS9_10device_ptrItEEEEPS5_m11less_div_10ItEEE10hipError_tT0_T1_T2_jT3_P12ihipStream_tbPNSt15iterator_traitsISJ_E10value_typeEPNSP_ISK_E10value_typeEPSL_NS1_7vsmem_tEENKUlT_SJ_SK_SL_E_clISE_PtSF_SF_EESI_SY_SJ_SK_SL_EUlSY_E_NS1_11comp_targetILNS1_3genE8ELNS1_11target_archE1030ELNS1_3gpuE2ELNS1_3repE0EEENS1_48merge_mergepath_partition_config_static_selectorELNS0_4arch9wavefront6targetE0EEEvSK_,@function
_ZN7rocprim17ROCPRIM_400000_NS6detail17trampoline_kernelINS0_14default_configENS1_38merge_sort_block_merge_config_selectorItNS0_10empty_typeEEEZZNS1_27merge_sort_block_merge_implIS3_N6thrust23THRUST_200600_302600_NS6detail15normal_iteratorINS9_10device_ptrItEEEEPS5_m11less_div_10ItEEE10hipError_tT0_T1_T2_jT3_P12ihipStream_tbPNSt15iterator_traitsISJ_E10value_typeEPNSP_ISK_E10value_typeEPSL_NS1_7vsmem_tEENKUlT_SJ_SK_SL_E_clISE_PtSF_SF_EESI_SY_SJ_SK_SL_EUlSY_E_NS1_11comp_targetILNS1_3genE8ELNS1_11target_archE1030ELNS1_3gpuE2ELNS1_3repE0EEENS1_48merge_mergepath_partition_config_static_selectorELNS0_4arch9wavefront6targetE0EEEvSK_: ; @_ZN7rocprim17ROCPRIM_400000_NS6detail17trampoline_kernelINS0_14default_configENS1_38merge_sort_block_merge_config_selectorItNS0_10empty_typeEEEZZNS1_27merge_sort_block_merge_implIS3_N6thrust23THRUST_200600_302600_NS6detail15normal_iteratorINS9_10device_ptrItEEEEPS5_m11less_div_10ItEEE10hipError_tT0_T1_T2_jT3_P12ihipStream_tbPNSt15iterator_traitsISJ_E10value_typeEPNSP_ISK_E10value_typeEPSL_NS1_7vsmem_tEENKUlT_SJ_SK_SL_E_clISE_PtSF_SF_EESI_SY_SJ_SK_SL_EUlSY_E_NS1_11comp_targetILNS1_3genE8ELNS1_11target_archE1030ELNS1_3gpuE2ELNS1_3repE0EEENS1_48merge_mergepath_partition_config_static_selectorELNS0_4arch9wavefront6targetE0EEEvSK_
; %bb.0:
	s_load_dword s0, s[4:5], 0x0
	v_lshl_or_b32 v0, s6, 7, v0
	s_waitcnt lgkmcnt(0)
	v_cmp_gt_u32_e32 vcc_lo, s0, v0
	s_and_saveexec_b32 s0, vcc_lo
	s_cbranch_execz .LBB273_6
; %bb.1:
	s_load_dwordx4 s[0:3], s[4:5], 0x8
	v_mov_b32_e32 v2, 0
	v_mov_b32_e32 v11, v2
	s_waitcnt lgkmcnt(0)
	s_lshr_b64 s[6:7], s[0:1], 9
	s_and_b32 s6, s6, -2
	s_sub_i32 s7, 0, s6
	s_add_i32 s6, s6, -1
	v_and_b32_e32 v1, s7, v0
	v_and_b32_e32 v10, s6, v0
	v_lshlrev_b64 v[4:5], 10, v[1:2]
	v_add_co_u32 v6, vcc_lo, v4, s0
	v_add_co_ci_u32_e64 v7, null, s1, v5, vcc_lo
	v_cmp_lt_u64_e32 vcc_lo, s[2:3], v[6:7]
	v_cndmask_b32_e64 v8, v6, s2, vcc_lo
	v_cndmask_b32_e64 v9, v7, s3, vcc_lo
	v_add_co_u32 v6, vcc_lo, v8, s0
	v_add_co_ci_u32_e64 v7, null, s1, v9, vcc_lo
	v_cmp_lt_u64_e32 vcc_lo, s[2:3], v[4:5]
	s_mov_b32 s1, 0
	v_cmp_lt_u64_e64 s0, s[2:3], v[6:7]
	v_cndmask_b32_e64 v2, v4, s2, vcc_lo
	v_cndmask_b32_e64 v3, v5, s3, vcc_lo
	v_lshlrev_b64 v[4:5], 10, v[10:11]
	v_cndmask_b32_e64 v12, v6, s2, s0
	v_cndmask_b32_e64 v1, v7, s3, s0
	s_load_dwordx2 s[2:3], s[4:5], 0x28
	v_sub_co_u32 v6, vcc_lo, v12, v2
	v_sub_co_ci_u32_e64 v7, null, v1, v3, vcc_lo
	v_cmp_lt_u64_e32 vcc_lo, v[6:7], v[4:5]
	v_cndmask_b32_e32 v11, v5, v7, vcc_lo
	v_cndmask_b32_e32 v10, v4, v6, vcc_lo
	v_sub_co_u32 v4, vcc_lo, v8, v12
	v_sub_co_ci_u32_e64 v1, null, v9, v1, vcc_lo
	v_add_co_u32 v4, vcc_lo, v10, v4
	v_add_co_ci_u32_e64 v5, null, v11, v1, vcc_lo
	v_sub_co_u32 v6, vcc_lo, v8, v2
	v_sub_co_ci_u32_e64 v7, null, v9, v3, vcc_lo
	v_cmp_gt_u64_e32 vcc_lo, v[4:5], v[10:11]
	v_cmp_lt_u64_e64 s0, v[10:11], v[6:7]
	v_cndmask_b32_e64 v5, v5, 0, vcc_lo
	v_cndmask_b32_e64 v4, v4, 0, vcc_lo
	v_cndmask_b32_e64 v7, v7, v11, s0
	v_cndmask_b32_e64 v6, v6, v10, s0
	s_mov_b32 s0, exec_lo
	v_cmpx_lt_u64_e64 v[4:5], v[6:7]
	s_cbranch_execz .LBB273_5
; %bb.2:
	s_load_dwordx2 s[4:5], s[4:5], 0x18
	v_lshlrev_b64 v[8:9], 1, v[8:9]
	v_lshlrev_b64 v[12:13], 1, v[2:3]
	;; [unrolled: 1-line block ×3, first 2 shown]
	s_waitcnt lgkmcnt(0)
	v_add_co_u32 v14, vcc_lo, s4, v8
	v_add_co_ci_u32_e64 v15, null, s5, v9, vcc_lo
	v_add_co_u32 v1, vcc_lo, s4, v12
	v_add_co_ci_u32_e64 v8, null, s5, v13, vcc_lo
	;; [unrolled: 2-line block ×3, first 2 shown]
	s_inst_prefetch 0x1
	.p2align	6
.LBB273_3:                              ; =>This Inner Loop Header: Depth=1
	v_add_co_u32 v11, vcc_lo, v6, v4
	v_add_co_ci_u32_e64 v12, null, v7, v5, vcc_lo
	v_and_b32_e32 v13, -2, v11
	v_xor_b32_e32 v16, -1, v12
	v_xor_b32_e32 v15, -2, v13
	v_add_co_u32 v13, vcc_lo, v1, v13
	v_add_co_ci_u32_e64 v14, null, v8, v12, vcc_lo
	v_add_co_u32 v15, vcc_lo, v9, v15
	v_add_co_ci_u32_e64 v16, null, v10, v16, vcc_lo
	v_lshrrev_b64 v[11:12], 1, v[11:12]
	flat_load_ushort v13, v[13:14]
	flat_load_ushort v14, v[15:16]
	v_add_co_u32 v15, vcc_lo, v11, 1
	v_add_co_ci_u32_e64 v16, null, 0, v12, vcc_lo
	s_waitcnt vmcnt(1) lgkmcnt(1)
	v_mul_u32_u24_e32 v13, 0xcccd, v13
	s_waitcnt vmcnt(0) lgkmcnt(0)
	v_mul_u32_u24_e32 v14, 0xcccd, v14
	v_lshrrev_b32_e32 v13, 19, v13
	v_lshrrev_b32_e32 v14, 19, v14
	v_cmp_lt_u16_e32 vcc_lo, v14, v13
	v_cndmask_b32_e32 v7, v7, v12, vcc_lo
	v_cndmask_b32_e32 v6, v6, v11, vcc_lo
	;; [unrolled: 1-line block ×4, first 2 shown]
	v_cmp_ge_u64_e32 vcc_lo, v[4:5], v[6:7]
	s_or_b32 s1, vcc_lo, s1
	s_andn2_b32 exec_lo, exec_lo, s1
	s_cbranch_execnz .LBB273_3
; %bb.4:
	s_inst_prefetch 0x2
	s_or_b32 exec_lo, exec_lo, s1
.LBB273_5:
	s_or_b32 exec_lo, exec_lo, s0
	v_mov_b32_e32 v1, 0
	v_add_co_u32 v2, vcc_lo, v4, v2
	v_add_co_ci_u32_e64 v3, null, v5, v3, vcc_lo
	v_lshlrev_b64 v[0:1], 3, v[0:1]
	s_waitcnt lgkmcnt(0)
	v_add_co_u32 v0, vcc_lo, s2, v0
	v_add_co_ci_u32_e64 v1, null, s3, v1, vcc_lo
	global_store_dwordx2 v[0:1], v[2:3], off
.LBB273_6:
	s_endpgm
	.section	.rodata,"a",@progbits
	.p2align	6, 0x0
	.amdhsa_kernel _ZN7rocprim17ROCPRIM_400000_NS6detail17trampoline_kernelINS0_14default_configENS1_38merge_sort_block_merge_config_selectorItNS0_10empty_typeEEEZZNS1_27merge_sort_block_merge_implIS3_N6thrust23THRUST_200600_302600_NS6detail15normal_iteratorINS9_10device_ptrItEEEEPS5_m11less_div_10ItEEE10hipError_tT0_T1_T2_jT3_P12ihipStream_tbPNSt15iterator_traitsISJ_E10value_typeEPNSP_ISK_E10value_typeEPSL_NS1_7vsmem_tEENKUlT_SJ_SK_SL_E_clISE_PtSF_SF_EESI_SY_SJ_SK_SL_EUlSY_E_NS1_11comp_targetILNS1_3genE8ELNS1_11target_archE1030ELNS1_3gpuE2ELNS1_3repE0EEENS1_48merge_mergepath_partition_config_static_selectorELNS0_4arch9wavefront6targetE0EEEvSK_
		.amdhsa_group_segment_fixed_size 0
		.amdhsa_private_segment_fixed_size 0
		.amdhsa_kernarg_size 48
		.amdhsa_user_sgpr_count 6
		.amdhsa_user_sgpr_private_segment_buffer 1
		.amdhsa_user_sgpr_dispatch_ptr 0
		.amdhsa_user_sgpr_queue_ptr 0
		.amdhsa_user_sgpr_kernarg_segment_ptr 1
		.amdhsa_user_sgpr_dispatch_id 0
		.amdhsa_user_sgpr_flat_scratch_init 0
		.amdhsa_user_sgpr_private_segment_size 0
		.amdhsa_wavefront_size32 1
		.amdhsa_uses_dynamic_stack 0
		.amdhsa_system_sgpr_private_segment_wavefront_offset 0
		.amdhsa_system_sgpr_workgroup_id_x 1
		.amdhsa_system_sgpr_workgroup_id_y 0
		.amdhsa_system_sgpr_workgroup_id_z 0
		.amdhsa_system_sgpr_workgroup_info 0
		.amdhsa_system_vgpr_workitem_id 0
		.amdhsa_next_free_vgpr 17
		.amdhsa_next_free_sgpr 8
		.amdhsa_reserve_vcc 1
		.amdhsa_reserve_flat_scratch 0
		.amdhsa_float_round_mode_32 0
		.amdhsa_float_round_mode_16_64 0
		.amdhsa_float_denorm_mode_32 3
		.amdhsa_float_denorm_mode_16_64 3
		.amdhsa_dx10_clamp 1
		.amdhsa_ieee_mode 1
		.amdhsa_fp16_overflow 0
		.amdhsa_workgroup_processor_mode 1
		.amdhsa_memory_ordered 1
		.amdhsa_forward_progress 1
		.amdhsa_shared_vgpr_count 0
		.amdhsa_exception_fp_ieee_invalid_op 0
		.amdhsa_exception_fp_denorm_src 0
		.amdhsa_exception_fp_ieee_div_zero 0
		.amdhsa_exception_fp_ieee_overflow 0
		.amdhsa_exception_fp_ieee_underflow 0
		.amdhsa_exception_fp_ieee_inexact 0
		.amdhsa_exception_int_div_zero 0
	.end_amdhsa_kernel
	.section	.text._ZN7rocprim17ROCPRIM_400000_NS6detail17trampoline_kernelINS0_14default_configENS1_38merge_sort_block_merge_config_selectorItNS0_10empty_typeEEEZZNS1_27merge_sort_block_merge_implIS3_N6thrust23THRUST_200600_302600_NS6detail15normal_iteratorINS9_10device_ptrItEEEEPS5_m11less_div_10ItEEE10hipError_tT0_T1_T2_jT3_P12ihipStream_tbPNSt15iterator_traitsISJ_E10value_typeEPNSP_ISK_E10value_typeEPSL_NS1_7vsmem_tEENKUlT_SJ_SK_SL_E_clISE_PtSF_SF_EESI_SY_SJ_SK_SL_EUlSY_E_NS1_11comp_targetILNS1_3genE8ELNS1_11target_archE1030ELNS1_3gpuE2ELNS1_3repE0EEENS1_48merge_mergepath_partition_config_static_selectorELNS0_4arch9wavefront6targetE0EEEvSK_,"axG",@progbits,_ZN7rocprim17ROCPRIM_400000_NS6detail17trampoline_kernelINS0_14default_configENS1_38merge_sort_block_merge_config_selectorItNS0_10empty_typeEEEZZNS1_27merge_sort_block_merge_implIS3_N6thrust23THRUST_200600_302600_NS6detail15normal_iteratorINS9_10device_ptrItEEEEPS5_m11less_div_10ItEEE10hipError_tT0_T1_T2_jT3_P12ihipStream_tbPNSt15iterator_traitsISJ_E10value_typeEPNSP_ISK_E10value_typeEPSL_NS1_7vsmem_tEENKUlT_SJ_SK_SL_E_clISE_PtSF_SF_EESI_SY_SJ_SK_SL_EUlSY_E_NS1_11comp_targetILNS1_3genE8ELNS1_11target_archE1030ELNS1_3gpuE2ELNS1_3repE0EEENS1_48merge_mergepath_partition_config_static_selectorELNS0_4arch9wavefront6targetE0EEEvSK_,comdat
.Lfunc_end273:
	.size	_ZN7rocprim17ROCPRIM_400000_NS6detail17trampoline_kernelINS0_14default_configENS1_38merge_sort_block_merge_config_selectorItNS0_10empty_typeEEEZZNS1_27merge_sort_block_merge_implIS3_N6thrust23THRUST_200600_302600_NS6detail15normal_iteratorINS9_10device_ptrItEEEEPS5_m11less_div_10ItEEE10hipError_tT0_T1_T2_jT3_P12ihipStream_tbPNSt15iterator_traitsISJ_E10value_typeEPNSP_ISK_E10value_typeEPSL_NS1_7vsmem_tEENKUlT_SJ_SK_SL_E_clISE_PtSF_SF_EESI_SY_SJ_SK_SL_EUlSY_E_NS1_11comp_targetILNS1_3genE8ELNS1_11target_archE1030ELNS1_3gpuE2ELNS1_3repE0EEENS1_48merge_mergepath_partition_config_static_selectorELNS0_4arch9wavefront6targetE0EEEvSK_, .Lfunc_end273-_ZN7rocprim17ROCPRIM_400000_NS6detail17trampoline_kernelINS0_14default_configENS1_38merge_sort_block_merge_config_selectorItNS0_10empty_typeEEEZZNS1_27merge_sort_block_merge_implIS3_N6thrust23THRUST_200600_302600_NS6detail15normal_iteratorINS9_10device_ptrItEEEEPS5_m11less_div_10ItEEE10hipError_tT0_T1_T2_jT3_P12ihipStream_tbPNSt15iterator_traitsISJ_E10value_typeEPNSP_ISK_E10value_typeEPSL_NS1_7vsmem_tEENKUlT_SJ_SK_SL_E_clISE_PtSF_SF_EESI_SY_SJ_SK_SL_EUlSY_E_NS1_11comp_targetILNS1_3genE8ELNS1_11target_archE1030ELNS1_3gpuE2ELNS1_3repE0EEENS1_48merge_mergepath_partition_config_static_selectorELNS0_4arch9wavefront6targetE0EEEvSK_
                                        ; -- End function
	.set _ZN7rocprim17ROCPRIM_400000_NS6detail17trampoline_kernelINS0_14default_configENS1_38merge_sort_block_merge_config_selectorItNS0_10empty_typeEEEZZNS1_27merge_sort_block_merge_implIS3_N6thrust23THRUST_200600_302600_NS6detail15normal_iteratorINS9_10device_ptrItEEEEPS5_m11less_div_10ItEEE10hipError_tT0_T1_T2_jT3_P12ihipStream_tbPNSt15iterator_traitsISJ_E10value_typeEPNSP_ISK_E10value_typeEPSL_NS1_7vsmem_tEENKUlT_SJ_SK_SL_E_clISE_PtSF_SF_EESI_SY_SJ_SK_SL_EUlSY_E_NS1_11comp_targetILNS1_3genE8ELNS1_11target_archE1030ELNS1_3gpuE2ELNS1_3repE0EEENS1_48merge_mergepath_partition_config_static_selectorELNS0_4arch9wavefront6targetE0EEEvSK_.num_vgpr, 17
	.set _ZN7rocprim17ROCPRIM_400000_NS6detail17trampoline_kernelINS0_14default_configENS1_38merge_sort_block_merge_config_selectorItNS0_10empty_typeEEEZZNS1_27merge_sort_block_merge_implIS3_N6thrust23THRUST_200600_302600_NS6detail15normal_iteratorINS9_10device_ptrItEEEEPS5_m11less_div_10ItEEE10hipError_tT0_T1_T2_jT3_P12ihipStream_tbPNSt15iterator_traitsISJ_E10value_typeEPNSP_ISK_E10value_typeEPSL_NS1_7vsmem_tEENKUlT_SJ_SK_SL_E_clISE_PtSF_SF_EESI_SY_SJ_SK_SL_EUlSY_E_NS1_11comp_targetILNS1_3genE8ELNS1_11target_archE1030ELNS1_3gpuE2ELNS1_3repE0EEENS1_48merge_mergepath_partition_config_static_selectorELNS0_4arch9wavefront6targetE0EEEvSK_.num_agpr, 0
	.set _ZN7rocprim17ROCPRIM_400000_NS6detail17trampoline_kernelINS0_14default_configENS1_38merge_sort_block_merge_config_selectorItNS0_10empty_typeEEEZZNS1_27merge_sort_block_merge_implIS3_N6thrust23THRUST_200600_302600_NS6detail15normal_iteratorINS9_10device_ptrItEEEEPS5_m11less_div_10ItEEE10hipError_tT0_T1_T2_jT3_P12ihipStream_tbPNSt15iterator_traitsISJ_E10value_typeEPNSP_ISK_E10value_typeEPSL_NS1_7vsmem_tEENKUlT_SJ_SK_SL_E_clISE_PtSF_SF_EESI_SY_SJ_SK_SL_EUlSY_E_NS1_11comp_targetILNS1_3genE8ELNS1_11target_archE1030ELNS1_3gpuE2ELNS1_3repE0EEENS1_48merge_mergepath_partition_config_static_selectorELNS0_4arch9wavefront6targetE0EEEvSK_.numbered_sgpr, 8
	.set _ZN7rocprim17ROCPRIM_400000_NS6detail17trampoline_kernelINS0_14default_configENS1_38merge_sort_block_merge_config_selectorItNS0_10empty_typeEEEZZNS1_27merge_sort_block_merge_implIS3_N6thrust23THRUST_200600_302600_NS6detail15normal_iteratorINS9_10device_ptrItEEEEPS5_m11less_div_10ItEEE10hipError_tT0_T1_T2_jT3_P12ihipStream_tbPNSt15iterator_traitsISJ_E10value_typeEPNSP_ISK_E10value_typeEPSL_NS1_7vsmem_tEENKUlT_SJ_SK_SL_E_clISE_PtSF_SF_EESI_SY_SJ_SK_SL_EUlSY_E_NS1_11comp_targetILNS1_3genE8ELNS1_11target_archE1030ELNS1_3gpuE2ELNS1_3repE0EEENS1_48merge_mergepath_partition_config_static_selectorELNS0_4arch9wavefront6targetE0EEEvSK_.num_named_barrier, 0
	.set _ZN7rocprim17ROCPRIM_400000_NS6detail17trampoline_kernelINS0_14default_configENS1_38merge_sort_block_merge_config_selectorItNS0_10empty_typeEEEZZNS1_27merge_sort_block_merge_implIS3_N6thrust23THRUST_200600_302600_NS6detail15normal_iteratorINS9_10device_ptrItEEEEPS5_m11less_div_10ItEEE10hipError_tT0_T1_T2_jT3_P12ihipStream_tbPNSt15iterator_traitsISJ_E10value_typeEPNSP_ISK_E10value_typeEPSL_NS1_7vsmem_tEENKUlT_SJ_SK_SL_E_clISE_PtSF_SF_EESI_SY_SJ_SK_SL_EUlSY_E_NS1_11comp_targetILNS1_3genE8ELNS1_11target_archE1030ELNS1_3gpuE2ELNS1_3repE0EEENS1_48merge_mergepath_partition_config_static_selectorELNS0_4arch9wavefront6targetE0EEEvSK_.private_seg_size, 0
	.set _ZN7rocprim17ROCPRIM_400000_NS6detail17trampoline_kernelINS0_14default_configENS1_38merge_sort_block_merge_config_selectorItNS0_10empty_typeEEEZZNS1_27merge_sort_block_merge_implIS3_N6thrust23THRUST_200600_302600_NS6detail15normal_iteratorINS9_10device_ptrItEEEEPS5_m11less_div_10ItEEE10hipError_tT0_T1_T2_jT3_P12ihipStream_tbPNSt15iterator_traitsISJ_E10value_typeEPNSP_ISK_E10value_typeEPSL_NS1_7vsmem_tEENKUlT_SJ_SK_SL_E_clISE_PtSF_SF_EESI_SY_SJ_SK_SL_EUlSY_E_NS1_11comp_targetILNS1_3genE8ELNS1_11target_archE1030ELNS1_3gpuE2ELNS1_3repE0EEENS1_48merge_mergepath_partition_config_static_selectorELNS0_4arch9wavefront6targetE0EEEvSK_.uses_vcc, 1
	.set _ZN7rocprim17ROCPRIM_400000_NS6detail17trampoline_kernelINS0_14default_configENS1_38merge_sort_block_merge_config_selectorItNS0_10empty_typeEEEZZNS1_27merge_sort_block_merge_implIS3_N6thrust23THRUST_200600_302600_NS6detail15normal_iteratorINS9_10device_ptrItEEEEPS5_m11less_div_10ItEEE10hipError_tT0_T1_T2_jT3_P12ihipStream_tbPNSt15iterator_traitsISJ_E10value_typeEPNSP_ISK_E10value_typeEPSL_NS1_7vsmem_tEENKUlT_SJ_SK_SL_E_clISE_PtSF_SF_EESI_SY_SJ_SK_SL_EUlSY_E_NS1_11comp_targetILNS1_3genE8ELNS1_11target_archE1030ELNS1_3gpuE2ELNS1_3repE0EEENS1_48merge_mergepath_partition_config_static_selectorELNS0_4arch9wavefront6targetE0EEEvSK_.uses_flat_scratch, 0
	.set _ZN7rocprim17ROCPRIM_400000_NS6detail17trampoline_kernelINS0_14default_configENS1_38merge_sort_block_merge_config_selectorItNS0_10empty_typeEEEZZNS1_27merge_sort_block_merge_implIS3_N6thrust23THRUST_200600_302600_NS6detail15normal_iteratorINS9_10device_ptrItEEEEPS5_m11less_div_10ItEEE10hipError_tT0_T1_T2_jT3_P12ihipStream_tbPNSt15iterator_traitsISJ_E10value_typeEPNSP_ISK_E10value_typeEPSL_NS1_7vsmem_tEENKUlT_SJ_SK_SL_E_clISE_PtSF_SF_EESI_SY_SJ_SK_SL_EUlSY_E_NS1_11comp_targetILNS1_3genE8ELNS1_11target_archE1030ELNS1_3gpuE2ELNS1_3repE0EEENS1_48merge_mergepath_partition_config_static_selectorELNS0_4arch9wavefront6targetE0EEEvSK_.has_dyn_sized_stack, 0
	.set _ZN7rocprim17ROCPRIM_400000_NS6detail17trampoline_kernelINS0_14default_configENS1_38merge_sort_block_merge_config_selectorItNS0_10empty_typeEEEZZNS1_27merge_sort_block_merge_implIS3_N6thrust23THRUST_200600_302600_NS6detail15normal_iteratorINS9_10device_ptrItEEEEPS5_m11less_div_10ItEEE10hipError_tT0_T1_T2_jT3_P12ihipStream_tbPNSt15iterator_traitsISJ_E10value_typeEPNSP_ISK_E10value_typeEPSL_NS1_7vsmem_tEENKUlT_SJ_SK_SL_E_clISE_PtSF_SF_EESI_SY_SJ_SK_SL_EUlSY_E_NS1_11comp_targetILNS1_3genE8ELNS1_11target_archE1030ELNS1_3gpuE2ELNS1_3repE0EEENS1_48merge_mergepath_partition_config_static_selectorELNS0_4arch9wavefront6targetE0EEEvSK_.has_recursion, 0
	.set _ZN7rocprim17ROCPRIM_400000_NS6detail17trampoline_kernelINS0_14default_configENS1_38merge_sort_block_merge_config_selectorItNS0_10empty_typeEEEZZNS1_27merge_sort_block_merge_implIS3_N6thrust23THRUST_200600_302600_NS6detail15normal_iteratorINS9_10device_ptrItEEEEPS5_m11less_div_10ItEEE10hipError_tT0_T1_T2_jT3_P12ihipStream_tbPNSt15iterator_traitsISJ_E10value_typeEPNSP_ISK_E10value_typeEPSL_NS1_7vsmem_tEENKUlT_SJ_SK_SL_E_clISE_PtSF_SF_EESI_SY_SJ_SK_SL_EUlSY_E_NS1_11comp_targetILNS1_3genE8ELNS1_11target_archE1030ELNS1_3gpuE2ELNS1_3repE0EEENS1_48merge_mergepath_partition_config_static_selectorELNS0_4arch9wavefront6targetE0EEEvSK_.has_indirect_call, 0
	.section	.AMDGPU.csdata,"",@progbits
; Kernel info:
; codeLenInByte = 688
; TotalNumSgprs: 10
; NumVgprs: 17
; ScratchSize: 0
; MemoryBound: 0
; FloatMode: 240
; IeeeMode: 1
; LDSByteSize: 0 bytes/workgroup (compile time only)
; SGPRBlocks: 0
; VGPRBlocks: 2
; NumSGPRsForWavesPerEU: 10
; NumVGPRsForWavesPerEU: 17
; Occupancy: 16
; WaveLimiterHint : 0
; COMPUTE_PGM_RSRC2:SCRATCH_EN: 0
; COMPUTE_PGM_RSRC2:USER_SGPR: 6
; COMPUTE_PGM_RSRC2:TRAP_HANDLER: 0
; COMPUTE_PGM_RSRC2:TGID_X_EN: 1
; COMPUTE_PGM_RSRC2:TGID_Y_EN: 0
; COMPUTE_PGM_RSRC2:TGID_Z_EN: 0
; COMPUTE_PGM_RSRC2:TIDIG_COMP_CNT: 0
	.section	.text._ZN7rocprim17ROCPRIM_400000_NS6detail17trampoline_kernelINS0_14default_configENS1_38merge_sort_block_merge_config_selectorItNS0_10empty_typeEEEZZNS1_27merge_sort_block_merge_implIS3_N6thrust23THRUST_200600_302600_NS6detail15normal_iteratorINS9_10device_ptrItEEEEPS5_m11less_div_10ItEEE10hipError_tT0_T1_T2_jT3_P12ihipStream_tbPNSt15iterator_traitsISJ_E10value_typeEPNSP_ISK_E10value_typeEPSL_NS1_7vsmem_tEENKUlT_SJ_SK_SL_E_clISE_PtSF_SF_EESI_SY_SJ_SK_SL_EUlSY_E0_NS1_11comp_targetILNS1_3genE0ELNS1_11target_archE4294967295ELNS1_3gpuE0ELNS1_3repE0EEENS1_38merge_mergepath_config_static_selectorELNS0_4arch9wavefront6targetE0EEEvSK_,"axG",@progbits,_ZN7rocprim17ROCPRIM_400000_NS6detail17trampoline_kernelINS0_14default_configENS1_38merge_sort_block_merge_config_selectorItNS0_10empty_typeEEEZZNS1_27merge_sort_block_merge_implIS3_N6thrust23THRUST_200600_302600_NS6detail15normal_iteratorINS9_10device_ptrItEEEEPS5_m11less_div_10ItEEE10hipError_tT0_T1_T2_jT3_P12ihipStream_tbPNSt15iterator_traitsISJ_E10value_typeEPNSP_ISK_E10value_typeEPSL_NS1_7vsmem_tEENKUlT_SJ_SK_SL_E_clISE_PtSF_SF_EESI_SY_SJ_SK_SL_EUlSY_E0_NS1_11comp_targetILNS1_3genE0ELNS1_11target_archE4294967295ELNS1_3gpuE0ELNS1_3repE0EEENS1_38merge_mergepath_config_static_selectorELNS0_4arch9wavefront6targetE0EEEvSK_,comdat
	.protected	_ZN7rocprim17ROCPRIM_400000_NS6detail17trampoline_kernelINS0_14default_configENS1_38merge_sort_block_merge_config_selectorItNS0_10empty_typeEEEZZNS1_27merge_sort_block_merge_implIS3_N6thrust23THRUST_200600_302600_NS6detail15normal_iteratorINS9_10device_ptrItEEEEPS5_m11less_div_10ItEEE10hipError_tT0_T1_T2_jT3_P12ihipStream_tbPNSt15iterator_traitsISJ_E10value_typeEPNSP_ISK_E10value_typeEPSL_NS1_7vsmem_tEENKUlT_SJ_SK_SL_E_clISE_PtSF_SF_EESI_SY_SJ_SK_SL_EUlSY_E0_NS1_11comp_targetILNS1_3genE0ELNS1_11target_archE4294967295ELNS1_3gpuE0ELNS1_3repE0EEENS1_38merge_mergepath_config_static_selectorELNS0_4arch9wavefront6targetE0EEEvSK_ ; -- Begin function _ZN7rocprim17ROCPRIM_400000_NS6detail17trampoline_kernelINS0_14default_configENS1_38merge_sort_block_merge_config_selectorItNS0_10empty_typeEEEZZNS1_27merge_sort_block_merge_implIS3_N6thrust23THRUST_200600_302600_NS6detail15normal_iteratorINS9_10device_ptrItEEEEPS5_m11less_div_10ItEEE10hipError_tT0_T1_T2_jT3_P12ihipStream_tbPNSt15iterator_traitsISJ_E10value_typeEPNSP_ISK_E10value_typeEPSL_NS1_7vsmem_tEENKUlT_SJ_SK_SL_E_clISE_PtSF_SF_EESI_SY_SJ_SK_SL_EUlSY_E0_NS1_11comp_targetILNS1_3genE0ELNS1_11target_archE4294967295ELNS1_3gpuE0ELNS1_3repE0EEENS1_38merge_mergepath_config_static_selectorELNS0_4arch9wavefront6targetE0EEEvSK_
	.globl	_ZN7rocprim17ROCPRIM_400000_NS6detail17trampoline_kernelINS0_14default_configENS1_38merge_sort_block_merge_config_selectorItNS0_10empty_typeEEEZZNS1_27merge_sort_block_merge_implIS3_N6thrust23THRUST_200600_302600_NS6detail15normal_iteratorINS9_10device_ptrItEEEEPS5_m11less_div_10ItEEE10hipError_tT0_T1_T2_jT3_P12ihipStream_tbPNSt15iterator_traitsISJ_E10value_typeEPNSP_ISK_E10value_typeEPSL_NS1_7vsmem_tEENKUlT_SJ_SK_SL_E_clISE_PtSF_SF_EESI_SY_SJ_SK_SL_EUlSY_E0_NS1_11comp_targetILNS1_3genE0ELNS1_11target_archE4294967295ELNS1_3gpuE0ELNS1_3repE0EEENS1_38merge_mergepath_config_static_selectorELNS0_4arch9wavefront6targetE0EEEvSK_
	.p2align	8
	.type	_ZN7rocprim17ROCPRIM_400000_NS6detail17trampoline_kernelINS0_14default_configENS1_38merge_sort_block_merge_config_selectorItNS0_10empty_typeEEEZZNS1_27merge_sort_block_merge_implIS3_N6thrust23THRUST_200600_302600_NS6detail15normal_iteratorINS9_10device_ptrItEEEEPS5_m11less_div_10ItEEE10hipError_tT0_T1_T2_jT3_P12ihipStream_tbPNSt15iterator_traitsISJ_E10value_typeEPNSP_ISK_E10value_typeEPSL_NS1_7vsmem_tEENKUlT_SJ_SK_SL_E_clISE_PtSF_SF_EESI_SY_SJ_SK_SL_EUlSY_E0_NS1_11comp_targetILNS1_3genE0ELNS1_11target_archE4294967295ELNS1_3gpuE0ELNS1_3repE0EEENS1_38merge_mergepath_config_static_selectorELNS0_4arch9wavefront6targetE0EEEvSK_,@function
_ZN7rocprim17ROCPRIM_400000_NS6detail17trampoline_kernelINS0_14default_configENS1_38merge_sort_block_merge_config_selectorItNS0_10empty_typeEEEZZNS1_27merge_sort_block_merge_implIS3_N6thrust23THRUST_200600_302600_NS6detail15normal_iteratorINS9_10device_ptrItEEEEPS5_m11less_div_10ItEEE10hipError_tT0_T1_T2_jT3_P12ihipStream_tbPNSt15iterator_traitsISJ_E10value_typeEPNSP_ISK_E10value_typeEPSL_NS1_7vsmem_tEENKUlT_SJ_SK_SL_E_clISE_PtSF_SF_EESI_SY_SJ_SK_SL_EUlSY_E0_NS1_11comp_targetILNS1_3genE0ELNS1_11target_archE4294967295ELNS1_3gpuE0ELNS1_3repE0EEENS1_38merge_mergepath_config_static_selectorELNS0_4arch9wavefront6targetE0EEEvSK_: ; @_ZN7rocprim17ROCPRIM_400000_NS6detail17trampoline_kernelINS0_14default_configENS1_38merge_sort_block_merge_config_selectorItNS0_10empty_typeEEEZZNS1_27merge_sort_block_merge_implIS3_N6thrust23THRUST_200600_302600_NS6detail15normal_iteratorINS9_10device_ptrItEEEEPS5_m11less_div_10ItEEE10hipError_tT0_T1_T2_jT3_P12ihipStream_tbPNSt15iterator_traitsISJ_E10value_typeEPNSP_ISK_E10value_typeEPSL_NS1_7vsmem_tEENKUlT_SJ_SK_SL_E_clISE_PtSF_SF_EESI_SY_SJ_SK_SL_EUlSY_E0_NS1_11comp_targetILNS1_3genE0ELNS1_11target_archE4294967295ELNS1_3gpuE0ELNS1_3repE0EEENS1_38merge_mergepath_config_static_selectorELNS0_4arch9wavefront6targetE0EEEvSK_
; %bb.0:
	.section	.rodata,"a",@progbits
	.p2align	6, 0x0
	.amdhsa_kernel _ZN7rocprim17ROCPRIM_400000_NS6detail17trampoline_kernelINS0_14default_configENS1_38merge_sort_block_merge_config_selectorItNS0_10empty_typeEEEZZNS1_27merge_sort_block_merge_implIS3_N6thrust23THRUST_200600_302600_NS6detail15normal_iteratorINS9_10device_ptrItEEEEPS5_m11less_div_10ItEEE10hipError_tT0_T1_T2_jT3_P12ihipStream_tbPNSt15iterator_traitsISJ_E10value_typeEPNSP_ISK_E10value_typeEPSL_NS1_7vsmem_tEENKUlT_SJ_SK_SL_E_clISE_PtSF_SF_EESI_SY_SJ_SK_SL_EUlSY_E0_NS1_11comp_targetILNS1_3genE0ELNS1_11target_archE4294967295ELNS1_3gpuE0ELNS1_3repE0EEENS1_38merge_mergepath_config_static_selectorELNS0_4arch9wavefront6targetE0EEEvSK_
		.amdhsa_group_segment_fixed_size 0
		.amdhsa_private_segment_fixed_size 0
		.amdhsa_kernarg_size 72
		.amdhsa_user_sgpr_count 6
		.amdhsa_user_sgpr_private_segment_buffer 1
		.amdhsa_user_sgpr_dispatch_ptr 0
		.amdhsa_user_sgpr_queue_ptr 0
		.amdhsa_user_sgpr_kernarg_segment_ptr 1
		.amdhsa_user_sgpr_dispatch_id 0
		.amdhsa_user_sgpr_flat_scratch_init 0
		.amdhsa_user_sgpr_private_segment_size 0
		.amdhsa_wavefront_size32 1
		.amdhsa_uses_dynamic_stack 0
		.amdhsa_system_sgpr_private_segment_wavefront_offset 0
		.amdhsa_system_sgpr_workgroup_id_x 1
		.amdhsa_system_sgpr_workgroup_id_y 0
		.amdhsa_system_sgpr_workgroup_id_z 0
		.amdhsa_system_sgpr_workgroup_info 0
		.amdhsa_system_vgpr_workitem_id 0
		.amdhsa_next_free_vgpr 1
		.amdhsa_next_free_sgpr 1
		.amdhsa_reserve_vcc 0
		.amdhsa_reserve_flat_scratch 0
		.amdhsa_float_round_mode_32 0
		.amdhsa_float_round_mode_16_64 0
		.amdhsa_float_denorm_mode_32 3
		.amdhsa_float_denorm_mode_16_64 3
		.amdhsa_dx10_clamp 1
		.amdhsa_ieee_mode 1
		.amdhsa_fp16_overflow 0
		.amdhsa_workgroup_processor_mode 1
		.amdhsa_memory_ordered 1
		.amdhsa_forward_progress 1
		.amdhsa_shared_vgpr_count 0
		.amdhsa_exception_fp_ieee_invalid_op 0
		.amdhsa_exception_fp_denorm_src 0
		.amdhsa_exception_fp_ieee_div_zero 0
		.amdhsa_exception_fp_ieee_overflow 0
		.amdhsa_exception_fp_ieee_underflow 0
		.amdhsa_exception_fp_ieee_inexact 0
		.amdhsa_exception_int_div_zero 0
	.end_amdhsa_kernel
	.section	.text._ZN7rocprim17ROCPRIM_400000_NS6detail17trampoline_kernelINS0_14default_configENS1_38merge_sort_block_merge_config_selectorItNS0_10empty_typeEEEZZNS1_27merge_sort_block_merge_implIS3_N6thrust23THRUST_200600_302600_NS6detail15normal_iteratorINS9_10device_ptrItEEEEPS5_m11less_div_10ItEEE10hipError_tT0_T1_T2_jT3_P12ihipStream_tbPNSt15iterator_traitsISJ_E10value_typeEPNSP_ISK_E10value_typeEPSL_NS1_7vsmem_tEENKUlT_SJ_SK_SL_E_clISE_PtSF_SF_EESI_SY_SJ_SK_SL_EUlSY_E0_NS1_11comp_targetILNS1_3genE0ELNS1_11target_archE4294967295ELNS1_3gpuE0ELNS1_3repE0EEENS1_38merge_mergepath_config_static_selectorELNS0_4arch9wavefront6targetE0EEEvSK_,"axG",@progbits,_ZN7rocprim17ROCPRIM_400000_NS6detail17trampoline_kernelINS0_14default_configENS1_38merge_sort_block_merge_config_selectorItNS0_10empty_typeEEEZZNS1_27merge_sort_block_merge_implIS3_N6thrust23THRUST_200600_302600_NS6detail15normal_iteratorINS9_10device_ptrItEEEEPS5_m11less_div_10ItEEE10hipError_tT0_T1_T2_jT3_P12ihipStream_tbPNSt15iterator_traitsISJ_E10value_typeEPNSP_ISK_E10value_typeEPSL_NS1_7vsmem_tEENKUlT_SJ_SK_SL_E_clISE_PtSF_SF_EESI_SY_SJ_SK_SL_EUlSY_E0_NS1_11comp_targetILNS1_3genE0ELNS1_11target_archE4294967295ELNS1_3gpuE0ELNS1_3repE0EEENS1_38merge_mergepath_config_static_selectorELNS0_4arch9wavefront6targetE0EEEvSK_,comdat
.Lfunc_end274:
	.size	_ZN7rocprim17ROCPRIM_400000_NS6detail17trampoline_kernelINS0_14default_configENS1_38merge_sort_block_merge_config_selectorItNS0_10empty_typeEEEZZNS1_27merge_sort_block_merge_implIS3_N6thrust23THRUST_200600_302600_NS6detail15normal_iteratorINS9_10device_ptrItEEEEPS5_m11less_div_10ItEEE10hipError_tT0_T1_T2_jT3_P12ihipStream_tbPNSt15iterator_traitsISJ_E10value_typeEPNSP_ISK_E10value_typeEPSL_NS1_7vsmem_tEENKUlT_SJ_SK_SL_E_clISE_PtSF_SF_EESI_SY_SJ_SK_SL_EUlSY_E0_NS1_11comp_targetILNS1_3genE0ELNS1_11target_archE4294967295ELNS1_3gpuE0ELNS1_3repE0EEENS1_38merge_mergepath_config_static_selectorELNS0_4arch9wavefront6targetE0EEEvSK_, .Lfunc_end274-_ZN7rocprim17ROCPRIM_400000_NS6detail17trampoline_kernelINS0_14default_configENS1_38merge_sort_block_merge_config_selectorItNS0_10empty_typeEEEZZNS1_27merge_sort_block_merge_implIS3_N6thrust23THRUST_200600_302600_NS6detail15normal_iteratorINS9_10device_ptrItEEEEPS5_m11less_div_10ItEEE10hipError_tT0_T1_T2_jT3_P12ihipStream_tbPNSt15iterator_traitsISJ_E10value_typeEPNSP_ISK_E10value_typeEPSL_NS1_7vsmem_tEENKUlT_SJ_SK_SL_E_clISE_PtSF_SF_EESI_SY_SJ_SK_SL_EUlSY_E0_NS1_11comp_targetILNS1_3genE0ELNS1_11target_archE4294967295ELNS1_3gpuE0ELNS1_3repE0EEENS1_38merge_mergepath_config_static_selectorELNS0_4arch9wavefront6targetE0EEEvSK_
                                        ; -- End function
	.set _ZN7rocprim17ROCPRIM_400000_NS6detail17trampoline_kernelINS0_14default_configENS1_38merge_sort_block_merge_config_selectorItNS0_10empty_typeEEEZZNS1_27merge_sort_block_merge_implIS3_N6thrust23THRUST_200600_302600_NS6detail15normal_iteratorINS9_10device_ptrItEEEEPS5_m11less_div_10ItEEE10hipError_tT0_T1_T2_jT3_P12ihipStream_tbPNSt15iterator_traitsISJ_E10value_typeEPNSP_ISK_E10value_typeEPSL_NS1_7vsmem_tEENKUlT_SJ_SK_SL_E_clISE_PtSF_SF_EESI_SY_SJ_SK_SL_EUlSY_E0_NS1_11comp_targetILNS1_3genE0ELNS1_11target_archE4294967295ELNS1_3gpuE0ELNS1_3repE0EEENS1_38merge_mergepath_config_static_selectorELNS0_4arch9wavefront6targetE0EEEvSK_.num_vgpr, 0
	.set _ZN7rocprim17ROCPRIM_400000_NS6detail17trampoline_kernelINS0_14default_configENS1_38merge_sort_block_merge_config_selectorItNS0_10empty_typeEEEZZNS1_27merge_sort_block_merge_implIS3_N6thrust23THRUST_200600_302600_NS6detail15normal_iteratorINS9_10device_ptrItEEEEPS5_m11less_div_10ItEEE10hipError_tT0_T1_T2_jT3_P12ihipStream_tbPNSt15iterator_traitsISJ_E10value_typeEPNSP_ISK_E10value_typeEPSL_NS1_7vsmem_tEENKUlT_SJ_SK_SL_E_clISE_PtSF_SF_EESI_SY_SJ_SK_SL_EUlSY_E0_NS1_11comp_targetILNS1_3genE0ELNS1_11target_archE4294967295ELNS1_3gpuE0ELNS1_3repE0EEENS1_38merge_mergepath_config_static_selectorELNS0_4arch9wavefront6targetE0EEEvSK_.num_agpr, 0
	.set _ZN7rocprim17ROCPRIM_400000_NS6detail17trampoline_kernelINS0_14default_configENS1_38merge_sort_block_merge_config_selectorItNS0_10empty_typeEEEZZNS1_27merge_sort_block_merge_implIS3_N6thrust23THRUST_200600_302600_NS6detail15normal_iteratorINS9_10device_ptrItEEEEPS5_m11less_div_10ItEEE10hipError_tT0_T1_T2_jT3_P12ihipStream_tbPNSt15iterator_traitsISJ_E10value_typeEPNSP_ISK_E10value_typeEPSL_NS1_7vsmem_tEENKUlT_SJ_SK_SL_E_clISE_PtSF_SF_EESI_SY_SJ_SK_SL_EUlSY_E0_NS1_11comp_targetILNS1_3genE0ELNS1_11target_archE4294967295ELNS1_3gpuE0ELNS1_3repE0EEENS1_38merge_mergepath_config_static_selectorELNS0_4arch9wavefront6targetE0EEEvSK_.numbered_sgpr, 0
	.set _ZN7rocprim17ROCPRIM_400000_NS6detail17trampoline_kernelINS0_14default_configENS1_38merge_sort_block_merge_config_selectorItNS0_10empty_typeEEEZZNS1_27merge_sort_block_merge_implIS3_N6thrust23THRUST_200600_302600_NS6detail15normal_iteratorINS9_10device_ptrItEEEEPS5_m11less_div_10ItEEE10hipError_tT0_T1_T2_jT3_P12ihipStream_tbPNSt15iterator_traitsISJ_E10value_typeEPNSP_ISK_E10value_typeEPSL_NS1_7vsmem_tEENKUlT_SJ_SK_SL_E_clISE_PtSF_SF_EESI_SY_SJ_SK_SL_EUlSY_E0_NS1_11comp_targetILNS1_3genE0ELNS1_11target_archE4294967295ELNS1_3gpuE0ELNS1_3repE0EEENS1_38merge_mergepath_config_static_selectorELNS0_4arch9wavefront6targetE0EEEvSK_.num_named_barrier, 0
	.set _ZN7rocprim17ROCPRIM_400000_NS6detail17trampoline_kernelINS0_14default_configENS1_38merge_sort_block_merge_config_selectorItNS0_10empty_typeEEEZZNS1_27merge_sort_block_merge_implIS3_N6thrust23THRUST_200600_302600_NS6detail15normal_iteratorINS9_10device_ptrItEEEEPS5_m11less_div_10ItEEE10hipError_tT0_T1_T2_jT3_P12ihipStream_tbPNSt15iterator_traitsISJ_E10value_typeEPNSP_ISK_E10value_typeEPSL_NS1_7vsmem_tEENKUlT_SJ_SK_SL_E_clISE_PtSF_SF_EESI_SY_SJ_SK_SL_EUlSY_E0_NS1_11comp_targetILNS1_3genE0ELNS1_11target_archE4294967295ELNS1_3gpuE0ELNS1_3repE0EEENS1_38merge_mergepath_config_static_selectorELNS0_4arch9wavefront6targetE0EEEvSK_.private_seg_size, 0
	.set _ZN7rocprim17ROCPRIM_400000_NS6detail17trampoline_kernelINS0_14default_configENS1_38merge_sort_block_merge_config_selectorItNS0_10empty_typeEEEZZNS1_27merge_sort_block_merge_implIS3_N6thrust23THRUST_200600_302600_NS6detail15normal_iteratorINS9_10device_ptrItEEEEPS5_m11less_div_10ItEEE10hipError_tT0_T1_T2_jT3_P12ihipStream_tbPNSt15iterator_traitsISJ_E10value_typeEPNSP_ISK_E10value_typeEPSL_NS1_7vsmem_tEENKUlT_SJ_SK_SL_E_clISE_PtSF_SF_EESI_SY_SJ_SK_SL_EUlSY_E0_NS1_11comp_targetILNS1_3genE0ELNS1_11target_archE4294967295ELNS1_3gpuE0ELNS1_3repE0EEENS1_38merge_mergepath_config_static_selectorELNS0_4arch9wavefront6targetE0EEEvSK_.uses_vcc, 0
	.set _ZN7rocprim17ROCPRIM_400000_NS6detail17trampoline_kernelINS0_14default_configENS1_38merge_sort_block_merge_config_selectorItNS0_10empty_typeEEEZZNS1_27merge_sort_block_merge_implIS3_N6thrust23THRUST_200600_302600_NS6detail15normal_iteratorINS9_10device_ptrItEEEEPS5_m11less_div_10ItEEE10hipError_tT0_T1_T2_jT3_P12ihipStream_tbPNSt15iterator_traitsISJ_E10value_typeEPNSP_ISK_E10value_typeEPSL_NS1_7vsmem_tEENKUlT_SJ_SK_SL_E_clISE_PtSF_SF_EESI_SY_SJ_SK_SL_EUlSY_E0_NS1_11comp_targetILNS1_3genE0ELNS1_11target_archE4294967295ELNS1_3gpuE0ELNS1_3repE0EEENS1_38merge_mergepath_config_static_selectorELNS0_4arch9wavefront6targetE0EEEvSK_.uses_flat_scratch, 0
	.set _ZN7rocprim17ROCPRIM_400000_NS6detail17trampoline_kernelINS0_14default_configENS1_38merge_sort_block_merge_config_selectorItNS0_10empty_typeEEEZZNS1_27merge_sort_block_merge_implIS3_N6thrust23THRUST_200600_302600_NS6detail15normal_iteratorINS9_10device_ptrItEEEEPS5_m11less_div_10ItEEE10hipError_tT0_T1_T2_jT3_P12ihipStream_tbPNSt15iterator_traitsISJ_E10value_typeEPNSP_ISK_E10value_typeEPSL_NS1_7vsmem_tEENKUlT_SJ_SK_SL_E_clISE_PtSF_SF_EESI_SY_SJ_SK_SL_EUlSY_E0_NS1_11comp_targetILNS1_3genE0ELNS1_11target_archE4294967295ELNS1_3gpuE0ELNS1_3repE0EEENS1_38merge_mergepath_config_static_selectorELNS0_4arch9wavefront6targetE0EEEvSK_.has_dyn_sized_stack, 0
	.set _ZN7rocprim17ROCPRIM_400000_NS6detail17trampoline_kernelINS0_14default_configENS1_38merge_sort_block_merge_config_selectorItNS0_10empty_typeEEEZZNS1_27merge_sort_block_merge_implIS3_N6thrust23THRUST_200600_302600_NS6detail15normal_iteratorINS9_10device_ptrItEEEEPS5_m11less_div_10ItEEE10hipError_tT0_T1_T2_jT3_P12ihipStream_tbPNSt15iterator_traitsISJ_E10value_typeEPNSP_ISK_E10value_typeEPSL_NS1_7vsmem_tEENKUlT_SJ_SK_SL_E_clISE_PtSF_SF_EESI_SY_SJ_SK_SL_EUlSY_E0_NS1_11comp_targetILNS1_3genE0ELNS1_11target_archE4294967295ELNS1_3gpuE0ELNS1_3repE0EEENS1_38merge_mergepath_config_static_selectorELNS0_4arch9wavefront6targetE0EEEvSK_.has_recursion, 0
	.set _ZN7rocprim17ROCPRIM_400000_NS6detail17trampoline_kernelINS0_14default_configENS1_38merge_sort_block_merge_config_selectorItNS0_10empty_typeEEEZZNS1_27merge_sort_block_merge_implIS3_N6thrust23THRUST_200600_302600_NS6detail15normal_iteratorINS9_10device_ptrItEEEEPS5_m11less_div_10ItEEE10hipError_tT0_T1_T2_jT3_P12ihipStream_tbPNSt15iterator_traitsISJ_E10value_typeEPNSP_ISK_E10value_typeEPSL_NS1_7vsmem_tEENKUlT_SJ_SK_SL_E_clISE_PtSF_SF_EESI_SY_SJ_SK_SL_EUlSY_E0_NS1_11comp_targetILNS1_3genE0ELNS1_11target_archE4294967295ELNS1_3gpuE0ELNS1_3repE0EEENS1_38merge_mergepath_config_static_selectorELNS0_4arch9wavefront6targetE0EEEvSK_.has_indirect_call, 0
	.section	.AMDGPU.csdata,"",@progbits
; Kernel info:
; codeLenInByte = 0
; TotalNumSgprs: 0
; NumVgprs: 0
; ScratchSize: 0
; MemoryBound: 0
; FloatMode: 240
; IeeeMode: 1
; LDSByteSize: 0 bytes/workgroup (compile time only)
; SGPRBlocks: 0
; VGPRBlocks: 0
; NumSGPRsForWavesPerEU: 1
; NumVGPRsForWavesPerEU: 1
; Occupancy: 16
; WaveLimiterHint : 0
; COMPUTE_PGM_RSRC2:SCRATCH_EN: 0
; COMPUTE_PGM_RSRC2:USER_SGPR: 6
; COMPUTE_PGM_RSRC2:TRAP_HANDLER: 0
; COMPUTE_PGM_RSRC2:TGID_X_EN: 1
; COMPUTE_PGM_RSRC2:TGID_Y_EN: 0
; COMPUTE_PGM_RSRC2:TGID_Z_EN: 0
; COMPUTE_PGM_RSRC2:TIDIG_COMP_CNT: 0
	.section	.text._ZN7rocprim17ROCPRIM_400000_NS6detail17trampoline_kernelINS0_14default_configENS1_38merge_sort_block_merge_config_selectorItNS0_10empty_typeEEEZZNS1_27merge_sort_block_merge_implIS3_N6thrust23THRUST_200600_302600_NS6detail15normal_iteratorINS9_10device_ptrItEEEEPS5_m11less_div_10ItEEE10hipError_tT0_T1_T2_jT3_P12ihipStream_tbPNSt15iterator_traitsISJ_E10value_typeEPNSP_ISK_E10value_typeEPSL_NS1_7vsmem_tEENKUlT_SJ_SK_SL_E_clISE_PtSF_SF_EESI_SY_SJ_SK_SL_EUlSY_E0_NS1_11comp_targetILNS1_3genE10ELNS1_11target_archE1201ELNS1_3gpuE5ELNS1_3repE0EEENS1_38merge_mergepath_config_static_selectorELNS0_4arch9wavefront6targetE0EEEvSK_,"axG",@progbits,_ZN7rocprim17ROCPRIM_400000_NS6detail17trampoline_kernelINS0_14default_configENS1_38merge_sort_block_merge_config_selectorItNS0_10empty_typeEEEZZNS1_27merge_sort_block_merge_implIS3_N6thrust23THRUST_200600_302600_NS6detail15normal_iteratorINS9_10device_ptrItEEEEPS5_m11less_div_10ItEEE10hipError_tT0_T1_T2_jT3_P12ihipStream_tbPNSt15iterator_traitsISJ_E10value_typeEPNSP_ISK_E10value_typeEPSL_NS1_7vsmem_tEENKUlT_SJ_SK_SL_E_clISE_PtSF_SF_EESI_SY_SJ_SK_SL_EUlSY_E0_NS1_11comp_targetILNS1_3genE10ELNS1_11target_archE1201ELNS1_3gpuE5ELNS1_3repE0EEENS1_38merge_mergepath_config_static_selectorELNS0_4arch9wavefront6targetE0EEEvSK_,comdat
	.protected	_ZN7rocprim17ROCPRIM_400000_NS6detail17trampoline_kernelINS0_14default_configENS1_38merge_sort_block_merge_config_selectorItNS0_10empty_typeEEEZZNS1_27merge_sort_block_merge_implIS3_N6thrust23THRUST_200600_302600_NS6detail15normal_iteratorINS9_10device_ptrItEEEEPS5_m11less_div_10ItEEE10hipError_tT0_T1_T2_jT3_P12ihipStream_tbPNSt15iterator_traitsISJ_E10value_typeEPNSP_ISK_E10value_typeEPSL_NS1_7vsmem_tEENKUlT_SJ_SK_SL_E_clISE_PtSF_SF_EESI_SY_SJ_SK_SL_EUlSY_E0_NS1_11comp_targetILNS1_3genE10ELNS1_11target_archE1201ELNS1_3gpuE5ELNS1_3repE0EEENS1_38merge_mergepath_config_static_selectorELNS0_4arch9wavefront6targetE0EEEvSK_ ; -- Begin function _ZN7rocprim17ROCPRIM_400000_NS6detail17trampoline_kernelINS0_14default_configENS1_38merge_sort_block_merge_config_selectorItNS0_10empty_typeEEEZZNS1_27merge_sort_block_merge_implIS3_N6thrust23THRUST_200600_302600_NS6detail15normal_iteratorINS9_10device_ptrItEEEEPS5_m11less_div_10ItEEE10hipError_tT0_T1_T2_jT3_P12ihipStream_tbPNSt15iterator_traitsISJ_E10value_typeEPNSP_ISK_E10value_typeEPSL_NS1_7vsmem_tEENKUlT_SJ_SK_SL_E_clISE_PtSF_SF_EESI_SY_SJ_SK_SL_EUlSY_E0_NS1_11comp_targetILNS1_3genE10ELNS1_11target_archE1201ELNS1_3gpuE5ELNS1_3repE0EEENS1_38merge_mergepath_config_static_selectorELNS0_4arch9wavefront6targetE0EEEvSK_
	.globl	_ZN7rocprim17ROCPRIM_400000_NS6detail17trampoline_kernelINS0_14default_configENS1_38merge_sort_block_merge_config_selectorItNS0_10empty_typeEEEZZNS1_27merge_sort_block_merge_implIS3_N6thrust23THRUST_200600_302600_NS6detail15normal_iteratorINS9_10device_ptrItEEEEPS5_m11less_div_10ItEEE10hipError_tT0_T1_T2_jT3_P12ihipStream_tbPNSt15iterator_traitsISJ_E10value_typeEPNSP_ISK_E10value_typeEPSL_NS1_7vsmem_tEENKUlT_SJ_SK_SL_E_clISE_PtSF_SF_EESI_SY_SJ_SK_SL_EUlSY_E0_NS1_11comp_targetILNS1_3genE10ELNS1_11target_archE1201ELNS1_3gpuE5ELNS1_3repE0EEENS1_38merge_mergepath_config_static_selectorELNS0_4arch9wavefront6targetE0EEEvSK_
	.p2align	8
	.type	_ZN7rocprim17ROCPRIM_400000_NS6detail17trampoline_kernelINS0_14default_configENS1_38merge_sort_block_merge_config_selectorItNS0_10empty_typeEEEZZNS1_27merge_sort_block_merge_implIS3_N6thrust23THRUST_200600_302600_NS6detail15normal_iteratorINS9_10device_ptrItEEEEPS5_m11less_div_10ItEEE10hipError_tT0_T1_T2_jT3_P12ihipStream_tbPNSt15iterator_traitsISJ_E10value_typeEPNSP_ISK_E10value_typeEPSL_NS1_7vsmem_tEENKUlT_SJ_SK_SL_E_clISE_PtSF_SF_EESI_SY_SJ_SK_SL_EUlSY_E0_NS1_11comp_targetILNS1_3genE10ELNS1_11target_archE1201ELNS1_3gpuE5ELNS1_3repE0EEENS1_38merge_mergepath_config_static_selectorELNS0_4arch9wavefront6targetE0EEEvSK_,@function
_ZN7rocprim17ROCPRIM_400000_NS6detail17trampoline_kernelINS0_14default_configENS1_38merge_sort_block_merge_config_selectorItNS0_10empty_typeEEEZZNS1_27merge_sort_block_merge_implIS3_N6thrust23THRUST_200600_302600_NS6detail15normal_iteratorINS9_10device_ptrItEEEEPS5_m11less_div_10ItEEE10hipError_tT0_T1_T2_jT3_P12ihipStream_tbPNSt15iterator_traitsISJ_E10value_typeEPNSP_ISK_E10value_typeEPSL_NS1_7vsmem_tEENKUlT_SJ_SK_SL_E_clISE_PtSF_SF_EESI_SY_SJ_SK_SL_EUlSY_E0_NS1_11comp_targetILNS1_3genE10ELNS1_11target_archE1201ELNS1_3gpuE5ELNS1_3repE0EEENS1_38merge_mergepath_config_static_selectorELNS0_4arch9wavefront6targetE0EEEvSK_: ; @_ZN7rocprim17ROCPRIM_400000_NS6detail17trampoline_kernelINS0_14default_configENS1_38merge_sort_block_merge_config_selectorItNS0_10empty_typeEEEZZNS1_27merge_sort_block_merge_implIS3_N6thrust23THRUST_200600_302600_NS6detail15normal_iteratorINS9_10device_ptrItEEEEPS5_m11less_div_10ItEEE10hipError_tT0_T1_T2_jT3_P12ihipStream_tbPNSt15iterator_traitsISJ_E10value_typeEPNSP_ISK_E10value_typeEPSL_NS1_7vsmem_tEENKUlT_SJ_SK_SL_E_clISE_PtSF_SF_EESI_SY_SJ_SK_SL_EUlSY_E0_NS1_11comp_targetILNS1_3genE10ELNS1_11target_archE1201ELNS1_3gpuE5ELNS1_3repE0EEENS1_38merge_mergepath_config_static_selectorELNS0_4arch9wavefront6targetE0EEEvSK_
; %bb.0:
	.section	.rodata,"a",@progbits
	.p2align	6, 0x0
	.amdhsa_kernel _ZN7rocprim17ROCPRIM_400000_NS6detail17trampoline_kernelINS0_14default_configENS1_38merge_sort_block_merge_config_selectorItNS0_10empty_typeEEEZZNS1_27merge_sort_block_merge_implIS3_N6thrust23THRUST_200600_302600_NS6detail15normal_iteratorINS9_10device_ptrItEEEEPS5_m11less_div_10ItEEE10hipError_tT0_T1_T2_jT3_P12ihipStream_tbPNSt15iterator_traitsISJ_E10value_typeEPNSP_ISK_E10value_typeEPSL_NS1_7vsmem_tEENKUlT_SJ_SK_SL_E_clISE_PtSF_SF_EESI_SY_SJ_SK_SL_EUlSY_E0_NS1_11comp_targetILNS1_3genE10ELNS1_11target_archE1201ELNS1_3gpuE5ELNS1_3repE0EEENS1_38merge_mergepath_config_static_selectorELNS0_4arch9wavefront6targetE0EEEvSK_
		.amdhsa_group_segment_fixed_size 0
		.amdhsa_private_segment_fixed_size 0
		.amdhsa_kernarg_size 72
		.amdhsa_user_sgpr_count 6
		.amdhsa_user_sgpr_private_segment_buffer 1
		.amdhsa_user_sgpr_dispatch_ptr 0
		.amdhsa_user_sgpr_queue_ptr 0
		.amdhsa_user_sgpr_kernarg_segment_ptr 1
		.amdhsa_user_sgpr_dispatch_id 0
		.amdhsa_user_sgpr_flat_scratch_init 0
		.amdhsa_user_sgpr_private_segment_size 0
		.amdhsa_wavefront_size32 1
		.amdhsa_uses_dynamic_stack 0
		.amdhsa_system_sgpr_private_segment_wavefront_offset 0
		.amdhsa_system_sgpr_workgroup_id_x 1
		.amdhsa_system_sgpr_workgroup_id_y 0
		.amdhsa_system_sgpr_workgroup_id_z 0
		.amdhsa_system_sgpr_workgroup_info 0
		.amdhsa_system_vgpr_workitem_id 0
		.amdhsa_next_free_vgpr 1
		.amdhsa_next_free_sgpr 1
		.amdhsa_reserve_vcc 0
		.amdhsa_reserve_flat_scratch 0
		.amdhsa_float_round_mode_32 0
		.amdhsa_float_round_mode_16_64 0
		.amdhsa_float_denorm_mode_32 3
		.amdhsa_float_denorm_mode_16_64 3
		.amdhsa_dx10_clamp 1
		.amdhsa_ieee_mode 1
		.amdhsa_fp16_overflow 0
		.amdhsa_workgroup_processor_mode 1
		.amdhsa_memory_ordered 1
		.amdhsa_forward_progress 1
		.amdhsa_shared_vgpr_count 0
		.amdhsa_exception_fp_ieee_invalid_op 0
		.amdhsa_exception_fp_denorm_src 0
		.amdhsa_exception_fp_ieee_div_zero 0
		.amdhsa_exception_fp_ieee_overflow 0
		.amdhsa_exception_fp_ieee_underflow 0
		.amdhsa_exception_fp_ieee_inexact 0
		.amdhsa_exception_int_div_zero 0
	.end_amdhsa_kernel
	.section	.text._ZN7rocprim17ROCPRIM_400000_NS6detail17trampoline_kernelINS0_14default_configENS1_38merge_sort_block_merge_config_selectorItNS0_10empty_typeEEEZZNS1_27merge_sort_block_merge_implIS3_N6thrust23THRUST_200600_302600_NS6detail15normal_iteratorINS9_10device_ptrItEEEEPS5_m11less_div_10ItEEE10hipError_tT0_T1_T2_jT3_P12ihipStream_tbPNSt15iterator_traitsISJ_E10value_typeEPNSP_ISK_E10value_typeEPSL_NS1_7vsmem_tEENKUlT_SJ_SK_SL_E_clISE_PtSF_SF_EESI_SY_SJ_SK_SL_EUlSY_E0_NS1_11comp_targetILNS1_3genE10ELNS1_11target_archE1201ELNS1_3gpuE5ELNS1_3repE0EEENS1_38merge_mergepath_config_static_selectorELNS0_4arch9wavefront6targetE0EEEvSK_,"axG",@progbits,_ZN7rocprim17ROCPRIM_400000_NS6detail17trampoline_kernelINS0_14default_configENS1_38merge_sort_block_merge_config_selectorItNS0_10empty_typeEEEZZNS1_27merge_sort_block_merge_implIS3_N6thrust23THRUST_200600_302600_NS6detail15normal_iteratorINS9_10device_ptrItEEEEPS5_m11less_div_10ItEEE10hipError_tT0_T1_T2_jT3_P12ihipStream_tbPNSt15iterator_traitsISJ_E10value_typeEPNSP_ISK_E10value_typeEPSL_NS1_7vsmem_tEENKUlT_SJ_SK_SL_E_clISE_PtSF_SF_EESI_SY_SJ_SK_SL_EUlSY_E0_NS1_11comp_targetILNS1_3genE10ELNS1_11target_archE1201ELNS1_3gpuE5ELNS1_3repE0EEENS1_38merge_mergepath_config_static_selectorELNS0_4arch9wavefront6targetE0EEEvSK_,comdat
.Lfunc_end275:
	.size	_ZN7rocprim17ROCPRIM_400000_NS6detail17trampoline_kernelINS0_14default_configENS1_38merge_sort_block_merge_config_selectorItNS0_10empty_typeEEEZZNS1_27merge_sort_block_merge_implIS3_N6thrust23THRUST_200600_302600_NS6detail15normal_iteratorINS9_10device_ptrItEEEEPS5_m11less_div_10ItEEE10hipError_tT0_T1_T2_jT3_P12ihipStream_tbPNSt15iterator_traitsISJ_E10value_typeEPNSP_ISK_E10value_typeEPSL_NS1_7vsmem_tEENKUlT_SJ_SK_SL_E_clISE_PtSF_SF_EESI_SY_SJ_SK_SL_EUlSY_E0_NS1_11comp_targetILNS1_3genE10ELNS1_11target_archE1201ELNS1_3gpuE5ELNS1_3repE0EEENS1_38merge_mergepath_config_static_selectorELNS0_4arch9wavefront6targetE0EEEvSK_, .Lfunc_end275-_ZN7rocprim17ROCPRIM_400000_NS6detail17trampoline_kernelINS0_14default_configENS1_38merge_sort_block_merge_config_selectorItNS0_10empty_typeEEEZZNS1_27merge_sort_block_merge_implIS3_N6thrust23THRUST_200600_302600_NS6detail15normal_iteratorINS9_10device_ptrItEEEEPS5_m11less_div_10ItEEE10hipError_tT0_T1_T2_jT3_P12ihipStream_tbPNSt15iterator_traitsISJ_E10value_typeEPNSP_ISK_E10value_typeEPSL_NS1_7vsmem_tEENKUlT_SJ_SK_SL_E_clISE_PtSF_SF_EESI_SY_SJ_SK_SL_EUlSY_E0_NS1_11comp_targetILNS1_3genE10ELNS1_11target_archE1201ELNS1_3gpuE5ELNS1_3repE0EEENS1_38merge_mergepath_config_static_selectorELNS0_4arch9wavefront6targetE0EEEvSK_
                                        ; -- End function
	.set _ZN7rocprim17ROCPRIM_400000_NS6detail17trampoline_kernelINS0_14default_configENS1_38merge_sort_block_merge_config_selectorItNS0_10empty_typeEEEZZNS1_27merge_sort_block_merge_implIS3_N6thrust23THRUST_200600_302600_NS6detail15normal_iteratorINS9_10device_ptrItEEEEPS5_m11less_div_10ItEEE10hipError_tT0_T1_T2_jT3_P12ihipStream_tbPNSt15iterator_traitsISJ_E10value_typeEPNSP_ISK_E10value_typeEPSL_NS1_7vsmem_tEENKUlT_SJ_SK_SL_E_clISE_PtSF_SF_EESI_SY_SJ_SK_SL_EUlSY_E0_NS1_11comp_targetILNS1_3genE10ELNS1_11target_archE1201ELNS1_3gpuE5ELNS1_3repE0EEENS1_38merge_mergepath_config_static_selectorELNS0_4arch9wavefront6targetE0EEEvSK_.num_vgpr, 0
	.set _ZN7rocprim17ROCPRIM_400000_NS6detail17trampoline_kernelINS0_14default_configENS1_38merge_sort_block_merge_config_selectorItNS0_10empty_typeEEEZZNS1_27merge_sort_block_merge_implIS3_N6thrust23THRUST_200600_302600_NS6detail15normal_iteratorINS9_10device_ptrItEEEEPS5_m11less_div_10ItEEE10hipError_tT0_T1_T2_jT3_P12ihipStream_tbPNSt15iterator_traitsISJ_E10value_typeEPNSP_ISK_E10value_typeEPSL_NS1_7vsmem_tEENKUlT_SJ_SK_SL_E_clISE_PtSF_SF_EESI_SY_SJ_SK_SL_EUlSY_E0_NS1_11comp_targetILNS1_3genE10ELNS1_11target_archE1201ELNS1_3gpuE5ELNS1_3repE0EEENS1_38merge_mergepath_config_static_selectorELNS0_4arch9wavefront6targetE0EEEvSK_.num_agpr, 0
	.set _ZN7rocprim17ROCPRIM_400000_NS6detail17trampoline_kernelINS0_14default_configENS1_38merge_sort_block_merge_config_selectorItNS0_10empty_typeEEEZZNS1_27merge_sort_block_merge_implIS3_N6thrust23THRUST_200600_302600_NS6detail15normal_iteratorINS9_10device_ptrItEEEEPS5_m11less_div_10ItEEE10hipError_tT0_T1_T2_jT3_P12ihipStream_tbPNSt15iterator_traitsISJ_E10value_typeEPNSP_ISK_E10value_typeEPSL_NS1_7vsmem_tEENKUlT_SJ_SK_SL_E_clISE_PtSF_SF_EESI_SY_SJ_SK_SL_EUlSY_E0_NS1_11comp_targetILNS1_3genE10ELNS1_11target_archE1201ELNS1_3gpuE5ELNS1_3repE0EEENS1_38merge_mergepath_config_static_selectorELNS0_4arch9wavefront6targetE0EEEvSK_.numbered_sgpr, 0
	.set _ZN7rocprim17ROCPRIM_400000_NS6detail17trampoline_kernelINS0_14default_configENS1_38merge_sort_block_merge_config_selectorItNS0_10empty_typeEEEZZNS1_27merge_sort_block_merge_implIS3_N6thrust23THRUST_200600_302600_NS6detail15normal_iteratorINS9_10device_ptrItEEEEPS5_m11less_div_10ItEEE10hipError_tT0_T1_T2_jT3_P12ihipStream_tbPNSt15iterator_traitsISJ_E10value_typeEPNSP_ISK_E10value_typeEPSL_NS1_7vsmem_tEENKUlT_SJ_SK_SL_E_clISE_PtSF_SF_EESI_SY_SJ_SK_SL_EUlSY_E0_NS1_11comp_targetILNS1_3genE10ELNS1_11target_archE1201ELNS1_3gpuE5ELNS1_3repE0EEENS1_38merge_mergepath_config_static_selectorELNS0_4arch9wavefront6targetE0EEEvSK_.num_named_barrier, 0
	.set _ZN7rocprim17ROCPRIM_400000_NS6detail17trampoline_kernelINS0_14default_configENS1_38merge_sort_block_merge_config_selectorItNS0_10empty_typeEEEZZNS1_27merge_sort_block_merge_implIS3_N6thrust23THRUST_200600_302600_NS6detail15normal_iteratorINS9_10device_ptrItEEEEPS5_m11less_div_10ItEEE10hipError_tT0_T1_T2_jT3_P12ihipStream_tbPNSt15iterator_traitsISJ_E10value_typeEPNSP_ISK_E10value_typeEPSL_NS1_7vsmem_tEENKUlT_SJ_SK_SL_E_clISE_PtSF_SF_EESI_SY_SJ_SK_SL_EUlSY_E0_NS1_11comp_targetILNS1_3genE10ELNS1_11target_archE1201ELNS1_3gpuE5ELNS1_3repE0EEENS1_38merge_mergepath_config_static_selectorELNS0_4arch9wavefront6targetE0EEEvSK_.private_seg_size, 0
	.set _ZN7rocprim17ROCPRIM_400000_NS6detail17trampoline_kernelINS0_14default_configENS1_38merge_sort_block_merge_config_selectorItNS0_10empty_typeEEEZZNS1_27merge_sort_block_merge_implIS3_N6thrust23THRUST_200600_302600_NS6detail15normal_iteratorINS9_10device_ptrItEEEEPS5_m11less_div_10ItEEE10hipError_tT0_T1_T2_jT3_P12ihipStream_tbPNSt15iterator_traitsISJ_E10value_typeEPNSP_ISK_E10value_typeEPSL_NS1_7vsmem_tEENKUlT_SJ_SK_SL_E_clISE_PtSF_SF_EESI_SY_SJ_SK_SL_EUlSY_E0_NS1_11comp_targetILNS1_3genE10ELNS1_11target_archE1201ELNS1_3gpuE5ELNS1_3repE0EEENS1_38merge_mergepath_config_static_selectorELNS0_4arch9wavefront6targetE0EEEvSK_.uses_vcc, 0
	.set _ZN7rocprim17ROCPRIM_400000_NS6detail17trampoline_kernelINS0_14default_configENS1_38merge_sort_block_merge_config_selectorItNS0_10empty_typeEEEZZNS1_27merge_sort_block_merge_implIS3_N6thrust23THRUST_200600_302600_NS6detail15normal_iteratorINS9_10device_ptrItEEEEPS5_m11less_div_10ItEEE10hipError_tT0_T1_T2_jT3_P12ihipStream_tbPNSt15iterator_traitsISJ_E10value_typeEPNSP_ISK_E10value_typeEPSL_NS1_7vsmem_tEENKUlT_SJ_SK_SL_E_clISE_PtSF_SF_EESI_SY_SJ_SK_SL_EUlSY_E0_NS1_11comp_targetILNS1_3genE10ELNS1_11target_archE1201ELNS1_3gpuE5ELNS1_3repE0EEENS1_38merge_mergepath_config_static_selectorELNS0_4arch9wavefront6targetE0EEEvSK_.uses_flat_scratch, 0
	.set _ZN7rocprim17ROCPRIM_400000_NS6detail17trampoline_kernelINS0_14default_configENS1_38merge_sort_block_merge_config_selectorItNS0_10empty_typeEEEZZNS1_27merge_sort_block_merge_implIS3_N6thrust23THRUST_200600_302600_NS6detail15normal_iteratorINS9_10device_ptrItEEEEPS5_m11less_div_10ItEEE10hipError_tT0_T1_T2_jT3_P12ihipStream_tbPNSt15iterator_traitsISJ_E10value_typeEPNSP_ISK_E10value_typeEPSL_NS1_7vsmem_tEENKUlT_SJ_SK_SL_E_clISE_PtSF_SF_EESI_SY_SJ_SK_SL_EUlSY_E0_NS1_11comp_targetILNS1_3genE10ELNS1_11target_archE1201ELNS1_3gpuE5ELNS1_3repE0EEENS1_38merge_mergepath_config_static_selectorELNS0_4arch9wavefront6targetE0EEEvSK_.has_dyn_sized_stack, 0
	.set _ZN7rocprim17ROCPRIM_400000_NS6detail17trampoline_kernelINS0_14default_configENS1_38merge_sort_block_merge_config_selectorItNS0_10empty_typeEEEZZNS1_27merge_sort_block_merge_implIS3_N6thrust23THRUST_200600_302600_NS6detail15normal_iteratorINS9_10device_ptrItEEEEPS5_m11less_div_10ItEEE10hipError_tT0_T1_T2_jT3_P12ihipStream_tbPNSt15iterator_traitsISJ_E10value_typeEPNSP_ISK_E10value_typeEPSL_NS1_7vsmem_tEENKUlT_SJ_SK_SL_E_clISE_PtSF_SF_EESI_SY_SJ_SK_SL_EUlSY_E0_NS1_11comp_targetILNS1_3genE10ELNS1_11target_archE1201ELNS1_3gpuE5ELNS1_3repE0EEENS1_38merge_mergepath_config_static_selectorELNS0_4arch9wavefront6targetE0EEEvSK_.has_recursion, 0
	.set _ZN7rocprim17ROCPRIM_400000_NS6detail17trampoline_kernelINS0_14default_configENS1_38merge_sort_block_merge_config_selectorItNS0_10empty_typeEEEZZNS1_27merge_sort_block_merge_implIS3_N6thrust23THRUST_200600_302600_NS6detail15normal_iteratorINS9_10device_ptrItEEEEPS5_m11less_div_10ItEEE10hipError_tT0_T1_T2_jT3_P12ihipStream_tbPNSt15iterator_traitsISJ_E10value_typeEPNSP_ISK_E10value_typeEPSL_NS1_7vsmem_tEENKUlT_SJ_SK_SL_E_clISE_PtSF_SF_EESI_SY_SJ_SK_SL_EUlSY_E0_NS1_11comp_targetILNS1_3genE10ELNS1_11target_archE1201ELNS1_3gpuE5ELNS1_3repE0EEENS1_38merge_mergepath_config_static_selectorELNS0_4arch9wavefront6targetE0EEEvSK_.has_indirect_call, 0
	.section	.AMDGPU.csdata,"",@progbits
; Kernel info:
; codeLenInByte = 0
; TotalNumSgprs: 0
; NumVgprs: 0
; ScratchSize: 0
; MemoryBound: 0
; FloatMode: 240
; IeeeMode: 1
; LDSByteSize: 0 bytes/workgroup (compile time only)
; SGPRBlocks: 0
; VGPRBlocks: 0
; NumSGPRsForWavesPerEU: 1
; NumVGPRsForWavesPerEU: 1
; Occupancy: 16
; WaveLimiterHint : 0
; COMPUTE_PGM_RSRC2:SCRATCH_EN: 0
; COMPUTE_PGM_RSRC2:USER_SGPR: 6
; COMPUTE_PGM_RSRC2:TRAP_HANDLER: 0
; COMPUTE_PGM_RSRC2:TGID_X_EN: 1
; COMPUTE_PGM_RSRC2:TGID_Y_EN: 0
; COMPUTE_PGM_RSRC2:TGID_Z_EN: 0
; COMPUTE_PGM_RSRC2:TIDIG_COMP_CNT: 0
	.section	.text._ZN7rocprim17ROCPRIM_400000_NS6detail17trampoline_kernelINS0_14default_configENS1_38merge_sort_block_merge_config_selectorItNS0_10empty_typeEEEZZNS1_27merge_sort_block_merge_implIS3_N6thrust23THRUST_200600_302600_NS6detail15normal_iteratorINS9_10device_ptrItEEEEPS5_m11less_div_10ItEEE10hipError_tT0_T1_T2_jT3_P12ihipStream_tbPNSt15iterator_traitsISJ_E10value_typeEPNSP_ISK_E10value_typeEPSL_NS1_7vsmem_tEENKUlT_SJ_SK_SL_E_clISE_PtSF_SF_EESI_SY_SJ_SK_SL_EUlSY_E0_NS1_11comp_targetILNS1_3genE5ELNS1_11target_archE942ELNS1_3gpuE9ELNS1_3repE0EEENS1_38merge_mergepath_config_static_selectorELNS0_4arch9wavefront6targetE0EEEvSK_,"axG",@progbits,_ZN7rocprim17ROCPRIM_400000_NS6detail17trampoline_kernelINS0_14default_configENS1_38merge_sort_block_merge_config_selectorItNS0_10empty_typeEEEZZNS1_27merge_sort_block_merge_implIS3_N6thrust23THRUST_200600_302600_NS6detail15normal_iteratorINS9_10device_ptrItEEEEPS5_m11less_div_10ItEEE10hipError_tT0_T1_T2_jT3_P12ihipStream_tbPNSt15iterator_traitsISJ_E10value_typeEPNSP_ISK_E10value_typeEPSL_NS1_7vsmem_tEENKUlT_SJ_SK_SL_E_clISE_PtSF_SF_EESI_SY_SJ_SK_SL_EUlSY_E0_NS1_11comp_targetILNS1_3genE5ELNS1_11target_archE942ELNS1_3gpuE9ELNS1_3repE0EEENS1_38merge_mergepath_config_static_selectorELNS0_4arch9wavefront6targetE0EEEvSK_,comdat
	.protected	_ZN7rocprim17ROCPRIM_400000_NS6detail17trampoline_kernelINS0_14default_configENS1_38merge_sort_block_merge_config_selectorItNS0_10empty_typeEEEZZNS1_27merge_sort_block_merge_implIS3_N6thrust23THRUST_200600_302600_NS6detail15normal_iteratorINS9_10device_ptrItEEEEPS5_m11less_div_10ItEEE10hipError_tT0_T1_T2_jT3_P12ihipStream_tbPNSt15iterator_traitsISJ_E10value_typeEPNSP_ISK_E10value_typeEPSL_NS1_7vsmem_tEENKUlT_SJ_SK_SL_E_clISE_PtSF_SF_EESI_SY_SJ_SK_SL_EUlSY_E0_NS1_11comp_targetILNS1_3genE5ELNS1_11target_archE942ELNS1_3gpuE9ELNS1_3repE0EEENS1_38merge_mergepath_config_static_selectorELNS0_4arch9wavefront6targetE0EEEvSK_ ; -- Begin function _ZN7rocprim17ROCPRIM_400000_NS6detail17trampoline_kernelINS0_14default_configENS1_38merge_sort_block_merge_config_selectorItNS0_10empty_typeEEEZZNS1_27merge_sort_block_merge_implIS3_N6thrust23THRUST_200600_302600_NS6detail15normal_iteratorINS9_10device_ptrItEEEEPS5_m11less_div_10ItEEE10hipError_tT0_T1_T2_jT3_P12ihipStream_tbPNSt15iterator_traitsISJ_E10value_typeEPNSP_ISK_E10value_typeEPSL_NS1_7vsmem_tEENKUlT_SJ_SK_SL_E_clISE_PtSF_SF_EESI_SY_SJ_SK_SL_EUlSY_E0_NS1_11comp_targetILNS1_3genE5ELNS1_11target_archE942ELNS1_3gpuE9ELNS1_3repE0EEENS1_38merge_mergepath_config_static_selectorELNS0_4arch9wavefront6targetE0EEEvSK_
	.globl	_ZN7rocprim17ROCPRIM_400000_NS6detail17trampoline_kernelINS0_14default_configENS1_38merge_sort_block_merge_config_selectorItNS0_10empty_typeEEEZZNS1_27merge_sort_block_merge_implIS3_N6thrust23THRUST_200600_302600_NS6detail15normal_iteratorINS9_10device_ptrItEEEEPS5_m11less_div_10ItEEE10hipError_tT0_T1_T2_jT3_P12ihipStream_tbPNSt15iterator_traitsISJ_E10value_typeEPNSP_ISK_E10value_typeEPSL_NS1_7vsmem_tEENKUlT_SJ_SK_SL_E_clISE_PtSF_SF_EESI_SY_SJ_SK_SL_EUlSY_E0_NS1_11comp_targetILNS1_3genE5ELNS1_11target_archE942ELNS1_3gpuE9ELNS1_3repE0EEENS1_38merge_mergepath_config_static_selectorELNS0_4arch9wavefront6targetE0EEEvSK_
	.p2align	8
	.type	_ZN7rocprim17ROCPRIM_400000_NS6detail17trampoline_kernelINS0_14default_configENS1_38merge_sort_block_merge_config_selectorItNS0_10empty_typeEEEZZNS1_27merge_sort_block_merge_implIS3_N6thrust23THRUST_200600_302600_NS6detail15normal_iteratorINS9_10device_ptrItEEEEPS5_m11less_div_10ItEEE10hipError_tT0_T1_T2_jT3_P12ihipStream_tbPNSt15iterator_traitsISJ_E10value_typeEPNSP_ISK_E10value_typeEPSL_NS1_7vsmem_tEENKUlT_SJ_SK_SL_E_clISE_PtSF_SF_EESI_SY_SJ_SK_SL_EUlSY_E0_NS1_11comp_targetILNS1_3genE5ELNS1_11target_archE942ELNS1_3gpuE9ELNS1_3repE0EEENS1_38merge_mergepath_config_static_selectorELNS0_4arch9wavefront6targetE0EEEvSK_,@function
_ZN7rocprim17ROCPRIM_400000_NS6detail17trampoline_kernelINS0_14default_configENS1_38merge_sort_block_merge_config_selectorItNS0_10empty_typeEEEZZNS1_27merge_sort_block_merge_implIS3_N6thrust23THRUST_200600_302600_NS6detail15normal_iteratorINS9_10device_ptrItEEEEPS5_m11less_div_10ItEEE10hipError_tT0_T1_T2_jT3_P12ihipStream_tbPNSt15iterator_traitsISJ_E10value_typeEPNSP_ISK_E10value_typeEPSL_NS1_7vsmem_tEENKUlT_SJ_SK_SL_E_clISE_PtSF_SF_EESI_SY_SJ_SK_SL_EUlSY_E0_NS1_11comp_targetILNS1_3genE5ELNS1_11target_archE942ELNS1_3gpuE9ELNS1_3repE0EEENS1_38merge_mergepath_config_static_selectorELNS0_4arch9wavefront6targetE0EEEvSK_: ; @_ZN7rocprim17ROCPRIM_400000_NS6detail17trampoline_kernelINS0_14default_configENS1_38merge_sort_block_merge_config_selectorItNS0_10empty_typeEEEZZNS1_27merge_sort_block_merge_implIS3_N6thrust23THRUST_200600_302600_NS6detail15normal_iteratorINS9_10device_ptrItEEEEPS5_m11less_div_10ItEEE10hipError_tT0_T1_T2_jT3_P12ihipStream_tbPNSt15iterator_traitsISJ_E10value_typeEPNSP_ISK_E10value_typeEPSL_NS1_7vsmem_tEENKUlT_SJ_SK_SL_E_clISE_PtSF_SF_EESI_SY_SJ_SK_SL_EUlSY_E0_NS1_11comp_targetILNS1_3genE5ELNS1_11target_archE942ELNS1_3gpuE9ELNS1_3repE0EEENS1_38merge_mergepath_config_static_selectorELNS0_4arch9wavefront6targetE0EEEvSK_
; %bb.0:
	.section	.rodata,"a",@progbits
	.p2align	6, 0x0
	.amdhsa_kernel _ZN7rocprim17ROCPRIM_400000_NS6detail17trampoline_kernelINS0_14default_configENS1_38merge_sort_block_merge_config_selectorItNS0_10empty_typeEEEZZNS1_27merge_sort_block_merge_implIS3_N6thrust23THRUST_200600_302600_NS6detail15normal_iteratorINS9_10device_ptrItEEEEPS5_m11less_div_10ItEEE10hipError_tT0_T1_T2_jT3_P12ihipStream_tbPNSt15iterator_traitsISJ_E10value_typeEPNSP_ISK_E10value_typeEPSL_NS1_7vsmem_tEENKUlT_SJ_SK_SL_E_clISE_PtSF_SF_EESI_SY_SJ_SK_SL_EUlSY_E0_NS1_11comp_targetILNS1_3genE5ELNS1_11target_archE942ELNS1_3gpuE9ELNS1_3repE0EEENS1_38merge_mergepath_config_static_selectorELNS0_4arch9wavefront6targetE0EEEvSK_
		.amdhsa_group_segment_fixed_size 0
		.amdhsa_private_segment_fixed_size 0
		.amdhsa_kernarg_size 72
		.amdhsa_user_sgpr_count 6
		.amdhsa_user_sgpr_private_segment_buffer 1
		.amdhsa_user_sgpr_dispatch_ptr 0
		.amdhsa_user_sgpr_queue_ptr 0
		.amdhsa_user_sgpr_kernarg_segment_ptr 1
		.amdhsa_user_sgpr_dispatch_id 0
		.amdhsa_user_sgpr_flat_scratch_init 0
		.amdhsa_user_sgpr_private_segment_size 0
		.amdhsa_wavefront_size32 1
		.amdhsa_uses_dynamic_stack 0
		.amdhsa_system_sgpr_private_segment_wavefront_offset 0
		.amdhsa_system_sgpr_workgroup_id_x 1
		.amdhsa_system_sgpr_workgroup_id_y 0
		.amdhsa_system_sgpr_workgroup_id_z 0
		.amdhsa_system_sgpr_workgroup_info 0
		.amdhsa_system_vgpr_workitem_id 0
		.amdhsa_next_free_vgpr 1
		.amdhsa_next_free_sgpr 1
		.amdhsa_reserve_vcc 0
		.amdhsa_reserve_flat_scratch 0
		.amdhsa_float_round_mode_32 0
		.amdhsa_float_round_mode_16_64 0
		.amdhsa_float_denorm_mode_32 3
		.amdhsa_float_denorm_mode_16_64 3
		.amdhsa_dx10_clamp 1
		.amdhsa_ieee_mode 1
		.amdhsa_fp16_overflow 0
		.amdhsa_workgroup_processor_mode 1
		.amdhsa_memory_ordered 1
		.amdhsa_forward_progress 1
		.amdhsa_shared_vgpr_count 0
		.amdhsa_exception_fp_ieee_invalid_op 0
		.amdhsa_exception_fp_denorm_src 0
		.amdhsa_exception_fp_ieee_div_zero 0
		.amdhsa_exception_fp_ieee_overflow 0
		.amdhsa_exception_fp_ieee_underflow 0
		.amdhsa_exception_fp_ieee_inexact 0
		.amdhsa_exception_int_div_zero 0
	.end_amdhsa_kernel
	.section	.text._ZN7rocprim17ROCPRIM_400000_NS6detail17trampoline_kernelINS0_14default_configENS1_38merge_sort_block_merge_config_selectorItNS0_10empty_typeEEEZZNS1_27merge_sort_block_merge_implIS3_N6thrust23THRUST_200600_302600_NS6detail15normal_iteratorINS9_10device_ptrItEEEEPS5_m11less_div_10ItEEE10hipError_tT0_T1_T2_jT3_P12ihipStream_tbPNSt15iterator_traitsISJ_E10value_typeEPNSP_ISK_E10value_typeEPSL_NS1_7vsmem_tEENKUlT_SJ_SK_SL_E_clISE_PtSF_SF_EESI_SY_SJ_SK_SL_EUlSY_E0_NS1_11comp_targetILNS1_3genE5ELNS1_11target_archE942ELNS1_3gpuE9ELNS1_3repE0EEENS1_38merge_mergepath_config_static_selectorELNS0_4arch9wavefront6targetE0EEEvSK_,"axG",@progbits,_ZN7rocprim17ROCPRIM_400000_NS6detail17trampoline_kernelINS0_14default_configENS1_38merge_sort_block_merge_config_selectorItNS0_10empty_typeEEEZZNS1_27merge_sort_block_merge_implIS3_N6thrust23THRUST_200600_302600_NS6detail15normal_iteratorINS9_10device_ptrItEEEEPS5_m11less_div_10ItEEE10hipError_tT0_T1_T2_jT3_P12ihipStream_tbPNSt15iterator_traitsISJ_E10value_typeEPNSP_ISK_E10value_typeEPSL_NS1_7vsmem_tEENKUlT_SJ_SK_SL_E_clISE_PtSF_SF_EESI_SY_SJ_SK_SL_EUlSY_E0_NS1_11comp_targetILNS1_3genE5ELNS1_11target_archE942ELNS1_3gpuE9ELNS1_3repE0EEENS1_38merge_mergepath_config_static_selectorELNS0_4arch9wavefront6targetE0EEEvSK_,comdat
.Lfunc_end276:
	.size	_ZN7rocprim17ROCPRIM_400000_NS6detail17trampoline_kernelINS0_14default_configENS1_38merge_sort_block_merge_config_selectorItNS0_10empty_typeEEEZZNS1_27merge_sort_block_merge_implIS3_N6thrust23THRUST_200600_302600_NS6detail15normal_iteratorINS9_10device_ptrItEEEEPS5_m11less_div_10ItEEE10hipError_tT0_T1_T2_jT3_P12ihipStream_tbPNSt15iterator_traitsISJ_E10value_typeEPNSP_ISK_E10value_typeEPSL_NS1_7vsmem_tEENKUlT_SJ_SK_SL_E_clISE_PtSF_SF_EESI_SY_SJ_SK_SL_EUlSY_E0_NS1_11comp_targetILNS1_3genE5ELNS1_11target_archE942ELNS1_3gpuE9ELNS1_3repE0EEENS1_38merge_mergepath_config_static_selectorELNS0_4arch9wavefront6targetE0EEEvSK_, .Lfunc_end276-_ZN7rocprim17ROCPRIM_400000_NS6detail17trampoline_kernelINS0_14default_configENS1_38merge_sort_block_merge_config_selectorItNS0_10empty_typeEEEZZNS1_27merge_sort_block_merge_implIS3_N6thrust23THRUST_200600_302600_NS6detail15normal_iteratorINS9_10device_ptrItEEEEPS5_m11less_div_10ItEEE10hipError_tT0_T1_T2_jT3_P12ihipStream_tbPNSt15iterator_traitsISJ_E10value_typeEPNSP_ISK_E10value_typeEPSL_NS1_7vsmem_tEENKUlT_SJ_SK_SL_E_clISE_PtSF_SF_EESI_SY_SJ_SK_SL_EUlSY_E0_NS1_11comp_targetILNS1_3genE5ELNS1_11target_archE942ELNS1_3gpuE9ELNS1_3repE0EEENS1_38merge_mergepath_config_static_selectorELNS0_4arch9wavefront6targetE0EEEvSK_
                                        ; -- End function
	.set _ZN7rocprim17ROCPRIM_400000_NS6detail17trampoline_kernelINS0_14default_configENS1_38merge_sort_block_merge_config_selectorItNS0_10empty_typeEEEZZNS1_27merge_sort_block_merge_implIS3_N6thrust23THRUST_200600_302600_NS6detail15normal_iteratorINS9_10device_ptrItEEEEPS5_m11less_div_10ItEEE10hipError_tT0_T1_T2_jT3_P12ihipStream_tbPNSt15iterator_traitsISJ_E10value_typeEPNSP_ISK_E10value_typeEPSL_NS1_7vsmem_tEENKUlT_SJ_SK_SL_E_clISE_PtSF_SF_EESI_SY_SJ_SK_SL_EUlSY_E0_NS1_11comp_targetILNS1_3genE5ELNS1_11target_archE942ELNS1_3gpuE9ELNS1_3repE0EEENS1_38merge_mergepath_config_static_selectorELNS0_4arch9wavefront6targetE0EEEvSK_.num_vgpr, 0
	.set _ZN7rocprim17ROCPRIM_400000_NS6detail17trampoline_kernelINS0_14default_configENS1_38merge_sort_block_merge_config_selectorItNS0_10empty_typeEEEZZNS1_27merge_sort_block_merge_implIS3_N6thrust23THRUST_200600_302600_NS6detail15normal_iteratorINS9_10device_ptrItEEEEPS5_m11less_div_10ItEEE10hipError_tT0_T1_T2_jT3_P12ihipStream_tbPNSt15iterator_traitsISJ_E10value_typeEPNSP_ISK_E10value_typeEPSL_NS1_7vsmem_tEENKUlT_SJ_SK_SL_E_clISE_PtSF_SF_EESI_SY_SJ_SK_SL_EUlSY_E0_NS1_11comp_targetILNS1_3genE5ELNS1_11target_archE942ELNS1_3gpuE9ELNS1_3repE0EEENS1_38merge_mergepath_config_static_selectorELNS0_4arch9wavefront6targetE0EEEvSK_.num_agpr, 0
	.set _ZN7rocprim17ROCPRIM_400000_NS6detail17trampoline_kernelINS0_14default_configENS1_38merge_sort_block_merge_config_selectorItNS0_10empty_typeEEEZZNS1_27merge_sort_block_merge_implIS3_N6thrust23THRUST_200600_302600_NS6detail15normal_iteratorINS9_10device_ptrItEEEEPS5_m11less_div_10ItEEE10hipError_tT0_T1_T2_jT3_P12ihipStream_tbPNSt15iterator_traitsISJ_E10value_typeEPNSP_ISK_E10value_typeEPSL_NS1_7vsmem_tEENKUlT_SJ_SK_SL_E_clISE_PtSF_SF_EESI_SY_SJ_SK_SL_EUlSY_E0_NS1_11comp_targetILNS1_3genE5ELNS1_11target_archE942ELNS1_3gpuE9ELNS1_3repE0EEENS1_38merge_mergepath_config_static_selectorELNS0_4arch9wavefront6targetE0EEEvSK_.numbered_sgpr, 0
	.set _ZN7rocprim17ROCPRIM_400000_NS6detail17trampoline_kernelINS0_14default_configENS1_38merge_sort_block_merge_config_selectorItNS0_10empty_typeEEEZZNS1_27merge_sort_block_merge_implIS3_N6thrust23THRUST_200600_302600_NS6detail15normal_iteratorINS9_10device_ptrItEEEEPS5_m11less_div_10ItEEE10hipError_tT0_T1_T2_jT3_P12ihipStream_tbPNSt15iterator_traitsISJ_E10value_typeEPNSP_ISK_E10value_typeEPSL_NS1_7vsmem_tEENKUlT_SJ_SK_SL_E_clISE_PtSF_SF_EESI_SY_SJ_SK_SL_EUlSY_E0_NS1_11comp_targetILNS1_3genE5ELNS1_11target_archE942ELNS1_3gpuE9ELNS1_3repE0EEENS1_38merge_mergepath_config_static_selectorELNS0_4arch9wavefront6targetE0EEEvSK_.num_named_barrier, 0
	.set _ZN7rocprim17ROCPRIM_400000_NS6detail17trampoline_kernelINS0_14default_configENS1_38merge_sort_block_merge_config_selectorItNS0_10empty_typeEEEZZNS1_27merge_sort_block_merge_implIS3_N6thrust23THRUST_200600_302600_NS6detail15normal_iteratorINS9_10device_ptrItEEEEPS5_m11less_div_10ItEEE10hipError_tT0_T1_T2_jT3_P12ihipStream_tbPNSt15iterator_traitsISJ_E10value_typeEPNSP_ISK_E10value_typeEPSL_NS1_7vsmem_tEENKUlT_SJ_SK_SL_E_clISE_PtSF_SF_EESI_SY_SJ_SK_SL_EUlSY_E0_NS1_11comp_targetILNS1_3genE5ELNS1_11target_archE942ELNS1_3gpuE9ELNS1_3repE0EEENS1_38merge_mergepath_config_static_selectorELNS0_4arch9wavefront6targetE0EEEvSK_.private_seg_size, 0
	.set _ZN7rocprim17ROCPRIM_400000_NS6detail17trampoline_kernelINS0_14default_configENS1_38merge_sort_block_merge_config_selectorItNS0_10empty_typeEEEZZNS1_27merge_sort_block_merge_implIS3_N6thrust23THRUST_200600_302600_NS6detail15normal_iteratorINS9_10device_ptrItEEEEPS5_m11less_div_10ItEEE10hipError_tT0_T1_T2_jT3_P12ihipStream_tbPNSt15iterator_traitsISJ_E10value_typeEPNSP_ISK_E10value_typeEPSL_NS1_7vsmem_tEENKUlT_SJ_SK_SL_E_clISE_PtSF_SF_EESI_SY_SJ_SK_SL_EUlSY_E0_NS1_11comp_targetILNS1_3genE5ELNS1_11target_archE942ELNS1_3gpuE9ELNS1_3repE0EEENS1_38merge_mergepath_config_static_selectorELNS0_4arch9wavefront6targetE0EEEvSK_.uses_vcc, 0
	.set _ZN7rocprim17ROCPRIM_400000_NS6detail17trampoline_kernelINS0_14default_configENS1_38merge_sort_block_merge_config_selectorItNS0_10empty_typeEEEZZNS1_27merge_sort_block_merge_implIS3_N6thrust23THRUST_200600_302600_NS6detail15normal_iteratorINS9_10device_ptrItEEEEPS5_m11less_div_10ItEEE10hipError_tT0_T1_T2_jT3_P12ihipStream_tbPNSt15iterator_traitsISJ_E10value_typeEPNSP_ISK_E10value_typeEPSL_NS1_7vsmem_tEENKUlT_SJ_SK_SL_E_clISE_PtSF_SF_EESI_SY_SJ_SK_SL_EUlSY_E0_NS1_11comp_targetILNS1_3genE5ELNS1_11target_archE942ELNS1_3gpuE9ELNS1_3repE0EEENS1_38merge_mergepath_config_static_selectorELNS0_4arch9wavefront6targetE0EEEvSK_.uses_flat_scratch, 0
	.set _ZN7rocprim17ROCPRIM_400000_NS6detail17trampoline_kernelINS0_14default_configENS1_38merge_sort_block_merge_config_selectorItNS0_10empty_typeEEEZZNS1_27merge_sort_block_merge_implIS3_N6thrust23THRUST_200600_302600_NS6detail15normal_iteratorINS9_10device_ptrItEEEEPS5_m11less_div_10ItEEE10hipError_tT0_T1_T2_jT3_P12ihipStream_tbPNSt15iterator_traitsISJ_E10value_typeEPNSP_ISK_E10value_typeEPSL_NS1_7vsmem_tEENKUlT_SJ_SK_SL_E_clISE_PtSF_SF_EESI_SY_SJ_SK_SL_EUlSY_E0_NS1_11comp_targetILNS1_3genE5ELNS1_11target_archE942ELNS1_3gpuE9ELNS1_3repE0EEENS1_38merge_mergepath_config_static_selectorELNS0_4arch9wavefront6targetE0EEEvSK_.has_dyn_sized_stack, 0
	.set _ZN7rocprim17ROCPRIM_400000_NS6detail17trampoline_kernelINS0_14default_configENS1_38merge_sort_block_merge_config_selectorItNS0_10empty_typeEEEZZNS1_27merge_sort_block_merge_implIS3_N6thrust23THRUST_200600_302600_NS6detail15normal_iteratorINS9_10device_ptrItEEEEPS5_m11less_div_10ItEEE10hipError_tT0_T1_T2_jT3_P12ihipStream_tbPNSt15iterator_traitsISJ_E10value_typeEPNSP_ISK_E10value_typeEPSL_NS1_7vsmem_tEENKUlT_SJ_SK_SL_E_clISE_PtSF_SF_EESI_SY_SJ_SK_SL_EUlSY_E0_NS1_11comp_targetILNS1_3genE5ELNS1_11target_archE942ELNS1_3gpuE9ELNS1_3repE0EEENS1_38merge_mergepath_config_static_selectorELNS0_4arch9wavefront6targetE0EEEvSK_.has_recursion, 0
	.set _ZN7rocprim17ROCPRIM_400000_NS6detail17trampoline_kernelINS0_14default_configENS1_38merge_sort_block_merge_config_selectorItNS0_10empty_typeEEEZZNS1_27merge_sort_block_merge_implIS3_N6thrust23THRUST_200600_302600_NS6detail15normal_iteratorINS9_10device_ptrItEEEEPS5_m11less_div_10ItEEE10hipError_tT0_T1_T2_jT3_P12ihipStream_tbPNSt15iterator_traitsISJ_E10value_typeEPNSP_ISK_E10value_typeEPSL_NS1_7vsmem_tEENKUlT_SJ_SK_SL_E_clISE_PtSF_SF_EESI_SY_SJ_SK_SL_EUlSY_E0_NS1_11comp_targetILNS1_3genE5ELNS1_11target_archE942ELNS1_3gpuE9ELNS1_3repE0EEENS1_38merge_mergepath_config_static_selectorELNS0_4arch9wavefront6targetE0EEEvSK_.has_indirect_call, 0
	.section	.AMDGPU.csdata,"",@progbits
; Kernel info:
; codeLenInByte = 0
; TotalNumSgprs: 0
; NumVgprs: 0
; ScratchSize: 0
; MemoryBound: 0
; FloatMode: 240
; IeeeMode: 1
; LDSByteSize: 0 bytes/workgroup (compile time only)
; SGPRBlocks: 0
; VGPRBlocks: 0
; NumSGPRsForWavesPerEU: 1
; NumVGPRsForWavesPerEU: 1
; Occupancy: 16
; WaveLimiterHint : 0
; COMPUTE_PGM_RSRC2:SCRATCH_EN: 0
; COMPUTE_PGM_RSRC2:USER_SGPR: 6
; COMPUTE_PGM_RSRC2:TRAP_HANDLER: 0
; COMPUTE_PGM_RSRC2:TGID_X_EN: 1
; COMPUTE_PGM_RSRC2:TGID_Y_EN: 0
; COMPUTE_PGM_RSRC2:TGID_Z_EN: 0
; COMPUTE_PGM_RSRC2:TIDIG_COMP_CNT: 0
	.section	.text._ZN7rocprim17ROCPRIM_400000_NS6detail17trampoline_kernelINS0_14default_configENS1_38merge_sort_block_merge_config_selectorItNS0_10empty_typeEEEZZNS1_27merge_sort_block_merge_implIS3_N6thrust23THRUST_200600_302600_NS6detail15normal_iteratorINS9_10device_ptrItEEEEPS5_m11less_div_10ItEEE10hipError_tT0_T1_T2_jT3_P12ihipStream_tbPNSt15iterator_traitsISJ_E10value_typeEPNSP_ISK_E10value_typeEPSL_NS1_7vsmem_tEENKUlT_SJ_SK_SL_E_clISE_PtSF_SF_EESI_SY_SJ_SK_SL_EUlSY_E0_NS1_11comp_targetILNS1_3genE4ELNS1_11target_archE910ELNS1_3gpuE8ELNS1_3repE0EEENS1_38merge_mergepath_config_static_selectorELNS0_4arch9wavefront6targetE0EEEvSK_,"axG",@progbits,_ZN7rocprim17ROCPRIM_400000_NS6detail17trampoline_kernelINS0_14default_configENS1_38merge_sort_block_merge_config_selectorItNS0_10empty_typeEEEZZNS1_27merge_sort_block_merge_implIS3_N6thrust23THRUST_200600_302600_NS6detail15normal_iteratorINS9_10device_ptrItEEEEPS5_m11less_div_10ItEEE10hipError_tT0_T1_T2_jT3_P12ihipStream_tbPNSt15iterator_traitsISJ_E10value_typeEPNSP_ISK_E10value_typeEPSL_NS1_7vsmem_tEENKUlT_SJ_SK_SL_E_clISE_PtSF_SF_EESI_SY_SJ_SK_SL_EUlSY_E0_NS1_11comp_targetILNS1_3genE4ELNS1_11target_archE910ELNS1_3gpuE8ELNS1_3repE0EEENS1_38merge_mergepath_config_static_selectorELNS0_4arch9wavefront6targetE0EEEvSK_,comdat
	.protected	_ZN7rocprim17ROCPRIM_400000_NS6detail17trampoline_kernelINS0_14default_configENS1_38merge_sort_block_merge_config_selectorItNS0_10empty_typeEEEZZNS1_27merge_sort_block_merge_implIS3_N6thrust23THRUST_200600_302600_NS6detail15normal_iteratorINS9_10device_ptrItEEEEPS5_m11less_div_10ItEEE10hipError_tT0_T1_T2_jT3_P12ihipStream_tbPNSt15iterator_traitsISJ_E10value_typeEPNSP_ISK_E10value_typeEPSL_NS1_7vsmem_tEENKUlT_SJ_SK_SL_E_clISE_PtSF_SF_EESI_SY_SJ_SK_SL_EUlSY_E0_NS1_11comp_targetILNS1_3genE4ELNS1_11target_archE910ELNS1_3gpuE8ELNS1_3repE0EEENS1_38merge_mergepath_config_static_selectorELNS0_4arch9wavefront6targetE0EEEvSK_ ; -- Begin function _ZN7rocprim17ROCPRIM_400000_NS6detail17trampoline_kernelINS0_14default_configENS1_38merge_sort_block_merge_config_selectorItNS0_10empty_typeEEEZZNS1_27merge_sort_block_merge_implIS3_N6thrust23THRUST_200600_302600_NS6detail15normal_iteratorINS9_10device_ptrItEEEEPS5_m11less_div_10ItEEE10hipError_tT0_T1_T2_jT3_P12ihipStream_tbPNSt15iterator_traitsISJ_E10value_typeEPNSP_ISK_E10value_typeEPSL_NS1_7vsmem_tEENKUlT_SJ_SK_SL_E_clISE_PtSF_SF_EESI_SY_SJ_SK_SL_EUlSY_E0_NS1_11comp_targetILNS1_3genE4ELNS1_11target_archE910ELNS1_3gpuE8ELNS1_3repE0EEENS1_38merge_mergepath_config_static_selectorELNS0_4arch9wavefront6targetE0EEEvSK_
	.globl	_ZN7rocprim17ROCPRIM_400000_NS6detail17trampoline_kernelINS0_14default_configENS1_38merge_sort_block_merge_config_selectorItNS0_10empty_typeEEEZZNS1_27merge_sort_block_merge_implIS3_N6thrust23THRUST_200600_302600_NS6detail15normal_iteratorINS9_10device_ptrItEEEEPS5_m11less_div_10ItEEE10hipError_tT0_T1_T2_jT3_P12ihipStream_tbPNSt15iterator_traitsISJ_E10value_typeEPNSP_ISK_E10value_typeEPSL_NS1_7vsmem_tEENKUlT_SJ_SK_SL_E_clISE_PtSF_SF_EESI_SY_SJ_SK_SL_EUlSY_E0_NS1_11comp_targetILNS1_3genE4ELNS1_11target_archE910ELNS1_3gpuE8ELNS1_3repE0EEENS1_38merge_mergepath_config_static_selectorELNS0_4arch9wavefront6targetE0EEEvSK_
	.p2align	8
	.type	_ZN7rocprim17ROCPRIM_400000_NS6detail17trampoline_kernelINS0_14default_configENS1_38merge_sort_block_merge_config_selectorItNS0_10empty_typeEEEZZNS1_27merge_sort_block_merge_implIS3_N6thrust23THRUST_200600_302600_NS6detail15normal_iteratorINS9_10device_ptrItEEEEPS5_m11less_div_10ItEEE10hipError_tT0_T1_T2_jT3_P12ihipStream_tbPNSt15iterator_traitsISJ_E10value_typeEPNSP_ISK_E10value_typeEPSL_NS1_7vsmem_tEENKUlT_SJ_SK_SL_E_clISE_PtSF_SF_EESI_SY_SJ_SK_SL_EUlSY_E0_NS1_11comp_targetILNS1_3genE4ELNS1_11target_archE910ELNS1_3gpuE8ELNS1_3repE0EEENS1_38merge_mergepath_config_static_selectorELNS0_4arch9wavefront6targetE0EEEvSK_,@function
_ZN7rocprim17ROCPRIM_400000_NS6detail17trampoline_kernelINS0_14default_configENS1_38merge_sort_block_merge_config_selectorItNS0_10empty_typeEEEZZNS1_27merge_sort_block_merge_implIS3_N6thrust23THRUST_200600_302600_NS6detail15normal_iteratorINS9_10device_ptrItEEEEPS5_m11less_div_10ItEEE10hipError_tT0_T1_T2_jT3_P12ihipStream_tbPNSt15iterator_traitsISJ_E10value_typeEPNSP_ISK_E10value_typeEPSL_NS1_7vsmem_tEENKUlT_SJ_SK_SL_E_clISE_PtSF_SF_EESI_SY_SJ_SK_SL_EUlSY_E0_NS1_11comp_targetILNS1_3genE4ELNS1_11target_archE910ELNS1_3gpuE8ELNS1_3repE0EEENS1_38merge_mergepath_config_static_selectorELNS0_4arch9wavefront6targetE0EEEvSK_: ; @_ZN7rocprim17ROCPRIM_400000_NS6detail17trampoline_kernelINS0_14default_configENS1_38merge_sort_block_merge_config_selectorItNS0_10empty_typeEEEZZNS1_27merge_sort_block_merge_implIS3_N6thrust23THRUST_200600_302600_NS6detail15normal_iteratorINS9_10device_ptrItEEEEPS5_m11less_div_10ItEEE10hipError_tT0_T1_T2_jT3_P12ihipStream_tbPNSt15iterator_traitsISJ_E10value_typeEPNSP_ISK_E10value_typeEPSL_NS1_7vsmem_tEENKUlT_SJ_SK_SL_E_clISE_PtSF_SF_EESI_SY_SJ_SK_SL_EUlSY_E0_NS1_11comp_targetILNS1_3genE4ELNS1_11target_archE910ELNS1_3gpuE8ELNS1_3repE0EEENS1_38merge_mergepath_config_static_selectorELNS0_4arch9wavefront6targetE0EEEvSK_
; %bb.0:
	.section	.rodata,"a",@progbits
	.p2align	6, 0x0
	.amdhsa_kernel _ZN7rocprim17ROCPRIM_400000_NS6detail17trampoline_kernelINS0_14default_configENS1_38merge_sort_block_merge_config_selectorItNS0_10empty_typeEEEZZNS1_27merge_sort_block_merge_implIS3_N6thrust23THRUST_200600_302600_NS6detail15normal_iteratorINS9_10device_ptrItEEEEPS5_m11less_div_10ItEEE10hipError_tT0_T1_T2_jT3_P12ihipStream_tbPNSt15iterator_traitsISJ_E10value_typeEPNSP_ISK_E10value_typeEPSL_NS1_7vsmem_tEENKUlT_SJ_SK_SL_E_clISE_PtSF_SF_EESI_SY_SJ_SK_SL_EUlSY_E0_NS1_11comp_targetILNS1_3genE4ELNS1_11target_archE910ELNS1_3gpuE8ELNS1_3repE0EEENS1_38merge_mergepath_config_static_selectorELNS0_4arch9wavefront6targetE0EEEvSK_
		.amdhsa_group_segment_fixed_size 0
		.amdhsa_private_segment_fixed_size 0
		.amdhsa_kernarg_size 72
		.amdhsa_user_sgpr_count 6
		.amdhsa_user_sgpr_private_segment_buffer 1
		.amdhsa_user_sgpr_dispatch_ptr 0
		.amdhsa_user_sgpr_queue_ptr 0
		.amdhsa_user_sgpr_kernarg_segment_ptr 1
		.amdhsa_user_sgpr_dispatch_id 0
		.amdhsa_user_sgpr_flat_scratch_init 0
		.amdhsa_user_sgpr_private_segment_size 0
		.amdhsa_wavefront_size32 1
		.amdhsa_uses_dynamic_stack 0
		.amdhsa_system_sgpr_private_segment_wavefront_offset 0
		.amdhsa_system_sgpr_workgroup_id_x 1
		.amdhsa_system_sgpr_workgroup_id_y 0
		.amdhsa_system_sgpr_workgroup_id_z 0
		.amdhsa_system_sgpr_workgroup_info 0
		.amdhsa_system_vgpr_workitem_id 0
		.amdhsa_next_free_vgpr 1
		.amdhsa_next_free_sgpr 1
		.amdhsa_reserve_vcc 0
		.amdhsa_reserve_flat_scratch 0
		.amdhsa_float_round_mode_32 0
		.amdhsa_float_round_mode_16_64 0
		.amdhsa_float_denorm_mode_32 3
		.amdhsa_float_denorm_mode_16_64 3
		.amdhsa_dx10_clamp 1
		.amdhsa_ieee_mode 1
		.amdhsa_fp16_overflow 0
		.amdhsa_workgroup_processor_mode 1
		.amdhsa_memory_ordered 1
		.amdhsa_forward_progress 1
		.amdhsa_shared_vgpr_count 0
		.amdhsa_exception_fp_ieee_invalid_op 0
		.amdhsa_exception_fp_denorm_src 0
		.amdhsa_exception_fp_ieee_div_zero 0
		.amdhsa_exception_fp_ieee_overflow 0
		.amdhsa_exception_fp_ieee_underflow 0
		.amdhsa_exception_fp_ieee_inexact 0
		.amdhsa_exception_int_div_zero 0
	.end_amdhsa_kernel
	.section	.text._ZN7rocprim17ROCPRIM_400000_NS6detail17trampoline_kernelINS0_14default_configENS1_38merge_sort_block_merge_config_selectorItNS0_10empty_typeEEEZZNS1_27merge_sort_block_merge_implIS3_N6thrust23THRUST_200600_302600_NS6detail15normal_iteratorINS9_10device_ptrItEEEEPS5_m11less_div_10ItEEE10hipError_tT0_T1_T2_jT3_P12ihipStream_tbPNSt15iterator_traitsISJ_E10value_typeEPNSP_ISK_E10value_typeEPSL_NS1_7vsmem_tEENKUlT_SJ_SK_SL_E_clISE_PtSF_SF_EESI_SY_SJ_SK_SL_EUlSY_E0_NS1_11comp_targetILNS1_3genE4ELNS1_11target_archE910ELNS1_3gpuE8ELNS1_3repE0EEENS1_38merge_mergepath_config_static_selectorELNS0_4arch9wavefront6targetE0EEEvSK_,"axG",@progbits,_ZN7rocprim17ROCPRIM_400000_NS6detail17trampoline_kernelINS0_14default_configENS1_38merge_sort_block_merge_config_selectorItNS0_10empty_typeEEEZZNS1_27merge_sort_block_merge_implIS3_N6thrust23THRUST_200600_302600_NS6detail15normal_iteratorINS9_10device_ptrItEEEEPS5_m11less_div_10ItEEE10hipError_tT0_T1_T2_jT3_P12ihipStream_tbPNSt15iterator_traitsISJ_E10value_typeEPNSP_ISK_E10value_typeEPSL_NS1_7vsmem_tEENKUlT_SJ_SK_SL_E_clISE_PtSF_SF_EESI_SY_SJ_SK_SL_EUlSY_E0_NS1_11comp_targetILNS1_3genE4ELNS1_11target_archE910ELNS1_3gpuE8ELNS1_3repE0EEENS1_38merge_mergepath_config_static_selectorELNS0_4arch9wavefront6targetE0EEEvSK_,comdat
.Lfunc_end277:
	.size	_ZN7rocprim17ROCPRIM_400000_NS6detail17trampoline_kernelINS0_14default_configENS1_38merge_sort_block_merge_config_selectorItNS0_10empty_typeEEEZZNS1_27merge_sort_block_merge_implIS3_N6thrust23THRUST_200600_302600_NS6detail15normal_iteratorINS9_10device_ptrItEEEEPS5_m11less_div_10ItEEE10hipError_tT0_T1_T2_jT3_P12ihipStream_tbPNSt15iterator_traitsISJ_E10value_typeEPNSP_ISK_E10value_typeEPSL_NS1_7vsmem_tEENKUlT_SJ_SK_SL_E_clISE_PtSF_SF_EESI_SY_SJ_SK_SL_EUlSY_E0_NS1_11comp_targetILNS1_3genE4ELNS1_11target_archE910ELNS1_3gpuE8ELNS1_3repE0EEENS1_38merge_mergepath_config_static_selectorELNS0_4arch9wavefront6targetE0EEEvSK_, .Lfunc_end277-_ZN7rocprim17ROCPRIM_400000_NS6detail17trampoline_kernelINS0_14default_configENS1_38merge_sort_block_merge_config_selectorItNS0_10empty_typeEEEZZNS1_27merge_sort_block_merge_implIS3_N6thrust23THRUST_200600_302600_NS6detail15normal_iteratorINS9_10device_ptrItEEEEPS5_m11less_div_10ItEEE10hipError_tT0_T1_T2_jT3_P12ihipStream_tbPNSt15iterator_traitsISJ_E10value_typeEPNSP_ISK_E10value_typeEPSL_NS1_7vsmem_tEENKUlT_SJ_SK_SL_E_clISE_PtSF_SF_EESI_SY_SJ_SK_SL_EUlSY_E0_NS1_11comp_targetILNS1_3genE4ELNS1_11target_archE910ELNS1_3gpuE8ELNS1_3repE0EEENS1_38merge_mergepath_config_static_selectorELNS0_4arch9wavefront6targetE0EEEvSK_
                                        ; -- End function
	.set _ZN7rocprim17ROCPRIM_400000_NS6detail17trampoline_kernelINS0_14default_configENS1_38merge_sort_block_merge_config_selectorItNS0_10empty_typeEEEZZNS1_27merge_sort_block_merge_implIS3_N6thrust23THRUST_200600_302600_NS6detail15normal_iteratorINS9_10device_ptrItEEEEPS5_m11less_div_10ItEEE10hipError_tT0_T1_T2_jT3_P12ihipStream_tbPNSt15iterator_traitsISJ_E10value_typeEPNSP_ISK_E10value_typeEPSL_NS1_7vsmem_tEENKUlT_SJ_SK_SL_E_clISE_PtSF_SF_EESI_SY_SJ_SK_SL_EUlSY_E0_NS1_11comp_targetILNS1_3genE4ELNS1_11target_archE910ELNS1_3gpuE8ELNS1_3repE0EEENS1_38merge_mergepath_config_static_selectorELNS0_4arch9wavefront6targetE0EEEvSK_.num_vgpr, 0
	.set _ZN7rocprim17ROCPRIM_400000_NS6detail17trampoline_kernelINS0_14default_configENS1_38merge_sort_block_merge_config_selectorItNS0_10empty_typeEEEZZNS1_27merge_sort_block_merge_implIS3_N6thrust23THRUST_200600_302600_NS6detail15normal_iteratorINS9_10device_ptrItEEEEPS5_m11less_div_10ItEEE10hipError_tT0_T1_T2_jT3_P12ihipStream_tbPNSt15iterator_traitsISJ_E10value_typeEPNSP_ISK_E10value_typeEPSL_NS1_7vsmem_tEENKUlT_SJ_SK_SL_E_clISE_PtSF_SF_EESI_SY_SJ_SK_SL_EUlSY_E0_NS1_11comp_targetILNS1_3genE4ELNS1_11target_archE910ELNS1_3gpuE8ELNS1_3repE0EEENS1_38merge_mergepath_config_static_selectorELNS0_4arch9wavefront6targetE0EEEvSK_.num_agpr, 0
	.set _ZN7rocprim17ROCPRIM_400000_NS6detail17trampoline_kernelINS0_14default_configENS1_38merge_sort_block_merge_config_selectorItNS0_10empty_typeEEEZZNS1_27merge_sort_block_merge_implIS3_N6thrust23THRUST_200600_302600_NS6detail15normal_iteratorINS9_10device_ptrItEEEEPS5_m11less_div_10ItEEE10hipError_tT0_T1_T2_jT3_P12ihipStream_tbPNSt15iterator_traitsISJ_E10value_typeEPNSP_ISK_E10value_typeEPSL_NS1_7vsmem_tEENKUlT_SJ_SK_SL_E_clISE_PtSF_SF_EESI_SY_SJ_SK_SL_EUlSY_E0_NS1_11comp_targetILNS1_3genE4ELNS1_11target_archE910ELNS1_3gpuE8ELNS1_3repE0EEENS1_38merge_mergepath_config_static_selectorELNS0_4arch9wavefront6targetE0EEEvSK_.numbered_sgpr, 0
	.set _ZN7rocprim17ROCPRIM_400000_NS6detail17trampoline_kernelINS0_14default_configENS1_38merge_sort_block_merge_config_selectorItNS0_10empty_typeEEEZZNS1_27merge_sort_block_merge_implIS3_N6thrust23THRUST_200600_302600_NS6detail15normal_iteratorINS9_10device_ptrItEEEEPS5_m11less_div_10ItEEE10hipError_tT0_T1_T2_jT3_P12ihipStream_tbPNSt15iterator_traitsISJ_E10value_typeEPNSP_ISK_E10value_typeEPSL_NS1_7vsmem_tEENKUlT_SJ_SK_SL_E_clISE_PtSF_SF_EESI_SY_SJ_SK_SL_EUlSY_E0_NS1_11comp_targetILNS1_3genE4ELNS1_11target_archE910ELNS1_3gpuE8ELNS1_3repE0EEENS1_38merge_mergepath_config_static_selectorELNS0_4arch9wavefront6targetE0EEEvSK_.num_named_barrier, 0
	.set _ZN7rocprim17ROCPRIM_400000_NS6detail17trampoline_kernelINS0_14default_configENS1_38merge_sort_block_merge_config_selectorItNS0_10empty_typeEEEZZNS1_27merge_sort_block_merge_implIS3_N6thrust23THRUST_200600_302600_NS6detail15normal_iteratorINS9_10device_ptrItEEEEPS5_m11less_div_10ItEEE10hipError_tT0_T1_T2_jT3_P12ihipStream_tbPNSt15iterator_traitsISJ_E10value_typeEPNSP_ISK_E10value_typeEPSL_NS1_7vsmem_tEENKUlT_SJ_SK_SL_E_clISE_PtSF_SF_EESI_SY_SJ_SK_SL_EUlSY_E0_NS1_11comp_targetILNS1_3genE4ELNS1_11target_archE910ELNS1_3gpuE8ELNS1_3repE0EEENS1_38merge_mergepath_config_static_selectorELNS0_4arch9wavefront6targetE0EEEvSK_.private_seg_size, 0
	.set _ZN7rocprim17ROCPRIM_400000_NS6detail17trampoline_kernelINS0_14default_configENS1_38merge_sort_block_merge_config_selectorItNS0_10empty_typeEEEZZNS1_27merge_sort_block_merge_implIS3_N6thrust23THRUST_200600_302600_NS6detail15normal_iteratorINS9_10device_ptrItEEEEPS5_m11less_div_10ItEEE10hipError_tT0_T1_T2_jT3_P12ihipStream_tbPNSt15iterator_traitsISJ_E10value_typeEPNSP_ISK_E10value_typeEPSL_NS1_7vsmem_tEENKUlT_SJ_SK_SL_E_clISE_PtSF_SF_EESI_SY_SJ_SK_SL_EUlSY_E0_NS1_11comp_targetILNS1_3genE4ELNS1_11target_archE910ELNS1_3gpuE8ELNS1_3repE0EEENS1_38merge_mergepath_config_static_selectorELNS0_4arch9wavefront6targetE0EEEvSK_.uses_vcc, 0
	.set _ZN7rocprim17ROCPRIM_400000_NS6detail17trampoline_kernelINS0_14default_configENS1_38merge_sort_block_merge_config_selectorItNS0_10empty_typeEEEZZNS1_27merge_sort_block_merge_implIS3_N6thrust23THRUST_200600_302600_NS6detail15normal_iteratorINS9_10device_ptrItEEEEPS5_m11less_div_10ItEEE10hipError_tT0_T1_T2_jT3_P12ihipStream_tbPNSt15iterator_traitsISJ_E10value_typeEPNSP_ISK_E10value_typeEPSL_NS1_7vsmem_tEENKUlT_SJ_SK_SL_E_clISE_PtSF_SF_EESI_SY_SJ_SK_SL_EUlSY_E0_NS1_11comp_targetILNS1_3genE4ELNS1_11target_archE910ELNS1_3gpuE8ELNS1_3repE0EEENS1_38merge_mergepath_config_static_selectorELNS0_4arch9wavefront6targetE0EEEvSK_.uses_flat_scratch, 0
	.set _ZN7rocprim17ROCPRIM_400000_NS6detail17trampoline_kernelINS0_14default_configENS1_38merge_sort_block_merge_config_selectorItNS0_10empty_typeEEEZZNS1_27merge_sort_block_merge_implIS3_N6thrust23THRUST_200600_302600_NS6detail15normal_iteratorINS9_10device_ptrItEEEEPS5_m11less_div_10ItEEE10hipError_tT0_T1_T2_jT3_P12ihipStream_tbPNSt15iterator_traitsISJ_E10value_typeEPNSP_ISK_E10value_typeEPSL_NS1_7vsmem_tEENKUlT_SJ_SK_SL_E_clISE_PtSF_SF_EESI_SY_SJ_SK_SL_EUlSY_E0_NS1_11comp_targetILNS1_3genE4ELNS1_11target_archE910ELNS1_3gpuE8ELNS1_3repE0EEENS1_38merge_mergepath_config_static_selectorELNS0_4arch9wavefront6targetE0EEEvSK_.has_dyn_sized_stack, 0
	.set _ZN7rocprim17ROCPRIM_400000_NS6detail17trampoline_kernelINS0_14default_configENS1_38merge_sort_block_merge_config_selectorItNS0_10empty_typeEEEZZNS1_27merge_sort_block_merge_implIS3_N6thrust23THRUST_200600_302600_NS6detail15normal_iteratorINS9_10device_ptrItEEEEPS5_m11less_div_10ItEEE10hipError_tT0_T1_T2_jT3_P12ihipStream_tbPNSt15iterator_traitsISJ_E10value_typeEPNSP_ISK_E10value_typeEPSL_NS1_7vsmem_tEENKUlT_SJ_SK_SL_E_clISE_PtSF_SF_EESI_SY_SJ_SK_SL_EUlSY_E0_NS1_11comp_targetILNS1_3genE4ELNS1_11target_archE910ELNS1_3gpuE8ELNS1_3repE0EEENS1_38merge_mergepath_config_static_selectorELNS0_4arch9wavefront6targetE0EEEvSK_.has_recursion, 0
	.set _ZN7rocprim17ROCPRIM_400000_NS6detail17trampoline_kernelINS0_14default_configENS1_38merge_sort_block_merge_config_selectorItNS0_10empty_typeEEEZZNS1_27merge_sort_block_merge_implIS3_N6thrust23THRUST_200600_302600_NS6detail15normal_iteratorINS9_10device_ptrItEEEEPS5_m11less_div_10ItEEE10hipError_tT0_T1_T2_jT3_P12ihipStream_tbPNSt15iterator_traitsISJ_E10value_typeEPNSP_ISK_E10value_typeEPSL_NS1_7vsmem_tEENKUlT_SJ_SK_SL_E_clISE_PtSF_SF_EESI_SY_SJ_SK_SL_EUlSY_E0_NS1_11comp_targetILNS1_3genE4ELNS1_11target_archE910ELNS1_3gpuE8ELNS1_3repE0EEENS1_38merge_mergepath_config_static_selectorELNS0_4arch9wavefront6targetE0EEEvSK_.has_indirect_call, 0
	.section	.AMDGPU.csdata,"",@progbits
; Kernel info:
; codeLenInByte = 0
; TotalNumSgprs: 0
; NumVgprs: 0
; ScratchSize: 0
; MemoryBound: 0
; FloatMode: 240
; IeeeMode: 1
; LDSByteSize: 0 bytes/workgroup (compile time only)
; SGPRBlocks: 0
; VGPRBlocks: 0
; NumSGPRsForWavesPerEU: 1
; NumVGPRsForWavesPerEU: 1
; Occupancy: 16
; WaveLimiterHint : 0
; COMPUTE_PGM_RSRC2:SCRATCH_EN: 0
; COMPUTE_PGM_RSRC2:USER_SGPR: 6
; COMPUTE_PGM_RSRC2:TRAP_HANDLER: 0
; COMPUTE_PGM_RSRC2:TGID_X_EN: 1
; COMPUTE_PGM_RSRC2:TGID_Y_EN: 0
; COMPUTE_PGM_RSRC2:TGID_Z_EN: 0
; COMPUTE_PGM_RSRC2:TIDIG_COMP_CNT: 0
	.section	.text._ZN7rocprim17ROCPRIM_400000_NS6detail17trampoline_kernelINS0_14default_configENS1_38merge_sort_block_merge_config_selectorItNS0_10empty_typeEEEZZNS1_27merge_sort_block_merge_implIS3_N6thrust23THRUST_200600_302600_NS6detail15normal_iteratorINS9_10device_ptrItEEEEPS5_m11less_div_10ItEEE10hipError_tT0_T1_T2_jT3_P12ihipStream_tbPNSt15iterator_traitsISJ_E10value_typeEPNSP_ISK_E10value_typeEPSL_NS1_7vsmem_tEENKUlT_SJ_SK_SL_E_clISE_PtSF_SF_EESI_SY_SJ_SK_SL_EUlSY_E0_NS1_11comp_targetILNS1_3genE3ELNS1_11target_archE908ELNS1_3gpuE7ELNS1_3repE0EEENS1_38merge_mergepath_config_static_selectorELNS0_4arch9wavefront6targetE0EEEvSK_,"axG",@progbits,_ZN7rocprim17ROCPRIM_400000_NS6detail17trampoline_kernelINS0_14default_configENS1_38merge_sort_block_merge_config_selectorItNS0_10empty_typeEEEZZNS1_27merge_sort_block_merge_implIS3_N6thrust23THRUST_200600_302600_NS6detail15normal_iteratorINS9_10device_ptrItEEEEPS5_m11less_div_10ItEEE10hipError_tT0_T1_T2_jT3_P12ihipStream_tbPNSt15iterator_traitsISJ_E10value_typeEPNSP_ISK_E10value_typeEPSL_NS1_7vsmem_tEENKUlT_SJ_SK_SL_E_clISE_PtSF_SF_EESI_SY_SJ_SK_SL_EUlSY_E0_NS1_11comp_targetILNS1_3genE3ELNS1_11target_archE908ELNS1_3gpuE7ELNS1_3repE0EEENS1_38merge_mergepath_config_static_selectorELNS0_4arch9wavefront6targetE0EEEvSK_,comdat
	.protected	_ZN7rocprim17ROCPRIM_400000_NS6detail17trampoline_kernelINS0_14default_configENS1_38merge_sort_block_merge_config_selectorItNS0_10empty_typeEEEZZNS1_27merge_sort_block_merge_implIS3_N6thrust23THRUST_200600_302600_NS6detail15normal_iteratorINS9_10device_ptrItEEEEPS5_m11less_div_10ItEEE10hipError_tT0_T1_T2_jT3_P12ihipStream_tbPNSt15iterator_traitsISJ_E10value_typeEPNSP_ISK_E10value_typeEPSL_NS1_7vsmem_tEENKUlT_SJ_SK_SL_E_clISE_PtSF_SF_EESI_SY_SJ_SK_SL_EUlSY_E0_NS1_11comp_targetILNS1_3genE3ELNS1_11target_archE908ELNS1_3gpuE7ELNS1_3repE0EEENS1_38merge_mergepath_config_static_selectorELNS0_4arch9wavefront6targetE0EEEvSK_ ; -- Begin function _ZN7rocprim17ROCPRIM_400000_NS6detail17trampoline_kernelINS0_14default_configENS1_38merge_sort_block_merge_config_selectorItNS0_10empty_typeEEEZZNS1_27merge_sort_block_merge_implIS3_N6thrust23THRUST_200600_302600_NS6detail15normal_iteratorINS9_10device_ptrItEEEEPS5_m11less_div_10ItEEE10hipError_tT0_T1_T2_jT3_P12ihipStream_tbPNSt15iterator_traitsISJ_E10value_typeEPNSP_ISK_E10value_typeEPSL_NS1_7vsmem_tEENKUlT_SJ_SK_SL_E_clISE_PtSF_SF_EESI_SY_SJ_SK_SL_EUlSY_E0_NS1_11comp_targetILNS1_3genE3ELNS1_11target_archE908ELNS1_3gpuE7ELNS1_3repE0EEENS1_38merge_mergepath_config_static_selectorELNS0_4arch9wavefront6targetE0EEEvSK_
	.globl	_ZN7rocprim17ROCPRIM_400000_NS6detail17trampoline_kernelINS0_14default_configENS1_38merge_sort_block_merge_config_selectorItNS0_10empty_typeEEEZZNS1_27merge_sort_block_merge_implIS3_N6thrust23THRUST_200600_302600_NS6detail15normal_iteratorINS9_10device_ptrItEEEEPS5_m11less_div_10ItEEE10hipError_tT0_T1_T2_jT3_P12ihipStream_tbPNSt15iterator_traitsISJ_E10value_typeEPNSP_ISK_E10value_typeEPSL_NS1_7vsmem_tEENKUlT_SJ_SK_SL_E_clISE_PtSF_SF_EESI_SY_SJ_SK_SL_EUlSY_E0_NS1_11comp_targetILNS1_3genE3ELNS1_11target_archE908ELNS1_3gpuE7ELNS1_3repE0EEENS1_38merge_mergepath_config_static_selectorELNS0_4arch9wavefront6targetE0EEEvSK_
	.p2align	8
	.type	_ZN7rocprim17ROCPRIM_400000_NS6detail17trampoline_kernelINS0_14default_configENS1_38merge_sort_block_merge_config_selectorItNS0_10empty_typeEEEZZNS1_27merge_sort_block_merge_implIS3_N6thrust23THRUST_200600_302600_NS6detail15normal_iteratorINS9_10device_ptrItEEEEPS5_m11less_div_10ItEEE10hipError_tT0_T1_T2_jT3_P12ihipStream_tbPNSt15iterator_traitsISJ_E10value_typeEPNSP_ISK_E10value_typeEPSL_NS1_7vsmem_tEENKUlT_SJ_SK_SL_E_clISE_PtSF_SF_EESI_SY_SJ_SK_SL_EUlSY_E0_NS1_11comp_targetILNS1_3genE3ELNS1_11target_archE908ELNS1_3gpuE7ELNS1_3repE0EEENS1_38merge_mergepath_config_static_selectorELNS0_4arch9wavefront6targetE0EEEvSK_,@function
_ZN7rocprim17ROCPRIM_400000_NS6detail17trampoline_kernelINS0_14default_configENS1_38merge_sort_block_merge_config_selectorItNS0_10empty_typeEEEZZNS1_27merge_sort_block_merge_implIS3_N6thrust23THRUST_200600_302600_NS6detail15normal_iteratorINS9_10device_ptrItEEEEPS5_m11less_div_10ItEEE10hipError_tT0_T1_T2_jT3_P12ihipStream_tbPNSt15iterator_traitsISJ_E10value_typeEPNSP_ISK_E10value_typeEPSL_NS1_7vsmem_tEENKUlT_SJ_SK_SL_E_clISE_PtSF_SF_EESI_SY_SJ_SK_SL_EUlSY_E0_NS1_11comp_targetILNS1_3genE3ELNS1_11target_archE908ELNS1_3gpuE7ELNS1_3repE0EEENS1_38merge_mergepath_config_static_selectorELNS0_4arch9wavefront6targetE0EEEvSK_: ; @_ZN7rocprim17ROCPRIM_400000_NS6detail17trampoline_kernelINS0_14default_configENS1_38merge_sort_block_merge_config_selectorItNS0_10empty_typeEEEZZNS1_27merge_sort_block_merge_implIS3_N6thrust23THRUST_200600_302600_NS6detail15normal_iteratorINS9_10device_ptrItEEEEPS5_m11less_div_10ItEEE10hipError_tT0_T1_T2_jT3_P12ihipStream_tbPNSt15iterator_traitsISJ_E10value_typeEPNSP_ISK_E10value_typeEPSL_NS1_7vsmem_tEENKUlT_SJ_SK_SL_E_clISE_PtSF_SF_EESI_SY_SJ_SK_SL_EUlSY_E0_NS1_11comp_targetILNS1_3genE3ELNS1_11target_archE908ELNS1_3gpuE7ELNS1_3repE0EEENS1_38merge_mergepath_config_static_selectorELNS0_4arch9wavefront6targetE0EEEvSK_
; %bb.0:
	.section	.rodata,"a",@progbits
	.p2align	6, 0x0
	.amdhsa_kernel _ZN7rocprim17ROCPRIM_400000_NS6detail17trampoline_kernelINS0_14default_configENS1_38merge_sort_block_merge_config_selectorItNS0_10empty_typeEEEZZNS1_27merge_sort_block_merge_implIS3_N6thrust23THRUST_200600_302600_NS6detail15normal_iteratorINS9_10device_ptrItEEEEPS5_m11less_div_10ItEEE10hipError_tT0_T1_T2_jT3_P12ihipStream_tbPNSt15iterator_traitsISJ_E10value_typeEPNSP_ISK_E10value_typeEPSL_NS1_7vsmem_tEENKUlT_SJ_SK_SL_E_clISE_PtSF_SF_EESI_SY_SJ_SK_SL_EUlSY_E0_NS1_11comp_targetILNS1_3genE3ELNS1_11target_archE908ELNS1_3gpuE7ELNS1_3repE0EEENS1_38merge_mergepath_config_static_selectorELNS0_4arch9wavefront6targetE0EEEvSK_
		.amdhsa_group_segment_fixed_size 0
		.amdhsa_private_segment_fixed_size 0
		.amdhsa_kernarg_size 72
		.amdhsa_user_sgpr_count 6
		.amdhsa_user_sgpr_private_segment_buffer 1
		.amdhsa_user_sgpr_dispatch_ptr 0
		.amdhsa_user_sgpr_queue_ptr 0
		.amdhsa_user_sgpr_kernarg_segment_ptr 1
		.amdhsa_user_sgpr_dispatch_id 0
		.amdhsa_user_sgpr_flat_scratch_init 0
		.amdhsa_user_sgpr_private_segment_size 0
		.amdhsa_wavefront_size32 1
		.amdhsa_uses_dynamic_stack 0
		.amdhsa_system_sgpr_private_segment_wavefront_offset 0
		.amdhsa_system_sgpr_workgroup_id_x 1
		.amdhsa_system_sgpr_workgroup_id_y 0
		.amdhsa_system_sgpr_workgroup_id_z 0
		.amdhsa_system_sgpr_workgroup_info 0
		.amdhsa_system_vgpr_workitem_id 0
		.amdhsa_next_free_vgpr 1
		.amdhsa_next_free_sgpr 1
		.amdhsa_reserve_vcc 0
		.amdhsa_reserve_flat_scratch 0
		.amdhsa_float_round_mode_32 0
		.amdhsa_float_round_mode_16_64 0
		.amdhsa_float_denorm_mode_32 3
		.amdhsa_float_denorm_mode_16_64 3
		.amdhsa_dx10_clamp 1
		.amdhsa_ieee_mode 1
		.amdhsa_fp16_overflow 0
		.amdhsa_workgroup_processor_mode 1
		.amdhsa_memory_ordered 1
		.amdhsa_forward_progress 1
		.amdhsa_shared_vgpr_count 0
		.amdhsa_exception_fp_ieee_invalid_op 0
		.amdhsa_exception_fp_denorm_src 0
		.amdhsa_exception_fp_ieee_div_zero 0
		.amdhsa_exception_fp_ieee_overflow 0
		.amdhsa_exception_fp_ieee_underflow 0
		.amdhsa_exception_fp_ieee_inexact 0
		.amdhsa_exception_int_div_zero 0
	.end_amdhsa_kernel
	.section	.text._ZN7rocprim17ROCPRIM_400000_NS6detail17trampoline_kernelINS0_14default_configENS1_38merge_sort_block_merge_config_selectorItNS0_10empty_typeEEEZZNS1_27merge_sort_block_merge_implIS3_N6thrust23THRUST_200600_302600_NS6detail15normal_iteratorINS9_10device_ptrItEEEEPS5_m11less_div_10ItEEE10hipError_tT0_T1_T2_jT3_P12ihipStream_tbPNSt15iterator_traitsISJ_E10value_typeEPNSP_ISK_E10value_typeEPSL_NS1_7vsmem_tEENKUlT_SJ_SK_SL_E_clISE_PtSF_SF_EESI_SY_SJ_SK_SL_EUlSY_E0_NS1_11comp_targetILNS1_3genE3ELNS1_11target_archE908ELNS1_3gpuE7ELNS1_3repE0EEENS1_38merge_mergepath_config_static_selectorELNS0_4arch9wavefront6targetE0EEEvSK_,"axG",@progbits,_ZN7rocprim17ROCPRIM_400000_NS6detail17trampoline_kernelINS0_14default_configENS1_38merge_sort_block_merge_config_selectorItNS0_10empty_typeEEEZZNS1_27merge_sort_block_merge_implIS3_N6thrust23THRUST_200600_302600_NS6detail15normal_iteratorINS9_10device_ptrItEEEEPS5_m11less_div_10ItEEE10hipError_tT0_T1_T2_jT3_P12ihipStream_tbPNSt15iterator_traitsISJ_E10value_typeEPNSP_ISK_E10value_typeEPSL_NS1_7vsmem_tEENKUlT_SJ_SK_SL_E_clISE_PtSF_SF_EESI_SY_SJ_SK_SL_EUlSY_E0_NS1_11comp_targetILNS1_3genE3ELNS1_11target_archE908ELNS1_3gpuE7ELNS1_3repE0EEENS1_38merge_mergepath_config_static_selectorELNS0_4arch9wavefront6targetE0EEEvSK_,comdat
.Lfunc_end278:
	.size	_ZN7rocprim17ROCPRIM_400000_NS6detail17trampoline_kernelINS0_14default_configENS1_38merge_sort_block_merge_config_selectorItNS0_10empty_typeEEEZZNS1_27merge_sort_block_merge_implIS3_N6thrust23THRUST_200600_302600_NS6detail15normal_iteratorINS9_10device_ptrItEEEEPS5_m11less_div_10ItEEE10hipError_tT0_T1_T2_jT3_P12ihipStream_tbPNSt15iterator_traitsISJ_E10value_typeEPNSP_ISK_E10value_typeEPSL_NS1_7vsmem_tEENKUlT_SJ_SK_SL_E_clISE_PtSF_SF_EESI_SY_SJ_SK_SL_EUlSY_E0_NS1_11comp_targetILNS1_3genE3ELNS1_11target_archE908ELNS1_3gpuE7ELNS1_3repE0EEENS1_38merge_mergepath_config_static_selectorELNS0_4arch9wavefront6targetE0EEEvSK_, .Lfunc_end278-_ZN7rocprim17ROCPRIM_400000_NS6detail17trampoline_kernelINS0_14default_configENS1_38merge_sort_block_merge_config_selectorItNS0_10empty_typeEEEZZNS1_27merge_sort_block_merge_implIS3_N6thrust23THRUST_200600_302600_NS6detail15normal_iteratorINS9_10device_ptrItEEEEPS5_m11less_div_10ItEEE10hipError_tT0_T1_T2_jT3_P12ihipStream_tbPNSt15iterator_traitsISJ_E10value_typeEPNSP_ISK_E10value_typeEPSL_NS1_7vsmem_tEENKUlT_SJ_SK_SL_E_clISE_PtSF_SF_EESI_SY_SJ_SK_SL_EUlSY_E0_NS1_11comp_targetILNS1_3genE3ELNS1_11target_archE908ELNS1_3gpuE7ELNS1_3repE0EEENS1_38merge_mergepath_config_static_selectorELNS0_4arch9wavefront6targetE0EEEvSK_
                                        ; -- End function
	.set _ZN7rocprim17ROCPRIM_400000_NS6detail17trampoline_kernelINS0_14default_configENS1_38merge_sort_block_merge_config_selectorItNS0_10empty_typeEEEZZNS1_27merge_sort_block_merge_implIS3_N6thrust23THRUST_200600_302600_NS6detail15normal_iteratorINS9_10device_ptrItEEEEPS5_m11less_div_10ItEEE10hipError_tT0_T1_T2_jT3_P12ihipStream_tbPNSt15iterator_traitsISJ_E10value_typeEPNSP_ISK_E10value_typeEPSL_NS1_7vsmem_tEENKUlT_SJ_SK_SL_E_clISE_PtSF_SF_EESI_SY_SJ_SK_SL_EUlSY_E0_NS1_11comp_targetILNS1_3genE3ELNS1_11target_archE908ELNS1_3gpuE7ELNS1_3repE0EEENS1_38merge_mergepath_config_static_selectorELNS0_4arch9wavefront6targetE0EEEvSK_.num_vgpr, 0
	.set _ZN7rocprim17ROCPRIM_400000_NS6detail17trampoline_kernelINS0_14default_configENS1_38merge_sort_block_merge_config_selectorItNS0_10empty_typeEEEZZNS1_27merge_sort_block_merge_implIS3_N6thrust23THRUST_200600_302600_NS6detail15normal_iteratorINS9_10device_ptrItEEEEPS5_m11less_div_10ItEEE10hipError_tT0_T1_T2_jT3_P12ihipStream_tbPNSt15iterator_traitsISJ_E10value_typeEPNSP_ISK_E10value_typeEPSL_NS1_7vsmem_tEENKUlT_SJ_SK_SL_E_clISE_PtSF_SF_EESI_SY_SJ_SK_SL_EUlSY_E0_NS1_11comp_targetILNS1_3genE3ELNS1_11target_archE908ELNS1_3gpuE7ELNS1_3repE0EEENS1_38merge_mergepath_config_static_selectorELNS0_4arch9wavefront6targetE0EEEvSK_.num_agpr, 0
	.set _ZN7rocprim17ROCPRIM_400000_NS6detail17trampoline_kernelINS0_14default_configENS1_38merge_sort_block_merge_config_selectorItNS0_10empty_typeEEEZZNS1_27merge_sort_block_merge_implIS3_N6thrust23THRUST_200600_302600_NS6detail15normal_iteratorINS9_10device_ptrItEEEEPS5_m11less_div_10ItEEE10hipError_tT0_T1_T2_jT3_P12ihipStream_tbPNSt15iterator_traitsISJ_E10value_typeEPNSP_ISK_E10value_typeEPSL_NS1_7vsmem_tEENKUlT_SJ_SK_SL_E_clISE_PtSF_SF_EESI_SY_SJ_SK_SL_EUlSY_E0_NS1_11comp_targetILNS1_3genE3ELNS1_11target_archE908ELNS1_3gpuE7ELNS1_3repE0EEENS1_38merge_mergepath_config_static_selectorELNS0_4arch9wavefront6targetE0EEEvSK_.numbered_sgpr, 0
	.set _ZN7rocprim17ROCPRIM_400000_NS6detail17trampoline_kernelINS0_14default_configENS1_38merge_sort_block_merge_config_selectorItNS0_10empty_typeEEEZZNS1_27merge_sort_block_merge_implIS3_N6thrust23THRUST_200600_302600_NS6detail15normal_iteratorINS9_10device_ptrItEEEEPS5_m11less_div_10ItEEE10hipError_tT0_T1_T2_jT3_P12ihipStream_tbPNSt15iterator_traitsISJ_E10value_typeEPNSP_ISK_E10value_typeEPSL_NS1_7vsmem_tEENKUlT_SJ_SK_SL_E_clISE_PtSF_SF_EESI_SY_SJ_SK_SL_EUlSY_E0_NS1_11comp_targetILNS1_3genE3ELNS1_11target_archE908ELNS1_3gpuE7ELNS1_3repE0EEENS1_38merge_mergepath_config_static_selectorELNS0_4arch9wavefront6targetE0EEEvSK_.num_named_barrier, 0
	.set _ZN7rocprim17ROCPRIM_400000_NS6detail17trampoline_kernelINS0_14default_configENS1_38merge_sort_block_merge_config_selectorItNS0_10empty_typeEEEZZNS1_27merge_sort_block_merge_implIS3_N6thrust23THRUST_200600_302600_NS6detail15normal_iteratorINS9_10device_ptrItEEEEPS5_m11less_div_10ItEEE10hipError_tT0_T1_T2_jT3_P12ihipStream_tbPNSt15iterator_traitsISJ_E10value_typeEPNSP_ISK_E10value_typeEPSL_NS1_7vsmem_tEENKUlT_SJ_SK_SL_E_clISE_PtSF_SF_EESI_SY_SJ_SK_SL_EUlSY_E0_NS1_11comp_targetILNS1_3genE3ELNS1_11target_archE908ELNS1_3gpuE7ELNS1_3repE0EEENS1_38merge_mergepath_config_static_selectorELNS0_4arch9wavefront6targetE0EEEvSK_.private_seg_size, 0
	.set _ZN7rocprim17ROCPRIM_400000_NS6detail17trampoline_kernelINS0_14default_configENS1_38merge_sort_block_merge_config_selectorItNS0_10empty_typeEEEZZNS1_27merge_sort_block_merge_implIS3_N6thrust23THRUST_200600_302600_NS6detail15normal_iteratorINS9_10device_ptrItEEEEPS5_m11less_div_10ItEEE10hipError_tT0_T1_T2_jT3_P12ihipStream_tbPNSt15iterator_traitsISJ_E10value_typeEPNSP_ISK_E10value_typeEPSL_NS1_7vsmem_tEENKUlT_SJ_SK_SL_E_clISE_PtSF_SF_EESI_SY_SJ_SK_SL_EUlSY_E0_NS1_11comp_targetILNS1_3genE3ELNS1_11target_archE908ELNS1_3gpuE7ELNS1_3repE0EEENS1_38merge_mergepath_config_static_selectorELNS0_4arch9wavefront6targetE0EEEvSK_.uses_vcc, 0
	.set _ZN7rocprim17ROCPRIM_400000_NS6detail17trampoline_kernelINS0_14default_configENS1_38merge_sort_block_merge_config_selectorItNS0_10empty_typeEEEZZNS1_27merge_sort_block_merge_implIS3_N6thrust23THRUST_200600_302600_NS6detail15normal_iteratorINS9_10device_ptrItEEEEPS5_m11less_div_10ItEEE10hipError_tT0_T1_T2_jT3_P12ihipStream_tbPNSt15iterator_traitsISJ_E10value_typeEPNSP_ISK_E10value_typeEPSL_NS1_7vsmem_tEENKUlT_SJ_SK_SL_E_clISE_PtSF_SF_EESI_SY_SJ_SK_SL_EUlSY_E0_NS1_11comp_targetILNS1_3genE3ELNS1_11target_archE908ELNS1_3gpuE7ELNS1_3repE0EEENS1_38merge_mergepath_config_static_selectorELNS0_4arch9wavefront6targetE0EEEvSK_.uses_flat_scratch, 0
	.set _ZN7rocprim17ROCPRIM_400000_NS6detail17trampoline_kernelINS0_14default_configENS1_38merge_sort_block_merge_config_selectorItNS0_10empty_typeEEEZZNS1_27merge_sort_block_merge_implIS3_N6thrust23THRUST_200600_302600_NS6detail15normal_iteratorINS9_10device_ptrItEEEEPS5_m11less_div_10ItEEE10hipError_tT0_T1_T2_jT3_P12ihipStream_tbPNSt15iterator_traitsISJ_E10value_typeEPNSP_ISK_E10value_typeEPSL_NS1_7vsmem_tEENKUlT_SJ_SK_SL_E_clISE_PtSF_SF_EESI_SY_SJ_SK_SL_EUlSY_E0_NS1_11comp_targetILNS1_3genE3ELNS1_11target_archE908ELNS1_3gpuE7ELNS1_3repE0EEENS1_38merge_mergepath_config_static_selectorELNS0_4arch9wavefront6targetE0EEEvSK_.has_dyn_sized_stack, 0
	.set _ZN7rocprim17ROCPRIM_400000_NS6detail17trampoline_kernelINS0_14default_configENS1_38merge_sort_block_merge_config_selectorItNS0_10empty_typeEEEZZNS1_27merge_sort_block_merge_implIS3_N6thrust23THRUST_200600_302600_NS6detail15normal_iteratorINS9_10device_ptrItEEEEPS5_m11less_div_10ItEEE10hipError_tT0_T1_T2_jT3_P12ihipStream_tbPNSt15iterator_traitsISJ_E10value_typeEPNSP_ISK_E10value_typeEPSL_NS1_7vsmem_tEENKUlT_SJ_SK_SL_E_clISE_PtSF_SF_EESI_SY_SJ_SK_SL_EUlSY_E0_NS1_11comp_targetILNS1_3genE3ELNS1_11target_archE908ELNS1_3gpuE7ELNS1_3repE0EEENS1_38merge_mergepath_config_static_selectorELNS0_4arch9wavefront6targetE0EEEvSK_.has_recursion, 0
	.set _ZN7rocprim17ROCPRIM_400000_NS6detail17trampoline_kernelINS0_14default_configENS1_38merge_sort_block_merge_config_selectorItNS0_10empty_typeEEEZZNS1_27merge_sort_block_merge_implIS3_N6thrust23THRUST_200600_302600_NS6detail15normal_iteratorINS9_10device_ptrItEEEEPS5_m11less_div_10ItEEE10hipError_tT0_T1_T2_jT3_P12ihipStream_tbPNSt15iterator_traitsISJ_E10value_typeEPNSP_ISK_E10value_typeEPSL_NS1_7vsmem_tEENKUlT_SJ_SK_SL_E_clISE_PtSF_SF_EESI_SY_SJ_SK_SL_EUlSY_E0_NS1_11comp_targetILNS1_3genE3ELNS1_11target_archE908ELNS1_3gpuE7ELNS1_3repE0EEENS1_38merge_mergepath_config_static_selectorELNS0_4arch9wavefront6targetE0EEEvSK_.has_indirect_call, 0
	.section	.AMDGPU.csdata,"",@progbits
; Kernel info:
; codeLenInByte = 0
; TotalNumSgprs: 0
; NumVgprs: 0
; ScratchSize: 0
; MemoryBound: 0
; FloatMode: 240
; IeeeMode: 1
; LDSByteSize: 0 bytes/workgroup (compile time only)
; SGPRBlocks: 0
; VGPRBlocks: 0
; NumSGPRsForWavesPerEU: 1
; NumVGPRsForWavesPerEU: 1
; Occupancy: 16
; WaveLimiterHint : 0
; COMPUTE_PGM_RSRC2:SCRATCH_EN: 0
; COMPUTE_PGM_RSRC2:USER_SGPR: 6
; COMPUTE_PGM_RSRC2:TRAP_HANDLER: 0
; COMPUTE_PGM_RSRC2:TGID_X_EN: 1
; COMPUTE_PGM_RSRC2:TGID_Y_EN: 0
; COMPUTE_PGM_RSRC2:TGID_Z_EN: 0
; COMPUTE_PGM_RSRC2:TIDIG_COMP_CNT: 0
	.section	.text._ZN7rocprim17ROCPRIM_400000_NS6detail17trampoline_kernelINS0_14default_configENS1_38merge_sort_block_merge_config_selectorItNS0_10empty_typeEEEZZNS1_27merge_sort_block_merge_implIS3_N6thrust23THRUST_200600_302600_NS6detail15normal_iteratorINS9_10device_ptrItEEEEPS5_m11less_div_10ItEEE10hipError_tT0_T1_T2_jT3_P12ihipStream_tbPNSt15iterator_traitsISJ_E10value_typeEPNSP_ISK_E10value_typeEPSL_NS1_7vsmem_tEENKUlT_SJ_SK_SL_E_clISE_PtSF_SF_EESI_SY_SJ_SK_SL_EUlSY_E0_NS1_11comp_targetILNS1_3genE2ELNS1_11target_archE906ELNS1_3gpuE6ELNS1_3repE0EEENS1_38merge_mergepath_config_static_selectorELNS0_4arch9wavefront6targetE0EEEvSK_,"axG",@progbits,_ZN7rocprim17ROCPRIM_400000_NS6detail17trampoline_kernelINS0_14default_configENS1_38merge_sort_block_merge_config_selectorItNS0_10empty_typeEEEZZNS1_27merge_sort_block_merge_implIS3_N6thrust23THRUST_200600_302600_NS6detail15normal_iteratorINS9_10device_ptrItEEEEPS5_m11less_div_10ItEEE10hipError_tT0_T1_T2_jT3_P12ihipStream_tbPNSt15iterator_traitsISJ_E10value_typeEPNSP_ISK_E10value_typeEPSL_NS1_7vsmem_tEENKUlT_SJ_SK_SL_E_clISE_PtSF_SF_EESI_SY_SJ_SK_SL_EUlSY_E0_NS1_11comp_targetILNS1_3genE2ELNS1_11target_archE906ELNS1_3gpuE6ELNS1_3repE0EEENS1_38merge_mergepath_config_static_selectorELNS0_4arch9wavefront6targetE0EEEvSK_,comdat
	.protected	_ZN7rocprim17ROCPRIM_400000_NS6detail17trampoline_kernelINS0_14default_configENS1_38merge_sort_block_merge_config_selectorItNS0_10empty_typeEEEZZNS1_27merge_sort_block_merge_implIS3_N6thrust23THRUST_200600_302600_NS6detail15normal_iteratorINS9_10device_ptrItEEEEPS5_m11less_div_10ItEEE10hipError_tT0_T1_T2_jT3_P12ihipStream_tbPNSt15iterator_traitsISJ_E10value_typeEPNSP_ISK_E10value_typeEPSL_NS1_7vsmem_tEENKUlT_SJ_SK_SL_E_clISE_PtSF_SF_EESI_SY_SJ_SK_SL_EUlSY_E0_NS1_11comp_targetILNS1_3genE2ELNS1_11target_archE906ELNS1_3gpuE6ELNS1_3repE0EEENS1_38merge_mergepath_config_static_selectorELNS0_4arch9wavefront6targetE0EEEvSK_ ; -- Begin function _ZN7rocprim17ROCPRIM_400000_NS6detail17trampoline_kernelINS0_14default_configENS1_38merge_sort_block_merge_config_selectorItNS0_10empty_typeEEEZZNS1_27merge_sort_block_merge_implIS3_N6thrust23THRUST_200600_302600_NS6detail15normal_iteratorINS9_10device_ptrItEEEEPS5_m11less_div_10ItEEE10hipError_tT0_T1_T2_jT3_P12ihipStream_tbPNSt15iterator_traitsISJ_E10value_typeEPNSP_ISK_E10value_typeEPSL_NS1_7vsmem_tEENKUlT_SJ_SK_SL_E_clISE_PtSF_SF_EESI_SY_SJ_SK_SL_EUlSY_E0_NS1_11comp_targetILNS1_3genE2ELNS1_11target_archE906ELNS1_3gpuE6ELNS1_3repE0EEENS1_38merge_mergepath_config_static_selectorELNS0_4arch9wavefront6targetE0EEEvSK_
	.globl	_ZN7rocprim17ROCPRIM_400000_NS6detail17trampoline_kernelINS0_14default_configENS1_38merge_sort_block_merge_config_selectorItNS0_10empty_typeEEEZZNS1_27merge_sort_block_merge_implIS3_N6thrust23THRUST_200600_302600_NS6detail15normal_iteratorINS9_10device_ptrItEEEEPS5_m11less_div_10ItEEE10hipError_tT0_T1_T2_jT3_P12ihipStream_tbPNSt15iterator_traitsISJ_E10value_typeEPNSP_ISK_E10value_typeEPSL_NS1_7vsmem_tEENKUlT_SJ_SK_SL_E_clISE_PtSF_SF_EESI_SY_SJ_SK_SL_EUlSY_E0_NS1_11comp_targetILNS1_3genE2ELNS1_11target_archE906ELNS1_3gpuE6ELNS1_3repE0EEENS1_38merge_mergepath_config_static_selectorELNS0_4arch9wavefront6targetE0EEEvSK_
	.p2align	8
	.type	_ZN7rocprim17ROCPRIM_400000_NS6detail17trampoline_kernelINS0_14default_configENS1_38merge_sort_block_merge_config_selectorItNS0_10empty_typeEEEZZNS1_27merge_sort_block_merge_implIS3_N6thrust23THRUST_200600_302600_NS6detail15normal_iteratorINS9_10device_ptrItEEEEPS5_m11less_div_10ItEEE10hipError_tT0_T1_T2_jT3_P12ihipStream_tbPNSt15iterator_traitsISJ_E10value_typeEPNSP_ISK_E10value_typeEPSL_NS1_7vsmem_tEENKUlT_SJ_SK_SL_E_clISE_PtSF_SF_EESI_SY_SJ_SK_SL_EUlSY_E0_NS1_11comp_targetILNS1_3genE2ELNS1_11target_archE906ELNS1_3gpuE6ELNS1_3repE0EEENS1_38merge_mergepath_config_static_selectorELNS0_4arch9wavefront6targetE0EEEvSK_,@function
_ZN7rocprim17ROCPRIM_400000_NS6detail17trampoline_kernelINS0_14default_configENS1_38merge_sort_block_merge_config_selectorItNS0_10empty_typeEEEZZNS1_27merge_sort_block_merge_implIS3_N6thrust23THRUST_200600_302600_NS6detail15normal_iteratorINS9_10device_ptrItEEEEPS5_m11less_div_10ItEEE10hipError_tT0_T1_T2_jT3_P12ihipStream_tbPNSt15iterator_traitsISJ_E10value_typeEPNSP_ISK_E10value_typeEPSL_NS1_7vsmem_tEENKUlT_SJ_SK_SL_E_clISE_PtSF_SF_EESI_SY_SJ_SK_SL_EUlSY_E0_NS1_11comp_targetILNS1_3genE2ELNS1_11target_archE906ELNS1_3gpuE6ELNS1_3repE0EEENS1_38merge_mergepath_config_static_selectorELNS0_4arch9wavefront6targetE0EEEvSK_: ; @_ZN7rocprim17ROCPRIM_400000_NS6detail17trampoline_kernelINS0_14default_configENS1_38merge_sort_block_merge_config_selectorItNS0_10empty_typeEEEZZNS1_27merge_sort_block_merge_implIS3_N6thrust23THRUST_200600_302600_NS6detail15normal_iteratorINS9_10device_ptrItEEEEPS5_m11less_div_10ItEEE10hipError_tT0_T1_T2_jT3_P12ihipStream_tbPNSt15iterator_traitsISJ_E10value_typeEPNSP_ISK_E10value_typeEPSL_NS1_7vsmem_tEENKUlT_SJ_SK_SL_E_clISE_PtSF_SF_EESI_SY_SJ_SK_SL_EUlSY_E0_NS1_11comp_targetILNS1_3genE2ELNS1_11target_archE906ELNS1_3gpuE6ELNS1_3repE0EEENS1_38merge_mergepath_config_static_selectorELNS0_4arch9wavefront6targetE0EEEvSK_
; %bb.0:
	.section	.rodata,"a",@progbits
	.p2align	6, 0x0
	.amdhsa_kernel _ZN7rocprim17ROCPRIM_400000_NS6detail17trampoline_kernelINS0_14default_configENS1_38merge_sort_block_merge_config_selectorItNS0_10empty_typeEEEZZNS1_27merge_sort_block_merge_implIS3_N6thrust23THRUST_200600_302600_NS6detail15normal_iteratorINS9_10device_ptrItEEEEPS5_m11less_div_10ItEEE10hipError_tT0_T1_T2_jT3_P12ihipStream_tbPNSt15iterator_traitsISJ_E10value_typeEPNSP_ISK_E10value_typeEPSL_NS1_7vsmem_tEENKUlT_SJ_SK_SL_E_clISE_PtSF_SF_EESI_SY_SJ_SK_SL_EUlSY_E0_NS1_11comp_targetILNS1_3genE2ELNS1_11target_archE906ELNS1_3gpuE6ELNS1_3repE0EEENS1_38merge_mergepath_config_static_selectorELNS0_4arch9wavefront6targetE0EEEvSK_
		.amdhsa_group_segment_fixed_size 0
		.amdhsa_private_segment_fixed_size 0
		.amdhsa_kernarg_size 72
		.amdhsa_user_sgpr_count 6
		.amdhsa_user_sgpr_private_segment_buffer 1
		.amdhsa_user_sgpr_dispatch_ptr 0
		.amdhsa_user_sgpr_queue_ptr 0
		.amdhsa_user_sgpr_kernarg_segment_ptr 1
		.amdhsa_user_sgpr_dispatch_id 0
		.amdhsa_user_sgpr_flat_scratch_init 0
		.amdhsa_user_sgpr_private_segment_size 0
		.amdhsa_wavefront_size32 1
		.amdhsa_uses_dynamic_stack 0
		.amdhsa_system_sgpr_private_segment_wavefront_offset 0
		.amdhsa_system_sgpr_workgroup_id_x 1
		.amdhsa_system_sgpr_workgroup_id_y 0
		.amdhsa_system_sgpr_workgroup_id_z 0
		.amdhsa_system_sgpr_workgroup_info 0
		.amdhsa_system_vgpr_workitem_id 0
		.amdhsa_next_free_vgpr 1
		.amdhsa_next_free_sgpr 1
		.amdhsa_reserve_vcc 0
		.amdhsa_reserve_flat_scratch 0
		.amdhsa_float_round_mode_32 0
		.amdhsa_float_round_mode_16_64 0
		.amdhsa_float_denorm_mode_32 3
		.amdhsa_float_denorm_mode_16_64 3
		.amdhsa_dx10_clamp 1
		.amdhsa_ieee_mode 1
		.amdhsa_fp16_overflow 0
		.amdhsa_workgroup_processor_mode 1
		.amdhsa_memory_ordered 1
		.amdhsa_forward_progress 1
		.amdhsa_shared_vgpr_count 0
		.amdhsa_exception_fp_ieee_invalid_op 0
		.amdhsa_exception_fp_denorm_src 0
		.amdhsa_exception_fp_ieee_div_zero 0
		.amdhsa_exception_fp_ieee_overflow 0
		.amdhsa_exception_fp_ieee_underflow 0
		.amdhsa_exception_fp_ieee_inexact 0
		.amdhsa_exception_int_div_zero 0
	.end_amdhsa_kernel
	.section	.text._ZN7rocprim17ROCPRIM_400000_NS6detail17trampoline_kernelINS0_14default_configENS1_38merge_sort_block_merge_config_selectorItNS0_10empty_typeEEEZZNS1_27merge_sort_block_merge_implIS3_N6thrust23THRUST_200600_302600_NS6detail15normal_iteratorINS9_10device_ptrItEEEEPS5_m11less_div_10ItEEE10hipError_tT0_T1_T2_jT3_P12ihipStream_tbPNSt15iterator_traitsISJ_E10value_typeEPNSP_ISK_E10value_typeEPSL_NS1_7vsmem_tEENKUlT_SJ_SK_SL_E_clISE_PtSF_SF_EESI_SY_SJ_SK_SL_EUlSY_E0_NS1_11comp_targetILNS1_3genE2ELNS1_11target_archE906ELNS1_3gpuE6ELNS1_3repE0EEENS1_38merge_mergepath_config_static_selectorELNS0_4arch9wavefront6targetE0EEEvSK_,"axG",@progbits,_ZN7rocprim17ROCPRIM_400000_NS6detail17trampoline_kernelINS0_14default_configENS1_38merge_sort_block_merge_config_selectorItNS0_10empty_typeEEEZZNS1_27merge_sort_block_merge_implIS3_N6thrust23THRUST_200600_302600_NS6detail15normal_iteratorINS9_10device_ptrItEEEEPS5_m11less_div_10ItEEE10hipError_tT0_T1_T2_jT3_P12ihipStream_tbPNSt15iterator_traitsISJ_E10value_typeEPNSP_ISK_E10value_typeEPSL_NS1_7vsmem_tEENKUlT_SJ_SK_SL_E_clISE_PtSF_SF_EESI_SY_SJ_SK_SL_EUlSY_E0_NS1_11comp_targetILNS1_3genE2ELNS1_11target_archE906ELNS1_3gpuE6ELNS1_3repE0EEENS1_38merge_mergepath_config_static_selectorELNS0_4arch9wavefront6targetE0EEEvSK_,comdat
.Lfunc_end279:
	.size	_ZN7rocprim17ROCPRIM_400000_NS6detail17trampoline_kernelINS0_14default_configENS1_38merge_sort_block_merge_config_selectorItNS0_10empty_typeEEEZZNS1_27merge_sort_block_merge_implIS3_N6thrust23THRUST_200600_302600_NS6detail15normal_iteratorINS9_10device_ptrItEEEEPS5_m11less_div_10ItEEE10hipError_tT0_T1_T2_jT3_P12ihipStream_tbPNSt15iterator_traitsISJ_E10value_typeEPNSP_ISK_E10value_typeEPSL_NS1_7vsmem_tEENKUlT_SJ_SK_SL_E_clISE_PtSF_SF_EESI_SY_SJ_SK_SL_EUlSY_E0_NS1_11comp_targetILNS1_3genE2ELNS1_11target_archE906ELNS1_3gpuE6ELNS1_3repE0EEENS1_38merge_mergepath_config_static_selectorELNS0_4arch9wavefront6targetE0EEEvSK_, .Lfunc_end279-_ZN7rocprim17ROCPRIM_400000_NS6detail17trampoline_kernelINS0_14default_configENS1_38merge_sort_block_merge_config_selectorItNS0_10empty_typeEEEZZNS1_27merge_sort_block_merge_implIS3_N6thrust23THRUST_200600_302600_NS6detail15normal_iteratorINS9_10device_ptrItEEEEPS5_m11less_div_10ItEEE10hipError_tT0_T1_T2_jT3_P12ihipStream_tbPNSt15iterator_traitsISJ_E10value_typeEPNSP_ISK_E10value_typeEPSL_NS1_7vsmem_tEENKUlT_SJ_SK_SL_E_clISE_PtSF_SF_EESI_SY_SJ_SK_SL_EUlSY_E0_NS1_11comp_targetILNS1_3genE2ELNS1_11target_archE906ELNS1_3gpuE6ELNS1_3repE0EEENS1_38merge_mergepath_config_static_selectorELNS0_4arch9wavefront6targetE0EEEvSK_
                                        ; -- End function
	.set _ZN7rocprim17ROCPRIM_400000_NS6detail17trampoline_kernelINS0_14default_configENS1_38merge_sort_block_merge_config_selectorItNS0_10empty_typeEEEZZNS1_27merge_sort_block_merge_implIS3_N6thrust23THRUST_200600_302600_NS6detail15normal_iteratorINS9_10device_ptrItEEEEPS5_m11less_div_10ItEEE10hipError_tT0_T1_T2_jT3_P12ihipStream_tbPNSt15iterator_traitsISJ_E10value_typeEPNSP_ISK_E10value_typeEPSL_NS1_7vsmem_tEENKUlT_SJ_SK_SL_E_clISE_PtSF_SF_EESI_SY_SJ_SK_SL_EUlSY_E0_NS1_11comp_targetILNS1_3genE2ELNS1_11target_archE906ELNS1_3gpuE6ELNS1_3repE0EEENS1_38merge_mergepath_config_static_selectorELNS0_4arch9wavefront6targetE0EEEvSK_.num_vgpr, 0
	.set _ZN7rocprim17ROCPRIM_400000_NS6detail17trampoline_kernelINS0_14default_configENS1_38merge_sort_block_merge_config_selectorItNS0_10empty_typeEEEZZNS1_27merge_sort_block_merge_implIS3_N6thrust23THRUST_200600_302600_NS6detail15normal_iteratorINS9_10device_ptrItEEEEPS5_m11less_div_10ItEEE10hipError_tT0_T1_T2_jT3_P12ihipStream_tbPNSt15iterator_traitsISJ_E10value_typeEPNSP_ISK_E10value_typeEPSL_NS1_7vsmem_tEENKUlT_SJ_SK_SL_E_clISE_PtSF_SF_EESI_SY_SJ_SK_SL_EUlSY_E0_NS1_11comp_targetILNS1_3genE2ELNS1_11target_archE906ELNS1_3gpuE6ELNS1_3repE0EEENS1_38merge_mergepath_config_static_selectorELNS0_4arch9wavefront6targetE0EEEvSK_.num_agpr, 0
	.set _ZN7rocprim17ROCPRIM_400000_NS6detail17trampoline_kernelINS0_14default_configENS1_38merge_sort_block_merge_config_selectorItNS0_10empty_typeEEEZZNS1_27merge_sort_block_merge_implIS3_N6thrust23THRUST_200600_302600_NS6detail15normal_iteratorINS9_10device_ptrItEEEEPS5_m11less_div_10ItEEE10hipError_tT0_T1_T2_jT3_P12ihipStream_tbPNSt15iterator_traitsISJ_E10value_typeEPNSP_ISK_E10value_typeEPSL_NS1_7vsmem_tEENKUlT_SJ_SK_SL_E_clISE_PtSF_SF_EESI_SY_SJ_SK_SL_EUlSY_E0_NS1_11comp_targetILNS1_3genE2ELNS1_11target_archE906ELNS1_3gpuE6ELNS1_3repE0EEENS1_38merge_mergepath_config_static_selectorELNS0_4arch9wavefront6targetE0EEEvSK_.numbered_sgpr, 0
	.set _ZN7rocprim17ROCPRIM_400000_NS6detail17trampoline_kernelINS0_14default_configENS1_38merge_sort_block_merge_config_selectorItNS0_10empty_typeEEEZZNS1_27merge_sort_block_merge_implIS3_N6thrust23THRUST_200600_302600_NS6detail15normal_iteratorINS9_10device_ptrItEEEEPS5_m11less_div_10ItEEE10hipError_tT0_T1_T2_jT3_P12ihipStream_tbPNSt15iterator_traitsISJ_E10value_typeEPNSP_ISK_E10value_typeEPSL_NS1_7vsmem_tEENKUlT_SJ_SK_SL_E_clISE_PtSF_SF_EESI_SY_SJ_SK_SL_EUlSY_E0_NS1_11comp_targetILNS1_3genE2ELNS1_11target_archE906ELNS1_3gpuE6ELNS1_3repE0EEENS1_38merge_mergepath_config_static_selectorELNS0_4arch9wavefront6targetE0EEEvSK_.num_named_barrier, 0
	.set _ZN7rocprim17ROCPRIM_400000_NS6detail17trampoline_kernelINS0_14default_configENS1_38merge_sort_block_merge_config_selectorItNS0_10empty_typeEEEZZNS1_27merge_sort_block_merge_implIS3_N6thrust23THRUST_200600_302600_NS6detail15normal_iteratorINS9_10device_ptrItEEEEPS5_m11less_div_10ItEEE10hipError_tT0_T1_T2_jT3_P12ihipStream_tbPNSt15iterator_traitsISJ_E10value_typeEPNSP_ISK_E10value_typeEPSL_NS1_7vsmem_tEENKUlT_SJ_SK_SL_E_clISE_PtSF_SF_EESI_SY_SJ_SK_SL_EUlSY_E0_NS1_11comp_targetILNS1_3genE2ELNS1_11target_archE906ELNS1_3gpuE6ELNS1_3repE0EEENS1_38merge_mergepath_config_static_selectorELNS0_4arch9wavefront6targetE0EEEvSK_.private_seg_size, 0
	.set _ZN7rocprim17ROCPRIM_400000_NS6detail17trampoline_kernelINS0_14default_configENS1_38merge_sort_block_merge_config_selectorItNS0_10empty_typeEEEZZNS1_27merge_sort_block_merge_implIS3_N6thrust23THRUST_200600_302600_NS6detail15normal_iteratorINS9_10device_ptrItEEEEPS5_m11less_div_10ItEEE10hipError_tT0_T1_T2_jT3_P12ihipStream_tbPNSt15iterator_traitsISJ_E10value_typeEPNSP_ISK_E10value_typeEPSL_NS1_7vsmem_tEENKUlT_SJ_SK_SL_E_clISE_PtSF_SF_EESI_SY_SJ_SK_SL_EUlSY_E0_NS1_11comp_targetILNS1_3genE2ELNS1_11target_archE906ELNS1_3gpuE6ELNS1_3repE0EEENS1_38merge_mergepath_config_static_selectorELNS0_4arch9wavefront6targetE0EEEvSK_.uses_vcc, 0
	.set _ZN7rocprim17ROCPRIM_400000_NS6detail17trampoline_kernelINS0_14default_configENS1_38merge_sort_block_merge_config_selectorItNS0_10empty_typeEEEZZNS1_27merge_sort_block_merge_implIS3_N6thrust23THRUST_200600_302600_NS6detail15normal_iteratorINS9_10device_ptrItEEEEPS5_m11less_div_10ItEEE10hipError_tT0_T1_T2_jT3_P12ihipStream_tbPNSt15iterator_traitsISJ_E10value_typeEPNSP_ISK_E10value_typeEPSL_NS1_7vsmem_tEENKUlT_SJ_SK_SL_E_clISE_PtSF_SF_EESI_SY_SJ_SK_SL_EUlSY_E0_NS1_11comp_targetILNS1_3genE2ELNS1_11target_archE906ELNS1_3gpuE6ELNS1_3repE0EEENS1_38merge_mergepath_config_static_selectorELNS0_4arch9wavefront6targetE0EEEvSK_.uses_flat_scratch, 0
	.set _ZN7rocprim17ROCPRIM_400000_NS6detail17trampoline_kernelINS0_14default_configENS1_38merge_sort_block_merge_config_selectorItNS0_10empty_typeEEEZZNS1_27merge_sort_block_merge_implIS3_N6thrust23THRUST_200600_302600_NS6detail15normal_iteratorINS9_10device_ptrItEEEEPS5_m11less_div_10ItEEE10hipError_tT0_T1_T2_jT3_P12ihipStream_tbPNSt15iterator_traitsISJ_E10value_typeEPNSP_ISK_E10value_typeEPSL_NS1_7vsmem_tEENKUlT_SJ_SK_SL_E_clISE_PtSF_SF_EESI_SY_SJ_SK_SL_EUlSY_E0_NS1_11comp_targetILNS1_3genE2ELNS1_11target_archE906ELNS1_3gpuE6ELNS1_3repE0EEENS1_38merge_mergepath_config_static_selectorELNS0_4arch9wavefront6targetE0EEEvSK_.has_dyn_sized_stack, 0
	.set _ZN7rocprim17ROCPRIM_400000_NS6detail17trampoline_kernelINS0_14default_configENS1_38merge_sort_block_merge_config_selectorItNS0_10empty_typeEEEZZNS1_27merge_sort_block_merge_implIS3_N6thrust23THRUST_200600_302600_NS6detail15normal_iteratorINS9_10device_ptrItEEEEPS5_m11less_div_10ItEEE10hipError_tT0_T1_T2_jT3_P12ihipStream_tbPNSt15iterator_traitsISJ_E10value_typeEPNSP_ISK_E10value_typeEPSL_NS1_7vsmem_tEENKUlT_SJ_SK_SL_E_clISE_PtSF_SF_EESI_SY_SJ_SK_SL_EUlSY_E0_NS1_11comp_targetILNS1_3genE2ELNS1_11target_archE906ELNS1_3gpuE6ELNS1_3repE0EEENS1_38merge_mergepath_config_static_selectorELNS0_4arch9wavefront6targetE0EEEvSK_.has_recursion, 0
	.set _ZN7rocprim17ROCPRIM_400000_NS6detail17trampoline_kernelINS0_14default_configENS1_38merge_sort_block_merge_config_selectorItNS0_10empty_typeEEEZZNS1_27merge_sort_block_merge_implIS3_N6thrust23THRUST_200600_302600_NS6detail15normal_iteratorINS9_10device_ptrItEEEEPS5_m11less_div_10ItEEE10hipError_tT0_T1_T2_jT3_P12ihipStream_tbPNSt15iterator_traitsISJ_E10value_typeEPNSP_ISK_E10value_typeEPSL_NS1_7vsmem_tEENKUlT_SJ_SK_SL_E_clISE_PtSF_SF_EESI_SY_SJ_SK_SL_EUlSY_E0_NS1_11comp_targetILNS1_3genE2ELNS1_11target_archE906ELNS1_3gpuE6ELNS1_3repE0EEENS1_38merge_mergepath_config_static_selectorELNS0_4arch9wavefront6targetE0EEEvSK_.has_indirect_call, 0
	.section	.AMDGPU.csdata,"",@progbits
; Kernel info:
; codeLenInByte = 0
; TotalNumSgprs: 0
; NumVgprs: 0
; ScratchSize: 0
; MemoryBound: 0
; FloatMode: 240
; IeeeMode: 1
; LDSByteSize: 0 bytes/workgroup (compile time only)
; SGPRBlocks: 0
; VGPRBlocks: 0
; NumSGPRsForWavesPerEU: 1
; NumVGPRsForWavesPerEU: 1
; Occupancy: 16
; WaveLimiterHint : 0
; COMPUTE_PGM_RSRC2:SCRATCH_EN: 0
; COMPUTE_PGM_RSRC2:USER_SGPR: 6
; COMPUTE_PGM_RSRC2:TRAP_HANDLER: 0
; COMPUTE_PGM_RSRC2:TGID_X_EN: 1
; COMPUTE_PGM_RSRC2:TGID_Y_EN: 0
; COMPUTE_PGM_RSRC2:TGID_Z_EN: 0
; COMPUTE_PGM_RSRC2:TIDIG_COMP_CNT: 0
	.section	.text._ZN7rocprim17ROCPRIM_400000_NS6detail17trampoline_kernelINS0_14default_configENS1_38merge_sort_block_merge_config_selectorItNS0_10empty_typeEEEZZNS1_27merge_sort_block_merge_implIS3_N6thrust23THRUST_200600_302600_NS6detail15normal_iteratorINS9_10device_ptrItEEEEPS5_m11less_div_10ItEEE10hipError_tT0_T1_T2_jT3_P12ihipStream_tbPNSt15iterator_traitsISJ_E10value_typeEPNSP_ISK_E10value_typeEPSL_NS1_7vsmem_tEENKUlT_SJ_SK_SL_E_clISE_PtSF_SF_EESI_SY_SJ_SK_SL_EUlSY_E0_NS1_11comp_targetILNS1_3genE9ELNS1_11target_archE1100ELNS1_3gpuE3ELNS1_3repE0EEENS1_38merge_mergepath_config_static_selectorELNS0_4arch9wavefront6targetE0EEEvSK_,"axG",@progbits,_ZN7rocprim17ROCPRIM_400000_NS6detail17trampoline_kernelINS0_14default_configENS1_38merge_sort_block_merge_config_selectorItNS0_10empty_typeEEEZZNS1_27merge_sort_block_merge_implIS3_N6thrust23THRUST_200600_302600_NS6detail15normal_iteratorINS9_10device_ptrItEEEEPS5_m11less_div_10ItEEE10hipError_tT0_T1_T2_jT3_P12ihipStream_tbPNSt15iterator_traitsISJ_E10value_typeEPNSP_ISK_E10value_typeEPSL_NS1_7vsmem_tEENKUlT_SJ_SK_SL_E_clISE_PtSF_SF_EESI_SY_SJ_SK_SL_EUlSY_E0_NS1_11comp_targetILNS1_3genE9ELNS1_11target_archE1100ELNS1_3gpuE3ELNS1_3repE0EEENS1_38merge_mergepath_config_static_selectorELNS0_4arch9wavefront6targetE0EEEvSK_,comdat
	.protected	_ZN7rocprim17ROCPRIM_400000_NS6detail17trampoline_kernelINS0_14default_configENS1_38merge_sort_block_merge_config_selectorItNS0_10empty_typeEEEZZNS1_27merge_sort_block_merge_implIS3_N6thrust23THRUST_200600_302600_NS6detail15normal_iteratorINS9_10device_ptrItEEEEPS5_m11less_div_10ItEEE10hipError_tT0_T1_T2_jT3_P12ihipStream_tbPNSt15iterator_traitsISJ_E10value_typeEPNSP_ISK_E10value_typeEPSL_NS1_7vsmem_tEENKUlT_SJ_SK_SL_E_clISE_PtSF_SF_EESI_SY_SJ_SK_SL_EUlSY_E0_NS1_11comp_targetILNS1_3genE9ELNS1_11target_archE1100ELNS1_3gpuE3ELNS1_3repE0EEENS1_38merge_mergepath_config_static_selectorELNS0_4arch9wavefront6targetE0EEEvSK_ ; -- Begin function _ZN7rocprim17ROCPRIM_400000_NS6detail17trampoline_kernelINS0_14default_configENS1_38merge_sort_block_merge_config_selectorItNS0_10empty_typeEEEZZNS1_27merge_sort_block_merge_implIS3_N6thrust23THRUST_200600_302600_NS6detail15normal_iteratorINS9_10device_ptrItEEEEPS5_m11less_div_10ItEEE10hipError_tT0_T1_T2_jT3_P12ihipStream_tbPNSt15iterator_traitsISJ_E10value_typeEPNSP_ISK_E10value_typeEPSL_NS1_7vsmem_tEENKUlT_SJ_SK_SL_E_clISE_PtSF_SF_EESI_SY_SJ_SK_SL_EUlSY_E0_NS1_11comp_targetILNS1_3genE9ELNS1_11target_archE1100ELNS1_3gpuE3ELNS1_3repE0EEENS1_38merge_mergepath_config_static_selectorELNS0_4arch9wavefront6targetE0EEEvSK_
	.globl	_ZN7rocprim17ROCPRIM_400000_NS6detail17trampoline_kernelINS0_14default_configENS1_38merge_sort_block_merge_config_selectorItNS0_10empty_typeEEEZZNS1_27merge_sort_block_merge_implIS3_N6thrust23THRUST_200600_302600_NS6detail15normal_iteratorINS9_10device_ptrItEEEEPS5_m11less_div_10ItEEE10hipError_tT0_T1_T2_jT3_P12ihipStream_tbPNSt15iterator_traitsISJ_E10value_typeEPNSP_ISK_E10value_typeEPSL_NS1_7vsmem_tEENKUlT_SJ_SK_SL_E_clISE_PtSF_SF_EESI_SY_SJ_SK_SL_EUlSY_E0_NS1_11comp_targetILNS1_3genE9ELNS1_11target_archE1100ELNS1_3gpuE3ELNS1_3repE0EEENS1_38merge_mergepath_config_static_selectorELNS0_4arch9wavefront6targetE0EEEvSK_
	.p2align	8
	.type	_ZN7rocprim17ROCPRIM_400000_NS6detail17trampoline_kernelINS0_14default_configENS1_38merge_sort_block_merge_config_selectorItNS0_10empty_typeEEEZZNS1_27merge_sort_block_merge_implIS3_N6thrust23THRUST_200600_302600_NS6detail15normal_iteratorINS9_10device_ptrItEEEEPS5_m11less_div_10ItEEE10hipError_tT0_T1_T2_jT3_P12ihipStream_tbPNSt15iterator_traitsISJ_E10value_typeEPNSP_ISK_E10value_typeEPSL_NS1_7vsmem_tEENKUlT_SJ_SK_SL_E_clISE_PtSF_SF_EESI_SY_SJ_SK_SL_EUlSY_E0_NS1_11comp_targetILNS1_3genE9ELNS1_11target_archE1100ELNS1_3gpuE3ELNS1_3repE0EEENS1_38merge_mergepath_config_static_selectorELNS0_4arch9wavefront6targetE0EEEvSK_,@function
_ZN7rocprim17ROCPRIM_400000_NS6detail17trampoline_kernelINS0_14default_configENS1_38merge_sort_block_merge_config_selectorItNS0_10empty_typeEEEZZNS1_27merge_sort_block_merge_implIS3_N6thrust23THRUST_200600_302600_NS6detail15normal_iteratorINS9_10device_ptrItEEEEPS5_m11less_div_10ItEEE10hipError_tT0_T1_T2_jT3_P12ihipStream_tbPNSt15iterator_traitsISJ_E10value_typeEPNSP_ISK_E10value_typeEPSL_NS1_7vsmem_tEENKUlT_SJ_SK_SL_E_clISE_PtSF_SF_EESI_SY_SJ_SK_SL_EUlSY_E0_NS1_11comp_targetILNS1_3genE9ELNS1_11target_archE1100ELNS1_3gpuE3ELNS1_3repE0EEENS1_38merge_mergepath_config_static_selectorELNS0_4arch9wavefront6targetE0EEEvSK_: ; @_ZN7rocprim17ROCPRIM_400000_NS6detail17trampoline_kernelINS0_14default_configENS1_38merge_sort_block_merge_config_selectorItNS0_10empty_typeEEEZZNS1_27merge_sort_block_merge_implIS3_N6thrust23THRUST_200600_302600_NS6detail15normal_iteratorINS9_10device_ptrItEEEEPS5_m11less_div_10ItEEE10hipError_tT0_T1_T2_jT3_P12ihipStream_tbPNSt15iterator_traitsISJ_E10value_typeEPNSP_ISK_E10value_typeEPSL_NS1_7vsmem_tEENKUlT_SJ_SK_SL_E_clISE_PtSF_SF_EESI_SY_SJ_SK_SL_EUlSY_E0_NS1_11comp_targetILNS1_3genE9ELNS1_11target_archE1100ELNS1_3gpuE3ELNS1_3repE0EEENS1_38merge_mergepath_config_static_selectorELNS0_4arch9wavefront6targetE0EEEvSK_
; %bb.0:
	.section	.rodata,"a",@progbits
	.p2align	6, 0x0
	.amdhsa_kernel _ZN7rocprim17ROCPRIM_400000_NS6detail17trampoline_kernelINS0_14default_configENS1_38merge_sort_block_merge_config_selectorItNS0_10empty_typeEEEZZNS1_27merge_sort_block_merge_implIS3_N6thrust23THRUST_200600_302600_NS6detail15normal_iteratorINS9_10device_ptrItEEEEPS5_m11less_div_10ItEEE10hipError_tT0_T1_T2_jT3_P12ihipStream_tbPNSt15iterator_traitsISJ_E10value_typeEPNSP_ISK_E10value_typeEPSL_NS1_7vsmem_tEENKUlT_SJ_SK_SL_E_clISE_PtSF_SF_EESI_SY_SJ_SK_SL_EUlSY_E0_NS1_11comp_targetILNS1_3genE9ELNS1_11target_archE1100ELNS1_3gpuE3ELNS1_3repE0EEENS1_38merge_mergepath_config_static_selectorELNS0_4arch9wavefront6targetE0EEEvSK_
		.amdhsa_group_segment_fixed_size 0
		.amdhsa_private_segment_fixed_size 0
		.amdhsa_kernarg_size 72
		.amdhsa_user_sgpr_count 6
		.amdhsa_user_sgpr_private_segment_buffer 1
		.amdhsa_user_sgpr_dispatch_ptr 0
		.amdhsa_user_sgpr_queue_ptr 0
		.amdhsa_user_sgpr_kernarg_segment_ptr 1
		.amdhsa_user_sgpr_dispatch_id 0
		.amdhsa_user_sgpr_flat_scratch_init 0
		.amdhsa_user_sgpr_private_segment_size 0
		.amdhsa_wavefront_size32 1
		.amdhsa_uses_dynamic_stack 0
		.amdhsa_system_sgpr_private_segment_wavefront_offset 0
		.amdhsa_system_sgpr_workgroup_id_x 1
		.amdhsa_system_sgpr_workgroup_id_y 0
		.amdhsa_system_sgpr_workgroup_id_z 0
		.amdhsa_system_sgpr_workgroup_info 0
		.amdhsa_system_vgpr_workitem_id 0
		.amdhsa_next_free_vgpr 1
		.amdhsa_next_free_sgpr 1
		.amdhsa_reserve_vcc 0
		.amdhsa_reserve_flat_scratch 0
		.amdhsa_float_round_mode_32 0
		.amdhsa_float_round_mode_16_64 0
		.amdhsa_float_denorm_mode_32 3
		.amdhsa_float_denorm_mode_16_64 3
		.amdhsa_dx10_clamp 1
		.amdhsa_ieee_mode 1
		.amdhsa_fp16_overflow 0
		.amdhsa_workgroup_processor_mode 1
		.amdhsa_memory_ordered 1
		.amdhsa_forward_progress 1
		.amdhsa_shared_vgpr_count 0
		.amdhsa_exception_fp_ieee_invalid_op 0
		.amdhsa_exception_fp_denorm_src 0
		.amdhsa_exception_fp_ieee_div_zero 0
		.amdhsa_exception_fp_ieee_overflow 0
		.amdhsa_exception_fp_ieee_underflow 0
		.amdhsa_exception_fp_ieee_inexact 0
		.amdhsa_exception_int_div_zero 0
	.end_amdhsa_kernel
	.section	.text._ZN7rocprim17ROCPRIM_400000_NS6detail17trampoline_kernelINS0_14default_configENS1_38merge_sort_block_merge_config_selectorItNS0_10empty_typeEEEZZNS1_27merge_sort_block_merge_implIS3_N6thrust23THRUST_200600_302600_NS6detail15normal_iteratorINS9_10device_ptrItEEEEPS5_m11less_div_10ItEEE10hipError_tT0_T1_T2_jT3_P12ihipStream_tbPNSt15iterator_traitsISJ_E10value_typeEPNSP_ISK_E10value_typeEPSL_NS1_7vsmem_tEENKUlT_SJ_SK_SL_E_clISE_PtSF_SF_EESI_SY_SJ_SK_SL_EUlSY_E0_NS1_11comp_targetILNS1_3genE9ELNS1_11target_archE1100ELNS1_3gpuE3ELNS1_3repE0EEENS1_38merge_mergepath_config_static_selectorELNS0_4arch9wavefront6targetE0EEEvSK_,"axG",@progbits,_ZN7rocprim17ROCPRIM_400000_NS6detail17trampoline_kernelINS0_14default_configENS1_38merge_sort_block_merge_config_selectorItNS0_10empty_typeEEEZZNS1_27merge_sort_block_merge_implIS3_N6thrust23THRUST_200600_302600_NS6detail15normal_iteratorINS9_10device_ptrItEEEEPS5_m11less_div_10ItEEE10hipError_tT0_T1_T2_jT3_P12ihipStream_tbPNSt15iterator_traitsISJ_E10value_typeEPNSP_ISK_E10value_typeEPSL_NS1_7vsmem_tEENKUlT_SJ_SK_SL_E_clISE_PtSF_SF_EESI_SY_SJ_SK_SL_EUlSY_E0_NS1_11comp_targetILNS1_3genE9ELNS1_11target_archE1100ELNS1_3gpuE3ELNS1_3repE0EEENS1_38merge_mergepath_config_static_selectorELNS0_4arch9wavefront6targetE0EEEvSK_,comdat
.Lfunc_end280:
	.size	_ZN7rocprim17ROCPRIM_400000_NS6detail17trampoline_kernelINS0_14default_configENS1_38merge_sort_block_merge_config_selectorItNS0_10empty_typeEEEZZNS1_27merge_sort_block_merge_implIS3_N6thrust23THRUST_200600_302600_NS6detail15normal_iteratorINS9_10device_ptrItEEEEPS5_m11less_div_10ItEEE10hipError_tT0_T1_T2_jT3_P12ihipStream_tbPNSt15iterator_traitsISJ_E10value_typeEPNSP_ISK_E10value_typeEPSL_NS1_7vsmem_tEENKUlT_SJ_SK_SL_E_clISE_PtSF_SF_EESI_SY_SJ_SK_SL_EUlSY_E0_NS1_11comp_targetILNS1_3genE9ELNS1_11target_archE1100ELNS1_3gpuE3ELNS1_3repE0EEENS1_38merge_mergepath_config_static_selectorELNS0_4arch9wavefront6targetE0EEEvSK_, .Lfunc_end280-_ZN7rocprim17ROCPRIM_400000_NS6detail17trampoline_kernelINS0_14default_configENS1_38merge_sort_block_merge_config_selectorItNS0_10empty_typeEEEZZNS1_27merge_sort_block_merge_implIS3_N6thrust23THRUST_200600_302600_NS6detail15normal_iteratorINS9_10device_ptrItEEEEPS5_m11less_div_10ItEEE10hipError_tT0_T1_T2_jT3_P12ihipStream_tbPNSt15iterator_traitsISJ_E10value_typeEPNSP_ISK_E10value_typeEPSL_NS1_7vsmem_tEENKUlT_SJ_SK_SL_E_clISE_PtSF_SF_EESI_SY_SJ_SK_SL_EUlSY_E0_NS1_11comp_targetILNS1_3genE9ELNS1_11target_archE1100ELNS1_3gpuE3ELNS1_3repE0EEENS1_38merge_mergepath_config_static_selectorELNS0_4arch9wavefront6targetE0EEEvSK_
                                        ; -- End function
	.set _ZN7rocprim17ROCPRIM_400000_NS6detail17trampoline_kernelINS0_14default_configENS1_38merge_sort_block_merge_config_selectorItNS0_10empty_typeEEEZZNS1_27merge_sort_block_merge_implIS3_N6thrust23THRUST_200600_302600_NS6detail15normal_iteratorINS9_10device_ptrItEEEEPS5_m11less_div_10ItEEE10hipError_tT0_T1_T2_jT3_P12ihipStream_tbPNSt15iterator_traitsISJ_E10value_typeEPNSP_ISK_E10value_typeEPSL_NS1_7vsmem_tEENKUlT_SJ_SK_SL_E_clISE_PtSF_SF_EESI_SY_SJ_SK_SL_EUlSY_E0_NS1_11comp_targetILNS1_3genE9ELNS1_11target_archE1100ELNS1_3gpuE3ELNS1_3repE0EEENS1_38merge_mergepath_config_static_selectorELNS0_4arch9wavefront6targetE0EEEvSK_.num_vgpr, 0
	.set _ZN7rocprim17ROCPRIM_400000_NS6detail17trampoline_kernelINS0_14default_configENS1_38merge_sort_block_merge_config_selectorItNS0_10empty_typeEEEZZNS1_27merge_sort_block_merge_implIS3_N6thrust23THRUST_200600_302600_NS6detail15normal_iteratorINS9_10device_ptrItEEEEPS5_m11less_div_10ItEEE10hipError_tT0_T1_T2_jT3_P12ihipStream_tbPNSt15iterator_traitsISJ_E10value_typeEPNSP_ISK_E10value_typeEPSL_NS1_7vsmem_tEENKUlT_SJ_SK_SL_E_clISE_PtSF_SF_EESI_SY_SJ_SK_SL_EUlSY_E0_NS1_11comp_targetILNS1_3genE9ELNS1_11target_archE1100ELNS1_3gpuE3ELNS1_3repE0EEENS1_38merge_mergepath_config_static_selectorELNS0_4arch9wavefront6targetE0EEEvSK_.num_agpr, 0
	.set _ZN7rocprim17ROCPRIM_400000_NS6detail17trampoline_kernelINS0_14default_configENS1_38merge_sort_block_merge_config_selectorItNS0_10empty_typeEEEZZNS1_27merge_sort_block_merge_implIS3_N6thrust23THRUST_200600_302600_NS6detail15normal_iteratorINS9_10device_ptrItEEEEPS5_m11less_div_10ItEEE10hipError_tT0_T1_T2_jT3_P12ihipStream_tbPNSt15iterator_traitsISJ_E10value_typeEPNSP_ISK_E10value_typeEPSL_NS1_7vsmem_tEENKUlT_SJ_SK_SL_E_clISE_PtSF_SF_EESI_SY_SJ_SK_SL_EUlSY_E0_NS1_11comp_targetILNS1_3genE9ELNS1_11target_archE1100ELNS1_3gpuE3ELNS1_3repE0EEENS1_38merge_mergepath_config_static_selectorELNS0_4arch9wavefront6targetE0EEEvSK_.numbered_sgpr, 0
	.set _ZN7rocprim17ROCPRIM_400000_NS6detail17trampoline_kernelINS0_14default_configENS1_38merge_sort_block_merge_config_selectorItNS0_10empty_typeEEEZZNS1_27merge_sort_block_merge_implIS3_N6thrust23THRUST_200600_302600_NS6detail15normal_iteratorINS9_10device_ptrItEEEEPS5_m11less_div_10ItEEE10hipError_tT0_T1_T2_jT3_P12ihipStream_tbPNSt15iterator_traitsISJ_E10value_typeEPNSP_ISK_E10value_typeEPSL_NS1_7vsmem_tEENKUlT_SJ_SK_SL_E_clISE_PtSF_SF_EESI_SY_SJ_SK_SL_EUlSY_E0_NS1_11comp_targetILNS1_3genE9ELNS1_11target_archE1100ELNS1_3gpuE3ELNS1_3repE0EEENS1_38merge_mergepath_config_static_selectorELNS0_4arch9wavefront6targetE0EEEvSK_.num_named_barrier, 0
	.set _ZN7rocprim17ROCPRIM_400000_NS6detail17trampoline_kernelINS0_14default_configENS1_38merge_sort_block_merge_config_selectorItNS0_10empty_typeEEEZZNS1_27merge_sort_block_merge_implIS3_N6thrust23THRUST_200600_302600_NS6detail15normal_iteratorINS9_10device_ptrItEEEEPS5_m11less_div_10ItEEE10hipError_tT0_T1_T2_jT3_P12ihipStream_tbPNSt15iterator_traitsISJ_E10value_typeEPNSP_ISK_E10value_typeEPSL_NS1_7vsmem_tEENKUlT_SJ_SK_SL_E_clISE_PtSF_SF_EESI_SY_SJ_SK_SL_EUlSY_E0_NS1_11comp_targetILNS1_3genE9ELNS1_11target_archE1100ELNS1_3gpuE3ELNS1_3repE0EEENS1_38merge_mergepath_config_static_selectorELNS0_4arch9wavefront6targetE0EEEvSK_.private_seg_size, 0
	.set _ZN7rocprim17ROCPRIM_400000_NS6detail17trampoline_kernelINS0_14default_configENS1_38merge_sort_block_merge_config_selectorItNS0_10empty_typeEEEZZNS1_27merge_sort_block_merge_implIS3_N6thrust23THRUST_200600_302600_NS6detail15normal_iteratorINS9_10device_ptrItEEEEPS5_m11less_div_10ItEEE10hipError_tT0_T1_T2_jT3_P12ihipStream_tbPNSt15iterator_traitsISJ_E10value_typeEPNSP_ISK_E10value_typeEPSL_NS1_7vsmem_tEENKUlT_SJ_SK_SL_E_clISE_PtSF_SF_EESI_SY_SJ_SK_SL_EUlSY_E0_NS1_11comp_targetILNS1_3genE9ELNS1_11target_archE1100ELNS1_3gpuE3ELNS1_3repE0EEENS1_38merge_mergepath_config_static_selectorELNS0_4arch9wavefront6targetE0EEEvSK_.uses_vcc, 0
	.set _ZN7rocprim17ROCPRIM_400000_NS6detail17trampoline_kernelINS0_14default_configENS1_38merge_sort_block_merge_config_selectorItNS0_10empty_typeEEEZZNS1_27merge_sort_block_merge_implIS3_N6thrust23THRUST_200600_302600_NS6detail15normal_iteratorINS9_10device_ptrItEEEEPS5_m11less_div_10ItEEE10hipError_tT0_T1_T2_jT3_P12ihipStream_tbPNSt15iterator_traitsISJ_E10value_typeEPNSP_ISK_E10value_typeEPSL_NS1_7vsmem_tEENKUlT_SJ_SK_SL_E_clISE_PtSF_SF_EESI_SY_SJ_SK_SL_EUlSY_E0_NS1_11comp_targetILNS1_3genE9ELNS1_11target_archE1100ELNS1_3gpuE3ELNS1_3repE0EEENS1_38merge_mergepath_config_static_selectorELNS0_4arch9wavefront6targetE0EEEvSK_.uses_flat_scratch, 0
	.set _ZN7rocprim17ROCPRIM_400000_NS6detail17trampoline_kernelINS0_14default_configENS1_38merge_sort_block_merge_config_selectorItNS0_10empty_typeEEEZZNS1_27merge_sort_block_merge_implIS3_N6thrust23THRUST_200600_302600_NS6detail15normal_iteratorINS9_10device_ptrItEEEEPS5_m11less_div_10ItEEE10hipError_tT0_T1_T2_jT3_P12ihipStream_tbPNSt15iterator_traitsISJ_E10value_typeEPNSP_ISK_E10value_typeEPSL_NS1_7vsmem_tEENKUlT_SJ_SK_SL_E_clISE_PtSF_SF_EESI_SY_SJ_SK_SL_EUlSY_E0_NS1_11comp_targetILNS1_3genE9ELNS1_11target_archE1100ELNS1_3gpuE3ELNS1_3repE0EEENS1_38merge_mergepath_config_static_selectorELNS0_4arch9wavefront6targetE0EEEvSK_.has_dyn_sized_stack, 0
	.set _ZN7rocprim17ROCPRIM_400000_NS6detail17trampoline_kernelINS0_14default_configENS1_38merge_sort_block_merge_config_selectorItNS0_10empty_typeEEEZZNS1_27merge_sort_block_merge_implIS3_N6thrust23THRUST_200600_302600_NS6detail15normal_iteratorINS9_10device_ptrItEEEEPS5_m11less_div_10ItEEE10hipError_tT0_T1_T2_jT3_P12ihipStream_tbPNSt15iterator_traitsISJ_E10value_typeEPNSP_ISK_E10value_typeEPSL_NS1_7vsmem_tEENKUlT_SJ_SK_SL_E_clISE_PtSF_SF_EESI_SY_SJ_SK_SL_EUlSY_E0_NS1_11comp_targetILNS1_3genE9ELNS1_11target_archE1100ELNS1_3gpuE3ELNS1_3repE0EEENS1_38merge_mergepath_config_static_selectorELNS0_4arch9wavefront6targetE0EEEvSK_.has_recursion, 0
	.set _ZN7rocprim17ROCPRIM_400000_NS6detail17trampoline_kernelINS0_14default_configENS1_38merge_sort_block_merge_config_selectorItNS0_10empty_typeEEEZZNS1_27merge_sort_block_merge_implIS3_N6thrust23THRUST_200600_302600_NS6detail15normal_iteratorINS9_10device_ptrItEEEEPS5_m11less_div_10ItEEE10hipError_tT0_T1_T2_jT3_P12ihipStream_tbPNSt15iterator_traitsISJ_E10value_typeEPNSP_ISK_E10value_typeEPSL_NS1_7vsmem_tEENKUlT_SJ_SK_SL_E_clISE_PtSF_SF_EESI_SY_SJ_SK_SL_EUlSY_E0_NS1_11comp_targetILNS1_3genE9ELNS1_11target_archE1100ELNS1_3gpuE3ELNS1_3repE0EEENS1_38merge_mergepath_config_static_selectorELNS0_4arch9wavefront6targetE0EEEvSK_.has_indirect_call, 0
	.section	.AMDGPU.csdata,"",@progbits
; Kernel info:
; codeLenInByte = 0
; TotalNumSgprs: 0
; NumVgprs: 0
; ScratchSize: 0
; MemoryBound: 0
; FloatMode: 240
; IeeeMode: 1
; LDSByteSize: 0 bytes/workgroup (compile time only)
; SGPRBlocks: 0
; VGPRBlocks: 0
; NumSGPRsForWavesPerEU: 1
; NumVGPRsForWavesPerEU: 1
; Occupancy: 16
; WaveLimiterHint : 0
; COMPUTE_PGM_RSRC2:SCRATCH_EN: 0
; COMPUTE_PGM_RSRC2:USER_SGPR: 6
; COMPUTE_PGM_RSRC2:TRAP_HANDLER: 0
; COMPUTE_PGM_RSRC2:TGID_X_EN: 1
; COMPUTE_PGM_RSRC2:TGID_Y_EN: 0
; COMPUTE_PGM_RSRC2:TGID_Z_EN: 0
; COMPUTE_PGM_RSRC2:TIDIG_COMP_CNT: 0
	.section	.text._ZN7rocprim17ROCPRIM_400000_NS6detail17trampoline_kernelINS0_14default_configENS1_38merge_sort_block_merge_config_selectorItNS0_10empty_typeEEEZZNS1_27merge_sort_block_merge_implIS3_N6thrust23THRUST_200600_302600_NS6detail15normal_iteratorINS9_10device_ptrItEEEEPS5_m11less_div_10ItEEE10hipError_tT0_T1_T2_jT3_P12ihipStream_tbPNSt15iterator_traitsISJ_E10value_typeEPNSP_ISK_E10value_typeEPSL_NS1_7vsmem_tEENKUlT_SJ_SK_SL_E_clISE_PtSF_SF_EESI_SY_SJ_SK_SL_EUlSY_E0_NS1_11comp_targetILNS1_3genE8ELNS1_11target_archE1030ELNS1_3gpuE2ELNS1_3repE0EEENS1_38merge_mergepath_config_static_selectorELNS0_4arch9wavefront6targetE0EEEvSK_,"axG",@progbits,_ZN7rocprim17ROCPRIM_400000_NS6detail17trampoline_kernelINS0_14default_configENS1_38merge_sort_block_merge_config_selectorItNS0_10empty_typeEEEZZNS1_27merge_sort_block_merge_implIS3_N6thrust23THRUST_200600_302600_NS6detail15normal_iteratorINS9_10device_ptrItEEEEPS5_m11less_div_10ItEEE10hipError_tT0_T1_T2_jT3_P12ihipStream_tbPNSt15iterator_traitsISJ_E10value_typeEPNSP_ISK_E10value_typeEPSL_NS1_7vsmem_tEENKUlT_SJ_SK_SL_E_clISE_PtSF_SF_EESI_SY_SJ_SK_SL_EUlSY_E0_NS1_11comp_targetILNS1_3genE8ELNS1_11target_archE1030ELNS1_3gpuE2ELNS1_3repE0EEENS1_38merge_mergepath_config_static_selectorELNS0_4arch9wavefront6targetE0EEEvSK_,comdat
	.protected	_ZN7rocprim17ROCPRIM_400000_NS6detail17trampoline_kernelINS0_14default_configENS1_38merge_sort_block_merge_config_selectorItNS0_10empty_typeEEEZZNS1_27merge_sort_block_merge_implIS3_N6thrust23THRUST_200600_302600_NS6detail15normal_iteratorINS9_10device_ptrItEEEEPS5_m11less_div_10ItEEE10hipError_tT0_T1_T2_jT3_P12ihipStream_tbPNSt15iterator_traitsISJ_E10value_typeEPNSP_ISK_E10value_typeEPSL_NS1_7vsmem_tEENKUlT_SJ_SK_SL_E_clISE_PtSF_SF_EESI_SY_SJ_SK_SL_EUlSY_E0_NS1_11comp_targetILNS1_3genE8ELNS1_11target_archE1030ELNS1_3gpuE2ELNS1_3repE0EEENS1_38merge_mergepath_config_static_selectorELNS0_4arch9wavefront6targetE0EEEvSK_ ; -- Begin function _ZN7rocprim17ROCPRIM_400000_NS6detail17trampoline_kernelINS0_14default_configENS1_38merge_sort_block_merge_config_selectorItNS0_10empty_typeEEEZZNS1_27merge_sort_block_merge_implIS3_N6thrust23THRUST_200600_302600_NS6detail15normal_iteratorINS9_10device_ptrItEEEEPS5_m11less_div_10ItEEE10hipError_tT0_T1_T2_jT3_P12ihipStream_tbPNSt15iterator_traitsISJ_E10value_typeEPNSP_ISK_E10value_typeEPSL_NS1_7vsmem_tEENKUlT_SJ_SK_SL_E_clISE_PtSF_SF_EESI_SY_SJ_SK_SL_EUlSY_E0_NS1_11comp_targetILNS1_3genE8ELNS1_11target_archE1030ELNS1_3gpuE2ELNS1_3repE0EEENS1_38merge_mergepath_config_static_selectorELNS0_4arch9wavefront6targetE0EEEvSK_
	.globl	_ZN7rocprim17ROCPRIM_400000_NS6detail17trampoline_kernelINS0_14default_configENS1_38merge_sort_block_merge_config_selectorItNS0_10empty_typeEEEZZNS1_27merge_sort_block_merge_implIS3_N6thrust23THRUST_200600_302600_NS6detail15normal_iteratorINS9_10device_ptrItEEEEPS5_m11less_div_10ItEEE10hipError_tT0_T1_T2_jT3_P12ihipStream_tbPNSt15iterator_traitsISJ_E10value_typeEPNSP_ISK_E10value_typeEPSL_NS1_7vsmem_tEENKUlT_SJ_SK_SL_E_clISE_PtSF_SF_EESI_SY_SJ_SK_SL_EUlSY_E0_NS1_11comp_targetILNS1_3genE8ELNS1_11target_archE1030ELNS1_3gpuE2ELNS1_3repE0EEENS1_38merge_mergepath_config_static_selectorELNS0_4arch9wavefront6targetE0EEEvSK_
	.p2align	8
	.type	_ZN7rocprim17ROCPRIM_400000_NS6detail17trampoline_kernelINS0_14default_configENS1_38merge_sort_block_merge_config_selectorItNS0_10empty_typeEEEZZNS1_27merge_sort_block_merge_implIS3_N6thrust23THRUST_200600_302600_NS6detail15normal_iteratorINS9_10device_ptrItEEEEPS5_m11less_div_10ItEEE10hipError_tT0_T1_T2_jT3_P12ihipStream_tbPNSt15iterator_traitsISJ_E10value_typeEPNSP_ISK_E10value_typeEPSL_NS1_7vsmem_tEENKUlT_SJ_SK_SL_E_clISE_PtSF_SF_EESI_SY_SJ_SK_SL_EUlSY_E0_NS1_11comp_targetILNS1_3genE8ELNS1_11target_archE1030ELNS1_3gpuE2ELNS1_3repE0EEENS1_38merge_mergepath_config_static_selectorELNS0_4arch9wavefront6targetE0EEEvSK_,@function
_ZN7rocprim17ROCPRIM_400000_NS6detail17trampoline_kernelINS0_14default_configENS1_38merge_sort_block_merge_config_selectorItNS0_10empty_typeEEEZZNS1_27merge_sort_block_merge_implIS3_N6thrust23THRUST_200600_302600_NS6detail15normal_iteratorINS9_10device_ptrItEEEEPS5_m11less_div_10ItEEE10hipError_tT0_T1_T2_jT3_P12ihipStream_tbPNSt15iterator_traitsISJ_E10value_typeEPNSP_ISK_E10value_typeEPSL_NS1_7vsmem_tEENKUlT_SJ_SK_SL_E_clISE_PtSF_SF_EESI_SY_SJ_SK_SL_EUlSY_E0_NS1_11comp_targetILNS1_3genE8ELNS1_11target_archE1030ELNS1_3gpuE2ELNS1_3repE0EEENS1_38merge_mergepath_config_static_selectorELNS0_4arch9wavefront6targetE0EEEvSK_: ; @_ZN7rocprim17ROCPRIM_400000_NS6detail17trampoline_kernelINS0_14default_configENS1_38merge_sort_block_merge_config_selectorItNS0_10empty_typeEEEZZNS1_27merge_sort_block_merge_implIS3_N6thrust23THRUST_200600_302600_NS6detail15normal_iteratorINS9_10device_ptrItEEEEPS5_m11less_div_10ItEEE10hipError_tT0_T1_T2_jT3_P12ihipStream_tbPNSt15iterator_traitsISJ_E10value_typeEPNSP_ISK_E10value_typeEPSL_NS1_7vsmem_tEENKUlT_SJ_SK_SL_E_clISE_PtSF_SF_EESI_SY_SJ_SK_SL_EUlSY_E0_NS1_11comp_targetILNS1_3genE8ELNS1_11target_archE1030ELNS1_3gpuE2ELNS1_3repE0EEENS1_38merge_mergepath_config_static_selectorELNS0_4arch9wavefront6targetE0EEEvSK_
; %bb.0:
	s_clause 0x1
	s_load_dwordx2 s[22:23], s[4:5], 0x48
	s_load_dword s0, s[4:5], 0x38
	s_add_u32 s20, s4, 0x48
	s_addc_u32 s21, s5, 0
	s_waitcnt lgkmcnt(0)
	s_mul_i32 s1, s23, s8
	s_add_i32 s1, s1, s7
	s_mul_i32 s1, s1, s22
	s_add_i32 s18, s1, s6
	s_cmp_ge_u32 s18, s0
	s_cbranch_scc1 .LBB281_75
; %bb.1:
	s_clause 0x1
	s_load_dwordx2 s[0:1], s[4:5], 0x40
	s_load_dwordx4 s[8:11], s[4:5], 0x28
	s_mov_b32 s19, 0
	s_lshl_b64 s[2:3], s[18:19], 3
	s_waitcnt lgkmcnt(0)
	s_add_u32 s0, s0, s2
	s_addc_u32 s1, s1, s3
	s_lshr_b64 s[12:13], s[10:11], 9
	s_load_dwordx4 s[0:3], s[0:1], 0x0
	s_and_b32 s7, s12, -2
	s_mov_b32 s13, s19
	s_sub_i32 s30, 0, s7
	s_lshl_b64 s[16:17], s[18:19], 10
	s_and_b32 s12, s18, s30
	s_lshl_b64 s[24:25], s[12:13], 10
	s_sub_u32 s7, s16, s24
	s_subb_u32 s23, s17, s25
	s_lshl_b64 s[26:27], s[12:13], 11
	s_load_dwordx4 s[12:15], s[4:5], 0x8
	s_add_u32 s5, s26, s10
	s_addc_u32 s26, s27, s11
	s_add_u32 s4, s5, s7
	s_addc_u32 s7, s26, s23
	s_waitcnt lgkmcnt(0)
	s_sub_u32 s23, s4, s2
	s_subb_u32 s3, s7, s3
	s_add_u32 s28, s23, 0x400
	s_addc_u32 s29, s3, 0
	v_cmp_lt_u64_e64 s3, s[8:9], s[28:29]
	s_and_b32 s3, s3, exec_lo
	s_cselect_b32 s23, s8, s28
	s_or_b32 s3, s18, s30
	s_cmp_lg_u32 s3, -1
	s_mov_b32 s3, -1
	s_cbranch_scc1 .LBB281_3
; %bb.2:
	s_sub_u32 s24, s5, s24
	s_subb_u32 s25, s26, s25
	v_cmp_lt_u64_e64 s2, s[8:9], s[24:25]
	s_and_b32 s2, s2, exec_lo
	s_cselect_b32 s2, s8, s24
	s_add_u32 s10, s24, s10
	s_addc_u32 s11, s25, s11
	v_cmp_lt_u64_e64 s5, s[8:9], s[10:11]
	s_and_b32 s5, s5, exec_lo
	s_cselect_b32 s23, s8, s10
.LBB281_3:
	s_lshr_b64 s[26:27], s[8:9], 10
	v_mov_b32_e32 v10, 0
	s_cmp_lg_u64 s[26:27], s[18:19]
	v_lshlrev_b32_e32 v11, 1, v0
	s_cselect_b32 s5, -1, 0
	s_sub_u32 s10, s4, s0
	s_subb_u32 s11, s7, s1
	global_load_dword v1, v10, s[20:21] offset:14
	v_cmp_lt_u64_e64 s4, s[8:9], s[10:11]
	s_and_b32 s4, s4, exec_lo
	s_cselect_b32 s10, s8, s10
	s_cselect_b32 s11, s9, s11
	s_sub_i32 s7, s2, s0
	s_lshl_b64 s[0:1], s[0:1], 1
	s_sub_i32 s9, s23, s10
	s_add_u32 s23, s12, s0
	s_addc_u32 s24, s13, s1
	s_lshl_b64 s[0:1], s[10:11], 1
	s_add_u32 s10, s12, s0
	s_addc_u32 s11, s13, s1
	s_cmp_lt_u32 s6, s22
	s_cselect_b32 s0, 12, 18
	s_add_u32 s0, s20, s0
	s_addc_u32 s1, s21, 0
	s_cmp_eq_u64 s[26:27], s[18:19]
	global_load_ushort v2, v10, s[0:1]
	s_waitcnt vmcnt(1)
	v_lshrrev_b32_e32 v3, 16, v1
	v_and_b32_e32 v1, 0xffff, v1
	v_mul_lo_u32 v1, v1, v3
	s_waitcnt vmcnt(0)
	v_mul_lo_u32 v12, v1, v2
	v_add_nc_u32_e32 v7, v12, v0
	v_add_nc_u32_e32 v5, v7, v12
	s_cbranch_scc1 .LBB281_5
; %bb.4:
	v_mov_b32_e32 v8, v10
	v_mov_b32_e32 v6, v10
	v_add_co_u32 v21, s0, s23, v11
	v_add_co_ci_u32_e64 v22, null, s24, 0, s0
	v_lshlrev_b64 v[1:2], 1, v[7:8]
	v_sub_co_u32 v9, vcc_lo, v0, s7
	v_mov_b32_e32 v20, v10
	s_mov_b32 s19, -1
	v_add_co_u32 v23, s0, s23, v1
	v_add_co_ci_u32_e64 v24, null, s24, v2, s0
	v_lshlrev_b64 v[1:2], 1, v[5:6]
	v_lshlrev_b64 v[3:4], 1, v[9:10]
	v_sub_co_u32 v9, s0, v7, s7
	v_add_co_u32 v6, s1, s23, v1
	v_add_co_ci_u32_e64 v8, null, s24, v2, s1
	v_add_nc_u32_e32 v1, v5, v12
	v_mov_b32_e32 v2, v10
	v_lshlrev_b64 v[13:14], 1, v[9:10]
	v_sub_co_u32 v9, s1, v5, s7
	v_add_nc_u32_e32 v19, v1, v12
	v_lshlrev_b64 v[15:16], 1, v[1:2]
	v_add_co_u32 v3, s4, s10, v3
	v_lshlrev_b64 v[17:18], 1, v[9:10]
	v_add_co_ci_u32_e64 v4, null, s11, v4, s4
	v_add_co_u32 v25, s2, s23, v15
	v_add_co_ci_u32_e64 v26, null, s24, v16, s2
	v_sub_co_u32 v9, s2, v1, s7
	v_lshlrev_b64 v[1:2], 1, v[19:20]
	v_lshlrev_b64 v[15:16], 1, v[9:10]
	v_add_co_u32 v20, s3, s23, v1
	v_add_co_ci_u32_e64 v27, null, s24, v2, s3
	v_sub_co_u32 v9, s3, v19, s7
	v_lshlrev_b64 v[1:2], 1, v[9:10]
	v_add_co_u32 v9, s4, s10, v17
	v_add_co_ci_u32_e64 v17, null, s11, v18, s4
	v_add_co_u32 v18, s4, s10, v1
	v_add_co_ci_u32_e64 v28, null, s11, v2, s4
	v_cndmask_b32_e32 v2, v4, v22, vcc_lo
	v_cndmask_b32_e32 v1, v3, v21, vcc_lo
	v_cndmask_b32_e64 v4, v17, v8, s1
	v_cndmask_b32_e64 v3, v9, v6, s1
	;; [unrolled: 1-line block ×4, first 2 shown]
	global_load_ushort v1, v[1:2], off
	global_load_ushort v2, v[3:4], off
	;; [unrolled: 1-line block ×3, first 2 shown]
	v_add_nc_u32_e32 v8, v19, v12
	v_mov_b32_e32 v9, v10
	v_mov_b32_e32 v20, v10
	v_add_co_u32 v13, s3, s10, v13
	v_add_nc_u32_e32 v19, v8, v12
	v_lshlrev_b64 v[17:18], 1, v[8:9]
	v_add_co_ci_u32_e64 v14, null, s11, v14, s3
	v_cndmask_b32_e64 v13, v13, v23, s0
	v_add_co_u32 v4, vcc_lo, s23, v17
	v_add_co_ci_u32_e64 v6, null, s24, v18, vcc_lo
	v_lshlrev_b64 v[17:18], 1, v[19:20]
	v_sub_co_u32 v9, vcc_lo, v8, s7
	v_cndmask_b32_e64 v14, v14, v24, s0
	s_add_i32 s0, s7, s9
	v_add_co_u32 v17, s1, s23, v17
	v_lshlrev_b64 v[20:21], 1, v[9:10]
	v_add_co_ci_u32_e64 v18, null, s24, v18, s1
	v_sub_co_u32 v9, s1, v19, s7
	v_lshlrev_b64 v[8:9], 1, v[9:10]
	v_add_co_u32 v8, s3, s10, v8
	v_add_co_ci_u32_e64 v9, null, s11, v9, s3
	v_add_co_u32 v15, s3, s10, v15
	v_cndmask_b32_e64 v8, v8, v17, s1
	v_cndmask_b32_e64 v9, v9, v18, s1
	v_add_co_u32 v17, s1, s10, v20
	v_add_co_ci_u32_e64 v16, null, s11, v16, s3
	v_add_co_ci_u32_e64 v18, null, s11, v21, s1
	global_load_short_d16 v10, v[8:9], off
	v_cndmask_b32_e64 v16, v16, v26, s2
	v_cndmask_b32_e64 v15, v15, v25, s2
	v_cndmask_b32_e32 v9, v18, v6, vcc_lo
	v_cndmask_b32_e32 v8, v17, v4, vcc_lo
	v_add_nc_u32_e32 v6, v19, v12
	global_load_short_d16_hi v1, v[13:14], off
	global_load_short_d16_hi v2, v[15:16], off
	global_load_short_d16_hi v3, v[8:9], off
	v_mov_b32_e32 v8, s0
	s_waitcnt vmcnt(3)
	v_mov_b32_e32 v4, v10
	s_cbranch_execz .LBB281_6
	s_branch .LBB281_19
.LBB281_5:
                                        ; implicit-def: $vgpr6
                                        ; implicit-def: $vgpr1_vgpr2_vgpr3_vgpr4
                                        ; implicit-def: $vgpr8
	s_andn2_b32 vcc_lo, exec_lo, s3
	s_cbranch_vccnz .LBB281_19
.LBB281_6:
	s_waitcnt vmcnt(2)
	v_mov_b32_e32 v1, 0
	s_add_i32 s1, s7, s9
	s_mov_b32 s2, exec_lo
	s_waitcnt vmcnt(1)
	v_mov_b32_e32 v2, v1
	s_waitcnt vmcnt(0)
	v_mov_b32_e32 v3, v1
	v_mov_b32_e32 v4, v1
	v_cmpx_gt_u32_e64 s1, v0
	s_cbranch_execnz .LBB281_76
; %bb.7:
	s_or_b32 exec_lo, exec_lo, s2
	s_mov_b32 s2, exec_lo
	v_cmpx_gt_u32_e64 s1, v7
	s_cbranch_execnz .LBB281_77
.LBB281_8:
	s_or_b32 exec_lo, exec_lo, s2
	s_mov_b32 s2, exec_lo
	v_cmpx_gt_u32_e64 s1, v5
	s_cbranch_execz .LBB281_10
.LBB281_9:
	v_mov_b32_e32 v6, 0
	v_lshlrev_b64 v[7:8], 1, v[5:6]
	v_mov_b32_e32 v9, v6
	v_add_co_u32 v10, vcc_lo, s23, v7
	v_add_co_ci_u32_e64 v13, null, s24, v8, vcc_lo
	v_sub_co_u32 v8, vcc_lo, v5, s7
	v_lshlrev_b64 v[6:7], 1, v[8:9]
	v_add_co_u32 v6, s0, s10, v6
	v_add_co_ci_u32_e64 v7, null, s11, v7, s0
	v_cndmask_b32_e32 v6, v6, v10, vcc_lo
	v_cndmask_b32_e32 v7, v7, v13, vcc_lo
	global_load_short_d16 v2, v[6:7], off
.LBB281_10:
	s_or_b32 exec_lo, exec_lo, s2
	v_add_nc_u32_e32 v5, v5, v12
	s_mov_b32 s2, exec_lo
	v_cmpx_gt_u32_e64 s1, v5
	s_cbranch_execz .LBB281_12
; %bb.11:
	v_mov_b32_e32 v6, 0
	v_lshlrev_b64 v[7:8], 1, v[5:6]
	v_mov_b32_e32 v9, v6
	v_add_co_u32 v10, vcc_lo, s23, v7
	v_add_co_ci_u32_e64 v13, null, s24, v8, vcc_lo
	v_sub_co_u32 v8, vcc_lo, v5, s7
	v_lshlrev_b64 v[6:7], 1, v[8:9]
	v_add_co_u32 v6, s0, s10, v6
	v_add_co_ci_u32_e64 v7, null, s11, v7, s0
	v_cndmask_b32_e32 v6, v6, v10, vcc_lo
	v_cndmask_b32_e32 v7, v7, v13, vcc_lo
	global_load_short_d16_hi v2, v[6:7], off
.LBB281_12:
	s_or_b32 exec_lo, exec_lo, s2
	v_add_nc_u32_e32 v5, v5, v12
	s_mov_b32 s2, exec_lo
	v_cmpx_gt_u32_e64 s1, v5
	s_cbranch_execz .LBB281_14
; %bb.13:
	v_mov_b32_e32 v6, 0
	v_lshlrev_b64 v[7:8], 1, v[5:6]
	v_mov_b32_e32 v9, v6
	v_add_co_u32 v10, vcc_lo, s23, v7
	v_add_co_ci_u32_e64 v13, null, s24, v8, vcc_lo
	v_sub_co_u32 v8, vcc_lo, v5, s7
	v_lshlrev_b64 v[6:7], 1, v[8:9]
	v_add_co_u32 v6, s0, s10, v6
	v_add_co_ci_u32_e64 v7, null, s11, v7, s0
	v_cndmask_b32_e32 v6, v6, v10, vcc_lo
	v_cndmask_b32_e32 v7, v7, v13, vcc_lo
	global_load_short_d16 v3, v[6:7], off
.LBB281_14:
	s_or_b32 exec_lo, exec_lo, s2
	v_add_nc_u32_e32 v5, v5, v12
	s_mov_b32 s2, exec_lo
	v_cmpx_gt_u32_e64 s1, v5
	s_cbranch_execz .LBB281_16
; %bb.15:
	v_mov_b32_e32 v6, 0
	v_lshlrev_b64 v[7:8], 1, v[5:6]
	v_mov_b32_e32 v9, v6
	v_add_co_u32 v10, vcc_lo, s23, v7
	v_add_co_ci_u32_e64 v13, null, s24, v8, vcc_lo
	v_sub_co_u32 v8, vcc_lo, v5, s7
	v_lshlrev_b64 v[6:7], 1, v[8:9]
	v_add_co_u32 v6, s0, s10, v6
	v_add_co_ci_u32_e64 v7, null, s11, v7, s0
	v_cndmask_b32_e32 v6, v6, v10, vcc_lo
	v_cndmask_b32_e32 v7, v7, v13, vcc_lo
	global_load_short_d16_hi v3, v[6:7], off
.LBB281_16:
	s_or_b32 exec_lo, exec_lo, s2
	v_add_nc_u32_e32 v5, v5, v12
	s_mov_b32 s2, exec_lo
	v_cmpx_gt_u32_e64 s1, v5
	s_cbranch_execz .LBB281_18
; %bb.17:
	v_mov_b32_e32 v6, 0
	v_lshlrev_b64 v[7:8], 1, v[5:6]
	v_mov_b32_e32 v9, v6
	v_add_co_u32 v10, vcc_lo, s23, v7
	v_add_co_ci_u32_e64 v13, null, s24, v8, vcc_lo
	v_sub_co_u32 v8, vcc_lo, v5, s7
	v_lshlrev_b64 v[6:7], 1, v[8:9]
	v_add_co_u32 v6, s0, s10, v6
	v_add_co_ci_u32_e64 v7, null, s11, v7, s0
	v_cndmask_b32_e32 v6, v6, v10, vcc_lo
	v_cndmask_b32_e32 v7, v7, v13, vcc_lo
	global_load_short_d16 v4, v[6:7], off
.LBB281_18:
	s_or_b32 exec_lo, exec_lo, s2
	v_add_nc_u32_e32 v6, v5, v12
	v_mov_b32_e32 v8, s1
	v_cmp_gt_u32_e64 s19, s1, v6
.LBB281_19:
	s_and_saveexec_b32 s1, s19
	s_cbranch_execz .LBB281_21
; %bb.20:
	v_mov_b32_e32 v10, 0
	v_mov_b32_e32 v7, v10
	v_lshlrev_b64 v[12:13], 1, v[6:7]
	v_add_co_u32 v7, vcc_lo, s23, v12
	v_add_co_ci_u32_e64 v12, null, s24, v13, vcc_lo
	v_sub_co_u32 v9, vcc_lo, v6, s7
	v_lshlrev_b64 v[5:6], 1, v[9:10]
	v_add_co_u32 v5, s0, s10, v5
	v_add_co_ci_u32_e64 v6, null, s11, v6, s0
	v_cndmask_b32_e32 v5, v5, v7, vcc_lo
	v_cndmask_b32_e32 v6, v6, v12, vcc_lo
	global_load_short_d16_hi v4, v[5:6], off
.LBB281_21:
	s_or_b32 exec_lo, exec_lo, s1
	v_lshlrev_b32_e32 v5, 3, v0
	s_waitcnt vmcnt(0)
	v_lshrrev_b32_e32 v6, 16, v1
	v_lshrrev_b32_e32 v10, 16, v2
	;; [unrolled: 1-line block ×4, first 2 shown]
	v_min_u32_e32 v9, v8, v5
	s_mov_b32 s0, exec_lo
	ds_write_b16 v11, v1
	ds_write_b16 v11, v2 offset:512
	ds_write_b16 v11, v6 offset:256
	;; [unrolled: 1-line block ×3, first 2 shown]
	v_sub_nc_u32_e64 v7, v9, s9 clamp
	v_min_u32_e32 v12, s7, v9
	ds_write_b16 v11, v3 offset:1024
	ds_write_b16 v11, v15 offset:1280
	;; [unrolled: 1-line block ×4, first 2 shown]
	s_waitcnt lgkmcnt(0)
	s_barrier
	buffer_gl0_inv
	v_cmpx_lt_u32_e64 v7, v12
	s_cbranch_execz .LBB281_25
; %bb.22:
	v_lshlrev_b32_e32 v13, 1, v9
	s_mov_b32 s1, 0
	v_lshl_add_u32 v13, s7, 1, v13
	.p2align	6
.LBB281_23:                             ; =>This Inner Loop Header: Depth=1
	v_add_nc_u32_e32 v16, v12, v7
	v_lshrrev_b32_e32 v17, 1, v16
	v_and_b32_e32 v16, -2, v16
	v_not_b32_e32 v18, v17
	v_add_nc_u32_e32 v19, 1, v17
	v_lshl_add_u32 v18, v18, 1, v13
	ds_read_u16 v16, v16
	ds_read_u16 v18, v18
	s_waitcnt lgkmcnt(1)
	v_mul_u32_u24_e32 v16, 0xcccd, v16
	s_waitcnt lgkmcnt(0)
	v_mul_u32_u24_e32 v18, 0xcccd, v18
	v_lshrrev_b32_e32 v16, 19, v16
	v_lshrrev_b32_e32 v18, 19, v18
	v_cmp_lt_u16_e32 vcc_lo, v18, v16
	v_cndmask_b32_e32 v12, v12, v17, vcc_lo
	v_cndmask_b32_e32 v7, v19, v7, vcc_lo
	v_cmp_ge_u32_e32 vcc_lo, v7, v12
	s_or_b32 s1, vcc_lo, s1
	s_andn2_b32 exec_lo, exec_lo, s1
	s_cbranch_execnz .LBB281_23
; %bb.24:
	s_or_b32 exec_lo, exec_lo, s1
.LBB281_25:
	s_or_b32 exec_lo, exec_lo, s0
	v_sub_nc_u32_e32 v9, v9, v7
	v_cmp_ge_u32_e32 vcc_lo, s7, v7
	v_add_nc_u32_e32 v9, s7, v9
	v_cmp_le_u32_e64 s0, v9, v8
	s_or_b32 s0, vcc_lo, s0
	s_and_saveexec_b32 s1, s0
	s_cbranch_execz .LBB281_61
; %bb.26:
	s_mov_b32 s2, exec_lo
	v_cmp_le_u32_e32 vcc_lo, s7, v7
                                        ; implicit-def: $vgpr1
	v_cmpx_gt_u32_e64 s7, v7
; %bb.27:
	v_lshlrev_b32_e32 v1, 1, v7
	ds_read_u16 v1, v1
; %bb.28:
	s_or_b32 exec_lo, exec_lo, s2
	v_cmp_ge_u32_e64 s2, v9, v8
	s_mov_b32 s3, exec_lo
                                        ; implicit-def: $vgpr4
	v_cmpx_lt_u32_e64 v9, v8
; %bb.29:
	v_lshlrev_b32_e32 v2, 1, v9
	ds_read_u16 v4, v2
; %bb.30:
	s_or_b32 exec_lo, exec_lo, s3
	s_nor_b32 s3, vcc_lo, s2
	s_and_saveexec_b32 s0, s3
	s_cbranch_execz .LBB281_32
; %bb.31:
	v_mov_b32_e32 v2, 0xcccd
	s_andn2_b32 s2, s2, exec_lo
	s_waitcnt lgkmcnt(0)
	v_mul_u32_u24_sdwa v3, v4, v2 dst_sel:DWORD dst_unused:UNUSED_PAD src0_sel:WORD_0 src1_sel:DWORD
	v_mul_u32_u24_sdwa v2, v1, v2 dst_sel:DWORD dst_unused:UNUSED_PAD src0_sel:WORD_0 src1_sel:DWORD
	v_lshrrev_b32_e32 v3, 19, v3
	v_lshrrev_b32_e32 v2, 19, v2
	v_cmp_ge_u16_e32 vcc_lo, v3, v2
	s_and_b32 s3, vcc_lo, exec_lo
	s_or_b32 s2, s2, s3
.LBB281_32:
	s_or_b32 exec_lo, exec_lo, s0
	v_cndmask_b32_e64 v2, v9, v7, s2
	v_cndmask_b32_e64 v3, v8, s7, s2
	s_mov_b32 s3, -1
	s_mov_b32 s0, -1
	s_mov_b32 s4, exec_lo
	v_add_nc_u32_e32 v6, 1, v2
	v_add_nc_u32_e32 v2, -1, v3
	v_cndmask_b32_e64 v3, v7, v6, s2
	v_min_u32_e32 v2, v6, v2
	v_lshlrev_b32_e32 v2, 1, v2
	ds_read_u16 v10, v2
	v_cndmask_b32_e64 v2, v6, v9, s2
	s_waitcnt lgkmcnt(0)
	v_cndmask_b32_e64 v6, v10, v4, s2
	v_cndmask_b32_e64 v7, v1, v10, s2
	v_cmpx_lt_u32_e64 v2, v8
	s_cbranch_execz .LBB281_36
; %bb.33:
	s_mov_b32 s6, 0
	s_mov_b32 s0, exec_lo
	v_cmpx_gt_u32_e64 s7, v3
; %bb.34:
	v_mov_b32_e32 v9, 0xcccd
	v_mul_u32_u24_sdwa v10, v6, v9 dst_sel:DWORD dst_unused:UNUSED_PAD src0_sel:WORD_0 src1_sel:DWORD
	v_mul_u32_u24_sdwa v9, v7, v9 dst_sel:DWORD dst_unused:UNUSED_PAD src0_sel:WORD_0 src1_sel:DWORD
	v_lshrrev_b32_e32 v10, 19, v10
	v_lshrrev_b32_e32 v9, 19, v9
	v_cmp_ge_u16_e32 vcc_lo, v10, v9
	s_and_b32 s6, vcc_lo, exec_lo
; %bb.35:
	s_or_b32 exec_lo, exec_lo, s0
	s_orn2_b32 s0, s6, exec_lo
.LBB281_36:
	s_or_b32 exec_lo, exec_lo, s4
	v_cndmask_b32_e64 v9, v2, v3, s0
	v_cndmask_b32_e64 v10, v8, s7, s0
	s_mov_b32 s4, exec_lo
	v_add_nc_u32_e32 v9, 1, v9
	v_add_nc_u32_e32 v10, -1, v10
	v_cndmask_b32_e64 v3, v3, v9, s0
	v_min_u32_e32 v10, v9, v10
	v_lshlrev_b32_e32 v10, 1, v10
	ds_read_u16 v12, v10
	v_cndmask_b32_e64 v10, v9, v2, s0
	s_waitcnt lgkmcnt(0)
	v_cndmask_b32_e64 v2, v12, v6, s0
	v_cndmask_b32_e64 v9, v7, v12, s0
	v_cmpx_lt_u32_e64 v10, v8
	s_cbranch_execz .LBB281_40
; %bb.37:
	s_mov_b32 s6, 0
	s_mov_b32 s3, exec_lo
	v_cmpx_gt_u32_e64 s7, v3
; %bb.38:
	v_mov_b32_e32 v12, 0xcccd
	v_mul_u32_u24_sdwa v13, v2, v12 dst_sel:DWORD dst_unused:UNUSED_PAD src0_sel:WORD_0 src1_sel:DWORD
	v_mul_u32_u24_sdwa v12, v9, v12 dst_sel:DWORD dst_unused:UNUSED_PAD src0_sel:WORD_0 src1_sel:DWORD
	v_lshrrev_b32_e32 v13, 19, v13
	v_lshrrev_b32_e32 v12, 19, v12
	v_cmp_ge_u16_e32 vcc_lo, v13, v12
	s_and_b32 s6, vcc_lo, exec_lo
; %bb.39:
	s_or_b32 exec_lo, exec_lo, s3
	s_orn2_b32 s3, s6, exec_lo
.LBB281_40:
	s_or_b32 exec_lo, exec_lo, s4
	v_cndmask_b32_e64 v12, v10, v3, s3
	v_cndmask_b32_e64 v13, v8, s7, s3
	s_mov_b32 s6, -1
	s_mov_b32 s4, -1
	s_mov_b32 s9, exec_lo
	v_add_nc_u32_e32 v12, 1, v12
	v_add_nc_u32_e32 v13, -1, v13
	v_cndmask_b32_e64 v3, v3, v12, s3
	v_min_u32_e32 v13, v12, v13
	v_lshlrev_b32_e32 v13, 1, v13
	ds_read_u16 v14, v13
	v_cndmask_b32_e64 v13, v12, v10, s3
	s_waitcnt lgkmcnt(0)
	v_cndmask_b32_e64 v10, v14, v2, s3
	v_cndmask_b32_e64 v12, v9, v14, s3
	v_cmpx_lt_u32_e64 v13, v8
	s_cbranch_execz .LBB281_44
; %bb.41:
	s_mov_b32 s10, 0
	s_mov_b32 s4, exec_lo
	v_cmpx_gt_u32_e64 s7, v3
; %bb.42:
	v_mov_b32_e32 v14, 0xcccd
	v_mul_u32_u24_sdwa v15, v10, v14 dst_sel:DWORD dst_unused:UNUSED_PAD src0_sel:WORD_0 src1_sel:DWORD
	v_mul_u32_u24_sdwa v14, v12, v14 dst_sel:DWORD dst_unused:UNUSED_PAD src0_sel:WORD_0 src1_sel:DWORD
	v_lshrrev_b32_e32 v15, 19, v15
	v_lshrrev_b32_e32 v14, 19, v14
	v_cmp_ge_u16_e32 vcc_lo, v15, v14
	s_and_b32 s10, vcc_lo, exec_lo
; %bb.43:
	s_or_b32 exec_lo, exec_lo, s4
	s_orn2_b32 s4, s10, exec_lo
.LBB281_44:
	s_or_b32 exec_lo, exec_lo, s9
	v_cndmask_b32_e64 v14, v13, v3, s4
	v_cndmask_b32_e64 v15, v8, s7, s4
	s_mov_b32 s9, exec_lo
	v_add_nc_u32_e32 v16, 1, v14
	v_add_nc_u32_e32 v14, -1, v15
	v_cndmask_b32_e64 v15, v3, v16, s4
	v_min_u32_e32 v14, v16, v14
	v_lshlrev_b32_e32 v14, 1, v14
	ds_read_u16 v17, v14
	v_cndmask_b32_e64 v14, v16, v13, s4
	s_waitcnt lgkmcnt(0)
	v_cndmask_b32_e64 v3, v17, v10, s4
	v_cndmask_b32_e64 v13, v12, v17, s4
	v_cmpx_lt_u32_e64 v14, v8
	s_cbranch_execz .LBB281_48
; %bb.45:
	s_mov_b32 s10, 0
	s_mov_b32 s6, exec_lo
	v_cmpx_gt_u32_e64 s7, v15
; %bb.46:
	v_mov_b32_e32 v16, 0xcccd
	v_mul_u32_u24_sdwa v17, v3, v16 dst_sel:DWORD dst_unused:UNUSED_PAD src0_sel:WORD_0 src1_sel:DWORD
	v_mul_u32_u24_sdwa v16, v13, v16 dst_sel:DWORD dst_unused:UNUSED_PAD src0_sel:WORD_0 src1_sel:DWORD
	v_lshrrev_b32_e32 v17, 19, v17
	v_lshrrev_b32_e32 v16, 19, v16
	v_cmp_ge_u16_e32 vcc_lo, v17, v16
	s_and_b32 s10, vcc_lo, exec_lo
; %bb.47:
	s_or_b32 exec_lo, exec_lo, s6
	s_orn2_b32 s6, s10, exec_lo
.LBB281_48:
	s_or_b32 exec_lo, exec_lo, s9
	v_cndmask_b32_e64 v16, v14, v15, s6
	v_cndmask_b32_e64 v17, v8, s7, s6
	s_mov_b32 s9, -1
	s_mov_b32 s10, -1
	s_mov_b32 s11, exec_lo
	v_add_nc_u32_e32 v16, 1, v16
	v_add_nc_u32_e32 v17, -1, v17
	v_cndmask_b32_e64 v14, v16, v14, s6
	v_min_u32_e32 v17, v16, v17
	v_lshlrev_b32_e32 v17, 1, v17
	ds_read_u16 v18, v17
	v_cndmask_b32_e64 v17, v15, v16, s6
	s_waitcnt lgkmcnt(0)
	v_cndmask_b32_e64 v15, v18, v3, s6
	v_cndmask_b32_e64 v16, v13, v18, s6
	v_cmpx_lt_u32_e64 v14, v8
	s_cbranch_execz .LBB281_52
; %bb.49:
	s_mov_b32 s12, 0
	s_mov_b32 s10, exec_lo
	v_cmpx_gt_u32_e64 s7, v17
; %bb.50:
	v_mov_b32_e32 v18, 0xcccd
	v_mul_u32_u24_sdwa v19, v15, v18 dst_sel:DWORD dst_unused:UNUSED_PAD src0_sel:WORD_0 src1_sel:DWORD
	v_mul_u32_u24_sdwa v18, v16, v18 dst_sel:DWORD dst_unused:UNUSED_PAD src0_sel:WORD_0 src1_sel:DWORD
	v_lshrrev_b32_e32 v19, 19, v19
	v_lshrrev_b32_e32 v18, 19, v18
	v_cmp_ge_u16_e32 vcc_lo, v19, v18
	s_and_b32 s12, vcc_lo, exec_lo
; %bb.51:
	s_or_b32 exec_lo, exec_lo, s10
	s_orn2_b32 s10, s12, exec_lo
.LBB281_52:
	s_or_b32 exec_lo, exec_lo, s11
	v_cndmask_b32_e64 v18, v14, v17, s10
	v_cndmask_b32_e64 v19, v8, s7, s10
	s_mov_b32 s11, exec_lo
	v_add_nc_u32_e32 v18, 1, v18
	v_add_nc_u32_e32 v19, -1, v19
	v_cndmask_b32_e64 v14, v18, v14, s10
	v_min_u32_e32 v19, v18, v19
	v_lshlrev_b32_e32 v19, 1, v19
	ds_read_u16 v20, v19
	v_cndmask_b32_e64 v19, v17, v18, s10
	s_waitcnt lgkmcnt(0)
	v_cndmask_b32_e64 v17, v20, v15, s10
	v_cndmask_b32_e64 v18, v16, v20, s10
	v_cmpx_lt_u32_e64 v14, v8
	s_cbranch_execz .LBB281_56
; %bb.53:
	s_mov_b32 s12, 0
	s_mov_b32 s9, exec_lo
	v_cmpx_gt_u32_e64 s7, v19
; %bb.54:
	v_mov_b32_e32 v20, 0xcccd
	v_mul_u32_u24_sdwa v21, v17, v20 dst_sel:DWORD dst_unused:UNUSED_PAD src0_sel:WORD_0 src1_sel:DWORD
	v_mul_u32_u24_sdwa v20, v18, v20 dst_sel:DWORD dst_unused:UNUSED_PAD src0_sel:WORD_0 src1_sel:DWORD
	v_lshrrev_b32_e32 v21, 19, v21
	v_lshrrev_b32_e32 v20, 19, v20
	v_cmp_ge_u16_e32 vcc_lo, v21, v20
	s_and_b32 s12, vcc_lo, exec_lo
; %bb.55:
	s_or_b32 exec_lo, exec_lo, s9
	s_orn2_b32 s9, s12, exec_lo
.LBB281_56:
	s_or_b32 exec_lo, exec_lo, s11
	v_cndmask_b32_e64 v20, v14, v19, s9
	v_cndmask_b32_e64 v21, v8, s7, s9
	s_mov_b32 s11, exec_lo
	v_add_nc_u32_e32 v20, 1, v20
	v_add_nc_u32_e32 v21, -1, v21
	v_cndmask_b32_e64 v22, v20, v14, s9
	v_min_u32_e32 v21, v20, v21
	v_lshlrev_b32_e32 v21, 1, v21
	ds_read_u16 v21, v21
	s_waitcnt lgkmcnt(0)
	v_cndmask_b32_e64 v14, v18, v21, s9
	v_cmpx_lt_u32_e64 v22, v8
	s_cbranch_execz .LBB281_60
; %bb.57:
	v_cndmask_b32_e64 v19, v19, v20, s9
	v_cndmask_b32_e64 v8, v21, v17, s9
	v_cmp_gt_u32_e32 vcc_lo, s7, v19
	s_and_saveexec_b32 s7, vcc_lo
	s_cbranch_execz .LBB281_59
; %bb.58:
	v_mov_b32_e32 v19, 0xcccd
	v_mul_u32_u24_sdwa v20, v8, v19 dst_sel:DWORD dst_unused:UNUSED_PAD src0_sel:WORD_0 src1_sel:DWORD
	v_mul_u32_u24_sdwa v19, v14, v19 dst_sel:DWORD dst_unused:UNUSED_PAD src0_sel:WORD_0 src1_sel:DWORD
	v_lshrrev_b32_e32 v20, 19, v20
	v_lshrrev_b32_e32 v19, 19, v19
	v_cmp_lt_u16_e32 vcc_lo, v20, v19
	v_cndmask_b32_e32 v8, v14, v8, vcc_lo
.LBB281_59:
	s_or_b32 exec_lo, exec_lo, s7
	v_mov_b32_e32 v14, v8
.LBB281_60:
	s_or_b32 exec_lo, exec_lo, s11
	v_cndmask_b32_e64 v15, v15, v16, s10
	v_cndmask_b32_e64 v3, v3, v13, s6
	;; [unrolled: 1-line block ×7, first 2 shown]
.LBB281_61:
	s_or_b32 exec_lo, exec_lo, s1
	v_lshrrev_b32_e32 v7, 1, v0
	v_or_b32_e32 v8, 0x80, v0
	v_perm_b32 v1, v6, v1, 0x5040100
	v_lshrrev_b32_e32 v6, 4, v0
	v_perm_b32 v2, v10, v2, 0x5040100
	v_and_b32_e32 v7, 60, v7
	v_lshrrev_b32_e32 v9, 4, v8
	v_perm_b32 v4, v14, v4, 0x5040100
	v_and_b32_e32 v6, 4, v6
	v_perm_b32 v3, v15, v3, 0x5040100
	v_lshl_add_u32 v5, v5, 1, v7
	v_or_b32_e32 v7, 0x100, v0
	v_and_b32_e32 v9, 12, v9
	s_barrier
	buffer_gl0_inv
	v_lshrrev_b32_e32 v10, 4, v7
	v_add_nc_u32_e32 v13, v9, v11
	v_or_b32_e32 v9, 0x180, v0
	s_barrier
	buffer_gl0_inv
	v_and_b32_e32 v10, 20, v10
	ds_write2_b32 v5, v1, v2 offset1:1
	ds_write2_b32 v5, v3, v4 offset0:2 offset1:3
	v_add_nc_u32_e32 v12, v6, v11
	v_or_b32_e32 v6, 0x200, v0
	v_or_b32_e32 v5, 0x280, v0
	;; [unrolled: 1-line block ×4, first 2 shown]
	v_lshrrev_b32_e32 v1, 4, v9
	v_add_nc_u32_e32 v14, v10, v11
	v_lshrrev_b32_e32 v2, 4, v6
	v_lshrrev_b32_e32 v10, 4, v5
	;; [unrolled: 1-line block ×4, first 2 shown]
	v_and_b32_e32 v1, 28, v1
	s_lshl_b64 s[0:1], s[16:17], 1
	v_and_b32_e32 v2, 36, v2
	v_and_b32_e32 v10, 44, v10
	;; [unrolled: 1-line block ×4, first 2 shown]
	s_add_u32 s0, s14, s0
	s_addc_u32 s1, s15, s1
	v_add_nc_u32_e32 v15, v1, v11
	v_add_co_u32 v1, s0, s0, v11
	v_add_nc_u32_e32 v16, v2, v11
	v_add_nc_u32_e32 v17, v10, v11
	;; [unrolled: 1-line block ×4, first 2 shown]
	v_add_co_ci_u32_e64 v2, null, s1, 0, s0
	s_and_b32 vcc_lo, exec_lo, s5
	s_waitcnt lgkmcnt(0)
	s_cbranch_vccz .LBB281_63
; %bb.62:
	s_barrier
	buffer_gl0_inv
	ds_read_u16 v11, v12
	ds_read_u16 v20, v13 offset:256
	ds_read_u16 v21, v14 offset:512
	ds_read_u16 v22, v15 offset:768
	ds_read_u16 v23, v16 offset:1024
	ds_read_u16 v24, v17 offset:1280
	ds_read_u16 v25, v18 offset:1536
	ds_read_u16 v10, v19 offset:1792
	s_mov_b32 s0, -1
	s_waitcnt lgkmcnt(7)
	global_store_short v[1:2], v11, off
	s_waitcnt lgkmcnt(6)
	global_store_short v[1:2], v20, off offset:256
	s_waitcnt lgkmcnt(5)
	global_store_short v[1:2], v21, off offset:512
	;; [unrolled: 2-line block ×6, first 2 shown]
	s_cbranch_execz .LBB281_64
	s_branch .LBB281_73
.LBB281_63:
	s_mov_b32 s0, 0
                                        ; implicit-def: $vgpr10
.LBB281_64:
	s_barrier
	s_waitcnt lgkmcnt(0)
	s_waitcnt_vscnt null, 0x0
	buffer_gl0_inv
	ds_read_u16 v21, v13 offset:256
	ds_read_u16 v20, v14 offset:512
	;; [unrolled: 1-line block ×7, first 2 shown]
	s_sub_i32 s0, s8, s16
	s_mov_b32 s1, exec_lo
	v_cmpx_gt_u32_e64 s0, v0
	s_cbranch_execnz .LBB281_78
; %bb.65:
	s_or_b32 exec_lo, exec_lo, s1
	s_mov_b32 s1, exec_lo
	v_cmpx_gt_u32_e64 s0, v8
	s_cbranch_execnz .LBB281_79
.LBB281_66:
	s_or_b32 exec_lo, exec_lo, s1
	s_mov_b32 s1, exec_lo
	v_cmpx_gt_u32_e64 s0, v7
	s_cbranch_execnz .LBB281_80
.LBB281_67:
	s_or_b32 exec_lo, exec_lo, s1
	s_mov_b32 s1, exec_lo
	v_cmpx_gt_u32_e64 s0, v9
	s_cbranch_execnz .LBB281_81
.LBB281_68:
	s_or_b32 exec_lo, exec_lo, s1
	s_mov_b32 s1, exec_lo
	v_cmpx_gt_u32_e64 s0, v6
	s_cbranch_execnz .LBB281_82
.LBB281_69:
	s_or_b32 exec_lo, exec_lo, s1
	s_mov_b32 s1, exec_lo
	v_cmpx_gt_u32_e64 s0, v5
	s_cbranch_execnz .LBB281_83
.LBB281_70:
	s_or_b32 exec_lo, exec_lo, s1
	s_mov_b32 s1, exec_lo
	v_cmpx_gt_u32_e64 s0, v4
	s_cbranch_execz .LBB281_72
.LBB281_71:
	s_waitcnt lgkmcnt(1)
	global_store_short v[1:2], v11, off offset:1536
.LBB281_72:
	s_or_b32 exec_lo, exec_lo, s1
	v_cmp_gt_u32_e64 s0, s0, v3
.LBB281_73:
	s_and_saveexec_b32 s1, s0
	s_cbranch_execz .LBB281_75
; %bb.74:
	s_waitcnt lgkmcnt(0)
	global_store_short v[1:2], v10, off offset:1792
.LBB281_75:
	s_endpgm
.LBB281_76:
	v_sub_co_u32 v2, vcc_lo, v0, s7
	v_mov_b32_e32 v3, v1
	v_add_co_u32 v4, s0, s23, v11
	v_add_co_ci_u32_e64 v6, null, s24, 0, s0
	v_lshlrev_b64 v[2:3], 1, v[2:3]
	v_mov_b32_e32 v13, v1
	v_mov_b32_e32 v14, v1
	;; [unrolled: 1-line block ×4, first 2 shown]
	v_add_co_u32 v2, s0, s10, v2
	v_add_co_ci_u32_e64 v3, null, s11, v3, s0
	v_cndmask_b32_e32 v2, v2, v4, vcc_lo
	v_cndmask_b32_e32 v3, v3, v6, vcc_lo
	global_load_short_d16 v13, v[2:3], off
	s_waitcnt vmcnt(0)
	v_mov_b32_e32 v1, v13
	v_mov_b32_e32 v2, v14
	;; [unrolled: 1-line block ×4, first 2 shown]
	s_or_b32 exec_lo, exec_lo, s2
	s_mov_b32 s2, exec_lo
	v_cmpx_gt_u32_e64 s1, v7
	s_cbranch_execz .LBB281_8
.LBB281_77:
	v_mov_b32_e32 v8, 0
	v_lshlrev_b64 v[9:10], 1, v[7:8]
	v_add_co_u32 v9, vcc_lo, s23, v9
	v_add_co_ci_u32_e64 v10, null, s24, v10, vcc_lo
	v_sub_co_u32 v7, vcc_lo, v7, s7
	v_lshlrev_b64 v[6:7], 1, v[7:8]
	v_add_co_u32 v6, s0, s10, v6
	v_add_co_ci_u32_e64 v7, null, s11, v7, s0
	v_cndmask_b32_e32 v6, v6, v9, vcc_lo
	v_cndmask_b32_e32 v7, v7, v10, vcc_lo
	global_load_short_d16_hi v1, v[6:7], off
	s_or_b32 exec_lo, exec_lo, s2
	s_mov_b32 s2, exec_lo
	v_cmpx_gt_u32_e64 s1, v5
	s_cbranch_execnz .LBB281_9
	s_branch .LBB281_10
.LBB281_78:
	ds_read_u16 v0, v12
	s_waitcnt lgkmcnt(0)
	global_store_short v[1:2], v0, off
	s_or_b32 exec_lo, exec_lo, s1
	s_mov_b32 s1, exec_lo
	v_cmpx_gt_u32_e64 s0, v8
	s_cbranch_execz .LBB281_66
.LBB281_79:
	s_waitcnt lgkmcnt(6)
	global_store_short v[1:2], v21, off offset:256
	s_or_b32 exec_lo, exec_lo, s1
	s_mov_b32 s1, exec_lo
	v_cmpx_gt_u32_e64 s0, v7
	s_cbranch_execz .LBB281_67
.LBB281_80:
	s_waitcnt lgkmcnt(5)
	global_store_short v[1:2], v20, off offset:512
	s_or_b32 exec_lo, exec_lo, s1
	s_mov_b32 s1, exec_lo
	v_cmpx_gt_u32_e64 s0, v9
	s_cbranch_execz .LBB281_68
.LBB281_81:
	s_waitcnt lgkmcnt(4)
	global_store_short v[1:2], v15, off offset:768
	s_or_b32 exec_lo, exec_lo, s1
	s_mov_b32 s1, exec_lo
	v_cmpx_gt_u32_e64 s0, v6
	s_cbranch_execz .LBB281_69
.LBB281_82:
	s_waitcnt lgkmcnt(3)
	global_store_short v[1:2], v14, off offset:1024
	s_or_b32 exec_lo, exec_lo, s1
	s_mov_b32 s1, exec_lo
	v_cmpx_gt_u32_e64 s0, v5
	s_cbranch_execz .LBB281_70
.LBB281_83:
	s_waitcnt lgkmcnt(2)
	global_store_short v[1:2], v13, off offset:1280
	s_or_b32 exec_lo, exec_lo, s1
	s_mov_b32 s1, exec_lo
	v_cmpx_gt_u32_e64 s0, v4
	s_cbranch_execnz .LBB281_71
	s_branch .LBB281_72
	.section	.rodata,"a",@progbits
	.p2align	6, 0x0
	.amdhsa_kernel _ZN7rocprim17ROCPRIM_400000_NS6detail17trampoline_kernelINS0_14default_configENS1_38merge_sort_block_merge_config_selectorItNS0_10empty_typeEEEZZNS1_27merge_sort_block_merge_implIS3_N6thrust23THRUST_200600_302600_NS6detail15normal_iteratorINS9_10device_ptrItEEEEPS5_m11less_div_10ItEEE10hipError_tT0_T1_T2_jT3_P12ihipStream_tbPNSt15iterator_traitsISJ_E10value_typeEPNSP_ISK_E10value_typeEPSL_NS1_7vsmem_tEENKUlT_SJ_SK_SL_E_clISE_PtSF_SF_EESI_SY_SJ_SK_SL_EUlSY_E0_NS1_11comp_targetILNS1_3genE8ELNS1_11target_archE1030ELNS1_3gpuE2ELNS1_3repE0EEENS1_38merge_mergepath_config_static_selectorELNS0_4arch9wavefront6targetE0EEEvSK_
		.amdhsa_group_segment_fixed_size 2112
		.amdhsa_private_segment_fixed_size 0
		.amdhsa_kernarg_size 328
		.amdhsa_user_sgpr_count 6
		.amdhsa_user_sgpr_private_segment_buffer 1
		.amdhsa_user_sgpr_dispatch_ptr 0
		.amdhsa_user_sgpr_queue_ptr 0
		.amdhsa_user_sgpr_kernarg_segment_ptr 1
		.amdhsa_user_sgpr_dispatch_id 0
		.amdhsa_user_sgpr_flat_scratch_init 0
		.amdhsa_user_sgpr_private_segment_size 0
		.amdhsa_wavefront_size32 1
		.amdhsa_uses_dynamic_stack 0
		.amdhsa_system_sgpr_private_segment_wavefront_offset 0
		.amdhsa_system_sgpr_workgroup_id_x 1
		.amdhsa_system_sgpr_workgroup_id_y 1
		.amdhsa_system_sgpr_workgroup_id_z 1
		.amdhsa_system_sgpr_workgroup_info 0
		.amdhsa_system_vgpr_workitem_id 0
		.amdhsa_next_free_vgpr 29
		.amdhsa_next_free_sgpr 31
		.amdhsa_reserve_vcc 1
		.amdhsa_reserve_flat_scratch 0
		.amdhsa_float_round_mode_32 0
		.amdhsa_float_round_mode_16_64 0
		.amdhsa_float_denorm_mode_32 3
		.amdhsa_float_denorm_mode_16_64 3
		.amdhsa_dx10_clamp 1
		.amdhsa_ieee_mode 1
		.amdhsa_fp16_overflow 0
		.amdhsa_workgroup_processor_mode 1
		.amdhsa_memory_ordered 1
		.amdhsa_forward_progress 1
		.amdhsa_shared_vgpr_count 0
		.amdhsa_exception_fp_ieee_invalid_op 0
		.amdhsa_exception_fp_denorm_src 0
		.amdhsa_exception_fp_ieee_div_zero 0
		.amdhsa_exception_fp_ieee_overflow 0
		.amdhsa_exception_fp_ieee_underflow 0
		.amdhsa_exception_fp_ieee_inexact 0
		.amdhsa_exception_int_div_zero 0
	.end_amdhsa_kernel
	.section	.text._ZN7rocprim17ROCPRIM_400000_NS6detail17trampoline_kernelINS0_14default_configENS1_38merge_sort_block_merge_config_selectorItNS0_10empty_typeEEEZZNS1_27merge_sort_block_merge_implIS3_N6thrust23THRUST_200600_302600_NS6detail15normal_iteratorINS9_10device_ptrItEEEEPS5_m11less_div_10ItEEE10hipError_tT0_T1_T2_jT3_P12ihipStream_tbPNSt15iterator_traitsISJ_E10value_typeEPNSP_ISK_E10value_typeEPSL_NS1_7vsmem_tEENKUlT_SJ_SK_SL_E_clISE_PtSF_SF_EESI_SY_SJ_SK_SL_EUlSY_E0_NS1_11comp_targetILNS1_3genE8ELNS1_11target_archE1030ELNS1_3gpuE2ELNS1_3repE0EEENS1_38merge_mergepath_config_static_selectorELNS0_4arch9wavefront6targetE0EEEvSK_,"axG",@progbits,_ZN7rocprim17ROCPRIM_400000_NS6detail17trampoline_kernelINS0_14default_configENS1_38merge_sort_block_merge_config_selectorItNS0_10empty_typeEEEZZNS1_27merge_sort_block_merge_implIS3_N6thrust23THRUST_200600_302600_NS6detail15normal_iteratorINS9_10device_ptrItEEEEPS5_m11less_div_10ItEEE10hipError_tT0_T1_T2_jT3_P12ihipStream_tbPNSt15iterator_traitsISJ_E10value_typeEPNSP_ISK_E10value_typeEPSL_NS1_7vsmem_tEENKUlT_SJ_SK_SL_E_clISE_PtSF_SF_EESI_SY_SJ_SK_SL_EUlSY_E0_NS1_11comp_targetILNS1_3genE8ELNS1_11target_archE1030ELNS1_3gpuE2ELNS1_3repE0EEENS1_38merge_mergepath_config_static_selectorELNS0_4arch9wavefront6targetE0EEEvSK_,comdat
.Lfunc_end281:
	.size	_ZN7rocprim17ROCPRIM_400000_NS6detail17trampoline_kernelINS0_14default_configENS1_38merge_sort_block_merge_config_selectorItNS0_10empty_typeEEEZZNS1_27merge_sort_block_merge_implIS3_N6thrust23THRUST_200600_302600_NS6detail15normal_iteratorINS9_10device_ptrItEEEEPS5_m11less_div_10ItEEE10hipError_tT0_T1_T2_jT3_P12ihipStream_tbPNSt15iterator_traitsISJ_E10value_typeEPNSP_ISK_E10value_typeEPSL_NS1_7vsmem_tEENKUlT_SJ_SK_SL_E_clISE_PtSF_SF_EESI_SY_SJ_SK_SL_EUlSY_E0_NS1_11comp_targetILNS1_3genE8ELNS1_11target_archE1030ELNS1_3gpuE2ELNS1_3repE0EEENS1_38merge_mergepath_config_static_selectorELNS0_4arch9wavefront6targetE0EEEvSK_, .Lfunc_end281-_ZN7rocprim17ROCPRIM_400000_NS6detail17trampoline_kernelINS0_14default_configENS1_38merge_sort_block_merge_config_selectorItNS0_10empty_typeEEEZZNS1_27merge_sort_block_merge_implIS3_N6thrust23THRUST_200600_302600_NS6detail15normal_iteratorINS9_10device_ptrItEEEEPS5_m11less_div_10ItEEE10hipError_tT0_T1_T2_jT3_P12ihipStream_tbPNSt15iterator_traitsISJ_E10value_typeEPNSP_ISK_E10value_typeEPSL_NS1_7vsmem_tEENKUlT_SJ_SK_SL_E_clISE_PtSF_SF_EESI_SY_SJ_SK_SL_EUlSY_E0_NS1_11comp_targetILNS1_3genE8ELNS1_11target_archE1030ELNS1_3gpuE2ELNS1_3repE0EEENS1_38merge_mergepath_config_static_selectorELNS0_4arch9wavefront6targetE0EEEvSK_
                                        ; -- End function
	.set _ZN7rocprim17ROCPRIM_400000_NS6detail17trampoline_kernelINS0_14default_configENS1_38merge_sort_block_merge_config_selectorItNS0_10empty_typeEEEZZNS1_27merge_sort_block_merge_implIS3_N6thrust23THRUST_200600_302600_NS6detail15normal_iteratorINS9_10device_ptrItEEEEPS5_m11less_div_10ItEEE10hipError_tT0_T1_T2_jT3_P12ihipStream_tbPNSt15iterator_traitsISJ_E10value_typeEPNSP_ISK_E10value_typeEPSL_NS1_7vsmem_tEENKUlT_SJ_SK_SL_E_clISE_PtSF_SF_EESI_SY_SJ_SK_SL_EUlSY_E0_NS1_11comp_targetILNS1_3genE8ELNS1_11target_archE1030ELNS1_3gpuE2ELNS1_3repE0EEENS1_38merge_mergepath_config_static_selectorELNS0_4arch9wavefront6targetE0EEEvSK_.num_vgpr, 29
	.set _ZN7rocprim17ROCPRIM_400000_NS6detail17trampoline_kernelINS0_14default_configENS1_38merge_sort_block_merge_config_selectorItNS0_10empty_typeEEEZZNS1_27merge_sort_block_merge_implIS3_N6thrust23THRUST_200600_302600_NS6detail15normal_iteratorINS9_10device_ptrItEEEEPS5_m11less_div_10ItEEE10hipError_tT0_T1_T2_jT3_P12ihipStream_tbPNSt15iterator_traitsISJ_E10value_typeEPNSP_ISK_E10value_typeEPSL_NS1_7vsmem_tEENKUlT_SJ_SK_SL_E_clISE_PtSF_SF_EESI_SY_SJ_SK_SL_EUlSY_E0_NS1_11comp_targetILNS1_3genE8ELNS1_11target_archE1030ELNS1_3gpuE2ELNS1_3repE0EEENS1_38merge_mergepath_config_static_selectorELNS0_4arch9wavefront6targetE0EEEvSK_.num_agpr, 0
	.set _ZN7rocprim17ROCPRIM_400000_NS6detail17trampoline_kernelINS0_14default_configENS1_38merge_sort_block_merge_config_selectorItNS0_10empty_typeEEEZZNS1_27merge_sort_block_merge_implIS3_N6thrust23THRUST_200600_302600_NS6detail15normal_iteratorINS9_10device_ptrItEEEEPS5_m11less_div_10ItEEE10hipError_tT0_T1_T2_jT3_P12ihipStream_tbPNSt15iterator_traitsISJ_E10value_typeEPNSP_ISK_E10value_typeEPSL_NS1_7vsmem_tEENKUlT_SJ_SK_SL_E_clISE_PtSF_SF_EESI_SY_SJ_SK_SL_EUlSY_E0_NS1_11comp_targetILNS1_3genE8ELNS1_11target_archE1030ELNS1_3gpuE2ELNS1_3repE0EEENS1_38merge_mergepath_config_static_selectorELNS0_4arch9wavefront6targetE0EEEvSK_.numbered_sgpr, 31
	.set _ZN7rocprim17ROCPRIM_400000_NS6detail17trampoline_kernelINS0_14default_configENS1_38merge_sort_block_merge_config_selectorItNS0_10empty_typeEEEZZNS1_27merge_sort_block_merge_implIS3_N6thrust23THRUST_200600_302600_NS6detail15normal_iteratorINS9_10device_ptrItEEEEPS5_m11less_div_10ItEEE10hipError_tT0_T1_T2_jT3_P12ihipStream_tbPNSt15iterator_traitsISJ_E10value_typeEPNSP_ISK_E10value_typeEPSL_NS1_7vsmem_tEENKUlT_SJ_SK_SL_E_clISE_PtSF_SF_EESI_SY_SJ_SK_SL_EUlSY_E0_NS1_11comp_targetILNS1_3genE8ELNS1_11target_archE1030ELNS1_3gpuE2ELNS1_3repE0EEENS1_38merge_mergepath_config_static_selectorELNS0_4arch9wavefront6targetE0EEEvSK_.num_named_barrier, 0
	.set _ZN7rocprim17ROCPRIM_400000_NS6detail17trampoline_kernelINS0_14default_configENS1_38merge_sort_block_merge_config_selectorItNS0_10empty_typeEEEZZNS1_27merge_sort_block_merge_implIS3_N6thrust23THRUST_200600_302600_NS6detail15normal_iteratorINS9_10device_ptrItEEEEPS5_m11less_div_10ItEEE10hipError_tT0_T1_T2_jT3_P12ihipStream_tbPNSt15iterator_traitsISJ_E10value_typeEPNSP_ISK_E10value_typeEPSL_NS1_7vsmem_tEENKUlT_SJ_SK_SL_E_clISE_PtSF_SF_EESI_SY_SJ_SK_SL_EUlSY_E0_NS1_11comp_targetILNS1_3genE8ELNS1_11target_archE1030ELNS1_3gpuE2ELNS1_3repE0EEENS1_38merge_mergepath_config_static_selectorELNS0_4arch9wavefront6targetE0EEEvSK_.private_seg_size, 0
	.set _ZN7rocprim17ROCPRIM_400000_NS6detail17trampoline_kernelINS0_14default_configENS1_38merge_sort_block_merge_config_selectorItNS0_10empty_typeEEEZZNS1_27merge_sort_block_merge_implIS3_N6thrust23THRUST_200600_302600_NS6detail15normal_iteratorINS9_10device_ptrItEEEEPS5_m11less_div_10ItEEE10hipError_tT0_T1_T2_jT3_P12ihipStream_tbPNSt15iterator_traitsISJ_E10value_typeEPNSP_ISK_E10value_typeEPSL_NS1_7vsmem_tEENKUlT_SJ_SK_SL_E_clISE_PtSF_SF_EESI_SY_SJ_SK_SL_EUlSY_E0_NS1_11comp_targetILNS1_3genE8ELNS1_11target_archE1030ELNS1_3gpuE2ELNS1_3repE0EEENS1_38merge_mergepath_config_static_selectorELNS0_4arch9wavefront6targetE0EEEvSK_.uses_vcc, 1
	.set _ZN7rocprim17ROCPRIM_400000_NS6detail17trampoline_kernelINS0_14default_configENS1_38merge_sort_block_merge_config_selectorItNS0_10empty_typeEEEZZNS1_27merge_sort_block_merge_implIS3_N6thrust23THRUST_200600_302600_NS6detail15normal_iteratorINS9_10device_ptrItEEEEPS5_m11less_div_10ItEEE10hipError_tT0_T1_T2_jT3_P12ihipStream_tbPNSt15iterator_traitsISJ_E10value_typeEPNSP_ISK_E10value_typeEPSL_NS1_7vsmem_tEENKUlT_SJ_SK_SL_E_clISE_PtSF_SF_EESI_SY_SJ_SK_SL_EUlSY_E0_NS1_11comp_targetILNS1_3genE8ELNS1_11target_archE1030ELNS1_3gpuE2ELNS1_3repE0EEENS1_38merge_mergepath_config_static_selectorELNS0_4arch9wavefront6targetE0EEEvSK_.uses_flat_scratch, 0
	.set _ZN7rocprim17ROCPRIM_400000_NS6detail17trampoline_kernelINS0_14default_configENS1_38merge_sort_block_merge_config_selectorItNS0_10empty_typeEEEZZNS1_27merge_sort_block_merge_implIS3_N6thrust23THRUST_200600_302600_NS6detail15normal_iteratorINS9_10device_ptrItEEEEPS5_m11less_div_10ItEEE10hipError_tT0_T1_T2_jT3_P12ihipStream_tbPNSt15iterator_traitsISJ_E10value_typeEPNSP_ISK_E10value_typeEPSL_NS1_7vsmem_tEENKUlT_SJ_SK_SL_E_clISE_PtSF_SF_EESI_SY_SJ_SK_SL_EUlSY_E0_NS1_11comp_targetILNS1_3genE8ELNS1_11target_archE1030ELNS1_3gpuE2ELNS1_3repE0EEENS1_38merge_mergepath_config_static_selectorELNS0_4arch9wavefront6targetE0EEEvSK_.has_dyn_sized_stack, 0
	.set _ZN7rocprim17ROCPRIM_400000_NS6detail17trampoline_kernelINS0_14default_configENS1_38merge_sort_block_merge_config_selectorItNS0_10empty_typeEEEZZNS1_27merge_sort_block_merge_implIS3_N6thrust23THRUST_200600_302600_NS6detail15normal_iteratorINS9_10device_ptrItEEEEPS5_m11less_div_10ItEEE10hipError_tT0_T1_T2_jT3_P12ihipStream_tbPNSt15iterator_traitsISJ_E10value_typeEPNSP_ISK_E10value_typeEPSL_NS1_7vsmem_tEENKUlT_SJ_SK_SL_E_clISE_PtSF_SF_EESI_SY_SJ_SK_SL_EUlSY_E0_NS1_11comp_targetILNS1_3genE8ELNS1_11target_archE1030ELNS1_3gpuE2ELNS1_3repE0EEENS1_38merge_mergepath_config_static_selectorELNS0_4arch9wavefront6targetE0EEEvSK_.has_recursion, 0
	.set _ZN7rocprim17ROCPRIM_400000_NS6detail17trampoline_kernelINS0_14default_configENS1_38merge_sort_block_merge_config_selectorItNS0_10empty_typeEEEZZNS1_27merge_sort_block_merge_implIS3_N6thrust23THRUST_200600_302600_NS6detail15normal_iteratorINS9_10device_ptrItEEEEPS5_m11less_div_10ItEEE10hipError_tT0_T1_T2_jT3_P12ihipStream_tbPNSt15iterator_traitsISJ_E10value_typeEPNSP_ISK_E10value_typeEPSL_NS1_7vsmem_tEENKUlT_SJ_SK_SL_E_clISE_PtSF_SF_EESI_SY_SJ_SK_SL_EUlSY_E0_NS1_11comp_targetILNS1_3genE8ELNS1_11target_archE1030ELNS1_3gpuE2ELNS1_3repE0EEENS1_38merge_mergepath_config_static_selectorELNS0_4arch9wavefront6targetE0EEEvSK_.has_indirect_call, 0
	.section	.AMDGPU.csdata,"",@progbits
; Kernel info:
; codeLenInByte = 4564
; TotalNumSgprs: 33
; NumVgprs: 29
; ScratchSize: 0
; MemoryBound: 0
; FloatMode: 240
; IeeeMode: 1
; LDSByteSize: 2112 bytes/workgroup (compile time only)
; SGPRBlocks: 0
; VGPRBlocks: 3
; NumSGPRsForWavesPerEU: 33
; NumVGPRsForWavesPerEU: 29
; Occupancy: 16
; WaveLimiterHint : 1
; COMPUTE_PGM_RSRC2:SCRATCH_EN: 0
; COMPUTE_PGM_RSRC2:USER_SGPR: 6
; COMPUTE_PGM_RSRC2:TRAP_HANDLER: 0
; COMPUTE_PGM_RSRC2:TGID_X_EN: 1
; COMPUTE_PGM_RSRC2:TGID_Y_EN: 1
; COMPUTE_PGM_RSRC2:TGID_Z_EN: 1
; COMPUTE_PGM_RSRC2:TIDIG_COMP_CNT: 0
	.section	.text._ZN7rocprim17ROCPRIM_400000_NS6detail17trampoline_kernelINS0_14default_configENS1_38merge_sort_block_merge_config_selectorItNS0_10empty_typeEEEZZNS1_27merge_sort_block_merge_implIS3_N6thrust23THRUST_200600_302600_NS6detail15normal_iteratorINS9_10device_ptrItEEEEPS5_m11less_div_10ItEEE10hipError_tT0_T1_T2_jT3_P12ihipStream_tbPNSt15iterator_traitsISJ_E10value_typeEPNSP_ISK_E10value_typeEPSL_NS1_7vsmem_tEENKUlT_SJ_SK_SL_E_clISE_PtSF_SF_EESI_SY_SJ_SK_SL_EUlSY_E1_NS1_11comp_targetILNS1_3genE0ELNS1_11target_archE4294967295ELNS1_3gpuE0ELNS1_3repE0EEENS1_36merge_oddeven_config_static_selectorELNS0_4arch9wavefront6targetE0EEEvSK_,"axG",@progbits,_ZN7rocprim17ROCPRIM_400000_NS6detail17trampoline_kernelINS0_14default_configENS1_38merge_sort_block_merge_config_selectorItNS0_10empty_typeEEEZZNS1_27merge_sort_block_merge_implIS3_N6thrust23THRUST_200600_302600_NS6detail15normal_iteratorINS9_10device_ptrItEEEEPS5_m11less_div_10ItEEE10hipError_tT0_T1_T2_jT3_P12ihipStream_tbPNSt15iterator_traitsISJ_E10value_typeEPNSP_ISK_E10value_typeEPSL_NS1_7vsmem_tEENKUlT_SJ_SK_SL_E_clISE_PtSF_SF_EESI_SY_SJ_SK_SL_EUlSY_E1_NS1_11comp_targetILNS1_3genE0ELNS1_11target_archE4294967295ELNS1_3gpuE0ELNS1_3repE0EEENS1_36merge_oddeven_config_static_selectorELNS0_4arch9wavefront6targetE0EEEvSK_,comdat
	.protected	_ZN7rocprim17ROCPRIM_400000_NS6detail17trampoline_kernelINS0_14default_configENS1_38merge_sort_block_merge_config_selectorItNS0_10empty_typeEEEZZNS1_27merge_sort_block_merge_implIS3_N6thrust23THRUST_200600_302600_NS6detail15normal_iteratorINS9_10device_ptrItEEEEPS5_m11less_div_10ItEEE10hipError_tT0_T1_T2_jT3_P12ihipStream_tbPNSt15iterator_traitsISJ_E10value_typeEPNSP_ISK_E10value_typeEPSL_NS1_7vsmem_tEENKUlT_SJ_SK_SL_E_clISE_PtSF_SF_EESI_SY_SJ_SK_SL_EUlSY_E1_NS1_11comp_targetILNS1_3genE0ELNS1_11target_archE4294967295ELNS1_3gpuE0ELNS1_3repE0EEENS1_36merge_oddeven_config_static_selectorELNS0_4arch9wavefront6targetE0EEEvSK_ ; -- Begin function _ZN7rocprim17ROCPRIM_400000_NS6detail17trampoline_kernelINS0_14default_configENS1_38merge_sort_block_merge_config_selectorItNS0_10empty_typeEEEZZNS1_27merge_sort_block_merge_implIS3_N6thrust23THRUST_200600_302600_NS6detail15normal_iteratorINS9_10device_ptrItEEEEPS5_m11less_div_10ItEEE10hipError_tT0_T1_T2_jT3_P12ihipStream_tbPNSt15iterator_traitsISJ_E10value_typeEPNSP_ISK_E10value_typeEPSL_NS1_7vsmem_tEENKUlT_SJ_SK_SL_E_clISE_PtSF_SF_EESI_SY_SJ_SK_SL_EUlSY_E1_NS1_11comp_targetILNS1_3genE0ELNS1_11target_archE4294967295ELNS1_3gpuE0ELNS1_3repE0EEENS1_36merge_oddeven_config_static_selectorELNS0_4arch9wavefront6targetE0EEEvSK_
	.globl	_ZN7rocprim17ROCPRIM_400000_NS6detail17trampoline_kernelINS0_14default_configENS1_38merge_sort_block_merge_config_selectorItNS0_10empty_typeEEEZZNS1_27merge_sort_block_merge_implIS3_N6thrust23THRUST_200600_302600_NS6detail15normal_iteratorINS9_10device_ptrItEEEEPS5_m11less_div_10ItEEE10hipError_tT0_T1_T2_jT3_P12ihipStream_tbPNSt15iterator_traitsISJ_E10value_typeEPNSP_ISK_E10value_typeEPSL_NS1_7vsmem_tEENKUlT_SJ_SK_SL_E_clISE_PtSF_SF_EESI_SY_SJ_SK_SL_EUlSY_E1_NS1_11comp_targetILNS1_3genE0ELNS1_11target_archE4294967295ELNS1_3gpuE0ELNS1_3repE0EEENS1_36merge_oddeven_config_static_selectorELNS0_4arch9wavefront6targetE0EEEvSK_
	.p2align	8
	.type	_ZN7rocprim17ROCPRIM_400000_NS6detail17trampoline_kernelINS0_14default_configENS1_38merge_sort_block_merge_config_selectorItNS0_10empty_typeEEEZZNS1_27merge_sort_block_merge_implIS3_N6thrust23THRUST_200600_302600_NS6detail15normal_iteratorINS9_10device_ptrItEEEEPS5_m11less_div_10ItEEE10hipError_tT0_T1_T2_jT3_P12ihipStream_tbPNSt15iterator_traitsISJ_E10value_typeEPNSP_ISK_E10value_typeEPSL_NS1_7vsmem_tEENKUlT_SJ_SK_SL_E_clISE_PtSF_SF_EESI_SY_SJ_SK_SL_EUlSY_E1_NS1_11comp_targetILNS1_3genE0ELNS1_11target_archE4294967295ELNS1_3gpuE0ELNS1_3repE0EEENS1_36merge_oddeven_config_static_selectorELNS0_4arch9wavefront6targetE0EEEvSK_,@function
_ZN7rocprim17ROCPRIM_400000_NS6detail17trampoline_kernelINS0_14default_configENS1_38merge_sort_block_merge_config_selectorItNS0_10empty_typeEEEZZNS1_27merge_sort_block_merge_implIS3_N6thrust23THRUST_200600_302600_NS6detail15normal_iteratorINS9_10device_ptrItEEEEPS5_m11less_div_10ItEEE10hipError_tT0_T1_T2_jT3_P12ihipStream_tbPNSt15iterator_traitsISJ_E10value_typeEPNSP_ISK_E10value_typeEPSL_NS1_7vsmem_tEENKUlT_SJ_SK_SL_E_clISE_PtSF_SF_EESI_SY_SJ_SK_SL_EUlSY_E1_NS1_11comp_targetILNS1_3genE0ELNS1_11target_archE4294967295ELNS1_3gpuE0ELNS1_3repE0EEENS1_36merge_oddeven_config_static_selectorELNS0_4arch9wavefront6targetE0EEEvSK_: ; @_ZN7rocprim17ROCPRIM_400000_NS6detail17trampoline_kernelINS0_14default_configENS1_38merge_sort_block_merge_config_selectorItNS0_10empty_typeEEEZZNS1_27merge_sort_block_merge_implIS3_N6thrust23THRUST_200600_302600_NS6detail15normal_iteratorINS9_10device_ptrItEEEEPS5_m11less_div_10ItEEE10hipError_tT0_T1_T2_jT3_P12ihipStream_tbPNSt15iterator_traitsISJ_E10value_typeEPNSP_ISK_E10value_typeEPSL_NS1_7vsmem_tEENKUlT_SJ_SK_SL_E_clISE_PtSF_SF_EESI_SY_SJ_SK_SL_EUlSY_E1_NS1_11comp_targetILNS1_3genE0ELNS1_11target_archE4294967295ELNS1_3gpuE0ELNS1_3repE0EEENS1_36merge_oddeven_config_static_selectorELNS0_4arch9wavefront6targetE0EEEvSK_
; %bb.0:
	.section	.rodata,"a",@progbits
	.p2align	6, 0x0
	.amdhsa_kernel _ZN7rocprim17ROCPRIM_400000_NS6detail17trampoline_kernelINS0_14default_configENS1_38merge_sort_block_merge_config_selectorItNS0_10empty_typeEEEZZNS1_27merge_sort_block_merge_implIS3_N6thrust23THRUST_200600_302600_NS6detail15normal_iteratorINS9_10device_ptrItEEEEPS5_m11less_div_10ItEEE10hipError_tT0_T1_T2_jT3_P12ihipStream_tbPNSt15iterator_traitsISJ_E10value_typeEPNSP_ISK_E10value_typeEPSL_NS1_7vsmem_tEENKUlT_SJ_SK_SL_E_clISE_PtSF_SF_EESI_SY_SJ_SK_SL_EUlSY_E1_NS1_11comp_targetILNS1_3genE0ELNS1_11target_archE4294967295ELNS1_3gpuE0ELNS1_3repE0EEENS1_36merge_oddeven_config_static_selectorELNS0_4arch9wavefront6targetE0EEEvSK_
		.amdhsa_group_segment_fixed_size 0
		.amdhsa_private_segment_fixed_size 0
		.amdhsa_kernarg_size 56
		.amdhsa_user_sgpr_count 6
		.amdhsa_user_sgpr_private_segment_buffer 1
		.amdhsa_user_sgpr_dispatch_ptr 0
		.amdhsa_user_sgpr_queue_ptr 0
		.amdhsa_user_sgpr_kernarg_segment_ptr 1
		.amdhsa_user_sgpr_dispatch_id 0
		.amdhsa_user_sgpr_flat_scratch_init 0
		.amdhsa_user_sgpr_private_segment_size 0
		.amdhsa_wavefront_size32 1
		.amdhsa_uses_dynamic_stack 0
		.amdhsa_system_sgpr_private_segment_wavefront_offset 0
		.amdhsa_system_sgpr_workgroup_id_x 1
		.amdhsa_system_sgpr_workgroup_id_y 0
		.amdhsa_system_sgpr_workgroup_id_z 0
		.amdhsa_system_sgpr_workgroup_info 0
		.amdhsa_system_vgpr_workitem_id 0
		.amdhsa_next_free_vgpr 1
		.amdhsa_next_free_sgpr 1
		.amdhsa_reserve_vcc 0
		.amdhsa_reserve_flat_scratch 0
		.amdhsa_float_round_mode_32 0
		.amdhsa_float_round_mode_16_64 0
		.amdhsa_float_denorm_mode_32 3
		.amdhsa_float_denorm_mode_16_64 3
		.amdhsa_dx10_clamp 1
		.amdhsa_ieee_mode 1
		.amdhsa_fp16_overflow 0
		.amdhsa_workgroup_processor_mode 1
		.amdhsa_memory_ordered 1
		.amdhsa_forward_progress 1
		.amdhsa_shared_vgpr_count 0
		.amdhsa_exception_fp_ieee_invalid_op 0
		.amdhsa_exception_fp_denorm_src 0
		.amdhsa_exception_fp_ieee_div_zero 0
		.amdhsa_exception_fp_ieee_overflow 0
		.amdhsa_exception_fp_ieee_underflow 0
		.amdhsa_exception_fp_ieee_inexact 0
		.amdhsa_exception_int_div_zero 0
	.end_amdhsa_kernel
	.section	.text._ZN7rocprim17ROCPRIM_400000_NS6detail17trampoline_kernelINS0_14default_configENS1_38merge_sort_block_merge_config_selectorItNS0_10empty_typeEEEZZNS1_27merge_sort_block_merge_implIS3_N6thrust23THRUST_200600_302600_NS6detail15normal_iteratorINS9_10device_ptrItEEEEPS5_m11less_div_10ItEEE10hipError_tT0_T1_T2_jT3_P12ihipStream_tbPNSt15iterator_traitsISJ_E10value_typeEPNSP_ISK_E10value_typeEPSL_NS1_7vsmem_tEENKUlT_SJ_SK_SL_E_clISE_PtSF_SF_EESI_SY_SJ_SK_SL_EUlSY_E1_NS1_11comp_targetILNS1_3genE0ELNS1_11target_archE4294967295ELNS1_3gpuE0ELNS1_3repE0EEENS1_36merge_oddeven_config_static_selectorELNS0_4arch9wavefront6targetE0EEEvSK_,"axG",@progbits,_ZN7rocprim17ROCPRIM_400000_NS6detail17trampoline_kernelINS0_14default_configENS1_38merge_sort_block_merge_config_selectorItNS0_10empty_typeEEEZZNS1_27merge_sort_block_merge_implIS3_N6thrust23THRUST_200600_302600_NS6detail15normal_iteratorINS9_10device_ptrItEEEEPS5_m11less_div_10ItEEE10hipError_tT0_T1_T2_jT3_P12ihipStream_tbPNSt15iterator_traitsISJ_E10value_typeEPNSP_ISK_E10value_typeEPSL_NS1_7vsmem_tEENKUlT_SJ_SK_SL_E_clISE_PtSF_SF_EESI_SY_SJ_SK_SL_EUlSY_E1_NS1_11comp_targetILNS1_3genE0ELNS1_11target_archE4294967295ELNS1_3gpuE0ELNS1_3repE0EEENS1_36merge_oddeven_config_static_selectorELNS0_4arch9wavefront6targetE0EEEvSK_,comdat
.Lfunc_end282:
	.size	_ZN7rocprim17ROCPRIM_400000_NS6detail17trampoline_kernelINS0_14default_configENS1_38merge_sort_block_merge_config_selectorItNS0_10empty_typeEEEZZNS1_27merge_sort_block_merge_implIS3_N6thrust23THRUST_200600_302600_NS6detail15normal_iteratorINS9_10device_ptrItEEEEPS5_m11less_div_10ItEEE10hipError_tT0_T1_T2_jT3_P12ihipStream_tbPNSt15iterator_traitsISJ_E10value_typeEPNSP_ISK_E10value_typeEPSL_NS1_7vsmem_tEENKUlT_SJ_SK_SL_E_clISE_PtSF_SF_EESI_SY_SJ_SK_SL_EUlSY_E1_NS1_11comp_targetILNS1_3genE0ELNS1_11target_archE4294967295ELNS1_3gpuE0ELNS1_3repE0EEENS1_36merge_oddeven_config_static_selectorELNS0_4arch9wavefront6targetE0EEEvSK_, .Lfunc_end282-_ZN7rocprim17ROCPRIM_400000_NS6detail17trampoline_kernelINS0_14default_configENS1_38merge_sort_block_merge_config_selectorItNS0_10empty_typeEEEZZNS1_27merge_sort_block_merge_implIS3_N6thrust23THRUST_200600_302600_NS6detail15normal_iteratorINS9_10device_ptrItEEEEPS5_m11less_div_10ItEEE10hipError_tT0_T1_T2_jT3_P12ihipStream_tbPNSt15iterator_traitsISJ_E10value_typeEPNSP_ISK_E10value_typeEPSL_NS1_7vsmem_tEENKUlT_SJ_SK_SL_E_clISE_PtSF_SF_EESI_SY_SJ_SK_SL_EUlSY_E1_NS1_11comp_targetILNS1_3genE0ELNS1_11target_archE4294967295ELNS1_3gpuE0ELNS1_3repE0EEENS1_36merge_oddeven_config_static_selectorELNS0_4arch9wavefront6targetE0EEEvSK_
                                        ; -- End function
	.set _ZN7rocprim17ROCPRIM_400000_NS6detail17trampoline_kernelINS0_14default_configENS1_38merge_sort_block_merge_config_selectorItNS0_10empty_typeEEEZZNS1_27merge_sort_block_merge_implIS3_N6thrust23THRUST_200600_302600_NS6detail15normal_iteratorINS9_10device_ptrItEEEEPS5_m11less_div_10ItEEE10hipError_tT0_T1_T2_jT3_P12ihipStream_tbPNSt15iterator_traitsISJ_E10value_typeEPNSP_ISK_E10value_typeEPSL_NS1_7vsmem_tEENKUlT_SJ_SK_SL_E_clISE_PtSF_SF_EESI_SY_SJ_SK_SL_EUlSY_E1_NS1_11comp_targetILNS1_3genE0ELNS1_11target_archE4294967295ELNS1_3gpuE0ELNS1_3repE0EEENS1_36merge_oddeven_config_static_selectorELNS0_4arch9wavefront6targetE0EEEvSK_.num_vgpr, 0
	.set _ZN7rocprim17ROCPRIM_400000_NS6detail17trampoline_kernelINS0_14default_configENS1_38merge_sort_block_merge_config_selectorItNS0_10empty_typeEEEZZNS1_27merge_sort_block_merge_implIS3_N6thrust23THRUST_200600_302600_NS6detail15normal_iteratorINS9_10device_ptrItEEEEPS5_m11less_div_10ItEEE10hipError_tT0_T1_T2_jT3_P12ihipStream_tbPNSt15iterator_traitsISJ_E10value_typeEPNSP_ISK_E10value_typeEPSL_NS1_7vsmem_tEENKUlT_SJ_SK_SL_E_clISE_PtSF_SF_EESI_SY_SJ_SK_SL_EUlSY_E1_NS1_11comp_targetILNS1_3genE0ELNS1_11target_archE4294967295ELNS1_3gpuE0ELNS1_3repE0EEENS1_36merge_oddeven_config_static_selectorELNS0_4arch9wavefront6targetE0EEEvSK_.num_agpr, 0
	.set _ZN7rocprim17ROCPRIM_400000_NS6detail17trampoline_kernelINS0_14default_configENS1_38merge_sort_block_merge_config_selectorItNS0_10empty_typeEEEZZNS1_27merge_sort_block_merge_implIS3_N6thrust23THRUST_200600_302600_NS6detail15normal_iteratorINS9_10device_ptrItEEEEPS5_m11less_div_10ItEEE10hipError_tT0_T1_T2_jT3_P12ihipStream_tbPNSt15iterator_traitsISJ_E10value_typeEPNSP_ISK_E10value_typeEPSL_NS1_7vsmem_tEENKUlT_SJ_SK_SL_E_clISE_PtSF_SF_EESI_SY_SJ_SK_SL_EUlSY_E1_NS1_11comp_targetILNS1_3genE0ELNS1_11target_archE4294967295ELNS1_3gpuE0ELNS1_3repE0EEENS1_36merge_oddeven_config_static_selectorELNS0_4arch9wavefront6targetE0EEEvSK_.numbered_sgpr, 0
	.set _ZN7rocprim17ROCPRIM_400000_NS6detail17trampoline_kernelINS0_14default_configENS1_38merge_sort_block_merge_config_selectorItNS0_10empty_typeEEEZZNS1_27merge_sort_block_merge_implIS3_N6thrust23THRUST_200600_302600_NS6detail15normal_iteratorINS9_10device_ptrItEEEEPS5_m11less_div_10ItEEE10hipError_tT0_T1_T2_jT3_P12ihipStream_tbPNSt15iterator_traitsISJ_E10value_typeEPNSP_ISK_E10value_typeEPSL_NS1_7vsmem_tEENKUlT_SJ_SK_SL_E_clISE_PtSF_SF_EESI_SY_SJ_SK_SL_EUlSY_E1_NS1_11comp_targetILNS1_3genE0ELNS1_11target_archE4294967295ELNS1_3gpuE0ELNS1_3repE0EEENS1_36merge_oddeven_config_static_selectorELNS0_4arch9wavefront6targetE0EEEvSK_.num_named_barrier, 0
	.set _ZN7rocprim17ROCPRIM_400000_NS6detail17trampoline_kernelINS0_14default_configENS1_38merge_sort_block_merge_config_selectorItNS0_10empty_typeEEEZZNS1_27merge_sort_block_merge_implIS3_N6thrust23THRUST_200600_302600_NS6detail15normal_iteratorINS9_10device_ptrItEEEEPS5_m11less_div_10ItEEE10hipError_tT0_T1_T2_jT3_P12ihipStream_tbPNSt15iterator_traitsISJ_E10value_typeEPNSP_ISK_E10value_typeEPSL_NS1_7vsmem_tEENKUlT_SJ_SK_SL_E_clISE_PtSF_SF_EESI_SY_SJ_SK_SL_EUlSY_E1_NS1_11comp_targetILNS1_3genE0ELNS1_11target_archE4294967295ELNS1_3gpuE0ELNS1_3repE0EEENS1_36merge_oddeven_config_static_selectorELNS0_4arch9wavefront6targetE0EEEvSK_.private_seg_size, 0
	.set _ZN7rocprim17ROCPRIM_400000_NS6detail17trampoline_kernelINS0_14default_configENS1_38merge_sort_block_merge_config_selectorItNS0_10empty_typeEEEZZNS1_27merge_sort_block_merge_implIS3_N6thrust23THRUST_200600_302600_NS6detail15normal_iteratorINS9_10device_ptrItEEEEPS5_m11less_div_10ItEEE10hipError_tT0_T1_T2_jT3_P12ihipStream_tbPNSt15iterator_traitsISJ_E10value_typeEPNSP_ISK_E10value_typeEPSL_NS1_7vsmem_tEENKUlT_SJ_SK_SL_E_clISE_PtSF_SF_EESI_SY_SJ_SK_SL_EUlSY_E1_NS1_11comp_targetILNS1_3genE0ELNS1_11target_archE4294967295ELNS1_3gpuE0ELNS1_3repE0EEENS1_36merge_oddeven_config_static_selectorELNS0_4arch9wavefront6targetE0EEEvSK_.uses_vcc, 0
	.set _ZN7rocprim17ROCPRIM_400000_NS6detail17trampoline_kernelINS0_14default_configENS1_38merge_sort_block_merge_config_selectorItNS0_10empty_typeEEEZZNS1_27merge_sort_block_merge_implIS3_N6thrust23THRUST_200600_302600_NS6detail15normal_iteratorINS9_10device_ptrItEEEEPS5_m11less_div_10ItEEE10hipError_tT0_T1_T2_jT3_P12ihipStream_tbPNSt15iterator_traitsISJ_E10value_typeEPNSP_ISK_E10value_typeEPSL_NS1_7vsmem_tEENKUlT_SJ_SK_SL_E_clISE_PtSF_SF_EESI_SY_SJ_SK_SL_EUlSY_E1_NS1_11comp_targetILNS1_3genE0ELNS1_11target_archE4294967295ELNS1_3gpuE0ELNS1_3repE0EEENS1_36merge_oddeven_config_static_selectorELNS0_4arch9wavefront6targetE0EEEvSK_.uses_flat_scratch, 0
	.set _ZN7rocprim17ROCPRIM_400000_NS6detail17trampoline_kernelINS0_14default_configENS1_38merge_sort_block_merge_config_selectorItNS0_10empty_typeEEEZZNS1_27merge_sort_block_merge_implIS3_N6thrust23THRUST_200600_302600_NS6detail15normal_iteratorINS9_10device_ptrItEEEEPS5_m11less_div_10ItEEE10hipError_tT0_T1_T2_jT3_P12ihipStream_tbPNSt15iterator_traitsISJ_E10value_typeEPNSP_ISK_E10value_typeEPSL_NS1_7vsmem_tEENKUlT_SJ_SK_SL_E_clISE_PtSF_SF_EESI_SY_SJ_SK_SL_EUlSY_E1_NS1_11comp_targetILNS1_3genE0ELNS1_11target_archE4294967295ELNS1_3gpuE0ELNS1_3repE0EEENS1_36merge_oddeven_config_static_selectorELNS0_4arch9wavefront6targetE0EEEvSK_.has_dyn_sized_stack, 0
	.set _ZN7rocprim17ROCPRIM_400000_NS6detail17trampoline_kernelINS0_14default_configENS1_38merge_sort_block_merge_config_selectorItNS0_10empty_typeEEEZZNS1_27merge_sort_block_merge_implIS3_N6thrust23THRUST_200600_302600_NS6detail15normal_iteratorINS9_10device_ptrItEEEEPS5_m11less_div_10ItEEE10hipError_tT0_T1_T2_jT3_P12ihipStream_tbPNSt15iterator_traitsISJ_E10value_typeEPNSP_ISK_E10value_typeEPSL_NS1_7vsmem_tEENKUlT_SJ_SK_SL_E_clISE_PtSF_SF_EESI_SY_SJ_SK_SL_EUlSY_E1_NS1_11comp_targetILNS1_3genE0ELNS1_11target_archE4294967295ELNS1_3gpuE0ELNS1_3repE0EEENS1_36merge_oddeven_config_static_selectorELNS0_4arch9wavefront6targetE0EEEvSK_.has_recursion, 0
	.set _ZN7rocprim17ROCPRIM_400000_NS6detail17trampoline_kernelINS0_14default_configENS1_38merge_sort_block_merge_config_selectorItNS0_10empty_typeEEEZZNS1_27merge_sort_block_merge_implIS3_N6thrust23THRUST_200600_302600_NS6detail15normal_iteratorINS9_10device_ptrItEEEEPS5_m11less_div_10ItEEE10hipError_tT0_T1_T2_jT3_P12ihipStream_tbPNSt15iterator_traitsISJ_E10value_typeEPNSP_ISK_E10value_typeEPSL_NS1_7vsmem_tEENKUlT_SJ_SK_SL_E_clISE_PtSF_SF_EESI_SY_SJ_SK_SL_EUlSY_E1_NS1_11comp_targetILNS1_3genE0ELNS1_11target_archE4294967295ELNS1_3gpuE0ELNS1_3repE0EEENS1_36merge_oddeven_config_static_selectorELNS0_4arch9wavefront6targetE0EEEvSK_.has_indirect_call, 0
	.section	.AMDGPU.csdata,"",@progbits
; Kernel info:
; codeLenInByte = 0
; TotalNumSgprs: 0
; NumVgprs: 0
; ScratchSize: 0
; MemoryBound: 0
; FloatMode: 240
; IeeeMode: 1
; LDSByteSize: 0 bytes/workgroup (compile time only)
; SGPRBlocks: 0
; VGPRBlocks: 0
; NumSGPRsForWavesPerEU: 1
; NumVGPRsForWavesPerEU: 1
; Occupancy: 16
; WaveLimiterHint : 0
; COMPUTE_PGM_RSRC2:SCRATCH_EN: 0
; COMPUTE_PGM_RSRC2:USER_SGPR: 6
; COMPUTE_PGM_RSRC2:TRAP_HANDLER: 0
; COMPUTE_PGM_RSRC2:TGID_X_EN: 1
; COMPUTE_PGM_RSRC2:TGID_Y_EN: 0
; COMPUTE_PGM_RSRC2:TGID_Z_EN: 0
; COMPUTE_PGM_RSRC2:TIDIG_COMP_CNT: 0
	.section	.text._ZN7rocprim17ROCPRIM_400000_NS6detail17trampoline_kernelINS0_14default_configENS1_38merge_sort_block_merge_config_selectorItNS0_10empty_typeEEEZZNS1_27merge_sort_block_merge_implIS3_N6thrust23THRUST_200600_302600_NS6detail15normal_iteratorINS9_10device_ptrItEEEEPS5_m11less_div_10ItEEE10hipError_tT0_T1_T2_jT3_P12ihipStream_tbPNSt15iterator_traitsISJ_E10value_typeEPNSP_ISK_E10value_typeEPSL_NS1_7vsmem_tEENKUlT_SJ_SK_SL_E_clISE_PtSF_SF_EESI_SY_SJ_SK_SL_EUlSY_E1_NS1_11comp_targetILNS1_3genE10ELNS1_11target_archE1201ELNS1_3gpuE5ELNS1_3repE0EEENS1_36merge_oddeven_config_static_selectorELNS0_4arch9wavefront6targetE0EEEvSK_,"axG",@progbits,_ZN7rocprim17ROCPRIM_400000_NS6detail17trampoline_kernelINS0_14default_configENS1_38merge_sort_block_merge_config_selectorItNS0_10empty_typeEEEZZNS1_27merge_sort_block_merge_implIS3_N6thrust23THRUST_200600_302600_NS6detail15normal_iteratorINS9_10device_ptrItEEEEPS5_m11less_div_10ItEEE10hipError_tT0_T1_T2_jT3_P12ihipStream_tbPNSt15iterator_traitsISJ_E10value_typeEPNSP_ISK_E10value_typeEPSL_NS1_7vsmem_tEENKUlT_SJ_SK_SL_E_clISE_PtSF_SF_EESI_SY_SJ_SK_SL_EUlSY_E1_NS1_11comp_targetILNS1_3genE10ELNS1_11target_archE1201ELNS1_3gpuE5ELNS1_3repE0EEENS1_36merge_oddeven_config_static_selectorELNS0_4arch9wavefront6targetE0EEEvSK_,comdat
	.protected	_ZN7rocprim17ROCPRIM_400000_NS6detail17trampoline_kernelINS0_14default_configENS1_38merge_sort_block_merge_config_selectorItNS0_10empty_typeEEEZZNS1_27merge_sort_block_merge_implIS3_N6thrust23THRUST_200600_302600_NS6detail15normal_iteratorINS9_10device_ptrItEEEEPS5_m11less_div_10ItEEE10hipError_tT0_T1_T2_jT3_P12ihipStream_tbPNSt15iterator_traitsISJ_E10value_typeEPNSP_ISK_E10value_typeEPSL_NS1_7vsmem_tEENKUlT_SJ_SK_SL_E_clISE_PtSF_SF_EESI_SY_SJ_SK_SL_EUlSY_E1_NS1_11comp_targetILNS1_3genE10ELNS1_11target_archE1201ELNS1_3gpuE5ELNS1_3repE0EEENS1_36merge_oddeven_config_static_selectorELNS0_4arch9wavefront6targetE0EEEvSK_ ; -- Begin function _ZN7rocprim17ROCPRIM_400000_NS6detail17trampoline_kernelINS0_14default_configENS1_38merge_sort_block_merge_config_selectorItNS0_10empty_typeEEEZZNS1_27merge_sort_block_merge_implIS3_N6thrust23THRUST_200600_302600_NS6detail15normal_iteratorINS9_10device_ptrItEEEEPS5_m11less_div_10ItEEE10hipError_tT0_T1_T2_jT3_P12ihipStream_tbPNSt15iterator_traitsISJ_E10value_typeEPNSP_ISK_E10value_typeEPSL_NS1_7vsmem_tEENKUlT_SJ_SK_SL_E_clISE_PtSF_SF_EESI_SY_SJ_SK_SL_EUlSY_E1_NS1_11comp_targetILNS1_3genE10ELNS1_11target_archE1201ELNS1_3gpuE5ELNS1_3repE0EEENS1_36merge_oddeven_config_static_selectorELNS0_4arch9wavefront6targetE0EEEvSK_
	.globl	_ZN7rocprim17ROCPRIM_400000_NS6detail17trampoline_kernelINS0_14default_configENS1_38merge_sort_block_merge_config_selectorItNS0_10empty_typeEEEZZNS1_27merge_sort_block_merge_implIS3_N6thrust23THRUST_200600_302600_NS6detail15normal_iteratorINS9_10device_ptrItEEEEPS5_m11less_div_10ItEEE10hipError_tT0_T1_T2_jT3_P12ihipStream_tbPNSt15iterator_traitsISJ_E10value_typeEPNSP_ISK_E10value_typeEPSL_NS1_7vsmem_tEENKUlT_SJ_SK_SL_E_clISE_PtSF_SF_EESI_SY_SJ_SK_SL_EUlSY_E1_NS1_11comp_targetILNS1_3genE10ELNS1_11target_archE1201ELNS1_3gpuE5ELNS1_3repE0EEENS1_36merge_oddeven_config_static_selectorELNS0_4arch9wavefront6targetE0EEEvSK_
	.p2align	8
	.type	_ZN7rocprim17ROCPRIM_400000_NS6detail17trampoline_kernelINS0_14default_configENS1_38merge_sort_block_merge_config_selectorItNS0_10empty_typeEEEZZNS1_27merge_sort_block_merge_implIS3_N6thrust23THRUST_200600_302600_NS6detail15normal_iteratorINS9_10device_ptrItEEEEPS5_m11less_div_10ItEEE10hipError_tT0_T1_T2_jT3_P12ihipStream_tbPNSt15iterator_traitsISJ_E10value_typeEPNSP_ISK_E10value_typeEPSL_NS1_7vsmem_tEENKUlT_SJ_SK_SL_E_clISE_PtSF_SF_EESI_SY_SJ_SK_SL_EUlSY_E1_NS1_11comp_targetILNS1_3genE10ELNS1_11target_archE1201ELNS1_3gpuE5ELNS1_3repE0EEENS1_36merge_oddeven_config_static_selectorELNS0_4arch9wavefront6targetE0EEEvSK_,@function
_ZN7rocprim17ROCPRIM_400000_NS6detail17trampoline_kernelINS0_14default_configENS1_38merge_sort_block_merge_config_selectorItNS0_10empty_typeEEEZZNS1_27merge_sort_block_merge_implIS3_N6thrust23THRUST_200600_302600_NS6detail15normal_iteratorINS9_10device_ptrItEEEEPS5_m11less_div_10ItEEE10hipError_tT0_T1_T2_jT3_P12ihipStream_tbPNSt15iterator_traitsISJ_E10value_typeEPNSP_ISK_E10value_typeEPSL_NS1_7vsmem_tEENKUlT_SJ_SK_SL_E_clISE_PtSF_SF_EESI_SY_SJ_SK_SL_EUlSY_E1_NS1_11comp_targetILNS1_3genE10ELNS1_11target_archE1201ELNS1_3gpuE5ELNS1_3repE0EEENS1_36merge_oddeven_config_static_selectorELNS0_4arch9wavefront6targetE0EEEvSK_: ; @_ZN7rocprim17ROCPRIM_400000_NS6detail17trampoline_kernelINS0_14default_configENS1_38merge_sort_block_merge_config_selectorItNS0_10empty_typeEEEZZNS1_27merge_sort_block_merge_implIS3_N6thrust23THRUST_200600_302600_NS6detail15normal_iteratorINS9_10device_ptrItEEEEPS5_m11less_div_10ItEEE10hipError_tT0_T1_T2_jT3_P12ihipStream_tbPNSt15iterator_traitsISJ_E10value_typeEPNSP_ISK_E10value_typeEPSL_NS1_7vsmem_tEENKUlT_SJ_SK_SL_E_clISE_PtSF_SF_EESI_SY_SJ_SK_SL_EUlSY_E1_NS1_11comp_targetILNS1_3genE10ELNS1_11target_archE1201ELNS1_3gpuE5ELNS1_3repE0EEENS1_36merge_oddeven_config_static_selectorELNS0_4arch9wavefront6targetE0EEEvSK_
; %bb.0:
	.section	.rodata,"a",@progbits
	.p2align	6, 0x0
	.amdhsa_kernel _ZN7rocprim17ROCPRIM_400000_NS6detail17trampoline_kernelINS0_14default_configENS1_38merge_sort_block_merge_config_selectorItNS0_10empty_typeEEEZZNS1_27merge_sort_block_merge_implIS3_N6thrust23THRUST_200600_302600_NS6detail15normal_iteratorINS9_10device_ptrItEEEEPS5_m11less_div_10ItEEE10hipError_tT0_T1_T2_jT3_P12ihipStream_tbPNSt15iterator_traitsISJ_E10value_typeEPNSP_ISK_E10value_typeEPSL_NS1_7vsmem_tEENKUlT_SJ_SK_SL_E_clISE_PtSF_SF_EESI_SY_SJ_SK_SL_EUlSY_E1_NS1_11comp_targetILNS1_3genE10ELNS1_11target_archE1201ELNS1_3gpuE5ELNS1_3repE0EEENS1_36merge_oddeven_config_static_selectorELNS0_4arch9wavefront6targetE0EEEvSK_
		.amdhsa_group_segment_fixed_size 0
		.amdhsa_private_segment_fixed_size 0
		.amdhsa_kernarg_size 56
		.amdhsa_user_sgpr_count 6
		.amdhsa_user_sgpr_private_segment_buffer 1
		.amdhsa_user_sgpr_dispatch_ptr 0
		.amdhsa_user_sgpr_queue_ptr 0
		.amdhsa_user_sgpr_kernarg_segment_ptr 1
		.amdhsa_user_sgpr_dispatch_id 0
		.amdhsa_user_sgpr_flat_scratch_init 0
		.amdhsa_user_sgpr_private_segment_size 0
		.amdhsa_wavefront_size32 1
		.amdhsa_uses_dynamic_stack 0
		.amdhsa_system_sgpr_private_segment_wavefront_offset 0
		.amdhsa_system_sgpr_workgroup_id_x 1
		.amdhsa_system_sgpr_workgroup_id_y 0
		.amdhsa_system_sgpr_workgroup_id_z 0
		.amdhsa_system_sgpr_workgroup_info 0
		.amdhsa_system_vgpr_workitem_id 0
		.amdhsa_next_free_vgpr 1
		.amdhsa_next_free_sgpr 1
		.amdhsa_reserve_vcc 0
		.amdhsa_reserve_flat_scratch 0
		.amdhsa_float_round_mode_32 0
		.amdhsa_float_round_mode_16_64 0
		.amdhsa_float_denorm_mode_32 3
		.amdhsa_float_denorm_mode_16_64 3
		.amdhsa_dx10_clamp 1
		.amdhsa_ieee_mode 1
		.amdhsa_fp16_overflow 0
		.amdhsa_workgroup_processor_mode 1
		.amdhsa_memory_ordered 1
		.amdhsa_forward_progress 1
		.amdhsa_shared_vgpr_count 0
		.amdhsa_exception_fp_ieee_invalid_op 0
		.amdhsa_exception_fp_denorm_src 0
		.amdhsa_exception_fp_ieee_div_zero 0
		.amdhsa_exception_fp_ieee_overflow 0
		.amdhsa_exception_fp_ieee_underflow 0
		.amdhsa_exception_fp_ieee_inexact 0
		.amdhsa_exception_int_div_zero 0
	.end_amdhsa_kernel
	.section	.text._ZN7rocprim17ROCPRIM_400000_NS6detail17trampoline_kernelINS0_14default_configENS1_38merge_sort_block_merge_config_selectorItNS0_10empty_typeEEEZZNS1_27merge_sort_block_merge_implIS3_N6thrust23THRUST_200600_302600_NS6detail15normal_iteratorINS9_10device_ptrItEEEEPS5_m11less_div_10ItEEE10hipError_tT0_T1_T2_jT3_P12ihipStream_tbPNSt15iterator_traitsISJ_E10value_typeEPNSP_ISK_E10value_typeEPSL_NS1_7vsmem_tEENKUlT_SJ_SK_SL_E_clISE_PtSF_SF_EESI_SY_SJ_SK_SL_EUlSY_E1_NS1_11comp_targetILNS1_3genE10ELNS1_11target_archE1201ELNS1_3gpuE5ELNS1_3repE0EEENS1_36merge_oddeven_config_static_selectorELNS0_4arch9wavefront6targetE0EEEvSK_,"axG",@progbits,_ZN7rocprim17ROCPRIM_400000_NS6detail17trampoline_kernelINS0_14default_configENS1_38merge_sort_block_merge_config_selectorItNS0_10empty_typeEEEZZNS1_27merge_sort_block_merge_implIS3_N6thrust23THRUST_200600_302600_NS6detail15normal_iteratorINS9_10device_ptrItEEEEPS5_m11less_div_10ItEEE10hipError_tT0_T1_T2_jT3_P12ihipStream_tbPNSt15iterator_traitsISJ_E10value_typeEPNSP_ISK_E10value_typeEPSL_NS1_7vsmem_tEENKUlT_SJ_SK_SL_E_clISE_PtSF_SF_EESI_SY_SJ_SK_SL_EUlSY_E1_NS1_11comp_targetILNS1_3genE10ELNS1_11target_archE1201ELNS1_3gpuE5ELNS1_3repE0EEENS1_36merge_oddeven_config_static_selectorELNS0_4arch9wavefront6targetE0EEEvSK_,comdat
.Lfunc_end283:
	.size	_ZN7rocprim17ROCPRIM_400000_NS6detail17trampoline_kernelINS0_14default_configENS1_38merge_sort_block_merge_config_selectorItNS0_10empty_typeEEEZZNS1_27merge_sort_block_merge_implIS3_N6thrust23THRUST_200600_302600_NS6detail15normal_iteratorINS9_10device_ptrItEEEEPS5_m11less_div_10ItEEE10hipError_tT0_T1_T2_jT3_P12ihipStream_tbPNSt15iterator_traitsISJ_E10value_typeEPNSP_ISK_E10value_typeEPSL_NS1_7vsmem_tEENKUlT_SJ_SK_SL_E_clISE_PtSF_SF_EESI_SY_SJ_SK_SL_EUlSY_E1_NS1_11comp_targetILNS1_3genE10ELNS1_11target_archE1201ELNS1_3gpuE5ELNS1_3repE0EEENS1_36merge_oddeven_config_static_selectorELNS0_4arch9wavefront6targetE0EEEvSK_, .Lfunc_end283-_ZN7rocprim17ROCPRIM_400000_NS6detail17trampoline_kernelINS0_14default_configENS1_38merge_sort_block_merge_config_selectorItNS0_10empty_typeEEEZZNS1_27merge_sort_block_merge_implIS3_N6thrust23THRUST_200600_302600_NS6detail15normal_iteratorINS9_10device_ptrItEEEEPS5_m11less_div_10ItEEE10hipError_tT0_T1_T2_jT3_P12ihipStream_tbPNSt15iterator_traitsISJ_E10value_typeEPNSP_ISK_E10value_typeEPSL_NS1_7vsmem_tEENKUlT_SJ_SK_SL_E_clISE_PtSF_SF_EESI_SY_SJ_SK_SL_EUlSY_E1_NS1_11comp_targetILNS1_3genE10ELNS1_11target_archE1201ELNS1_3gpuE5ELNS1_3repE0EEENS1_36merge_oddeven_config_static_selectorELNS0_4arch9wavefront6targetE0EEEvSK_
                                        ; -- End function
	.set _ZN7rocprim17ROCPRIM_400000_NS6detail17trampoline_kernelINS0_14default_configENS1_38merge_sort_block_merge_config_selectorItNS0_10empty_typeEEEZZNS1_27merge_sort_block_merge_implIS3_N6thrust23THRUST_200600_302600_NS6detail15normal_iteratorINS9_10device_ptrItEEEEPS5_m11less_div_10ItEEE10hipError_tT0_T1_T2_jT3_P12ihipStream_tbPNSt15iterator_traitsISJ_E10value_typeEPNSP_ISK_E10value_typeEPSL_NS1_7vsmem_tEENKUlT_SJ_SK_SL_E_clISE_PtSF_SF_EESI_SY_SJ_SK_SL_EUlSY_E1_NS1_11comp_targetILNS1_3genE10ELNS1_11target_archE1201ELNS1_3gpuE5ELNS1_3repE0EEENS1_36merge_oddeven_config_static_selectorELNS0_4arch9wavefront6targetE0EEEvSK_.num_vgpr, 0
	.set _ZN7rocprim17ROCPRIM_400000_NS6detail17trampoline_kernelINS0_14default_configENS1_38merge_sort_block_merge_config_selectorItNS0_10empty_typeEEEZZNS1_27merge_sort_block_merge_implIS3_N6thrust23THRUST_200600_302600_NS6detail15normal_iteratorINS9_10device_ptrItEEEEPS5_m11less_div_10ItEEE10hipError_tT0_T1_T2_jT3_P12ihipStream_tbPNSt15iterator_traitsISJ_E10value_typeEPNSP_ISK_E10value_typeEPSL_NS1_7vsmem_tEENKUlT_SJ_SK_SL_E_clISE_PtSF_SF_EESI_SY_SJ_SK_SL_EUlSY_E1_NS1_11comp_targetILNS1_3genE10ELNS1_11target_archE1201ELNS1_3gpuE5ELNS1_3repE0EEENS1_36merge_oddeven_config_static_selectorELNS0_4arch9wavefront6targetE0EEEvSK_.num_agpr, 0
	.set _ZN7rocprim17ROCPRIM_400000_NS6detail17trampoline_kernelINS0_14default_configENS1_38merge_sort_block_merge_config_selectorItNS0_10empty_typeEEEZZNS1_27merge_sort_block_merge_implIS3_N6thrust23THRUST_200600_302600_NS6detail15normal_iteratorINS9_10device_ptrItEEEEPS5_m11less_div_10ItEEE10hipError_tT0_T1_T2_jT3_P12ihipStream_tbPNSt15iterator_traitsISJ_E10value_typeEPNSP_ISK_E10value_typeEPSL_NS1_7vsmem_tEENKUlT_SJ_SK_SL_E_clISE_PtSF_SF_EESI_SY_SJ_SK_SL_EUlSY_E1_NS1_11comp_targetILNS1_3genE10ELNS1_11target_archE1201ELNS1_3gpuE5ELNS1_3repE0EEENS1_36merge_oddeven_config_static_selectorELNS0_4arch9wavefront6targetE0EEEvSK_.numbered_sgpr, 0
	.set _ZN7rocprim17ROCPRIM_400000_NS6detail17trampoline_kernelINS0_14default_configENS1_38merge_sort_block_merge_config_selectorItNS0_10empty_typeEEEZZNS1_27merge_sort_block_merge_implIS3_N6thrust23THRUST_200600_302600_NS6detail15normal_iteratorINS9_10device_ptrItEEEEPS5_m11less_div_10ItEEE10hipError_tT0_T1_T2_jT3_P12ihipStream_tbPNSt15iterator_traitsISJ_E10value_typeEPNSP_ISK_E10value_typeEPSL_NS1_7vsmem_tEENKUlT_SJ_SK_SL_E_clISE_PtSF_SF_EESI_SY_SJ_SK_SL_EUlSY_E1_NS1_11comp_targetILNS1_3genE10ELNS1_11target_archE1201ELNS1_3gpuE5ELNS1_3repE0EEENS1_36merge_oddeven_config_static_selectorELNS0_4arch9wavefront6targetE0EEEvSK_.num_named_barrier, 0
	.set _ZN7rocprim17ROCPRIM_400000_NS6detail17trampoline_kernelINS0_14default_configENS1_38merge_sort_block_merge_config_selectorItNS0_10empty_typeEEEZZNS1_27merge_sort_block_merge_implIS3_N6thrust23THRUST_200600_302600_NS6detail15normal_iteratorINS9_10device_ptrItEEEEPS5_m11less_div_10ItEEE10hipError_tT0_T1_T2_jT3_P12ihipStream_tbPNSt15iterator_traitsISJ_E10value_typeEPNSP_ISK_E10value_typeEPSL_NS1_7vsmem_tEENKUlT_SJ_SK_SL_E_clISE_PtSF_SF_EESI_SY_SJ_SK_SL_EUlSY_E1_NS1_11comp_targetILNS1_3genE10ELNS1_11target_archE1201ELNS1_3gpuE5ELNS1_3repE0EEENS1_36merge_oddeven_config_static_selectorELNS0_4arch9wavefront6targetE0EEEvSK_.private_seg_size, 0
	.set _ZN7rocprim17ROCPRIM_400000_NS6detail17trampoline_kernelINS0_14default_configENS1_38merge_sort_block_merge_config_selectorItNS0_10empty_typeEEEZZNS1_27merge_sort_block_merge_implIS3_N6thrust23THRUST_200600_302600_NS6detail15normal_iteratorINS9_10device_ptrItEEEEPS5_m11less_div_10ItEEE10hipError_tT0_T1_T2_jT3_P12ihipStream_tbPNSt15iterator_traitsISJ_E10value_typeEPNSP_ISK_E10value_typeEPSL_NS1_7vsmem_tEENKUlT_SJ_SK_SL_E_clISE_PtSF_SF_EESI_SY_SJ_SK_SL_EUlSY_E1_NS1_11comp_targetILNS1_3genE10ELNS1_11target_archE1201ELNS1_3gpuE5ELNS1_3repE0EEENS1_36merge_oddeven_config_static_selectorELNS0_4arch9wavefront6targetE0EEEvSK_.uses_vcc, 0
	.set _ZN7rocprim17ROCPRIM_400000_NS6detail17trampoline_kernelINS0_14default_configENS1_38merge_sort_block_merge_config_selectorItNS0_10empty_typeEEEZZNS1_27merge_sort_block_merge_implIS3_N6thrust23THRUST_200600_302600_NS6detail15normal_iteratorINS9_10device_ptrItEEEEPS5_m11less_div_10ItEEE10hipError_tT0_T1_T2_jT3_P12ihipStream_tbPNSt15iterator_traitsISJ_E10value_typeEPNSP_ISK_E10value_typeEPSL_NS1_7vsmem_tEENKUlT_SJ_SK_SL_E_clISE_PtSF_SF_EESI_SY_SJ_SK_SL_EUlSY_E1_NS1_11comp_targetILNS1_3genE10ELNS1_11target_archE1201ELNS1_3gpuE5ELNS1_3repE0EEENS1_36merge_oddeven_config_static_selectorELNS0_4arch9wavefront6targetE0EEEvSK_.uses_flat_scratch, 0
	.set _ZN7rocprim17ROCPRIM_400000_NS6detail17trampoline_kernelINS0_14default_configENS1_38merge_sort_block_merge_config_selectorItNS0_10empty_typeEEEZZNS1_27merge_sort_block_merge_implIS3_N6thrust23THRUST_200600_302600_NS6detail15normal_iteratorINS9_10device_ptrItEEEEPS5_m11less_div_10ItEEE10hipError_tT0_T1_T2_jT3_P12ihipStream_tbPNSt15iterator_traitsISJ_E10value_typeEPNSP_ISK_E10value_typeEPSL_NS1_7vsmem_tEENKUlT_SJ_SK_SL_E_clISE_PtSF_SF_EESI_SY_SJ_SK_SL_EUlSY_E1_NS1_11comp_targetILNS1_3genE10ELNS1_11target_archE1201ELNS1_3gpuE5ELNS1_3repE0EEENS1_36merge_oddeven_config_static_selectorELNS0_4arch9wavefront6targetE0EEEvSK_.has_dyn_sized_stack, 0
	.set _ZN7rocprim17ROCPRIM_400000_NS6detail17trampoline_kernelINS0_14default_configENS1_38merge_sort_block_merge_config_selectorItNS0_10empty_typeEEEZZNS1_27merge_sort_block_merge_implIS3_N6thrust23THRUST_200600_302600_NS6detail15normal_iteratorINS9_10device_ptrItEEEEPS5_m11less_div_10ItEEE10hipError_tT0_T1_T2_jT3_P12ihipStream_tbPNSt15iterator_traitsISJ_E10value_typeEPNSP_ISK_E10value_typeEPSL_NS1_7vsmem_tEENKUlT_SJ_SK_SL_E_clISE_PtSF_SF_EESI_SY_SJ_SK_SL_EUlSY_E1_NS1_11comp_targetILNS1_3genE10ELNS1_11target_archE1201ELNS1_3gpuE5ELNS1_3repE0EEENS1_36merge_oddeven_config_static_selectorELNS0_4arch9wavefront6targetE0EEEvSK_.has_recursion, 0
	.set _ZN7rocprim17ROCPRIM_400000_NS6detail17trampoline_kernelINS0_14default_configENS1_38merge_sort_block_merge_config_selectorItNS0_10empty_typeEEEZZNS1_27merge_sort_block_merge_implIS3_N6thrust23THRUST_200600_302600_NS6detail15normal_iteratorINS9_10device_ptrItEEEEPS5_m11less_div_10ItEEE10hipError_tT0_T1_T2_jT3_P12ihipStream_tbPNSt15iterator_traitsISJ_E10value_typeEPNSP_ISK_E10value_typeEPSL_NS1_7vsmem_tEENKUlT_SJ_SK_SL_E_clISE_PtSF_SF_EESI_SY_SJ_SK_SL_EUlSY_E1_NS1_11comp_targetILNS1_3genE10ELNS1_11target_archE1201ELNS1_3gpuE5ELNS1_3repE0EEENS1_36merge_oddeven_config_static_selectorELNS0_4arch9wavefront6targetE0EEEvSK_.has_indirect_call, 0
	.section	.AMDGPU.csdata,"",@progbits
; Kernel info:
; codeLenInByte = 0
; TotalNumSgprs: 0
; NumVgprs: 0
; ScratchSize: 0
; MemoryBound: 0
; FloatMode: 240
; IeeeMode: 1
; LDSByteSize: 0 bytes/workgroup (compile time only)
; SGPRBlocks: 0
; VGPRBlocks: 0
; NumSGPRsForWavesPerEU: 1
; NumVGPRsForWavesPerEU: 1
; Occupancy: 16
; WaveLimiterHint : 0
; COMPUTE_PGM_RSRC2:SCRATCH_EN: 0
; COMPUTE_PGM_RSRC2:USER_SGPR: 6
; COMPUTE_PGM_RSRC2:TRAP_HANDLER: 0
; COMPUTE_PGM_RSRC2:TGID_X_EN: 1
; COMPUTE_PGM_RSRC2:TGID_Y_EN: 0
; COMPUTE_PGM_RSRC2:TGID_Z_EN: 0
; COMPUTE_PGM_RSRC2:TIDIG_COMP_CNT: 0
	.section	.text._ZN7rocprim17ROCPRIM_400000_NS6detail17trampoline_kernelINS0_14default_configENS1_38merge_sort_block_merge_config_selectorItNS0_10empty_typeEEEZZNS1_27merge_sort_block_merge_implIS3_N6thrust23THRUST_200600_302600_NS6detail15normal_iteratorINS9_10device_ptrItEEEEPS5_m11less_div_10ItEEE10hipError_tT0_T1_T2_jT3_P12ihipStream_tbPNSt15iterator_traitsISJ_E10value_typeEPNSP_ISK_E10value_typeEPSL_NS1_7vsmem_tEENKUlT_SJ_SK_SL_E_clISE_PtSF_SF_EESI_SY_SJ_SK_SL_EUlSY_E1_NS1_11comp_targetILNS1_3genE5ELNS1_11target_archE942ELNS1_3gpuE9ELNS1_3repE0EEENS1_36merge_oddeven_config_static_selectorELNS0_4arch9wavefront6targetE0EEEvSK_,"axG",@progbits,_ZN7rocprim17ROCPRIM_400000_NS6detail17trampoline_kernelINS0_14default_configENS1_38merge_sort_block_merge_config_selectorItNS0_10empty_typeEEEZZNS1_27merge_sort_block_merge_implIS3_N6thrust23THRUST_200600_302600_NS6detail15normal_iteratorINS9_10device_ptrItEEEEPS5_m11less_div_10ItEEE10hipError_tT0_T1_T2_jT3_P12ihipStream_tbPNSt15iterator_traitsISJ_E10value_typeEPNSP_ISK_E10value_typeEPSL_NS1_7vsmem_tEENKUlT_SJ_SK_SL_E_clISE_PtSF_SF_EESI_SY_SJ_SK_SL_EUlSY_E1_NS1_11comp_targetILNS1_3genE5ELNS1_11target_archE942ELNS1_3gpuE9ELNS1_3repE0EEENS1_36merge_oddeven_config_static_selectorELNS0_4arch9wavefront6targetE0EEEvSK_,comdat
	.protected	_ZN7rocprim17ROCPRIM_400000_NS6detail17trampoline_kernelINS0_14default_configENS1_38merge_sort_block_merge_config_selectorItNS0_10empty_typeEEEZZNS1_27merge_sort_block_merge_implIS3_N6thrust23THRUST_200600_302600_NS6detail15normal_iteratorINS9_10device_ptrItEEEEPS5_m11less_div_10ItEEE10hipError_tT0_T1_T2_jT3_P12ihipStream_tbPNSt15iterator_traitsISJ_E10value_typeEPNSP_ISK_E10value_typeEPSL_NS1_7vsmem_tEENKUlT_SJ_SK_SL_E_clISE_PtSF_SF_EESI_SY_SJ_SK_SL_EUlSY_E1_NS1_11comp_targetILNS1_3genE5ELNS1_11target_archE942ELNS1_3gpuE9ELNS1_3repE0EEENS1_36merge_oddeven_config_static_selectorELNS0_4arch9wavefront6targetE0EEEvSK_ ; -- Begin function _ZN7rocprim17ROCPRIM_400000_NS6detail17trampoline_kernelINS0_14default_configENS1_38merge_sort_block_merge_config_selectorItNS0_10empty_typeEEEZZNS1_27merge_sort_block_merge_implIS3_N6thrust23THRUST_200600_302600_NS6detail15normal_iteratorINS9_10device_ptrItEEEEPS5_m11less_div_10ItEEE10hipError_tT0_T1_T2_jT3_P12ihipStream_tbPNSt15iterator_traitsISJ_E10value_typeEPNSP_ISK_E10value_typeEPSL_NS1_7vsmem_tEENKUlT_SJ_SK_SL_E_clISE_PtSF_SF_EESI_SY_SJ_SK_SL_EUlSY_E1_NS1_11comp_targetILNS1_3genE5ELNS1_11target_archE942ELNS1_3gpuE9ELNS1_3repE0EEENS1_36merge_oddeven_config_static_selectorELNS0_4arch9wavefront6targetE0EEEvSK_
	.globl	_ZN7rocprim17ROCPRIM_400000_NS6detail17trampoline_kernelINS0_14default_configENS1_38merge_sort_block_merge_config_selectorItNS0_10empty_typeEEEZZNS1_27merge_sort_block_merge_implIS3_N6thrust23THRUST_200600_302600_NS6detail15normal_iteratorINS9_10device_ptrItEEEEPS5_m11less_div_10ItEEE10hipError_tT0_T1_T2_jT3_P12ihipStream_tbPNSt15iterator_traitsISJ_E10value_typeEPNSP_ISK_E10value_typeEPSL_NS1_7vsmem_tEENKUlT_SJ_SK_SL_E_clISE_PtSF_SF_EESI_SY_SJ_SK_SL_EUlSY_E1_NS1_11comp_targetILNS1_3genE5ELNS1_11target_archE942ELNS1_3gpuE9ELNS1_3repE0EEENS1_36merge_oddeven_config_static_selectorELNS0_4arch9wavefront6targetE0EEEvSK_
	.p2align	8
	.type	_ZN7rocprim17ROCPRIM_400000_NS6detail17trampoline_kernelINS0_14default_configENS1_38merge_sort_block_merge_config_selectorItNS0_10empty_typeEEEZZNS1_27merge_sort_block_merge_implIS3_N6thrust23THRUST_200600_302600_NS6detail15normal_iteratorINS9_10device_ptrItEEEEPS5_m11less_div_10ItEEE10hipError_tT0_T1_T2_jT3_P12ihipStream_tbPNSt15iterator_traitsISJ_E10value_typeEPNSP_ISK_E10value_typeEPSL_NS1_7vsmem_tEENKUlT_SJ_SK_SL_E_clISE_PtSF_SF_EESI_SY_SJ_SK_SL_EUlSY_E1_NS1_11comp_targetILNS1_3genE5ELNS1_11target_archE942ELNS1_3gpuE9ELNS1_3repE0EEENS1_36merge_oddeven_config_static_selectorELNS0_4arch9wavefront6targetE0EEEvSK_,@function
_ZN7rocprim17ROCPRIM_400000_NS6detail17trampoline_kernelINS0_14default_configENS1_38merge_sort_block_merge_config_selectorItNS0_10empty_typeEEEZZNS1_27merge_sort_block_merge_implIS3_N6thrust23THRUST_200600_302600_NS6detail15normal_iteratorINS9_10device_ptrItEEEEPS5_m11less_div_10ItEEE10hipError_tT0_T1_T2_jT3_P12ihipStream_tbPNSt15iterator_traitsISJ_E10value_typeEPNSP_ISK_E10value_typeEPSL_NS1_7vsmem_tEENKUlT_SJ_SK_SL_E_clISE_PtSF_SF_EESI_SY_SJ_SK_SL_EUlSY_E1_NS1_11comp_targetILNS1_3genE5ELNS1_11target_archE942ELNS1_3gpuE9ELNS1_3repE0EEENS1_36merge_oddeven_config_static_selectorELNS0_4arch9wavefront6targetE0EEEvSK_: ; @_ZN7rocprim17ROCPRIM_400000_NS6detail17trampoline_kernelINS0_14default_configENS1_38merge_sort_block_merge_config_selectorItNS0_10empty_typeEEEZZNS1_27merge_sort_block_merge_implIS3_N6thrust23THRUST_200600_302600_NS6detail15normal_iteratorINS9_10device_ptrItEEEEPS5_m11less_div_10ItEEE10hipError_tT0_T1_T2_jT3_P12ihipStream_tbPNSt15iterator_traitsISJ_E10value_typeEPNSP_ISK_E10value_typeEPSL_NS1_7vsmem_tEENKUlT_SJ_SK_SL_E_clISE_PtSF_SF_EESI_SY_SJ_SK_SL_EUlSY_E1_NS1_11comp_targetILNS1_3genE5ELNS1_11target_archE942ELNS1_3gpuE9ELNS1_3repE0EEENS1_36merge_oddeven_config_static_selectorELNS0_4arch9wavefront6targetE0EEEvSK_
; %bb.0:
	.section	.rodata,"a",@progbits
	.p2align	6, 0x0
	.amdhsa_kernel _ZN7rocprim17ROCPRIM_400000_NS6detail17trampoline_kernelINS0_14default_configENS1_38merge_sort_block_merge_config_selectorItNS0_10empty_typeEEEZZNS1_27merge_sort_block_merge_implIS3_N6thrust23THRUST_200600_302600_NS6detail15normal_iteratorINS9_10device_ptrItEEEEPS5_m11less_div_10ItEEE10hipError_tT0_T1_T2_jT3_P12ihipStream_tbPNSt15iterator_traitsISJ_E10value_typeEPNSP_ISK_E10value_typeEPSL_NS1_7vsmem_tEENKUlT_SJ_SK_SL_E_clISE_PtSF_SF_EESI_SY_SJ_SK_SL_EUlSY_E1_NS1_11comp_targetILNS1_3genE5ELNS1_11target_archE942ELNS1_3gpuE9ELNS1_3repE0EEENS1_36merge_oddeven_config_static_selectorELNS0_4arch9wavefront6targetE0EEEvSK_
		.amdhsa_group_segment_fixed_size 0
		.amdhsa_private_segment_fixed_size 0
		.amdhsa_kernarg_size 56
		.amdhsa_user_sgpr_count 6
		.amdhsa_user_sgpr_private_segment_buffer 1
		.amdhsa_user_sgpr_dispatch_ptr 0
		.amdhsa_user_sgpr_queue_ptr 0
		.amdhsa_user_sgpr_kernarg_segment_ptr 1
		.amdhsa_user_sgpr_dispatch_id 0
		.amdhsa_user_sgpr_flat_scratch_init 0
		.amdhsa_user_sgpr_private_segment_size 0
		.amdhsa_wavefront_size32 1
		.amdhsa_uses_dynamic_stack 0
		.amdhsa_system_sgpr_private_segment_wavefront_offset 0
		.amdhsa_system_sgpr_workgroup_id_x 1
		.amdhsa_system_sgpr_workgroup_id_y 0
		.amdhsa_system_sgpr_workgroup_id_z 0
		.amdhsa_system_sgpr_workgroup_info 0
		.amdhsa_system_vgpr_workitem_id 0
		.amdhsa_next_free_vgpr 1
		.amdhsa_next_free_sgpr 1
		.amdhsa_reserve_vcc 0
		.amdhsa_reserve_flat_scratch 0
		.amdhsa_float_round_mode_32 0
		.amdhsa_float_round_mode_16_64 0
		.amdhsa_float_denorm_mode_32 3
		.amdhsa_float_denorm_mode_16_64 3
		.amdhsa_dx10_clamp 1
		.amdhsa_ieee_mode 1
		.amdhsa_fp16_overflow 0
		.amdhsa_workgroup_processor_mode 1
		.amdhsa_memory_ordered 1
		.amdhsa_forward_progress 1
		.amdhsa_shared_vgpr_count 0
		.amdhsa_exception_fp_ieee_invalid_op 0
		.amdhsa_exception_fp_denorm_src 0
		.amdhsa_exception_fp_ieee_div_zero 0
		.amdhsa_exception_fp_ieee_overflow 0
		.amdhsa_exception_fp_ieee_underflow 0
		.amdhsa_exception_fp_ieee_inexact 0
		.amdhsa_exception_int_div_zero 0
	.end_amdhsa_kernel
	.section	.text._ZN7rocprim17ROCPRIM_400000_NS6detail17trampoline_kernelINS0_14default_configENS1_38merge_sort_block_merge_config_selectorItNS0_10empty_typeEEEZZNS1_27merge_sort_block_merge_implIS3_N6thrust23THRUST_200600_302600_NS6detail15normal_iteratorINS9_10device_ptrItEEEEPS5_m11less_div_10ItEEE10hipError_tT0_T1_T2_jT3_P12ihipStream_tbPNSt15iterator_traitsISJ_E10value_typeEPNSP_ISK_E10value_typeEPSL_NS1_7vsmem_tEENKUlT_SJ_SK_SL_E_clISE_PtSF_SF_EESI_SY_SJ_SK_SL_EUlSY_E1_NS1_11comp_targetILNS1_3genE5ELNS1_11target_archE942ELNS1_3gpuE9ELNS1_3repE0EEENS1_36merge_oddeven_config_static_selectorELNS0_4arch9wavefront6targetE0EEEvSK_,"axG",@progbits,_ZN7rocprim17ROCPRIM_400000_NS6detail17trampoline_kernelINS0_14default_configENS1_38merge_sort_block_merge_config_selectorItNS0_10empty_typeEEEZZNS1_27merge_sort_block_merge_implIS3_N6thrust23THRUST_200600_302600_NS6detail15normal_iteratorINS9_10device_ptrItEEEEPS5_m11less_div_10ItEEE10hipError_tT0_T1_T2_jT3_P12ihipStream_tbPNSt15iterator_traitsISJ_E10value_typeEPNSP_ISK_E10value_typeEPSL_NS1_7vsmem_tEENKUlT_SJ_SK_SL_E_clISE_PtSF_SF_EESI_SY_SJ_SK_SL_EUlSY_E1_NS1_11comp_targetILNS1_3genE5ELNS1_11target_archE942ELNS1_3gpuE9ELNS1_3repE0EEENS1_36merge_oddeven_config_static_selectorELNS0_4arch9wavefront6targetE0EEEvSK_,comdat
.Lfunc_end284:
	.size	_ZN7rocprim17ROCPRIM_400000_NS6detail17trampoline_kernelINS0_14default_configENS1_38merge_sort_block_merge_config_selectorItNS0_10empty_typeEEEZZNS1_27merge_sort_block_merge_implIS3_N6thrust23THRUST_200600_302600_NS6detail15normal_iteratorINS9_10device_ptrItEEEEPS5_m11less_div_10ItEEE10hipError_tT0_T1_T2_jT3_P12ihipStream_tbPNSt15iterator_traitsISJ_E10value_typeEPNSP_ISK_E10value_typeEPSL_NS1_7vsmem_tEENKUlT_SJ_SK_SL_E_clISE_PtSF_SF_EESI_SY_SJ_SK_SL_EUlSY_E1_NS1_11comp_targetILNS1_3genE5ELNS1_11target_archE942ELNS1_3gpuE9ELNS1_3repE0EEENS1_36merge_oddeven_config_static_selectorELNS0_4arch9wavefront6targetE0EEEvSK_, .Lfunc_end284-_ZN7rocprim17ROCPRIM_400000_NS6detail17trampoline_kernelINS0_14default_configENS1_38merge_sort_block_merge_config_selectorItNS0_10empty_typeEEEZZNS1_27merge_sort_block_merge_implIS3_N6thrust23THRUST_200600_302600_NS6detail15normal_iteratorINS9_10device_ptrItEEEEPS5_m11less_div_10ItEEE10hipError_tT0_T1_T2_jT3_P12ihipStream_tbPNSt15iterator_traitsISJ_E10value_typeEPNSP_ISK_E10value_typeEPSL_NS1_7vsmem_tEENKUlT_SJ_SK_SL_E_clISE_PtSF_SF_EESI_SY_SJ_SK_SL_EUlSY_E1_NS1_11comp_targetILNS1_3genE5ELNS1_11target_archE942ELNS1_3gpuE9ELNS1_3repE0EEENS1_36merge_oddeven_config_static_selectorELNS0_4arch9wavefront6targetE0EEEvSK_
                                        ; -- End function
	.set _ZN7rocprim17ROCPRIM_400000_NS6detail17trampoline_kernelINS0_14default_configENS1_38merge_sort_block_merge_config_selectorItNS0_10empty_typeEEEZZNS1_27merge_sort_block_merge_implIS3_N6thrust23THRUST_200600_302600_NS6detail15normal_iteratorINS9_10device_ptrItEEEEPS5_m11less_div_10ItEEE10hipError_tT0_T1_T2_jT3_P12ihipStream_tbPNSt15iterator_traitsISJ_E10value_typeEPNSP_ISK_E10value_typeEPSL_NS1_7vsmem_tEENKUlT_SJ_SK_SL_E_clISE_PtSF_SF_EESI_SY_SJ_SK_SL_EUlSY_E1_NS1_11comp_targetILNS1_3genE5ELNS1_11target_archE942ELNS1_3gpuE9ELNS1_3repE0EEENS1_36merge_oddeven_config_static_selectorELNS0_4arch9wavefront6targetE0EEEvSK_.num_vgpr, 0
	.set _ZN7rocprim17ROCPRIM_400000_NS6detail17trampoline_kernelINS0_14default_configENS1_38merge_sort_block_merge_config_selectorItNS0_10empty_typeEEEZZNS1_27merge_sort_block_merge_implIS3_N6thrust23THRUST_200600_302600_NS6detail15normal_iteratorINS9_10device_ptrItEEEEPS5_m11less_div_10ItEEE10hipError_tT0_T1_T2_jT3_P12ihipStream_tbPNSt15iterator_traitsISJ_E10value_typeEPNSP_ISK_E10value_typeEPSL_NS1_7vsmem_tEENKUlT_SJ_SK_SL_E_clISE_PtSF_SF_EESI_SY_SJ_SK_SL_EUlSY_E1_NS1_11comp_targetILNS1_3genE5ELNS1_11target_archE942ELNS1_3gpuE9ELNS1_3repE0EEENS1_36merge_oddeven_config_static_selectorELNS0_4arch9wavefront6targetE0EEEvSK_.num_agpr, 0
	.set _ZN7rocprim17ROCPRIM_400000_NS6detail17trampoline_kernelINS0_14default_configENS1_38merge_sort_block_merge_config_selectorItNS0_10empty_typeEEEZZNS1_27merge_sort_block_merge_implIS3_N6thrust23THRUST_200600_302600_NS6detail15normal_iteratorINS9_10device_ptrItEEEEPS5_m11less_div_10ItEEE10hipError_tT0_T1_T2_jT3_P12ihipStream_tbPNSt15iterator_traitsISJ_E10value_typeEPNSP_ISK_E10value_typeEPSL_NS1_7vsmem_tEENKUlT_SJ_SK_SL_E_clISE_PtSF_SF_EESI_SY_SJ_SK_SL_EUlSY_E1_NS1_11comp_targetILNS1_3genE5ELNS1_11target_archE942ELNS1_3gpuE9ELNS1_3repE0EEENS1_36merge_oddeven_config_static_selectorELNS0_4arch9wavefront6targetE0EEEvSK_.numbered_sgpr, 0
	.set _ZN7rocprim17ROCPRIM_400000_NS6detail17trampoline_kernelINS0_14default_configENS1_38merge_sort_block_merge_config_selectorItNS0_10empty_typeEEEZZNS1_27merge_sort_block_merge_implIS3_N6thrust23THRUST_200600_302600_NS6detail15normal_iteratorINS9_10device_ptrItEEEEPS5_m11less_div_10ItEEE10hipError_tT0_T1_T2_jT3_P12ihipStream_tbPNSt15iterator_traitsISJ_E10value_typeEPNSP_ISK_E10value_typeEPSL_NS1_7vsmem_tEENKUlT_SJ_SK_SL_E_clISE_PtSF_SF_EESI_SY_SJ_SK_SL_EUlSY_E1_NS1_11comp_targetILNS1_3genE5ELNS1_11target_archE942ELNS1_3gpuE9ELNS1_3repE0EEENS1_36merge_oddeven_config_static_selectorELNS0_4arch9wavefront6targetE0EEEvSK_.num_named_barrier, 0
	.set _ZN7rocprim17ROCPRIM_400000_NS6detail17trampoline_kernelINS0_14default_configENS1_38merge_sort_block_merge_config_selectorItNS0_10empty_typeEEEZZNS1_27merge_sort_block_merge_implIS3_N6thrust23THRUST_200600_302600_NS6detail15normal_iteratorINS9_10device_ptrItEEEEPS5_m11less_div_10ItEEE10hipError_tT0_T1_T2_jT3_P12ihipStream_tbPNSt15iterator_traitsISJ_E10value_typeEPNSP_ISK_E10value_typeEPSL_NS1_7vsmem_tEENKUlT_SJ_SK_SL_E_clISE_PtSF_SF_EESI_SY_SJ_SK_SL_EUlSY_E1_NS1_11comp_targetILNS1_3genE5ELNS1_11target_archE942ELNS1_3gpuE9ELNS1_3repE0EEENS1_36merge_oddeven_config_static_selectorELNS0_4arch9wavefront6targetE0EEEvSK_.private_seg_size, 0
	.set _ZN7rocprim17ROCPRIM_400000_NS6detail17trampoline_kernelINS0_14default_configENS1_38merge_sort_block_merge_config_selectorItNS0_10empty_typeEEEZZNS1_27merge_sort_block_merge_implIS3_N6thrust23THRUST_200600_302600_NS6detail15normal_iteratorINS9_10device_ptrItEEEEPS5_m11less_div_10ItEEE10hipError_tT0_T1_T2_jT3_P12ihipStream_tbPNSt15iterator_traitsISJ_E10value_typeEPNSP_ISK_E10value_typeEPSL_NS1_7vsmem_tEENKUlT_SJ_SK_SL_E_clISE_PtSF_SF_EESI_SY_SJ_SK_SL_EUlSY_E1_NS1_11comp_targetILNS1_3genE5ELNS1_11target_archE942ELNS1_3gpuE9ELNS1_3repE0EEENS1_36merge_oddeven_config_static_selectorELNS0_4arch9wavefront6targetE0EEEvSK_.uses_vcc, 0
	.set _ZN7rocprim17ROCPRIM_400000_NS6detail17trampoline_kernelINS0_14default_configENS1_38merge_sort_block_merge_config_selectorItNS0_10empty_typeEEEZZNS1_27merge_sort_block_merge_implIS3_N6thrust23THRUST_200600_302600_NS6detail15normal_iteratorINS9_10device_ptrItEEEEPS5_m11less_div_10ItEEE10hipError_tT0_T1_T2_jT3_P12ihipStream_tbPNSt15iterator_traitsISJ_E10value_typeEPNSP_ISK_E10value_typeEPSL_NS1_7vsmem_tEENKUlT_SJ_SK_SL_E_clISE_PtSF_SF_EESI_SY_SJ_SK_SL_EUlSY_E1_NS1_11comp_targetILNS1_3genE5ELNS1_11target_archE942ELNS1_3gpuE9ELNS1_3repE0EEENS1_36merge_oddeven_config_static_selectorELNS0_4arch9wavefront6targetE0EEEvSK_.uses_flat_scratch, 0
	.set _ZN7rocprim17ROCPRIM_400000_NS6detail17trampoline_kernelINS0_14default_configENS1_38merge_sort_block_merge_config_selectorItNS0_10empty_typeEEEZZNS1_27merge_sort_block_merge_implIS3_N6thrust23THRUST_200600_302600_NS6detail15normal_iteratorINS9_10device_ptrItEEEEPS5_m11less_div_10ItEEE10hipError_tT0_T1_T2_jT3_P12ihipStream_tbPNSt15iterator_traitsISJ_E10value_typeEPNSP_ISK_E10value_typeEPSL_NS1_7vsmem_tEENKUlT_SJ_SK_SL_E_clISE_PtSF_SF_EESI_SY_SJ_SK_SL_EUlSY_E1_NS1_11comp_targetILNS1_3genE5ELNS1_11target_archE942ELNS1_3gpuE9ELNS1_3repE0EEENS1_36merge_oddeven_config_static_selectorELNS0_4arch9wavefront6targetE0EEEvSK_.has_dyn_sized_stack, 0
	.set _ZN7rocprim17ROCPRIM_400000_NS6detail17trampoline_kernelINS0_14default_configENS1_38merge_sort_block_merge_config_selectorItNS0_10empty_typeEEEZZNS1_27merge_sort_block_merge_implIS3_N6thrust23THRUST_200600_302600_NS6detail15normal_iteratorINS9_10device_ptrItEEEEPS5_m11less_div_10ItEEE10hipError_tT0_T1_T2_jT3_P12ihipStream_tbPNSt15iterator_traitsISJ_E10value_typeEPNSP_ISK_E10value_typeEPSL_NS1_7vsmem_tEENKUlT_SJ_SK_SL_E_clISE_PtSF_SF_EESI_SY_SJ_SK_SL_EUlSY_E1_NS1_11comp_targetILNS1_3genE5ELNS1_11target_archE942ELNS1_3gpuE9ELNS1_3repE0EEENS1_36merge_oddeven_config_static_selectorELNS0_4arch9wavefront6targetE0EEEvSK_.has_recursion, 0
	.set _ZN7rocprim17ROCPRIM_400000_NS6detail17trampoline_kernelINS0_14default_configENS1_38merge_sort_block_merge_config_selectorItNS0_10empty_typeEEEZZNS1_27merge_sort_block_merge_implIS3_N6thrust23THRUST_200600_302600_NS6detail15normal_iteratorINS9_10device_ptrItEEEEPS5_m11less_div_10ItEEE10hipError_tT0_T1_T2_jT3_P12ihipStream_tbPNSt15iterator_traitsISJ_E10value_typeEPNSP_ISK_E10value_typeEPSL_NS1_7vsmem_tEENKUlT_SJ_SK_SL_E_clISE_PtSF_SF_EESI_SY_SJ_SK_SL_EUlSY_E1_NS1_11comp_targetILNS1_3genE5ELNS1_11target_archE942ELNS1_3gpuE9ELNS1_3repE0EEENS1_36merge_oddeven_config_static_selectorELNS0_4arch9wavefront6targetE0EEEvSK_.has_indirect_call, 0
	.section	.AMDGPU.csdata,"",@progbits
; Kernel info:
; codeLenInByte = 0
; TotalNumSgprs: 0
; NumVgprs: 0
; ScratchSize: 0
; MemoryBound: 0
; FloatMode: 240
; IeeeMode: 1
; LDSByteSize: 0 bytes/workgroup (compile time only)
; SGPRBlocks: 0
; VGPRBlocks: 0
; NumSGPRsForWavesPerEU: 1
; NumVGPRsForWavesPerEU: 1
; Occupancy: 16
; WaveLimiterHint : 0
; COMPUTE_PGM_RSRC2:SCRATCH_EN: 0
; COMPUTE_PGM_RSRC2:USER_SGPR: 6
; COMPUTE_PGM_RSRC2:TRAP_HANDLER: 0
; COMPUTE_PGM_RSRC2:TGID_X_EN: 1
; COMPUTE_PGM_RSRC2:TGID_Y_EN: 0
; COMPUTE_PGM_RSRC2:TGID_Z_EN: 0
; COMPUTE_PGM_RSRC2:TIDIG_COMP_CNT: 0
	.section	.text._ZN7rocprim17ROCPRIM_400000_NS6detail17trampoline_kernelINS0_14default_configENS1_38merge_sort_block_merge_config_selectorItNS0_10empty_typeEEEZZNS1_27merge_sort_block_merge_implIS3_N6thrust23THRUST_200600_302600_NS6detail15normal_iteratorINS9_10device_ptrItEEEEPS5_m11less_div_10ItEEE10hipError_tT0_T1_T2_jT3_P12ihipStream_tbPNSt15iterator_traitsISJ_E10value_typeEPNSP_ISK_E10value_typeEPSL_NS1_7vsmem_tEENKUlT_SJ_SK_SL_E_clISE_PtSF_SF_EESI_SY_SJ_SK_SL_EUlSY_E1_NS1_11comp_targetILNS1_3genE4ELNS1_11target_archE910ELNS1_3gpuE8ELNS1_3repE0EEENS1_36merge_oddeven_config_static_selectorELNS0_4arch9wavefront6targetE0EEEvSK_,"axG",@progbits,_ZN7rocprim17ROCPRIM_400000_NS6detail17trampoline_kernelINS0_14default_configENS1_38merge_sort_block_merge_config_selectorItNS0_10empty_typeEEEZZNS1_27merge_sort_block_merge_implIS3_N6thrust23THRUST_200600_302600_NS6detail15normal_iteratorINS9_10device_ptrItEEEEPS5_m11less_div_10ItEEE10hipError_tT0_T1_T2_jT3_P12ihipStream_tbPNSt15iterator_traitsISJ_E10value_typeEPNSP_ISK_E10value_typeEPSL_NS1_7vsmem_tEENKUlT_SJ_SK_SL_E_clISE_PtSF_SF_EESI_SY_SJ_SK_SL_EUlSY_E1_NS1_11comp_targetILNS1_3genE4ELNS1_11target_archE910ELNS1_3gpuE8ELNS1_3repE0EEENS1_36merge_oddeven_config_static_selectorELNS0_4arch9wavefront6targetE0EEEvSK_,comdat
	.protected	_ZN7rocprim17ROCPRIM_400000_NS6detail17trampoline_kernelINS0_14default_configENS1_38merge_sort_block_merge_config_selectorItNS0_10empty_typeEEEZZNS1_27merge_sort_block_merge_implIS3_N6thrust23THRUST_200600_302600_NS6detail15normal_iteratorINS9_10device_ptrItEEEEPS5_m11less_div_10ItEEE10hipError_tT0_T1_T2_jT3_P12ihipStream_tbPNSt15iterator_traitsISJ_E10value_typeEPNSP_ISK_E10value_typeEPSL_NS1_7vsmem_tEENKUlT_SJ_SK_SL_E_clISE_PtSF_SF_EESI_SY_SJ_SK_SL_EUlSY_E1_NS1_11comp_targetILNS1_3genE4ELNS1_11target_archE910ELNS1_3gpuE8ELNS1_3repE0EEENS1_36merge_oddeven_config_static_selectorELNS0_4arch9wavefront6targetE0EEEvSK_ ; -- Begin function _ZN7rocprim17ROCPRIM_400000_NS6detail17trampoline_kernelINS0_14default_configENS1_38merge_sort_block_merge_config_selectorItNS0_10empty_typeEEEZZNS1_27merge_sort_block_merge_implIS3_N6thrust23THRUST_200600_302600_NS6detail15normal_iteratorINS9_10device_ptrItEEEEPS5_m11less_div_10ItEEE10hipError_tT0_T1_T2_jT3_P12ihipStream_tbPNSt15iterator_traitsISJ_E10value_typeEPNSP_ISK_E10value_typeEPSL_NS1_7vsmem_tEENKUlT_SJ_SK_SL_E_clISE_PtSF_SF_EESI_SY_SJ_SK_SL_EUlSY_E1_NS1_11comp_targetILNS1_3genE4ELNS1_11target_archE910ELNS1_3gpuE8ELNS1_3repE0EEENS1_36merge_oddeven_config_static_selectorELNS0_4arch9wavefront6targetE0EEEvSK_
	.globl	_ZN7rocprim17ROCPRIM_400000_NS6detail17trampoline_kernelINS0_14default_configENS1_38merge_sort_block_merge_config_selectorItNS0_10empty_typeEEEZZNS1_27merge_sort_block_merge_implIS3_N6thrust23THRUST_200600_302600_NS6detail15normal_iteratorINS9_10device_ptrItEEEEPS5_m11less_div_10ItEEE10hipError_tT0_T1_T2_jT3_P12ihipStream_tbPNSt15iterator_traitsISJ_E10value_typeEPNSP_ISK_E10value_typeEPSL_NS1_7vsmem_tEENKUlT_SJ_SK_SL_E_clISE_PtSF_SF_EESI_SY_SJ_SK_SL_EUlSY_E1_NS1_11comp_targetILNS1_3genE4ELNS1_11target_archE910ELNS1_3gpuE8ELNS1_3repE0EEENS1_36merge_oddeven_config_static_selectorELNS0_4arch9wavefront6targetE0EEEvSK_
	.p2align	8
	.type	_ZN7rocprim17ROCPRIM_400000_NS6detail17trampoline_kernelINS0_14default_configENS1_38merge_sort_block_merge_config_selectorItNS0_10empty_typeEEEZZNS1_27merge_sort_block_merge_implIS3_N6thrust23THRUST_200600_302600_NS6detail15normal_iteratorINS9_10device_ptrItEEEEPS5_m11less_div_10ItEEE10hipError_tT0_T1_T2_jT3_P12ihipStream_tbPNSt15iterator_traitsISJ_E10value_typeEPNSP_ISK_E10value_typeEPSL_NS1_7vsmem_tEENKUlT_SJ_SK_SL_E_clISE_PtSF_SF_EESI_SY_SJ_SK_SL_EUlSY_E1_NS1_11comp_targetILNS1_3genE4ELNS1_11target_archE910ELNS1_3gpuE8ELNS1_3repE0EEENS1_36merge_oddeven_config_static_selectorELNS0_4arch9wavefront6targetE0EEEvSK_,@function
_ZN7rocprim17ROCPRIM_400000_NS6detail17trampoline_kernelINS0_14default_configENS1_38merge_sort_block_merge_config_selectorItNS0_10empty_typeEEEZZNS1_27merge_sort_block_merge_implIS3_N6thrust23THRUST_200600_302600_NS6detail15normal_iteratorINS9_10device_ptrItEEEEPS5_m11less_div_10ItEEE10hipError_tT0_T1_T2_jT3_P12ihipStream_tbPNSt15iterator_traitsISJ_E10value_typeEPNSP_ISK_E10value_typeEPSL_NS1_7vsmem_tEENKUlT_SJ_SK_SL_E_clISE_PtSF_SF_EESI_SY_SJ_SK_SL_EUlSY_E1_NS1_11comp_targetILNS1_3genE4ELNS1_11target_archE910ELNS1_3gpuE8ELNS1_3repE0EEENS1_36merge_oddeven_config_static_selectorELNS0_4arch9wavefront6targetE0EEEvSK_: ; @_ZN7rocprim17ROCPRIM_400000_NS6detail17trampoline_kernelINS0_14default_configENS1_38merge_sort_block_merge_config_selectorItNS0_10empty_typeEEEZZNS1_27merge_sort_block_merge_implIS3_N6thrust23THRUST_200600_302600_NS6detail15normal_iteratorINS9_10device_ptrItEEEEPS5_m11less_div_10ItEEE10hipError_tT0_T1_T2_jT3_P12ihipStream_tbPNSt15iterator_traitsISJ_E10value_typeEPNSP_ISK_E10value_typeEPSL_NS1_7vsmem_tEENKUlT_SJ_SK_SL_E_clISE_PtSF_SF_EESI_SY_SJ_SK_SL_EUlSY_E1_NS1_11comp_targetILNS1_3genE4ELNS1_11target_archE910ELNS1_3gpuE8ELNS1_3repE0EEENS1_36merge_oddeven_config_static_selectorELNS0_4arch9wavefront6targetE0EEEvSK_
; %bb.0:
	.section	.rodata,"a",@progbits
	.p2align	6, 0x0
	.amdhsa_kernel _ZN7rocprim17ROCPRIM_400000_NS6detail17trampoline_kernelINS0_14default_configENS1_38merge_sort_block_merge_config_selectorItNS0_10empty_typeEEEZZNS1_27merge_sort_block_merge_implIS3_N6thrust23THRUST_200600_302600_NS6detail15normal_iteratorINS9_10device_ptrItEEEEPS5_m11less_div_10ItEEE10hipError_tT0_T1_T2_jT3_P12ihipStream_tbPNSt15iterator_traitsISJ_E10value_typeEPNSP_ISK_E10value_typeEPSL_NS1_7vsmem_tEENKUlT_SJ_SK_SL_E_clISE_PtSF_SF_EESI_SY_SJ_SK_SL_EUlSY_E1_NS1_11comp_targetILNS1_3genE4ELNS1_11target_archE910ELNS1_3gpuE8ELNS1_3repE0EEENS1_36merge_oddeven_config_static_selectorELNS0_4arch9wavefront6targetE0EEEvSK_
		.amdhsa_group_segment_fixed_size 0
		.amdhsa_private_segment_fixed_size 0
		.amdhsa_kernarg_size 56
		.amdhsa_user_sgpr_count 6
		.amdhsa_user_sgpr_private_segment_buffer 1
		.amdhsa_user_sgpr_dispatch_ptr 0
		.amdhsa_user_sgpr_queue_ptr 0
		.amdhsa_user_sgpr_kernarg_segment_ptr 1
		.amdhsa_user_sgpr_dispatch_id 0
		.amdhsa_user_sgpr_flat_scratch_init 0
		.amdhsa_user_sgpr_private_segment_size 0
		.amdhsa_wavefront_size32 1
		.amdhsa_uses_dynamic_stack 0
		.amdhsa_system_sgpr_private_segment_wavefront_offset 0
		.amdhsa_system_sgpr_workgroup_id_x 1
		.amdhsa_system_sgpr_workgroup_id_y 0
		.amdhsa_system_sgpr_workgroup_id_z 0
		.amdhsa_system_sgpr_workgroup_info 0
		.amdhsa_system_vgpr_workitem_id 0
		.amdhsa_next_free_vgpr 1
		.amdhsa_next_free_sgpr 1
		.amdhsa_reserve_vcc 0
		.amdhsa_reserve_flat_scratch 0
		.amdhsa_float_round_mode_32 0
		.amdhsa_float_round_mode_16_64 0
		.amdhsa_float_denorm_mode_32 3
		.amdhsa_float_denorm_mode_16_64 3
		.amdhsa_dx10_clamp 1
		.amdhsa_ieee_mode 1
		.amdhsa_fp16_overflow 0
		.amdhsa_workgroup_processor_mode 1
		.amdhsa_memory_ordered 1
		.amdhsa_forward_progress 1
		.amdhsa_shared_vgpr_count 0
		.amdhsa_exception_fp_ieee_invalid_op 0
		.amdhsa_exception_fp_denorm_src 0
		.amdhsa_exception_fp_ieee_div_zero 0
		.amdhsa_exception_fp_ieee_overflow 0
		.amdhsa_exception_fp_ieee_underflow 0
		.amdhsa_exception_fp_ieee_inexact 0
		.amdhsa_exception_int_div_zero 0
	.end_amdhsa_kernel
	.section	.text._ZN7rocprim17ROCPRIM_400000_NS6detail17trampoline_kernelINS0_14default_configENS1_38merge_sort_block_merge_config_selectorItNS0_10empty_typeEEEZZNS1_27merge_sort_block_merge_implIS3_N6thrust23THRUST_200600_302600_NS6detail15normal_iteratorINS9_10device_ptrItEEEEPS5_m11less_div_10ItEEE10hipError_tT0_T1_T2_jT3_P12ihipStream_tbPNSt15iterator_traitsISJ_E10value_typeEPNSP_ISK_E10value_typeEPSL_NS1_7vsmem_tEENKUlT_SJ_SK_SL_E_clISE_PtSF_SF_EESI_SY_SJ_SK_SL_EUlSY_E1_NS1_11comp_targetILNS1_3genE4ELNS1_11target_archE910ELNS1_3gpuE8ELNS1_3repE0EEENS1_36merge_oddeven_config_static_selectorELNS0_4arch9wavefront6targetE0EEEvSK_,"axG",@progbits,_ZN7rocprim17ROCPRIM_400000_NS6detail17trampoline_kernelINS0_14default_configENS1_38merge_sort_block_merge_config_selectorItNS0_10empty_typeEEEZZNS1_27merge_sort_block_merge_implIS3_N6thrust23THRUST_200600_302600_NS6detail15normal_iteratorINS9_10device_ptrItEEEEPS5_m11less_div_10ItEEE10hipError_tT0_T1_T2_jT3_P12ihipStream_tbPNSt15iterator_traitsISJ_E10value_typeEPNSP_ISK_E10value_typeEPSL_NS1_7vsmem_tEENKUlT_SJ_SK_SL_E_clISE_PtSF_SF_EESI_SY_SJ_SK_SL_EUlSY_E1_NS1_11comp_targetILNS1_3genE4ELNS1_11target_archE910ELNS1_3gpuE8ELNS1_3repE0EEENS1_36merge_oddeven_config_static_selectorELNS0_4arch9wavefront6targetE0EEEvSK_,comdat
.Lfunc_end285:
	.size	_ZN7rocprim17ROCPRIM_400000_NS6detail17trampoline_kernelINS0_14default_configENS1_38merge_sort_block_merge_config_selectorItNS0_10empty_typeEEEZZNS1_27merge_sort_block_merge_implIS3_N6thrust23THRUST_200600_302600_NS6detail15normal_iteratorINS9_10device_ptrItEEEEPS5_m11less_div_10ItEEE10hipError_tT0_T1_T2_jT3_P12ihipStream_tbPNSt15iterator_traitsISJ_E10value_typeEPNSP_ISK_E10value_typeEPSL_NS1_7vsmem_tEENKUlT_SJ_SK_SL_E_clISE_PtSF_SF_EESI_SY_SJ_SK_SL_EUlSY_E1_NS1_11comp_targetILNS1_3genE4ELNS1_11target_archE910ELNS1_3gpuE8ELNS1_3repE0EEENS1_36merge_oddeven_config_static_selectorELNS0_4arch9wavefront6targetE0EEEvSK_, .Lfunc_end285-_ZN7rocprim17ROCPRIM_400000_NS6detail17trampoline_kernelINS0_14default_configENS1_38merge_sort_block_merge_config_selectorItNS0_10empty_typeEEEZZNS1_27merge_sort_block_merge_implIS3_N6thrust23THRUST_200600_302600_NS6detail15normal_iteratorINS9_10device_ptrItEEEEPS5_m11less_div_10ItEEE10hipError_tT0_T1_T2_jT3_P12ihipStream_tbPNSt15iterator_traitsISJ_E10value_typeEPNSP_ISK_E10value_typeEPSL_NS1_7vsmem_tEENKUlT_SJ_SK_SL_E_clISE_PtSF_SF_EESI_SY_SJ_SK_SL_EUlSY_E1_NS1_11comp_targetILNS1_3genE4ELNS1_11target_archE910ELNS1_3gpuE8ELNS1_3repE0EEENS1_36merge_oddeven_config_static_selectorELNS0_4arch9wavefront6targetE0EEEvSK_
                                        ; -- End function
	.set _ZN7rocprim17ROCPRIM_400000_NS6detail17trampoline_kernelINS0_14default_configENS1_38merge_sort_block_merge_config_selectorItNS0_10empty_typeEEEZZNS1_27merge_sort_block_merge_implIS3_N6thrust23THRUST_200600_302600_NS6detail15normal_iteratorINS9_10device_ptrItEEEEPS5_m11less_div_10ItEEE10hipError_tT0_T1_T2_jT3_P12ihipStream_tbPNSt15iterator_traitsISJ_E10value_typeEPNSP_ISK_E10value_typeEPSL_NS1_7vsmem_tEENKUlT_SJ_SK_SL_E_clISE_PtSF_SF_EESI_SY_SJ_SK_SL_EUlSY_E1_NS1_11comp_targetILNS1_3genE4ELNS1_11target_archE910ELNS1_3gpuE8ELNS1_3repE0EEENS1_36merge_oddeven_config_static_selectorELNS0_4arch9wavefront6targetE0EEEvSK_.num_vgpr, 0
	.set _ZN7rocprim17ROCPRIM_400000_NS6detail17trampoline_kernelINS0_14default_configENS1_38merge_sort_block_merge_config_selectorItNS0_10empty_typeEEEZZNS1_27merge_sort_block_merge_implIS3_N6thrust23THRUST_200600_302600_NS6detail15normal_iteratorINS9_10device_ptrItEEEEPS5_m11less_div_10ItEEE10hipError_tT0_T1_T2_jT3_P12ihipStream_tbPNSt15iterator_traitsISJ_E10value_typeEPNSP_ISK_E10value_typeEPSL_NS1_7vsmem_tEENKUlT_SJ_SK_SL_E_clISE_PtSF_SF_EESI_SY_SJ_SK_SL_EUlSY_E1_NS1_11comp_targetILNS1_3genE4ELNS1_11target_archE910ELNS1_3gpuE8ELNS1_3repE0EEENS1_36merge_oddeven_config_static_selectorELNS0_4arch9wavefront6targetE0EEEvSK_.num_agpr, 0
	.set _ZN7rocprim17ROCPRIM_400000_NS6detail17trampoline_kernelINS0_14default_configENS1_38merge_sort_block_merge_config_selectorItNS0_10empty_typeEEEZZNS1_27merge_sort_block_merge_implIS3_N6thrust23THRUST_200600_302600_NS6detail15normal_iteratorINS9_10device_ptrItEEEEPS5_m11less_div_10ItEEE10hipError_tT0_T1_T2_jT3_P12ihipStream_tbPNSt15iterator_traitsISJ_E10value_typeEPNSP_ISK_E10value_typeEPSL_NS1_7vsmem_tEENKUlT_SJ_SK_SL_E_clISE_PtSF_SF_EESI_SY_SJ_SK_SL_EUlSY_E1_NS1_11comp_targetILNS1_3genE4ELNS1_11target_archE910ELNS1_3gpuE8ELNS1_3repE0EEENS1_36merge_oddeven_config_static_selectorELNS0_4arch9wavefront6targetE0EEEvSK_.numbered_sgpr, 0
	.set _ZN7rocprim17ROCPRIM_400000_NS6detail17trampoline_kernelINS0_14default_configENS1_38merge_sort_block_merge_config_selectorItNS0_10empty_typeEEEZZNS1_27merge_sort_block_merge_implIS3_N6thrust23THRUST_200600_302600_NS6detail15normal_iteratorINS9_10device_ptrItEEEEPS5_m11less_div_10ItEEE10hipError_tT0_T1_T2_jT3_P12ihipStream_tbPNSt15iterator_traitsISJ_E10value_typeEPNSP_ISK_E10value_typeEPSL_NS1_7vsmem_tEENKUlT_SJ_SK_SL_E_clISE_PtSF_SF_EESI_SY_SJ_SK_SL_EUlSY_E1_NS1_11comp_targetILNS1_3genE4ELNS1_11target_archE910ELNS1_3gpuE8ELNS1_3repE0EEENS1_36merge_oddeven_config_static_selectorELNS0_4arch9wavefront6targetE0EEEvSK_.num_named_barrier, 0
	.set _ZN7rocprim17ROCPRIM_400000_NS6detail17trampoline_kernelINS0_14default_configENS1_38merge_sort_block_merge_config_selectorItNS0_10empty_typeEEEZZNS1_27merge_sort_block_merge_implIS3_N6thrust23THRUST_200600_302600_NS6detail15normal_iteratorINS9_10device_ptrItEEEEPS5_m11less_div_10ItEEE10hipError_tT0_T1_T2_jT3_P12ihipStream_tbPNSt15iterator_traitsISJ_E10value_typeEPNSP_ISK_E10value_typeEPSL_NS1_7vsmem_tEENKUlT_SJ_SK_SL_E_clISE_PtSF_SF_EESI_SY_SJ_SK_SL_EUlSY_E1_NS1_11comp_targetILNS1_3genE4ELNS1_11target_archE910ELNS1_3gpuE8ELNS1_3repE0EEENS1_36merge_oddeven_config_static_selectorELNS0_4arch9wavefront6targetE0EEEvSK_.private_seg_size, 0
	.set _ZN7rocprim17ROCPRIM_400000_NS6detail17trampoline_kernelINS0_14default_configENS1_38merge_sort_block_merge_config_selectorItNS0_10empty_typeEEEZZNS1_27merge_sort_block_merge_implIS3_N6thrust23THRUST_200600_302600_NS6detail15normal_iteratorINS9_10device_ptrItEEEEPS5_m11less_div_10ItEEE10hipError_tT0_T1_T2_jT3_P12ihipStream_tbPNSt15iterator_traitsISJ_E10value_typeEPNSP_ISK_E10value_typeEPSL_NS1_7vsmem_tEENKUlT_SJ_SK_SL_E_clISE_PtSF_SF_EESI_SY_SJ_SK_SL_EUlSY_E1_NS1_11comp_targetILNS1_3genE4ELNS1_11target_archE910ELNS1_3gpuE8ELNS1_3repE0EEENS1_36merge_oddeven_config_static_selectorELNS0_4arch9wavefront6targetE0EEEvSK_.uses_vcc, 0
	.set _ZN7rocprim17ROCPRIM_400000_NS6detail17trampoline_kernelINS0_14default_configENS1_38merge_sort_block_merge_config_selectorItNS0_10empty_typeEEEZZNS1_27merge_sort_block_merge_implIS3_N6thrust23THRUST_200600_302600_NS6detail15normal_iteratorINS9_10device_ptrItEEEEPS5_m11less_div_10ItEEE10hipError_tT0_T1_T2_jT3_P12ihipStream_tbPNSt15iterator_traitsISJ_E10value_typeEPNSP_ISK_E10value_typeEPSL_NS1_7vsmem_tEENKUlT_SJ_SK_SL_E_clISE_PtSF_SF_EESI_SY_SJ_SK_SL_EUlSY_E1_NS1_11comp_targetILNS1_3genE4ELNS1_11target_archE910ELNS1_3gpuE8ELNS1_3repE0EEENS1_36merge_oddeven_config_static_selectorELNS0_4arch9wavefront6targetE0EEEvSK_.uses_flat_scratch, 0
	.set _ZN7rocprim17ROCPRIM_400000_NS6detail17trampoline_kernelINS0_14default_configENS1_38merge_sort_block_merge_config_selectorItNS0_10empty_typeEEEZZNS1_27merge_sort_block_merge_implIS3_N6thrust23THRUST_200600_302600_NS6detail15normal_iteratorINS9_10device_ptrItEEEEPS5_m11less_div_10ItEEE10hipError_tT0_T1_T2_jT3_P12ihipStream_tbPNSt15iterator_traitsISJ_E10value_typeEPNSP_ISK_E10value_typeEPSL_NS1_7vsmem_tEENKUlT_SJ_SK_SL_E_clISE_PtSF_SF_EESI_SY_SJ_SK_SL_EUlSY_E1_NS1_11comp_targetILNS1_3genE4ELNS1_11target_archE910ELNS1_3gpuE8ELNS1_3repE0EEENS1_36merge_oddeven_config_static_selectorELNS0_4arch9wavefront6targetE0EEEvSK_.has_dyn_sized_stack, 0
	.set _ZN7rocprim17ROCPRIM_400000_NS6detail17trampoline_kernelINS0_14default_configENS1_38merge_sort_block_merge_config_selectorItNS0_10empty_typeEEEZZNS1_27merge_sort_block_merge_implIS3_N6thrust23THRUST_200600_302600_NS6detail15normal_iteratorINS9_10device_ptrItEEEEPS5_m11less_div_10ItEEE10hipError_tT0_T1_T2_jT3_P12ihipStream_tbPNSt15iterator_traitsISJ_E10value_typeEPNSP_ISK_E10value_typeEPSL_NS1_7vsmem_tEENKUlT_SJ_SK_SL_E_clISE_PtSF_SF_EESI_SY_SJ_SK_SL_EUlSY_E1_NS1_11comp_targetILNS1_3genE4ELNS1_11target_archE910ELNS1_3gpuE8ELNS1_3repE0EEENS1_36merge_oddeven_config_static_selectorELNS0_4arch9wavefront6targetE0EEEvSK_.has_recursion, 0
	.set _ZN7rocprim17ROCPRIM_400000_NS6detail17trampoline_kernelINS0_14default_configENS1_38merge_sort_block_merge_config_selectorItNS0_10empty_typeEEEZZNS1_27merge_sort_block_merge_implIS3_N6thrust23THRUST_200600_302600_NS6detail15normal_iteratorINS9_10device_ptrItEEEEPS5_m11less_div_10ItEEE10hipError_tT0_T1_T2_jT3_P12ihipStream_tbPNSt15iterator_traitsISJ_E10value_typeEPNSP_ISK_E10value_typeEPSL_NS1_7vsmem_tEENKUlT_SJ_SK_SL_E_clISE_PtSF_SF_EESI_SY_SJ_SK_SL_EUlSY_E1_NS1_11comp_targetILNS1_3genE4ELNS1_11target_archE910ELNS1_3gpuE8ELNS1_3repE0EEENS1_36merge_oddeven_config_static_selectorELNS0_4arch9wavefront6targetE0EEEvSK_.has_indirect_call, 0
	.section	.AMDGPU.csdata,"",@progbits
; Kernel info:
; codeLenInByte = 0
; TotalNumSgprs: 0
; NumVgprs: 0
; ScratchSize: 0
; MemoryBound: 0
; FloatMode: 240
; IeeeMode: 1
; LDSByteSize: 0 bytes/workgroup (compile time only)
; SGPRBlocks: 0
; VGPRBlocks: 0
; NumSGPRsForWavesPerEU: 1
; NumVGPRsForWavesPerEU: 1
; Occupancy: 16
; WaveLimiterHint : 0
; COMPUTE_PGM_RSRC2:SCRATCH_EN: 0
; COMPUTE_PGM_RSRC2:USER_SGPR: 6
; COMPUTE_PGM_RSRC2:TRAP_HANDLER: 0
; COMPUTE_PGM_RSRC2:TGID_X_EN: 1
; COMPUTE_PGM_RSRC2:TGID_Y_EN: 0
; COMPUTE_PGM_RSRC2:TGID_Z_EN: 0
; COMPUTE_PGM_RSRC2:TIDIG_COMP_CNT: 0
	.section	.text._ZN7rocprim17ROCPRIM_400000_NS6detail17trampoline_kernelINS0_14default_configENS1_38merge_sort_block_merge_config_selectorItNS0_10empty_typeEEEZZNS1_27merge_sort_block_merge_implIS3_N6thrust23THRUST_200600_302600_NS6detail15normal_iteratorINS9_10device_ptrItEEEEPS5_m11less_div_10ItEEE10hipError_tT0_T1_T2_jT3_P12ihipStream_tbPNSt15iterator_traitsISJ_E10value_typeEPNSP_ISK_E10value_typeEPSL_NS1_7vsmem_tEENKUlT_SJ_SK_SL_E_clISE_PtSF_SF_EESI_SY_SJ_SK_SL_EUlSY_E1_NS1_11comp_targetILNS1_3genE3ELNS1_11target_archE908ELNS1_3gpuE7ELNS1_3repE0EEENS1_36merge_oddeven_config_static_selectorELNS0_4arch9wavefront6targetE0EEEvSK_,"axG",@progbits,_ZN7rocprim17ROCPRIM_400000_NS6detail17trampoline_kernelINS0_14default_configENS1_38merge_sort_block_merge_config_selectorItNS0_10empty_typeEEEZZNS1_27merge_sort_block_merge_implIS3_N6thrust23THRUST_200600_302600_NS6detail15normal_iteratorINS9_10device_ptrItEEEEPS5_m11less_div_10ItEEE10hipError_tT0_T1_T2_jT3_P12ihipStream_tbPNSt15iterator_traitsISJ_E10value_typeEPNSP_ISK_E10value_typeEPSL_NS1_7vsmem_tEENKUlT_SJ_SK_SL_E_clISE_PtSF_SF_EESI_SY_SJ_SK_SL_EUlSY_E1_NS1_11comp_targetILNS1_3genE3ELNS1_11target_archE908ELNS1_3gpuE7ELNS1_3repE0EEENS1_36merge_oddeven_config_static_selectorELNS0_4arch9wavefront6targetE0EEEvSK_,comdat
	.protected	_ZN7rocprim17ROCPRIM_400000_NS6detail17trampoline_kernelINS0_14default_configENS1_38merge_sort_block_merge_config_selectorItNS0_10empty_typeEEEZZNS1_27merge_sort_block_merge_implIS3_N6thrust23THRUST_200600_302600_NS6detail15normal_iteratorINS9_10device_ptrItEEEEPS5_m11less_div_10ItEEE10hipError_tT0_T1_T2_jT3_P12ihipStream_tbPNSt15iterator_traitsISJ_E10value_typeEPNSP_ISK_E10value_typeEPSL_NS1_7vsmem_tEENKUlT_SJ_SK_SL_E_clISE_PtSF_SF_EESI_SY_SJ_SK_SL_EUlSY_E1_NS1_11comp_targetILNS1_3genE3ELNS1_11target_archE908ELNS1_3gpuE7ELNS1_3repE0EEENS1_36merge_oddeven_config_static_selectorELNS0_4arch9wavefront6targetE0EEEvSK_ ; -- Begin function _ZN7rocprim17ROCPRIM_400000_NS6detail17trampoline_kernelINS0_14default_configENS1_38merge_sort_block_merge_config_selectorItNS0_10empty_typeEEEZZNS1_27merge_sort_block_merge_implIS3_N6thrust23THRUST_200600_302600_NS6detail15normal_iteratorINS9_10device_ptrItEEEEPS5_m11less_div_10ItEEE10hipError_tT0_T1_T2_jT3_P12ihipStream_tbPNSt15iterator_traitsISJ_E10value_typeEPNSP_ISK_E10value_typeEPSL_NS1_7vsmem_tEENKUlT_SJ_SK_SL_E_clISE_PtSF_SF_EESI_SY_SJ_SK_SL_EUlSY_E1_NS1_11comp_targetILNS1_3genE3ELNS1_11target_archE908ELNS1_3gpuE7ELNS1_3repE0EEENS1_36merge_oddeven_config_static_selectorELNS0_4arch9wavefront6targetE0EEEvSK_
	.globl	_ZN7rocprim17ROCPRIM_400000_NS6detail17trampoline_kernelINS0_14default_configENS1_38merge_sort_block_merge_config_selectorItNS0_10empty_typeEEEZZNS1_27merge_sort_block_merge_implIS3_N6thrust23THRUST_200600_302600_NS6detail15normal_iteratorINS9_10device_ptrItEEEEPS5_m11less_div_10ItEEE10hipError_tT0_T1_T2_jT3_P12ihipStream_tbPNSt15iterator_traitsISJ_E10value_typeEPNSP_ISK_E10value_typeEPSL_NS1_7vsmem_tEENKUlT_SJ_SK_SL_E_clISE_PtSF_SF_EESI_SY_SJ_SK_SL_EUlSY_E1_NS1_11comp_targetILNS1_3genE3ELNS1_11target_archE908ELNS1_3gpuE7ELNS1_3repE0EEENS1_36merge_oddeven_config_static_selectorELNS0_4arch9wavefront6targetE0EEEvSK_
	.p2align	8
	.type	_ZN7rocprim17ROCPRIM_400000_NS6detail17trampoline_kernelINS0_14default_configENS1_38merge_sort_block_merge_config_selectorItNS0_10empty_typeEEEZZNS1_27merge_sort_block_merge_implIS3_N6thrust23THRUST_200600_302600_NS6detail15normal_iteratorINS9_10device_ptrItEEEEPS5_m11less_div_10ItEEE10hipError_tT0_T1_T2_jT3_P12ihipStream_tbPNSt15iterator_traitsISJ_E10value_typeEPNSP_ISK_E10value_typeEPSL_NS1_7vsmem_tEENKUlT_SJ_SK_SL_E_clISE_PtSF_SF_EESI_SY_SJ_SK_SL_EUlSY_E1_NS1_11comp_targetILNS1_3genE3ELNS1_11target_archE908ELNS1_3gpuE7ELNS1_3repE0EEENS1_36merge_oddeven_config_static_selectorELNS0_4arch9wavefront6targetE0EEEvSK_,@function
_ZN7rocprim17ROCPRIM_400000_NS6detail17trampoline_kernelINS0_14default_configENS1_38merge_sort_block_merge_config_selectorItNS0_10empty_typeEEEZZNS1_27merge_sort_block_merge_implIS3_N6thrust23THRUST_200600_302600_NS6detail15normal_iteratorINS9_10device_ptrItEEEEPS5_m11less_div_10ItEEE10hipError_tT0_T1_T2_jT3_P12ihipStream_tbPNSt15iterator_traitsISJ_E10value_typeEPNSP_ISK_E10value_typeEPSL_NS1_7vsmem_tEENKUlT_SJ_SK_SL_E_clISE_PtSF_SF_EESI_SY_SJ_SK_SL_EUlSY_E1_NS1_11comp_targetILNS1_3genE3ELNS1_11target_archE908ELNS1_3gpuE7ELNS1_3repE0EEENS1_36merge_oddeven_config_static_selectorELNS0_4arch9wavefront6targetE0EEEvSK_: ; @_ZN7rocprim17ROCPRIM_400000_NS6detail17trampoline_kernelINS0_14default_configENS1_38merge_sort_block_merge_config_selectorItNS0_10empty_typeEEEZZNS1_27merge_sort_block_merge_implIS3_N6thrust23THRUST_200600_302600_NS6detail15normal_iteratorINS9_10device_ptrItEEEEPS5_m11less_div_10ItEEE10hipError_tT0_T1_T2_jT3_P12ihipStream_tbPNSt15iterator_traitsISJ_E10value_typeEPNSP_ISK_E10value_typeEPSL_NS1_7vsmem_tEENKUlT_SJ_SK_SL_E_clISE_PtSF_SF_EESI_SY_SJ_SK_SL_EUlSY_E1_NS1_11comp_targetILNS1_3genE3ELNS1_11target_archE908ELNS1_3gpuE7ELNS1_3repE0EEENS1_36merge_oddeven_config_static_selectorELNS0_4arch9wavefront6targetE0EEEvSK_
; %bb.0:
	.section	.rodata,"a",@progbits
	.p2align	6, 0x0
	.amdhsa_kernel _ZN7rocprim17ROCPRIM_400000_NS6detail17trampoline_kernelINS0_14default_configENS1_38merge_sort_block_merge_config_selectorItNS0_10empty_typeEEEZZNS1_27merge_sort_block_merge_implIS3_N6thrust23THRUST_200600_302600_NS6detail15normal_iteratorINS9_10device_ptrItEEEEPS5_m11less_div_10ItEEE10hipError_tT0_T1_T2_jT3_P12ihipStream_tbPNSt15iterator_traitsISJ_E10value_typeEPNSP_ISK_E10value_typeEPSL_NS1_7vsmem_tEENKUlT_SJ_SK_SL_E_clISE_PtSF_SF_EESI_SY_SJ_SK_SL_EUlSY_E1_NS1_11comp_targetILNS1_3genE3ELNS1_11target_archE908ELNS1_3gpuE7ELNS1_3repE0EEENS1_36merge_oddeven_config_static_selectorELNS0_4arch9wavefront6targetE0EEEvSK_
		.amdhsa_group_segment_fixed_size 0
		.amdhsa_private_segment_fixed_size 0
		.amdhsa_kernarg_size 56
		.amdhsa_user_sgpr_count 6
		.amdhsa_user_sgpr_private_segment_buffer 1
		.amdhsa_user_sgpr_dispatch_ptr 0
		.amdhsa_user_sgpr_queue_ptr 0
		.amdhsa_user_sgpr_kernarg_segment_ptr 1
		.amdhsa_user_sgpr_dispatch_id 0
		.amdhsa_user_sgpr_flat_scratch_init 0
		.amdhsa_user_sgpr_private_segment_size 0
		.amdhsa_wavefront_size32 1
		.amdhsa_uses_dynamic_stack 0
		.amdhsa_system_sgpr_private_segment_wavefront_offset 0
		.amdhsa_system_sgpr_workgroup_id_x 1
		.amdhsa_system_sgpr_workgroup_id_y 0
		.amdhsa_system_sgpr_workgroup_id_z 0
		.amdhsa_system_sgpr_workgroup_info 0
		.amdhsa_system_vgpr_workitem_id 0
		.amdhsa_next_free_vgpr 1
		.amdhsa_next_free_sgpr 1
		.amdhsa_reserve_vcc 0
		.amdhsa_reserve_flat_scratch 0
		.amdhsa_float_round_mode_32 0
		.amdhsa_float_round_mode_16_64 0
		.amdhsa_float_denorm_mode_32 3
		.amdhsa_float_denorm_mode_16_64 3
		.amdhsa_dx10_clamp 1
		.amdhsa_ieee_mode 1
		.amdhsa_fp16_overflow 0
		.amdhsa_workgroup_processor_mode 1
		.amdhsa_memory_ordered 1
		.amdhsa_forward_progress 1
		.amdhsa_shared_vgpr_count 0
		.amdhsa_exception_fp_ieee_invalid_op 0
		.amdhsa_exception_fp_denorm_src 0
		.amdhsa_exception_fp_ieee_div_zero 0
		.amdhsa_exception_fp_ieee_overflow 0
		.amdhsa_exception_fp_ieee_underflow 0
		.amdhsa_exception_fp_ieee_inexact 0
		.amdhsa_exception_int_div_zero 0
	.end_amdhsa_kernel
	.section	.text._ZN7rocprim17ROCPRIM_400000_NS6detail17trampoline_kernelINS0_14default_configENS1_38merge_sort_block_merge_config_selectorItNS0_10empty_typeEEEZZNS1_27merge_sort_block_merge_implIS3_N6thrust23THRUST_200600_302600_NS6detail15normal_iteratorINS9_10device_ptrItEEEEPS5_m11less_div_10ItEEE10hipError_tT0_T1_T2_jT3_P12ihipStream_tbPNSt15iterator_traitsISJ_E10value_typeEPNSP_ISK_E10value_typeEPSL_NS1_7vsmem_tEENKUlT_SJ_SK_SL_E_clISE_PtSF_SF_EESI_SY_SJ_SK_SL_EUlSY_E1_NS1_11comp_targetILNS1_3genE3ELNS1_11target_archE908ELNS1_3gpuE7ELNS1_3repE0EEENS1_36merge_oddeven_config_static_selectorELNS0_4arch9wavefront6targetE0EEEvSK_,"axG",@progbits,_ZN7rocprim17ROCPRIM_400000_NS6detail17trampoline_kernelINS0_14default_configENS1_38merge_sort_block_merge_config_selectorItNS0_10empty_typeEEEZZNS1_27merge_sort_block_merge_implIS3_N6thrust23THRUST_200600_302600_NS6detail15normal_iteratorINS9_10device_ptrItEEEEPS5_m11less_div_10ItEEE10hipError_tT0_T1_T2_jT3_P12ihipStream_tbPNSt15iterator_traitsISJ_E10value_typeEPNSP_ISK_E10value_typeEPSL_NS1_7vsmem_tEENKUlT_SJ_SK_SL_E_clISE_PtSF_SF_EESI_SY_SJ_SK_SL_EUlSY_E1_NS1_11comp_targetILNS1_3genE3ELNS1_11target_archE908ELNS1_3gpuE7ELNS1_3repE0EEENS1_36merge_oddeven_config_static_selectorELNS0_4arch9wavefront6targetE0EEEvSK_,comdat
.Lfunc_end286:
	.size	_ZN7rocprim17ROCPRIM_400000_NS6detail17trampoline_kernelINS0_14default_configENS1_38merge_sort_block_merge_config_selectorItNS0_10empty_typeEEEZZNS1_27merge_sort_block_merge_implIS3_N6thrust23THRUST_200600_302600_NS6detail15normal_iteratorINS9_10device_ptrItEEEEPS5_m11less_div_10ItEEE10hipError_tT0_T1_T2_jT3_P12ihipStream_tbPNSt15iterator_traitsISJ_E10value_typeEPNSP_ISK_E10value_typeEPSL_NS1_7vsmem_tEENKUlT_SJ_SK_SL_E_clISE_PtSF_SF_EESI_SY_SJ_SK_SL_EUlSY_E1_NS1_11comp_targetILNS1_3genE3ELNS1_11target_archE908ELNS1_3gpuE7ELNS1_3repE0EEENS1_36merge_oddeven_config_static_selectorELNS0_4arch9wavefront6targetE0EEEvSK_, .Lfunc_end286-_ZN7rocprim17ROCPRIM_400000_NS6detail17trampoline_kernelINS0_14default_configENS1_38merge_sort_block_merge_config_selectorItNS0_10empty_typeEEEZZNS1_27merge_sort_block_merge_implIS3_N6thrust23THRUST_200600_302600_NS6detail15normal_iteratorINS9_10device_ptrItEEEEPS5_m11less_div_10ItEEE10hipError_tT0_T1_T2_jT3_P12ihipStream_tbPNSt15iterator_traitsISJ_E10value_typeEPNSP_ISK_E10value_typeEPSL_NS1_7vsmem_tEENKUlT_SJ_SK_SL_E_clISE_PtSF_SF_EESI_SY_SJ_SK_SL_EUlSY_E1_NS1_11comp_targetILNS1_3genE3ELNS1_11target_archE908ELNS1_3gpuE7ELNS1_3repE0EEENS1_36merge_oddeven_config_static_selectorELNS0_4arch9wavefront6targetE0EEEvSK_
                                        ; -- End function
	.set _ZN7rocprim17ROCPRIM_400000_NS6detail17trampoline_kernelINS0_14default_configENS1_38merge_sort_block_merge_config_selectorItNS0_10empty_typeEEEZZNS1_27merge_sort_block_merge_implIS3_N6thrust23THRUST_200600_302600_NS6detail15normal_iteratorINS9_10device_ptrItEEEEPS5_m11less_div_10ItEEE10hipError_tT0_T1_T2_jT3_P12ihipStream_tbPNSt15iterator_traitsISJ_E10value_typeEPNSP_ISK_E10value_typeEPSL_NS1_7vsmem_tEENKUlT_SJ_SK_SL_E_clISE_PtSF_SF_EESI_SY_SJ_SK_SL_EUlSY_E1_NS1_11comp_targetILNS1_3genE3ELNS1_11target_archE908ELNS1_3gpuE7ELNS1_3repE0EEENS1_36merge_oddeven_config_static_selectorELNS0_4arch9wavefront6targetE0EEEvSK_.num_vgpr, 0
	.set _ZN7rocprim17ROCPRIM_400000_NS6detail17trampoline_kernelINS0_14default_configENS1_38merge_sort_block_merge_config_selectorItNS0_10empty_typeEEEZZNS1_27merge_sort_block_merge_implIS3_N6thrust23THRUST_200600_302600_NS6detail15normal_iteratorINS9_10device_ptrItEEEEPS5_m11less_div_10ItEEE10hipError_tT0_T1_T2_jT3_P12ihipStream_tbPNSt15iterator_traitsISJ_E10value_typeEPNSP_ISK_E10value_typeEPSL_NS1_7vsmem_tEENKUlT_SJ_SK_SL_E_clISE_PtSF_SF_EESI_SY_SJ_SK_SL_EUlSY_E1_NS1_11comp_targetILNS1_3genE3ELNS1_11target_archE908ELNS1_3gpuE7ELNS1_3repE0EEENS1_36merge_oddeven_config_static_selectorELNS0_4arch9wavefront6targetE0EEEvSK_.num_agpr, 0
	.set _ZN7rocprim17ROCPRIM_400000_NS6detail17trampoline_kernelINS0_14default_configENS1_38merge_sort_block_merge_config_selectorItNS0_10empty_typeEEEZZNS1_27merge_sort_block_merge_implIS3_N6thrust23THRUST_200600_302600_NS6detail15normal_iteratorINS9_10device_ptrItEEEEPS5_m11less_div_10ItEEE10hipError_tT0_T1_T2_jT3_P12ihipStream_tbPNSt15iterator_traitsISJ_E10value_typeEPNSP_ISK_E10value_typeEPSL_NS1_7vsmem_tEENKUlT_SJ_SK_SL_E_clISE_PtSF_SF_EESI_SY_SJ_SK_SL_EUlSY_E1_NS1_11comp_targetILNS1_3genE3ELNS1_11target_archE908ELNS1_3gpuE7ELNS1_3repE0EEENS1_36merge_oddeven_config_static_selectorELNS0_4arch9wavefront6targetE0EEEvSK_.numbered_sgpr, 0
	.set _ZN7rocprim17ROCPRIM_400000_NS6detail17trampoline_kernelINS0_14default_configENS1_38merge_sort_block_merge_config_selectorItNS0_10empty_typeEEEZZNS1_27merge_sort_block_merge_implIS3_N6thrust23THRUST_200600_302600_NS6detail15normal_iteratorINS9_10device_ptrItEEEEPS5_m11less_div_10ItEEE10hipError_tT0_T1_T2_jT3_P12ihipStream_tbPNSt15iterator_traitsISJ_E10value_typeEPNSP_ISK_E10value_typeEPSL_NS1_7vsmem_tEENKUlT_SJ_SK_SL_E_clISE_PtSF_SF_EESI_SY_SJ_SK_SL_EUlSY_E1_NS1_11comp_targetILNS1_3genE3ELNS1_11target_archE908ELNS1_3gpuE7ELNS1_3repE0EEENS1_36merge_oddeven_config_static_selectorELNS0_4arch9wavefront6targetE0EEEvSK_.num_named_barrier, 0
	.set _ZN7rocprim17ROCPRIM_400000_NS6detail17trampoline_kernelINS0_14default_configENS1_38merge_sort_block_merge_config_selectorItNS0_10empty_typeEEEZZNS1_27merge_sort_block_merge_implIS3_N6thrust23THRUST_200600_302600_NS6detail15normal_iteratorINS9_10device_ptrItEEEEPS5_m11less_div_10ItEEE10hipError_tT0_T1_T2_jT3_P12ihipStream_tbPNSt15iterator_traitsISJ_E10value_typeEPNSP_ISK_E10value_typeEPSL_NS1_7vsmem_tEENKUlT_SJ_SK_SL_E_clISE_PtSF_SF_EESI_SY_SJ_SK_SL_EUlSY_E1_NS1_11comp_targetILNS1_3genE3ELNS1_11target_archE908ELNS1_3gpuE7ELNS1_3repE0EEENS1_36merge_oddeven_config_static_selectorELNS0_4arch9wavefront6targetE0EEEvSK_.private_seg_size, 0
	.set _ZN7rocprim17ROCPRIM_400000_NS6detail17trampoline_kernelINS0_14default_configENS1_38merge_sort_block_merge_config_selectorItNS0_10empty_typeEEEZZNS1_27merge_sort_block_merge_implIS3_N6thrust23THRUST_200600_302600_NS6detail15normal_iteratorINS9_10device_ptrItEEEEPS5_m11less_div_10ItEEE10hipError_tT0_T1_T2_jT3_P12ihipStream_tbPNSt15iterator_traitsISJ_E10value_typeEPNSP_ISK_E10value_typeEPSL_NS1_7vsmem_tEENKUlT_SJ_SK_SL_E_clISE_PtSF_SF_EESI_SY_SJ_SK_SL_EUlSY_E1_NS1_11comp_targetILNS1_3genE3ELNS1_11target_archE908ELNS1_3gpuE7ELNS1_3repE0EEENS1_36merge_oddeven_config_static_selectorELNS0_4arch9wavefront6targetE0EEEvSK_.uses_vcc, 0
	.set _ZN7rocprim17ROCPRIM_400000_NS6detail17trampoline_kernelINS0_14default_configENS1_38merge_sort_block_merge_config_selectorItNS0_10empty_typeEEEZZNS1_27merge_sort_block_merge_implIS3_N6thrust23THRUST_200600_302600_NS6detail15normal_iteratorINS9_10device_ptrItEEEEPS5_m11less_div_10ItEEE10hipError_tT0_T1_T2_jT3_P12ihipStream_tbPNSt15iterator_traitsISJ_E10value_typeEPNSP_ISK_E10value_typeEPSL_NS1_7vsmem_tEENKUlT_SJ_SK_SL_E_clISE_PtSF_SF_EESI_SY_SJ_SK_SL_EUlSY_E1_NS1_11comp_targetILNS1_3genE3ELNS1_11target_archE908ELNS1_3gpuE7ELNS1_3repE0EEENS1_36merge_oddeven_config_static_selectorELNS0_4arch9wavefront6targetE0EEEvSK_.uses_flat_scratch, 0
	.set _ZN7rocprim17ROCPRIM_400000_NS6detail17trampoline_kernelINS0_14default_configENS1_38merge_sort_block_merge_config_selectorItNS0_10empty_typeEEEZZNS1_27merge_sort_block_merge_implIS3_N6thrust23THRUST_200600_302600_NS6detail15normal_iteratorINS9_10device_ptrItEEEEPS5_m11less_div_10ItEEE10hipError_tT0_T1_T2_jT3_P12ihipStream_tbPNSt15iterator_traitsISJ_E10value_typeEPNSP_ISK_E10value_typeEPSL_NS1_7vsmem_tEENKUlT_SJ_SK_SL_E_clISE_PtSF_SF_EESI_SY_SJ_SK_SL_EUlSY_E1_NS1_11comp_targetILNS1_3genE3ELNS1_11target_archE908ELNS1_3gpuE7ELNS1_3repE0EEENS1_36merge_oddeven_config_static_selectorELNS0_4arch9wavefront6targetE0EEEvSK_.has_dyn_sized_stack, 0
	.set _ZN7rocprim17ROCPRIM_400000_NS6detail17trampoline_kernelINS0_14default_configENS1_38merge_sort_block_merge_config_selectorItNS0_10empty_typeEEEZZNS1_27merge_sort_block_merge_implIS3_N6thrust23THRUST_200600_302600_NS6detail15normal_iteratorINS9_10device_ptrItEEEEPS5_m11less_div_10ItEEE10hipError_tT0_T1_T2_jT3_P12ihipStream_tbPNSt15iterator_traitsISJ_E10value_typeEPNSP_ISK_E10value_typeEPSL_NS1_7vsmem_tEENKUlT_SJ_SK_SL_E_clISE_PtSF_SF_EESI_SY_SJ_SK_SL_EUlSY_E1_NS1_11comp_targetILNS1_3genE3ELNS1_11target_archE908ELNS1_3gpuE7ELNS1_3repE0EEENS1_36merge_oddeven_config_static_selectorELNS0_4arch9wavefront6targetE0EEEvSK_.has_recursion, 0
	.set _ZN7rocprim17ROCPRIM_400000_NS6detail17trampoline_kernelINS0_14default_configENS1_38merge_sort_block_merge_config_selectorItNS0_10empty_typeEEEZZNS1_27merge_sort_block_merge_implIS3_N6thrust23THRUST_200600_302600_NS6detail15normal_iteratorINS9_10device_ptrItEEEEPS5_m11less_div_10ItEEE10hipError_tT0_T1_T2_jT3_P12ihipStream_tbPNSt15iterator_traitsISJ_E10value_typeEPNSP_ISK_E10value_typeEPSL_NS1_7vsmem_tEENKUlT_SJ_SK_SL_E_clISE_PtSF_SF_EESI_SY_SJ_SK_SL_EUlSY_E1_NS1_11comp_targetILNS1_3genE3ELNS1_11target_archE908ELNS1_3gpuE7ELNS1_3repE0EEENS1_36merge_oddeven_config_static_selectorELNS0_4arch9wavefront6targetE0EEEvSK_.has_indirect_call, 0
	.section	.AMDGPU.csdata,"",@progbits
; Kernel info:
; codeLenInByte = 0
; TotalNumSgprs: 0
; NumVgprs: 0
; ScratchSize: 0
; MemoryBound: 0
; FloatMode: 240
; IeeeMode: 1
; LDSByteSize: 0 bytes/workgroup (compile time only)
; SGPRBlocks: 0
; VGPRBlocks: 0
; NumSGPRsForWavesPerEU: 1
; NumVGPRsForWavesPerEU: 1
; Occupancy: 16
; WaveLimiterHint : 0
; COMPUTE_PGM_RSRC2:SCRATCH_EN: 0
; COMPUTE_PGM_RSRC2:USER_SGPR: 6
; COMPUTE_PGM_RSRC2:TRAP_HANDLER: 0
; COMPUTE_PGM_RSRC2:TGID_X_EN: 1
; COMPUTE_PGM_RSRC2:TGID_Y_EN: 0
; COMPUTE_PGM_RSRC2:TGID_Z_EN: 0
; COMPUTE_PGM_RSRC2:TIDIG_COMP_CNT: 0
	.section	.text._ZN7rocprim17ROCPRIM_400000_NS6detail17trampoline_kernelINS0_14default_configENS1_38merge_sort_block_merge_config_selectorItNS0_10empty_typeEEEZZNS1_27merge_sort_block_merge_implIS3_N6thrust23THRUST_200600_302600_NS6detail15normal_iteratorINS9_10device_ptrItEEEEPS5_m11less_div_10ItEEE10hipError_tT0_T1_T2_jT3_P12ihipStream_tbPNSt15iterator_traitsISJ_E10value_typeEPNSP_ISK_E10value_typeEPSL_NS1_7vsmem_tEENKUlT_SJ_SK_SL_E_clISE_PtSF_SF_EESI_SY_SJ_SK_SL_EUlSY_E1_NS1_11comp_targetILNS1_3genE2ELNS1_11target_archE906ELNS1_3gpuE6ELNS1_3repE0EEENS1_36merge_oddeven_config_static_selectorELNS0_4arch9wavefront6targetE0EEEvSK_,"axG",@progbits,_ZN7rocprim17ROCPRIM_400000_NS6detail17trampoline_kernelINS0_14default_configENS1_38merge_sort_block_merge_config_selectorItNS0_10empty_typeEEEZZNS1_27merge_sort_block_merge_implIS3_N6thrust23THRUST_200600_302600_NS6detail15normal_iteratorINS9_10device_ptrItEEEEPS5_m11less_div_10ItEEE10hipError_tT0_T1_T2_jT3_P12ihipStream_tbPNSt15iterator_traitsISJ_E10value_typeEPNSP_ISK_E10value_typeEPSL_NS1_7vsmem_tEENKUlT_SJ_SK_SL_E_clISE_PtSF_SF_EESI_SY_SJ_SK_SL_EUlSY_E1_NS1_11comp_targetILNS1_3genE2ELNS1_11target_archE906ELNS1_3gpuE6ELNS1_3repE0EEENS1_36merge_oddeven_config_static_selectorELNS0_4arch9wavefront6targetE0EEEvSK_,comdat
	.protected	_ZN7rocprim17ROCPRIM_400000_NS6detail17trampoline_kernelINS0_14default_configENS1_38merge_sort_block_merge_config_selectorItNS0_10empty_typeEEEZZNS1_27merge_sort_block_merge_implIS3_N6thrust23THRUST_200600_302600_NS6detail15normal_iteratorINS9_10device_ptrItEEEEPS5_m11less_div_10ItEEE10hipError_tT0_T1_T2_jT3_P12ihipStream_tbPNSt15iterator_traitsISJ_E10value_typeEPNSP_ISK_E10value_typeEPSL_NS1_7vsmem_tEENKUlT_SJ_SK_SL_E_clISE_PtSF_SF_EESI_SY_SJ_SK_SL_EUlSY_E1_NS1_11comp_targetILNS1_3genE2ELNS1_11target_archE906ELNS1_3gpuE6ELNS1_3repE0EEENS1_36merge_oddeven_config_static_selectorELNS0_4arch9wavefront6targetE0EEEvSK_ ; -- Begin function _ZN7rocprim17ROCPRIM_400000_NS6detail17trampoline_kernelINS0_14default_configENS1_38merge_sort_block_merge_config_selectorItNS0_10empty_typeEEEZZNS1_27merge_sort_block_merge_implIS3_N6thrust23THRUST_200600_302600_NS6detail15normal_iteratorINS9_10device_ptrItEEEEPS5_m11less_div_10ItEEE10hipError_tT0_T1_T2_jT3_P12ihipStream_tbPNSt15iterator_traitsISJ_E10value_typeEPNSP_ISK_E10value_typeEPSL_NS1_7vsmem_tEENKUlT_SJ_SK_SL_E_clISE_PtSF_SF_EESI_SY_SJ_SK_SL_EUlSY_E1_NS1_11comp_targetILNS1_3genE2ELNS1_11target_archE906ELNS1_3gpuE6ELNS1_3repE0EEENS1_36merge_oddeven_config_static_selectorELNS0_4arch9wavefront6targetE0EEEvSK_
	.globl	_ZN7rocprim17ROCPRIM_400000_NS6detail17trampoline_kernelINS0_14default_configENS1_38merge_sort_block_merge_config_selectorItNS0_10empty_typeEEEZZNS1_27merge_sort_block_merge_implIS3_N6thrust23THRUST_200600_302600_NS6detail15normal_iteratorINS9_10device_ptrItEEEEPS5_m11less_div_10ItEEE10hipError_tT0_T1_T2_jT3_P12ihipStream_tbPNSt15iterator_traitsISJ_E10value_typeEPNSP_ISK_E10value_typeEPSL_NS1_7vsmem_tEENKUlT_SJ_SK_SL_E_clISE_PtSF_SF_EESI_SY_SJ_SK_SL_EUlSY_E1_NS1_11comp_targetILNS1_3genE2ELNS1_11target_archE906ELNS1_3gpuE6ELNS1_3repE0EEENS1_36merge_oddeven_config_static_selectorELNS0_4arch9wavefront6targetE0EEEvSK_
	.p2align	8
	.type	_ZN7rocprim17ROCPRIM_400000_NS6detail17trampoline_kernelINS0_14default_configENS1_38merge_sort_block_merge_config_selectorItNS0_10empty_typeEEEZZNS1_27merge_sort_block_merge_implIS3_N6thrust23THRUST_200600_302600_NS6detail15normal_iteratorINS9_10device_ptrItEEEEPS5_m11less_div_10ItEEE10hipError_tT0_T1_T2_jT3_P12ihipStream_tbPNSt15iterator_traitsISJ_E10value_typeEPNSP_ISK_E10value_typeEPSL_NS1_7vsmem_tEENKUlT_SJ_SK_SL_E_clISE_PtSF_SF_EESI_SY_SJ_SK_SL_EUlSY_E1_NS1_11comp_targetILNS1_3genE2ELNS1_11target_archE906ELNS1_3gpuE6ELNS1_3repE0EEENS1_36merge_oddeven_config_static_selectorELNS0_4arch9wavefront6targetE0EEEvSK_,@function
_ZN7rocprim17ROCPRIM_400000_NS6detail17trampoline_kernelINS0_14default_configENS1_38merge_sort_block_merge_config_selectorItNS0_10empty_typeEEEZZNS1_27merge_sort_block_merge_implIS3_N6thrust23THRUST_200600_302600_NS6detail15normal_iteratorINS9_10device_ptrItEEEEPS5_m11less_div_10ItEEE10hipError_tT0_T1_T2_jT3_P12ihipStream_tbPNSt15iterator_traitsISJ_E10value_typeEPNSP_ISK_E10value_typeEPSL_NS1_7vsmem_tEENKUlT_SJ_SK_SL_E_clISE_PtSF_SF_EESI_SY_SJ_SK_SL_EUlSY_E1_NS1_11comp_targetILNS1_3genE2ELNS1_11target_archE906ELNS1_3gpuE6ELNS1_3repE0EEENS1_36merge_oddeven_config_static_selectorELNS0_4arch9wavefront6targetE0EEEvSK_: ; @_ZN7rocprim17ROCPRIM_400000_NS6detail17trampoline_kernelINS0_14default_configENS1_38merge_sort_block_merge_config_selectorItNS0_10empty_typeEEEZZNS1_27merge_sort_block_merge_implIS3_N6thrust23THRUST_200600_302600_NS6detail15normal_iteratorINS9_10device_ptrItEEEEPS5_m11less_div_10ItEEE10hipError_tT0_T1_T2_jT3_P12ihipStream_tbPNSt15iterator_traitsISJ_E10value_typeEPNSP_ISK_E10value_typeEPSL_NS1_7vsmem_tEENKUlT_SJ_SK_SL_E_clISE_PtSF_SF_EESI_SY_SJ_SK_SL_EUlSY_E1_NS1_11comp_targetILNS1_3genE2ELNS1_11target_archE906ELNS1_3gpuE6ELNS1_3repE0EEENS1_36merge_oddeven_config_static_selectorELNS0_4arch9wavefront6targetE0EEEvSK_
; %bb.0:
	.section	.rodata,"a",@progbits
	.p2align	6, 0x0
	.amdhsa_kernel _ZN7rocprim17ROCPRIM_400000_NS6detail17trampoline_kernelINS0_14default_configENS1_38merge_sort_block_merge_config_selectorItNS0_10empty_typeEEEZZNS1_27merge_sort_block_merge_implIS3_N6thrust23THRUST_200600_302600_NS6detail15normal_iteratorINS9_10device_ptrItEEEEPS5_m11less_div_10ItEEE10hipError_tT0_T1_T2_jT3_P12ihipStream_tbPNSt15iterator_traitsISJ_E10value_typeEPNSP_ISK_E10value_typeEPSL_NS1_7vsmem_tEENKUlT_SJ_SK_SL_E_clISE_PtSF_SF_EESI_SY_SJ_SK_SL_EUlSY_E1_NS1_11comp_targetILNS1_3genE2ELNS1_11target_archE906ELNS1_3gpuE6ELNS1_3repE0EEENS1_36merge_oddeven_config_static_selectorELNS0_4arch9wavefront6targetE0EEEvSK_
		.amdhsa_group_segment_fixed_size 0
		.amdhsa_private_segment_fixed_size 0
		.amdhsa_kernarg_size 56
		.amdhsa_user_sgpr_count 6
		.amdhsa_user_sgpr_private_segment_buffer 1
		.amdhsa_user_sgpr_dispatch_ptr 0
		.amdhsa_user_sgpr_queue_ptr 0
		.amdhsa_user_sgpr_kernarg_segment_ptr 1
		.amdhsa_user_sgpr_dispatch_id 0
		.amdhsa_user_sgpr_flat_scratch_init 0
		.amdhsa_user_sgpr_private_segment_size 0
		.amdhsa_wavefront_size32 1
		.amdhsa_uses_dynamic_stack 0
		.amdhsa_system_sgpr_private_segment_wavefront_offset 0
		.amdhsa_system_sgpr_workgroup_id_x 1
		.amdhsa_system_sgpr_workgroup_id_y 0
		.amdhsa_system_sgpr_workgroup_id_z 0
		.amdhsa_system_sgpr_workgroup_info 0
		.amdhsa_system_vgpr_workitem_id 0
		.amdhsa_next_free_vgpr 1
		.amdhsa_next_free_sgpr 1
		.amdhsa_reserve_vcc 0
		.amdhsa_reserve_flat_scratch 0
		.amdhsa_float_round_mode_32 0
		.amdhsa_float_round_mode_16_64 0
		.amdhsa_float_denorm_mode_32 3
		.amdhsa_float_denorm_mode_16_64 3
		.amdhsa_dx10_clamp 1
		.amdhsa_ieee_mode 1
		.amdhsa_fp16_overflow 0
		.amdhsa_workgroup_processor_mode 1
		.amdhsa_memory_ordered 1
		.amdhsa_forward_progress 1
		.amdhsa_shared_vgpr_count 0
		.amdhsa_exception_fp_ieee_invalid_op 0
		.amdhsa_exception_fp_denorm_src 0
		.amdhsa_exception_fp_ieee_div_zero 0
		.amdhsa_exception_fp_ieee_overflow 0
		.amdhsa_exception_fp_ieee_underflow 0
		.amdhsa_exception_fp_ieee_inexact 0
		.amdhsa_exception_int_div_zero 0
	.end_amdhsa_kernel
	.section	.text._ZN7rocprim17ROCPRIM_400000_NS6detail17trampoline_kernelINS0_14default_configENS1_38merge_sort_block_merge_config_selectorItNS0_10empty_typeEEEZZNS1_27merge_sort_block_merge_implIS3_N6thrust23THRUST_200600_302600_NS6detail15normal_iteratorINS9_10device_ptrItEEEEPS5_m11less_div_10ItEEE10hipError_tT0_T1_T2_jT3_P12ihipStream_tbPNSt15iterator_traitsISJ_E10value_typeEPNSP_ISK_E10value_typeEPSL_NS1_7vsmem_tEENKUlT_SJ_SK_SL_E_clISE_PtSF_SF_EESI_SY_SJ_SK_SL_EUlSY_E1_NS1_11comp_targetILNS1_3genE2ELNS1_11target_archE906ELNS1_3gpuE6ELNS1_3repE0EEENS1_36merge_oddeven_config_static_selectorELNS0_4arch9wavefront6targetE0EEEvSK_,"axG",@progbits,_ZN7rocprim17ROCPRIM_400000_NS6detail17trampoline_kernelINS0_14default_configENS1_38merge_sort_block_merge_config_selectorItNS0_10empty_typeEEEZZNS1_27merge_sort_block_merge_implIS3_N6thrust23THRUST_200600_302600_NS6detail15normal_iteratorINS9_10device_ptrItEEEEPS5_m11less_div_10ItEEE10hipError_tT0_T1_T2_jT3_P12ihipStream_tbPNSt15iterator_traitsISJ_E10value_typeEPNSP_ISK_E10value_typeEPSL_NS1_7vsmem_tEENKUlT_SJ_SK_SL_E_clISE_PtSF_SF_EESI_SY_SJ_SK_SL_EUlSY_E1_NS1_11comp_targetILNS1_3genE2ELNS1_11target_archE906ELNS1_3gpuE6ELNS1_3repE0EEENS1_36merge_oddeven_config_static_selectorELNS0_4arch9wavefront6targetE0EEEvSK_,comdat
.Lfunc_end287:
	.size	_ZN7rocprim17ROCPRIM_400000_NS6detail17trampoline_kernelINS0_14default_configENS1_38merge_sort_block_merge_config_selectorItNS0_10empty_typeEEEZZNS1_27merge_sort_block_merge_implIS3_N6thrust23THRUST_200600_302600_NS6detail15normal_iteratorINS9_10device_ptrItEEEEPS5_m11less_div_10ItEEE10hipError_tT0_T1_T2_jT3_P12ihipStream_tbPNSt15iterator_traitsISJ_E10value_typeEPNSP_ISK_E10value_typeEPSL_NS1_7vsmem_tEENKUlT_SJ_SK_SL_E_clISE_PtSF_SF_EESI_SY_SJ_SK_SL_EUlSY_E1_NS1_11comp_targetILNS1_3genE2ELNS1_11target_archE906ELNS1_3gpuE6ELNS1_3repE0EEENS1_36merge_oddeven_config_static_selectorELNS0_4arch9wavefront6targetE0EEEvSK_, .Lfunc_end287-_ZN7rocprim17ROCPRIM_400000_NS6detail17trampoline_kernelINS0_14default_configENS1_38merge_sort_block_merge_config_selectorItNS0_10empty_typeEEEZZNS1_27merge_sort_block_merge_implIS3_N6thrust23THRUST_200600_302600_NS6detail15normal_iteratorINS9_10device_ptrItEEEEPS5_m11less_div_10ItEEE10hipError_tT0_T1_T2_jT3_P12ihipStream_tbPNSt15iterator_traitsISJ_E10value_typeEPNSP_ISK_E10value_typeEPSL_NS1_7vsmem_tEENKUlT_SJ_SK_SL_E_clISE_PtSF_SF_EESI_SY_SJ_SK_SL_EUlSY_E1_NS1_11comp_targetILNS1_3genE2ELNS1_11target_archE906ELNS1_3gpuE6ELNS1_3repE0EEENS1_36merge_oddeven_config_static_selectorELNS0_4arch9wavefront6targetE0EEEvSK_
                                        ; -- End function
	.set _ZN7rocprim17ROCPRIM_400000_NS6detail17trampoline_kernelINS0_14default_configENS1_38merge_sort_block_merge_config_selectorItNS0_10empty_typeEEEZZNS1_27merge_sort_block_merge_implIS3_N6thrust23THRUST_200600_302600_NS6detail15normal_iteratorINS9_10device_ptrItEEEEPS5_m11less_div_10ItEEE10hipError_tT0_T1_T2_jT3_P12ihipStream_tbPNSt15iterator_traitsISJ_E10value_typeEPNSP_ISK_E10value_typeEPSL_NS1_7vsmem_tEENKUlT_SJ_SK_SL_E_clISE_PtSF_SF_EESI_SY_SJ_SK_SL_EUlSY_E1_NS1_11comp_targetILNS1_3genE2ELNS1_11target_archE906ELNS1_3gpuE6ELNS1_3repE0EEENS1_36merge_oddeven_config_static_selectorELNS0_4arch9wavefront6targetE0EEEvSK_.num_vgpr, 0
	.set _ZN7rocprim17ROCPRIM_400000_NS6detail17trampoline_kernelINS0_14default_configENS1_38merge_sort_block_merge_config_selectorItNS0_10empty_typeEEEZZNS1_27merge_sort_block_merge_implIS3_N6thrust23THRUST_200600_302600_NS6detail15normal_iteratorINS9_10device_ptrItEEEEPS5_m11less_div_10ItEEE10hipError_tT0_T1_T2_jT3_P12ihipStream_tbPNSt15iterator_traitsISJ_E10value_typeEPNSP_ISK_E10value_typeEPSL_NS1_7vsmem_tEENKUlT_SJ_SK_SL_E_clISE_PtSF_SF_EESI_SY_SJ_SK_SL_EUlSY_E1_NS1_11comp_targetILNS1_3genE2ELNS1_11target_archE906ELNS1_3gpuE6ELNS1_3repE0EEENS1_36merge_oddeven_config_static_selectorELNS0_4arch9wavefront6targetE0EEEvSK_.num_agpr, 0
	.set _ZN7rocprim17ROCPRIM_400000_NS6detail17trampoline_kernelINS0_14default_configENS1_38merge_sort_block_merge_config_selectorItNS0_10empty_typeEEEZZNS1_27merge_sort_block_merge_implIS3_N6thrust23THRUST_200600_302600_NS6detail15normal_iteratorINS9_10device_ptrItEEEEPS5_m11less_div_10ItEEE10hipError_tT0_T1_T2_jT3_P12ihipStream_tbPNSt15iterator_traitsISJ_E10value_typeEPNSP_ISK_E10value_typeEPSL_NS1_7vsmem_tEENKUlT_SJ_SK_SL_E_clISE_PtSF_SF_EESI_SY_SJ_SK_SL_EUlSY_E1_NS1_11comp_targetILNS1_3genE2ELNS1_11target_archE906ELNS1_3gpuE6ELNS1_3repE0EEENS1_36merge_oddeven_config_static_selectorELNS0_4arch9wavefront6targetE0EEEvSK_.numbered_sgpr, 0
	.set _ZN7rocprim17ROCPRIM_400000_NS6detail17trampoline_kernelINS0_14default_configENS1_38merge_sort_block_merge_config_selectorItNS0_10empty_typeEEEZZNS1_27merge_sort_block_merge_implIS3_N6thrust23THRUST_200600_302600_NS6detail15normal_iteratorINS9_10device_ptrItEEEEPS5_m11less_div_10ItEEE10hipError_tT0_T1_T2_jT3_P12ihipStream_tbPNSt15iterator_traitsISJ_E10value_typeEPNSP_ISK_E10value_typeEPSL_NS1_7vsmem_tEENKUlT_SJ_SK_SL_E_clISE_PtSF_SF_EESI_SY_SJ_SK_SL_EUlSY_E1_NS1_11comp_targetILNS1_3genE2ELNS1_11target_archE906ELNS1_3gpuE6ELNS1_3repE0EEENS1_36merge_oddeven_config_static_selectorELNS0_4arch9wavefront6targetE0EEEvSK_.num_named_barrier, 0
	.set _ZN7rocprim17ROCPRIM_400000_NS6detail17trampoline_kernelINS0_14default_configENS1_38merge_sort_block_merge_config_selectorItNS0_10empty_typeEEEZZNS1_27merge_sort_block_merge_implIS3_N6thrust23THRUST_200600_302600_NS6detail15normal_iteratorINS9_10device_ptrItEEEEPS5_m11less_div_10ItEEE10hipError_tT0_T1_T2_jT3_P12ihipStream_tbPNSt15iterator_traitsISJ_E10value_typeEPNSP_ISK_E10value_typeEPSL_NS1_7vsmem_tEENKUlT_SJ_SK_SL_E_clISE_PtSF_SF_EESI_SY_SJ_SK_SL_EUlSY_E1_NS1_11comp_targetILNS1_3genE2ELNS1_11target_archE906ELNS1_3gpuE6ELNS1_3repE0EEENS1_36merge_oddeven_config_static_selectorELNS0_4arch9wavefront6targetE0EEEvSK_.private_seg_size, 0
	.set _ZN7rocprim17ROCPRIM_400000_NS6detail17trampoline_kernelINS0_14default_configENS1_38merge_sort_block_merge_config_selectorItNS0_10empty_typeEEEZZNS1_27merge_sort_block_merge_implIS3_N6thrust23THRUST_200600_302600_NS6detail15normal_iteratorINS9_10device_ptrItEEEEPS5_m11less_div_10ItEEE10hipError_tT0_T1_T2_jT3_P12ihipStream_tbPNSt15iterator_traitsISJ_E10value_typeEPNSP_ISK_E10value_typeEPSL_NS1_7vsmem_tEENKUlT_SJ_SK_SL_E_clISE_PtSF_SF_EESI_SY_SJ_SK_SL_EUlSY_E1_NS1_11comp_targetILNS1_3genE2ELNS1_11target_archE906ELNS1_3gpuE6ELNS1_3repE0EEENS1_36merge_oddeven_config_static_selectorELNS0_4arch9wavefront6targetE0EEEvSK_.uses_vcc, 0
	.set _ZN7rocprim17ROCPRIM_400000_NS6detail17trampoline_kernelINS0_14default_configENS1_38merge_sort_block_merge_config_selectorItNS0_10empty_typeEEEZZNS1_27merge_sort_block_merge_implIS3_N6thrust23THRUST_200600_302600_NS6detail15normal_iteratorINS9_10device_ptrItEEEEPS5_m11less_div_10ItEEE10hipError_tT0_T1_T2_jT3_P12ihipStream_tbPNSt15iterator_traitsISJ_E10value_typeEPNSP_ISK_E10value_typeEPSL_NS1_7vsmem_tEENKUlT_SJ_SK_SL_E_clISE_PtSF_SF_EESI_SY_SJ_SK_SL_EUlSY_E1_NS1_11comp_targetILNS1_3genE2ELNS1_11target_archE906ELNS1_3gpuE6ELNS1_3repE0EEENS1_36merge_oddeven_config_static_selectorELNS0_4arch9wavefront6targetE0EEEvSK_.uses_flat_scratch, 0
	.set _ZN7rocprim17ROCPRIM_400000_NS6detail17trampoline_kernelINS0_14default_configENS1_38merge_sort_block_merge_config_selectorItNS0_10empty_typeEEEZZNS1_27merge_sort_block_merge_implIS3_N6thrust23THRUST_200600_302600_NS6detail15normal_iteratorINS9_10device_ptrItEEEEPS5_m11less_div_10ItEEE10hipError_tT0_T1_T2_jT3_P12ihipStream_tbPNSt15iterator_traitsISJ_E10value_typeEPNSP_ISK_E10value_typeEPSL_NS1_7vsmem_tEENKUlT_SJ_SK_SL_E_clISE_PtSF_SF_EESI_SY_SJ_SK_SL_EUlSY_E1_NS1_11comp_targetILNS1_3genE2ELNS1_11target_archE906ELNS1_3gpuE6ELNS1_3repE0EEENS1_36merge_oddeven_config_static_selectorELNS0_4arch9wavefront6targetE0EEEvSK_.has_dyn_sized_stack, 0
	.set _ZN7rocprim17ROCPRIM_400000_NS6detail17trampoline_kernelINS0_14default_configENS1_38merge_sort_block_merge_config_selectorItNS0_10empty_typeEEEZZNS1_27merge_sort_block_merge_implIS3_N6thrust23THRUST_200600_302600_NS6detail15normal_iteratorINS9_10device_ptrItEEEEPS5_m11less_div_10ItEEE10hipError_tT0_T1_T2_jT3_P12ihipStream_tbPNSt15iterator_traitsISJ_E10value_typeEPNSP_ISK_E10value_typeEPSL_NS1_7vsmem_tEENKUlT_SJ_SK_SL_E_clISE_PtSF_SF_EESI_SY_SJ_SK_SL_EUlSY_E1_NS1_11comp_targetILNS1_3genE2ELNS1_11target_archE906ELNS1_3gpuE6ELNS1_3repE0EEENS1_36merge_oddeven_config_static_selectorELNS0_4arch9wavefront6targetE0EEEvSK_.has_recursion, 0
	.set _ZN7rocprim17ROCPRIM_400000_NS6detail17trampoline_kernelINS0_14default_configENS1_38merge_sort_block_merge_config_selectorItNS0_10empty_typeEEEZZNS1_27merge_sort_block_merge_implIS3_N6thrust23THRUST_200600_302600_NS6detail15normal_iteratorINS9_10device_ptrItEEEEPS5_m11less_div_10ItEEE10hipError_tT0_T1_T2_jT3_P12ihipStream_tbPNSt15iterator_traitsISJ_E10value_typeEPNSP_ISK_E10value_typeEPSL_NS1_7vsmem_tEENKUlT_SJ_SK_SL_E_clISE_PtSF_SF_EESI_SY_SJ_SK_SL_EUlSY_E1_NS1_11comp_targetILNS1_3genE2ELNS1_11target_archE906ELNS1_3gpuE6ELNS1_3repE0EEENS1_36merge_oddeven_config_static_selectorELNS0_4arch9wavefront6targetE0EEEvSK_.has_indirect_call, 0
	.section	.AMDGPU.csdata,"",@progbits
; Kernel info:
; codeLenInByte = 0
; TotalNumSgprs: 0
; NumVgprs: 0
; ScratchSize: 0
; MemoryBound: 0
; FloatMode: 240
; IeeeMode: 1
; LDSByteSize: 0 bytes/workgroup (compile time only)
; SGPRBlocks: 0
; VGPRBlocks: 0
; NumSGPRsForWavesPerEU: 1
; NumVGPRsForWavesPerEU: 1
; Occupancy: 16
; WaveLimiterHint : 0
; COMPUTE_PGM_RSRC2:SCRATCH_EN: 0
; COMPUTE_PGM_RSRC2:USER_SGPR: 6
; COMPUTE_PGM_RSRC2:TRAP_HANDLER: 0
; COMPUTE_PGM_RSRC2:TGID_X_EN: 1
; COMPUTE_PGM_RSRC2:TGID_Y_EN: 0
; COMPUTE_PGM_RSRC2:TGID_Z_EN: 0
; COMPUTE_PGM_RSRC2:TIDIG_COMP_CNT: 0
	.section	.text._ZN7rocprim17ROCPRIM_400000_NS6detail17trampoline_kernelINS0_14default_configENS1_38merge_sort_block_merge_config_selectorItNS0_10empty_typeEEEZZNS1_27merge_sort_block_merge_implIS3_N6thrust23THRUST_200600_302600_NS6detail15normal_iteratorINS9_10device_ptrItEEEEPS5_m11less_div_10ItEEE10hipError_tT0_T1_T2_jT3_P12ihipStream_tbPNSt15iterator_traitsISJ_E10value_typeEPNSP_ISK_E10value_typeEPSL_NS1_7vsmem_tEENKUlT_SJ_SK_SL_E_clISE_PtSF_SF_EESI_SY_SJ_SK_SL_EUlSY_E1_NS1_11comp_targetILNS1_3genE9ELNS1_11target_archE1100ELNS1_3gpuE3ELNS1_3repE0EEENS1_36merge_oddeven_config_static_selectorELNS0_4arch9wavefront6targetE0EEEvSK_,"axG",@progbits,_ZN7rocprim17ROCPRIM_400000_NS6detail17trampoline_kernelINS0_14default_configENS1_38merge_sort_block_merge_config_selectorItNS0_10empty_typeEEEZZNS1_27merge_sort_block_merge_implIS3_N6thrust23THRUST_200600_302600_NS6detail15normal_iteratorINS9_10device_ptrItEEEEPS5_m11less_div_10ItEEE10hipError_tT0_T1_T2_jT3_P12ihipStream_tbPNSt15iterator_traitsISJ_E10value_typeEPNSP_ISK_E10value_typeEPSL_NS1_7vsmem_tEENKUlT_SJ_SK_SL_E_clISE_PtSF_SF_EESI_SY_SJ_SK_SL_EUlSY_E1_NS1_11comp_targetILNS1_3genE9ELNS1_11target_archE1100ELNS1_3gpuE3ELNS1_3repE0EEENS1_36merge_oddeven_config_static_selectorELNS0_4arch9wavefront6targetE0EEEvSK_,comdat
	.protected	_ZN7rocprim17ROCPRIM_400000_NS6detail17trampoline_kernelINS0_14default_configENS1_38merge_sort_block_merge_config_selectorItNS0_10empty_typeEEEZZNS1_27merge_sort_block_merge_implIS3_N6thrust23THRUST_200600_302600_NS6detail15normal_iteratorINS9_10device_ptrItEEEEPS5_m11less_div_10ItEEE10hipError_tT0_T1_T2_jT3_P12ihipStream_tbPNSt15iterator_traitsISJ_E10value_typeEPNSP_ISK_E10value_typeEPSL_NS1_7vsmem_tEENKUlT_SJ_SK_SL_E_clISE_PtSF_SF_EESI_SY_SJ_SK_SL_EUlSY_E1_NS1_11comp_targetILNS1_3genE9ELNS1_11target_archE1100ELNS1_3gpuE3ELNS1_3repE0EEENS1_36merge_oddeven_config_static_selectorELNS0_4arch9wavefront6targetE0EEEvSK_ ; -- Begin function _ZN7rocprim17ROCPRIM_400000_NS6detail17trampoline_kernelINS0_14default_configENS1_38merge_sort_block_merge_config_selectorItNS0_10empty_typeEEEZZNS1_27merge_sort_block_merge_implIS3_N6thrust23THRUST_200600_302600_NS6detail15normal_iteratorINS9_10device_ptrItEEEEPS5_m11less_div_10ItEEE10hipError_tT0_T1_T2_jT3_P12ihipStream_tbPNSt15iterator_traitsISJ_E10value_typeEPNSP_ISK_E10value_typeEPSL_NS1_7vsmem_tEENKUlT_SJ_SK_SL_E_clISE_PtSF_SF_EESI_SY_SJ_SK_SL_EUlSY_E1_NS1_11comp_targetILNS1_3genE9ELNS1_11target_archE1100ELNS1_3gpuE3ELNS1_3repE0EEENS1_36merge_oddeven_config_static_selectorELNS0_4arch9wavefront6targetE0EEEvSK_
	.globl	_ZN7rocprim17ROCPRIM_400000_NS6detail17trampoline_kernelINS0_14default_configENS1_38merge_sort_block_merge_config_selectorItNS0_10empty_typeEEEZZNS1_27merge_sort_block_merge_implIS3_N6thrust23THRUST_200600_302600_NS6detail15normal_iteratorINS9_10device_ptrItEEEEPS5_m11less_div_10ItEEE10hipError_tT0_T1_T2_jT3_P12ihipStream_tbPNSt15iterator_traitsISJ_E10value_typeEPNSP_ISK_E10value_typeEPSL_NS1_7vsmem_tEENKUlT_SJ_SK_SL_E_clISE_PtSF_SF_EESI_SY_SJ_SK_SL_EUlSY_E1_NS1_11comp_targetILNS1_3genE9ELNS1_11target_archE1100ELNS1_3gpuE3ELNS1_3repE0EEENS1_36merge_oddeven_config_static_selectorELNS0_4arch9wavefront6targetE0EEEvSK_
	.p2align	8
	.type	_ZN7rocprim17ROCPRIM_400000_NS6detail17trampoline_kernelINS0_14default_configENS1_38merge_sort_block_merge_config_selectorItNS0_10empty_typeEEEZZNS1_27merge_sort_block_merge_implIS3_N6thrust23THRUST_200600_302600_NS6detail15normal_iteratorINS9_10device_ptrItEEEEPS5_m11less_div_10ItEEE10hipError_tT0_T1_T2_jT3_P12ihipStream_tbPNSt15iterator_traitsISJ_E10value_typeEPNSP_ISK_E10value_typeEPSL_NS1_7vsmem_tEENKUlT_SJ_SK_SL_E_clISE_PtSF_SF_EESI_SY_SJ_SK_SL_EUlSY_E1_NS1_11comp_targetILNS1_3genE9ELNS1_11target_archE1100ELNS1_3gpuE3ELNS1_3repE0EEENS1_36merge_oddeven_config_static_selectorELNS0_4arch9wavefront6targetE0EEEvSK_,@function
_ZN7rocprim17ROCPRIM_400000_NS6detail17trampoline_kernelINS0_14default_configENS1_38merge_sort_block_merge_config_selectorItNS0_10empty_typeEEEZZNS1_27merge_sort_block_merge_implIS3_N6thrust23THRUST_200600_302600_NS6detail15normal_iteratorINS9_10device_ptrItEEEEPS5_m11less_div_10ItEEE10hipError_tT0_T1_T2_jT3_P12ihipStream_tbPNSt15iterator_traitsISJ_E10value_typeEPNSP_ISK_E10value_typeEPSL_NS1_7vsmem_tEENKUlT_SJ_SK_SL_E_clISE_PtSF_SF_EESI_SY_SJ_SK_SL_EUlSY_E1_NS1_11comp_targetILNS1_3genE9ELNS1_11target_archE1100ELNS1_3gpuE3ELNS1_3repE0EEENS1_36merge_oddeven_config_static_selectorELNS0_4arch9wavefront6targetE0EEEvSK_: ; @_ZN7rocprim17ROCPRIM_400000_NS6detail17trampoline_kernelINS0_14default_configENS1_38merge_sort_block_merge_config_selectorItNS0_10empty_typeEEEZZNS1_27merge_sort_block_merge_implIS3_N6thrust23THRUST_200600_302600_NS6detail15normal_iteratorINS9_10device_ptrItEEEEPS5_m11less_div_10ItEEE10hipError_tT0_T1_T2_jT3_P12ihipStream_tbPNSt15iterator_traitsISJ_E10value_typeEPNSP_ISK_E10value_typeEPSL_NS1_7vsmem_tEENKUlT_SJ_SK_SL_E_clISE_PtSF_SF_EESI_SY_SJ_SK_SL_EUlSY_E1_NS1_11comp_targetILNS1_3genE9ELNS1_11target_archE1100ELNS1_3gpuE3ELNS1_3repE0EEENS1_36merge_oddeven_config_static_selectorELNS0_4arch9wavefront6targetE0EEEvSK_
; %bb.0:
	.section	.rodata,"a",@progbits
	.p2align	6, 0x0
	.amdhsa_kernel _ZN7rocprim17ROCPRIM_400000_NS6detail17trampoline_kernelINS0_14default_configENS1_38merge_sort_block_merge_config_selectorItNS0_10empty_typeEEEZZNS1_27merge_sort_block_merge_implIS3_N6thrust23THRUST_200600_302600_NS6detail15normal_iteratorINS9_10device_ptrItEEEEPS5_m11less_div_10ItEEE10hipError_tT0_T1_T2_jT3_P12ihipStream_tbPNSt15iterator_traitsISJ_E10value_typeEPNSP_ISK_E10value_typeEPSL_NS1_7vsmem_tEENKUlT_SJ_SK_SL_E_clISE_PtSF_SF_EESI_SY_SJ_SK_SL_EUlSY_E1_NS1_11comp_targetILNS1_3genE9ELNS1_11target_archE1100ELNS1_3gpuE3ELNS1_3repE0EEENS1_36merge_oddeven_config_static_selectorELNS0_4arch9wavefront6targetE0EEEvSK_
		.amdhsa_group_segment_fixed_size 0
		.amdhsa_private_segment_fixed_size 0
		.amdhsa_kernarg_size 56
		.amdhsa_user_sgpr_count 6
		.amdhsa_user_sgpr_private_segment_buffer 1
		.amdhsa_user_sgpr_dispatch_ptr 0
		.amdhsa_user_sgpr_queue_ptr 0
		.amdhsa_user_sgpr_kernarg_segment_ptr 1
		.amdhsa_user_sgpr_dispatch_id 0
		.amdhsa_user_sgpr_flat_scratch_init 0
		.amdhsa_user_sgpr_private_segment_size 0
		.amdhsa_wavefront_size32 1
		.amdhsa_uses_dynamic_stack 0
		.amdhsa_system_sgpr_private_segment_wavefront_offset 0
		.amdhsa_system_sgpr_workgroup_id_x 1
		.amdhsa_system_sgpr_workgroup_id_y 0
		.amdhsa_system_sgpr_workgroup_id_z 0
		.amdhsa_system_sgpr_workgroup_info 0
		.amdhsa_system_vgpr_workitem_id 0
		.amdhsa_next_free_vgpr 1
		.amdhsa_next_free_sgpr 1
		.amdhsa_reserve_vcc 0
		.amdhsa_reserve_flat_scratch 0
		.amdhsa_float_round_mode_32 0
		.amdhsa_float_round_mode_16_64 0
		.amdhsa_float_denorm_mode_32 3
		.amdhsa_float_denorm_mode_16_64 3
		.amdhsa_dx10_clamp 1
		.amdhsa_ieee_mode 1
		.amdhsa_fp16_overflow 0
		.amdhsa_workgroup_processor_mode 1
		.amdhsa_memory_ordered 1
		.amdhsa_forward_progress 1
		.amdhsa_shared_vgpr_count 0
		.amdhsa_exception_fp_ieee_invalid_op 0
		.amdhsa_exception_fp_denorm_src 0
		.amdhsa_exception_fp_ieee_div_zero 0
		.amdhsa_exception_fp_ieee_overflow 0
		.amdhsa_exception_fp_ieee_underflow 0
		.amdhsa_exception_fp_ieee_inexact 0
		.amdhsa_exception_int_div_zero 0
	.end_amdhsa_kernel
	.section	.text._ZN7rocprim17ROCPRIM_400000_NS6detail17trampoline_kernelINS0_14default_configENS1_38merge_sort_block_merge_config_selectorItNS0_10empty_typeEEEZZNS1_27merge_sort_block_merge_implIS3_N6thrust23THRUST_200600_302600_NS6detail15normal_iteratorINS9_10device_ptrItEEEEPS5_m11less_div_10ItEEE10hipError_tT0_T1_T2_jT3_P12ihipStream_tbPNSt15iterator_traitsISJ_E10value_typeEPNSP_ISK_E10value_typeEPSL_NS1_7vsmem_tEENKUlT_SJ_SK_SL_E_clISE_PtSF_SF_EESI_SY_SJ_SK_SL_EUlSY_E1_NS1_11comp_targetILNS1_3genE9ELNS1_11target_archE1100ELNS1_3gpuE3ELNS1_3repE0EEENS1_36merge_oddeven_config_static_selectorELNS0_4arch9wavefront6targetE0EEEvSK_,"axG",@progbits,_ZN7rocprim17ROCPRIM_400000_NS6detail17trampoline_kernelINS0_14default_configENS1_38merge_sort_block_merge_config_selectorItNS0_10empty_typeEEEZZNS1_27merge_sort_block_merge_implIS3_N6thrust23THRUST_200600_302600_NS6detail15normal_iteratorINS9_10device_ptrItEEEEPS5_m11less_div_10ItEEE10hipError_tT0_T1_T2_jT3_P12ihipStream_tbPNSt15iterator_traitsISJ_E10value_typeEPNSP_ISK_E10value_typeEPSL_NS1_7vsmem_tEENKUlT_SJ_SK_SL_E_clISE_PtSF_SF_EESI_SY_SJ_SK_SL_EUlSY_E1_NS1_11comp_targetILNS1_3genE9ELNS1_11target_archE1100ELNS1_3gpuE3ELNS1_3repE0EEENS1_36merge_oddeven_config_static_selectorELNS0_4arch9wavefront6targetE0EEEvSK_,comdat
.Lfunc_end288:
	.size	_ZN7rocprim17ROCPRIM_400000_NS6detail17trampoline_kernelINS0_14default_configENS1_38merge_sort_block_merge_config_selectorItNS0_10empty_typeEEEZZNS1_27merge_sort_block_merge_implIS3_N6thrust23THRUST_200600_302600_NS6detail15normal_iteratorINS9_10device_ptrItEEEEPS5_m11less_div_10ItEEE10hipError_tT0_T1_T2_jT3_P12ihipStream_tbPNSt15iterator_traitsISJ_E10value_typeEPNSP_ISK_E10value_typeEPSL_NS1_7vsmem_tEENKUlT_SJ_SK_SL_E_clISE_PtSF_SF_EESI_SY_SJ_SK_SL_EUlSY_E1_NS1_11comp_targetILNS1_3genE9ELNS1_11target_archE1100ELNS1_3gpuE3ELNS1_3repE0EEENS1_36merge_oddeven_config_static_selectorELNS0_4arch9wavefront6targetE0EEEvSK_, .Lfunc_end288-_ZN7rocprim17ROCPRIM_400000_NS6detail17trampoline_kernelINS0_14default_configENS1_38merge_sort_block_merge_config_selectorItNS0_10empty_typeEEEZZNS1_27merge_sort_block_merge_implIS3_N6thrust23THRUST_200600_302600_NS6detail15normal_iteratorINS9_10device_ptrItEEEEPS5_m11less_div_10ItEEE10hipError_tT0_T1_T2_jT3_P12ihipStream_tbPNSt15iterator_traitsISJ_E10value_typeEPNSP_ISK_E10value_typeEPSL_NS1_7vsmem_tEENKUlT_SJ_SK_SL_E_clISE_PtSF_SF_EESI_SY_SJ_SK_SL_EUlSY_E1_NS1_11comp_targetILNS1_3genE9ELNS1_11target_archE1100ELNS1_3gpuE3ELNS1_3repE0EEENS1_36merge_oddeven_config_static_selectorELNS0_4arch9wavefront6targetE0EEEvSK_
                                        ; -- End function
	.set _ZN7rocprim17ROCPRIM_400000_NS6detail17trampoline_kernelINS0_14default_configENS1_38merge_sort_block_merge_config_selectorItNS0_10empty_typeEEEZZNS1_27merge_sort_block_merge_implIS3_N6thrust23THRUST_200600_302600_NS6detail15normal_iteratorINS9_10device_ptrItEEEEPS5_m11less_div_10ItEEE10hipError_tT0_T1_T2_jT3_P12ihipStream_tbPNSt15iterator_traitsISJ_E10value_typeEPNSP_ISK_E10value_typeEPSL_NS1_7vsmem_tEENKUlT_SJ_SK_SL_E_clISE_PtSF_SF_EESI_SY_SJ_SK_SL_EUlSY_E1_NS1_11comp_targetILNS1_3genE9ELNS1_11target_archE1100ELNS1_3gpuE3ELNS1_3repE0EEENS1_36merge_oddeven_config_static_selectorELNS0_4arch9wavefront6targetE0EEEvSK_.num_vgpr, 0
	.set _ZN7rocprim17ROCPRIM_400000_NS6detail17trampoline_kernelINS0_14default_configENS1_38merge_sort_block_merge_config_selectorItNS0_10empty_typeEEEZZNS1_27merge_sort_block_merge_implIS3_N6thrust23THRUST_200600_302600_NS6detail15normal_iteratorINS9_10device_ptrItEEEEPS5_m11less_div_10ItEEE10hipError_tT0_T1_T2_jT3_P12ihipStream_tbPNSt15iterator_traitsISJ_E10value_typeEPNSP_ISK_E10value_typeEPSL_NS1_7vsmem_tEENKUlT_SJ_SK_SL_E_clISE_PtSF_SF_EESI_SY_SJ_SK_SL_EUlSY_E1_NS1_11comp_targetILNS1_3genE9ELNS1_11target_archE1100ELNS1_3gpuE3ELNS1_3repE0EEENS1_36merge_oddeven_config_static_selectorELNS0_4arch9wavefront6targetE0EEEvSK_.num_agpr, 0
	.set _ZN7rocprim17ROCPRIM_400000_NS6detail17trampoline_kernelINS0_14default_configENS1_38merge_sort_block_merge_config_selectorItNS0_10empty_typeEEEZZNS1_27merge_sort_block_merge_implIS3_N6thrust23THRUST_200600_302600_NS6detail15normal_iteratorINS9_10device_ptrItEEEEPS5_m11less_div_10ItEEE10hipError_tT0_T1_T2_jT3_P12ihipStream_tbPNSt15iterator_traitsISJ_E10value_typeEPNSP_ISK_E10value_typeEPSL_NS1_7vsmem_tEENKUlT_SJ_SK_SL_E_clISE_PtSF_SF_EESI_SY_SJ_SK_SL_EUlSY_E1_NS1_11comp_targetILNS1_3genE9ELNS1_11target_archE1100ELNS1_3gpuE3ELNS1_3repE0EEENS1_36merge_oddeven_config_static_selectorELNS0_4arch9wavefront6targetE0EEEvSK_.numbered_sgpr, 0
	.set _ZN7rocprim17ROCPRIM_400000_NS6detail17trampoline_kernelINS0_14default_configENS1_38merge_sort_block_merge_config_selectorItNS0_10empty_typeEEEZZNS1_27merge_sort_block_merge_implIS3_N6thrust23THRUST_200600_302600_NS6detail15normal_iteratorINS9_10device_ptrItEEEEPS5_m11less_div_10ItEEE10hipError_tT0_T1_T2_jT3_P12ihipStream_tbPNSt15iterator_traitsISJ_E10value_typeEPNSP_ISK_E10value_typeEPSL_NS1_7vsmem_tEENKUlT_SJ_SK_SL_E_clISE_PtSF_SF_EESI_SY_SJ_SK_SL_EUlSY_E1_NS1_11comp_targetILNS1_3genE9ELNS1_11target_archE1100ELNS1_3gpuE3ELNS1_3repE0EEENS1_36merge_oddeven_config_static_selectorELNS0_4arch9wavefront6targetE0EEEvSK_.num_named_barrier, 0
	.set _ZN7rocprim17ROCPRIM_400000_NS6detail17trampoline_kernelINS0_14default_configENS1_38merge_sort_block_merge_config_selectorItNS0_10empty_typeEEEZZNS1_27merge_sort_block_merge_implIS3_N6thrust23THRUST_200600_302600_NS6detail15normal_iteratorINS9_10device_ptrItEEEEPS5_m11less_div_10ItEEE10hipError_tT0_T1_T2_jT3_P12ihipStream_tbPNSt15iterator_traitsISJ_E10value_typeEPNSP_ISK_E10value_typeEPSL_NS1_7vsmem_tEENKUlT_SJ_SK_SL_E_clISE_PtSF_SF_EESI_SY_SJ_SK_SL_EUlSY_E1_NS1_11comp_targetILNS1_3genE9ELNS1_11target_archE1100ELNS1_3gpuE3ELNS1_3repE0EEENS1_36merge_oddeven_config_static_selectorELNS0_4arch9wavefront6targetE0EEEvSK_.private_seg_size, 0
	.set _ZN7rocprim17ROCPRIM_400000_NS6detail17trampoline_kernelINS0_14default_configENS1_38merge_sort_block_merge_config_selectorItNS0_10empty_typeEEEZZNS1_27merge_sort_block_merge_implIS3_N6thrust23THRUST_200600_302600_NS6detail15normal_iteratorINS9_10device_ptrItEEEEPS5_m11less_div_10ItEEE10hipError_tT0_T1_T2_jT3_P12ihipStream_tbPNSt15iterator_traitsISJ_E10value_typeEPNSP_ISK_E10value_typeEPSL_NS1_7vsmem_tEENKUlT_SJ_SK_SL_E_clISE_PtSF_SF_EESI_SY_SJ_SK_SL_EUlSY_E1_NS1_11comp_targetILNS1_3genE9ELNS1_11target_archE1100ELNS1_3gpuE3ELNS1_3repE0EEENS1_36merge_oddeven_config_static_selectorELNS0_4arch9wavefront6targetE0EEEvSK_.uses_vcc, 0
	.set _ZN7rocprim17ROCPRIM_400000_NS6detail17trampoline_kernelINS0_14default_configENS1_38merge_sort_block_merge_config_selectorItNS0_10empty_typeEEEZZNS1_27merge_sort_block_merge_implIS3_N6thrust23THRUST_200600_302600_NS6detail15normal_iteratorINS9_10device_ptrItEEEEPS5_m11less_div_10ItEEE10hipError_tT0_T1_T2_jT3_P12ihipStream_tbPNSt15iterator_traitsISJ_E10value_typeEPNSP_ISK_E10value_typeEPSL_NS1_7vsmem_tEENKUlT_SJ_SK_SL_E_clISE_PtSF_SF_EESI_SY_SJ_SK_SL_EUlSY_E1_NS1_11comp_targetILNS1_3genE9ELNS1_11target_archE1100ELNS1_3gpuE3ELNS1_3repE0EEENS1_36merge_oddeven_config_static_selectorELNS0_4arch9wavefront6targetE0EEEvSK_.uses_flat_scratch, 0
	.set _ZN7rocprim17ROCPRIM_400000_NS6detail17trampoline_kernelINS0_14default_configENS1_38merge_sort_block_merge_config_selectorItNS0_10empty_typeEEEZZNS1_27merge_sort_block_merge_implIS3_N6thrust23THRUST_200600_302600_NS6detail15normal_iteratorINS9_10device_ptrItEEEEPS5_m11less_div_10ItEEE10hipError_tT0_T1_T2_jT3_P12ihipStream_tbPNSt15iterator_traitsISJ_E10value_typeEPNSP_ISK_E10value_typeEPSL_NS1_7vsmem_tEENKUlT_SJ_SK_SL_E_clISE_PtSF_SF_EESI_SY_SJ_SK_SL_EUlSY_E1_NS1_11comp_targetILNS1_3genE9ELNS1_11target_archE1100ELNS1_3gpuE3ELNS1_3repE0EEENS1_36merge_oddeven_config_static_selectorELNS0_4arch9wavefront6targetE0EEEvSK_.has_dyn_sized_stack, 0
	.set _ZN7rocprim17ROCPRIM_400000_NS6detail17trampoline_kernelINS0_14default_configENS1_38merge_sort_block_merge_config_selectorItNS0_10empty_typeEEEZZNS1_27merge_sort_block_merge_implIS3_N6thrust23THRUST_200600_302600_NS6detail15normal_iteratorINS9_10device_ptrItEEEEPS5_m11less_div_10ItEEE10hipError_tT0_T1_T2_jT3_P12ihipStream_tbPNSt15iterator_traitsISJ_E10value_typeEPNSP_ISK_E10value_typeEPSL_NS1_7vsmem_tEENKUlT_SJ_SK_SL_E_clISE_PtSF_SF_EESI_SY_SJ_SK_SL_EUlSY_E1_NS1_11comp_targetILNS1_3genE9ELNS1_11target_archE1100ELNS1_3gpuE3ELNS1_3repE0EEENS1_36merge_oddeven_config_static_selectorELNS0_4arch9wavefront6targetE0EEEvSK_.has_recursion, 0
	.set _ZN7rocprim17ROCPRIM_400000_NS6detail17trampoline_kernelINS0_14default_configENS1_38merge_sort_block_merge_config_selectorItNS0_10empty_typeEEEZZNS1_27merge_sort_block_merge_implIS3_N6thrust23THRUST_200600_302600_NS6detail15normal_iteratorINS9_10device_ptrItEEEEPS5_m11less_div_10ItEEE10hipError_tT0_T1_T2_jT3_P12ihipStream_tbPNSt15iterator_traitsISJ_E10value_typeEPNSP_ISK_E10value_typeEPSL_NS1_7vsmem_tEENKUlT_SJ_SK_SL_E_clISE_PtSF_SF_EESI_SY_SJ_SK_SL_EUlSY_E1_NS1_11comp_targetILNS1_3genE9ELNS1_11target_archE1100ELNS1_3gpuE3ELNS1_3repE0EEENS1_36merge_oddeven_config_static_selectorELNS0_4arch9wavefront6targetE0EEEvSK_.has_indirect_call, 0
	.section	.AMDGPU.csdata,"",@progbits
; Kernel info:
; codeLenInByte = 0
; TotalNumSgprs: 0
; NumVgprs: 0
; ScratchSize: 0
; MemoryBound: 0
; FloatMode: 240
; IeeeMode: 1
; LDSByteSize: 0 bytes/workgroup (compile time only)
; SGPRBlocks: 0
; VGPRBlocks: 0
; NumSGPRsForWavesPerEU: 1
; NumVGPRsForWavesPerEU: 1
; Occupancy: 16
; WaveLimiterHint : 0
; COMPUTE_PGM_RSRC2:SCRATCH_EN: 0
; COMPUTE_PGM_RSRC2:USER_SGPR: 6
; COMPUTE_PGM_RSRC2:TRAP_HANDLER: 0
; COMPUTE_PGM_RSRC2:TGID_X_EN: 1
; COMPUTE_PGM_RSRC2:TGID_Y_EN: 0
; COMPUTE_PGM_RSRC2:TGID_Z_EN: 0
; COMPUTE_PGM_RSRC2:TIDIG_COMP_CNT: 0
	.section	.text._ZN7rocprim17ROCPRIM_400000_NS6detail17trampoline_kernelINS0_14default_configENS1_38merge_sort_block_merge_config_selectorItNS0_10empty_typeEEEZZNS1_27merge_sort_block_merge_implIS3_N6thrust23THRUST_200600_302600_NS6detail15normal_iteratorINS9_10device_ptrItEEEEPS5_m11less_div_10ItEEE10hipError_tT0_T1_T2_jT3_P12ihipStream_tbPNSt15iterator_traitsISJ_E10value_typeEPNSP_ISK_E10value_typeEPSL_NS1_7vsmem_tEENKUlT_SJ_SK_SL_E_clISE_PtSF_SF_EESI_SY_SJ_SK_SL_EUlSY_E1_NS1_11comp_targetILNS1_3genE8ELNS1_11target_archE1030ELNS1_3gpuE2ELNS1_3repE0EEENS1_36merge_oddeven_config_static_selectorELNS0_4arch9wavefront6targetE0EEEvSK_,"axG",@progbits,_ZN7rocprim17ROCPRIM_400000_NS6detail17trampoline_kernelINS0_14default_configENS1_38merge_sort_block_merge_config_selectorItNS0_10empty_typeEEEZZNS1_27merge_sort_block_merge_implIS3_N6thrust23THRUST_200600_302600_NS6detail15normal_iteratorINS9_10device_ptrItEEEEPS5_m11less_div_10ItEEE10hipError_tT0_T1_T2_jT3_P12ihipStream_tbPNSt15iterator_traitsISJ_E10value_typeEPNSP_ISK_E10value_typeEPSL_NS1_7vsmem_tEENKUlT_SJ_SK_SL_E_clISE_PtSF_SF_EESI_SY_SJ_SK_SL_EUlSY_E1_NS1_11comp_targetILNS1_3genE8ELNS1_11target_archE1030ELNS1_3gpuE2ELNS1_3repE0EEENS1_36merge_oddeven_config_static_selectorELNS0_4arch9wavefront6targetE0EEEvSK_,comdat
	.protected	_ZN7rocprim17ROCPRIM_400000_NS6detail17trampoline_kernelINS0_14default_configENS1_38merge_sort_block_merge_config_selectorItNS0_10empty_typeEEEZZNS1_27merge_sort_block_merge_implIS3_N6thrust23THRUST_200600_302600_NS6detail15normal_iteratorINS9_10device_ptrItEEEEPS5_m11less_div_10ItEEE10hipError_tT0_T1_T2_jT3_P12ihipStream_tbPNSt15iterator_traitsISJ_E10value_typeEPNSP_ISK_E10value_typeEPSL_NS1_7vsmem_tEENKUlT_SJ_SK_SL_E_clISE_PtSF_SF_EESI_SY_SJ_SK_SL_EUlSY_E1_NS1_11comp_targetILNS1_3genE8ELNS1_11target_archE1030ELNS1_3gpuE2ELNS1_3repE0EEENS1_36merge_oddeven_config_static_selectorELNS0_4arch9wavefront6targetE0EEEvSK_ ; -- Begin function _ZN7rocprim17ROCPRIM_400000_NS6detail17trampoline_kernelINS0_14default_configENS1_38merge_sort_block_merge_config_selectorItNS0_10empty_typeEEEZZNS1_27merge_sort_block_merge_implIS3_N6thrust23THRUST_200600_302600_NS6detail15normal_iteratorINS9_10device_ptrItEEEEPS5_m11less_div_10ItEEE10hipError_tT0_T1_T2_jT3_P12ihipStream_tbPNSt15iterator_traitsISJ_E10value_typeEPNSP_ISK_E10value_typeEPSL_NS1_7vsmem_tEENKUlT_SJ_SK_SL_E_clISE_PtSF_SF_EESI_SY_SJ_SK_SL_EUlSY_E1_NS1_11comp_targetILNS1_3genE8ELNS1_11target_archE1030ELNS1_3gpuE2ELNS1_3repE0EEENS1_36merge_oddeven_config_static_selectorELNS0_4arch9wavefront6targetE0EEEvSK_
	.globl	_ZN7rocprim17ROCPRIM_400000_NS6detail17trampoline_kernelINS0_14default_configENS1_38merge_sort_block_merge_config_selectorItNS0_10empty_typeEEEZZNS1_27merge_sort_block_merge_implIS3_N6thrust23THRUST_200600_302600_NS6detail15normal_iteratorINS9_10device_ptrItEEEEPS5_m11less_div_10ItEEE10hipError_tT0_T1_T2_jT3_P12ihipStream_tbPNSt15iterator_traitsISJ_E10value_typeEPNSP_ISK_E10value_typeEPSL_NS1_7vsmem_tEENKUlT_SJ_SK_SL_E_clISE_PtSF_SF_EESI_SY_SJ_SK_SL_EUlSY_E1_NS1_11comp_targetILNS1_3genE8ELNS1_11target_archE1030ELNS1_3gpuE2ELNS1_3repE0EEENS1_36merge_oddeven_config_static_selectorELNS0_4arch9wavefront6targetE0EEEvSK_
	.p2align	8
	.type	_ZN7rocprim17ROCPRIM_400000_NS6detail17trampoline_kernelINS0_14default_configENS1_38merge_sort_block_merge_config_selectorItNS0_10empty_typeEEEZZNS1_27merge_sort_block_merge_implIS3_N6thrust23THRUST_200600_302600_NS6detail15normal_iteratorINS9_10device_ptrItEEEEPS5_m11less_div_10ItEEE10hipError_tT0_T1_T2_jT3_P12ihipStream_tbPNSt15iterator_traitsISJ_E10value_typeEPNSP_ISK_E10value_typeEPSL_NS1_7vsmem_tEENKUlT_SJ_SK_SL_E_clISE_PtSF_SF_EESI_SY_SJ_SK_SL_EUlSY_E1_NS1_11comp_targetILNS1_3genE8ELNS1_11target_archE1030ELNS1_3gpuE2ELNS1_3repE0EEENS1_36merge_oddeven_config_static_selectorELNS0_4arch9wavefront6targetE0EEEvSK_,@function
_ZN7rocprim17ROCPRIM_400000_NS6detail17trampoline_kernelINS0_14default_configENS1_38merge_sort_block_merge_config_selectorItNS0_10empty_typeEEEZZNS1_27merge_sort_block_merge_implIS3_N6thrust23THRUST_200600_302600_NS6detail15normal_iteratorINS9_10device_ptrItEEEEPS5_m11less_div_10ItEEE10hipError_tT0_T1_T2_jT3_P12ihipStream_tbPNSt15iterator_traitsISJ_E10value_typeEPNSP_ISK_E10value_typeEPSL_NS1_7vsmem_tEENKUlT_SJ_SK_SL_E_clISE_PtSF_SF_EESI_SY_SJ_SK_SL_EUlSY_E1_NS1_11comp_targetILNS1_3genE8ELNS1_11target_archE1030ELNS1_3gpuE2ELNS1_3repE0EEENS1_36merge_oddeven_config_static_selectorELNS0_4arch9wavefront6targetE0EEEvSK_: ; @_ZN7rocprim17ROCPRIM_400000_NS6detail17trampoline_kernelINS0_14default_configENS1_38merge_sort_block_merge_config_selectorItNS0_10empty_typeEEEZZNS1_27merge_sort_block_merge_implIS3_N6thrust23THRUST_200600_302600_NS6detail15normal_iteratorINS9_10device_ptrItEEEEPS5_m11less_div_10ItEEE10hipError_tT0_T1_T2_jT3_P12ihipStream_tbPNSt15iterator_traitsISJ_E10value_typeEPNSP_ISK_E10value_typeEPSL_NS1_7vsmem_tEENKUlT_SJ_SK_SL_E_clISE_PtSF_SF_EESI_SY_SJ_SK_SL_EUlSY_E1_NS1_11comp_targetILNS1_3genE8ELNS1_11target_archE1030ELNS1_3gpuE2ELNS1_3repE0EEENS1_36merge_oddeven_config_static_selectorELNS0_4arch9wavefront6targetE0EEEvSK_
; %bb.0:
	s_load_dword s7, s[4:5], 0x20
	s_waitcnt lgkmcnt(0)
	s_lshr_b32 s0, s7, 8
	s_cmp_lg_u32 s6, s0
	s_cselect_b32 s13, -1, 0
	s_cmp_eq_u32 s6, s0
	s_cselect_b32 s12, -1, 0
	s_lshl_b32 s2, s6, 8
	s_sub_i32 s0, s7, s2
	v_cmp_gt_u32_e64 s1, s0, v0
	s_or_b32 s0, s13, s1
	s_and_saveexec_b32 s3, s0
	s_cbranch_execz .LBB289_20
; %bb.1:
	s_load_dwordx4 s[8:11], s[4:5], 0x0
	s_mov_b32 s3, 0
	v_lshlrev_b32_e32 v1, 1, v0
	s_lshl_b64 s[14:15], s[2:3], 1
	s_load_dword s5, s[4:5], 0x28
	v_add_nc_u32_e32 v0, s2, v0
	s_waitcnt lgkmcnt(0)
	s_add_u32 s14, s8, s14
	s_addc_u32 s15, s9, s15
	global_load_ushort v2, v1, s[14:15]
	s_lshr_b32 s0, s5, 8
	s_sub_i32 s4, 0, s0
	s_and_b32 s4, s6, s4
	s_and_b32 s0, s4, s0
	s_lshl_b32 s6, s4, 8
	s_sub_i32 s4, 0, s5
	s_cmp_eq_u32 s0, 0
	s_cselect_b32 s0, -1, 0
	s_and_b32 s14, s0, exec_lo
	s_cselect_b32 s4, s5, s4
	s_add_i32 s4, s4, s6
	s_cmp_lt_u32 s4, s7
	s_cbranch_scc1 .LBB289_3
; %bb.2:
	v_cmp_gt_u32_e32 vcc_lo, s7, v0
	s_or_b32 s3, vcc_lo, s13
	s_and_b32 s3, s3, exec_lo
	s_cbranch_execz .LBB289_4
	s_branch .LBB289_18
.LBB289_3:
.LBB289_4:
	v_mov_b32_e32 v1, 0xcccd
	s_min_u32 s2, s4, s7
	s_and_b32 vcc_lo, exec_lo, s12
	s_add_i32 s13, s6, s2
	s_min_u32 s6, s6, s2
	v_subrev_nc_u32_e32 v0, s13, v0
	s_waitcnt vmcnt(0)
	v_mul_u32_u24_sdwa v3, v2, v1 dst_sel:DWORD dst_unused:UNUSED_PAD src0_sel:WORD_0 src1_sel:DWORD
	s_add_i32 s5, s2, s5
	s_min_u32 s5, s5, s7
	v_add_nc_u32_e32 v1, s6, v0
	v_lshrrev_b32_e32 v3, 19, v3
	s_cbranch_vccz .LBB289_12
; %bb.5:
                                        ; implicit-def: $vgpr0
	s_and_saveexec_b32 s6, s1
	s_cbranch_execz .LBB289_11
; %bb.6:
	v_mov_b32_e32 v0, s2
	s_cmp_ge_u32 s4, s5
	s_cbranch_scc1 .LBB289_10
; %bb.7:
	v_mov_b32_e32 v4, s5
	v_mov_b32_e32 v0, s2
	s_mov_b32 s1, 0
	.p2align	6
.LBB289_8:                              ; =>This Inner Loop Header: Depth=1
	v_add_nc_u32_e32 v5, v0, v4
	v_and_b32_e32 v6, -2, v5
	v_lshrrev_b32_e32 v5, 1, v5
	global_load_ushort v6, v6, s[8:9]
	s_waitcnt vmcnt(0)
	v_mul_u32_u24_e32 v6, 0xcccd, v6
	v_lshrrev_b32_e32 v6, 19, v6
	v_cmp_lt_u16_e32 vcc_lo, v6, v3
	v_cndmask_b32_e64 v7, 0, 1, vcc_lo
	v_cmp_ge_u16_e32 vcc_lo, v3, v6
	v_cndmask_b32_e64 v6, 0, 1, vcc_lo
	v_cndmask_b32_e64 v6, v6, v7, s0
	v_add_nc_u32_e32 v7, 1, v5
	v_and_b32_e32 v6, 1, v6
	v_cmp_eq_u32_e32 vcc_lo, 1, v6
	v_cndmask_b32_e32 v4, v5, v4, vcc_lo
	v_cndmask_b32_e32 v0, v0, v7, vcc_lo
	v_cmp_ge_u32_e32 vcc_lo, v0, v4
	s_or_b32 s1, vcc_lo, s1
	s_andn2_b32 exec_lo, exec_lo, s1
	s_cbranch_execnz .LBB289_8
; %bb.9:
	s_or_b32 exec_lo, exec_lo, s1
.LBB289_10:
	v_add_nc_u32_e32 v0, v0, v1
	s_or_b32 s3, s3, exec_lo
.LBB289_11:
	s_or_b32 exec_lo, exec_lo, s6
	s_branch .LBB289_18
.LBB289_12:
                                        ; implicit-def: $vgpr0
	s_cbranch_execz .LBB289_18
; %bb.13:
	v_mov_b32_e32 v0, s2
	s_cmp_ge_u32 s4, s5
	s_cbranch_scc1 .LBB289_17
; %bb.14:
	v_mov_b32_e32 v4, s5
	v_mov_b32_e32 v0, s2
	s_mov_b32 s1, 0
	.p2align	6
.LBB289_15:                             ; =>This Inner Loop Header: Depth=1
	v_add_nc_u32_e32 v5, v0, v4
	v_and_b32_e32 v6, -2, v5
	v_lshrrev_b32_e32 v5, 1, v5
	global_load_ushort v6, v6, s[8:9]
	s_waitcnt vmcnt(0)
	v_mul_u32_u24_e32 v6, 0xcccd, v6
	v_lshrrev_b32_e32 v6, 19, v6
	v_cmp_lt_u16_e32 vcc_lo, v6, v3
	v_cndmask_b32_e64 v7, 0, 1, vcc_lo
	v_cmp_ge_u16_e32 vcc_lo, v3, v6
	v_cndmask_b32_e64 v6, 0, 1, vcc_lo
	v_cndmask_b32_e64 v6, v6, v7, s0
	v_add_nc_u32_e32 v7, 1, v5
	v_and_b32_e32 v6, 1, v6
	v_cmp_eq_u32_e32 vcc_lo, 1, v6
	v_cndmask_b32_e32 v4, v5, v4, vcc_lo
	v_cndmask_b32_e32 v0, v0, v7, vcc_lo
	v_cmp_ge_u32_e32 vcc_lo, v0, v4
	s_or_b32 s1, vcc_lo, s1
	s_andn2_b32 exec_lo, exec_lo, s1
	s_cbranch_execnz .LBB289_15
; %bb.16:
	s_or_b32 exec_lo, exec_lo, s1
.LBB289_17:
	v_add_nc_u32_e32 v0, v0, v1
	s_mov_b32 s3, -1
.LBB289_18:
	s_and_b32 exec_lo, exec_lo, s3
	s_cbranch_execz .LBB289_20
; %bb.19:
	v_mov_b32_e32 v1, 0
	v_lshlrev_b64 v[0:1], 1, v[0:1]
	v_add_co_u32 v0, vcc_lo, s10, v0
	v_add_co_ci_u32_e64 v1, null, s11, v1, vcc_lo
	s_waitcnt vmcnt(0)
	global_store_short v[0:1], v2, off
.LBB289_20:
	s_endpgm
	.section	.rodata,"a",@progbits
	.p2align	6, 0x0
	.amdhsa_kernel _ZN7rocprim17ROCPRIM_400000_NS6detail17trampoline_kernelINS0_14default_configENS1_38merge_sort_block_merge_config_selectorItNS0_10empty_typeEEEZZNS1_27merge_sort_block_merge_implIS3_N6thrust23THRUST_200600_302600_NS6detail15normal_iteratorINS9_10device_ptrItEEEEPS5_m11less_div_10ItEEE10hipError_tT0_T1_T2_jT3_P12ihipStream_tbPNSt15iterator_traitsISJ_E10value_typeEPNSP_ISK_E10value_typeEPSL_NS1_7vsmem_tEENKUlT_SJ_SK_SL_E_clISE_PtSF_SF_EESI_SY_SJ_SK_SL_EUlSY_E1_NS1_11comp_targetILNS1_3genE8ELNS1_11target_archE1030ELNS1_3gpuE2ELNS1_3repE0EEENS1_36merge_oddeven_config_static_selectorELNS0_4arch9wavefront6targetE0EEEvSK_
		.amdhsa_group_segment_fixed_size 0
		.amdhsa_private_segment_fixed_size 0
		.amdhsa_kernarg_size 56
		.amdhsa_user_sgpr_count 6
		.amdhsa_user_sgpr_private_segment_buffer 1
		.amdhsa_user_sgpr_dispatch_ptr 0
		.amdhsa_user_sgpr_queue_ptr 0
		.amdhsa_user_sgpr_kernarg_segment_ptr 1
		.amdhsa_user_sgpr_dispatch_id 0
		.amdhsa_user_sgpr_flat_scratch_init 0
		.amdhsa_user_sgpr_private_segment_size 0
		.amdhsa_wavefront_size32 1
		.amdhsa_uses_dynamic_stack 0
		.amdhsa_system_sgpr_private_segment_wavefront_offset 0
		.amdhsa_system_sgpr_workgroup_id_x 1
		.amdhsa_system_sgpr_workgroup_id_y 0
		.amdhsa_system_sgpr_workgroup_id_z 0
		.amdhsa_system_sgpr_workgroup_info 0
		.amdhsa_system_vgpr_workitem_id 0
		.amdhsa_next_free_vgpr 8
		.amdhsa_next_free_sgpr 16
		.amdhsa_reserve_vcc 1
		.amdhsa_reserve_flat_scratch 0
		.amdhsa_float_round_mode_32 0
		.amdhsa_float_round_mode_16_64 0
		.amdhsa_float_denorm_mode_32 3
		.amdhsa_float_denorm_mode_16_64 3
		.amdhsa_dx10_clamp 1
		.amdhsa_ieee_mode 1
		.amdhsa_fp16_overflow 0
		.amdhsa_workgroup_processor_mode 1
		.amdhsa_memory_ordered 1
		.amdhsa_forward_progress 1
		.amdhsa_shared_vgpr_count 0
		.amdhsa_exception_fp_ieee_invalid_op 0
		.amdhsa_exception_fp_denorm_src 0
		.amdhsa_exception_fp_ieee_div_zero 0
		.amdhsa_exception_fp_ieee_overflow 0
		.amdhsa_exception_fp_ieee_underflow 0
		.amdhsa_exception_fp_ieee_inexact 0
		.amdhsa_exception_int_div_zero 0
	.end_amdhsa_kernel
	.section	.text._ZN7rocprim17ROCPRIM_400000_NS6detail17trampoline_kernelINS0_14default_configENS1_38merge_sort_block_merge_config_selectorItNS0_10empty_typeEEEZZNS1_27merge_sort_block_merge_implIS3_N6thrust23THRUST_200600_302600_NS6detail15normal_iteratorINS9_10device_ptrItEEEEPS5_m11less_div_10ItEEE10hipError_tT0_T1_T2_jT3_P12ihipStream_tbPNSt15iterator_traitsISJ_E10value_typeEPNSP_ISK_E10value_typeEPSL_NS1_7vsmem_tEENKUlT_SJ_SK_SL_E_clISE_PtSF_SF_EESI_SY_SJ_SK_SL_EUlSY_E1_NS1_11comp_targetILNS1_3genE8ELNS1_11target_archE1030ELNS1_3gpuE2ELNS1_3repE0EEENS1_36merge_oddeven_config_static_selectorELNS0_4arch9wavefront6targetE0EEEvSK_,"axG",@progbits,_ZN7rocprim17ROCPRIM_400000_NS6detail17trampoline_kernelINS0_14default_configENS1_38merge_sort_block_merge_config_selectorItNS0_10empty_typeEEEZZNS1_27merge_sort_block_merge_implIS3_N6thrust23THRUST_200600_302600_NS6detail15normal_iteratorINS9_10device_ptrItEEEEPS5_m11less_div_10ItEEE10hipError_tT0_T1_T2_jT3_P12ihipStream_tbPNSt15iterator_traitsISJ_E10value_typeEPNSP_ISK_E10value_typeEPSL_NS1_7vsmem_tEENKUlT_SJ_SK_SL_E_clISE_PtSF_SF_EESI_SY_SJ_SK_SL_EUlSY_E1_NS1_11comp_targetILNS1_3genE8ELNS1_11target_archE1030ELNS1_3gpuE2ELNS1_3repE0EEENS1_36merge_oddeven_config_static_selectorELNS0_4arch9wavefront6targetE0EEEvSK_,comdat
.Lfunc_end289:
	.size	_ZN7rocprim17ROCPRIM_400000_NS6detail17trampoline_kernelINS0_14default_configENS1_38merge_sort_block_merge_config_selectorItNS0_10empty_typeEEEZZNS1_27merge_sort_block_merge_implIS3_N6thrust23THRUST_200600_302600_NS6detail15normal_iteratorINS9_10device_ptrItEEEEPS5_m11less_div_10ItEEE10hipError_tT0_T1_T2_jT3_P12ihipStream_tbPNSt15iterator_traitsISJ_E10value_typeEPNSP_ISK_E10value_typeEPSL_NS1_7vsmem_tEENKUlT_SJ_SK_SL_E_clISE_PtSF_SF_EESI_SY_SJ_SK_SL_EUlSY_E1_NS1_11comp_targetILNS1_3genE8ELNS1_11target_archE1030ELNS1_3gpuE2ELNS1_3repE0EEENS1_36merge_oddeven_config_static_selectorELNS0_4arch9wavefront6targetE0EEEvSK_, .Lfunc_end289-_ZN7rocprim17ROCPRIM_400000_NS6detail17trampoline_kernelINS0_14default_configENS1_38merge_sort_block_merge_config_selectorItNS0_10empty_typeEEEZZNS1_27merge_sort_block_merge_implIS3_N6thrust23THRUST_200600_302600_NS6detail15normal_iteratorINS9_10device_ptrItEEEEPS5_m11less_div_10ItEEE10hipError_tT0_T1_T2_jT3_P12ihipStream_tbPNSt15iterator_traitsISJ_E10value_typeEPNSP_ISK_E10value_typeEPSL_NS1_7vsmem_tEENKUlT_SJ_SK_SL_E_clISE_PtSF_SF_EESI_SY_SJ_SK_SL_EUlSY_E1_NS1_11comp_targetILNS1_3genE8ELNS1_11target_archE1030ELNS1_3gpuE2ELNS1_3repE0EEENS1_36merge_oddeven_config_static_selectorELNS0_4arch9wavefront6targetE0EEEvSK_
                                        ; -- End function
	.set _ZN7rocprim17ROCPRIM_400000_NS6detail17trampoline_kernelINS0_14default_configENS1_38merge_sort_block_merge_config_selectorItNS0_10empty_typeEEEZZNS1_27merge_sort_block_merge_implIS3_N6thrust23THRUST_200600_302600_NS6detail15normal_iteratorINS9_10device_ptrItEEEEPS5_m11less_div_10ItEEE10hipError_tT0_T1_T2_jT3_P12ihipStream_tbPNSt15iterator_traitsISJ_E10value_typeEPNSP_ISK_E10value_typeEPSL_NS1_7vsmem_tEENKUlT_SJ_SK_SL_E_clISE_PtSF_SF_EESI_SY_SJ_SK_SL_EUlSY_E1_NS1_11comp_targetILNS1_3genE8ELNS1_11target_archE1030ELNS1_3gpuE2ELNS1_3repE0EEENS1_36merge_oddeven_config_static_selectorELNS0_4arch9wavefront6targetE0EEEvSK_.num_vgpr, 8
	.set _ZN7rocprim17ROCPRIM_400000_NS6detail17trampoline_kernelINS0_14default_configENS1_38merge_sort_block_merge_config_selectorItNS0_10empty_typeEEEZZNS1_27merge_sort_block_merge_implIS3_N6thrust23THRUST_200600_302600_NS6detail15normal_iteratorINS9_10device_ptrItEEEEPS5_m11less_div_10ItEEE10hipError_tT0_T1_T2_jT3_P12ihipStream_tbPNSt15iterator_traitsISJ_E10value_typeEPNSP_ISK_E10value_typeEPSL_NS1_7vsmem_tEENKUlT_SJ_SK_SL_E_clISE_PtSF_SF_EESI_SY_SJ_SK_SL_EUlSY_E1_NS1_11comp_targetILNS1_3genE8ELNS1_11target_archE1030ELNS1_3gpuE2ELNS1_3repE0EEENS1_36merge_oddeven_config_static_selectorELNS0_4arch9wavefront6targetE0EEEvSK_.num_agpr, 0
	.set _ZN7rocprim17ROCPRIM_400000_NS6detail17trampoline_kernelINS0_14default_configENS1_38merge_sort_block_merge_config_selectorItNS0_10empty_typeEEEZZNS1_27merge_sort_block_merge_implIS3_N6thrust23THRUST_200600_302600_NS6detail15normal_iteratorINS9_10device_ptrItEEEEPS5_m11less_div_10ItEEE10hipError_tT0_T1_T2_jT3_P12ihipStream_tbPNSt15iterator_traitsISJ_E10value_typeEPNSP_ISK_E10value_typeEPSL_NS1_7vsmem_tEENKUlT_SJ_SK_SL_E_clISE_PtSF_SF_EESI_SY_SJ_SK_SL_EUlSY_E1_NS1_11comp_targetILNS1_3genE8ELNS1_11target_archE1030ELNS1_3gpuE2ELNS1_3repE0EEENS1_36merge_oddeven_config_static_selectorELNS0_4arch9wavefront6targetE0EEEvSK_.numbered_sgpr, 16
	.set _ZN7rocprim17ROCPRIM_400000_NS6detail17trampoline_kernelINS0_14default_configENS1_38merge_sort_block_merge_config_selectorItNS0_10empty_typeEEEZZNS1_27merge_sort_block_merge_implIS3_N6thrust23THRUST_200600_302600_NS6detail15normal_iteratorINS9_10device_ptrItEEEEPS5_m11less_div_10ItEEE10hipError_tT0_T1_T2_jT3_P12ihipStream_tbPNSt15iterator_traitsISJ_E10value_typeEPNSP_ISK_E10value_typeEPSL_NS1_7vsmem_tEENKUlT_SJ_SK_SL_E_clISE_PtSF_SF_EESI_SY_SJ_SK_SL_EUlSY_E1_NS1_11comp_targetILNS1_3genE8ELNS1_11target_archE1030ELNS1_3gpuE2ELNS1_3repE0EEENS1_36merge_oddeven_config_static_selectorELNS0_4arch9wavefront6targetE0EEEvSK_.num_named_barrier, 0
	.set _ZN7rocprim17ROCPRIM_400000_NS6detail17trampoline_kernelINS0_14default_configENS1_38merge_sort_block_merge_config_selectorItNS0_10empty_typeEEEZZNS1_27merge_sort_block_merge_implIS3_N6thrust23THRUST_200600_302600_NS6detail15normal_iteratorINS9_10device_ptrItEEEEPS5_m11less_div_10ItEEE10hipError_tT0_T1_T2_jT3_P12ihipStream_tbPNSt15iterator_traitsISJ_E10value_typeEPNSP_ISK_E10value_typeEPSL_NS1_7vsmem_tEENKUlT_SJ_SK_SL_E_clISE_PtSF_SF_EESI_SY_SJ_SK_SL_EUlSY_E1_NS1_11comp_targetILNS1_3genE8ELNS1_11target_archE1030ELNS1_3gpuE2ELNS1_3repE0EEENS1_36merge_oddeven_config_static_selectorELNS0_4arch9wavefront6targetE0EEEvSK_.private_seg_size, 0
	.set _ZN7rocprim17ROCPRIM_400000_NS6detail17trampoline_kernelINS0_14default_configENS1_38merge_sort_block_merge_config_selectorItNS0_10empty_typeEEEZZNS1_27merge_sort_block_merge_implIS3_N6thrust23THRUST_200600_302600_NS6detail15normal_iteratorINS9_10device_ptrItEEEEPS5_m11less_div_10ItEEE10hipError_tT0_T1_T2_jT3_P12ihipStream_tbPNSt15iterator_traitsISJ_E10value_typeEPNSP_ISK_E10value_typeEPSL_NS1_7vsmem_tEENKUlT_SJ_SK_SL_E_clISE_PtSF_SF_EESI_SY_SJ_SK_SL_EUlSY_E1_NS1_11comp_targetILNS1_3genE8ELNS1_11target_archE1030ELNS1_3gpuE2ELNS1_3repE0EEENS1_36merge_oddeven_config_static_selectorELNS0_4arch9wavefront6targetE0EEEvSK_.uses_vcc, 1
	.set _ZN7rocprim17ROCPRIM_400000_NS6detail17trampoline_kernelINS0_14default_configENS1_38merge_sort_block_merge_config_selectorItNS0_10empty_typeEEEZZNS1_27merge_sort_block_merge_implIS3_N6thrust23THRUST_200600_302600_NS6detail15normal_iteratorINS9_10device_ptrItEEEEPS5_m11less_div_10ItEEE10hipError_tT0_T1_T2_jT3_P12ihipStream_tbPNSt15iterator_traitsISJ_E10value_typeEPNSP_ISK_E10value_typeEPSL_NS1_7vsmem_tEENKUlT_SJ_SK_SL_E_clISE_PtSF_SF_EESI_SY_SJ_SK_SL_EUlSY_E1_NS1_11comp_targetILNS1_3genE8ELNS1_11target_archE1030ELNS1_3gpuE2ELNS1_3repE0EEENS1_36merge_oddeven_config_static_selectorELNS0_4arch9wavefront6targetE0EEEvSK_.uses_flat_scratch, 0
	.set _ZN7rocprim17ROCPRIM_400000_NS6detail17trampoline_kernelINS0_14default_configENS1_38merge_sort_block_merge_config_selectorItNS0_10empty_typeEEEZZNS1_27merge_sort_block_merge_implIS3_N6thrust23THRUST_200600_302600_NS6detail15normal_iteratorINS9_10device_ptrItEEEEPS5_m11less_div_10ItEEE10hipError_tT0_T1_T2_jT3_P12ihipStream_tbPNSt15iterator_traitsISJ_E10value_typeEPNSP_ISK_E10value_typeEPSL_NS1_7vsmem_tEENKUlT_SJ_SK_SL_E_clISE_PtSF_SF_EESI_SY_SJ_SK_SL_EUlSY_E1_NS1_11comp_targetILNS1_3genE8ELNS1_11target_archE1030ELNS1_3gpuE2ELNS1_3repE0EEENS1_36merge_oddeven_config_static_selectorELNS0_4arch9wavefront6targetE0EEEvSK_.has_dyn_sized_stack, 0
	.set _ZN7rocprim17ROCPRIM_400000_NS6detail17trampoline_kernelINS0_14default_configENS1_38merge_sort_block_merge_config_selectorItNS0_10empty_typeEEEZZNS1_27merge_sort_block_merge_implIS3_N6thrust23THRUST_200600_302600_NS6detail15normal_iteratorINS9_10device_ptrItEEEEPS5_m11less_div_10ItEEE10hipError_tT0_T1_T2_jT3_P12ihipStream_tbPNSt15iterator_traitsISJ_E10value_typeEPNSP_ISK_E10value_typeEPSL_NS1_7vsmem_tEENKUlT_SJ_SK_SL_E_clISE_PtSF_SF_EESI_SY_SJ_SK_SL_EUlSY_E1_NS1_11comp_targetILNS1_3genE8ELNS1_11target_archE1030ELNS1_3gpuE2ELNS1_3repE0EEENS1_36merge_oddeven_config_static_selectorELNS0_4arch9wavefront6targetE0EEEvSK_.has_recursion, 0
	.set _ZN7rocprim17ROCPRIM_400000_NS6detail17trampoline_kernelINS0_14default_configENS1_38merge_sort_block_merge_config_selectorItNS0_10empty_typeEEEZZNS1_27merge_sort_block_merge_implIS3_N6thrust23THRUST_200600_302600_NS6detail15normal_iteratorINS9_10device_ptrItEEEEPS5_m11less_div_10ItEEE10hipError_tT0_T1_T2_jT3_P12ihipStream_tbPNSt15iterator_traitsISJ_E10value_typeEPNSP_ISK_E10value_typeEPSL_NS1_7vsmem_tEENKUlT_SJ_SK_SL_E_clISE_PtSF_SF_EESI_SY_SJ_SK_SL_EUlSY_E1_NS1_11comp_targetILNS1_3genE8ELNS1_11target_archE1030ELNS1_3gpuE2ELNS1_3repE0EEENS1_36merge_oddeven_config_static_selectorELNS0_4arch9wavefront6targetE0EEEvSK_.has_indirect_call, 0
	.section	.AMDGPU.csdata,"",@progbits
; Kernel info:
; codeLenInByte = 680
; TotalNumSgprs: 18
; NumVgprs: 8
; ScratchSize: 0
; MemoryBound: 0
; FloatMode: 240
; IeeeMode: 1
; LDSByteSize: 0 bytes/workgroup (compile time only)
; SGPRBlocks: 0
; VGPRBlocks: 0
; NumSGPRsForWavesPerEU: 18
; NumVGPRsForWavesPerEU: 8
; Occupancy: 16
; WaveLimiterHint : 0
; COMPUTE_PGM_RSRC2:SCRATCH_EN: 0
; COMPUTE_PGM_RSRC2:USER_SGPR: 6
; COMPUTE_PGM_RSRC2:TRAP_HANDLER: 0
; COMPUTE_PGM_RSRC2:TGID_X_EN: 1
; COMPUTE_PGM_RSRC2:TGID_Y_EN: 0
; COMPUTE_PGM_RSRC2:TGID_Z_EN: 0
; COMPUTE_PGM_RSRC2:TIDIG_COMP_CNT: 0
	.section	.text._ZN7rocprim17ROCPRIM_400000_NS6detail17trampoline_kernelINS0_14default_configENS1_25transform_config_selectorItLb0EEEZNS1_14transform_implILb0ES3_S5_PtN6thrust23THRUST_200600_302600_NS6detail15normal_iteratorINS9_10device_ptrItEEEENS0_8identityItEEEE10hipError_tT2_T3_mT4_P12ihipStream_tbEUlT_E_NS1_11comp_targetILNS1_3genE0ELNS1_11target_archE4294967295ELNS1_3gpuE0ELNS1_3repE0EEENS1_30default_config_static_selectorELNS0_4arch9wavefront6targetE0EEEvT1_,"axG",@progbits,_ZN7rocprim17ROCPRIM_400000_NS6detail17trampoline_kernelINS0_14default_configENS1_25transform_config_selectorItLb0EEEZNS1_14transform_implILb0ES3_S5_PtN6thrust23THRUST_200600_302600_NS6detail15normal_iteratorINS9_10device_ptrItEEEENS0_8identityItEEEE10hipError_tT2_T3_mT4_P12ihipStream_tbEUlT_E_NS1_11comp_targetILNS1_3genE0ELNS1_11target_archE4294967295ELNS1_3gpuE0ELNS1_3repE0EEENS1_30default_config_static_selectorELNS0_4arch9wavefront6targetE0EEEvT1_,comdat
	.protected	_ZN7rocprim17ROCPRIM_400000_NS6detail17trampoline_kernelINS0_14default_configENS1_25transform_config_selectorItLb0EEEZNS1_14transform_implILb0ES3_S5_PtN6thrust23THRUST_200600_302600_NS6detail15normal_iteratorINS9_10device_ptrItEEEENS0_8identityItEEEE10hipError_tT2_T3_mT4_P12ihipStream_tbEUlT_E_NS1_11comp_targetILNS1_3genE0ELNS1_11target_archE4294967295ELNS1_3gpuE0ELNS1_3repE0EEENS1_30default_config_static_selectorELNS0_4arch9wavefront6targetE0EEEvT1_ ; -- Begin function _ZN7rocprim17ROCPRIM_400000_NS6detail17trampoline_kernelINS0_14default_configENS1_25transform_config_selectorItLb0EEEZNS1_14transform_implILb0ES3_S5_PtN6thrust23THRUST_200600_302600_NS6detail15normal_iteratorINS9_10device_ptrItEEEENS0_8identityItEEEE10hipError_tT2_T3_mT4_P12ihipStream_tbEUlT_E_NS1_11comp_targetILNS1_3genE0ELNS1_11target_archE4294967295ELNS1_3gpuE0ELNS1_3repE0EEENS1_30default_config_static_selectorELNS0_4arch9wavefront6targetE0EEEvT1_
	.globl	_ZN7rocprim17ROCPRIM_400000_NS6detail17trampoline_kernelINS0_14default_configENS1_25transform_config_selectorItLb0EEEZNS1_14transform_implILb0ES3_S5_PtN6thrust23THRUST_200600_302600_NS6detail15normal_iteratorINS9_10device_ptrItEEEENS0_8identityItEEEE10hipError_tT2_T3_mT4_P12ihipStream_tbEUlT_E_NS1_11comp_targetILNS1_3genE0ELNS1_11target_archE4294967295ELNS1_3gpuE0ELNS1_3repE0EEENS1_30default_config_static_selectorELNS0_4arch9wavefront6targetE0EEEvT1_
	.p2align	8
	.type	_ZN7rocprim17ROCPRIM_400000_NS6detail17trampoline_kernelINS0_14default_configENS1_25transform_config_selectorItLb0EEEZNS1_14transform_implILb0ES3_S5_PtN6thrust23THRUST_200600_302600_NS6detail15normal_iteratorINS9_10device_ptrItEEEENS0_8identityItEEEE10hipError_tT2_T3_mT4_P12ihipStream_tbEUlT_E_NS1_11comp_targetILNS1_3genE0ELNS1_11target_archE4294967295ELNS1_3gpuE0ELNS1_3repE0EEENS1_30default_config_static_selectorELNS0_4arch9wavefront6targetE0EEEvT1_,@function
_ZN7rocprim17ROCPRIM_400000_NS6detail17trampoline_kernelINS0_14default_configENS1_25transform_config_selectorItLb0EEEZNS1_14transform_implILb0ES3_S5_PtN6thrust23THRUST_200600_302600_NS6detail15normal_iteratorINS9_10device_ptrItEEEENS0_8identityItEEEE10hipError_tT2_T3_mT4_P12ihipStream_tbEUlT_E_NS1_11comp_targetILNS1_3genE0ELNS1_11target_archE4294967295ELNS1_3gpuE0ELNS1_3repE0EEENS1_30default_config_static_selectorELNS0_4arch9wavefront6targetE0EEEvT1_: ; @_ZN7rocprim17ROCPRIM_400000_NS6detail17trampoline_kernelINS0_14default_configENS1_25transform_config_selectorItLb0EEEZNS1_14transform_implILb0ES3_S5_PtN6thrust23THRUST_200600_302600_NS6detail15normal_iteratorINS9_10device_ptrItEEEENS0_8identityItEEEE10hipError_tT2_T3_mT4_P12ihipStream_tbEUlT_E_NS1_11comp_targetILNS1_3genE0ELNS1_11target_archE4294967295ELNS1_3gpuE0ELNS1_3repE0EEENS1_30default_config_static_selectorELNS0_4arch9wavefront6targetE0EEEvT1_
; %bb.0:
	.section	.rodata,"a",@progbits
	.p2align	6, 0x0
	.amdhsa_kernel _ZN7rocprim17ROCPRIM_400000_NS6detail17trampoline_kernelINS0_14default_configENS1_25transform_config_selectorItLb0EEEZNS1_14transform_implILb0ES3_S5_PtN6thrust23THRUST_200600_302600_NS6detail15normal_iteratorINS9_10device_ptrItEEEENS0_8identityItEEEE10hipError_tT2_T3_mT4_P12ihipStream_tbEUlT_E_NS1_11comp_targetILNS1_3genE0ELNS1_11target_archE4294967295ELNS1_3gpuE0ELNS1_3repE0EEENS1_30default_config_static_selectorELNS0_4arch9wavefront6targetE0EEEvT1_
		.amdhsa_group_segment_fixed_size 0
		.amdhsa_private_segment_fixed_size 0
		.amdhsa_kernarg_size 40
		.amdhsa_user_sgpr_count 6
		.amdhsa_user_sgpr_private_segment_buffer 1
		.amdhsa_user_sgpr_dispatch_ptr 0
		.amdhsa_user_sgpr_queue_ptr 0
		.amdhsa_user_sgpr_kernarg_segment_ptr 1
		.amdhsa_user_sgpr_dispatch_id 0
		.amdhsa_user_sgpr_flat_scratch_init 0
		.amdhsa_user_sgpr_private_segment_size 0
		.amdhsa_wavefront_size32 1
		.amdhsa_uses_dynamic_stack 0
		.amdhsa_system_sgpr_private_segment_wavefront_offset 0
		.amdhsa_system_sgpr_workgroup_id_x 1
		.amdhsa_system_sgpr_workgroup_id_y 0
		.amdhsa_system_sgpr_workgroup_id_z 0
		.amdhsa_system_sgpr_workgroup_info 0
		.amdhsa_system_vgpr_workitem_id 0
		.amdhsa_next_free_vgpr 1
		.amdhsa_next_free_sgpr 1
		.amdhsa_reserve_vcc 0
		.amdhsa_reserve_flat_scratch 0
		.amdhsa_float_round_mode_32 0
		.amdhsa_float_round_mode_16_64 0
		.amdhsa_float_denorm_mode_32 3
		.amdhsa_float_denorm_mode_16_64 3
		.amdhsa_dx10_clamp 1
		.amdhsa_ieee_mode 1
		.amdhsa_fp16_overflow 0
		.amdhsa_workgroup_processor_mode 1
		.amdhsa_memory_ordered 1
		.amdhsa_forward_progress 1
		.amdhsa_shared_vgpr_count 0
		.amdhsa_exception_fp_ieee_invalid_op 0
		.amdhsa_exception_fp_denorm_src 0
		.amdhsa_exception_fp_ieee_div_zero 0
		.amdhsa_exception_fp_ieee_overflow 0
		.amdhsa_exception_fp_ieee_underflow 0
		.amdhsa_exception_fp_ieee_inexact 0
		.amdhsa_exception_int_div_zero 0
	.end_amdhsa_kernel
	.section	.text._ZN7rocprim17ROCPRIM_400000_NS6detail17trampoline_kernelINS0_14default_configENS1_25transform_config_selectorItLb0EEEZNS1_14transform_implILb0ES3_S5_PtN6thrust23THRUST_200600_302600_NS6detail15normal_iteratorINS9_10device_ptrItEEEENS0_8identityItEEEE10hipError_tT2_T3_mT4_P12ihipStream_tbEUlT_E_NS1_11comp_targetILNS1_3genE0ELNS1_11target_archE4294967295ELNS1_3gpuE0ELNS1_3repE0EEENS1_30default_config_static_selectorELNS0_4arch9wavefront6targetE0EEEvT1_,"axG",@progbits,_ZN7rocprim17ROCPRIM_400000_NS6detail17trampoline_kernelINS0_14default_configENS1_25transform_config_selectorItLb0EEEZNS1_14transform_implILb0ES3_S5_PtN6thrust23THRUST_200600_302600_NS6detail15normal_iteratorINS9_10device_ptrItEEEENS0_8identityItEEEE10hipError_tT2_T3_mT4_P12ihipStream_tbEUlT_E_NS1_11comp_targetILNS1_3genE0ELNS1_11target_archE4294967295ELNS1_3gpuE0ELNS1_3repE0EEENS1_30default_config_static_selectorELNS0_4arch9wavefront6targetE0EEEvT1_,comdat
.Lfunc_end290:
	.size	_ZN7rocprim17ROCPRIM_400000_NS6detail17trampoline_kernelINS0_14default_configENS1_25transform_config_selectorItLb0EEEZNS1_14transform_implILb0ES3_S5_PtN6thrust23THRUST_200600_302600_NS6detail15normal_iteratorINS9_10device_ptrItEEEENS0_8identityItEEEE10hipError_tT2_T3_mT4_P12ihipStream_tbEUlT_E_NS1_11comp_targetILNS1_3genE0ELNS1_11target_archE4294967295ELNS1_3gpuE0ELNS1_3repE0EEENS1_30default_config_static_selectorELNS0_4arch9wavefront6targetE0EEEvT1_, .Lfunc_end290-_ZN7rocprim17ROCPRIM_400000_NS6detail17trampoline_kernelINS0_14default_configENS1_25transform_config_selectorItLb0EEEZNS1_14transform_implILb0ES3_S5_PtN6thrust23THRUST_200600_302600_NS6detail15normal_iteratorINS9_10device_ptrItEEEENS0_8identityItEEEE10hipError_tT2_T3_mT4_P12ihipStream_tbEUlT_E_NS1_11comp_targetILNS1_3genE0ELNS1_11target_archE4294967295ELNS1_3gpuE0ELNS1_3repE0EEENS1_30default_config_static_selectorELNS0_4arch9wavefront6targetE0EEEvT1_
                                        ; -- End function
	.set _ZN7rocprim17ROCPRIM_400000_NS6detail17trampoline_kernelINS0_14default_configENS1_25transform_config_selectorItLb0EEEZNS1_14transform_implILb0ES3_S5_PtN6thrust23THRUST_200600_302600_NS6detail15normal_iteratorINS9_10device_ptrItEEEENS0_8identityItEEEE10hipError_tT2_T3_mT4_P12ihipStream_tbEUlT_E_NS1_11comp_targetILNS1_3genE0ELNS1_11target_archE4294967295ELNS1_3gpuE0ELNS1_3repE0EEENS1_30default_config_static_selectorELNS0_4arch9wavefront6targetE0EEEvT1_.num_vgpr, 0
	.set _ZN7rocprim17ROCPRIM_400000_NS6detail17trampoline_kernelINS0_14default_configENS1_25transform_config_selectorItLb0EEEZNS1_14transform_implILb0ES3_S5_PtN6thrust23THRUST_200600_302600_NS6detail15normal_iteratorINS9_10device_ptrItEEEENS0_8identityItEEEE10hipError_tT2_T3_mT4_P12ihipStream_tbEUlT_E_NS1_11comp_targetILNS1_3genE0ELNS1_11target_archE4294967295ELNS1_3gpuE0ELNS1_3repE0EEENS1_30default_config_static_selectorELNS0_4arch9wavefront6targetE0EEEvT1_.num_agpr, 0
	.set _ZN7rocprim17ROCPRIM_400000_NS6detail17trampoline_kernelINS0_14default_configENS1_25transform_config_selectorItLb0EEEZNS1_14transform_implILb0ES3_S5_PtN6thrust23THRUST_200600_302600_NS6detail15normal_iteratorINS9_10device_ptrItEEEENS0_8identityItEEEE10hipError_tT2_T3_mT4_P12ihipStream_tbEUlT_E_NS1_11comp_targetILNS1_3genE0ELNS1_11target_archE4294967295ELNS1_3gpuE0ELNS1_3repE0EEENS1_30default_config_static_selectorELNS0_4arch9wavefront6targetE0EEEvT1_.numbered_sgpr, 0
	.set _ZN7rocprim17ROCPRIM_400000_NS6detail17trampoline_kernelINS0_14default_configENS1_25transform_config_selectorItLb0EEEZNS1_14transform_implILb0ES3_S5_PtN6thrust23THRUST_200600_302600_NS6detail15normal_iteratorINS9_10device_ptrItEEEENS0_8identityItEEEE10hipError_tT2_T3_mT4_P12ihipStream_tbEUlT_E_NS1_11comp_targetILNS1_3genE0ELNS1_11target_archE4294967295ELNS1_3gpuE0ELNS1_3repE0EEENS1_30default_config_static_selectorELNS0_4arch9wavefront6targetE0EEEvT1_.num_named_barrier, 0
	.set _ZN7rocprim17ROCPRIM_400000_NS6detail17trampoline_kernelINS0_14default_configENS1_25transform_config_selectorItLb0EEEZNS1_14transform_implILb0ES3_S5_PtN6thrust23THRUST_200600_302600_NS6detail15normal_iteratorINS9_10device_ptrItEEEENS0_8identityItEEEE10hipError_tT2_T3_mT4_P12ihipStream_tbEUlT_E_NS1_11comp_targetILNS1_3genE0ELNS1_11target_archE4294967295ELNS1_3gpuE0ELNS1_3repE0EEENS1_30default_config_static_selectorELNS0_4arch9wavefront6targetE0EEEvT1_.private_seg_size, 0
	.set _ZN7rocprim17ROCPRIM_400000_NS6detail17trampoline_kernelINS0_14default_configENS1_25transform_config_selectorItLb0EEEZNS1_14transform_implILb0ES3_S5_PtN6thrust23THRUST_200600_302600_NS6detail15normal_iteratorINS9_10device_ptrItEEEENS0_8identityItEEEE10hipError_tT2_T3_mT4_P12ihipStream_tbEUlT_E_NS1_11comp_targetILNS1_3genE0ELNS1_11target_archE4294967295ELNS1_3gpuE0ELNS1_3repE0EEENS1_30default_config_static_selectorELNS0_4arch9wavefront6targetE0EEEvT1_.uses_vcc, 0
	.set _ZN7rocprim17ROCPRIM_400000_NS6detail17trampoline_kernelINS0_14default_configENS1_25transform_config_selectorItLb0EEEZNS1_14transform_implILb0ES3_S5_PtN6thrust23THRUST_200600_302600_NS6detail15normal_iteratorINS9_10device_ptrItEEEENS0_8identityItEEEE10hipError_tT2_T3_mT4_P12ihipStream_tbEUlT_E_NS1_11comp_targetILNS1_3genE0ELNS1_11target_archE4294967295ELNS1_3gpuE0ELNS1_3repE0EEENS1_30default_config_static_selectorELNS0_4arch9wavefront6targetE0EEEvT1_.uses_flat_scratch, 0
	.set _ZN7rocprim17ROCPRIM_400000_NS6detail17trampoline_kernelINS0_14default_configENS1_25transform_config_selectorItLb0EEEZNS1_14transform_implILb0ES3_S5_PtN6thrust23THRUST_200600_302600_NS6detail15normal_iteratorINS9_10device_ptrItEEEENS0_8identityItEEEE10hipError_tT2_T3_mT4_P12ihipStream_tbEUlT_E_NS1_11comp_targetILNS1_3genE0ELNS1_11target_archE4294967295ELNS1_3gpuE0ELNS1_3repE0EEENS1_30default_config_static_selectorELNS0_4arch9wavefront6targetE0EEEvT1_.has_dyn_sized_stack, 0
	.set _ZN7rocprim17ROCPRIM_400000_NS6detail17trampoline_kernelINS0_14default_configENS1_25transform_config_selectorItLb0EEEZNS1_14transform_implILb0ES3_S5_PtN6thrust23THRUST_200600_302600_NS6detail15normal_iteratorINS9_10device_ptrItEEEENS0_8identityItEEEE10hipError_tT2_T3_mT4_P12ihipStream_tbEUlT_E_NS1_11comp_targetILNS1_3genE0ELNS1_11target_archE4294967295ELNS1_3gpuE0ELNS1_3repE0EEENS1_30default_config_static_selectorELNS0_4arch9wavefront6targetE0EEEvT1_.has_recursion, 0
	.set _ZN7rocprim17ROCPRIM_400000_NS6detail17trampoline_kernelINS0_14default_configENS1_25transform_config_selectorItLb0EEEZNS1_14transform_implILb0ES3_S5_PtN6thrust23THRUST_200600_302600_NS6detail15normal_iteratorINS9_10device_ptrItEEEENS0_8identityItEEEE10hipError_tT2_T3_mT4_P12ihipStream_tbEUlT_E_NS1_11comp_targetILNS1_3genE0ELNS1_11target_archE4294967295ELNS1_3gpuE0ELNS1_3repE0EEENS1_30default_config_static_selectorELNS0_4arch9wavefront6targetE0EEEvT1_.has_indirect_call, 0
	.section	.AMDGPU.csdata,"",@progbits
; Kernel info:
; codeLenInByte = 0
; TotalNumSgprs: 0
; NumVgprs: 0
; ScratchSize: 0
; MemoryBound: 0
; FloatMode: 240
; IeeeMode: 1
; LDSByteSize: 0 bytes/workgroup (compile time only)
; SGPRBlocks: 0
; VGPRBlocks: 0
; NumSGPRsForWavesPerEU: 1
; NumVGPRsForWavesPerEU: 1
; Occupancy: 16
; WaveLimiterHint : 0
; COMPUTE_PGM_RSRC2:SCRATCH_EN: 0
; COMPUTE_PGM_RSRC2:USER_SGPR: 6
; COMPUTE_PGM_RSRC2:TRAP_HANDLER: 0
; COMPUTE_PGM_RSRC2:TGID_X_EN: 1
; COMPUTE_PGM_RSRC2:TGID_Y_EN: 0
; COMPUTE_PGM_RSRC2:TGID_Z_EN: 0
; COMPUTE_PGM_RSRC2:TIDIG_COMP_CNT: 0
	.section	.text._ZN7rocprim17ROCPRIM_400000_NS6detail17trampoline_kernelINS0_14default_configENS1_25transform_config_selectorItLb0EEEZNS1_14transform_implILb0ES3_S5_PtN6thrust23THRUST_200600_302600_NS6detail15normal_iteratorINS9_10device_ptrItEEEENS0_8identityItEEEE10hipError_tT2_T3_mT4_P12ihipStream_tbEUlT_E_NS1_11comp_targetILNS1_3genE5ELNS1_11target_archE942ELNS1_3gpuE9ELNS1_3repE0EEENS1_30default_config_static_selectorELNS0_4arch9wavefront6targetE0EEEvT1_,"axG",@progbits,_ZN7rocprim17ROCPRIM_400000_NS6detail17trampoline_kernelINS0_14default_configENS1_25transform_config_selectorItLb0EEEZNS1_14transform_implILb0ES3_S5_PtN6thrust23THRUST_200600_302600_NS6detail15normal_iteratorINS9_10device_ptrItEEEENS0_8identityItEEEE10hipError_tT2_T3_mT4_P12ihipStream_tbEUlT_E_NS1_11comp_targetILNS1_3genE5ELNS1_11target_archE942ELNS1_3gpuE9ELNS1_3repE0EEENS1_30default_config_static_selectorELNS0_4arch9wavefront6targetE0EEEvT1_,comdat
	.protected	_ZN7rocprim17ROCPRIM_400000_NS6detail17trampoline_kernelINS0_14default_configENS1_25transform_config_selectorItLb0EEEZNS1_14transform_implILb0ES3_S5_PtN6thrust23THRUST_200600_302600_NS6detail15normal_iteratorINS9_10device_ptrItEEEENS0_8identityItEEEE10hipError_tT2_T3_mT4_P12ihipStream_tbEUlT_E_NS1_11comp_targetILNS1_3genE5ELNS1_11target_archE942ELNS1_3gpuE9ELNS1_3repE0EEENS1_30default_config_static_selectorELNS0_4arch9wavefront6targetE0EEEvT1_ ; -- Begin function _ZN7rocprim17ROCPRIM_400000_NS6detail17trampoline_kernelINS0_14default_configENS1_25transform_config_selectorItLb0EEEZNS1_14transform_implILb0ES3_S5_PtN6thrust23THRUST_200600_302600_NS6detail15normal_iteratorINS9_10device_ptrItEEEENS0_8identityItEEEE10hipError_tT2_T3_mT4_P12ihipStream_tbEUlT_E_NS1_11comp_targetILNS1_3genE5ELNS1_11target_archE942ELNS1_3gpuE9ELNS1_3repE0EEENS1_30default_config_static_selectorELNS0_4arch9wavefront6targetE0EEEvT1_
	.globl	_ZN7rocprim17ROCPRIM_400000_NS6detail17trampoline_kernelINS0_14default_configENS1_25transform_config_selectorItLb0EEEZNS1_14transform_implILb0ES3_S5_PtN6thrust23THRUST_200600_302600_NS6detail15normal_iteratorINS9_10device_ptrItEEEENS0_8identityItEEEE10hipError_tT2_T3_mT4_P12ihipStream_tbEUlT_E_NS1_11comp_targetILNS1_3genE5ELNS1_11target_archE942ELNS1_3gpuE9ELNS1_3repE0EEENS1_30default_config_static_selectorELNS0_4arch9wavefront6targetE0EEEvT1_
	.p2align	8
	.type	_ZN7rocprim17ROCPRIM_400000_NS6detail17trampoline_kernelINS0_14default_configENS1_25transform_config_selectorItLb0EEEZNS1_14transform_implILb0ES3_S5_PtN6thrust23THRUST_200600_302600_NS6detail15normal_iteratorINS9_10device_ptrItEEEENS0_8identityItEEEE10hipError_tT2_T3_mT4_P12ihipStream_tbEUlT_E_NS1_11comp_targetILNS1_3genE5ELNS1_11target_archE942ELNS1_3gpuE9ELNS1_3repE0EEENS1_30default_config_static_selectorELNS0_4arch9wavefront6targetE0EEEvT1_,@function
_ZN7rocprim17ROCPRIM_400000_NS6detail17trampoline_kernelINS0_14default_configENS1_25transform_config_selectorItLb0EEEZNS1_14transform_implILb0ES3_S5_PtN6thrust23THRUST_200600_302600_NS6detail15normal_iteratorINS9_10device_ptrItEEEENS0_8identityItEEEE10hipError_tT2_T3_mT4_P12ihipStream_tbEUlT_E_NS1_11comp_targetILNS1_3genE5ELNS1_11target_archE942ELNS1_3gpuE9ELNS1_3repE0EEENS1_30default_config_static_selectorELNS0_4arch9wavefront6targetE0EEEvT1_: ; @_ZN7rocprim17ROCPRIM_400000_NS6detail17trampoline_kernelINS0_14default_configENS1_25transform_config_selectorItLb0EEEZNS1_14transform_implILb0ES3_S5_PtN6thrust23THRUST_200600_302600_NS6detail15normal_iteratorINS9_10device_ptrItEEEENS0_8identityItEEEE10hipError_tT2_T3_mT4_P12ihipStream_tbEUlT_E_NS1_11comp_targetILNS1_3genE5ELNS1_11target_archE942ELNS1_3gpuE9ELNS1_3repE0EEENS1_30default_config_static_selectorELNS0_4arch9wavefront6targetE0EEEvT1_
; %bb.0:
	.section	.rodata,"a",@progbits
	.p2align	6, 0x0
	.amdhsa_kernel _ZN7rocprim17ROCPRIM_400000_NS6detail17trampoline_kernelINS0_14default_configENS1_25transform_config_selectorItLb0EEEZNS1_14transform_implILb0ES3_S5_PtN6thrust23THRUST_200600_302600_NS6detail15normal_iteratorINS9_10device_ptrItEEEENS0_8identityItEEEE10hipError_tT2_T3_mT4_P12ihipStream_tbEUlT_E_NS1_11comp_targetILNS1_3genE5ELNS1_11target_archE942ELNS1_3gpuE9ELNS1_3repE0EEENS1_30default_config_static_selectorELNS0_4arch9wavefront6targetE0EEEvT1_
		.amdhsa_group_segment_fixed_size 0
		.amdhsa_private_segment_fixed_size 0
		.amdhsa_kernarg_size 40
		.amdhsa_user_sgpr_count 6
		.amdhsa_user_sgpr_private_segment_buffer 1
		.amdhsa_user_sgpr_dispatch_ptr 0
		.amdhsa_user_sgpr_queue_ptr 0
		.amdhsa_user_sgpr_kernarg_segment_ptr 1
		.amdhsa_user_sgpr_dispatch_id 0
		.amdhsa_user_sgpr_flat_scratch_init 0
		.amdhsa_user_sgpr_private_segment_size 0
		.amdhsa_wavefront_size32 1
		.amdhsa_uses_dynamic_stack 0
		.amdhsa_system_sgpr_private_segment_wavefront_offset 0
		.amdhsa_system_sgpr_workgroup_id_x 1
		.amdhsa_system_sgpr_workgroup_id_y 0
		.amdhsa_system_sgpr_workgroup_id_z 0
		.amdhsa_system_sgpr_workgroup_info 0
		.amdhsa_system_vgpr_workitem_id 0
		.amdhsa_next_free_vgpr 1
		.amdhsa_next_free_sgpr 1
		.amdhsa_reserve_vcc 0
		.amdhsa_reserve_flat_scratch 0
		.amdhsa_float_round_mode_32 0
		.amdhsa_float_round_mode_16_64 0
		.amdhsa_float_denorm_mode_32 3
		.amdhsa_float_denorm_mode_16_64 3
		.amdhsa_dx10_clamp 1
		.amdhsa_ieee_mode 1
		.amdhsa_fp16_overflow 0
		.amdhsa_workgroup_processor_mode 1
		.amdhsa_memory_ordered 1
		.amdhsa_forward_progress 1
		.amdhsa_shared_vgpr_count 0
		.amdhsa_exception_fp_ieee_invalid_op 0
		.amdhsa_exception_fp_denorm_src 0
		.amdhsa_exception_fp_ieee_div_zero 0
		.amdhsa_exception_fp_ieee_overflow 0
		.amdhsa_exception_fp_ieee_underflow 0
		.amdhsa_exception_fp_ieee_inexact 0
		.amdhsa_exception_int_div_zero 0
	.end_amdhsa_kernel
	.section	.text._ZN7rocprim17ROCPRIM_400000_NS6detail17trampoline_kernelINS0_14default_configENS1_25transform_config_selectorItLb0EEEZNS1_14transform_implILb0ES3_S5_PtN6thrust23THRUST_200600_302600_NS6detail15normal_iteratorINS9_10device_ptrItEEEENS0_8identityItEEEE10hipError_tT2_T3_mT4_P12ihipStream_tbEUlT_E_NS1_11comp_targetILNS1_3genE5ELNS1_11target_archE942ELNS1_3gpuE9ELNS1_3repE0EEENS1_30default_config_static_selectorELNS0_4arch9wavefront6targetE0EEEvT1_,"axG",@progbits,_ZN7rocprim17ROCPRIM_400000_NS6detail17trampoline_kernelINS0_14default_configENS1_25transform_config_selectorItLb0EEEZNS1_14transform_implILb0ES3_S5_PtN6thrust23THRUST_200600_302600_NS6detail15normal_iteratorINS9_10device_ptrItEEEENS0_8identityItEEEE10hipError_tT2_T3_mT4_P12ihipStream_tbEUlT_E_NS1_11comp_targetILNS1_3genE5ELNS1_11target_archE942ELNS1_3gpuE9ELNS1_3repE0EEENS1_30default_config_static_selectorELNS0_4arch9wavefront6targetE0EEEvT1_,comdat
.Lfunc_end291:
	.size	_ZN7rocprim17ROCPRIM_400000_NS6detail17trampoline_kernelINS0_14default_configENS1_25transform_config_selectorItLb0EEEZNS1_14transform_implILb0ES3_S5_PtN6thrust23THRUST_200600_302600_NS6detail15normal_iteratorINS9_10device_ptrItEEEENS0_8identityItEEEE10hipError_tT2_T3_mT4_P12ihipStream_tbEUlT_E_NS1_11comp_targetILNS1_3genE5ELNS1_11target_archE942ELNS1_3gpuE9ELNS1_3repE0EEENS1_30default_config_static_selectorELNS0_4arch9wavefront6targetE0EEEvT1_, .Lfunc_end291-_ZN7rocprim17ROCPRIM_400000_NS6detail17trampoline_kernelINS0_14default_configENS1_25transform_config_selectorItLb0EEEZNS1_14transform_implILb0ES3_S5_PtN6thrust23THRUST_200600_302600_NS6detail15normal_iteratorINS9_10device_ptrItEEEENS0_8identityItEEEE10hipError_tT2_T3_mT4_P12ihipStream_tbEUlT_E_NS1_11comp_targetILNS1_3genE5ELNS1_11target_archE942ELNS1_3gpuE9ELNS1_3repE0EEENS1_30default_config_static_selectorELNS0_4arch9wavefront6targetE0EEEvT1_
                                        ; -- End function
	.set _ZN7rocprim17ROCPRIM_400000_NS6detail17trampoline_kernelINS0_14default_configENS1_25transform_config_selectorItLb0EEEZNS1_14transform_implILb0ES3_S5_PtN6thrust23THRUST_200600_302600_NS6detail15normal_iteratorINS9_10device_ptrItEEEENS0_8identityItEEEE10hipError_tT2_T3_mT4_P12ihipStream_tbEUlT_E_NS1_11comp_targetILNS1_3genE5ELNS1_11target_archE942ELNS1_3gpuE9ELNS1_3repE0EEENS1_30default_config_static_selectorELNS0_4arch9wavefront6targetE0EEEvT1_.num_vgpr, 0
	.set _ZN7rocprim17ROCPRIM_400000_NS6detail17trampoline_kernelINS0_14default_configENS1_25transform_config_selectorItLb0EEEZNS1_14transform_implILb0ES3_S5_PtN6thrust23THRUST_200600_302600_NS6detail15normal_iteratorINS9_10device_ptrItEEEENS0_8identityItEEEE10hipError_tT2_T3_mT4_P12ihipStream_tbEUlT_E_NS1_11comp_targetILNS1_3genE5ELNS1_11target_archE942ELNS1_3gpuE9ELNS1_3repE0EEENS1_30default_config_static_selectorELNS0_4arch9wavefront6targetE0EEEvT1_.num_agpr, 0
	.set _ZN7rocprim17ROCPRIM_400000_NS6detail17trampoline_kernelINS0_14default_configENS1_25transform_config_selectorItLb0EEEZNS1_14transform_implILb0ES3_S5_PtN6thrust23THRUST_200600_302600_NS6detail15normal_iteratorINS9_10device_ptrItEEEENS0_8identityItEEEE10hipError_tT2_T3_mT4_P12ihipStream_tbEUlT_E_NS1_11comp_targetILNS1_3genE5ELNS1_11target_archE942ELNS1_3gpuE9ELNS1_3repE0EEENS1_30default_config_static_selectorELNS0_4arch9wavefront6targetE0EEEvT1_.numbered_sgpr, 0
	.set _ZN7rocprim17ROCPRIM_400000_NS6detail17trampoline_kernelINS0_14default_configENS1_25transform_config_selectorItLb0EEEZNS1_14transform_implILb0ES3_S5_PtN6thrust23THRUST_200600_302600_NS6detail15normal_iteratorINS9_10device_ptrItEEEENS0_8identityItEEEE10hipError_tT2_T3_mT4_P12ihipStream_tbEUlT_E_NS1_11comp_targetILNS1_3genE5ELNS1_11target_archE942ELNS1_3gpuE9ELNS1_3repE0EEENS1_30default_config_static_selectorELNS0_4arch9wavefront6targetE0EEEvT1_.num_named_barrier, 0
	.set _ZN7rocprim17ROCPRIM_400000_NS6detail17trampoline_kernelINS0_14default_configENS1_25transform_config_selectorItLb0EEEZNS1_14transform_implILb0ES3_S5_PtN6thrust23THRUST_200600_302600_NS6detail15normal_iteratorINS9_10device_ptrItEEEENS0_8identityItEEEE10hipError_tT2_T3_mT4_P12ihipStream_tbEUlT_E_NS1_11comp_targetILNS1_3genE5ELNS1_11target_archE942ELNS1_3gpuE9ELNS1_3repE0EEENS1_30default_config_static_selectorELNS0_4arch9wavefront6targetE0EEEvT1_.private_seg_size, 0
	.set _ZN7rocprim17ROCPRIM_400000_NS6detail17trampoline_kernelINS0_14default_configENS1_25transform_config_selectorItLb0EEEZNS1_14transform_implILb0ES3_S5_PtN6thrust23THRUST_200600_302600_NS6detail15normal_iteratorINS9_10device_ptrItEEEENS0_8identityItEEEE10hipError_tT2_T3_mT4_P12ihipStream_tbEUlT_E_NS1_11comp_targetILNS1_3genE5ELNS1_11target_archE942ELNS1_3gpuE9ELNS1_3repE0EEENS1_30default_config_static_selectorELNS0_4arch9wavefront6targetE0EEEvT1_.uses_vcc, 0
	.set _ZN7rocprim17ROCPRIM_400000_NS6detail17trampoline_kernelINS0_14default_configENS1_25transform_config_selectorItLb0EEEZNS1_14transform_implILb0ES3_S5_PtN6thrust23THRUST_200600_302600_NS6detail15normal_iteratorINS9_10device_ptrItEEEENS0_8identityItEEEE10hipError_tT2_T3_mT4_P12ihipStream_tbEUlT_E_NS1_11comp_targetILNS1_3genE5ELNS1_11target_archE942ELNS1_3gpuE9ELNS1_3repE0EEENS1_30default_config_static_selectorELNS0_4arch9wavefront6targetE0EEEvT1_.uses_flat_scratch, 0
	.set _ZN7rocprim17ROCPRIM_400000_NS6detail17trampoline_kernelINS0_14default_configENS1_25transform_config_selectorItLb0EEEZNS1_14transform_implILb0ES3_S5_PtN6thrust23THRUST_200600_302600_NS6detail15normal_iteratorINS9_10device_ptrItEEEENS0_8identityItEEEE10hipError_tT2_T3_mT4_P12ihipStream_tbEUlT_E_NS1_11comp_targetILNS1_3genE5ELNS1_11target_archE942ELNS1_3gpuE9ELNS1_3repE0EEENS1_30default_config_static_selectorELNS0_4arch9wavefront6targetE0EEEvT1_.has_dyn_sized_stack, 0
	.set _ZN7rocprim17ROCPRIM_400000_NS6detail17trampoline_kernelINS0_14default_configENS1_25transform_config_selectorItLb0EEEZNS1_14transform_implILb0ES3_S5_PtN6thrust23THRUST_200600_302600_NS6detail15normal_iteratorINS9_10device_ptrItEEEENS0_8identityItEEEE10hipError_tT2_T3_mT4_P12ihipStream_tbEUlT_E_NS1_11comp_targetILNS1_3genE5ELNS1_11target_archE942ELNS1_3gpuE9ELNS1_3repE0EEENS1_30default_config_static_selectorELNS0_4arch9wavefront6targetE0EEEvT1_.has_recursion, 0
	.set _ZN7rocprim17ROCPRIM_400000_NS6detail17trampoline_kernelINS0_14default_configENS1_25transform_config_selectorItLb0EEEZNS1_14transform_implILb0ES3_S5_PtN6thrust23THRUST_200600_302600_NS6detail15normal_iteratorINS9_10device_ptrItEEEENS0_8identityItEEEE10hipError_tT2_T3_mT4_P12ihipStream_tbEUlT_E_NS1_11comp_targetILNS1_3genE5ELNS1_11target_archE942ELNS1_3gpuE9ELNS1_3repE0EEENS1_30default_config_static_selectorELNS0_4arch9wavefront6targetE0EEEvT1_.has_indirect_call, 0
	.section	.AMDGPU.csdata,"",@progbits
; Kernel info:
; codeLenInByte = 0
; TotalNumSgprs: 0
; NumVgprs: 0
; ScratchSize: 0
; MemoryBound: 0
; FloatMode: 240
; IeeeMode: 1
; LDSByteSize: 0 bytes/workgroup (compile time only)
; SGPRBlocks: 0
; VGPRBlocks: 0
; NumSGPRsForWavesPerEU: 1
; NumVGPRsForWavesPerEU: 1
; Occupancy: 16
; WaveLimiterHint : 0
; COMPUTE_PGM_RSRC2:SCRATCH_EN: 0
; COMPUTE_PGM_RSRC2:USER_SGPR: 6
; COMPUTE_PGM_RSRC2:TRAP_HANDLER: 0
; COMPUTE_PGM_RSRC2:TGID_X_EN: 1
; COMPUTE_PGM_RSRC2:TGID_Y_EN: 0
; COMPUTE_PGM_RSRC2:TGID_Z_EN: 0
; COMPUTE_PGM_RSRC2:TIDIG_COMP_CNT: 0
	.section	.text._ZN7rocprim17ROCPRIM_400000_NS6detail17trampoline_kernelINS0_14default_configENS1_25transform_config_selectorItLb0EEEZNS1_14transform_implILb0ES3_S5_PtN6thrust23THRUST_200600_302600_NS6detail15normal_iteratorINS9_10device_ptrItEEEENS0_8identityItEEEE10hipError_tT2_T3_mT4_P12ihipStream_tbEUlT_E_NS1_11comp_targetILNS1_3genE4ELNS1_11target_archE910ELNS1_3gpuE8ELNS1_3repE0EEENS1_30default_config_static_selectorELNS0_4arch9wavefront6targetE0EEEvT1_,"axG",@progbits,_ZN7rocprim17ROCPRIM_400000_NS6detail17trampoline_kernelINS0_14default_configENS1_25transform_config_selectorItLb0EEEZNS1_14transform_implILb0ES3_S5_PtN6thrust23THRUST_200600_302600_NS6detail15normal_iteratorINS9_10device_ptrItEEEENS0_8identityItEEEE10hipError_tT2_T3_mT4_P12ihipStream_tbEUlT_E_NS1_11comp_targetILNS1_3genE4ELNS1_11target_archE910ELNS1_3gpuE8ELNS1_3repE0EEENS1_30default_config_static_selectorELNS0_4arch9wavefront6targetE0EEEvT1_,comdat
	.protected	_ZN7rocprim17ROCPRIM_400000_NS6detail17trampoline_kernelINS0_14default_configENS1_25transform_config_selectorItLb0EEEZNS1_14transform_implILb0ES3_S5_PtN6thrust23THRUST_200600_302600_NS6detail15normal_iteratorINS9_10device_ptrItEEEENS0_8identityItEEEE10hipError_tT2_T3_mT4_P12ihipStream_tbEUlT_E_NS1_11comp_targetILNS1_3genE4ELNS1_11target_archE910ELNS1_3gpuE8ELNS1_3repE0EEENS1_30default_config_static_selectorELNS0_4arch9wavefront6targetE0EEEvT1_ ; -- Begin function _ZN7rocprim17ROCPRIM_400000_NS6detail17trampoline_kernelINS0_14default_configENS1_25transform_config_selectorItLb0EEEZNS1_14transform_implILb0ES3_S5_PtN6thrust23THRUST_200600_302600_NS6detail15normal_iteratorINS9_10device_ptrItEEEENS0_8identityItEEEE10hipError_tT2_T3_mT4_P12ihipStream_tbEUlT_E_NS1_11comp_targetILNS1_3genE4ELNS1_11target_archE910ELNS1_3gpuE8ELNS1_3repE0EEENS1_30default_config_static_selectorELNS0_4arch9wavefront6targetE0EEEvT1_
	.globl	_ZN7rocprim17ROCPRIM_400000_NS6detail17trampoline_kernelINS0_14default_configENS1_25transform_config_selectorItLb0EEEZNS1_14transform_implILb0ES3_S5_PtN6thrust23THRUST_200600_302600_NS6detail15normal_iteratorINS9_10device_ptrItEEEENS0_8identityItEEEE10hipError_tT2_T3_mT4_P12ihipStream_tbEUlT_E_NS1_11comp_targetILNS1_3genE4ELNS1_11target_archE910ELNS1_3gpuE8ELNS1_3repE0EEENS1_30default_config_static_selectorELNS0_4arch9wavefront6targetE0EEEvT1_
	.p2align	8
	.type	_ZN7rocprim17ROCPRIM_400000_NS6detail17trampoline_kernelINS0_14default_configENS1_25transform_config_selectorItLb0EEEZNS1_14transform_implILb0ES3_S5_PtN6thrust23THRUST_200600_302600_NS6detail15normal_iteratorINS9_10device_ptrItEEEENS0_8identityItEEEE10hipError_tT2_T3_mT4_P12ihipStream_tbEUlT_E_NS1_11comp_targetILNS1_3genE4ELNS1_11target_archE910ELNS1_3gpuE8ELNS1_3repE0EEENS1_30default_config_static_selectorELNS0_4arch9wavefront6targetE0EEEvT1_,@function
_ZN7rocprim17ROCPRIM_400000_NS6detail17trampoline_kernelINS0_14default_configENS1_25transform_config_selectorItLb0EEEZNS1_14transform_implILb0ES3_S5_PtN6thrust23THRUST_200600_302600_NS6detail15normal_iteratorINS9_10device_ptrItEEEENS0_8identityItEEEE10hipError_tT2_T3_mT4_P12ihipStream_tbEUlT_E_NS1_11comp_targetILNS1_3genE4ELNS1_11target_archE910ELNS1_3gpuE8ELNS1_3repE0EEENS1_30default_config_static_selectorELNS0_4arch9wavefront6targetE0EEEvT1_: ; @_ZN7rocprim17ROCPRIM_400000_NS6detail17trampoline_kernelINS0_14default_configENS1_25transform_config_selectorItLb0EEEZNS1_14transform_implILb0ES3_S5_PtN6thrust23THRUST_200600_302600_NS6detail15normal_iteratorINS9_10device_ptrItEEEENS0_8identityItEEEE10hipError_tT2_T3_mT4_P12ihipStream_tbEUlT_E_NS1_11comp_targetILNS1_3genE4ELNS1_11target_archE910ELNS1_3gpuE8ELNS1_3repE0EEENS1_30default_config_static_selectorELNS0_4arch9wavefront6targetE0EEEvT1_
; %bb.0:
	.section	.rodata,"a",@progbits
	.p2align	6, 0x0
	.amdhsa_kernel _ZN7rocprim17ROCPRIM_400000_NS6detail17trampoline_kernelINS0_14default_configENS1_25transform_config_selectorItLb0EEEZNS1_14transform_implILb0ES3_S5_PtN6thrust23THRUST_200600_302600_NS6detail15normal_iteratorINS9_10device_ptrItEEEENS0_8identityItEEEE10hipError_tT2_T3_mT4_P12ihipStream_tbEUlT_E_NS1_11comp_targetILNS1_3genE4ELNS1_11target_archE910ELNS1_3gpuE8ELNS1_3repE0EEENS1_30default_config_static_selectorELNS0_4arch9wavefront6targetE0EEEvT1_
		.amdhsa_group_segment_fixed_size 0
		.amdhsa_private_segment_fixed_size 0
		.amdhsa_kernarg_size 40
		.amdhsa_user_sgpr_count 6
		.amdhsa_user_sgpr_private_segment_buffer 1
		.amdhsa_user_sgpr_dispatch_ptr 0
		.amdhsa_user_sgpr_queue_ptr 0
		.amdhsa_user_sgpr_kernarg_segment_ptr 1
		.amdhsa_user_sgpr_dispatch_id 0
		.amdhsa_user_sgpr_flat_scratch_init 0
		.amdhsa_user_sgpr_private_segment_size 0
		.amdhsa_wavefront_size32 1
		.amdhsa_uses_dynamic_stack 0
		.amdhsa_system_sgpr_private_segment_wavefront_offset 0
		.amdhsa_system_sgpr_workgroup_id_x 1
		.amdhsa_system_sgpr_workgroup_id_y 0
		.amdhsa_system_sgpr_workgroup_id_z 0
		.amdhsa_system_sgpr_workgroup_info 0
		.amdhsa_system_vgpr_workitem_id 0
		.amdhsa_next_free_vgpr 1
		.amdhsa_next_free_sgpr 1
		.amdhsa_reserve_vcc 0
		.amdhsa_reserve_flat_scratch 0
		.amdhsa_float_round_mode_32 0
		.amdhsa_float_round_mode_16_64 0
		.amdhsa_float_denorm_mode_32 3
		.amdhsa_float_denorm_mode_16_64 3
		.amdhsa_dx10_clamp 1
		.amdhsa_ieee_mode 1
		.amdhsa_fp16_overflow 0
		.amdhsa_workgroup_processor_mode 1
		.amdhsa_memory_ordered 1
		.amdhsa_forward_progress 1
		.amdhsa_shared_vgpr_count 0
		.amdhsa_exception_fp_ieee_invalid_op 0
		.amdhsa_exception_fp_denorm_src 0
		.amdhsa_exception_fp_ieee_div_zero 0
		.amdhsa_exception_fp_ieee_overflow 0
		.amdhsa_exception_fp_ieee_underflow 0
		.amdhsa_exception_fp_ieee_inexact 0
		.amdhsa_exception_int_div_zero 0
	.end_amdhsa_kernel
	.section	.text._ZN7rocprim17ROCPRIM_400000_NS6detail17trampoline_kernelINS0_14default_configENS1_25transform_config_selectorItLb0EEEZNS1_14transform_implILb0ES3_S5_PtN6thrust23THRUST_200600_302600_NS6detail15normal_iteratorINS9_10device_ptrItEEEENS0_8identityItEEEE10hipError_tT2_T3_mT4_P12ihipStream_tbEUlT_E_NS1_11comp_targetILNS1_3genE4ELNS1_11target_archE910ELNS1_3gpuE8ELNS1_3repE0EEENS1_30default_config_static_selectorELNS0_4arch9wavefront6targetE0EEEvT1_,"axG",@progbits,_ZN7rocprim17ROCPRIM_400000_NS6detail17trampoline_kernelINS0_14default_configENS1_25transform_config_selectorItLb0EEEZNS1_14transform_implILb0ES3_S5_PtN6thrust23THRUST_200600_302600_NS6detail15normal_iteratorINS9_10device_ptrItEEEENS0_8identityItEEEE10hipError_tT2_T3_mT4_P12ihipStream_tbEUlT_E_NS1_11comp_targetILNS1_3genE4ELNS1_11target_archE910ELNS1_3gpuE8ELNS1_3repE0EEENS1_30default_config_static_selectorELNS0_4arch9wavefront6targetE0EEEvT1_,comdat
.Lfunc_end292:
	.size	_ZN7rocprim17ROCPRIM_400000_NS6detail17trampoline_kernelINS0_14default_configENS1_25transform_config_selectorItLb0EEEZNS1_14transform_implILb0ES3_S5_PtN6thrust23THRUST_200600_302600_NS6detail15normal_iteratorINS9_10device_ptrItEEEENS0_8identityItEEEE10hipError_tT2_T3_mT4_P12ihipStream_tbEUlT_E_NS1_11comp_targetILNS1_3genE4ELNS1_11target_archE910ELNS1_3gpuE8ELNS1_3repE0EEENS1_30default_config_static_selectorELNS0_4arch9wavefront6targetE0EEEvT1_, .Lfunc_end292-_ZN7rocprim17ROCPRIM_400000_NS6detail17trampoline_kernelINS0_14default_configENS1_25transform_config_selectorItLb0EEEZNS1_14transform_implILb0ES3_S5_PtN6thrust23THRUST_200600_302600_NS6detail15normal_iteratorINS9_10device_ptrItEEEENS0_8identityItEEEE10hipError_tT2_T3_mT4_P12ihipStream_tbEUlT_E_NS1_11comp_targetILNS1_3genE4ELNS1_11target_archE910ELNS1_3gpuE8ELNS1_3repE0EEENS1_30default_config_static_selectorELNS0_4arch9wavefront6targetE0EEEvT1_
                                        ; -- End function
	.set _ZN7rocprim17ROCPRIM_400000_NS6detail17trampoline_kernelINS0_14default_configENS1_25transform_config_selectorItLb0EEEZNS1_14transform_implILb0ES3_S5_PtN6thrust23THRUST_200600_302600_NS6detail15normal_iteratorINS9_10device_ptrItEEEENS0_8identityItEEEE10hipError_tT2_T3_mT4_P12ihipStream_tbEUlT_E_NS1_11comp_targetILNS1_3genE4ELNS1_11target_archE910ELNS1_3gpuE8ELNS1_3repE0EEENS1_30default_config_static_selectorELNS0_4arch9wavefront6targetE0EEEvT1_.num_vgpr, 0
	.set _ZN7rocprim17ROCPRIM_400000_NS6detail17trampoline_kernelINS0_14default_configENS1_25transform_config_selectorItLb0EEEZNS1_14transform_implILb0ES3_S5_PtN6thrust23THRUST_200600_302600_NS6detail15normal_iteratorINS9_10device_ptrItEEEENS0_8identityItEEEE10hipError_tT2_T3_mT4_P12ihipStream_tbEUlT_E_NS1_11comp_targetILNS1_3genE4ELNS1_11target_archE910ELNS1_3gpuE8ELNS1_3repE0EEENS1_30default_config_static_selectorELNS0_4arch9wavefront6targetE0EEEvT1_.num_agpr, 0
	.set _ZN7rocprim17ROCPRIM_400000_NS6detail17trampoline_kernelINS0_14default_configENS1_25transform_config_selectorItLb0EEEZNS1_14transform_implILb0ES3_S5_PtN6thrust23THRUST_200600_302600_NS6detail15normal_iteratorINS9_10device_ptrItEEEENS0_8identityItEEEE10hipError_tT2_T3_mT4_P12ihipStream_tbEUlT_E_NS1_11comp_targetILNS1_3genE4ELNS1_11target_archE910ELNS1_3gpuE8ELNS1_3repE0EEENS1_30default_config_static_selectorELNS0_4arch9wavefront6targetE0EEEvT1_.numbered_sgpr, 0
	.set _ZN7rocprim17ROCPRIM_400000_NS6detail17trampoline_kernelINS0_14default_configENS1_25transform_config_selectorItLb0EEEZNS1_14transform_implILb0ES3_S5_PtN6thrust23THRUST_200600_302600_NS6detail15normal_iteratorINS9_10device_ptrItEEEENS0_8identityItEEEE10hipError_tT2_T3_mT4_P12ihipStream_tbEUlT_E_NS1_11comp_targetILNS1_3genE4ELNS1_11target_archE910ELNS1_3gpuE8ELNS1_3repE0EEENS1_30default_config_static_selectorELNS0_4arch9wavefront6targetE0EEEvT1_.num_named_barrier, 0
	.set _ZN7rocprim17ROCPRIM_400000_NS6detail17trampoline_kernelINS0_14default_configENS1_25transform_config_selectorItLb0EEEZNS1_14transform_implILb0ES3_S5_PtN6thrust23THRUST_200600_302600_NS6detail15normal_iteratorINS9_10device_ptrItEEEENS0_8identityItEEEE10hipError_tT2_T3_mT4_P12ihipStream_tbEUlT_E_NS1_11comp_targetILNS1_3genE4ELNS1_11target_archE910ELNS1_3gpuE8ELNS1_3repE0EEENS1_30default_config_static_selectorELNS0_4arch9wavefront6targetE0EEEvT1_.private_seg_size, 0
	.set _ZN7rocprim17ROCPRIM_400000_NS6detail17trampoline_kernelINS0_14default_configENS1_25transform_config_selectorItLb0EEEZNS1_14transform_implILb0ES3_S5_PtN6thrust23THRUST_200600_302600_NS6detail15normal_iteratorINS9_10device_ptrItEEEENS0_8identityItEEEE10hipError_tT2_T3_mT4_P12ihipStream_tbEUlT_E_NS1_11comp_targetILNS1_3genE4ELNS1_11target_archE910ELNS1_3gpuE8ELNS1_3repE0EEENS1_30default_config_static_selectorELNS0_4arch9wavefront6targetE0EEEvT1_.uses_vcc, 0
	.set _ZN7rocprim17ROCPRIM_400000_NS6detail17trampoline_kernelINS0_14default_configENS1_25transform_config_selectorItLb0EEEZNS1_14transform_implILb0ES3_S5_PtN6thrust23THRUST_200600_302600_NS6detail15normal_iteratorINS9_10device_ptrItEEEENS0_8identityItEEEE10hipError_tT2_T3_mT4_P12ihipStream_tbEUlT_E_NS1_11comp_targetILNS1_3genE4ELNS1_11target_archE910ELNS1_3gpuE8ELNS1_3repE0EEENS1_30default_config_static_selectorELNS0_4arch9wavefront6targetE0EEEvT1_.uses_flat_scratch, 0
	.set _ZN7rocprim17ROCPRIM_400000_NS6detail17trampoline_kernelINS0_14default_configENS1_25transform_config_selectorItLb0EEEZNS1_14transform_implILb0ES3_S5_PtN6thrust23THRUST_200600_302600_NS6detail15normal_iteratorINS9_10device_ptrItEEEENS0_8identityItEEEE10hipError_tT2_T3_mT4_P12ihipStream_tbEUlT_E_NS1_11comp_targetILNS1_3genE4ELNS1_11target_archE910ELNS1_3gpuE8ELNS1_3repE0EEENS1_30default_config_static_selectorELNS0_4arch9wavefront6targetE0EEEvT1_.has_dyn_sized_stack, 0
	.set _ZN7rocprim17ROCPRIM_400000_NS6detail17trampoline_kernelINS0_14default_configENS1_25transform_config_selectorItLb0EEEZNS1_14transform_implILb0ES3_S5_PtN6thrust23THRUST_200600_302600_NS6detail15normal_iteratorINS9_10device_ptrItEEEENS0_8identityItEEEE10hipError_tT2_T3_mT4_P12ihipStream_tbEUlT_E_NS1_11comp_targetILNS1_3genE4ELNS1_11target_archE910ELNS1_3gpuE8ELNS1_3repE0EEENS1_30default_config_static_selectorELNS0_4arch9wavefront6targetE0EEEvT1_.has_recursion, 0
	.set _ZN7rocprim17ROCPRIM_400000_NS6detail17trampoline_kernelINS0_14default_configENS1_25transform_config_selectorItLb0EEEZNS1_14transform_implILb0ES3_S5_PtN6thrust23THRUST_200600_302600_NS6detail15normal_iteratorINS9_10device_ptrItEEEENS0_8identityItEEEE10hipError_tT2_T3_mT4_P12ihipStream_tbEUlT_E_NS1_11comp_targetILNS1_3genE4ELNS1_11target_archE910ELNS1_3gpuE8ELNS1_3repE0EEENS1_30default_config_static_selectorELNS0_4arch9wavefront6targetE0EEEvT1_.has_indirect_call, 0
	.section	.AMDGPU.csdata,"",@progbits
; Kernel info:
; codeLenInByte = 0
; TotalNumSgprs: 0
; NumVgprs: 0
; ScratchSize: 0
; MemoryBound: 0
; FloatMode: 240
; IeeeMode: 1
; LDSByteSize: 0 bytes/workgroup (compile time only)
; SGPRBlocks: 0
; VGPRBlocks: 0
; NumSGPRsForWavesPerEU: 1
; NumVGPRsForWavesPerEU: 1
; Occupancy: 16
; WaveLimiterHint : 0
; COMPUTE_PGM_RSRC2:SCRATCH_EN: 0
; COMPUTE_PGM_RSRC2:USER_SGPR: 6
; COMPUTE_PGM_RSRC2:TRAP_HANDLER: 0
; COMPUTE_PGM_RSRC2:TGID_X_EN: 1
; COMPUTE_PGM_RSRC2:TGID_Y_EN: 0
; COMPUTE_PGM_RSRC2:TGID_Z_EN: 0
; COMPUTE_PGM_RSRC2:TIDIG_COMP_CNT: 0
	.section	.text._ZN7rocprim17ROCPRIM_400000_NS6detail17trampoline_kernelINS0_14default_configENS1_25transform_config_selectorItLb0EEEZNS1_14transform_implILb0ES3_S5_PtN6thrust23THRUST_200600_302600_NS6detail15normal_iteratorINS9_10device_ptrItEEEENS0_8identityItEEEE10hipError_tT2_T3_mT4_P12ihipStream_tbEUlT_E_NS1_11comp_targetILNS1_3genE3ELNS1_11target_archE908ELNS1_3gpuE7ELNS1_3repE0EEENS1_30default_config_static_selectorELNS0_4arch9wavefront6targetE0EEEvT1_,"axG",@progbits,_ZN7rocprim17ROCPRIM_400000_NS6detail17trampoline_kernelINS0_14default_configENS1_25transform_config_selectorItLb0EEEZNS1_14transform_implILb0ES3_S5_PtN6thrust23THRUST_200600_302600_NS6detail15normal_iteratorINS9_10device_ptrItEEEENS0_8identityItEEEE10hipError_tT2_T3_mT4_P12ihipStream_tbEUlT_E_NS1_11comp_targetILNS1_3genE3ELNS1_11target_archE908ELNS1_3gpuE7ELNS1_3repE0EEENS1_30default_config_static_selectorELNS0_4arch9wavefront6targetE0EEEvT1_,comdat
	.protected	_ZN7rocprim17ROCPRIM_400000_NS6detail17trampoline_kernelINS0_14default_configENS1_25transform_config_selectorItLb0EEEZNS1_14transform_implILb0ES3_S5_PtN6thrust23THRUST_200600_302600_NS6detail15normal_iteratorINS9_10device_ptrItEEEENS0_8identityItEEEE10hipError_tT2_T3_mT4_P12ihipStream_tbEUlT_E_NS1_11comp_targetILNS1_3genE3ELNS1_11target_archE908ELNS1_3gpuE7ELNS1_3repE0EEENS1_30default_config_static_selectorELNS0_4arch9wavefront6targetE0EEEvT1_ ; -- Begin function _ZN7rocprim17ROCPRIM_400000_NS6detail17trampoline_kernelINS0_14default_configENS1_25transform_config_selectorItLb0EEEZNS1_14transform_implILb0ES3_S5_PtN6thrust23THRUST_200600_302600_NS6detail15normal_iteratorINS9_10device_ptrItEEEENS0_8identityItEEEE10hipError_tT2_T3_mT4_P12ihipStream_tbEUlT_E_NS1_11comp_targetILNS1_3genE3ELNS1_11target_archE908ELNS1_3gpuE7ELNS1_3repE0EEENS1_30default_config_static_selectorELNS0_4arch9wavefront6targetE0EEEvT1_
	.globl	_ZN7rocprim17ROCPRIM_400000_NS6detail17trampoline_kernelINS0_14default_configENS1_25transform_config_selectorItLb0EEEZNS1_14transform_implILb0ES3_S5_PtN6thrust23THRUST_200600_302600_NS6detail15normal_iteratorINS9_10device_ptrItEEEENS0_8identityItEEEE10hipError_tT2_T3_mT4_P12ihipStream_tbEUlT_E_NS1_11comp_targetILNS1_3genE3ELNS1_11target_archE908ELNS1_3gpuE7ELNS1_3repE0EEENS1_30default_config_static_selectorELNS0_4arch9wavefront6targetE0EEEvT1_
	.p2align	8
	.type	_ZN7rocprim17ROCPRIM_400000_NS6detail17trampoline_kernelINS0_14default_configENS1_25transform_config_selectorItLb0EEEZNS1_14transform_implILb0ES3_S5_PtN6thrust23THRUST_200600_302600_NS6detail15normal_iteratorINS9_10device_ptrItEEEENS0_8identityItEEEE10hipError_tT2_T3_mT4_P12ihipStream_tbEUlT_E_NS1_11comp_targetILNS1_3genE3ELNS1_11target_archE908ELNS1_3gpuE7ELNS1_3repE0EEENS1_30default_config_static_selectorELNS0_4arch9wavefront6targetE0EEEvT1_,@function
_ZN7rocprim17ROCPRIM_400000_NS6detail17trampoline_kernelINS0_14default_configENS1_25transform_config_selectorItLb0EEEZNS1_14transform_implILb0ES3_S5_PtN6thrust23THRUST_200600_302600_NS6detail15normal_iteratorINS9_10device_ptrItEEEENS0_8identityItEEEE10hipError_tT2_T3_mT4_P12ihipStream_tbEUlT_E_NS1_11comp_targetILNS1_3genE3ELNS1_11target_archE908ELNS1_3gpuE7ELNS1_3repE0EEENS1_30default_config_static_selectorELNS0_4arch9wavefront6targetE0EEEvT1_: ; @_ZN7rocprim17ROCPRIM_400000_NS6detail17trampoline_kernelINS0_14default_configENS1_25transform_config_selectorItLb0EEEZNS1_14transform_implILb0ES3_S5_PtN6thrust23THRUST_200600_302600_NS6detail15normal_iteratorINS9_10device_ptrItEEEENS0_8identityItEEEE10hipError_tT2_T3_mT4_P12ihipStream_tbEUlT_E_NS1_11comp_targetILNS1_3genE3ELNS1_11target_archE908ELNS1_3gpuE7ELNS1_3repE0EEENS1_30default_config_static_selectorELNS0_4arch9wavefront6targetE0EEEvT1_
; %bb.0:
	.section	.rodata,"a",@progbits
	.p2align	6, 0x0
	.amdhsa_kernel _ZN7rocprim17ROCPRIM_400000_NS6detail17trampoline_kernelINS0_14default_configENS1_25transform_config_selectorItLb0EEEZNS1_14transform_implILb0ES3_S5_PtN6thrust23THRUST_200600_302600_NS6detail15normal_iteratorINS9_10device_ptrItEEEENS0_8identityItEEEE10hipError_tT2_T3_mT4_P12ihipStream_tbEUlT_E_NS1_11comp_targetILNS1_3genE3ELNS1_11target_archE908ELNS1_3gpuE7ELNS1_3repE0EEENS1_30default_config_static_selectorELNS0_4arch9wavefront6targetE0EEEvT1_
		.amdhsa_group_segment_fixed_size 0
		.amdhsa_private_segment_fixed_size 0
		.amdhsa_kernarg_size 40
		.amdhsa_user_sgpr_count 6
		.amdhsa_user_sgpr_private_segment_buffer 1
		.amdhsa_user_sgpr_dispatch_ptr 0
		.amdhsa_user_sgpr_queue_ptr 0
		.amdhsa_user_sgpr_kernarg_segment_ptr 1
		.amdhsa_user_sgpr_dispatch_id 0
		.amdhsa_user_sgpr_flat_scratch_init 0
		.amdhsa_user_sgpr_private_segment_size 0
		.amdhsa_wavefront_size32 1
		.amdhsa_uses_dynamic_stack 0
		.amdhsa_system_sgpr_private_segment_wavefront_offset 0
		.amdhsa_system_sgpr_workgroup_id_x 1
		.amdhsa_system_sgpr_workgroup_id_y 0
		.amdhsa_system_sgpr_workgroup_id_z 0
		.amdhsa_system_sgpr_workgroup_info 0
		.amdhsa_system_vgpr_workitem_id 0
		.amdhsa_next_free_vgpr 1
		.amdhsa_next_free_sgpr 1
		.amdhsa_reserve_vcc 0
		.amdhsa_reserve_flat_scratch 0
		.amdhsa_float_round_mode_32 0
		.amdhsa_float_round_mode_16_64 0
		.amdhsa_float_denorm_mode_32 3
		.amdhsa_float_denorm_mode_16_64 3
		.amdhsa_dx10_clamp 1
		.amdhsa_ieee_mode 1
		.amdhsa_fp16_overflow 0
		.amdhsa_workgroup_processor_mode 1
		.amdhsa_memory_ordered 1
		.amdhsa_forward_progress 1
		.amdhsa_shared_vgpr_count 0
		.amdhsa_exception_fp_ieee_invalid_op 0
		.amdhsa_exception_fp_denorm_src 0
		.amdhsa_exception_fp_ieee_div_zero 0
		.amdhsa_exception_fp_ieee_overflow 0
		.amdhsa_exception_fp_ieee_underflow 0
		.amdhsa_exception_fp_ieee_inexact 0
		.amdhsa_exception_int_div_zero 0
	.end_amdhsa_kernel
	.section	.text._ZN7rocprim17ROCPRIM_400000_NS6detail17trampoline_kernelINS0_14default_configENS1_25transform_config_selectorItLb0EEEZNS1_14transform_implILb0ES3_S5_PtN6thrust23THRUST_200600_302600_NS6detail15normal_iteratorINS9_10device_ptrItEEEENS0_8identityItEEEE10hipError_tT2_T3_mT4_P12ihipStream_tbEUlT_E_NS1_11comp_targetILNS1_3genE3ELNS1_11target_archE908ELNS1_3gpuE7ELNS1_3repE0EEENS1_30default_config_static_selectorELNS0_4arch9wavefront6targetE0EEEvT1_,"axG",@progbits,_ZN7rocprim17ROCPRIM_400000_NS6detail17trampoline_kernelINS0_14default_configENS1_25transform_config_selectorItLb0EEEZNS1_14transform_implILb0ES3_S5_PtN6thrust23THRUST_200600_302600_NS6detail15normal_iteratorINS9_10device_ptrItEEEENS0_8identityItEEEE10hipError_tT2_T3_mT4_P12ihipStream_tbEUlT_E_NS1_11comp_targetILNS1_3genE3ELNS1_11target_archE908ELNS1_3gpuE7ELNS1_3repE0EEENS1_30default_config_static_selectorELNS0_4arch9wavefront6targetE0EEEvT1_,comdat
.Lfunc_end293:
	.size	_ZN7rocprim17ROCPRIM_400000_NS6detail17trampoline_kernelINS0_14default_configENS1_25transform_config_selectorItLb0EEEZNS1_14transform_implILb0ES3_S5_PtN6thrust23THRUST_200600_302600_NS6detail15normal_iteratorINS9_10device_ptrItEEEENS0_8identityItEEEE10hipError_tT2_T3_mT4_P12ihipStream_tbEUlT_E_NS1_11comp_targetILNS1_3genE3ELNS1_11target_archE908ELNS1_3gpuE7ELNS1_3repE0EEENS1_30default_config_static_selectorELNS0_4arch9wavefront6targetE0EEEvT1_, .Lfunc_end293-_ZN7rocprim17ROCPRIM_400000_NS6detail17trampoline_kernelINS0_14default_configENS1_25transform_config_selectorItLb0EEEZNS1_14transform_implILb0ES3_S5_PtN6thrust23THRUST_200600_302600_NS6detail15normal_iteratorINS9_10device_ptrItEEEENS0_8identityItEEEE10hipError_tT2_T3_mT4_P12ihipStream_tbEUlT_E_NS1_11comp_targetILNS1_3genE3ELNS1_11target_archE908ELNS1_3gpuE7ELNS1_3repE0EEENS1_30default_config_static_selectorELNS0_4arch9wavefront6targetE0EEEvT1_
                                        ; -- End function
	.set _ZN7rocprim17ROCPRIM_400000_NS6detail17trampoline_kernelINS0_14default_configENS1_25transform_config_selectorItLb0EEEZNS1_14transform_implILb0ES3_S5_PtN6thrust23THRUST_200600_302600_NS6detail15normal_iteratorINS9_10device_ptrItEEEENS0_8identityItEEEE10hipError_tT2_T3_mT4_P12ihipStream_tbEUlT_E_NS1_11comp_targetILNS1_3genE3ELNS1_11target_archE908ELNS1_3gpuE7ELNS1_3repE0EEENS1_30default_config_static_selectorELNS0_4arch9wavefront6targetE0EEEvT1_.num_vgpr, 0
	.set _ZN7rocprim17ROCPRIM_400000_NS6detail17trampoline_kernelINS0_14default_configENS1_25transform_config_selectorItLb0EEEZNS1_14transform_implILb0ES3_S5_PtN6thrust23THRUST_200600_302600_NS6detail15normal_iteratorINS9_10device_ptrItEEEENS0_8identityItEEEE10hipError_tT2_T3_mT4_P12ihipStream_tbEUlT_E_NS1_11comp_targetILNS1_3genE3ELNS1_11target_archE908ELNS1_3gpuE7ELNS1_3repE0EEENS1_30default_config_static_selectorELNS0_4arch9wavefront6targetE0EEEvT1_.num_agpr, 0
	.set _ZN7rocprim17ROCPRIM_400000_NS6detail17trampoline_kernelINS0_14default_configENS1_25transform_config_selectorItLb0EEEZNS1_14transform_implILb0ES3_S5_PtN6thrust23THRUST_200600_302600_NS6detail15normal_iteratorINS9_10device_ptrItEEEENS0_8identityItEEEE10hipError_tT2_T3_mT4_P12ihipStream_tbEUlT_E_NS1_11comp_targetILNS1_3genE3ELNS1_11target_archE908ELNS1_3gpuE7ELNS1_3repE0EEENS1_30default_config_static_selectorELNS0_4arch9wavefront6targetE0EEEvT1_.numbered_sgpr, 0
	.set _ZN7rocprim17ROCPRIM_400000_NS6detail17trampoline_kernelINS0_14default_configENS1_25transform_config_selectorItLb0EEEZNS1_14transform_implILb0ES3_S5_PtN6thrust23THRUST_200600_302600_NS6detail15normal_iteratorINS9_10device_ptrItEEEENS0_8identityItEEEE10hipError_tT2_T3_mT4_P12ihipStream_tbEUlT_E_NS1_11comp_targetILNS1_3genE3ELNS1_11target_archE908ELNS1_3gpuE7ELNS1_3repE0EEENS1_30default_config_static_selectorELNS0_4arch9wavefront6targetE0EEEvT1_.num_named_barrier, 0
	.set _ZN7rocprim17ROCPRIM_400000_NS6detail17trampoline_kernelINS0_14default_configENS1_25transform_config_selectorItLb0EEEZNS1_14transform_implILb0ES3_S5_PtN6thrust23THRUST_200600_302600_NS6detail15normal_iteratorINS9_10device_ptrItEEEENS0_8identityItEEEE10hipError_tT2_T3_mT4_P12ihipStream_tbEUlT_E_NS1_11comp_targetILNS1_3genE3ELNS1_11target_archE908ELNS1_3gpuE7ELNS1_3repE0EEENS1_30default_config_static_selectorELNS0_4arch9wavefront6targetE0EEEvT1_.private_seg_size, 0
	.set _ZN7rocprim17ROCPRIM_400000_NS6detail17trampoline_kernelINS0_14default_configENS1_25transform_config_selectorItLb0EEEZNS1_14transform_implILb0ES3_S5_PtN6thrust23THRUST_200600_302600_NS6detail15normal_iteratorINS9_10device_ptrItEEEENS0_8identityItEEEE10hipError_tT2_T3_mT4_P12ihipStream_tbEUlT_E_NS1_11comp_targetILNS1_3genE3ELNS1_11target_archE908ELNS1_3gpuE7ELNS1_3repE0EEENS1_30default_config_static_selectorELNS0_4arch9wavefront6targetE0EEEvT1_.uses_vcc, 0
	.set _ZN7rocprim17ROCPRIM_400000_NS6detail17trampoline_kernelINS0_14default_configENS1_25transform_config_selectorItLb0EEEZNS1_14transform_implILb0ES3_S5_PtN6thrust23THRUST_200600_302600_NS6detail15normal_iteratorINS9_10device_ptrItEEEENS0_8identityItEEEE10hipError_tT2_T3_mT4_P12ihipStream_tbEUlT_E_NS1_11comp_targetILNS1_3genE3ELNS1_11target_archE908ELNS1_3gpuE7ELNS1_3repE0EEENS1_30default_config_static_selectorELNS0_4arch9wavefront6targetE0EEEvT1_.uses_flat_scratch, 0
	.set _ZN7rocprim17ROCPRIM_400000_NS6detail17trampoline_kernelINS0_14default_configENS1_25transform_config_selectorItLb0EEEZNS1_14transform_implILb0ES3_S5_PtN6thrust23THRUST_200600_302600_NS6detail15normal_iteratorINS9_10device_ptrItEEEENS0_8identityItEEEE10hipError_tT2_T3_mT4_P12ihipStream_tbEUlT_E_NS1_11comp_targetILNS1_3genE3ELNS1_11target_archE908ELNS1_3gpuE7ELNS1_3repE0EEENS1_30default_config_static_selectorELNS0_4arch9wavefront6targetE0EEEvT1_.has_dyn_sized_stack, 0
	.set _ZN7rocprim17ROCPRIM_400000_NS6detail17trampoline_kernelINS0_14default_configENS1_25transform_config_selectorItLb0EEEZNS1_14transform_implILb0ES3_S5_PtN6thrust23THRUST_200600_302600_NS6detail15normal_iteratorINS9_10device_ptrItEEEENS0_8identityItEEEE10hipError_tT2_T3_mT4_P12ihipStream_tbEUlT_E_NS1_11comp_targetILNS1_3genE3ELNS1_11target_archE908ELNS1_3gpuE7ELNS1_3repE0EEENS1_30default_config_static_selectorELNS0_4arch9wavefront6targetE0EEEvT1_.has_recursion, 0
	.set _ZN7rocprim17ROCPRIM_400000_NS6detail17trampoline_kernelINS0_14default_configENS1_25transform_config_selectorItLb0EEEZNS1_14transform_implILb0ES3_S5_PtN6thrust23THRUST_200600_302600_NS6detail15normal_iteratorINS9_10device_ptrItEEEENS0_8identityItEEEE10hipError_tT2_T3_mT4_P12ihipStream_tbEUlT_E_NS1_11comp_targetILNS1_3genE3ELNS1_11target_archE908ELNS1_3gpuE7ELNS1_3repE0EEENS1_30default_config_static_selectorELNS0_4arch9wavefront6targetE0EEEvT1_.has_indirect_call, 0
	.section	.AMDGPU.csdata,"",@progbits
; Kernel info:
; codeLenInByte = 0
; TotalNumSgprs: 0
; NumVgprs: 0
; ScratchSize: 0
; MemoryBound: 0
; FloatMode: 240
; IeeeMode: 1
; LDSByteSize: 0 bytes/workgroup (compile time only)
; SGPRBlocks: 0
; VGPRBlocks: 0
; NumSGPRsForWavesPerEU: 1
; NumVGPRsForWavesPerEU: 1
; Occupancy: 16
; WaveLimiterHint : 0
; COMPUTE_PGM_RSRC2:SCRATCH_EN: 0
; COMPUTE_PGM_RSRC2:USER_SGPR: 6
; COMPUTE_PGM_RSRC2:TRAP_HANDLER: 0
; COMPUTE_PGM_RSRC2:TGID_X_EN: 1
; COMPUTE_PGM_RSRC2:TGID_Y_EN: 0
; COMPUTE_PGM_RSRC2:TGID_Z_EN: 0
; COMPUTE_PGM_RSRC2:TIDIG_COMP_CNT: 0
	.section	.text._ZN7rocprim17ROCPRIM_400000_NS6detail17trampoline_kernelINS0_14default_configENS1_25transform_config_selectorItLb0EEEZNS1_14transform_implILb0ES3_S5_PtN6thrust23THRUST_200600_302600_NS6detail15normal_iteratorINS9_10device_ptrItEEEENS0_8identityItEEEE10hipError_tT2_T3_mT4_P12ihipStream_tbEUlT_E_NS1_11comp_targetILNS1_3genE2ELNS1_11target_archE906ELNS1_3gpuE6ELNS1_3repE0EEENS1_30default_config_static_selectorELNS0_4arch9wavefront6targetE0EEEvT1_,"axG",@progbits,_ZN7rocprim17ROCPRIM_400000_NS6detail17trampoline_kernelINS0_14default_configENS1_25transform_config_selectorItLb0EEEZNS1_14transform_implILb0ES3_S5_PtN6thrust23THRUST_200600_302600_NS6detail15normal_iteratorINS9_10device_ptrItEEEENS0_8identityItEEEE10hipError_tT2_T3_mT4_P12ihipStream_tbEUlT_E_NS1_11comp_targetILNS1_3genE2ELNS1_11target_archE906ELNS1_3gpuE6ELNS1_3repE0EEENS1_30default_config_static_selectorELNS0_4arch9wavefront6targetE0EEEvT1_,comdat
	.protected	_ZN7rocprim17ROCPRIM_400000_NS6detail17trampoline_kernelINS0_14default_configENS1_25transform_config_selectorItLb0EEEZNS1_14transform_implILb0ES3_S5_PtN6thrust23THRUST_200600_302600_NS6detail15normal_iteratorINS9_10device_ptrItEEEENS0_8identityItEEEE10hipError_tT2_T3_mT4_P12ihipStream_tbEUlT_E_NS1_11comp_targetILNS1_3genE2ELNS1_11target_archE906ELNS1_3gpuE6ELNS1_3repE0EEENS1_30default_config_static_selectorELNS0_4arch9wavefront6targetE0EEEvT1_ ; -- Begin function _ZN7rocprim17ROCPRIM_400000_NS6detail17trampoline_kernelINS0_14default_configENS1_25transform_config_selectorItLb0EEEZNS1_14transform_implILb0ES3_S5_PtN6thrust23THRUST_200600_302600_NS6detail15normal_iteratorINS9_10device_ptrItEEEENS0_8identityItEEEE10hipError_tT2_T3_mT4_P12ihipStream_tbEUlT_E_NS1_11comp_targetILNS1_3genE2ELNS1_11target_archE906ELNS1_3gpuE6ELNS1_3repE0EEENS1_30default_config_static_selectorELNS0_4arch9wavefront6targetE0EEEvT1_
	.globl	_ZN7rocprim17ROCPRIM_400000_NS6detail17trampoline_kernelINS0_14default_configENS1_25transform_config_selectorItLb0EEEZNS1_14transform_implILb0ES3_S5_PtN6thrust23THRUST_200600_302600_NS6detail15normal_iteratorINS9_10device_ptrItEEEENS0_8identityItEEEE10hipError_tT2_T3_mT4_P12ihipStream_tbEUlT_E_NS1_11comp_targetILNS1_3genE2ELNS1_11target_archE906ELNS1_3gpuE6ELNS1_3repE0EEENS1_30default_config_static_selectorELNS0_4arch9wavefront6targetE0EEEvT1_
	.p2align	8
	.type	_ZN7rocprim17ROCPRIM_400000_NS6detail17trampoline_kernelINS0_14default_configENS1_25transform_config_selectorItLb0EEEZNS1_14transform_implILb0ES3_S5_PtN6thrust23THRUST_200600_302600_NS6detail15normal_iteratorINS9_10device_ptrItEEEENS0_8identityItEEEE10hipError_tT2_T3_mT4_P12ihipStream_tbEUlT_E_NS1_11comp_targetILNS1_3genE2ELNS1_11target_archE906ELNS1_3gpuE6ELNS1_3repE0EEENS1_30default_config_static_selectorELNS0_4arch9wavefront6targetE0EEEvT1_,@function
_ZN7rocprim17ROCPRIM_400000_NS6detail17trampoline_kernelINS0_14default_configENS1_25transform_config_selectorItLb0EEEZNS1_14transform_implILb0ES3_S5_PtN6thrust23THRUST_200600_302600_NS6detail15normal_iteratorINS9_10device_ptrItEEEENS0_8identityItEEEE10hipError_tT2_T3_mT4_P12ihipStream_tbEUlT_E_NS1_11comp_targetILNS1_3genE2ELNS1_11target_archE906ELNS1_3gpuE6ELNS1_3repE0EEENS1_30default_config_static_selectorELNS0_4arch9wavefront6targetE0EEEvT1_: ; @_ZN7rocprim17ROCPRIM_400000_NS6detail17trampoline_kernelINS0_14default_configENS1_25transform_config_selectorItLb0EEEZNS1_14transform_implILb0ES3_S5_PtN6thrust23THRUST_200600_302600_NS6detail15normal_iteratorINS9_10device_ptrItEEEENS0_8identityItEEEE10hipError_tT2_T3_mT4_P12ihipStream_tbEUlT_E_NS1_11comp_targetILNS1_3genE2ELNS1_11target_archE906ELNS1_3gpuE6ELNS1_3repE0EEENS1_30default_config_static_selectorELNS0_4arch9wavefront6targetE0EEEvT1_
; %bb.0:
	.section	.rodata,"a",@progbits
	.p2align	6, 0x0
	.amdhsa_kernel _ZN7rocprim17ROCPRIM_400000_NS6detail17trampoline_kernelINS0_14default_configENS1_25transform_config_selectorItLb0EEEZNS1_14transform_implILb0ES3_S5_PtN6thrust23THRUST_200600_302600_NS6detail15normal_iteratorINS9_10device_ptrItEEEENS0_8identityItEEEE10hipError_tT2_T3_mT4_P12ihipStream_tbEUlT_E_NS1_11comp_targetILNS1_3genE2ELNS1_11target_archE906ELNS1_3gpuE6ELNS1_3repE0EEENS1_30default_config_static_selectorELNS0_4arch9wavefront6targetE0EEEvT1_
		.amdhsa_group_segment_fixed_size 0
		.amdhsa_private_segment_fixed_size 0
		.amdhsa_kernarg_size 40
		.amdhsa_user_sgpr_count 6
		.amdhsa_user_sgpr_private_segment_buffer 1
		.amdhsa_user_sgpr_dispatch_ptr 0
		.amdhsa_user_sgpr_queue_ptr 0
		.amdhsa_user_sgpr_kernarg_segment_ptr 1
		.amdhsa_user_sgpr_dispatch_id 0
		.amdhsa_user_sgpr_flat_scratch_init 0
		.amdhsa_user_sgpr_private_segment_size 0
		.amdhsa_wavefront_size32 1
		.amdhsa_uses_dynamic_stack 0
		.amdhsa_system_sgpr_private_segment_wavefront_offset 0
		.amdhsa_system_sgpr_workgroup_id_x 1
		.amdhsa_system_sgpr_workgroup_id_y 0
		.amdhsa_system_sgpr_workgroup_id_z 0
		.amdhsa_system_sgpr_workgroup_info 0
		.amdhsa_system_vgpr_workitem_id 0
		.amdhsa_next_free_vgpr 1
		.amdhsa_next_free_sgpr 1
		.amdhsa_reserve_vcc 0
		.amdhsa_reserve_flat_scratch 0
		.amdhsa_float_round_mode_32 0
		.amdhsa_float_round_mode_16_64 0
		.amdhsa_float_denorm_mode_32 3
		.amdhsa_float_denorm_mode_16_64 3
		.amdhsa_dx10_clamp 1
		.amdhsa_ieee_mode 1
		.amdhsa_fp16_overflow 0
		.amdhsa_workgroup_processor_mode 1
		.amdhsa_memory_ordered 1
		.amdhsa_forward_progress 1
		.amdhsa_shared_vgpr_count 0
		.amdhsa_exception_fp_ieee_invalid_op 0
		.amdhsa_exception_fp_denorm_src 0
		.amdhsa_exception_fp_ieee_div_zero 0
		.amdhsa_exception_fp_ieee_overflow 0
		.amdhsa_exception_fp_ieee_underflow 0
		.amdhsa_exception_fp_ieee_inexact 0
		.amdhsa_exception_int_div_zero 0
	.end_amdhsa_kernel
	.section	.text._ZN7rocprim17ROCPRIM_400000_NS6detail17trampoline_kernelINS0_14default_configENS1_25transform_config_selectorItLb0EEEZNS1_14transform_implILb0ES3_S5_PtN6thrust23THRUST_200600_302600_NS6detail15normal_iteratorINS9_10device_ptrItEEEENS0_8identityItEEEE10hipError_tT2_T3_mT4_P12ihipStream_tbEUlT_E_NS1_11comp_targetILNS1_3genE2ELNS1_11target_archE906ELNS1_3gpuE6ELNS1_3repE0EEENS1_30default_config_static_selectorELNS0_4arch9wavefront6targetE0EEEvT1_,"axG",@progbits,_ZN7rocprim17ROCPRIM_400000_NS6detail17trampoline_kernelINS0_14default_configENS1_25transform_config_selectorItLb0EEEZNS1_14transform_implILb0ES3_S5_PtN6thrust23THRUST_200600_302600_NS6detail15normal_iteratorINS9_10device_ptrItEEEENS0_8identityItEEEE10hipError_tT2_T3_mT4_P12ihipStream_tbEUlT_E_NS1_11comp_targetILNS1_3genE2ELNS1_11target_archE906ELNS1_3gpuE6ELNS1_3repE0EEENS1_30default_config_static_selectorELNS0_4arch9wavefront6targetE0EEEvT1_,comdat
.Lfunc_end294:
	.size	_ZN7rocprim17ROCPRIM_400000_NS6detail17trampoline_kernelINS0_14default_configENS1_25transform_config_selectorItLb0EEEZNS1_14transform_implILb0ES3_S5_PtN6thrust23THRUST_200600_302600_NS6detail15normal_iteratorINS9_10device_ptrItEEEENS0_8identityItEEEE10hipError_tT2_T3_mT4_P12ihipStream_tbEUlT_E_NS1_11comp_targetILNS1_3genE2ELNS1_11target_archE906ELNS1_3gpuE6ELNS1_3repE0EEENS1_30default_config_static_selectorELNS0_4arch9wavefront6targetE0EEEvT1_, .Lfunc_end294-_ZN7rocprim17ROCPRIM_400000_NS6detail17trampoline_kernelINS0_14default_configENS1_25transform_config_selectorItLb0EEEZNS1_14transform_implILb0ES3_S5_PtN6thrust23THRUST_200600_302600_NS6detail15normal_iteratorINS9_10device_ptrItEEEENS0_8identityItEEEE10hipError_tT2_T3_mT4_P12ihipStream_tbEUlT_E_NS1_11comp_targetILNS1_3genE2ELNS1_11target_archE906ELNS1_3gpuE6ELNS1_3repE0EEENS1_30default_config_static_selectorELNS0_4arch9wavefront6targetE0EEEvT1_
                                        ; -- End function
	.set _ZN7rocprim17ROCPRIM_400000_NS6detail17trampoline_kernelINS0_14default_configENS1_25transform_config_selectorItLb0EEEZNS1_14transform_implILb0ES3_S5_PtN6thrust23THRUST_200600_302600_NS6detail15normal_iteratorINS9_10device_ptrItEEEENS0_8identityItEEEE10hipError_tT2_T3_mT4_P12ihipStream_tbEUlT_E_NS1_11comp_targetILNS1_3genE2ELNS1_11target_archE906ELNS1_3gpuE6ELNS1_3repE0EEENS1_30default_config_static_selectorELNS0_4arch9wavefront6targetE0EEEvT1_.num_vgpr, 0
	.set _ZN7rocprim17ROCPRIM_400000_NS6detail17trampoline_kernelINS0_14default_configENS1_25transform_config_selectorItLb0EEEZNS1_14transform_implILb0ES3_S5_PtN6thrust23THRUST_200600_302600_NS6detail15normal_iteratorINS9_10device_ptrItEEEENS0_8identityItEEEE10hipError_tT2_T3_mT4_P12ihipStream_tbEUlT_E_NS1_11comp_targetILNS1_3genE2ELNS1_11target_archE906ELNS1_3gpuE6ELNS1_3repE0EEENS1_30default_config_static_selectorELNS0_4arch9wavefront6targetE0EEEvT1_.num_agpr, 0
	.set _ZN7rocprim17ROCPRIM_400000_NS6detail17trampoline_kernelINS0_14default_configENS1_25transform_config_selectorItLb0EEEZNS1_14transform_implILb0ES3_S5_PtN6thrust23THRUST_200600_302600_NS6detail15normal_iteratorINS9_10device_ptrItEEEENS0_8identityItEEEE10hipError_tT2_T3_mT4_P12ihipStream_tbEUlT_E_NS1_11comp_targetILNS1_3genE2ELNS1_11target_archE906ELNS1_3gpuE6ELNS1_3repE0EEENS1_30default_config_static_selectorELNS0_4arch9wavefront6targetE0EEEvT1_.numbered_sgpr, 0
	.set _ZN7rocprim17ROCPRIM_400000_NS6detail17trampoline_kernelINS0_14default_configENS1_25transform_config_selectorItLb0EEEZNS1_14transform_implILb0ES3_S5_PtN6thrust23THRUST_200600_302600_NS6detail15normal_iteratorINS9_10device_ptrItEEEENS0_8identityItEEEE10hipError_tT2_T3_mT4_P12ihipStream_tbEUlT_E_NS1_11comp_targetILNS1_3genE2ELNS1_11target_archE906ELNS1_3gpuE6ELNS1_3repE0EEENS1_30default_config_static_selectorELNS0_4arch9wavefront6targetE0EEEvT1_.num_named_barrier, 0
	.set _ZN7rocprim17ROCPRIM_400000_NS6detail17trampoline_kernelINS0_14default_configENS1_25transform_config_selectorItLb0EEEZNS1_14transform_implILb0ES3_S5_PtN6thrust23THRUST_200600_302600_NS6detail15normal_iteratorINS9_10device_ptrItEEEENS0_8identityItEEEE10hipError_tT2_T3_mT4_P12ihipStream_tbEUlT_E_NS1_11comp_targetILNS1_3genE2ELNS1_11target_archE906ELNS1_3gpuE6ELNS1_3repE0EEENS1_30default_config_static_selectorELNS0_4arch9wavefront6targetE0EEEvT1_.private_seg_size, 0
	.set _ZN7rocprim17ROCPRIM_400000_NS6detail17trampoline_kernelINS0_14default_configENS1_25transform_config_selectorItLb0EEEZNS1_14transform_implILb0ES3_S5_PtN6thrust23THRUST_200600_302600_NS6detail15normal_iteratorINS9_10device_ptrItEEEENS0_8identityItEEEE10hipError_tT2_T3_mT4_P12ihipStream_tbEUlT_E_NS1_11comp_targetILNS1_3genE2ELNS1_11target_archE906ELNS1_3gpuE6ELNS1_3repE0EEENS1_30default_config_static_selectorELNS0_4arch9wavefront6targetE0EEEvT1_.uses_vcc, 0
	.set _ZN7rocprim17ROCPRIM_400000_NS6detail17trampoline_kernelINS0_14default_configENS1_25transform_config_selectorItLb0EEEZNS1_14transform_implILb0ES3_S5_PtN6thrust23THRUST_200600_302600_NS6detail15normal_iteratorINS9_10device_ptrItEEEENS0_8identityItEEEE10hipError_tT2_T3_mT4_P12ihipStream_tbEUlT_E_NS1_11comp_targetILNS1_3genE2ELNS1_11target_archE906ELNS1_3gpuE6ELNS1_3repE0EEENS1_30default_config_static_selectorELNS0_4arch9wavefront6targetE0EEEvT1_.uses_flat_scratch, 0
	.set _ZN7rocprim17ROCPRIM_400000_NS6detail17trampoline_kernelINS0_14default_configENS1_25transform_config_selectorItLb0EEEZNS1_14transform_implILb0ES3_S5_PtN6thrust23THRUST_200600_302600_NS6detail15normal_iteratorINS9_10device_ptrItEEEENS0_8identityItEEEE10hipError_tT2_T3_mT4_P12ihipStream_tbEUlT_E_NS1_11comp_targetILNS1_3genE2ELNS1_11target_archE906ELNS1_3gpuE6ELNS1_3repE0EEENS1_30default_config_static_selectorELNS0_4arch9wavefront6targetE0EEEvT1_.has_dyn_sized_stack, 0
	.set _ZN7rocprim17ROCPRIM_400000_NS6detail17trampoline_kernelINS0_14default_configENS1_25transform_config_selectorItLb0EEEZNS1_14transform_implILb0ES3_S5_PtN6thrust23THRUST_200600_302600_NS6detail15normal_iteratorINS9_10device_ptrItEEEENS0_8identityItEEEE10hipError_tT2_T3_mT4_P12ihipStream_tbEUlT_E_NS1_11comp_targetILNS1_3genE2ELNS1_11target_archE906ELNS1_3gpuE6ELNS1_3repE0EEENS1_30default_config_static_selectorELNS0_4arch9wavefront6targetE0EEEvT1_.has_recursion, 0
	.set _ZN7rocprim17ROCPRIM_400000_NS6detail17trampoline_kernelINS0_14default_configENS1_25transform_config_selectorItLb0EEEZNS1_14transform_implILb0ES3_S5_PtN6thrust23THRUST_200600_302600_NS6detail15normal_iteratorINS9_10device_ptrItEEEENS0_8identityItEEEE10hipError_tT2_T3_mT4_P12ihipStream_tbEUlT_E_NS1_11comp_targetILNS1_3genE2ELNS1_11target_archE906ELNS1_3gpuE6ELNS1_3repE0EEENS1_30default_config_static_selectorELNS0_4arch9wavefront6targetE0EEEvT1_.has_indirect_call, 0
	.section	.AMDGPU.csdata,"",@progbits
; Kernel info:
; codeLenInByte = 0
; TotalNumSgprs: 0
; NumVgprs: 0
; ScratchSize: 0
; MemoryBound: 0
; FloatMode: 240
; IeeeMode: 1
; LDSByteSize: 0 bytes/workgroup (compile time only)
; SGPRBlocks: 0
; VGPRBlocks: 0
; NumSGPRsForWavesPerEU: 1
; NumVGPRsForWavesPerEU: 1
; Occupancy: 16
; WaveLimiterHint : 0
; COMPUTE_PGM_RSRC2:SCRATCH_EN: 0
; COMPUTE_PGM_RSRC2:USER_SGPR: 6
; COMPUTE_PGM_RSRC2:TRAP_HANDLER: 0
; COMPUTE_PGM_RSRC2:TGID_X_EN: 1
; COMPUTE_PGM_RSRC2:TGID_Y_EN: 0
; COMPUTE_PGM_RSRC2:TGID_Z_EN: 0
; COMPUTE_PGM_RSRC2:TIDIG_COMP_CNT: 0
	.section	.text._ZN7rocprim17ROCPRIM_400000_NS6detail17trampoline_kernelINS0_14default_configENS1_25transform_config_selectorItLb0EEEZNS1_14transform_implILb0ES3_S5_PtN6thrust23THRUST_200600_302600_NS6detail15normal_iteratorINS9_10device_ptrItEEEENS0_8identityItEEEE10hipError_tT2_T3_mT4_P12ihipStream_tbEUlT_E_NS1_11comp_targetILNS1_3genE10ELNS1_11target_archE1201ELNS1_3gpuE5ELNS1_3repE0EEENS1_30default_config_static_selectorELNS0_4arch9wavefront6targetE0EEEvT1_,"axG",@progbits,_ZN7rocprim17ROCPRIM_400000_NS6detail17trampoline_kernelINS0_14default_configENS1_25transform_config_selectorItLb0EEEZNS1_14transform_implILb0ES3_S5_PtN6thrust23THRUST_200600_302600_NS6detail15normal_iteratorINS9_10device_ptrItEEEENS0_8identityItEEEE10hipError_tT2_T3_mT4_P12ihipStream_tbEUlT_E_NS1_11comp_targetILNS1_3genE10ELNS1_11target_archE1201ELNS1_3gpuE5ELNS1_3repE0EEENS1_30default_config_static_selectorELNS0_4arch9wavefront6targetE0EEEvT1_,comdat
	.protected	_ZN7rocprim17ROCPRIM_400000_NS6detail17trampoline_kernelINS0_14default_configENS1_25transform_config_selectorItLb0EEEZNS1_14transform_implILb0ES3_S5_PtN6thrust23THRUST_200600_302600_NS6detail15normal_iteratorINS9_10device_ptrItEEEENS0_8identityItEEEE10hipError_tT2_T3_mT4_P12ihipStream_tbEUlT_E_NS1_11comp_targetILNS1_3genE10ELNS1_11target_archE1201ELNS1_3gpuE5ELNS1_3repE0EEENS1_30default_config_static_selectorELNS0_4arch9wavefront6targetE0EEEvT1_ ; -- Begin function _ZN7rocprim17ROCPRIM_400000_NS6detail17trampoline_kernelINS0_14default_configENS1_25transform_config_selectorItLb0EEEZNS1_14transform_implILb0ES3_S5_PtN6thrust23THRUST_200600_302600_NS6detail15normal_iteratorINS9_10device_ptrItEEEENS0_8identityItEEEE10hipError_tT2_T3_mT4_P12ihipStream_tbEUlT_E_NS1_11comp_targetILNS1_3genE10ELNS1_11target_archE1201ELNS1_3gpuE5ELNS1_3repE0EEENS1_30default_config_static_selectorELNS0_4arch9wavefront6targetE0EEEvT1_
	.globl	_ZN7rocprim17ROCPRIM_400000_NS6detail17trampoline_kernelINS0_14default_configENS1_25transform_config_selectorItLb0EEEZNS1_14transform_implILb0ES3_S5_PtN6thrust23THRUST_200600_302600_NS6detail15normal_iteratorINS9_10device_ptrItEEEENS0_8identityItEEEE10hipError_tT2_T3_mT4_P12ihipStream_tbEUlT_E_NS1_11comp_targetILNS1_3genE10ELNS1_11target_archE1201ELNS1_3gpuE5ELNS1_3repE0EEENS1_30default_config_static_selectorELNS0_4arch9wavefront6targetE0EEEvT1_
	.p2align	8
	.type	_ZN7rocprim17ROCPRIM_400000_NS6detail17trampoline_kernelINS0_14default_configENS1_25transform_config_selectorItLb0EEEZNS1_14transform_implILb0ES3_S5_PtN6thrust23THRUST_200600_302600_NS6detail15normal_iteratorINS9_10device_ptrItEEEENS0_8identityItEEEE10hipError_tT2_T3_mT4_P12ihipStream_tbEUlT_E_NS1_11comp_targetILNS1_3genE10ELNS1_11target_archE1201ELNS1_3gpuE5ELNS1_3repE0EEENS1_30default_config_static_selectorELNS0_4arch9wavefront6targetE0EEEvT1_,@function
_ZN7rocprim17ROCPRIM_400000_NS6detail17trampoline_kernelINS0_14default_configENS1_25transform_config_selectorItLb0EEEZNS1_14transform_implILb0ES3_S5_PtN6thrust23THRUST_200600_302600_NS6detail15normal_iteratorINS9_10device_ptrItEEEENS0_8identityItEEEE10hipError_tT2_T3_mT4_P12ihipStream_tbEUlT_E_NS1_11comp_targetILNS1_3genE10ELNS1_11target_archE1201ELNS1_3gpuE5ELNS1_3repE0EEENS1_30default_config_static_selectorELNS0_4arch9wavefront6targetE0EEEvT1_: ; @_ZN7rocprim17ROCPRIM_400000_NS6detail17trampoline_kernelINS0_14default_configENS1_25transform_config_selectorItLb0EEEZNS1_14transform_implILb0ES3_S5_PtN6thrust23THRUST_200600_302600_NS6detail15normal_iteratorINS9_10device_ptrItEEEENS0_8identityItEEEE10hipError_tT2_T3_mT4_P12ihipStream_tbEUlT_E_NS1_11comp_targetILNS1_3genE10ELNS1_11target_archE1201ELNS1_3gpuE5ELNS1_3repE0EEENS1_30default_config_static_selectorELNS0_4arch9wavefront6targetE0EEEvT1_
; %bb.0:
	.section	.rodata,"a",@progbits
	.p2align	6, 0x0
	.amdhsa_kernel _ZN7rocprim17ROCPRIM_400000_NS6detail17trampoline_kernelINS0_14default_configENS1_25transform_config_selectorItLb0EEEZNS1_14transform_implILb0ES3_S5_PtN6thrust23THRUST_200600_302600_NS6detail15normal_iteratorINS9_10device_ptrItEEEENS0_8identityItEEEE10hipError_tT2_T3_mT4_P12ihipStream_tbEUlT_E_NS1_11comp_targetILNS1_3genE10ELNS1_11target_archE1201ELNS1_3gpuE5ELNS1_3repE0EEENS1_30default_config_static_selectorELNS0_4arch9wavefront6targetE0EEEvT1_
		.amdhsa_group_segment_fixed_size 0
		.amdhsa_private_segment_fixed_size 0
		.amdhsa_kernarg_size 40
		.amdhsa_user_sgpr_count 6
		.amdhsa_user_sgpr_private_segment_buffer 1
		.amdhsa_user_sgpr_dispatch_ptr 0
		.amdhsa_user_sgpr_queue_ptr 0
		.amdhsa_user_sgpr_kernarg_segment_ptr 1
		.amdhsa_user_sgpr_dispatch_id 0
		.amdhsa_user_sgpr_flat_scratch_init 0
		.amdhsa_user_sgpr_private_segment_size 0
		.amdhsa_wavefront_size32 1
		.amdhsa_uses_dynamic_stack 0
		.amdhsa_system_sgpr_private_segment_wavefront_offset 0
		.amdhsa_system_sgpr_workgroup_id_x 1
		.amdhsa_system_sgpr_workgroup_id_y 0
		.amdhsa_system_sgpr_workgroup_id_z 0
		.amdhsa_system_sgpr_workgroup_info 0
		.amdhsa_system_vgpr_workitem_id 0
		.amdhsa_next_free_vgpr 1
		.amdhsa_next_free_sgpr 1
		.amdhsa_reserve_vcc 0
		.amdhsa_reserve_flat_scratch 0
		.amdhsa_float_round_mode_32 0
		.amdhsa_float_round_mode_16_64 0
		.amdhsa_float_denorm_mode_32 3
		.amdhsa_float_denorm_mode_16_64 3
		.amdhsa_dx10_clamp 1
		.amdhsa_ieee_mode 1
		.amdhsa_fp16_overflow 0
		.amdhsa_workgroup_processor_mode 1
		.amdhsa_memory_ordered 1
		.amdhsa_forward_progress 1
		.amdhsa_shared_vgpr_count 0
		.amdhsa_exception_fp_ieee_invalid_op 0
		.amdhsa_exception_fp_denorm_src 0
		.amdhsa_exception_fp_ieee_div_zero 0
		.amdhsa_exception_fp_ieee_overflow 0
		.amdhsa_exception_fp_ieee_underflow 0
		.amdhsa_exception_fp_ieee_inexact 0
		.amdhsa_exception_int_div_zero 0
	.end_amdhsa_kernel
	.section	.text._ZN7rocprim17ROCPRIM_400000_NS6detail17trampoline_kernelINS0_14default_configENS1_25transform_config_selectorItLb0EEEZNS1_14transform_implILb0ES3_S5_PtN6thrust23THRUST_200600_302600_NS6detail15normal_iteratorINS9_10device_ptrItEEEENS0_8identityItEEEE10hipError_tT2_T3_mT4_P12ihipStream_tbEUlT_E_NS1_11comp_targetILNS1_3genE10ELNS1_11target_archE1201ELNS1_3gpuE5ELNS1_3repE0EEENS1_30default_config_static_selectorELNS0_4arch9wavefront6targetE0EEEvT1_,"axG",@progbits,_ZN7rocprim17ROCPRIM_400000_NS6detail17trampoline_kernelINS0_14default_configENS1_25transform_config_selectorItLb0EEEZNS1_14transform_implILb0ES3_S5_PtN6thrust23THRUST_200600_302600_NS6detail15normal_iteratorINS9_10device_ptrItEEEENS0_8identityItEEEE10hipError_tT2_T3_mT4_P12ihipStream_tbEUlT_E_NS1_11comp_targetILNS1_3genE10ELNS1_11target_archE1201ELNS1_3gpuE5ELNS1_3repE0EEENS1_30default_config_static_selectorELNS0_4arch9wavefront6targetE0EEEvT1_,comdat
.Lfunc_end295:
	.size	_ZN7rocprim17ROCPRIM_400000_NS6detail17trampoline_kernelINS0_14default_configENS1_25transform_config_selectorItLb0EEEZNS1_14transform_implILb0ES3_S5_PtN6thrust23THRUST_200600_302600_NS6detail15normal_iteratorINS9_10device_ptrItEEEENS0_8identityItEEEE10hipError_tT2_T3_mT4_P12ihipStream_tbEUlT_E_NS1_11comp_targetILNS1_3genE10ELNS1_11target_archE1201ELNS1_3gpuE5ELNS1_3repE0EEENS1_30default_config_static_selectorELNS0_4arch9wavefront6targetE0EEEvT1_, .Lfunc_end295-_ZN7rocprim17ROCPRIM_400000_NS6detail17trampoline_kernelINS0_14default_configENS1_25transform_config_selectorItLb0EEEZNS1_14transform_implILb0ES3_S5_PtN6thrust23THRUST_200600_302600_NS6detail15normal_iteratorINS9_10device_ptrItEEEENS0_8identityItEEEE10hipError_tT2_T3_mT4_P12ihipStream_tbEUlT_E_NS1_11comp_targetILNS1_3genE10ELNS1_11target_archE1201ELNS1_3gpuE5ELNS1_3repE0EEENS1_30default_config_static_selectorELNS0_4arch9wavefront6targetE0EEEvT1_
                                        ; -- End function
	.set _ZN7rocprim17ROCPRIM_400000_NS6detail17trampoline_kernelINS0_14default_configENS1_25transform_config_selectorItLb0EEEZNS1_14transform_implILb0ES3_S5_PtN6thrust23THRUST_200600_302600_NS6detail15normal_iteratorINS9_10device_ptrItEEEENS0_8identityItEEEE10hipError_tT2_T3_mT4_P12ihipStream_tbEUlT_E_NS1_11comp_targetILNS1_3genE10ELNS1_11target_archE1201ELNS1_3gpuE5ELNS1_3repE0EEENS1_30default_config_static_selectorELNS0_4arch9wavefront6targetE0EEEvT1_.num_vgpr, 0
	.set _ZN7rocprim17ROCPRIM_400000_NS6detail17trampoline_kernelINS0_14default_configENS1_25transform_config_selectorItLb0EEEZNS1_14transform_implILb0ES3_S5_PtN6thrust23THRUST_200600_302600_NS6detail15normal_iteratorINS9_10device_ptrItEEEENS0_8identityItEEEE10hipError_tT2_T3_mT4_P12ihipStream_tbEUlT_E_NS1_11comp_targetILNS1_3genE10ELNS1_11target_archE1201ELNS1_3gpuE5ELNS1_3repE0EEENS1_30default_config_static_selectorELNS0_4arch9wavefront6targetE0EEEvT1_.num_agpr, 0
	.set _ZN7rocprim17ROCPRIM_400000_NS6detail17trampoline_kernelINS0_14default_configENS1_25transform_config_selectorItLb0EEEZNS1_14transform_implILb0ES3_S5_PtN6thrust23THRUST_200600_302600_NS6detail15normal_iteratorINS9_10device_ptrItEEEENS0_8identityItEEEE10hipError_tT2_T3_mT4_P12ihipStream_tbEUlT_E_NS1_11comp_targetILNS1_3genE10ELNS1_11target_archE1201ELNS1_3gpuE5ELNS1_3repE0EEENS1_30default_config_static_selectorELNS0_4arch9wavefront6targetE0EEEvT1_.numbered_sgpr, 0
	.set _ZN7rocprim17ROCPRIM_400000_NS6detail17trampoline_kernelINS0_14default_configENS1_25transform_config_selectorItLb0EEEZNS1_14transform_implILb0ES3_S5_PtN6thrust23THRUST_200600_302600_NS6detail15normal_iteratorINS9_10device_ptrItEEEENS0_8identityItEEEE10hipError_tT2_T3_mT4_P12ihipStream_tbEUlT_E_NS1_11comp_targetILNS1_3genE10ELNS1_11target_archE1201ELNS1_3gpuE5ELNS1_3repE0EEENS1_30default_config_static_selectorELNS0_4arch9wavefront6targetE0EEEvT1_.num_named_barrier, 0
	.set _ZN7rocprim17ROCPRIM_400000_NS6detail17trampoline_kernelINS0_14default_configENS1_25transform_config_selectorItLb0EEEZNS1_14transform_implILb0ES3_S5_PtN6thrust23THRUST_200600_302600_NS6detail15normal_iteratorINS9_10device_ptrItEEEENS0_8identityItEEEE10hipError_tT2_T3_mT4_P12ihipStream_tbEUlT_E_NS1_11comp_targetILNS1_3genE10ELNS1_11target_archE1201ELNS1_3gpuE5ELNS1_3repE0EEENS1_30default_config_static_selectorELNS0_4arch9wavefront6targetE0EEEvT1_.private_seg_size, 0
	.set _ZN7rocprim17ROCPRIM_400000_NS6detail17trampoline_kernelINS0_14default_configENS1_25transform_config_selectorItLb0EEEZNS1_14transform_implILb0ES3_S5_PtN6thrust23THRUST_200600_302600_NS6detail15normal_iteratorINS9_10device_ptrItEEEENS0_8identityItEEEE10hipError_tT2_T3_mT4_P12ihipStream_tbEUlT_E_NS1_11comp_targetILNS1_3genE10ELNS1_11target_archE1201ELNS1_3gpuE5ELNS1_3repE0EEENS1_30default_config_static_selectorELNS0_4arch9wavefront6targetE0EEEvT1_.uses_vcc, 0
	.set _ZN7rocprim17ROCPRIM_400000_NS6detail17trampoline_kernelINS0_14default_configENS1_25transform_config_selectorItLb0EEEZNS1_14transform_implILb0ES3_S5_PtN6thrust23THRUST_200600_302600_NS6detail15normal_iteratorINS9_10device_ptrItEEEENS0_8identityItEEEE10hipError_tT2_T3_mT4_P12ihipStream_tbEUlT_E_NS1_11comp_targetILNS1_3genE10ELNS1_11target_archE1201ELNS1_3gpuE5ELNS1_3repE0EEENS1_30default_config_static_selectorELNS0_4arch9wavefront6targetE0EEEvT1_.uses_flat_scratch, 0
	.set _ZN7rocprim17ROCPRIM_400000_NS6detail17trampoline_kernelINS0_14default_configENS1_25transform_config_selectorItLb0EEEZNS1_14transform_implILb0ES3_S5_PtN6thrust23THRUST_200600_302600_NS6detail15normal_iteratorINS9_10device_ptrItEEEENS0_8identityItEEEE10hipError_tT2_T3_mT4_P12ihipStream_tbEUlT_E_NS1_11comp_targetILNS1_3genE10ELNS1_11target_archE1201ELNS1_3gpuE5ELNS1_3repE0EEENS1_30default_config_static_selectorELNS0_4arch9wavefront6targetE0EEEvT1_.has_dyn_sized_stack, 0
	.set _ZN7rocprim17ROCPRIM_400000_NS6detail17trampoline_kernelINS0_14default_configENS1_25transform_config_selectorItLb0EEEZNS1_14transform_implILb0ES3_S5_PtN6thrust23THRUST_200600_302600_NS6detail15normal_iteratorINS9_10device_ptrItEEEENS0_8identityItEEEE10hipError_tT2_T3_mT4_P12ihipStream_tbEUlT_E_NS1_11comp_targetILNS1_3genE10ELNS1_11target_archE1201ELNS1_3gpuE5ELNS1_3repE0EEENS1_30default_config_static_selectorELNS0_4arch9wavefront6targetE0EEEvT1_.has_recursion, 0
	.set _ZN7rocprim17ROCPRIM_400000_NS6detail17trampoline_kernelINS0_14default_configENS1_25transform_config_selectorItLb0EEEZNS1_14transform_implILb0ES3_S5_PtN6thrust23THRUST_200600_302600_NS6detail15normal_iteratorINS9_10device_ptrItEEEENS0_8identityItEEEE10hipError_tT2_T3_mT4_P12ihipStream_tbEUlT_E_NS1_11comp_targetILNS1_3genE10ELNS1_11target_archE1201ELNS1_3gpuE5ELNS1_3repE0EEENS1_30default_config_static_selectorELNS0_4arch9wavefront6targetE0EEEvT1_.has_indirect_call, 0
	.section	.AMDGPU.csdata,"",@progbits
; Kernel info:
; codeLenInByte = 0
; TotalNumSgprs: 0
; NumVgprs: 0
; ScratchSize: 0
; MemoryBound: 0
; FloatMode: 240
; IeeeMode: 1
; LDSByteSize: 0 bytes/workgroup (compile time only)
; SGPRBlocks: 0
; VGPRBlocks: 0
; NumSGPRsForWavesPerEU: 1
; NumVGPRsForWavesPerEU: 1
; Occupancy: 16
; WaveLimiterHint : 0
; COMPUTE_PGM_RSRC2:SCRATCH_EN: 0
; COMPUTE_PGM_RSRC2:USER_SGPR: 6
; COMPUTE_PGM_RSRC2:TRAP_HANDLER: 0
; COMPUTE_PGM_RSRC2:TGID_X_EN: 1
; COMPUTE_PGM_RSRC2:TGID_Y_EN: 0
; COMPUTE_PGM_RSRC2:TGID_Z_EN: 0
; COMPUTE_PGM_RSRC2:TIDIG_COMP_CNT: 0
	.section	.text._ZN7rocprim17ROCPRIM_400000_NS6detail17trampoline_kernelINS0_14default_configENS1_25transform_config_selectorItLb0EEEZNS1_14transform_implILb0ES3_S5_PtN6thrust23THRUST_200600_302600_NS6detail15normal_iteratorINS9_10device_ptrItEEEENS0_8identityItEEEE10hipError_tT2_T3_mT4_P12ihipStream_tbEUlT_E_NS1_11comp_targetILNS1_3genE10ELNS1_11target_archE1200ELNS1_3gpuE4ELNS1_3repE0EEENS1_30default_config_static_selectorELNS0_4arch9wavefront6targetE0EEEvT1_,"axG",@progbits,_ZN7rocprim17ROCPRIM_400000_NS6detail17trampoline_kernelINS0_14default_configENS1_25transform_config_selectorItLb0EEEZNS1_14transform_implILb0ES3_S5_PtN6thrust23THRUST_200600_302600_NS6detail15normal_iteratorINS9_10device_ptrItEEEENS0_8identityItEEEE10hipError_tT2_T3_mT4_P12ihipStream_tbEUlT_E_NS1_11comp_targetILNS1_3genE10ELNS1_11target_archE1200ELNS1_3gpuE4ELNS1_3repE0EEENS1_30default_config_static_selectorELNS0_4arch9wavefront6targetE0EEEvT1_,comdat
	.protected	_ZN7rocprim17ROCPRIM_400000_NS6detail17trampoline_kernelINS0_14default_configENS1_25transform_config_selectorItLb0EEEZNS1_14transform_implILb0ES3_S5_PtN6thrust23THRUST_200600_302600_NS6detail15normal_iteratorINS9_10device_ptrItEEEENS0_8identityItEEEE10hipError_tT2_T3_mT4_P12ihipStream_tbEUlT_E_NS1_11comp_targetILNS1_3genE10ELNS1_11target_archE1200ELNS1_3gpuE4ELNS1_3repE0EEENS1_30default_config_static_selectorELNS0_4arch9wavefront6targetE0EEEvT1_ ; -- Begin function _ZN7rocprim17ROCPRIM_400000_NS6detail17trampoline_kernelINS0_14default_configENS1_25transform_config_selectorItLb0EEEZNS1_14transform_implILb0ES3_S5_PtN6thrust23THRUST_200600_302600_NS6detail15normal_iteratorINS9_10device_ptrItEEEENS0_8identityItEEEE10hipError_tT2_T3_mT4_P12ihipStream_tbEUlT_E_NS1_11comp_targetILNS1_3genE10ELNS1_11target_archE1200ELNS1_3gpuE4ELNS1_3repE0EEENS1_30default_config_static_selectorELNS0_4arch9wavefront6targetE0EEEvT1_
	.globl	_ZN7rocprim17ROCPRIM_400000_NS6detail17trampoline_kernelINS0_14default_configENS1_25transform_config_selectorItLb0EEEZNS1_14transform_implILb0ES3_S5_PtN6thrust23THRUST_200600_302600_NS6detail15normal_iteratorINS9_10device_ptrItEEEENS0_8identityItEEEE10hipError_tT2_T3_mT4_P12ihipStream_tbEUlT_E_NS1_11comp_targetILNS1_3genE10ELNS1_11target_archE1200ELNS1_3gpuE4ELNS1_3repE0EEENS1_30default_config_static_selectorELNS0_4arch9wavefront6targetE0EEEvT1_
	.p2align	8
	.type	_ZN7rocprim17ROCPRIM_400000_NS6detail17trampoline_kernelINS0_14default_configENS1_25transform_config_selectorItLb0EEEZNS1_14transform_implILb0ES3_S5_PtN6thrust23THRUST_200600_302600_NS6detail15normal_iteratorINS9_10device_ptrItEEEENS0_8identityItEEEE10hipError_tT2_T3_mT4_P12ihipStream_tbEUlT_E_NS1_11comp_targetILNS1_3genE10ELNS1_11target_archE1200ELNS1_3gpuE4ELNS1_3repE0EEENS1_30default_config_static_selectorELNS0_4arch9wavefront6targetE0EEEvT1_,@function
_ZN7rocprim17ROCPRIM_400000_NS6detail17trampoline_kernelINS0_14default_configENS1_25transform_config_selectorItLb0EEEZNS1_14transform_implILb0ES3_S5_PtN6thrust23THRUST_200600_302600_NS6detail15normal_iteratorINS9_10device_ptrItEEEENS0_8identityItEEEE10hipError_tT2_T3_mT4_P12ihipStream_tbEUlT_E_NS1_11comp_targetILNS1_3genE10ELNS1_11target_archE1200ELNS1_3gpuE4ELNS1_3repE0EEENS1_30default_config_static_selectorELNS0_4arch9wavefront6targetE0EEEvT1_: ; @_ZN7rocprim17ROCPRIM_400000_NS6detail17trampoline_kernelINS0_14default_configENS1_25transform_config_selectorItLb0EEEZNS1_14transform_implILb0ES3_S5_PtN6thrust23THRUST_200600_302600_NS6detail15normal_iteratorINS9_10device_ptrItEEEENS0_8identityItEEEE10hipError_tT2_T3_mT4_P12ihipStream_tbEUlT_E_NS1_11comp_targetILNS1_3genE10ELNS1_11target_archE1200ELNS1_3gpuE4ELNS1_3repE0EEENS1_30default_config_static_selectorELNS0_4arch9wavefront6targetE0EEEvT1_
; %bb.0:
	.section	.rodata,"a",@progbits
	.p2align	6, 0x0
	.amdhsa_kernel _ZN7rocprim17ROCPRIM_400000_NS6detail17trampoline_kernelINS0_14default_configENS1_25transform_config_selectorItLb0EEEZNS1_14transform_implILb0ES3_S5_PtN6thrust23THRUST_200600_302600_NS6detail15normal_iteratorINS9_10device_ptrItEEEENS0_8identityItEEEE10hipError_tT2_T3_mT4_P12ihipStream_tbEUlT_E_NS1_11comp_targetILNS1_3genE10ELNS1_11target_archE1200ELNS1_3gpuE4ELNS1_3repE0EEENS1_30default_config_static_selectorELNS0_4arch9wavefront6targetE0EEEvT1_
		.amdhsa_group_segment_fixed_size 0
		.amdhsa_private_segment_fixed_size 0
		.amdhsa_kernarg_size 40
		.amdhsa_user_sgpr_count 6
		.amdhsa_user_sgpr_private_segment_buffer 1
		.amdhsa_user_sgpr_dispatch_ptr 0
		.amdhsa_user_sgpr_queue_ptr 0
		.amdhsa_user_sgpr_kernarg_segment_ptr 1
		.amdhsa_user_sgpr_dispatch_id 0
		.amdhsa_user_sgpr_flat_scratch_init 0
		.amdhsa_user_sgpr_private_segment_size 0
		.amdhsa_wavefront_size32 1
		.amdhsa_uses_dynamic_stack 0
		.amdhsa_system_sgpr_private_segment_wavefront_offset 0
		.amdhsa_system_sgpr_workgroup_id_x 1
		.amdhsa_system_sgpr_workgroup_id_y 0
		.amdhsa_system_sgpr_workgroup_id_z 0
		.amdhsa_system_sgpr_workgroup_info 0
		.amdhsa_system_vgpr_workitem_id 0
		.amdhsa_next_free_vgpr 1
		.amdhsa_next_free_sgpr 1
		.amdhsa_reserve_vcc 0
		.amdhsa_reserve_flat_scratch 0
		.amdhsa_float_round_mode_32 0
		.amdhsa_float_round_mode_16_64 0
		.amdhsa_float_denorm_mode_32 3
		.amdhsa_float_denorm_mode_16_64 3
		.amdhsa_dx10_clamp 1
		.amdhsa_ieee_mode 1
		.amdhsa_fp16_overflow 0
		.amdhsa_workgroup_processor_mode 1
		.amdhsa_memory_ordered 1
		.amdhsa_forward_progress 1
		.amdhsa_shared_vgpr_count 0
		.amdhsa_exception_fp_ieee_invalid_op 0
		.amdhsa_exception_fp_denorm_src 0
		.amdhsa_exception_fp_ieee_div_zero 0
		.amdhsa_exception_fp_ieee_overflow 0
		.amdhsa_exception_fp_ieee_underflow 0
		.amdhsa_exception_fp_ieee_inexact 0
		.amdhsa_exception_int_div_zero 0
	.end_amdhsa_kernel
	.section	.text._ZN7rocprim17ROCPRIM_400000_NS6detail17trampoline_kernelINS0_14default_configENS1_25transform_config_selectorItLb0EEEZNS1_14transform_implILb0ES3_S5_PtN6thrust23THRUST_200600_302600_NS6detail15normal_iteratorINS9_10device_ptrItEEEENS0_8identityItEEEE10hipError_tT2_T3_mT4_P12ihipStream_tbEUlT_E_NS1_11comp_targetILNS1_3genE10ELNS1_11target_archE1200ELNS1_3gpuE4ELNS1_3repE0EEENS1_30default_config_static_selectorELNS0_4arch9wavefront6targetE0EEEvT1_,"axG",@progbits,_ZN7rocprim17ROCPRIM_400000_NS6detail17trampoline_kernelINS0_14default_configENS1_25transform_config_selectorItLb0EEEZNS1_14transform_implILb0ES3_S5_PtN6thrust23THRUST_200600_302600_NS6detail15normal_iteratorINS9_10device_ptrItEEEENS0_8identityItEEEE10hipError_tT2_T3_mT4_P12ihipStream_tbEUlT_E_NS1_11comp_targetILNS1_3genE10ELNS1_11target_archE1200ELNS1_3gpuE4ELNS1_3repE0EEENS1_30default_config_static_selectorELNS0_4arch9wavefront6targetE0EEEvT1_,comdat
.Lfunc_end296:
	.size	_ZN7rocprim17ROCPRIM_400000_NS6detail17trampoline_kernelINS0_14default_configENS1_25transform_config_selectorItLb0EEEZNS1_14transform_implILb0ES3_S5_PtN6thrust23THRUST_200600_302600_NS6detail15normal_iteratorINS9_10device_ptrItEEEENS0_8identityItEEEE10hipError_tT2_T3_mT4_P12ihipStream_tbEUlT_E_NS1_11comp_targetILNS1_3genE10ELNS1_11target_archE1200ELNS1_3gpuE4ELNS1_3repE0EEENS1_30default_config_static_selectorELNS0_4arch9wavefront6targetE0EEEvT1_, .Lfunc_end296-_ZN7rocprim17ROCPRIM_400000_NS6detail17trampoline_kernelINS0_14default_configENS1_25transform_config_selectorItLb0EEEZNS1_14transform_implILb0ES3_S5_PtN6thrust23THRUST_200600_302600_NS6detail15normal_iteratorINS9_10device_ptrItEEEENS0_8identityItEEEE10hipError_tT2_T3_mT4_P12ihipStream_tbEUlT_E_NS1_11comp_targetILNS1_3genE10ELNS1_11target_archE1200ELNS1_3gpuE4ELNS1_3repE0EEENS1_30default_config_static_selectorELNS0_4arch9wavefront6targetE0EEEvT1_
                                        ; -- End function
	.set _ZN7rocprim17ROCPRIM_400000_NS6detail17trampoline_kernelINS0_14default_configENS1_25transform_config_selectorItLb0EEEZNS1_14transform_implILb0ES3_S5_PtN6thrust23THRUST_200600_302600_NS6detail15normal_iteratorINS9_10device_ptrItEEEENS0_8identityItEEEE10hipError_tT2_T3_mT4_P12ihipStream_tbEUlT_E_NS1_11comp_targetILNS1_3genE10ELNS1_11target_archE1200ELNS1_3gpuE4ELNS1_3repE0EEENS1_30default_config_static_selectorELNS0_4arch9wavefront6targetE0EEEvT1_.num_vgpr, 0
	.set _ZN7rocprim17ROCPRIM_400000_NS6detail17trampoline_kernelINS0_14default_configENS1_25transform_config_selectorItLb0EEEZNS1_14transform_implILb0ES3_S5_PtN6thrust23THRUST_200600_302600_NS6detail15normal_iteratorINS9_10device_ptrItEEEENS0_8identityItEEEE10hipError_tT2_T3_mT4_P12ihipStream_tbEUlT_E_NS1_11comp_targetILNS1_3genE10ELNS1_11target_archE1200ELNS1_3gpuE4ELNS1_3repE0EEENS1_30default_config_static_selectorELNS0_4arch9wavefront6targetE0EEEvT1_.num_agpr, 0
	.set _ZN7rocprim17ROCPRIM_400000_NS6detail17trampoline_kernelINS0_14default_configENS1_25transform_config_selectorItLb0EEEZNS1_14transform_implILb0ES3_S5_PtN6thrust23THRUST_200600_302600_NS6detail15normal_iteratorINS9_10device_ptrItEEEENS0_8identityItEEEE10hipError_tT2_T3_mT4_P12ihipStream_tbEUlT_E_NS1_11comp_targetILNS1_3genE10ELNS1_11target_archE1200ELNS1_3gpuE4ELNS1_3repE0EEENS1_30default_config_static_selectorELNS0_4arch9wavefront6targetE0EEEvT1_.numbered_sgpr, 0
	.set _ZN7rocprim17ROCPRIM_400000_NS6detail17trampoline_kernelINS0_14default_configENS1_25transform_config_selectorItLb0EEEZNS1_14transform_implILb0ES3_S5_PtN6thrust23THRUST_200600_302600_NS6detail15normal_iteratorINS9_10device_ptrItEEEENS0_8identityItEEEE10hipError_tT2_T3_mT4_P12ihipStream_tbEUlT_E_NS1_11comp_targetILNS1_3genE10ELNS1_11target_archE1200ELNS1_3gpuE4ELNS1_3repE0EEENS1_30default_config_static_selectorELNS0_4arch9wavefront6targetE0EEEvT1_.num_named_barrier, 0
	.set _ZN7rocprim17ROCPRIM_400000_NS6detail17trampoline_kernelINS0_14default_configENS1_25transform_config_selectorItLb0EEEZNS1_14transform_implILb0ES3_S5_PtN6thrust23THRUST_200600_302600_NS6detail15normal_iteratorINS9_10device_ptrItEEEENS0_8identityItEEEE10hipError_tT2_T3_mT4_P12ihipStream_tbEUlT_E_NS1_11comp_targetILNS1_3genE10ELNS1_11target_archE1200ELNS1_3gpuE4ELNS1_3repE0EEENS1_30default_config_static_selectorELNS0_4arch9wavefront6targetE0EEEvT1_.private_seg_size, 0
	.set _ZN7rocprim17ROCPRIM_400000_NS6detail17trampoline_kernelINS0_14default_configENS1_25transform_config_selectorItLb0EEEZNS1_14transform_implILb0ES3_S5_PtN6thrust23THRUST_200600_302600_NS6detail15normal_iteratorINS9_10device_ptrItEEEENS0_8identityItEEEE10hipError_tT2_T3_mT4_P12ihipStream_tbEUlT_E_NS1_11comp_targetILNS1_3genE10ELNS1_11target_archE1200ELNS1_3gpuE4ELNS1_3repE0EEENS1_30default_config_static_selectorELNS0_4arch9wavefront6targetE0EEEvT1_.uses_vcc, 0
	.set _ZN7rocprim17ROCPRIM_400000_NS6detail17trampoline_kernelINS0_14default_configENS1_25transform_config_selectorItLb0EEEZNS1_14transform_implILb0ES3_S5_PtN6thrust23THRUST_200600_302600_NS6detail15normal_iteratorINS9_10device_ptrItEEEENS0_8identityItEEEE10hipError_tT2_T3_mT4_P12ihipStream_tbEUlT_E_NS1_11comp_targetILNS1_3genE10ELNS1_11target_archE1200ELNS1_3gpuE4ELNS1_3repE0EEENS1_30default_config_static_selectorELNS0_4arch9wavefront6targetE0EEEvT1_.uses_flat_scratch, 0
	.set _ZN7rocprim17ROCPRIM_400000_NS6detail17trampoline_kernelINS0_14default_configENS1_25transform_config_selectorItLb0EEEZNS1_14transform_implILb0ES3_S5_PtN6thrust23THRUST_200600_302600_NS6detail15normal_iteratorINS9_10device_ptrItEEEENS0_8identityItEEEE10hipError_tT2_T3_mT4_P12ihipStream_tbEUlT_E_NS1_11comp_targetILNS1_3genE10ELNS1_11target_archE1200ELNS1_3gpuE4ELNS1_3repE0EEENS1_30default_config_static_selectorELNS0_4arch9wavefront6targetE0EEEvT1_.has_dyn_sized_stack, 0
	.set _ZN7rocprim17ROCPRIM_400000_NS6detail17trampoline_kernelINS0_14default_configENS1_25transform_config_selectorItLb0EEEZNS1_14transform_implILb0ES3_S5_PtN6thrust23THRUST_200600_302600_NS6detail15normal_iteratorINS9_10device_ptrItEEEENS0_8identityItEEEE10hipError_tT2_T3_mT4_P12ihipStream_tbEUlT_E_NS1_11comp_targetILNS1_3genE10ELNS1_11target_archE1200ELNS1_3gpuE4ELNS1_3repE0EEENS1_30default_config_static_selectorELNS0_4arch9wavefront6targetE0EEEvT1_.has_recursion, 0
	.set _ZN7rocprim17ROCPRIM_400000_NS6detail17trampoline_kernelINS0_14default_configENS1_25transform_config_selectorItLb0EEEZNS1_14transform_implILb0ES3_S5_PtN6thrust23THRUST_200600_302600_NS6detail15normal_iteratorINS9_10device_ptrItEEEENS0_8identityItEEEE10hipError_tT2_T3_mT4_P12ihipStream_tbEUlT_E_NS1_11comp_targetILNS1_3genE10ELNS1_11target_archE1200ELNS1_3gpuE4ELNS1_3repE0EEENS1_30default_config_static_selectorELNS0_4arch9wavefront6targetE0EEEvT1_.has_indirect_call, 0
	.section	.AMDGPU.csdata,"",@progbits
; Kernel info:
; codeLenInByte = 0
; TotalNumSgprs: 0
; NumVgprs: 0
; ScratchSize: 0
; MemoryBound: 0
; FloatMode: 240
; IeeeMode: 1
; LDSByteSize: 0 bytes/workgroup (compile time only)
; SGPRBlocks: 0
; VGPRBlocks: 0
; NumSGPRsForWavesPerEU: 1
; NumVGPRsForWavesPerEU: 1
; Occupancy: 16
; WaveLimiterHint : 0
; COMPUTE_PGM_RSRC2:SCRATCH_EN: 0
; COMPUTE_PGM_RSRC2:USER_SGPR: 6
; COMPUTE_PGM_RSRC2:TRAP_HANDLER: 0
; COMPUTE_PGM_RSRC2:TGID_X_EN: 1
; COMPUTE_PGM_RSRC2:TGID_Y_EN: 0
; COMPUTE_PGM_RSRC2:TGID_Z_EN: 0
; COMPUTE_PGM_RSRC2:TIDIG_COMP_CNT: 0
	.section	.text._ZN7rocprim17ROCPRIM_400000_NS6detail17trampoline_kernelINS0_14default_configENS1_25transform_config_selectorItLb0EEEZNS1_14transform_implILb0ES3_S5_PtN6thrust23THRUST_200600_302600_NS6detail15normal_iteratorINS9_10device_ptrItEEEENS0_8identityItEEEE10hipError_tT2_T3_mT4_P12ihipStream_tbEUlT_E_NS1_11comp_targetILNS1_3genE9ELNS1_11target_archE1100ELNS1_3gpuE3ELNS1_3repE0EEENS1_30default_config_static_selectorELNS0_4arch9wavefront6targetE0EEEvT1_,"axG",@progbits,_ZN7rocprim17ROCPRIM_400000_NS6detail17trampoline_kernelINS0_14default_configENS1_25transform_config_selectorItLb0EEEZNS1_14transform_implILb0ES3_S5_PtN6thrust23THRUST_200600_302600_NS6detail15normal_iteratorINS9_10device_ptrItEEEENS0_8identityItEEEE10hipError_tT2_T3_mT4_P12ihipStream_tbEUlT_E_NS1_11comp_targetILNS1_3genE9ELNS1_11target_archE1100ELNS1_3gpuE3ELNS1_3repE0EEENS1_30default_config_static_selectorELNS0_4arch9wavefront6targetE0EEEvT1_,comdat
	.protected	_ZN7rocprim17ROCPRIM_400000_NS6detail17trampoline_kernelINS0_14default_configENS1_25transform_config_selectorItLb0EEEZNS1_14transform_implILb0ES3_S5_PtN6thrust23THRUST_200600_302600_NS6detail15normal_iteratorINS9_10device_ptrItEEEENS0_8identityItEEEE10hipError_tT2_T3_mT4_P12ihipStream_tbEUlT_E_NS1_11comp_targetILNS1_3genE9ELNS1_11target_archE1100ELNS1_3gpuE3ELNS1_3repE0EEENS1_30default_config_static_selectorELNS0_4arch9wavefront6targetE0EEEvT1_ ; -- Begin function _ZN7rocprim17ROCPRIM_400000_NS6detail17trampoline_kernelINS0_14default_configENS1_25transform_config_selectorItLb0EEEZNS1_14transform_implILb0ES3_S5_PtN6thrust23THRUST_200600_302600_NS6detail15normal_iteratorINS9_10device_ptrItEEEENS0_8identityItEEEE10hipError_tT2_T3_mT4_P12ihipStream_tbEUlT_E_NS1_11comp_targetILNS1_3genE9ELNS1_11target_archE1100ELNS1_3gpuE3ELNS1_3repE0EEENS1_30default_config_static_selectorELNS0_4arch9wavefront6targetE0EEEvT1_
	.globl	_ZN7rocprim17ROCPRIM_400000_NS6detail17trampoline_kernelINS0_14default_configENS1_25transform_config_selectorItLb0EEEZNS1_14transform_implILb0ES3_S5_PtN6thrust23THRUST_200600_302600_NS6detail15normal_iteratorINS9_10device_ptrItEEEENS0_8identityItEEEE10hipError_tT2_T3_mT4_P12ihipStream_tbEUlT_E_NS1_11comp_targetILNS1_3genE9ELNS1_11target_archE1100ELNS1_3gpuE3ELNS1_3repE0EEENS1_30default_config_static_selectorELNS0_4arch9wavefront6targetE0EEEvT1_
	.p2align	8
	.type	_ZN7rocprim17ROCPRIM_400000_NS6detail17trampoline_kernelINS0_14default_configENS1_25transform_config_selectorItLb0EEEZNS1_14transform_implILb0ES3_S5_PtN6thrust23THRUST_200600_302600_NS6detail15normal_iteratorINS9_10device_ptrItEEEENS0_8identityItEEEE10hipError_tT2_T3_mT4_P12ihipStream_tbEUlT_E_NS1_11comp_targetILNS1_3genE9ELNS1_11target_archE1100ELNS1_3gpuE3ELNS1_3repE0EEENS1_30default_config_static_selectorELNS0_4arch9wavefront6targetE0EEEvT1_,@function
_ZN7rocprim17ROCPRIM_400000_NS6detail17trampoline_kernelINS0_14default_configENS1_25transform_config_selectorItLb0EEEZNS1_14transform_implILb0ES3_S5_PtN6thrust23THRUST_200600_302600_NS6detail15normal_iteratorINS9_10device_ptrItEEEENS0_8identityItEEEE10hipError_tT2_T3_mT4_P12ihipStream_tbEUlT_E_NS1_11comp_targetILNS1_3genE9ELNS1_11target_archE1100ELNS1_3gpuE3ELNS1_3repE0EEENS1_30default_config_static_selectorELNS0_4arch9wavefront6targetE0EEEvT1_: ; @_ZN7rocprim17ROCPRIM_400000_NS6detail17trampoline_kernelINS0_14default_configENS1_25transform_config_selectorItLb0EEEZNS1_14transform_implILb0ES3_S5_PtN6thrust23THRUST_200600_302600_NS6detail15normal_iteratorINS9_10device_ptrItEEEENS0_8identityItEEEE10hipError_tT2_T3_mT4_P12ihipStream_tbEUlT_E_NS1_11comp_targetILNS1_3genE9ELNS1_11target_archE1100ELNS1_3gpuE3ELNS1_3repE0EEENS1_30default_config_static_selectorELNS0_4arch9wavefront6targetE0EEEvT1_
; %bb.0:
	.section	.rodata,"a",@progbits
	.p2align	6, 0x0
	.amdhsa_kernel _ZN7rocprim17ROCPRIM_400000_NS6detail17trampoline_kernelINS0_14default_configENS1_25transform_config_selectorItLb0EEEZNS1_14transform_implILb0ES3_S5_PtN6thrust23THRUST_200600_302600_NS6detail15normal_iteratorINS9_10device_ptrItEEEENS0_8identityItEEEE10hipError_tT2_T3_mT4_P12ihipStream_tbEUlT_E_NS1_11comp_targetILNS1_3genE9ELNS1_11target_archE1100ELNS1_3gpuE3ELNS1_3repE0EEENS1_30default_config_static_selectorELNS0_4arch9wavefront6targetE0EEEvT1_
		.amdhsa_group_segment_fixed_size 0
		.amdhsa_private_segment_fixed_size 0
		.amdhsa_kernarg_size 40
		.amdhsa_user_sgpr_count 6
		.amdhsa_user_sgpr_private_segment_buffer 1
		.amdhsa_user_sgpr_dispatch_ptr 0
		.amdhsa_user_sgpr_queue_ptr 0
		.amdhsa_user_sgpr_kernarg_segment_ptr 1
		.amdhsa_user_sgpr_dispatch_id 0
		.amdhsa_user_sgpr_flat_scratch_init 0
		.amdhsa_user_sgpr_private_segment_size 0
		.amdhsa_wavefront_size32 1
		.amdhsa_uses_dynamic_stack 0
		.amdhsa_system_sgpr_private_segment_wavefront_offset 0
		.amdhsa_system_sgpr_workgroup_id_x 1
		.amdhsa_system_sgpr_workgroup_id_y 0
		.amdhsa_system_sgpr_workgroup_id_z 0
		.amdhsa_system_sgpr_workgroup_info 0
		.amdhsa_system_vgpr_workitem_id 0
		.amdhsa_next_free_vgpr 1
		.amdhsa_next_free_sgpr 1
		.amdhsa_reserve_vcc 0
		.amdhsa_reserve_flat_scratch 0
		.amdhsa_float_round_mode_32 0
		.amdhsa_float_round_mode_16_64 0
		.amdhsa_float_denorm_mode_32 3
		.amdhsa_float_denorm_mode_16_64 3
		.amdhsa_dx10_clamp 1
		.amdhsa_ieee_mode 1
		.amdhsa_fp16_overflow 0
		.amdhsa_workgroup_processor_mode 1
		.amdhsa_memory_ordered 1
		.amdhsa_forward_progress 1
		.amdhsa_shared_vgpr_count 0
		.amdhsa_exception_fp_ieee_invalid_op 0
		.amdhsa_exception_fp_denorm_src 0
		.amdhsa_exception_fp_ieee_div_zero 0
		.amdhsa_exception_fp_ieee_overflow 0
		.amdhsa_exception_fp_ieee_underflow 0
		.amdhsa_exception_fp_ieee_inexact 0
		.amdhsa_exception_int_div_zero 0
	.end_amdhsa_kernel
	.section	.text._ZN7rocprim17ROCPRIM_400000_NS6detail17trampoline_kernelINS0_14default_configENS1_25transform_config_selectorItLb0EEEZNS1_14transform_implILb0ES3_S5_PtN6thrust23THRUST_200600_302600_NS6detail15normal_iteratorINS9_10device_ptrItEEEENS0_8identityItEEEE10hipError_tT2_T3_mT4_P12ihipStream_tbEUlT_E_NS1_11comp_targetILNS1_3genE9ELNS1_11target_archE1100ELNS1_3gpuE3ELNS1_3repE0EEENS1_30default_config_static_selectorELNS0_4arch9wavefront6targetE0EEEvT1_,"axG",@progbits,_ZN7rocprim17ROCPRIM_400000_NS6detail17trampoline_kernelINS0_14default_configENS1_25transform_config_selectorItLb0EEEZNS1_14transform_implILb0ES3_S5_PtN6thrust23THRUST_200600_302600_NS6detail15normal_iteratorINS9_10device_ptrItEEEENS0_8identityItEEEE10hipError_tT2_T3_mT4_P12ihipStream_tbEUlT_E_NS1_11comp_targetILNS1_3genE9ELNS1_11target_archE1100ELNS1_3gpuE3ELNS1_3repE0EEENS1_30default_config_static_selectorELNS0_4arch9wavefront6targetE0EEEvT1_,comdat
.Lfunc_end297:
	.size	_ZN7rocprim17ROCPRIM_400000_NS6detail17trampoline_kernelINS0_14default_configENS1_25transform_config_selectorItLb0EEEZNS1_14transform_implILb0ES3_S5_PtN6thrust23THRUST_200600_302600_NS6detail15normal_iteratorINS9_10device_ptrItEEEENS0_8identityItEEEE10hipError_tT2_T3_mT4_P12ihipStream_tbEUlT_E_NS1_11comp_targetILNS1_3genE9ELNS1_11target_archE1100ELNS1_3gpuE3ELNS1_3repE0EEENS1_30default_config_static_selectorELNS0_4arch9wavefront6targetE0EEEvT1_, .Lfunc_end297-_ZN7rocprim17ROCPRIM_400000_NS6detail17trampoline_kernelINS0_14default_configENS1_25transform_config_selectorItLb0EEEZNS1_14transform_implILb0ES3_S5_PtN6thrust23THRUST_200600_302600_NS6detail15normal_iteratorINS9_10device_ptrItEEEENS0_8identityItEEEE10hipError_tT2_T3_mT4_P12ihipStream_tbEUlT_E_NS1_11comp_targetILNS1_3genE9ELNS1_11target_archE1100ELNS1_3gpuE3ELNS1_3repE0EEENS1_30default_config_static_selectorELNS0_4arch9wavefront6targetE0EEEvT1_
                                        ; -- End function
	.set _ZN7rocprim17ROCPRIM_400000_NS6detail17trampoline_kernelINS0_14default_configENS1_25transform_config_selectorItLb0EEEZNS1_14transform_implILb0ES3_S5_PtN6thrust23THRUST_200600_302600_NS6detail15normal_iteratorINS9_10device_ptrItEEEENS0_8identityItEEEE10hipError_tT2_T3_mT4_P12ihipStream_tbEUlT_E_NS1_11comp_targetILNS1_3genE9ELNS1_11target_archE1100ELNS1_3gpuE3ELNS1_3repE0EEENS1_30default_config_static_selectorELNS0_4arch9wavefront6targetE0EEEvT1_.num_vgpr, 0
	.set _ZN7rocprim17ROCPRIM_400000_NS6detail17trampoline_kernelINS0_14default_configENS1_25transform_config_selectorItLb0EEEZNS1_14transform_implILb0ES3_S5_PtN6thrust23THRUST_200600_302600_NS6detail15normal_iteratorINS9_10device_ptrItEEEENS0_8identityItEEEE10hipError_tT2_T3_mT4_P12ihipStream_tbEUlT_E_NS1_11comp_targetILNS1_3genE9ELNS1_11target_archE1100ELNS1_3gpuE3ELNS1_3repE0EEENS1_30default_config_static_selectorELNS0_4arch9wavefront6targetE0EEEvT1_.num_agpr, 0
	.set _ZN7rocprim17ROCPRIM_400000_NS6detail17trampoline_kernelINS0_14default_configENS1_25transform_config_selectorItLb0EEEZNS1_14transform_implILb0ES3_S5_PtN6thrust23THRUST_200600_302600_NS6detail15normal_iteratorINS9_10device_ptrItEEEENS0_8identityItEEEE10hipError_tT2_T3_mT4_P12ihipStream_tbEUlT_E_NS1_11comp_targetILNS1_3genE9ELNS1_11target_archE1100ELNS1_3gpuE3ELNS1_3repE0EEENS1_30default_config_static_selectorELNS0_4arch9wavefront6targetE0EEEvT1_.numbered_sgpr, 0
	.set _ZN7rocprim17ROCPRIM_400000_NS6detail17trampoline_kernelINS0_14default_configENS1_25transform_config_selectorItLb0EEEZNS1_14transform_implILb0ES3_S5_PtN6thrust23THRUST_200600_302600_NS6detail15normal_iteratorINS9_10device_ptrItEEEENS0_8identityItEEEE10hipError_tT2_T3_mT4_P12ihipStream_tbEUlT_E_NS1_11comp_targetILNS1_3genE9ELNS1_11target_archE1100ELNS1_3gpuE3ELNS1_3repE0EEENS1_30default_config_static_selectorELNS0_4arch9wavefront6targetE0EEEvT1_.num_named_barrier, 0
	.set _ZN7rocprim17ROCPRIM_400000_NS6detail17trampoline_kernelINS0_14default_configENS1_25transform_config_selectorItLb0EEEZNS1_14transform_implILb0ES3_S5_PtN6thrust23THRUST_200600_302600_NS6detail15normal_iteratorINS9_10device_ptrItEEEENS0_8identityItEEEE10hipError_tT2_T3_mT4_P12ihipStream_tbEUlT_E_NS1_11comp_targetILNS1_3genE9ELNS1_11target_archE1100ELNS1_3gpuE3ELNS1_3repE0EEENS1_30default_config_static_selectorELNS0_4arch9wavefront6targetE0EEEvT1_.private_seg_size, 0
	.set _ZN7rocprim17ROCPRIM_400000_NS6detail17trampoline_kernelINS0_14default_configENS1_25transform_config_selectorItLb0EEEZNS1_14transform_implILb0ES3_S5_PtN6thrust23THRUST_200600_302600_NS6detail15normal_iteratorINS9_10device_ptrItEEEENS0_8identityItEEEE10hipError_tT2_T3_mT4_P12ihipStream_tbEUlT_E_NS1_11comp_targetILNS1_3genE9ELNS1_11target_archE1100ELNS1_3gpuE3ELNS1_3repE0EEENS1_30default_config_static_selectorELNS0_4arch9wavefront6targetE0EEEvT1_.uses_vcc, 0
	.set _ZN7rocprim17ROCPRIM_400000_NS6detail17trampoline_kernelINS0_14default_configENS1_25transform_config_selectorItLb0EEEZNS1_14transform_implILb0ES3_S5_PtN6thrust23THRUST_200600_302600_NS6detail15normal_iteratorINS9_10device_ptrItEEEENS0_8identityItEEEE10hipError_tT2_T3_mT4_P12ihipStream_tbEUlT_E_NS1_11comp_targetILNS1_3genE9ELNS1_11target_archE1100ELNS1_3gpuE3ELNS1_3repE0EEENS1_30default_config_static_selectorELNS0_4arch9wavefront6targetE0EEEvT1_.uses_flat_scratch, 0
	.set _ZN7rocprim17ROCPRIM_400000_NS6detail17trampoline_kernelINS0_14default_configENS1_25transform_config_selectorItLb0EEEZNS1_14transform_implILb0ES3_S5_PtN6thrust23THRUST_200600_302600_NS6detail15normal_iteratorINS9_10device_ptrItEEEENS0_8identityItEEEE10hipError_tT2_T3_mT4_P12ihipStream_tbEUlT_E_NS1_11comp_targetILNS1_3genE9ELNS1_11target_archE1100ELNS1_3gpuE3ELNS1_3repE0EEENS1_30default_config_static_selectorELNS0_4arch9wavefront6targetE0EEEvT1_.has_dyn_sized_stack, 0
	.set _ZN7rocprim17ROCPRIM_400000_NS6detail17trampoline_kernelINS0_14default_configENS1_25transform_config_selectorItLb0EEEZNS1_14transform_implILb0ES3_S5_PtN6thrust23THRUST_200600_302600_NS6detail15normal_iteratorINS9_10device_ptrItEEEENS0_8identityItEEEE10hipError_tT2_T3_mT4_P12ihipStream_tbEUlT_E_NS1_11comp_targetILNS1_3genE9ELNS1_11target_archE1100ELNS1_3gpuE3ELNS1_3repE0EEENS1_30default_config_static_selectorELNS0_4arch9wavefront6targetE0EEEvT1_.has_recursion, 0
	.set _ZN7rocprim17ROCPRIM_400000_NS6detail17trampoline_kernelINS0_14default_configENS1_25transform_config_selectorItLb0EEEZNS1_14transform_implILb0ES3_S5_PtN6thrust23THRUST_200600_302600_NS6detail15normal_iteratorINS9_10device_ptrItEEEENS0_8identityItEEEE10hipError_tT2_T3_mT4_P12ihipStream_tbEUlT_E_NS1_11comp_targetILNS1_3genE9ELNS1_11target_archE1100ELNS1_3gpuE3ELNS1_3repE0EEENS1_30default_config_static_selectorELNS0_4arch9wavefront6targetE0EEEvT1_.has_indirect_call, 0
	.section	.AMDGPU.csdata,"",@progbits
; Kernel info:
; codeLenInByte = 0
; TotalNumSgprs: 0
; NumVgprs: 0
; ScratchSize: 0
; MemoryBound: 0
; FloatMode: 240
; IeeeMode: 1
; LDSByteSize: 0 bytes/workgroup (compile time only)
; SGPRBlocks: 0
; VGPRBlocks: 0
; NumSGPRsForWavesPerEU: 1
; NumVGPRsForWavesPerEU: 1
; Occupancy: 16
; WaveLimiterHint : 0
; COMPUTE_PGM_RSRC2:SCRATCH_EN: 0
; COMPUTE_PGM_RSRC2:USER_SGPR: 6
; COMPUTE_PGM_RSRC2:TRAP_HANDLER: 0
; COMPUTE_PGM_RSRC2:TGID_X_EN: 1
; COMPUTE_PGM_RSRC2:TGID_Y_EN: 0
; COMPUTE_PGM_RSRC2:TGID_Z_EN: 0
; COMPUTE_PGM_RSRC2:TIDIG_COMP_CNT: 0
	.section	.text._ZN7rocprim17ROCPRIM_400000_NS6detail17trampoline_kernelINS0_14default_configENS1_25transform_config_selectorItLb0EEEZNS1_14transform_implILb0ES3_S5_PtN6thrust23THRUST_200600_302600_NS6detail15normal_iteratorINS9_10device_ptrItEEEENS0_8identityItEEEE10hipError_tT2_T3_mT4_P12ihipStream_tbEUlT_E_NS1_11comp_targetILNS1_3genE8ELNS1_11target_archE1030ELNS1_3gpuE2ELNS1_3repE0EEENS1_30default_config_static_selectorELNS0_4arch9wavefront6targetE0EEEvT1_,"axG",@progbits,_ZN7rocprim17ROCPRIM_400000_NS6detail17trampoline_kernelINS0_14default_configENS1_25transform_config_selectorItLb0EEEZNS1_14transform_implILb0ES3_S5_PtN6thrust23THRUST_200600_302600_NS6detail15normal_iteratorINS9_10device_ptrItEEEENS0_8identityItEEEE10hipError_tT2_T3_mT4_P12ihipStream_tbEUlT_E_NS1_11comp_targetILNS1_3genE8ELNS1_11target_archE1030ELNS1_3gpuE2ELNS1_3repE0EEENS1_30default_config_static_selectorELNS0_4arch9wavefront6targetE0EEEvT1_,comdat
	.protected	_ZN7rocprim17ROCPRIM_400000_NS6detail17trampoline_kernelINS0_14default_configENS1_25transform_config_selectorItLb0EEEZNS1_14transform_implILb0ES3_S5_PtN6thrust23THRUST_200600_302600_NS6detail15normal_iteratorINS9_10device_ptrItEEEENS0_8identityItEEEE10hipError_tT2_T3_mT4_P12ihipStream_tbEUlT_E_NS1_11comp_targetILNS1_3genE8ELNS1_11target_archE1030ELNS1_3gpuE2ELNS1_3repE0EEENS1_30default_config_static_selectorELNS0_4arch9wavefront6targetE0EEEvT1_ ; -- Begin function _ZN7rocprim17ROCPRIM_400000_NS6detail17trampoline_kernelINS0_14default_configENS1_25transform_config_selectorItLb0EEEZNS1_14transform_implILb0ES3_S5_PtN6thrust23THRUST_200600_302600_NS6detail15normal_iteratorINS9_10device_ptrItEEEENS0_8identityItEEEE10hipError_tT2_T3_mT4_P12ihipStream_tbEUlT_E_NS1_11comp_targetILNS1_3genE8ELNS1_11target_archE1030ELNS1_3gpuE2ELNS1_3repE0EEENS1_30default_config_static_selectorELNS0_4arch9wavefront6targetE0EEEvT1_
	.globl	_ZN7rocprim17ROCPRIM_400000_NS6detail17trampoline_kernelINS0_14default_configENS1_25transform_config_selectorItLb0EEEZNS1_14transform_implILb0ES3_S5_PtN6thrust23THRUST_200600_302600_NS6detail15normal_iteratorINS9_10device_ptrItEEEENS0_8identityItEEEE10hipError_tT2_T3_mT4_P12ihipStream_tbEUlT_E_NS1_11comp_targetILNS1_3genE8ELNS1_11target_archE1030ELNS1_3gpuE2ELNS1_3repE0EEENS1_30default_config_static_selectorELNS0_4arch9wavefront6targetE0EEEvT1_
	.p2align	8
	.type	_ZN7rocprim17ROCPRIM_400000_NS6detail17trampoline_kernelINS0_14default_configENS1_25transform_config_selectorItLb0EEEZNS1_14transform_implILb0ES3_S5_PtN6thrust23THRUST_200600_302600_NS6detail15normal_iteratorINS9_10device_ptrItEEEENS0_8identityItEEEE10hipError_tT2_T3_mT4_P12ihipStream_tbEUlT_E_NS1_11comp_targetILNS1_3genE8ELNS1_11target_archE1030ELNS1_3gpuE2ELNS1_3repE0EEENS1_30default_config_static_selectorELNS0_4arch9wavefront6targetE0EEEvT1_,@function
_ZN7rocprim17ROCPRIM_400000_NS6detail17trampoline_kernelINS0_14default_configENS1_25transform_config_selectorItLb0EEEZNS1_14transform_implILb0ES3_S5_PtN6thrust23THRUST_200600_302600_NS6detail15normal_iteratorINS9_10device_ptrItEEEENS0_8identityItEEEE10hipError_tT2_T3_mT4_P12ihipStream_tbEUlT_E_NS1_11comp_targetILNS1_3genE8ELNS1_11target_archE1030ELNS1_3gpuE2ELNS1_3repE0EEENS1_30default_config_static_selectorELNS0_4arch9wavefront6targetE0EEEvT1_: ; @_ZN7rocprim17ROCPRIM_400000_NS6detail17trampoline_kernelINS0_14default_configENS1_25transform_config_selectorItLb0EEEZNS1_14transform_implILb0ES3_S5_PtN6thrust23THRUST_200600_302600_NS6detail15normal_iteratorINS9_10device_ptrItEEEENS0_8identityItEEEE10hipError_tT2_T3_mT4_P12ihipStream_tbEUlT_E_NS1_11comp_targetILNS1_3genE8ELNS1_11target_archE1030ELNS1_3gpuE2ELNS1_3repE0EEENS1_30default_config_static_selectorELNS0_4arch9wavefront6targetE0EEEvT1_
; %bb.0:
	s_clause 0x1
	s_load_dword s0, s[4:5], 0x28
	s_load_dword s1, s[4:5], 0x10
	s_waitcnt lgkmcnt(0)
	s_add_i32 s2, s0, -1
	s_lshl_b32 s0, s6, 10
	s_cmp_lg_u32 s6, s2
	s_cselect_b32 s2, -1, 0
	s_sub_i32 s1, s1, s0
	v_cmp_gt_u32_e32 vcc_lo, s1, v0
	s_or_b32 s1, vcc_lo, s2
	s_and_saveexec_b32 s2, s1
	s_cbranch_execz .LBB298_2
; %bb.1:
	s_clause 0x1
	s_load_dwordx4 s[8:11], s[4:5], 0x0
	s_load_dwordx2 s[2:3], s[4:5], 0x18
	s_mov_b32 s1, 0
	v_lshlrev_b32_e32 v0, 1, v0
	s_waitcnt lgkmcnt(0)
	s_lshl_b64 s[4:5], s[10:11], 1
	s_add_u32 s6, s8, s4
	s_addc_u32 s7, s9, s5
	s_lshl_b64 s[0:1], s[0:1], 1
	s_add_u32 s6, s6, s0
	s_addc_u32 s7, s7, s1
	s_add_u32 s2, s2, s4
	global_load_ushort v2, v0, s[6:7]
	s_addc_u32 s3, s3, s5
	s_add_u32 s0, s2, s0
	s_addc_u32 s1, s3, s1
	v_add_co_u32 v0, s0, s0, v0
	v_add_co_ci_u32_e64 v1, null, s1, 0, s0
	s_waitcnt vmcnt(0)
	flat_store_short v[0:1], v2
.LBB298_2:
	s_endpgm
	.section	.rodata,"a",@progbits
	.p2align	6, 0x0
	.amdhsa_kernel _ZN7rocprim17ROCPRIM_400000_NS6detail17trampoline_kernelINS0_14default_configENS1_25transform_config_selectorItLb0EEEZNS1_14transform_implILb0ES3_S5_PtN6thrust23THRUST_200600_302600_NS6detail15normal_iteratorINS9_10device_ptrItEEEENS0_8identityItEEEE10hipError_tT2_T3_mT4_P12ihipStream_tbEUlT_E_NS1_11comp_targetILNS1_3genE8ELNS1_11target_archE1030ELNS1_3gpuE2ELNS1_3repE0EEENS1_30default_config_static_selectorELNS0_4arch9wavefront6targetE0EEEvT1_
		.amdhsa_group_segment_fixed_size 0
		.amdhsa_private_segment_fixed_size 0
		.amdhsa_kernarg_size 296
		.amdhsa_user_sgpr_count 6
		.amdhsa_user_sgpr_private_segment_buffer 1
		.amdhsa_user_sgpr_dispatch_ptr 0
		.amdhsa_user_sgpr_queue_ptr 0
		.amdhsa_user_sgpr_kernarg_segment_ptr 1
		.amdhsa_user_sgpr_dispatch_id 0
		.amdhsa_user_sgpr_flat_scratch_init 0
		.amdhsa_user_sgpr_private_segment_size 0
		.amdhsa_wavefront_size32 1
		.amdhsa_uses_dynamic_stack 0
		.amdhsa_system_sgpr_private_segment_wavefront_offset 0
		.amdhsa_system_sgpr_workgroup_id_x 1
		.amdhsa_system_sgpr_workgroup_id_y 0
		.amdhsa_system_sgpr_workgroup_id_z 0
		.amdhsa_system_sgpr_workgroup_info 0
		.amdhsa_system_vgpr_workitem_id 0
		.amdhsa_next_free_vgpr 3
		.amdhsa_next_free_sgpr 12
		.amdhsa_reserve_vcc 1
		.amdhsa_reserve_flat_scratch 0
		.amdhsa_float_round_mode_32 0
		.amdhsa_float_round_mode_16_64 0
		.amdhsa_float_denorm_mode_32 3
		.amdhsa_float_denorm_mode_16_64 3
		.amdhsa_dx10_clamp 1
		.amdhsa_ieee_mode 1
		.amdhsa_fp16_overflow 0
		.amdhsa_workgroup_processor_mode 1
		.amdhsa_memory_ordered 1
		.amdhsa_forward_progress 1
		.amdhsa_shared_vgpr_count 0
		.amdhsa_exception_fp_ieee_invalid_op 0
		.amdhsa_exception_fp_denorm_src 0
		.amdhsa_exception_fp_ieee_div_zero 0
		.amdhsa_exception_fp_ieee_overflow 0
		.amdhsa_exception_fp_ieee_underflow 0
		.amdhsa_exception_fp_ieee_inexact 0
		.amdhsa_exception_int_div_zero 0
	.end_amdhsa_kernel
	.section	.text._ZN7rocprim17ROCPRIM_400000_NS6detail17trampoline_kernelINS0_14default_configENS1_25transform_config_selectorItLb0EEEZNS1_14transform_implILb0ES3_S5_PtN6thrust23THRUST_200600_302600_NS6detail15normal_iteratorINS9_10device_ptrItEEEENS0_8identityItEEEE10hipError_tT2_T3_mT4_P12ihipStream_tbEUlT_E_NS1_11comp_targetILNS1_3genE8ELNS1_11target_archE1030ELNS1_3gpuE2ELNS1_3repE0EEENS1_30default_config_static_selectorELNS0_4arch9wavefront6targetE0EEEvT1_,"axG",@progbits,_ZN7rocprim17ROCPRIM_400000_NS6detail17trampoline_kernelINS0_14default_configENS1_25transform_config_selectorItLb0EEEZNS1_14transform_implILb0ES3_S5_PtN6thrust23THRUST_200600_302600_NS6detail15normal_iteratorINS9_10device_ptrItEEEENS0_8identityItEEEE10hipError_tT2_T3_mT4_P12ihipStream_tbEUlT_E_NS1_11comp_targetILNS1_3genE8ELNS1_11target_archE1030ELNS1_3gpuE2ELNS1_3repE0EEENS1_30default_config_static_selectorELNS0_4arch9wavefront6targetE0EEEvT1_,comdat
.Lfunc_end298:
	.size	_ZN7rocprim17ROCPRIM_400000_NS6detail17trampoline_kernelINS0_14default_configENS1_25transform_config_selectorItLb0EEEZNS1_14transform_implILb0ES3_S5_PtN6thrust23THRUST_200600_302600_NS6detail15normal_iteratorINS9_10device_ptrItEEEENS0_8identityItEEEE10hipError_tT2_T3_mT4_P12ihipStream_tbEUlT_E_NS1_11comp_targetILNS1_3genE8ELNS1_11target_archE1030ELNS1_3gpuE2ELNS1_3repE0EEENS1_30default_config_static_selectorELNS0_4arch9wavefront6targetE0EEEvT1_, .Lfunc_end298-_ZN7rocprim17ROCPRIM_400000_NS6detail17trampoline_kernelINS0_14default_configENS1_25transform_config_selectorItLb0EEEZNS1_14transform_implILb0ES3_S5_PtN6thrust23THRUST_200600_302600_NS6detail15normal_iteratorINS9_10device_ptrItEEEENS0_8identityItEEEE10hipError_tT2_T3_mT4_P12ihipStream_tbEUlT_E_NS1_11comp_targetILNS1_3genE8ELNS1_11target_archE1030ELNS1_3gpuE2ELNS1_3repE0EEENS1_30default_config_static_selectorELNS0_4arch9wavefront6targetE0EEEvT1_
                                        ; -- End function
	.set _ZN7rocprim17ROCPRIM_400000_NS6detail17trampoline_kernelINS0_14default_configENS1_25transform_config_selectorItLb0EEEZNS1_14transform_implILb0ES3_S5_PtN6thrust23THRUST_200600_302600_NS6detail15normal_iteratorINS9_10device_ptrItEEEENS0_8identityItEEEE10hipError_tT2_T3_mT4_P12ihipStream_tbEUlT_E_NS1_11comp_targetILNS1_3genE8ELNS1_11target_archE1030ELNS1_3gpuE2ELNS1_3repE0EEENS1_30default_config_static_selectorELNS0_4arch9wavefront6targetE0EEEvT1_.num_vgpr, 3
	.set _ZN7rocprim17ROCPRIM_400000_NS6detail17trampoline_kernelINS0_14default_configENS1_25transform_config_selectorItLb0EEEZNS1_14transform_implILb0ES3_S5_PtN6thrust23THRUST_200600_302600_NS6detail15normal_iteratorINS9_10device_ptrItEEEENS0_8identityItEEEE10hipError_tT2_T3_mT4_P12ihipStream_tbEUlT_E_NS1_11comp_targetILNS1_3genE8ELNS1_11target_archE1030ELNS1_3gpuE2ELNS1_3repE0EEENS1_30default_config_static_selectorELNS0_4arch9wavefront6targetE0EEEvT1_.num_agpr, 0
	.set _ZN7rocprim17ROCPRIM_400000_NS6detail17trampoline_kernelINS0_14default_configENS1_25transform_config_selectorItLb0EEEZNS1_14transform_implILb0ES3_S5_PtN6thrust23THRUST_200600_302600_NS6detail15normal_iteratorINS9_10device_ptrItEEEENS0_8identityItEEEE10hipError_tT2_T3_mT4_P12ihipStream_tbEUlT_E_NS1_11comp_targetILNS1_3genE8ELNS1_11target_archE1030ELNS1_3gpuE2ELNS1_3repE0EEENS1_30default_config_static_selectorELNS0_4arch9wavefront6targetE0EEEvT1_.numbered_sgpr, 12
	.set _ZN7rocprim17ROCPRIM_400000_NS6detail17trampoline_kernelINS0_14default_configENS1_25transform_config_selectorItLb0EEEZNS1_14transform_implILb0ES3_S5_PtN6thrust23THRUST_200600_302600_NS6detail15normal_iteratorINS9_10device_ptrItEEEENS0_8identityItEEEE10hipError_tT2_T3_mT4_P12ihipStream_tbEUlT_E_NS1_11comp_targetILNS1_3genE8ELNS1_11target_archE1030ELNS1_3gpuE2ELNS1_3repE0EEENS1_30default_config_static_selectorELNS0_4arch9wavefront6targetE0EEEvT1_.num_named_barrier, 0
	.set _ZN7rocprim17ROCPRIM_400000_NS6detail17trampoline_kernelINS0_14default_configENS1_25transform_config_selectorItLb0EEEZNS1_14transform_implILb0ES3_S5_PtN6thrust23THRUST_200600_302600_NS6detail15normal_iteratorINS9_10device_ptrItEEEENS0_8identityItEEEE10hipError_tT2_T3_mT4_P12ihipStream_tbEUlT_E_NS1_11comp_targetILNS1_3genE8ELNS1_11target_archE1030ELNS1_3gpuE2ELNS1_3repE0EEENS1_30default_config_static_selectorELNS0_4arch9wavefront6targetE0EEEvT1_.private_seg_size, 0
	.set _ZN7rocprim17ROCPRIM_400000_NS6detail17trampoline_kernelINS0_14default_configENS1_25transform_config_selectorItLb0EEEZNS1_14transform_implILb0ES3_S5_PtN6thrust23THRUST_200600_302600_NS6detail15normal_iteratorINS9_10device_ptrItEEEENS0_8identityItEEEE10hipError_tT2_T3_mT4_P12ihipStream_tbEUlT_E_NS1_11comp_targetILNS1_3genE8ELNS1_11target_archE1030ELNS1_3gpuE2ELNS1_3repE0EEENS1_30default_config_static_selectorELNS0_4arch9wavefront6targetE0EEEvT1_.uses_vcc, 1
	.set _ZN7rocprim17ROCPRIM_400000_NS6detail17trampoline_kernelINS0_14default_configENS1_25transform_config_selectorItLb0EEEZNS1_14transform_implILb0ES3_S5_PtN6thrust23THRUST_200600_302600_NS6detail15normal_iteratorINS9_10device_ptrItEEEENS0_8identityItEEEE10hipError_tT2_T3_mT4_P12ihipStream_tbEUlT_E_NS1_11comp_targetILNS1_3genE8ELNS1_11target_archE1030ELNS1_3gpuE2ELNS1_3repE0EEENS1_30default_config_static_selectorELNS0_4arch9wavefront6targetE0EEEvT1_.uses_flat_scratch, 0
	.set _ZN7rocprim17ROCPRIM_400000_NS6detail17trampoline_kernelINS0_14default_configENS1_25transform_config_selectorItLb0EEEZNS1_14transform_implILb0ES3_S5_PtN6thrust23THRUST_200600_302600_NS6detail15normal_iteratorINS9_10device_ptrItEEEENS0_8identityItEEEE10hipError_tT2_T3_mT4_P12ihipStream_tbEUlT_E_NS1_11comp_targetILNS1_3genE8ELNS1_11target_archE1030ELNS1_3gpuE2ELNS1_3repE0EEENS1_30default_config_static_selectorELNS0_4arch9wavefront6targetE0EEEvT1_.has_dyn_sized_stack, 0
	.set _ZN7rocprim17ROCPRIM_400000_NS6detail17trampoline_kernelINS0_14default_configENS1_25transform_config_selectorItLb0EEEZNS1_14transform_implILb0ES3_S5_PtN6thrust23THRUST_200600_302600_NS6detail15normal_iteratorINS9_10device_ptrItEEEENS0_8identityItEEEE10hipError_tT2_T3_mT4_P12ihipStream_tbEUlT_E_NS1_11comp_targetILNS1_3genE8ELNS1_11target_archE1030ELNS1_3gpuE2ELNS1_3repE0EEENS1_30default_config_static_selectorELNS0_4arch9wavefront6targetE0EEEvT1_.has_recursion, 0
	.set _ZN7rocprim17ROCPRIM_400000_NS6detail17trampoline_kernelINS0_14default_configENS1_25transform_config_selectorItLb0EEEZNS1_14transform_implILb0ES3_S5_PtN6thrust23THRUST_200600_302600_NS6detail15normal_iteratorINS9_10device_ptrItEEEENS0_8identityItEEEE10hipError_tT2_T3_mT4_P12ihipStream_tbEUlT_E_NS1_11comp_targetILNS1_3genE8ELNS1_11target_archE1030ELNS1_3gpuE2ELNS1_3repE0EEENS1_30default_config_static_selectorELNS0_4arch9wavefront6targetE0EEEvT1_.has_indirect_call, 0
	.section	.AMDGPU.csdata,"",@progbits
; Kernel info:
; codeLenInByte = 172
; TotalNumSgprs: 14
; NumVgprs: 3
; ScratchSize: 0
; MemoryBound: 0
; FloatMode: 240
; IeeeMode: 1
; LDSByteSize: 0 bytes/workgroup (compile time only)
; SGPRBlocks: 0
; VGPRBlocks: 0
; NumSGPRsForWavesPerEU: 14
; NumVGPRsForWavesPerEU: 3
; Occupancy: 16
; WaveLimiterHint : 0
; COMPUTE_PGM_RSRC2:SCRATCH_EN: 0
; COMPUTE_PGM_RSRC2:USER_SGPR: 6
; COMPUTE_PGM_RSRC2:TRAP_HANDLER: 0
; COMPUTE_PGM_RSRC2:TGID_X_EN: 1
; COMPUTE_PGM_RSRC2:TGID_Y_EN: 0
; COMPUTE_PGM_RSRC2:TGID_Z_EN: 0
; COMPUTE_PGM_RSRC2:TIDIG_COMP_CNT: 0
	.section	.text._ZN7rocprim17ROCPRIM_400000_NS6detail17trampoline_kernelINS0_14default_configENS1_22reduce_config_selectorIN6thrust23THRUST_200600_302600_NS5tupleIblNS6_9null_typeES8_S8_S8_S8_S8_S8_S8_EEEEZNS1_11reduce_implILb1ES3_NS6_12zip_iteratorINS7_INS6_11hip_rocprim26transform_input_iterator_tIbNSD_35transform_pair_of_input_iterators_tIbNS6_6detail15normal_iteratorINS6_10device_ptrIKtEEEESL_NS6_8equal_toItEEEENSG_9not_fun_tINSD_8identityEEEEENSD_19counting_iterator_tIlEES8_S8_S8_S8_S8_S8_S8_S8_EEEEPS9_S9_NSD_9__find_if7functorIS9_EEEE10hipError_tPvRmT1_T2_T3_mT4_P12ihipStream_tbEUlT_E0_NS1_11comp_targetILNS1_3genE0ELNS1_11target_archE4294967295ELNS1_3gpuE0ELNS1_3repE0EEENS1_30default_config_static_selectorELNS0_4arch9wavefront6targetE0EEEvS14_,"axG",@progbits,_ZN7rocprim17ROCPRIM_400000_NS6detail17trampoline_kernelINS0_14default_configENS1_22reduce_config_selectorIN6thrust23THRUST_200600_302600_NS5tupleIblNS6_9null_typeES8_S8_S8_S8_S8_S8_S8_EEEEZNS1_11reduce_implILb1ES3_NS6_12zip_iteratorINS7_INS6_11hip_rocprim26transform_input_iterator_tIbNSD_35transform_pair_of_input_iterators_tIbNS6_6detail15normal_iteratorINS6_10device_ptrIKtEEEESL_NS6_8equal_toItEEEENSG_9not_fun_tINSD_8identityEEEEENSD_19counting_iterator_tIlEES8_S8_S8_S8_S8_S8_S8_S8_EEEEPS9_S9_NSD_9__find_if7functorIS9_EEEE10hipError_tPvRmT1_T2_T3_mT4_P12ihipStream_tbEUlT_E0_NS1_11comp_targetILNS1_3genE0ELNS1_11target_archE4294967295ELNS1_3gpuE0ELNS1_3repE0EEENS1_30default_config_static_selectorELNS0_4arch9wavefront6targetE0EEEvS14_,comdat
	.protected	_ZN7rocprim17ROCPRIM_400000_NS6detail17trampoline_kernelINS0_14default_configENS1_22reduce_config_selectorIN6thrust23THRUST_200600_302600_NS5tupleIblNS6_9null_typeES8_S8_S8_S8_S8_S8_S8_EEEEZNS1_11reduce_implILb1ES3_NS6_12zip_iteratorINS7_INS6_11hip_rocprim26transform_input_iterator_tIbNSD_35transform_pair_of_input_iterators_tIbNS6_6detail15normal_iteratorINS6_10device_ptrIKtEEEESL_NS6_8equal_toItEEEENSG_9not_fun_tINSD_8identityEEEEENSD_19counting_iterator_tIlEES8_S8_S8_S8_S8_S8_S8_S8_EEEEPS9_S9_NSD_9__find_if7functorIS9_EEEE10hipError_tPvRmT1_T2_T3_mT4_P12ihipStream_tbEUlT_E0_NS1_11comp_targetILNS1_3genE0ELNS1_11target_archE4294967295ELNS1_3gpuE0ELNS1_3repE0EEENS1_30default_config_static_selectorELNS0_4arch9wavefront6targetE0EEEvS14_ ; -- Begin function _ZN7rocprim17ROCPRIM_400000_NS6detail17trampoline_kernelINS0_14default_configENS1_22reduce_config_selectorIN6thrust23THRUST_200600_302600_NS5tupleIblNS6_9null_typeES8_S8_S8_S8_S8_S8_S8_EEEEZNS1_11reduce_implILb1ES3_NS6_12zip_iteratorINS7_INS6_11hip_rocprim26transform_input_iterator_tIbNSD_35transform_pair_of_input_iterators_tIbNS6_6detail15normal_iteratorINS6_10device_ptrIKtEEEESL_NS6_8equal_toItEEEENSG_9not_fun_tINSD_8identityEEEEENSD_19counting_iterator_tIlEES8_S8_S8_S8_S8_S8_S8_S8_EEEEPS9_S9_NSD_9__find_if7functorIS9_EEEE10hipError_tPvRmT1_T2_T3_mT4_P12ihipStream_tbEUlT_E0_NS1_11comp_targetILNS1_3genE0ELNS1_11target_archE4294967295ELNS1_3gpuE0ELNS1_3repE0EEENS1_30default_config_static_selectorELNS0_4arch9wavefront6targetE0EEEvS14_
	.globl	_ZN7rocprim17ROCPRIM_400000_NS6detail17trampoline_kernelINS0_14default_configENS1_22reduce_config_selectorIN6thrust23THRUST_200600_302600_NS5tupleIblNS6_9null_typeES8_S8_S8_S8_S8_S8_S8_EEEEZNS1_11reduce_implILb1ES3_NS6_12zip_iteratorINS7_INS6_11hip_rocprim26transform_input_iterator_tIbNSD_35transform_pair_of_input_iterators_tIbNS6_6detail15normal_iteratorINS6_10device_ptrIKtEEEESL_NS6_8equal_toItEEEENSG_9not_fun_tINSD_8identityEEEEENSD_19counting_iterator_tIlEES8_S8_S8_S8_S8_S8_S8_S8_EEEEPS9_S9_NSD_9__find_if7functorIS9_EEEE10hipError_tPvRmT1_T2_T3_mT4_P12ihipStream_tbEUlT_E0_NS1_11comp_targetILNS1_3genE0ELNS1_11target_archE4294967295ELNS1_3gpuE0ELNS1_3repE0EEENS1_30default_config_static_selectorELNS0_4arch9wavefront6targetE0EEEvS14_
	.p2align	8
	.type	_ZN7rocprim17ROCPRIM_400000_NS6detail17trampoline_kernelINS0_14default_configENS1_22reduce_config_selectorIN6thrust23THRUST_200600_302600_NS5tupleIblNS6_9null_typeES8_S8_S8_S8_S8_S8_S8_EEEEZNS1_11reduce_implILb1ES3_NS6_12zip_iteratorINS7_INS6_11hip_rocprim26transform_input_iterator_tIbNSD_35transform_pair_of_input_iterators_tIbNS6_6detail15normal_iteratorINS6_10device_ptrIKtEEEESL_NS6_8equal_toItEEEENSG_9not_fun_tINSD_8identityEEEEENSD_19counting_iterator_tIlEES8_S8_S8_S8_S8_S8_S8_S8_EEEEPS9_S9_NSD_9__find_if7functorIS9_EEEE10hipError_tPvRmT1_T2_T3_mT4_P12ihipStream_tbEUlT_E0_NS1_11comp_targetILNS1_3genE0ELNS1_11target_archE4294967295ELNS1_3gpuE0ELNS1_3repE0EEENS1_30default_config_static_selectorELNS0_4arch9wavefront6targetE0EEEvS14_,@function
_ZN7rocprim17ROCPRIM_400000_NS6detail17trampoline_kernelINS0_14default_configENS1_22reduce_config_selectorIN6thrust23THRUST_200600_302600_NS5tupleIblNS6_9null_typeES8_S8_S8_S8_S8_S8_S8_EEEEZNS1_11reduce_implILb1ES3_NS6_12zip_iteratorINS7_INS6_11hip_rocprim26transform_input_iterator_tIbNSD_35transform_pair_of_input_iterators_tIbNS6_6detail15normal_iteratorINS6_10device_ptrIKtEEEESL_NS6_8equal_toItEEEENSG_9not_fun_tINSD_8identityEEEEENSD_19counting_iterator_tIlEES8_S8_S8_S8_S8_S8_S8_S8_EEEEPS9_S9_NSD_9__find_if7functorIS9_EEEE10hipError_tPvRmT1_T2_T3_mT4_P12ihipStream_tbEUlT_E0_NS1_11comp_targetILNS1_3genE0ELNS1_11target_archE4294967295ELNS1_3gpuE0ELNS1_3repE0EEENS1_30default_config_static_selectorELNS0_4arch9wavefront6targetE0EEEvS14_: ; @_ZN7rocprim17ROCPRIM_400000_NS6detail17trampoline_kernelINS0_14default_configENS1_22reduce_config_selectorIN6thrust23THRUST_200600_302600_NS5tupleIblNS6_9null_typeES8_S8_S8_S8_S8_S8_S8_EEEEZNS1_11reduce_implILb1ES3_NS6_12zip_iteratorINS7_INS6_11hip_rocprim26transform_input_iterator_tIbNSD_35transform_pair_of_input_iterators_tIbNS6_6detail15normal_iteratorINS6_10device_ptrIKtEEEESL_NS6_8equal_toItEEEENSG_9not_fun_tINSD_8identityEEEEENSD_19counting_iterator_tIlEES8_S8_S8_S8_S8_S8_S8_S8_EEEEPS9_S9_NSD_9__find_if7functorIS9_EEEE10hipError_tPvRmT1_T2_T3_mT4_P12ihipStream_tbEUlT_E0_NS1_11comp_targetILNS1_3genE0ELNS1_11target_archE4294967295ELNS1_3gpuE0ELNS1_3repE0EEENS1_30default_config_static_selectorELNS0_4arch9wavefront6targetE0EEEvS14_
; %bb.0:
	.section	.rodata,"a",@progbits
	.p2align	6, 0x0
	.amdhsa_kernel _ZN7rocprim17ROCPRIM_400000_NS6detail17trampoline_kernelINS0_14default_configENS1_22reduce_config_selectorIN6thrust23THRUST_200600_302600_NS5tupleIblNS6_9null_typeES8_S8_S8_S8_S8_S8_S8_EEEEZNS1_11reduce_implILb1ES3_NS6_12zip_iteratorINS7_INS6_11hip_rocprim26transform_input_iterator_tIbNSD_35transform_pair_of_input_iterators_tIbNS6_6detail15normal_iteratorINS6_10device_ptrIKtEEEESL_NS6_8equal_toItEEEENSG_9not_fun_tINSD_8identityEEEEENSD_19counting_iterator_tIlEES8_S8_S8_S8_S8_S8_S8_S8_EEEEPS9_S9_NSD_9__find_if7functorIS9_EEEE10hipError_tPvRmT1_T2_T3_mT4_P12ihipStream_tbEUlT_E0_NS1_11comp_targetILNS1_3genE0ELNS1_11target_archE4294967295ELNS1_3gpuE0ELNS1_3repE0EEENS1_30default_config_static_selectorELNS0_4arch9wavefront6targetE0EEEvS14_
		.amdhsa_group_segment_fixed_size 0
		.amdhsa_private_segment_fixed_size 0
		.amdhsa_kernarg_size 104
		.amdhsa_user_sgpr_count 6
		.amdhsa_user_sgpr_private_segment_buffer 1
		.amdhsa_user_sgpr_dispatch_ptr 0
		.amdhsa_user_sgpr_queue_ptr 0
		.amdhsa_user_sgpr_kernarg_segment_ptr 1
		.amdhsa_user_sgpr_dispatch_id 0
		.amdhsa_user_sgpr_flat_scratch_init 0
		.amdhsa_user_sgpr_private_segment_size 0
		.amdhsa_wavefront_size32 1
		.amdhsa_uses_dynamic_stack 0
		.amdhsa_system_sgpr_private_segment_wavefront_offset 0
		.amdhsa_system_sgpr_workgroup_id_x 1
		.amdhsa_system_sgpr_workgroup_id_y 0
		.amdhsa_system_sgpr_workgroup_id_z 0
		.amdhsa_system_sgpr_workgroup_info 0
		.amdhsa_system_vgpr_workitem_id 0
		.amdhsa_next_free_vgpr 1
		.amdhsa_next_free_sgpr 1
		.amdhsa_reserve_vcc 0
		.amdhsa_reserve_flat_scratch 0
		.amdhsa_float_round_mode_32 0
		.amdhsa_float_round_mode_16_64 0
		.amdhsa_float_denorm_mode_32 3
		.amdhsa_float_denorm_mode_16_64 3
		.amdhsa_dx10_clamp 1
		.amdhsa_ieee_mode 1
		.amdhsa_fp16_overflow 0
		.amdhsa_workgroup_processor_mode 1
		.amdhsa_memory_ordered 1
		.amdhsa_forward_progress 1
		.amdhsa_shared_vgpr_count 0
		.amdhsa_exception_fp_ieee_invalid_op 0
		.amdhsa_exception_fp_denorm_src 0
		.amdhsa_exception_fp_ieee_div_zero 0
		.amdhsa_exception_fp_ieee_overflow 0
		.amdhsa_exception_fp_ieee_underflow 0
		.amdhsa_exception_fp_ieee_inexact 0
		.amdhsa_exception_int_div_zero 0
	.end_amdhsa_kernel
	.section	.text._ZN7rocprim17ROCPRIM_400000_NS6detail17trampoline_kernelINS0_14default_configENS1_22reduce_config_selectorIN6thrust23THRUST_200600_302600_NS5tupleIblNS6_9null_typeES8_S8_S8_S8_S8_S8_S8_EEEEZNS1_11reduce_implILb1ES3_NS6_12zip_iteratorINS7_INS6_11hip_rocprim26transform_input_iterator_tIbNSD_35transform_pair_of_input_iterators_tIbNS6_6detail15normal_iteratorINS6_10device_ptrIKtEEEESL_NS6_8equal_toItEEEENSG_9not_fun_tINSD_8identityEEEEENSD_19counting_iterator_tIlEES8_S8_S8_S8_S8_S8_S8_S8_EEEEPS9_S9_NSD_9__find_if7functorIS9_EEEE10hipError_tPvRmT1_T2_T3_mT4_P12ihipStream_tbEUlT_E0_NS1_11comp_targetILNS1_3genE0ELNS1_11target_archE4294967295ELNS1_3gpuE0ELNS1_3repE0EEENS1_30default_config_static_selectorELNS0_4arch9wavefront6targetE0EEEvS14_,"axG",@progbits,_ZN7rocprim17ROCPRIM_400000_NS6detail17trampoline_kernelINS0_14default_configENS1_22reduce_config_selectorIN6thrust23THRUST_200600_302600_NS5tupleIblNS6_9null_typeES8_S8_S8_S8_S8_S8_S8_EEEEZNS1_11reduce_implILb1ES3_NS6_12zip_iteratorINS7_INS6_11hip_rocprim26transform_input_iterator_tIbNSD_35transform_pair_of_input_iterators_tIbNS6_6detail15normal_iteratorINS6_10device_ptrIKtEEEESL_NS6_8equal_toItEEEENSG_9not_fun_tINSD_8identityEEEEENSD_19counting_iterator_tIlEES8_S8_S8_S8_S8_S8_S8_S8_EEEEPS9_S9_NSD_9__find_if7functorIS9_EEEE10hipError_tPvRmT1_T2_T3_mT4_P12ihipStream_tbEUlT_E0_NS1_11comp_targetILNS1_3genE0ELNS1_11target_archE4294967295ELNS1_3gpuE0ELNS1_3repE0EEENS1_30default_config_static_selectorELNS0_4arch9wavefront6targetE0EEEvS14_,comdat
.Lfunc_end299:
	.size	_ZN7rocprim17ROCPRIM_400000_NS6detail17trampoline_kernelINS0_14default_configENS1_22reduce_config_selectorIN6thrust23THRUST_200600_302600_NS5tupleIblNS6_9null_typeES8_S8_S8_S8_S8_S8_S8_EEEEZNS1_11reduce_implILb1ES3_NS6_12zip_iteratorINS7_INS6_11hip_rocprim26transform_input_iterator_tIbNSD_35transform_pair_of_input_iterators_tIbNS6_6detail15normal_iteratorINS6_10device_ptrIKtEEEESL_NS6_8equal_toItEEEENSG_9not_fun_tINSD_8identityEEEEENSD_19counting_iterator_tIlEES8_S8_S8_S8_S8_S8_S8_S8_EEEEPS9_S9_NSD_9__find_if7functorIS9_EEEE10hipError_tPvRmT1_T2_T3_mT4_P12ihipStream_tbEUlT_E0_NS1_11comp_targetILNS1_3genE0ELNS1_11target_archE4294967295ELNS1_3gpuE0ELNS1_3repE0EEENS1_30default_config_static_selectorELNS0_4arch9wavefront6targetE0EEEvS14_, .Lfunc_end299-_ZN7rocprim17ROCPRIM_400000_NS6detail17trampoline_kernelINS0_14default_configENS1_22reduce_config_selectorIN6thrust23THRUST_200600_302600_NS5tupleIblNS6_9null_typeES8_S8_S8_S8_S8_S8_S8_EEEEZNS1_11reduce_implILb1ES3_NS6_12zip_iteratorINS7_INS6_11hip_rocprim26transform_input_iterator_tIbNSD_35transform_pair_of_input_iterators_tIbNS6_6detail15normal_iteratorINS6_10device_ptrIKtEEEESL_NS6_8equal_toItEEEENSG_9not_fun_tINSD_8identityEEEEENSD_19counting_iterator_tIlEES8_S8_S8_S8_S8_S8_S8_S8_EEEEPS9_S9_NSD_9__find_if7functorIS9_EEEE10hipError_tPvRmT1_T2_T3_mT4_P12ihipStream_tbEUlT_E0_NS1_11comp_targetILNS1_3genE0ELNS1_11target_archE4294967295ELNS1_3gpuE0ELNS1_3repE0EEENS1_30default_config_static_selectorELNS0_4arch9wavefront6targetE0EEEvS14_
                                        ; -- End function
	.set _ZN7rocprim17ROCPRIM_400000_NS6detail17trampoline_kernelINS0_14default_configENS1_22reduce_config_selectorIN6thrust23THRUST_200600_302600_NS5tupleIblNS6_9null_typeES8_S8_S8_S8_S8_S8_S8_EEEEZNS1_11reduce_implILb1ES3_NS6_12zip_iteratorINS7_INS6_11hip_rocprim26transform_input_iterator_tIbNSD_35transform_pair_of_input_iterators_tIbNS6_6detail15normal_iteratorINS6_10device_ptrIKtEEEESL_NS6_8equal_toItEEEENSG_9not_fun_tINSD_8identityEEEEENSD_19counting_iterator_tIlEES8_S8_S8_S8_S8_S8_S8_S8_EEEEPS9_S9_NSD_9__find_if7functorIS9_EEEE10hipError_tPvRmT1_T2_T3_mT4_P12ihipStream_tbEUlT_E0_NS1_11comp_targetILNS1_3genE0ELNS1_11target_archE4294967295ELNS1_3gpuE0ELNS1_3repE0EEENS1_30default_config_static_selectorELNS0_4arch9wavefront6targetE0EEEvS14_.num_vgpr, 0
	.set _ZN7rocprim17ROCPRIM_400000_NS6detail17trampoline_kernelINS0_14default_configENS1_22reduce_config_selectorIN6thrust23THRUST_200600_302600_NS5tupleIblNS6_9null_typeES8_S8_S8_S8_S8_S8_S8_EEEEZNS1_11reduce_implILb1ES3_NS6_12zip_iteratorINS7_INS6_11hip_rocprim26transform_input_iterator_tIbNSD_35transform_pair_of_input_iterators_tIbNS6_6detail15normal_iteratorINS6_10device_ptrIKtEEEESL_NS6_8equal_toItEEEENSG_9not_fun_tINSD_8identityEEEEENSD_19counting_iterator_tIlEES8_S8_S8_S8_S8_S8_S8_S8_EEEEPS9_S9_NSD_9__find_if7functorIS9_EEEE10hipError_tPvRmT1_T2_T3_mT4_P12ihipStream_tbEUlT_E0_NS1_11comp_targetILNS1_3genE0ELNS1_11target_archE4294967295ELNS1_3gpuE0ELNS1_3repE0EEENS1_30default_config_static_selectorELNS0_4arch9wavefront6targetE0EEEvS14_.num_agpr, 0
	.set _ZN7rocprim17ROCPRIM_400000_NS6detail17trampoline_kernelINS0_14default_configENS1_22reduce_config_selectorIN6thrust23THRUST_200600_302600_NS5tupleIblNS6_9null_typeES8_S8_S8_S8_S8_S8_S8_EEEEZNS1_11reduce_implILb1ES3_NS6_12zip_iteratorINS7_INS6_11hip_rocprim26transform_input_iterator_tIbNSD_35transform_pair_of_input_iterators_tIbNS6_6detail15normal_iteratorINS6_10device_ptrIKtEEEESL_NS6_8equal_toItEEEENSG_9not_fun_tINSD_8identityEEEEENSD_19counting_iterator_tIlEES8_S8_S8_S8_S8_S8_S8_S8_EEEEPS9_S9_NSD_9__find_if7functorIS9_EEEE10hipError_tPvRmT1_T2_T3_mT4_P12ihipStream_tbEUlT_E0_NS1_11comp_targetILNS1_3genE0ELNS1_11target_archE4294967295ELNS1_3gpuE0ELNS1_3repE0EEENS1_30default_config_static_selectorELNS0_4arch9wavefront6targetE0EEEvS14_.numbered_sgpr, 0
	.set _ZN7rocprim17ROCPRIM_400000_NS6detail17trampoline_kernelINS0_14default_configENS1_22reduce_config_selectorIN6thrust23THRUST_200600_302600_NS5tupleIblNS6_9null_typeES8_S8_S8_S8_S8_S8_S8_EEEEZNS1_11reduce_implILb1ES3_NS6_12zip_iteratorINS7_INS6_11hip_rocprim26transform_input_iterator_tIbNSD_35transform_pair_of_input_iterators_tIbNS6_6detail15normal_iteratorINS6_10device_ptrIKtEEEESL_NS6_8equal_toItEEEENSG_9not_fun_tINSD_8identityEEEEENSD_19counting_iterator_tIlEES8_S8_S8_S8_S8_S8_S8_S8_EEEEPS9_S9_NSD_9__find_if7functorIS9_EEEE10hipError_tPvRmT1_T2_T3_mT4_P12ihipStream_tbEUlT_E0_NS1_11comp_targetILNS1_3genE0ELNS1_11target_archE4294967295ELNS1_3gpuE0ELNS1_3repE0EEENS1_30default_config_static_selectorELNS0_4arch9wavefront6targetE0EEEvS14_.num_named_barrier, 0
	.set _ZN7rocprim17ROCPRIM_400000_NS6detail17trampoline_kernelINS0_14default_configENS1_22reduce_config_selectorIN6thrust23THRUST_200600_302600_NS5tupleIblNS6_9null_typeES8_S8_S8_S8_S8_S8_S8_EEEEZNS1_11reduce_implILb1ES3_NS6_12zip_iteratorINS7_INS6_11hip_rocprim26transform_input_iterator_tIbNSD_35transform_pair_of_input_iterators_tIbNS6_6detail15normal_iteratorINS6_10device_ptrIKtEEEESL_NS6_8equal_toItEEEENSG_9not_fun_tINSD_8identityEEEEENSD_19counting_iterator_tIlEES8_S8_S8_S8_S8_S8_S8_S8_EEEEPS9_S9_NSD_9__find_if7functorIS9_EEEE10hipError_tPvRmT1_T2_T3_mT4_P12ihipStream_tbEUlT_E0_NS1_11comp_targetILNS1_3genE0ELNS1_11target_archE4294967295ELNS1_3gpuE0ELNS1_3repE0EEENS1_30default_config_static_selectorELNS0_4arch9wavefront6targetE0EEEvS14_.private_seg_size, 0
	.set _ZN7rocprim17ROCPRIM_400000_NS6detail17trampoline_kernelINS0_14default_configENS1_22reduce_config_selectorIN6thrust23THRUST_200600_302600_NS5tupleIblNS6_9null_typeES8_S8_S8_S8_S8_S8_S8_EEEEZNS1_11reduce_implILb1ES3_NS6_12zip_iteratorINS7_INS6_11hip_rocprim26transform_input_iterator_tIbNSD_35transform_pair_of_input_iterators_tIbNS6_6detail15normal_iteratorINS6_10device_ptrIKtEEEESL_NS6_8equal_toItEEEENSG_9not_fun_tINSD_8identityEEEEENSD_19counting_iterator_tIlEES8_S8_S8_S8_S8_S8_S8_S8_EEEEPS9_S9_NSD_9__find_if7functorIS9_EEEE10hipError_tPvRmT1_T2_T3_mT4_P12ihipStream_tbEUlT_E0_NS1_11comp_targetILNS1_3genE0ELNS1_11target_archE4294967295ELNS1_3gpuE0ELNS1_3repE0EEENS1_30default_config_static_selectorELNS0_4arch9wavefront6targetE0EEEvS14_.uses_vcc, 0
	.set _ZN7rocprim17ROCPRIM_400000_NS6detail17trampoline_kernelINS0_14default_configENS1_22reduce_config_selectorIN6thrust23THRUST_200600_302600_NS5tupleIblNS6_9null_typeES8_S8_S8_S8_S8_S8_S8_EEEEZNS1_11reduce_implILb1ES3_NS6_12zip_iteratorINS7_INS6_11hip_rocprim26transform_input_iterator_tIbNSD_35transform_pair_of_input_iterators_tIbNS6_6detail15normal_iteratorINS6_10device_ptrIKtEEEESL_NS6_8equal_toItEEEENSG_9not_fun_tINSD_8identityEEEEENSD_19counting_iterator_tIlEES8_S8_S8_S8_S8_S8_S8_S8_EEEEPS9_S9_NSD_9__find_if7functorIS9_EEEE10hipError_tPvRmT1_T2_T3_mT4_P12ihipStream_tbEUlT_E0_NS1_11comp_targetILNS1_3genE0ELNS1_11target_archE4294967295ELNS1_3gpuE0ELNS1_3repE0EEENS1_30default_config_static_selectorELNS0_4arch9wavefront6targetE0EEEvS14_.uses_flat_scratch, 0
	.set _ZN7rocprim17ROCPRIM_400000_NS6detail17trampoline_kernelINS0_14default_configENS1_22reduce_config_selectorIN6thrust23THRUST_200600_302600_NS5tupleIblNS6_9null_typeES8_S8_S8_S8_S8_S8_S8_EEEEZNS1_11reduce_implILb1ES3_NS6_12zip_iteratorINS7_INS6_11hip_rocprim26transform_input_iterator_tIbNSD_35transform_pair_of_input_iterators_tIbNS6_6detail15normal_iteratorINS6_10device_ptrIKtEEEESL_NS6_8equal_toItEEEENSG_9not_fun_tINSD_8identityEEEEENSD_19counting_iterator_tIlEES8_S8_S8_S8_S8_S8_S8_S8_EEEEPS9_S9_NSD_9__find_if7functorIS9_EEEE10hipError_tPvRmT1_T2_T3_mT4_P12ihipStream_tbEUlT_E0_NS1_11comp_targetILNS1_3genE0ELNS1_11target_archE4294967295ELNS1_3gpuE0ELNS1_3repE0EEENS1_30default_config_static_selectorELNS0_4arch9wavefront6targetE0EEEvS14_.has_dyn_sized_stack, 0
	.set _ZN7rocprim17ROCPRIM_400000_NS6detail17trampoline_kernelINS0_14default_configENS1_22reduce_config_selectorIN6thrust23THRUST_200600_302600_NS5tupleIblNS6_9null_typeES8_S8_S8_S8_S8_S8_S8_EEEEZNS1_11reduce_implILb1ES3_NS6_12zip_iteratorINS7_INS6_11hip_rocprim26transform_input_iterator_tIbNSD_35transform_pair_of_input_iterators_tIbNS6_6detail15normal_iteratorINS6_10device_ptrIKtEEEESL_NS6_8equal_toItEEEENSG_9not_fun_tINSD_8identityEEEEENSD_19counting_iterator_tIlEES8_S8_S8_S8_S8_S8_S8_S8_EEEEPS9_S9_NSD_9__find_if7functorIS9_EEEE10hipError_tPvRmT1_T2_T3_mT4_P12ihipStream_tbEUlT_E0_NS1_11comp_targetILNS1_3genE0ELNS1_11target_archE4294967295ELNS1_3gpuE0ELNS1_3repE0EEENS1_30default_config_static_selectorELNS0_4arch9wavefront6targetE0EEEvS14_.has_recursion, 0
	.set _ZN7rocprim17ROCPRIM_400000_NS6detail17trampoline_kernelINS0_14default_configENS1_22reduce_config_selectorIN6thrust23THRUST_200600_302600_NS5tupleIblNS6_9null_typeES8_S8_S8_S8_S8_S8_S8_EEEEZNS1_11reduce_implILb1ES3_NS6_12zip_iteratorINS7_INS6_11hip_rocprim26transform_input_iterator_tIbNSD_35transform_pair_of_input_iterators_tIbNS6_6detail15normal_iteratorINS6_10device_ptrIKtEEEESL_NS6_8equal_toItEEEENSG_9not_fun_tINSD_8identityEEEEENSD_19counting_iterator_tIlEES8_S8_S8_S8_S8_S8_S8_S8_EEEEPS9_S9_NSD_9__find_if7functorIS9_EEEE10hipError_tPvRmT1_T2_T3_mT4_P12ihipStream_tbEUlT_E0_NS1_11comp_targetILNS1_3genE0ELNS1_11target_archE4294967295ELNS1_3gpuE0ELNS1_3repE0EEENS1_30default_config_static_selectorELNS0_4arch9wavefront6targetE0EEEvS14_.has_indirect_call, 0
	.section	.AMDGPU.csdata,"",@progbits
; Kernel info:
; codeLenInByte = 0
; TotalNumSgprs: 0
; NumVgprs: 0
; ScratchSize: 0
; MemoryBound: 0
; FloatMode: 240
; IeeeMode: 1
; LDSByteSize: 0 bytes/workgroup (compile time only)
; SGPRBlocks: 0
; VGPRBlocks: 0
; NumSGPRsForWavesPerEU: 1
; NumVGPRsForWavesPerEU: 1
; Occupancy: 16
; WaveLimiterHint : 0
; COMPUTE_PGM_RSRC2:SCRATCH_EN: 0
; COMPUTE_PGM_RSRC2:USER_SGPR: 6
; COMPUTE_PGM_RSRC2:TRAP_HANDLER: 0
; COMPUTE_PGM_RSRC2:TGID_X_EN: 1
; COMPUTE_PGM_RSRC2:TGID_Y_EN: 0
; COMPUTE_PGM_RSRC2:TGID_Z_EN: 0
; COMPUTE_PGM_RSRC2:TIDIG_COMP_CNT: 0
	.section	.text._ZN7rocprim17ROCPRIM_400000_NS6detail17trampoline_kernelINS0_14default_configENS1_22reduce_config_selectorIN6thrust23THRUST_200600_302600_NS5tupleIblNS6_9null_typeES8_S8_S8_S8_S8_S8_S8_EEEEZNS1_11reduce_implILb1ES3_NS6_12zip_iteratorINS7_INS6_11hip_rocprim26transform_input_iterator_tIbNSD_35transform_pair_of_input_iterators_tIbNS6_6detail15normal_iteratorINS6_10device_ptrIKtEEEESL_NS6_8equal_toItEEEENSG_9not_fun_tINSD_8identityEEEEENSD_19counting_iterator_tIlEES8_S8_S8_S8_S8_S8_S8_S8_EEEEPS9_S9_NSD_9__find_if7functorIS9_EEEE10hipError_tPvRmT1_T2_T3_mT4_P12ihipStream_tbEUlT_E0_NS1_11comp_targetILNS1_3genE5ELNS1_11target_archE942ELNS1_3gpuE9ELNS1_3repE0EEENS1_30default_config_static_selectorELNS0_4arch9wavefront6targetE0EEEvS14_,"axG",@progbits,_ZN7rocprim17ROCPRIM_400000_NS6detail17trampoline_kernelINS0_14default_configENS1_22reduce_config_selectorIN6thrust23THRUST_200600_302600_NS5tupleIblNS6_9null_typeES8_S8_S8_S8_S8_S8_S8_EEEEZNS1_11reduce_implILb1ES3_NS6_12zip_iteratorINS7_INS6_11hip_rocprim26transform_input_iterator_tIbNSD_35transform_pair_of_input_iterators_tIbNS6_6detail15normal_iteratorINS6_10device_ptrIKtEEEESL_NS6_8equal_toItEEEENSG_9not_fun_tINSD_8identityEEEEENSD_19counting_iterator_tIlEES8_S8_S8_S8_S8_S8_S8_S8_EEEEPS9_S9_NSD_9__find_if7functorIS9_EEEE10hipError_tPvRmT1_T2_T3_mT4_P12ihipStream_tbEUlT_E0_NS1_11comp_targetILNS1_3genE5ELNS1_11target_archE942ELNS1_3gpuE9ELNS1_3repE0EEENS1_30default_config_static_selectorELNS0_4arch9wavefront6targetE0EEEvS14_,comdat
	.protected	_ZN7rocprim17ROCPRIM_400000_NS6detail17trampoline_kernelINS0_14default_configENS1_22reduce_config_selectorIN6thrust23THRUST_200600_302600_NS5tupleIblNS6_9null_typeES8_S8_S8_S8_S8_S8_S8_EEEEZNS1_11reduce_implILb1ES3_NS6_12zip_iteratorINS7_INS6_11hip_rocprim26transform_input_iterator_tIbNSD_35transform_pair_of_input_iterators_tIbNS6_6detail15normal_iteratorINS6_10device_ptrIKtEEEESL_NS6_8equal_toItEEEENSG_9not_fun_tINSD_8identityEEEEENSD_19counting_iterator_tIlEES8_S8_S8_S8_S8_S8_S8_S8_EEEEPS9_S9_NSD_9__find_if7functorIS9_EEEE10hipError_tPvRmT1_T2_T3_mT4_P12ihipStream_tbEUlT_E0_NS1_11comp_targetILNS1_3genE5ELNS1_11target_archE942ELNS1_3gpuE9ELNS1_3repE0EEENS1_30default_config_static_selectorELNS0_4arch9wavefront6targetE0EEEvS14_ ; -- Begin function _ZN7rocprim17ROCPRIM_400000_NS6detail17trampoline_kernelINS0_14default_configENS1_22reduce_config_selectorIN6thrust23THRUST_200600_302600_NS5tupleIblNS6_9null_typeES8_S8_S8_S8_S8_S8_S8_EEEEZNS1_11reduce_implILb1ES3_NS6_12zip_iteratorINS7_INS6_11hip_rocprim26transform_input_iterator_tIbNSD_35transform_pair_of_input_iterators_tIbNS6_6detail15normal_iteratorINS6_10device_ptrIKtEEEESL_NS6_8equal_toItEEEENSG_9not_fun_tINSD_8identityEEEEENSD_19counting_iterator_tIlEES8_S8_S8_S8_S8_S8_S8_S8_EEEEPS9_S9_NSD_9__find_if7functorIS9_EEEE10hipError_tPvRmT1_T2_T3_mT4_P12ihipStream_tbEUlT_E0_NS1_11comp_targetILNS1_3genE5ELNS1_11target_archE942ELNS1_3gpuE9ELNS1_3repE0EEENS1_30default_config_static_selectorELNS0_4arch9wavefront6targetE0EEEvS14_
	.globl	_ZN7rocprim17ROCPRIM_400000_NS6detail17trampoline_kernelINS0_14default_configENS1_22reduce_config_selectorIN6thrust23THRUST_200600_302600_NS5tupleIblNS6_9null_typeES8_S8_S8_S8_S8_S8_S8_EEEEZNS1_11reduce_implILb1ES3_NS6_12zip_iteratorINS7_INS6_11hip_rocprim26transform_input_iterator_tIbNSD_35transform_pair_of_input_iterators_tIbNS6_6detail15normal_iteratorINS6_10device_ptrIKtEEEESL_NS6_8equal_toItEEEENSG_9not_fun_tINSD_8identityEEEEENSD_19counting_iterator_tIlEES8_S8_S8_S8_S8_S8_S8_S8_EEEEPS9_S9_NSD_9__find_if7functorIS9_EEEE10hipError_tPvRmT1_T2_T3_mT4_P12ihipStream_tbEUlT_E0_NS1_11comp_targetILNS1_3genE5ELNS1_11target_archE942ELNS1_3gpuE9ELNS1_3repE0EEENS1_30default_config_static_selectorELNS0_4arch9wavefront6targetE0EEEvS14_
	.p2align	8
	.type	_ZN7rocprim17ROCPRIM_400000_NS6detail17trampoline_kernelINS0_14default_configENS1_22reduce_config_selectorIN6thrust23THRUST_200600_302600_NS5tupleIblNS6_9null_typeES8_S8_S8_S8_S8_S8_S8_EEEEZNS1_11reduce_implILb1ES3_NS6_12zip_iteratorINS7_INS6_11hip_rocprim26transform_input_iterator_tIbNSD_35transform_pair_of_input_iterators_tIbNS6_6detail15normal_iteratorINS6_10device_ptrIKtEEEESL_NS6_8equal_toItEEEENSG_9not_fun_tINSD_8identityEEEEENSD_19counting_iterator_tIlEES8_S8_S8_S8_S8_S8_S8_S8_EEEEPS9_S9_NSD_9__find_if7functorIS9_EEEE10hipError_tPvRmT1_T2_T3_mT4_P12ihipStream_tbEUlT_E0_NS1_11comp_targetILNS1_3genE5ELNS1_11target_archE942ELNS1_3gpuE9ELNS1_3repE0EEENS1_30default_config_static_selectorELNS0_4arch9wavefront6targetE0EEEvS14_,@function
_ZN7rocprim17ROCPRIM_400000_NS6detail17trampoline_kernelINS0_14default_configENS1_22reduce_config_selectorIN6thrust23THRUST_200600_302600_NS5tupleIblNS6_9null_typeES8_S8_S8_S8_S8_S8_S8_EEEEZNS1_11reduce_implILb1ES3_NS6_12zip_iteratorINS7_INS6_11hip_rocprim26transform_input_iterator_tIbNSD_35transform_pair_of_input_iterators_tIbNS6_6detail15normal_iteratorINS6_10device_ptrIKtEEEESL_NS6_8equal_toItEEEENSG_9not_fun_tINSD_8identityEEEEENSD_19counting_iterator_tIlEES8_S8_S8_S8_S8_S8_S8_S8_EEEEPS9_S9_NSD_9__find_if7functorIS9_EEEE10hipError_tPvRmT1_T2_T3_mT4_P12ihipStream_tbEUlT_E0_NS1_11comp_targetILNS1_3genE5ELNS1_11target_archE942ELNS1_3gpuE9ELNS1_3repE0EEENS1_30default_config_static_selectorELNS0_4arch9wavefront6targetE0EEEvS14_: ; @_ZN7rocprim17ROCPRIM_400000_NS6detail17trampoline_kernelINS0_14default_configENS1_22reduce_config_selectorIN6thrust23THRUST_200600_302600_NS5tupleIblNS6_9null_typeES8_S8_S8_S8_S8_S8_S8_EEEEZNS1_11reduce_implILb1ES3_NS6_12zip_iteratorINS7_INS6_11hip_rocprim26transform_input_iterator_tIbNSD_35transform_pair_of_input_iterators_tIbNS6_6detail15normal_iteratorINS6_10device_ptrIKtEEEESL_NS6_8equal_toItEEEENSG_9not_fun_tINSD_8identityEEEEENSD_19counting_iterator_tIlEES8_S8_S8_S8_S8_S8_S8_S8_EEEEPS9_S9_NSD_9__find_if7functorIS9_EEEE10hipError_tPvRmT1_T2_T3_mT4_P12ihipStream_tbEUlT_E0_NS1_11comp_targetILNS1_3genE5ELNS1_11target_archE942ELNS1_3gpuE9ELNS1_3repE0EEENS1_30default_config_static_selectorELNS0_4arch9wavefront6targetE0EEEvS14_
; %bb.0:
	.section	.rodata,"a",@progbits
	.p2align	6, 0x0
	.amdhsa_kernel _ZN7rocprim17ROCPRIM_400000_NS6detail17trampoline_kernelINS0_14default_configENS1_22reduce_config_selectorIN6thrust23THRUST_200600_302600_NS5tupleIblNS6_9null_typeES8_S8_S8_S8_S8_S8_S8_EEEEZNS1_11reduce_implILb1ES3_NS6_12zip_iteratorINS7_INS6_11hip_rocprim26transform_input_iterator_tIbNSD_35transform_pair_of_input_iterators_tIbNS6_6detail15normal_iteratorINS6_10device_ptrIKtEEEESL_NS6_8equal_toItEEEENSG_9not_fun_tINSD_8identityEEEEENSD_19counting_iterator_tIlEES8_S8_S8_S8_S8_S8_S8_S8_EEEEPS9_S9_NSD_9__find_if7functorIS9_EEEE10hipError_tPvRmT1_T2_T3_mT4_P12ihipStream_tbEUlT_E0_NS1_11comp_targetILNS1_3genE5ELNS1_11target_archE942ELNS1_3gpuE9ELNS1_3repE0EEENS1_30default_config_static_selectorELNS0_4arch9wavefront6targetE0EEEvS14_
		.amdhsa_group_segment_fixed_size 0
		.amdhsa_private_segment_fixed_size 0
		.amdhsa_kernarg_size 104
		.amdhsa_user_sgpr_count 6
		.amdhsa_user_sgpr_private_segment_buffer 1
		.amdhsa_user_sgpr_dispatch_ptr 0
		.amdhsa_user_sgpr_queue_ptr 0
		.amdhsa_user_sgpr_kernarg_segment_ptr 1
		.amdhsa_user_sgpr_dispatch_id 0
		.amdhsa_user_sgpr_flat_scratch_init 0
		.amdhsa_user_sgpr_private_segment_size 0
		.amdhsa_wavefront_size32 1
		.amdhsa_uses_dynamic_stack 0
		.amdhsa_system_sgpr_private_segment_wavefront_offset 0
		.amdhsa_system_sgpr_workgroup_id_x 1
		.amdhsa_system_sgpr_workgroup_id_y 0
		.amdhsa_system_sgpr_workgroup_id_z 0
		.amdhsa_system_sgpr_workgroup_info 0
		.amdhsa_system_vgpr_workitem_id 0
		.amdhsa_next_free_vgpr 1
		.amdhsa_next_free_sgpr 1
		.amdhsa_reserve_vcc 0
		.amdhsa_reserve_flat_scratch 0
		.amdhsa_float_round_mode_32 0
		.amdhsa_float_round_mode_16_64 0
		.amdhsa_float_denorm_mode_32 3
		.amdhsa_float_denorm_mode_16_64 3
		.amdhsa_dx10_clamp 1
		.amdhsa_ieee_mode 1
		.amdhsa_fp16_overflow 0
		.amdhsa_workgroup_processor_mode 1
		.amdhsa_memory_ordered 1
		.amdhsa_forward_progress 1
		.amdhsa_shared_vgpr_count 0
		.amdhsa_exception_fp_ieee_invalid_op 0
		.amdhsa_exception_fp_denorm_src 0
		.amdhsa_exception_fp_ieee_div_zero 0
		.amdhsa_exception_fp_ieee_overflow 0
		.amdhsa_exception_fp_ieee_underflow 0
		.amdhsa_exception_fp_ieee_inexact 0
		.amdhsa_exception_int_div_zero 0
	.end_amdhsa_kernel
	.section	.text._ZN7rocprim17ROCPRIM_400000_NS6detail17trampoline_kernelINS0_14default_configENS1_22reduce_config_selectorIN6thrust23THRUST_200600_302600_NS5tupleIblNS6_9null_typeES8_S8_S8_S8_S8_S8_S8_EEEEZNS1_11reduce_implILb1ES3_NS6_12zip_iteratorINS7_INS6_11hip_rocprim26transform_input_iterator_tIbNSD_35transform_pair_of_input_iterators_tIbNS6_6detail15normal_iteratorINS6_10device_ptrIKtEEEESL_NS6_8equal_toItEEEENSG_9not_fun_tINSD_8identityEEEEENSD_19counting_iterator_tIlEES8_S8_S8_S8_S8_S8_S8_S8_EEEEPS9_S9_NSD_9__find_if7functorIS9_EEEE10hipError_tPvRmT1_T2_T3_mT4_P12ihipStream_tbEUlT_E0_NS1_11comp_targetILNS1_3genE5ELNS1_11target_archE942ELNS1_3gpuE9ELNS1_3repE0EEENS1_30default_config_static_selectorELNS0_4arch9wavefront6targetE0EEEvS14_,"axG",@progbits,_ZN7rocprim17ROCPRIM_400000_NS6detail17trampoline_kernelINS0_14default_configENS1_22reduce_config_selectorIN6thrust23THRUST_200600_302600_NS5tupleIblNS6_9null_typeES8_S8_S8_S8_S8_S8_S8_EEEEZNS1_11reduce_implILb1ES3_NS6_12zip_iteratorINS7_INS6_11hip_rocprim26transform_input_iterator_tIbNSD_35transform_pair_of_input_iterators_tIbNS6_6detail15normal_iteratorINS6_10device_ptrIKtEEEESL_NS6_8equal_toItEEEENSG_9not_fun_tINSD_8identityEEEEENSD_19counting_iterator_tIlEES8_S8_S8_S8_S8_S8_S8_S8_EEEEPS9_S9_NSD_9__find_if7functorIS9_EEEE10hipError_tPvRmT1_T2_T3_mT4_P12ihipStream_tbEUlT_E0_NS1_11comp_targetILNS1_3genE5ELNS1_11target_archE942ELNS1_3gpuE9ELNS1_3repE0EEENS1_30default_config_static_selectorELNS0_4arch9wavefront6targetE0EEEvS14_,comdat
.Lfunc_end300:
	.size	_ZN7rocprim17ROCPRIM_400000_NS6detail17trampoline_kernelINS0_14default_configENS1_22reduce_config_selectorIN6thrust23THRUST_200600_302600_NS5tupleIblNS6_9null_typeES8_S8_S8_S8_S8_S8_S8_EEEEZNS1_11reduce_implILb1ES3_NS6_12zip_iteratorINS7_INS6_11hip_rocprim26transform_input_iterator_tIbNSD_35transform_pair_of_input_iterators_tIbNS6_6detail15normal_iteratorINS6_10device_ptrIKtEEEESL_NS6_8equal_toItEEEENSG_9not_fun_tINSD_8identityEEEEENSD_19counting_iterator_tIlEES8_S8_S8_S8_S8_S8_S8_S8_EEEEPS9_S9_NSD_9__find_if7functorIS9_EEEE10hipError_tPvRmT1_T2_T3_mT4_P12ihipStream_tbEUlT_E0_NS1_11comp_targetILNS1_3genE5ELNS1_11target_archE942ELNS1_3gpuE9ELNS1_3repE0EEENS1_30default_config_static_selectorELNS0_4arch9wavefront6targetE0EEEvS14_, .Lfunc_end300-_ZN7rocprim17ROCPRIM_400000_NS6detail17trampoline_kernelINS0_14default_configENS1_22reduce_config_selectorIN6thrust23THRUST_200600_302600_NS5tupleIblNS6_9null_typeES8_S8_S8_S8_S8_S8_S8_EEEEZNS1_11reduce_implILb1ES3_NS6_12zip_iteratorINS7_INS6_11hip_rocprim26transform_input_iterator_tIbNSD_35transform_pair_of_input_iterators_tIbNS6_6detail15normal_iteratorINS6_10device_ptrIKtEEEESL_NS6_8equal_toItEEEENSG_9not_fun_tINSD_8identityEEEEENSD_19counting_iterator_tIlEES8_S8_S8_S8_S8_S8_S8_S8_EEEEPS9_S9_NSD_9__find_if7functorIS9_EEEE10hipError_tPvRmT1_T2_T3_mT4_P12ihipStream_tbEUlT_E0_NS1_11comp_targetILNS1_3genE5ELNS1_11target_archE942ELNS1_3gpuE9ELNS1_3repE0EEENS1_30default_config_static_selectorELNS0_4arch9wavefront6targetE0EEEvS14_
                                        ; -- End function
	.set _ZN7rocprim17ROCPRIM_400000_NS6detail17trampoline_kernelINS0_14default_configENS1_22reduce_config_selectorIN6thrust23THRUST_200600_302600_NS5tupleIblNS6_9null_typeES8_S8_S8_S8_S8_S8_S8_EEEEZNS1_11reduce_implILb1ES3_NS6_12zip_iteratorINS7_INS6_11hip_rocprim26transform_input_iterator_tIbNSD_35transform_pair_of_input_iterators_tIbNS6_6detail15normal_iteratorINS6_10device_ptrIKtEEEESL_NS6_8equal_toItEEEENSG_9not_fun_tINSD_8identityEEEEENSD_19counting_iterator_tIlEES8_S8_S8_S8_S8_S8_S8_S8_EEEEPS9_S9_NSD_9__find_if7functorIS9_EEEE10hipError_tPvRmT1_T2_T3_mT4_P12ihipStream_tbEUlT_E0_NS1_11comp_targetILNS1_3genE5ELNS1_11target_archE942ELNS1_3gpuE9ELNS1_3repE0EEENS1_30default_config_static_selectorELNS0_4arch9wavefront6targetE0EEEvS14_.num_vgpr, 0
	.set _ZN7rocprim17ROCPRIM_400000_NS6detail17trampoline_kernelINS0_14default_configENS1_22reduce_config_selectorIN6thrust23THRUST_200600_302600_NS5tupleIblNS6_9null_typeES8_S8_S8_S8_S8_S8_S8_EEEEZNS1_11reduce_implILb1ES3_NS6_12zip_iteratorINS7_INS6_11hip_rocprim26transform_input_iterator_tIbNSD_35transform_pair_of_input_iterators_tIbNS6_6detail15normal_iteratorINS6_10device_ptrIKtEEEESL_NS6_8equal_toItEEEENSG_9not_fun_tINSD_8identityEEEEENSD_19counting_iterator_tIlEES8_S8_S8_S8_S8_S8_S8_S8_EEEEPS9_S9_NSD_9__find_if7functorIS9_EEEE10hipError_tPvRmT1_T2_T3_mT4_P12ihipStream_tbEUlT_E0_NS1_11comp_targetILNS1_3genE5ELNS1_11target_archE942ELNS1_3gpuE9ELNS1_3repE0EEENS1_30default_config_static_selectorELNS0_4arch9wavefront6targetE0EEEvS14_.num_agpr, 0
	.set _ZN7rocprim17ROCPRIM_400000_NS6detail17trampoline_kernelINS0_14default_configENS1_22reduce_config_selectorIN6thrust23THRUST_200600_302600_NS5tupleIblNS6_9null_typeES8_S8_S8_S8_S8_S8_S8_EEEEZNS1_11reduce_implILb1ES3_NS6_12zip_iteratorINS7_INS6_11hip_rocprim26transform_input_iterator_tIbNSD_35transform_pair_of_input_iterators_tIbNS6_6detail15normal_iteratorINS6_10device_ptrIKtEEEESL_NS6_8equal_toItEEEENSG_9not_fun_tINSD_8identityEEEEENSD_19counting_iterator_tIlEES8_S8_S8_S8_S8_S8_S8_S8_EEEEPS9_S9_NSD_9__find_if7functorIS9_EEEE10hipError_tPvRmT1_T2_T3_mT4_P12ihipStream_tbEUlT_E0_NS1_11comp_targetILNS1_3genE5ELNS1_11target_archE942ELNS1_3gpuE9ELNS1_3repE0EEENS1_30default_config_static_selectorELNS0_4arch9wavefront6targetE0EEEvS14_.numbered_sgpr, 0
	.set _ZN7rocprim17ROCPRIM_400000_NS6detail17trampoline_kernelINS0_14default_configENS1_22reduce_config_selectorIN6thrust23THRUST_200600_302600_NS5tupleIblNS6_9null_typeES8_S8_S8_S8_S8_S8_S8_EEEEZNS1_11reduce_implILb1ES3_NS6_12zip_iteratorINS7_INS6_11hip_rocprim26transform_input_iterator_tIbNSD_35transform_pair_of_input_iterators_tIbNS6_6detail15normal_iteratorINS6_10device_ptrIKtEEEESL_NS6_8equal_toItEEEENSG_9not_fun_tINSD_8identityEEEEENSD_19counting_iterator_tIlEES8_S8_S8_S8_S8_S8_S8_S8_EEEEPS9_S9_NSD_9__find_if7functorIS9_EEEE10hipError_tPvRmT1_T2_T3_mT4_P12ihipStream_tbEUlT_E0_NS1_11comp_targetILNS1_3genE5ELNS1_11target_archE942ELNS1_3gpuE9ELNS1_3repE0EEENS1_30default_config_static_selectorELNS0_4arch9wavefront6targetE0EEEvS14_.num_named_barrier, 0
	.set _ZN7rocprim17ROCPRIM_400000_NS6detail17trampoline_kernelINS0_14default_configENS1_22reduce_config_selectorIN6thrust23THRUST_200600_302600_NS5tupleIblNS6_9null_typeES8_S8_S8_S8_S8_S8_S8_EEEEZNS1_11reduce_implILb1ES3_NS6_12zip_iteratorINS7_INS6_11hip_rocprim26transform_input_iterator_tIbNSD_35transform_pair_of_input_iterators_tIbNS6_6detail15normal_iteratorINS6_10device_ptrIKtEEEESL_NS6_8equal_toItEEEENSG_9not_fun_tINSD_8identityEEEEENSD_19counting_iterator_tIlEES8_S8_S8_S8_S8_S8_S8_S8_EEEEPS9_S9_NSD_9__find_if7functorIS9_EEEE10hipError_tPvRmT1_T2_T3_mT4_P12ihipStream_tbEUlT_E0_NS1_11comp_targetILNS1_3genE5ELNS1_11target_archE942ELNS1_3gpuE9ELNS1_3repE0EEENS1_30default_config_static_selectorELNS0_4arch9wavefront6targetE0EEEvS14_.private_seg_size, 0
	.set _ZN7rocprim17ROCPRIM_400000_NS6detail17trampoline_kernelINS0_14default_configENS1_22reduce_config_selectorIN6thrust23THRUST_200600_302600_NS5tupleIblNS6_9null_typeES8_S8_S8_S8_S8_S8_S8_EEEEZNS1_11reduce_implILb1ES3_NS6_12zip_iteratorINS7_INS6_11hip_rocprim26transform_input_iterator_tIbNSD_35transform_pair_of_input_iterators_tIbNS6_6detail15normal_iteratorINS6_10device_ptrIKtEEEESL_NS6_8equal_toItEEEENSG_9not_fun_tINSD_8identityEEEEENSD_19counting_iterator_tIlEES8_S8_S8_S8_S8_S8_S8_S8_EEEEPS9_S9_NSD_9__find_if7functorIS9_EEEE10hipError_tPvRmT1_T2_T3_mT4_P12ihipStream_tbEUlT_E0_NS1_11comp_targetILNS1_3genE5ELNS1_11target_archE942ELNS1_3gpuE9ELNS1_3repE0EEENS1_30default_config_static_selectorELNS0_4arch9wavefront6targetE0EEEvS14_.uses_vcc, 0
	.set _ZN7rocprim17ROCPRIM_400000_NS6detail17trampoline_kernelINS0_14default_configENS1_22reduce_config_selectorIN6thrust23THRUST_200600_302600_NS5tupleIblNS6_9null_typeES8_S8_S8_S8_S8_S8_S8_EEEEZNS1_11reduce_implILb1ES3_NS6_12zip_iteratorINS7_INS6_11hip_rocprim26transform_input_iterator_tIbNSD_35transform_pair_of_input_iterators_tIbNS6_6detail15normal_iteratorINS6_10device_ptrIKtEEEESL_NS6_8equal_toItEEEENSG_9not_fun_tINSD_8identityEEEEENSD_19counting_iterator_tIlEES8_S8_S8_S8_S8_S8_S8_S8_EEEEPS9_S9_NSD_9__find_if7functorIS9_EEEE10hipError_tPvRmT1_T2_T3_mT4_P12ihipStream_tbEUlT_E0_NS1_11comp_targetILNS1_3genE5ELNS1_11target_archE942ELNS1_3gpuE9ELNS1_3repE0EEENS1_30default_config_static_selectorELNS0_4arch9wavefront6targetE0EEEvS14_.uses_flat_scratch, 0
	.set _ZN7rocprim17ROCPRIM_400000_NS6detail17trampoline_kernelINS0_14default_configENS1_22reduce_config_selectorIN6thrust23THRUST_200600_302600_NS5tupleIblNS6_9null_typeES8_S8_S8_S8_S8_S8_S8_EEEEZNS1_11reduce_implILb1ES3_NS6_12zip_iteratorINS7_INS6_11hip_rocprim26transform_input_iterator_tIbNSD_35transform_pair_of_input_iterators_tIbNS6_6detail15normal_iteratorINS6_10device_ptrIKtEEEESL_NS6_8equal_toItEEEENSG_9not_fun_tINSD_8identityEEEEENSD_19counting_iterator_tIlEES8_S8_S8_S8_S8_S8_S8_S8_EEEEPS9_S9_NSD_9__find_if7functorIS9_EEEE10hipError_tPvRmT1_T2_T3_mT4_P12ihipStream_tbEUlT_E0_NS1_11comp_targetILNS1_3genE5ELNS1_11target_archE942ELNS1_3gpuE9ELNS1_3repE0EEENS1_30default_config_static_selectorELNS0_4arch9wavefront6targetE0EEEvS14_.has_dyn_sized_stack, 0
	.set _ZN7rocprim17ROCPRIM_400000_NS6detail17trampoline_kernelINS0_14default_configENS1_22reduce_config_selectorIN6thrust23THRUST_200600_302600_NS5tupleIblNS6_9null_typeES8_S8_S8_S8_S8_S8_S8_EEEEZNS1_11reduce_implILb1ES3_NS6_12zip_iteratorINS7_INS6_11hip_rocprim26transform_input_iterator_tIbNSD_35transform_pair_of_input_iterators_tIbNS6_6detail15normal_iteratorINS6_10device_ptrIKtEEEESL_NS6_8equal_toItEEEENSG_9not_fun_tINSD_8identityEEEEENSD_19counting_iterator_tIlEES8_S8_S8_S8_S8_S8_S8_S8_EEEEPS9_S9_NSD_9__find_if7functorIS9_EEEE10hipError_tPvRmT1_T2_T3_mT4_P12ihipStream_tbEUlT_E0_NS1_11comp_targetILNS1_3genE5ELNS1_11target_archE942ELNS1_3gpuE9ELNS1_3repE0EEENS1_30default_config_static_selectorELNS0_4arch9wavefront6targetE0EEEvS14_.has_recursion, 0
	.set _ZN7rocprim17ROCPRIM_400000_NS6detail17trampoline_kernelINS0_14default_configENS1_22reduce_config_selectorIN6thrust23THRUST_200600_302600_NS5tupleIblNS6_9null_typeES8_S8_S8_S8_S8_S8_S8_EEEEZNS1_11reduce_implILb1ES3_NS6_12zip_iteratorINS7_INS6_11hip_rocprim26transform_input_iterator_tIbNSD_35transform_pair_of_input_iterators_tIbNS6_6detail15normal_iteratorINS6_10device_ptrIKtEEEESL_NS6_8equal_toItEEEENSG_9not_fun_tINSD_8identityEEEEENSD_19counting_iterator_tIlEES8_S8_S8_S8_S8_S8_S8_S8_EEEEPS9_S9_NSD_9__find_if7functorIS9_EEEE10hipError_tPvRmT1_T2_T3_mT4_P12ihipStream_tbEUlT_E0_NS1_11comp_targetILNS1_3genE5ELNS1_11target_archE942ELNS1_3gpuE9ELNS1_3repE0EEENS1_30default_config_static_selectorELNS0_4arch9wavefront6targetE0EEEvS14_.has_indirect_call, 0
	.section	.AMDGPU.csdata,"",@progbits
; Kernel info:
; codeLenInByte = 0
; TotalNumSgprs: 0
; NumVgprs: 0
; ScratchSize: 0
; MemoryBound: 0
; FloatMode: 240
; IeeeMode: 1
; LDSByteSize: 0 bytes/workgroup (compile time only)
; SGPRBlocks: 0
; VGPRBlocks: 0
; NumSGPRsForWavesPerEU: 1
; NumVGPRsForWavesPerEU: 1
; Occupancy: 16
; WaveLimiterHint : 0
; COMPUTE_PGM_RSRC2:SCRATCH_EN: 0
; COMPUTE_PGM_RSRC2:USER_SGPR: 6
; COMPUTE_PGM_RSRC2:TRAP_HANDLER: 0
; COMPUTE_PGM_RSRC2:TGID_X_EN: 1
; COMPUTE_PGM_RSRC2:TGID_Y_EN: 0
; COMPUTE_PGM_RSRC2:TGID_Z_EN: 0
; COMPUTE_PGM_RSRC2:TIDIG_COMP_CNT: 0
	.section	.text._ZN7rocprim17ROCPRIM_400000_NS6detail17trampoline_kernelINS0_14default_configENS1_22reduce_config_selectorIN6thrust23THRUST_200600_302600_NS5tupleIblNS6_9null_typeES8_S8_S8_S8_S8_S8_S8_EEEEZNS1_11reduce_implILb1ES3_NS6_12zip_iteratorINS7_INS6_11hip_rocprim26transform_input_iterator_tIbNSD_35transform_pair_of_input_iterators_tIbNS6_6detail15normal_iteratorINS6_10device_ptrIKtEEEESL_NS6_8equal_toItEEEENSG_9not_fun_tINSD_8identityEEEEENSD_19counting_iterator_tIlEES8_S8_S8_S8_S8_S8_S8_S8_EEEEPS9_S9_NSD_9__find_if7functorIS9_EEEE10hipError_tPvRmT1_T2_T3_mT4_P12ihipStream_tbEUlT_E0_NS1_11comp_targetILNS1_3genE4ELNS1_11target_archE910ELNS1_3gpuE8ELNS1_3repE0EEENS1_30default_config_static_selectorELNS0_4arch9wavefront6targetE0EEEvS14_,"axG",@progbits,_ZN7rocprim17ROCPRIM_400000_NS6detail17trampoline_kernelINS0_14default_configENS1_22reduce_config_selectorIN6thrust23THRUST_200600_302600_NS5tupleIblNS6_9null_typeES8_S8_S8_S8_S8_S8_S8_EEEEZNS1_11reduce_implILb1ES3_NS6_12zip_iteratorINS7_INS6_11hip_rocprim26transform_input_iterator_tIbNSD_35transform_pair_of_input_iterators_tIbNS6_6detail15normal_iteratorINS6_10device_ptrIKtEEEESL_NS6_8equal_toItEEEENSG_9not_fun_tINSD_8identityEEEEENSD_19counting_iterator_tIlEES8_S8_S8_S8_S8_S8_S8_S8_EEEEPS9_S9_NSD_9__find_if7functorIS9_EEEE10hipError_tPvRmT1_T2_T3_mT4_P12ihipStream_tbEUlT_E0_NS1_11comp_targetILNS1_3genE4ELNS1_11target_archE910ELNS1_3gpuE8ELNS1_3repE0EEENS1_30default_config_static_selectorELNS0_4arch9wavefront6targetE0EEEvS14_,comdat
	.protected	_ZN7rocprim17ROCPRIM_400000_NS6detail17trampoline_kernelINS0_14default_configENS1_22reduce_config_selectorIN6thrust23THRUST_200600_302600_NS5tupleIblNS6_9null_typeES8_S8_S8_S8_S8_S8_S8_EEEEZNS1_11reduce_implILb1ES3_NS6_12zip_iteratorINS7_INS6_11hip_rocprim26transform_input_iterator_tIbNSD_35transform_pair_of_input_iterators_tIbNS6_6detail15normal_iteratorINS6_10device_ptrIKtEEEESL_NS6_8equal_toItEEEENSG_9not_fun_tINSD_8identityEEEEENSD_19counting_iterator_tIlEES8_S8_S8_S8_S8_S8_S8_S8_EEEEPS9_S9_NSD_9__find_if7functorIS9_EEEE10hipError_tPvRmT1_T2_T3_mT4_P12ihipStream_tbEUlT_E0_NS1_11comp_targetILNS1_3genE4ELNS1_11target_archE910ELNS1_3gpuE8ELNS1_3repE0EEENS1_30default_config_static_selectorELNS0_4arch9wavefront6targetE0EEEvS14_ ; -- Begin function _ZN7rocprim17ROCPRIM_400000_NS6detail17trampoline_kernelINS0_14default_configENS1_22reduce_config_selectorIN6thrust23THRUST_200600_302600_NS5tupleIblNS6_9null_typeES8_S8_S8_S8_S8_S8_S8_EEEEZNS1_11reduce_implILb1ES3_NS6_12zip_iteratorINS7_INS6_11hip_rocprim26transform_input_iterator_tIbNSD_35transform_pair_of_input_iterators_tIbNS6_6detail15normal_iteratorINS6_10device_ptrIKtEEEESL_NS6_8equal_toItEEEENSG_9not_fun_tINSD_8identityEEEEENSD_19counting_iterator_tIlEES8_S8_S8_S8_S8_S8_S8_S8_EEEEPS9_S9_NSD_9__find_if7functorIS9_EEEE10hipError_tPvRmT1_T2_T3_mT4_P12ihipStream_tbEUlT_E0_NS1_11comp_targetILNS1_3genE4ELNS1_11target_archE910ELNS1_3gpuE8ELNS1_3repE0EEENS1_30default_config_static_selectorELNS0_4arch9wavefront6targetE0EEEvS14_
	.globl	_ZN7rocprim17ROCPRIM_400000_NS6detail17trampoline_kernelINS0_14default_configENS1_22reduce_config_selectorIN6thrust23THRUST_200600_302600_NS5tupleIblNS6_9null_typeES8_S8_S8_S8_S8_S8_S8_EEEEZNS1_11reduce_implILb1ES3_NS6_12zip_iteratorINS7_INS6_11hip_rocprim26transform_input_iterator_tIbNSD_35transform_pair_of_input_iterators_tIbNS6_6detail15normal_iteratorINS6_10device_ptrIKtEEEESL_NS6_8equal_toItEEEENSG_9not_fun_tINSD_8identityEEEEENSD_19counting_iterator_tIlEES8_S8_S8_S8_S8_S8_S8_S8_EEEEPS9_S9_NSD_9__find_if7functorIS9_EEEE10hipError_tPvRmT1_T2_T3_mT4_P12ihipStream_tbEUlT_E0_NS1_11comp_targetILNS1_3genE4ELNS1_11target_archE910ELNS1_3gpuE8ELNS1_3repE0EEENS1_30default_config_static_selectorELNS0_4arch9wavefront6targetE0EEEvS14_
	.p2align	8
	.type	_ZN7rocprim17ROCPRIM_400000_NS6detail17trampoline_kernelINS0_14default_configENS1_22reduce_config_selectorIN6thrust23THRUST_200600_302600_NS5tupleIblNS6_9null_typeES8_S8_S8_S8_S8_S8_S8_EEEEZNS1_11reduce_implILb1ES3_NS6_12zip_iteratorINS7_INS6_11hip_rocprim26transform_input_iterator_tIbNSD_35transform_pair_of_input_iterators_tIbNS6_6detail15normal_iteratorINS6_10device_ptrIKtEEEESL_NS6_8equal_toItEEEENSG_9not_fun_tINSD_8identityEEEEENSD_19counting_iterator_tIlEES8_S8_S8_S8_S8_S8_S8_S8_EEEEPS9_S9_NSD_9__find_if7functorIS9_EEEE10hipError_tPvRmT1_T2_T3_mT4_P12ihipStream_tbEUlT_E0_NS1_11comp_targetILNS1_3genE4ELNS1_11target_archE910ELNS1_3gpuE8ELNS1_3repE0EEENS1_30default_config_static_selectorELNS0_4arch9wavefront6targetE0EEEvS14_,@function
_ZN7rocprim17ROCPRIM_400000_NS6detail17trampoline_kernelINS0_14default_configENS1_22reduce_config_selectorIN6thrust23THRUST_200600_302600_NS5tupleIblNS6_9null_typeES8_S8_S8_S8_S8_S8_S8_EEEEZNS1_11reduce_implILb1ES3_NS6_12zip_iteratorINS7_INS6_11hip_rocprim26transform_input_iterator_tIbNSD_35transform_pair_of_input_iterators_tIbNS6_6detail15normal_iteratorINS6_10device_ptrIKtEEEESL_NS6_8equal_toItEEEENSG_9not_fun_tINSD_8identityEEEEENSD_19counting_iterator_tIlEES8_S8_S8_S8_S8_S8_S8_S8_EEEEPS9_S9_NSD_9__find_if7functorIS9_EEEE10hipError_tPvRmT1_T2_T3_mT4_P12ihipStream_tbEUlT_E0_NS1_11comp_targetILNS1_3genE4ELNS1_11target_archE910ELNS1_3gpuE8ELNS1_3repE0EEENS1_30default_config_static_selectorELNS0_4arch9wavefront6targetE0EEEvS14_: ; @_ZN7rocprim17ROCPRIM_400000_NS6detail17trampoline_kernelINS0_14default_configENS1_22reduce_config_selectorIN6thrust23THRUST_200600_302600_NS5tupleIblNS6_9null_typeES8_S8_S8_S8_S8_S8_S8_EEEEZNS1_11reduce_implILb1ES3_NS6_12zip_iteratorINS7_INS6_11hip_rocprim26transform_input_iterator_tIbNSD_35transform_pair_of_input_iterators_tIbNS6_6detail15normal_iteratorINS6_10device_ptrIKtEEEESL_NS6_8equal_toItEEEENSG_9not_fun_tINSD_8identityEEEEENSD_19counting_iterator_tIlEES8_S8_S8_S8_S8_S8_S8_S8_EEEEPS9_S9_NSD_9__find_if7functorIS9_EEEE10hipError_tPvRmT1_T2_T3_mT4_P12ihipStream_tbEUlT_E0_NS1_11comp_targetILNS1_3genE4ELNS1_11target_archE910ELNS1_3gpuE8ELNS1_3repE0EEENS1_30default_config_static_selectorELNS0_4arch9wavefront6targetE0EEEvS14_
; %bb.0:
	.section	.rodata,"a",@progbits
	.p2align	6, 0x0
	.amdhsa_kernel _ZN7rocprim17ROCPRIM_400000_NS6detail17trampoline_kernelINS0_14default_configENS1_22reduce_config_selectorIN6thrust23THRUST_200600_302600_NS5tupleIblNS6_9null_typeES8_S8_S8_S8_S8_S8_S8_EEEEZNS1_11reduce_implILb1ES3_NS6_12zip_iteratorINS7_INS6_11hip_rocprim26transform_input_iterator_tIbNSD_35transform_pair_of_input_iterators_tIbNS6_6detail15normal_iteratorINS6_10device_ptrIKtEEEESL_NS6_8equal_toItEEEENSG_9not_fun_tINSD_8identityEEEEENSD_19counting_iterator_tIlEES8_S8_S8_S8_S8_S8_S8_S8_EEEEPS9_S9_NSD_9__find_if7functorIS9_EEEE10hipError_tPvRmT1_T2_T3_mT4_P12ihipStream_tbEUlT_E0_NS1_11comp_targetILNS1_3genE4ELNS1_11target_archE910ELNS1_3gpuE8ELNS1_3repE0EEENS1_30default_config_static_selectorELNS0_4arch9wavefront6targetE0EEEvS14_
		.amdhsa_group_segment_fixed_size 0
		.amdhsa_private_segment_fixed_size 0
		.amdhsa_kernarg_size 104
		.amdhsa_user_sgpr_count 6
		.amdhsa_user_sgpr_private_segment_buffer 1
		.amdhsa_user_sgpr_dispatch_ptr 0
		.amdhsa_user_sgpr_queue_ptr 0
		.amdhsa_user_sgpr_kernarg_segment_ptr 1
		.amdhsa_user_sgpr_dispatch_id 0
		.amdhsa_user_sgpr_flat_scratch_init 0
		.amdhsa_user_sgpr_private_segment_size 0
		.amdhsa_wavefront_size32 1
		.amdhsa_uses_dynamic_stack 0
		.amdhsa_system_sgpr_private_segment_wavefront_offset 0
		.amdhsa_system_sgpr_workgroup_id_x 1
		.amdhsa_system_sgpr_workgroup_id_y 0
		.amdhsa_system_sgpr_workgroup_id_z 0
		.amdhsa_system_sgpr_workgroup_info 0
		.amdhsa_system_vgpr_workitem_id 0
		.amdhsa_next_free_vgpr 1
		.amdhsa_next_free_sgpr 1
		.amdhsa_reserve_vcc 0
		.amdhsa_reserve_flat_scratch 0
		.amdhsa_float_round_mode_32 0
		.amdhsa_float_round_mode_16_64 0
		.amdhsa_float_denorm_mode_32 3
		.amdhsa_float_denorm_mode_16_64 3
		.amdhsa_dx10_clamp 1
		.amdhsa_ieee_mode 1
		.amdhsa_fp16_overflow 0
		.amdhsa_workgroup_processor_mode 1
		.amdhsa_memory_ordered 1
		.amdhsa_forward_progress 1
		.amdhsa_shared_vgpr_count 0
		.amdhsa_exception_fp_ieee_invalid_op 0
		.amdhsa_exception_fp_denorm_src 0
		.amdhsa_exception_fp_ieee_div_zero 0
		.amdhsa_exception_fp_ieee_overflow 0
		.amdhsa_exception_fp_ieee_underflow 0
		.amdhsa_exception_fp_ieee_inexact 0
		.amdhsa_exception_int_div_zero 0
	.end_amdhsa_kernel
	.section	.text._ZN7rocprim17ROCPRIM_400000_NS6detail17trampoline_kernelINS0_14default_configENS1_22reduce_config_selectorIN6thrust23THRUST_200600_302600_NS5tupleIblNS6_9null_typeES8_S8_S8_S8_S8_S8_S8_EEEEZNS1_11reduce_implILb1ES3_NS6_12zip_iteratorINS7_INS6_11hip_rocprim26transform_input_iterator_tIbNSD_35transform_pair_of_input_iterators_tIbNS6_6detail15normal_iteratorINS6_10device_ptrIKtEEEESL_NS6_8equal_toItEEEENSG_9not_fun_tINSD_8identityEEEEENSD_19counting_iterator_tIlEES8_S8_S8_S8_S8_S8_S8_S8_EEEEPS9_S9_NSD_9__find_if7functorIS9_EEEE10hipError_tPvRmT1_T2_T3_mT4_P12ihipStream_tbEUlT_E0_NS1_11comp_targetILNS1_3genE4ELNS1_11target_archE910ELNS1_3gpuE8ELNS1_3repE0EEENS1_30default_config_static_selectorELNS0_4arch9wavefront6targetE0EEEvS14_,"axG",@progbits,_ZN7rocprim17ROCPRIM_400000_NS6detail17trampoline_kernelINS0_14default_configENS1_22reduce_config_selectorIN6thrust23THRUST_200600_302600_NS5tupleIblNS6_9null_typeES8_S8_S8_S8_S8_S8_S8_EEEEZNS1_11reduce_implILb1ES3_NS6_12zip_iteratorINS7_INS6_11hip_rocprim26transform_input_iterator_tIbNSD_35transform_pair_of_input_iterators_tIbNS6_6detail15normal_iteratorINS6_10device_ptrIKtEEEESL_NS6_8equal_toItEEEENSG_9not_fun_tINSD_8identityEEEEENSD_19counting_iterator_tIlEES8_S8_S8_S8_S8_S8_S8_S8_EEEEPS9_S9_NSD_9__find_if7functorIS9_EEEE10hipError_tPvRmT1_T2_T3_mT4_P12ihipStream_tbEUlT_E0_NS1_11comp_targetILNS1_3genE4ELNS1_11target_archE910ELNS1_3gpuE8ELNS1_3repE0EEENS1_30default_config_static_selectorELNS0_4arch9wavefront6targetE0EEEvS14_,comdat
.Lfunc_end301:
	.size	_ZN7rocprim17ROCPRIM_400000_NS6detail17trampoline_kernelINS0_14default_configENS1_22reduce_config_selectorIN6thrust23THRUST_200600_302600_NS5tupleIblNS6_9null_typeES8_S8_S8_S8_S8_S8_S8_EEEEZNS1_11reduce_implILb1ES3_NS6_12zip_iteratorINS7_INS6_11hip_rocprim26transform_input_iterator_tIbNSD_35transform_pair_of_input_iterators_tIbNS6_6detail15normal_iteratorINS6_10device_ptrIKtEEEESL_NS6_8equal_toItEEEENSG_9not_fun_tINSD_8identityEEEEENSD_19counting_iterator_tIlEES8_S8_S8_S8_S8_S8_S8_S8_EEEEPS9_S9_NSD_9__find_if7functorIS9_EEEE10hipError_tPvRmT1_T2_T3_mT4_P12ihipStream_tbEUlT_E0_NS1_11comp_targetILNS1_3genE4ELNS1_11target_archE910ELNS1_3gpuE8ELNS1_3repE0EEENS1_30default_config_static_selectorELNS0_4arch9wavefront6targetE0EEEvS14_, .Lfunc_end301-_ZN7rocprim17ROCPRIM_400000_NS6detail17trampoline_kernelINS0_14default_configENS1_22reduce_config_selectorIN6thrust23THRUST_200600_302600_NS5tupleIblNS6_9null_typeES8_S8_S8_S8_S8_S8_S8_EEEEZNS1_11reduce_implILb1ES3_NS6_12zip_iteratorINS7_INS6_11hip_rocprim26transform_input_iterator_tIbNSD_35transform_pair_of_input_iterators_tIbNS6_6detail15normal_iteratorINS6_10device_ptrIKtEEEESL_NS6_8equal_toItEEEENSG_9not_fun_tINSD_8identityEEEEENSD_19counting_iterator_tIlEES8_S8_S8_S8_S8_S8_S8_S8_EEEEPS9_S9_NSD_9__find_if7functorIS9_EEEE10hipError_tPvRmT1_T2_T3_mT4_P12ihipStream_tbEUlT_E0_NS1_11comp_targetILNS1_3genE4ELNS1_11target_archE910ELNS1_3gpuE8ELNS1_3repE0EEENS1_30default_config_static_selectorELNS0_4arch9wavefront6targetE0EEEvS14_
                                        ; -- End function
	.set _ZN7rocprim17ROCPRIM_400000_NS6detail17trampoline_kernelINS0_14default_configENS1_22reduce_config_selectorIN6thrust23THRUST_200600_302600_NS5tupleIblNS6_9null_typeES8_S8_S8_S8_S8_S8_S8_EEEEZNS1_11reduce_implILb1ES3_NS6_12zip_iteratorINS7_INS6_11hip_rocprim26transform_input_iterator_tIbNSD_35transform_pair_of_input_iterators_tIbNS6_6detail15normal_iteratorINS6_10device_ptrIKtEEEESL_NS6_8equal_toItEEEENSG_9not_fun_tINSD_8identityEEEEENSD_19counting_iterator_tIlEES8_S8_S8_S8_S8_S8_S8_S8_EEEEPS9_S9_NSD_9__find_if7functorIS9_EEEE10hipError_tPvRmT1_T2_T3_mT4_P12ihipStream_tbEUlT_E0_NS1_11comp_targetILNS1_3genE4ELNS1_11target_archE910ELNS1_3gpuE8ELNS1_3repE0EEENS1_30default_config_static_selectorELNS0_4arch9wavefront6targetE0EEEvS14_.num_vgpr, 0
	.set _ZN7rocprim17ROCPRIM_400000_NS6detail17trampoline_kernelINS0_14default_configENS1_22reduce_config_selectorIN6thrust23THRUST_200600_302600_NS5tupleIblNS6_9null_typeES8_S8_S8_S8_S8_S8_S8_EEEEZNS1_11reduce_implILb1ES3_NS6_12zip_iteratorINS7_INS6_11hip_rocprim26transform_input_iterator_tIbNSD_35transform_pair_of_input_iterators_tIbNS6_6detail15normal_iteratorINS6_10device_ptrIKtEEEESL_NS6_8equal_toItEEEENSG_9not_fun_tINSD_8identityEEEEENSD_19counting_iterator_tIlEES8_S8_S8_S8_S8_S8_S8_S8_EEEEPS9_S9_NSD_9__find_if7functorIS9_EEEE10hipError_tPvRmT1_T2_T3_mT4_P12ihipStream_tbEUlT_E0_NS1_11comp_targetILNS1_3genE4ELNS1_11target_archE910ELNS1_3gpuE8ELNS1_3repE0EEENS1_30default_config_static_selectorELNS0_4arch9wavefront6targetE0EEEvS14_.num_agpr, 0
	.set _ZN7rocprim17ROCPRIM_400000_NS6detail17trampoline_kernelINS0_14default_configENS1_22reduce_config_selectorIN6thrust23THRUST_200600_302600_NS5tupleIblNS6_9null_typeES8_S8_S8_S8_S8_S8_S8_EEEEZNS1_11reduce_implILb1ES3_NS6_12zip_iteratorINS7_INS6_11hip_rocprim26transform_input_iterator_tIbNSD_35transform_pair_of_input_iterators_tIbNS6_6detail15normal_iteratorINS6_10device_ptrIKtEEEESL_NS6_8equal_toItEEEENSG_9not_fun_tINSD_8identityEEEEENSD_19counting_iterator_tIlEES8_S8_S8_S8_S8_S8_S8_S8_EEEEPS9_S9_NSD_9__find_if7functorIS9_EEEE10hipError_tPvRmT1_T2_T3_mT4_P12ihipStream_tbEUlT_E0_NS1_11comp_targetILNS1_3genE4ELNS1_11target_archE910ELNS1_3gpuE8ELNS1_3repE0EEENS1_30default_config_static_selectorELNS0_4arch9wavefront6targetE0EEEvS14_.numbered_sgpr, 0
	.set _ZN7rocprim17ROCPRIM_400000_NS6detail17trampoline_kernelINS0_14default_configENS1_22reduce_config_selectorIN6thrust23THRUST_200600_302600_NS5tupleIblNS6_9null_typeES8_S8_S8_S8_S8_S8_S8_EEEEZNS1_11reduce_implILb1ES3_NS6_12zip_iteratorINS7_INS6_11hip_rocprim26transform_input_iterator_tIbNSD_35transform_pair_of_input_iterators_tIbNS6_6detail15normal_iteratorINS6_10device_ptrIKtEEEESL_NS6_8equal_toItEEEENSG_9not_fun_tINSD_8identityEEEEENSD_19counting_iterator_tIlEES8_S8_S8_S8_S8_S8_S8_S8_EEEEPS9_S9_NSD_9__find_if7functorIS9_EEEE10hipError_tPvRmT1_T2_T3_mT4_P12ihipStream_tbEUlT_E0_NS1_11comp_targetILNS1_3genE4ELNS1_11target_archE910ELNS1_3gpuE8ELNS1_3repE0EEENS1_30default_config_static_selectorELNS0_4arch9wavefront6targetE0EEEvS14_.num_named_barrier, 0
	.set _ZN7rocprim17ROCPRIM_400000_NS6detail17trampoline_kernelINS0_14default_configENS1_22reduce_config_selectorIN6thrust23THRUST_200600_302600_NS5tupleIblNS6_9null_typeES8_S8_S8_S8_S8_S8_S8_EEEEZNS1_11reduce_implILb1ES3_NS6_12zip_iteratorINS7_INS6_11hip_rocprim26transform_input_iterator_tIbNSD_35transform_pair_of_input_iterators_tIbNS6_6detail15normal_iteratorINS6_10device_ptrIKtEEEESL_NS6_8equal_toItEEEENSG_9not_fun_tINSD_8identityEEEEENSD_19counting_iterator_tIlEES8_S8_S8_S8_S8_S8_S8_S8_EEEEPS9_S9_NSD_9__find_if7functorIS9_EEEE10hipError_tPvRmT1_T2_T3_mT4_P12ihipStream_tbEUlT_E0_NS1_11comp_targetILNS1_3genE4ELNS1_11target_archE910ELNS1_3gpuE8ELNS1_3repE0EEENS1_30default_config_static_selectorELNS0_4arch9wavefront6targetE0EEEvS14_.private_seg_size, 0
	.set _ZN7rocprim17ROCPRIM_400000_NS6detail17trampoline_kernelINS0_14default_configENS1_22reduce_config_selectorIN6thrust23THRUST_200600_302600_NS5tupleIblNS6_9null_typeES8_S8_S8_S8_S8_S8_S8_EEEEZNS1_11reduce_implILb1ES3_NS6_12zip_iteratorINS7_INS6_11hip_rocprim26transform_input_iterator_tIbNSD_35transform_pair_of_input_iterators_tIbNS6_6detail15normal_iteratorINS6_10device_ptrIKtEEEESL_NS6_8equal_toItEEEENSG_9not_fun_tINSD_8identityEEEEENSD_19counting_iterator_tIlEES8_S8_S8_S8_S8_S8_S8_S8_EEEEPS9_S9_NSD_9__find_if7functorIS9_EEEE10hipError_tPvRmT1_T2_T3_mT4_P12ihipStream_tbEUlT_E0_NS1_11comp_targetILNS1_3genE4ELNS1_11target_archE910ELNS1_3gpuE8ELNS1_3repE0EEENS1_30default_config_static_selectorELNS0_4arch9wavefront6targetE0EEEvS14_.uses_vcc, 0
	.set _ZN7rocprim17ROCPRIM_400000_NS6detail17trampoline_kernelINS0_14default_configENS1_22reduce_config_selectorIN6thrust23THRUST_200600_302600_NS5tupleIblNS6_9null_typeES8_S8_S8_S8_S8_S8_S8_EEEEZNS1_11reduce_implILb1ES3_NS6_12zip_iteratorINS7_INS6_11hip_rocprim26transform_input_iterator_tIbNSD_35transform_pair_of_input_iterators_tIbNS6_6detail15normal_iteratorINS6_10device_ptrIKtEEEESL_NS6_8equal_toItEEEENSG_9not_fun_tINSD_8identityEEEEENSD_19counting_iterator_tIlEES8_S8_S8_S8_S8_S8_S8_S8_EEEEPS9_S9_NSD_9__find_if7functorIS9_EEEE10hipError_tPvRmT1_T2_T3_mT4_P12ihipStream_tbEUlT_E0_NS1_11comp_targetILNS1_3genE4ELNS1_11target_archE910ELNS1_3gpuE8ELNS1_3repE0EEENS1_30default_config_static_selectorELNS0_4arch9wavefront6targetE0EEEvS14_.uses_flat_scratch, 0
	.set _ZN7rocprim17ROCPRIM_400000_NS6detail17trampoline_kernelINS0_14default_configENS1_22reduce_config_selectorIN6thrust23THRUST_200600_302600_NS5tupleIblNS6_9null_typeES8_S8_S8_S8_S8_S8_S8_EEEEZNS1_11reduce_implILb1ES3_NS6_12zip_iteratorINS7_INS6_11hip_rocprim26transform_input_iterator_tIbNSD_35transform_pair_of_input_iterators_tIbNS6_6detail15normal_iteratorINS6_10device_ptrIKtEEEESL_NS6_8equal_toItEEEENSG_9not_fun_tINSD_8identityEEEEENSD_19counting_iterator_tIlEES8_S8_S8_S8_S8_S8_S8_S8_EEEEPS9_S9_NSD_9__find_if7functorIS9_EEEE10hipError_tPvRmT1_T2_T3_mT4_P12ihipStream_tbEUlT_E0_NS1_11comp_targetILNS1_3genE4ELNS1_11target_archE910ELNS1_3gpuE8ELNS1_3repE0EEENS1_30default_config_static_selectorELNS0_4arch9wavefront6targetE0EEEvS14_.has_dyn_sized_stack, 0
	.set _ZN7rocprim17ROCPRIM_400000_NS6detail17trampoline_kernelINS0_14default_configENS1_22reduce_config_selectorIN6thrust23THRUST_200600_302600_NS5tupleIblNS6_9null_typeES8_S8_S8_S8_S8_S8_S8_EEEEZNS1_11reduce_implILb1ES3_NS6_12zip_iteratorINS7_INS6_11hip_rocprim26transform_input_iterator_tIbNSD_35transform_pair_of_input_iterators_tIbNS6_6detail15normal_iteratorINS6_10device_ptrIKtEEEESL_NS6_8equal_toItEEEENSG_9not_fun_tINSD_8identityEEEEENSD_19counting_iterator_tIlEES8_S8_S8_S8_S8_S8_S8_S8_EEEEPS9_S9_NSD_9__find_if7functorIS9_EEEE10hipError_tPvRmT1_T2_T3_mT4_P12ihipStream_tbEUlT_E0_NS1_11comp_targetILNS1_3genE4ELNS1_11target_archE910ELNS1_3gpuE8ELNS1_3repE0EEENS1_30default_config_static_selectorELNS0_4arch9wavefront6targetE0EEEvS14_.has_recursion, 0
	.set _ZN7rocprim17ROCPRIM_400000_NS6detail17trampoline_kernelINS0_14default_configENS1_22reduce_config_selectorIN6thrust23THRUST_200600_302600_NS5tupleIblNS6_9null_typeES8_S8_S8_S8_S8_S8_S8_EEEEZNS1_11reduce_implILb1ES3_NS6_12zip_iteratorINS7_INS6_11hip_rocprim26transform_input_iterator_tIbNSD_35transform_pair_of_input_iterators_tIbNS6_6detail15normal_iteratorINS6_10device_ptrIKtEEEESL_NS6_8equal_toItEEEENSG_9not_fun_tINSD_8identityEEEEENSD_19counting_iterator_tIlEES8_S8_S8_S8_S8_S8_S8_S8_EEEEPS9_S9_NSD_9__find_if7functorIS9_EEEE10hipError_tPvRmT1_T2_T3_mT4_P12ihipStream_tbEUlT_E0_NS1_11comp_targetILNS1_3genE4ELNS1_11target_archE910ELNS1_3gpuE8ELNS1_3repE0EEENS1_30default_config_static_selectorELNS0_4arch9wavefront6targetE0EEEvS14_.has_indirect_call, 0
	.section	.AMDGPU.csdata,"",@progbits
; Kernel info:
; codeLenInByte = 0
; TotalNumSgprs: 0
; NumVgprs: 0
; ScratchSize: 0
; MemoryBound: 0
; FloatMode: 240
; IeeeMode: 1
; LDSByteSize: 0 bytes/workgroup (compile time only)
; SGPRBlocks: 0
; VGPRBlocks: 0
; NumSGPRsForWavesPerEU: 1
; NumVGPRsForWavesPerEU: 1
; Occupancy: 16
; WaveLimiterHint : 0
; COMPUTE_PGM_RSRC2:SCRATCH_EN: 0
; COMPUTE_PGM_RSRC2:USER_SGPR: 6
; COMPUTE_PGM_RSRC2:TRAP_HANDLER: 0
; COMPUTE_PGM_RSRC2:TGID_X_EN: 1
; COMPUTE_PGM_RSRC2:TGID_Y_EN: 0
; COMPUTE_PGM_RSRC2:TGID_Z_EN: 0
; COMPUTE_PGM_RSRC2:TIDIG_COMP_CNT: 0
	.section	.text._ZN7rocprim17ROCPRIM_400000_NS6detail17trampoline_kernelINS0_14default_configENS1_22reduce_config_selectorIN6thrust23THRUST_200600_302600_NS5tupleIblNS6_9null_typeES8_S8_S8_S8_S8_S8_S8_EEEEZNS1_11reduce_implILb1ES3_NS6_12zip_iteratorINS7_INS6_11hip_rocprim26transform_input_iterator_tIbNSD_35transform_pair_of_input_iterators_tIbNS6_6detail15normal_iteratorINS6_10device_ptrIKtEEEESL_NS6_8equal_toItEEEENSG_9not_fun_tINSD_8identityEEEEENSD_19counting_iterator_tIlEES8_S8_S8_S8_S8_S8_S8_S8_EEEEPS9_S9_NSD_9__find_if7functorIS9_EEEE10hipError_tPvRmT1_T2_T3_mT4_P12ihipStream_tbEUlT_E0_NS1_11comp_targetILNS1_3genE3ELNS1_11target_archE908ELNS1_3gpuE7ELNS1_3repE0EEENS1_30default_config_static_selectorELNS0_4arch9wavefront6targetE0EEEvS14_,"axG",@progbits,_ZN7rocprim17ROCPRIM_400000_NS6detail17trampoline_kernelINS0_14default_configENS1_22reduce_config_selectorIN6thrust23THRUST_200600_302600_NS5tupleIblNS6_9null_typeES8_S8_S8_S8_S8_S8_S8_EEEEZNS1_11reduce_implILb1ES3_NS6_12zip_iteratorINS7_INS6_11hip_rocprim26transform_input_iterator_tIbNSD_35transform_pair_of_input_iterators_tIbNS6_6detail15normal_iteratorINS6_10device_ptrIKtEEEESL_NS6_8equal_toItEEEENSG_9not_fun_tINSD_8identityEEEEENSD_19counting_iterator_tIlEES8_S8_S8_S8_S8_S8_S8_S8_EEEEPS9_S9_NSD_9__find_if7functorIS9_EEEE10hipError_tPvRmT1_T2_T3_mT4_P12ihipStream_tbEUlT_E0_NS1_11comp_targetILNS1_3genE3ELNS1_11target_archE908ELNS1_3gpuE7ELNS1_3repE0EEENS1_30default_config_static_selectorELNS0_4arch9wavefront6targetE0EEEvS14_,comdat
	.protected	_ZN7rocprim17ROCPRIM_400000_NS6detail17trampoline_kernelINS0_14default_configENS1_22reduce_config_selectorIN6thrust23THRUST_200600_302600_NS5tupleIblNS6_9null_typeES8_S8_S8_S8_S8_S8_S8_EEEEZNS1_11reduce_implILb1ES3_NS6_12zip_iteratorINS7_INS6_11hip_rocprim26transform_input_iterator_tIbNSD_35transform_pair_of_input_iterators_tIbNS6_6detail15normal_iteratorINS6_10device_ptrIKtEEEESL_NS6_8equal_toItEEEENSG_9not_fun_tINSD_8identityEEEEENSD_19counting_iterator_tIlEES8_S8_S8_S8_S8_S8_S8_S8_EEEEPS9_S9_NSD_9__find_if7functorIS9_EEEE10hipError_tPvRmT1_T2_T3_mT4_P12ihipStream_tbEUlT_E0_NS1_11comp_targetILNS1_3genE3ELNS1_11target_archE908ELNS1_3gpuE7ELNS1_3repE0EEENS1_30default_config_static_selectorELNS0_4arch9wavefront6targetE0EEEvS14_ ; -- Begin function _ZN7rocprim17ROCPRIM_400000_NS6detail17trampoline_kernelINS0_14default_configENS1_22reduce_config_selectorIN6thrust23THRUST_200600_302600_NS5tupleIblNS6_9null_typeES8_S8_S8_S8_S8_S8_S8_EEEEZNS1_11reduce_implILb1ES3_NS6_12zip_iteratorINS7_INS6_11hip_rocprim26transform_input_iterator_tIbNSD_35transform_pair_of_input_iterators_tIbNS6_6detail15normal_iteratorINS6_10device_ptrIKtEEEESL_NS6_8equal_toItEEEENSG_9not_fun_tINSD_8identityEEEEENSD_19counting_iterator_tIlEES8_S8_S8_S8_S8_S8_S8_S8_EEEEPS9_S9_NSD_9__find_if7functorIS9_EEEE10hipError_tPvRmT1_T2_T3_mT4_P12ihipStream_tbEUlT_E0_NS1_11comp_targetILNS1_3genE3ELNS1_11target_archE908ELNS1_3gpuE7ELNS1_3repE0EEENS1_30default_config_static_selectorELNS0_4arch9wavefront6targetE0EEEvS14_
	.globl	_ZN7rocprim17ROCPRIM_400000_NS6detail17trampoline_kernelINS0_14default_configENS1_22reduce_config_selectorIN6thrust23THRUST_200600_302600_NS5tupleIblNS6_9null_typeES8_S8_S8_S8_S8_S8_S8_EEEEZNS1_11reduce_implILb1ES3_NS6_12zip_iteratorINS7_INS6_11hip_rocprim26transform_input_iterator_tIbNSD_35transform_pair_of_input_iterators_tIbNS6_6detail15normal_iteratorINS6_10device_ptrIKtEEEESL_NS6_8equal_toItEEEENSG_9not_fun_tINSD_8identityEEEEENSD_19counting_iterator_tIlEES8_S8_S8_S8_S8_S8_S8_S8_EEEEPS9_S9_NSD_9__find_if7functorIS9_EEEE10hipError_tPvRmT1_T2_T3_mT4_P12ihipStream_tbEUlT_E0_NS1_11comp_targetILNS1_3genE3ELNS1_11target_archE908ELNS1_3gpuE7ELNS1_3repE0EEENS1_30default_config_static_selectorELNS0_4arch9wavefront6targetE0EEEvS14_
	.p2align	8
	.type	_ZN7rocprim17ROCPRIM_400000_NS6detail17trampoline_kernelINS0_14default_configENS1_22reduce_config_selectorIN6thrust23THRUST_200600_302600_NS5tupleIblNS6_9null_typeES8_S8_S8_S8_S8_S8_S8_EEEEZNS1_11reduce_implILb1ES3_NS6_12zip_iteratorINS7_INS6_11hip_rocprim26transform_input_iterator_tIbNSD_35transform_pair_of_input_iterators_tIbNS6_6detail15normal_iteratorINS6_10device_ptrIKtEEEESL_NS6_8equal_toItEEEENSG_9not_fun_tINSD_8identityEEEEENSD_19counting_iterator_tIlEES8_S8_S8_S8_S8_S8_S8_S8_EEEEPS9_S9_NSD_9__find_if7functorIS9_EEEE10hipError_tPvRmT1_T2_T3_mT4_P12ihipStream_tbEUlT_E0_NS1_11comp_targetILNS1_3genE3ELNS1_11target_archE908ELNS1_3gpuE7ELNS1_3repE0EEENS1_30default_config_static_selectorELNS0_4arch9wavefront6targetE0EEEvS14_,@function
_ZN7rocprim17ROCPRIM_400000_NS6detail17trampoline_kernelINS0_14default_configENS1_22reduce_config_selectorIN6thrust23THRUST_200600_302600_NS5tupleIblNS6_9null_typeES8_S8_S8_S8_S8_S8_S8_EEEEZNS1_11reduce_implILb1ES3_NS6_12zip_iteratorINS7_INS6_11hip_rocprim26transform_input_iterator_tIbNSD_35transform_pair_of_input_iterators_tIbNS6_6detail15normal_iteratorINS6_10device_ptrIKtEEEESL_NS6_8equal_toItEEEENSG_9not_fun_tINSD_8identityEEEEENSD_19counting_iterator_tIlEES8_S8_S8_S8_S8_S8_S8_S8_EEEEPS9_S9_NSD_9__find_if7functorIS9_EEEE10hipError_tPvRmT1_T2_T3_mT4_P12ihipStream_tbEUlT_E0_NS1_11comp_targetILNS1_3genE3ELNS1_11target_archE908ELNS1_3gpuE7ELNS1_3repE0EEENS1_30default_config_static_selectorELNS0_4arch9wavefront6targetE0EEEvS14_: ; @_ZN7rocprim17ROCPRIM_400000_NS6detail17trampoline_kernelINS0_14default_configENS1_22reduce_config_selectorIN6thrust23THRUST_200600_302600_NS5tupleIblNS6_9null_typeES8_S8_S8_S8_S8_S8_S8_EEEEZNS1_11reduce_implILb1ES3_NS6_12zip_iteratorINS7_INS6_11hip_rocprim26transform_input_iterator_tIbNSD_35transform_pair_of_input_iterators_tIbNS6_6detail15normal_iteratorINS6_10device_ptrIKtEEEESL_NS6_8equal_toItEEEENSG_9not_fun_tINSD_8identityEEEEENSD_19counting_iterator_tIlEES8_S8_S8_S8_S8_S8_S8_S8_EEEEPS9_S9_NSD_9__find_if7functorIS9_EEEE10hipError_tPvRmT1_T2_T3_mT4_P12ihipStream_tbEUlT_E0_NS1_11comp_targetILNS1_3genE3ELNS1_11target_archE908ELNS1_3gpuE7ELNS1_3repE0EEENS1_30default_config_static_selectorELNS0_4arch9wavefront6targetE0EEEvS14_
; %bb.0:
	.section	.rodata,"a",@progbits
	.p2align	6, 0x0
	.amdhsa_kernel _ZN7rocprim17ROCPRIM_400000_NS6detail17trampoline_kernelINS0_14default_configENS1_22reduce_config_selectorIN6thrust23THRUST_200600_302600_NS5tupleIblNS6_9null_typeES8_S8_S8_S8_S8_S8_S8_EEEEZNS1_11reduce_implILb1ES3_NS6_12zip_iteratorINS7_INS6_11hip_rocprim26transform_input_iterator_tIbNSD_35transform_pair_of_input_iterators_tIbNS6_6detail15normal_iteratorINS6_10device_ptrIKtEEEESL_NS6_8equal_toItEEEENSG_9not_fun_tINSD_8identityEEEEENSD_19counting_iterator_tIlEES8_S8_S8_S8_S8_S8_S8_S8_EEEEPS9_S9_NSD_9__find_if7functorIS9_EEEE10hipError_tPvRmT1_T2_T3_mT4_P12ihipStream_tbEUlT_E0_NS1_11comp_targetILNS1_3genE3ELNS1_11target_archE908ELNS1_3gpuE7ELNS1_3repE0EEENS1_30default_config_static_selectorELNS0_4arch9wavefront6targetE0EEEvS14_
		.amdhsa_group_segment_fixed_size 0
		.amdhsa_private_segment_fixed_size 0
		.amdhsa_kernarg_size 104
		.amdhsa_user_sgpr_count 6
		.amdhsa_user_sgpr_private_segment_buffer 1
		.amdhsa_user_sgpr_dispatch_ptr 0
		.amdhsa_user_sgpr_queue_ptr 0
		.amdhsa_user_sgpr_kernarg_segment_ptr 1
		.amdhsa_user_sgpr_dispatch_id 0
		.amdhsa_user_sgpr_flat_scratch_init 0
		.amdhsa_user_sgpr_private_segment_size 0
		.amdhsa_wavefront_size32 1
		.amdhsa_uses_dynamic_stack 0
		.amdhsa_system_sgpr_private_segment_wavefront_offset 0
		.amdhsa_system_sgpr_workgroup_id_x 1
		.amdhsa_system_sgpr_workgroup_id_y 0
		.amdhsa_system_sgpr_workgroup_id_z 0
		.amdhsa_system_sgpr_workgroup_info 0
		.amdhsa_system_vgpr_workitem_id 0
		.amdhsa_next_free_vgpr 1
		.amdhsa_next_free_sgpr 1
		.amdhsa_reserve_vcc 0
		.amdhsa_reserve_flat_scratch 0
		.amdhsa_float_round_mode_32 0
		.amdhsa_float_round_mode_16_64 0
		.amdhsa_float_denorm_mode_32 3
		.amdhsa_float_denorm_mode_16_64 3
		.amdhsa_dx10_clamp 1
		.amdhsa_ieee_mode 1
		.amdhsa_fp16_overflow 0
		.amdhsa_workgroup_processor_mode 1
		.amdhsa_memory_ordered 1
		.amdhsa_forward_progress 1
		.amdhsa_shared_vgpr_count 0
		.amdhsa_exception_fp_ieee_invalid_op 0
		.amdhsa_exception_fp_denorm_src 0
		.amdhsa_exception_fp_ieee_div_zero 0
		.amdhsa_exception_fp_ieee_overflow 0
		.amdhsa_exception_fp_ieee_underflow 0
		.amdhsa_exception_fp_ieee_inexact 0
		.amdhsa_exception_int_div_zero 0
	.end_amdhsa_kernel
	.section	.text._ZN7rocprim17ROCPRIM_400000_NS6detail17trampoline_kernelINS0_14default_configENS1_22reduce_config_selectorIN6thrust23THRUST_200600_302600_NS5tupleIblNS6_9null_typeES8_S8_S8_S8_S8_S8_S8_EEEEZNS1_11reduce_implILb1ES3_NS6_12zip_iteratorINS7_INS6_11hip_rocprim26transform_input_iterator_tIbNSD_35transform_pair_of_input_iterators_tIbNS6_6detail15normal_iteratorINS6_10device_ptrIKtEEEESL_NS6_8equal_toItEEEENSG_9not_fun_tINSD_8identityEEEEENSD_19counting_iterator_tIlEES8_S8_S8_S8_S8_S8_S8_S8_EEEEPS9_S9_NSD_9__find_if7functorIS9_EEEE10hipError_tPvRmT1_T2_T3_mT4_P12ihipStream_tbEUlT_E0_NS1_11comp_targetILNS1_3genE3ELNS1_11target_archE908ELNS1_3gpuE7ELNS1_3repE0EEENS1_30default_config_static_selectorELNS0_4arch9wavefront6targetE0EEEvS14_,"axG",@progbits,_ZN7rocprim17ROCPRIM_400000_NS6detail17trampoline_kernelINS0_14default_configENS1_22reduce_config_selectorIN6thrust23THRUST_200600_302600_NS5tupleIblNS6_9null_typeES8_S8_S8_S8_S8_S8_S8_EEEEZNS1_11reduce_implILb1ES3_NS6_12zip_iteratorINS7_INS6_11hip_rocprim26transform_input_iterator_tIbNSD_35transform_pair_of_input_iterators_tIbNS6_6detail15normal_iteratorINS6_10device_ptrIKtEEEESL_NS6_8equal_toItEEEENSG_9not_fun_tINSD_8identityEEEEENSD_19counting_iterator_tIlEES8_S8_S8_S8_S8_S8_S8_S8_EEEEPS9_S9_NSD_9__find_if7functorIS9_EEEE10hipError_tPvRmT1_T2_T3_mT4_P12ihipStream_tbEUlT_E0_NS1_11comp_targetILNS1_3genE3ELNS1_11target_archE908ELNS1_3gpuE7ELNS1_3repE0EEENS1_30default_config_static_selectorELNS0_4arch9wavefront6targetE0EEEvS14_,comdat
.Lfunc_end302:
	.size	_ZN7rocprim17ROCPRIM_400000_NS6detail17trampoline_kernelINS0_14default_configENS1_22reduce_config_selectorIN6thrust23THRUST_200600_302600_NS5tupleIblNS6_9null_typeES8_S8_S8_S8_S8_S8_S8_EEEEZNS1_11reduce_implILb1ES3_NS6_12zip_iteratorINS7_INS6_11hip_rocprim26transform_input_iterator_tIbNSD_35transform_pair_of_input_iterators_tIbNS6_6detail15normal_iteratorINS6_10device_ptrIKtEEEESL_NS6_8equal_toItEEEENSG_9not_fun_tINSD_8identityEEEEENSD_19counting_iterator_tIlEES8_S8_S8_S8_S8_S8_S8_S8_EEEEPS9_S9_NSD_9__find_if7functorIS9_EEEE10hipError_tPvRmT1_T2_T3_mT4_P12ihipStream_tbEUlT_E0_NS1_11comp_targetILNS1_3genE3ELNS1_11target_archE908ELNS1_3gpuE7ELNS1_3repE0EEENS1_30default_config_static_selectorELNS0_4arch9wavefront6targetE0EEEvS14_, .Lfunc_end302-_ZN7rocprim17ROCPRIM_400000_NS6detail17trampoline_kernelINS0_14default_configENS1_22reduce_config_selectorIN6thrust23THRUST_200600_302600_NS5tupleIblNS6_9null_typeES8_S8_S8_S8_S8_S8_S8_EEEEZNS1_11reduce_implILb1ES3_NS6_12zip_iteratorINS7_INS6_11hip_rocprim26transform_input_iterator_tIbNSD_35transform_pair_of_input_iterators_tIbNS6_6detail15normal_iteratorINS6_10device_ptrIKtEEEESL_NS6_8equal_toItEEEENSG_9not_fun_tINSD_8identityEEEEENSD_19counting_iterator_tIlEES8_S8_S8_S8_S8_S8_S8_S8_EEEEPS9_S9_NSD_9__find_if7functorIS9_EEEE10hipError_tPvRmT1_T2_T3_mT4_P12ihipStream_tbEUlT_E0_NS1_11comp_targetILNS1_3genE3ELNS1_11target_archE908ELNS1_3gpuE7ELNS1_3repE0EEENS1_30default_config_static_selectorELNS0_4arch9wavefront6targetE0EEEvS14_
                                        ; -- End function
	.set _ZN7rocprim17ROCPRIM_400000_NS6detail17trampoline_kernelINS0_14default_configENS1_22reduce_config_selectorIN6thrust23THRUST_200600_302600_NS5tupleIblNS6_9null_typeES8_S8_S8_S8_S8_S8_S8_EEEEZNS1_11reduce_implILb1ES3_NS6_12zip_iteratorINS7_INS6_11hip_rocprim26transform_input_iterator_tIbNSD_35transform_pair_of_input_iterators_tIbNS6_6detail15normal_iteratorINS6_10device_ptrIKtEEEESL_NS6_8equal_toItEEEENSG_9not_fun_tINSD_8identityEEEEENSD_19counting_iterator_tIlEES8_S8_S8_S8_S8_S8_S8_S8_EEEEPS9_S9_NSD_9__find_if7functorIS9_EEEE10hipError_tPvRmT1_T2_T3_mT4_P12ihipStream_tbEUlT_E0_NS1_11comp_targetILNS1_3genE3ELNS1_11target_archE908ELNS1_3gpuE7ELNS1_3repE0EEENS1_30default_config_static_selectorELNS0_4arch9wavefront6targetE0EEEvS14_.num_vgpr, 0
	.set _ZN7rocprim17ROCPRIM_400000_NS6detail17trampoline_kernelINS0_14default_configENS1_22reduce_config_selectorIN6thrust23THRUST_200600_302600_NS5tupleIblNS6_9null_typeES8_S8_S8_S8_S8_S8_S8_EEEEZNS1_11reduce_implILb1ES3_NS6_12zip_iteratorINS7_INS6_11hip_rocprim26transform_input_iterator_tIbNSD_35transform_pair_of_input_iterators_tIbNS6_6detail15normal_iteratorINS6_10device_ptrIKtEEEESL_NS6_8equal_toItEEEENSG_9not_fun_tINSD_8identityEEEEENSD_19counting_iterator_tIlEES8_S8_S8_S8_S8_S8_S8_S8_EEEEPS9_S9_NSD_9__find_if7functorIS9_EEEE10hipError_tPvRmT1_T2_T3_mT4_P12ihipStream_tbEUlT_E0_NS1_11comp_targetILNS1_3genE3ELNS1_11target_archE908ELNS1_3gpuE7ELNS1_3repE0EEENS1_30default_config_static_selectorELNS0_4arch9wavefront6targetE0EEEvS14_.num_agpr, 0
	.set _ZN7rocprim17ROCPRIM_400000_NS6detail17trampoline_kernelINS0_14default_configENS1_22reduce_config_selectorIN6thrust23THRUST_200600_302600_NS5tupleIblNS6_9null_typeES8_S8_S8_S8_S8_S8_S8_EEEEZNS1_11reduce_implILb1ES3_NS6_12zip_iteratorINS7_INS6_11hip_rocprim26transform_input_iterator_tIbNSD_35transform_pair_of_input_iterators_tIbNS6_6detail15normal_iteratorINS6_10device_ptrIKtEEEESL_NS6_8equal_toItEEEENSG_9not_fun_tINSD_8identityEEEEENSD_19counting_iterator_tIlEES8_S8_S8_S8_S8_S8_S8_S8_EEEEPS9_S9_NSD_9__find_if7functorIS9_EEEE10hipError_tPvRmT1_T2_T3_mT4_P12ihipStream_tbEUlT_E0_NS1_11comp_targetILNS1_3genE3ELNS1_11target_archE908ELNS1_3gpuE7ELNS1_3repE0EEENS1_30default_config_static_selectorELNS0_4arch9wavefront6targetE0EEEvS14_.numbered_sgpr, 0
	.set _ZN7rocprim17ROCPRIM_400000_NS6detail17trampoline_kernelINS0_14default_configENS1_22reduce_config_selectorIN6thrust23THRUST_200600_302600_NS5tupleIblNS6_9null_typeES8_S8_S8_S8_S8_S8_S8_EEEEZNS1_11reduce_implILb1ES3_NS6_12zip_iteratorINS7_INS6_11hip_rocprim26transform_input_iterator_tIbNSD_35transform_pair_of_input_iterators_tIbNS6_6detail15normal_iteratorINS6_10device_ptrIKtEEEESL_NS6_8equal_toItEEEENSG_9not_fun_tINSD_8identityEEEEENSD_19counting_iterator_tIlEES8_S8_S8_S8_S8_S8_S8_S8_EEEEPS9_S9_NSD_9__find_if7functorIS9_EEEE10hipError_tPvRmT1_T2_T3_mT4_P12ihipStream_tbEUlT_E0_NS1_11comp_targetILNS1_3genE3ELNS1_11target_archE908ELNS1_3gpuE7ELNS1_3repE0EEENS1_30default_config_static_selectorELNS0_4arch9wavefront6targetE0EEEvS14_.num_named_barrier, 0
	.set _ZN7rocprim17ROCPRIM_400000_NS6detail17trampoline_kernelINS0_14default_configENS1_22reduce_config_selectorIN6thrust23THRUST_200600_302600_NS5tupleIblNS6_9null_typeES8_S8_S8_S8_S8_S8_S8_EEEEZNS1_11reduce_implILb1ES3_NS6_12zip_iteratorINS7_INS6_11hip_rocprim26transform_input_iterator_tIbNSD_35transform_pair_of_input_iterators_tIbNS6_6detail15normal_iteratorINS6_10device_ptrIKtEEEESL_NS6_8equal_toItEEEENSG_9not_fun_tINSD_8identityEEEEENSD_19counting_iterator_tIlEES8_S8_S8_S8_S8_S8_S8_S8_EEEEPS9_S9_NSD_9__find_if7functorIS9_EEEE10hipError_tPvRmT1_T2_T3_mT4_P12ihipStream_tbEUlT_E0_NS1_11comp_targetILNS1_3genE3ELNS1_11target_archE908ELNS1_3gpuE7ELNS1_3repE0EEENS1_30default_config_static_selectorELNS0_4arch9wavefront6targetE0EEEvS14_.private_seg_size, 0
	.set _ZN7rocprim17ROCPRIM_400000_NS6detail17trampoline_kernelINS0_14default_configENS1_22reduce_config_selectorIN6thrust23THRUST_200600_302600_NS5tupleIblNS6_9null_typeES8_S8_S8_S8_S8_S8_S8_EEEEZNS1_11reduce_implILb1ES3_NS6_12zip_iteratorINS7_INS6_11hip_rocprim26transform_input_iterator_tIbNSD_35transform_pair_of_input_iterators_tIbNS6_6detail15normal_iteratorINS6_10device_ptrIKtEEEESL_NS6_8equal_toItEEEENSG_9not_fun_tINSD_8identityEEEEENSD_19counting_iterator_tIlEES8_S8_S8_S8_S8_S8_S8_S8_EEEEPS9_S9_NSD_9__find_if7functorIS9_EEEE10hipError_tPvRmT1_T2_T3_mT4_P12ihipStream_tbEUlT_E0_NS1_11comp_targetILNS1_3genE3ELNS1_11target_archE908ELNS1_3gpuE7ELNS1_3repE0EEENS1_30default_config_static_selectorELNS0_4arch9wavefront6targetE0EEEvS14_.uses_vcc, 0
	.set _ZN7rocprim17ROCPRIM_400000_NS6detail17trampoline_kernelINS0_14default_configENS1_22reduce_config_selectorIN6thrust23THRUST_200600_302600_NS5tupleIblNS6_9null_typeES8_S8_S8_S8_S8_S8_S8_EEEEZNS1_11reduce_implILb1ES3_NS6_12zip_iteratorINS7_INS6_11hip_rocprim26transform_input_iterator_tIbNSD_35transform_pair_of_input_iterators_tIbNS6_6detail15normal_iteratorINS6_10device_ptrIKtEEEESL_NS6_8equal_toItEEEENSG_9not_fun_tINSD_8identityEEEEENSD_19counting_iterator_tIlEES8_S8_S8_S8_S8_S8_S8_S8_EEEEPS9_S9_NSD_9__find_if7functorIS9_EEEE10hipError_tPvRmT1_T2_T3_mT4_P12ihipStream_tbEUlT_E0_NS1_11comp_targetILNS1_3genE3ELNS1_11target_archE908ELNS1_3gpuE7ELNS1_3repE0EEENS1_30default_config_static_selectorELNS0_4arch9wavefront6targetE0EEEvS14_.uses_flat_scratch, 0
	.set _ZN7rocprim17ROCPRIM_400000_NS6detail17trampoline_kernelINS0_14default_configENS1_22reduce_config_selectorIN6thrust23THRUST_200600_302600_NS5tupleIblNS6_9null_typeES8_S8_S8_S8_S8_S8_S8_EEEEZNS1_11reduce_implILb1ES3_NS6_12zip_iteratorINS7_INS6_11hip_rocprim26transform_input_iterator_tIbNSD_35transform_pair_of_input_iterators_tIbNS6_6detail15normal_iteratorINS6_10device_ptrIKtEEEESL_NS6_8equal_toItEEEENSG_9not_fun_tINSD_8identityEEEEENSD_19counting_iterator_tIlEES8_S8_S8_S8_S8_S8_S8_S8_EEEEPS9_S9_NSD_9__find_if7functorIS9_EEEE10hipError_tPvRmT1_T2_T3_mT4_P12ihipStream_tbEUlT_E0_NS1_11comp_targetILNS1_3genE3ELNS1_11target_archE908ELNS1_3gpuE7ELNS1_3repE0EEENS1_30default_config_static_selectorELNS0_4arch9wavefront6targetE0EEEvS14_.has_dyn_sized_stack, 0
	.set _ZN7rocprim17ROCPRIM_400000_NS6detail17trampoline_kernelINS0_14default_configENS1_22reduce_config_selectorIN6thrust23THRUST_200600_302600_NS5tupleIblNS6_9null_typeES8_S8_S8_S8_S8_S8_S8_EEEEZNS1_11reduce_implILb1ES3_NS6_12zip_iteratorINS7_INS6_11hip_rocprim26transform_input_iterator_tIbNSD_35transform_pair_of_input_iterators_tIbNS6_6detail15normal_iteratorINS6_10device_ptrIKtEEEESL_NS6_8equal_toItEEEENSG_9not_fun_tINSD_8identityEEEEENSD_19counting_iterator_tIlEES8_S8_S8_S8_S8_S8_S8_S8_EEEEPS9_S9_NSD_9__find_if7functorIS9_EEEE10hipError_tPvRmT1_T2_T3_mT4_P12ihipStream_tbEUlT_E0_NS1_11comp_targetILNS1_3genE3ELNS1_11target_archE908ELNS1_3gpuE7ELNS1_3repE0EEENS1_30default_config_static_selectorELNS0_4arch9wavefront6targetE0EEEvS14_.has_recursion, 0
	.set _ZN7rocprim17ROCPRIM_400000_NS6detail17trampoline_kernelINS0_14default_configENS1_22reduce_config_selectorIN6thrust23THRUST_200600_302600_NS5tupleIblNS6_9null_typeES8_S8_S8_S8_S8_S8_S8_EEEEZNS1_11reduce_implILb1ES3_NS6_12zip_iteratorINS7_INS6_11hip_rocprim26transform_input_iterator_tIbNSD_35transform_pair_of_input_iterators_tIbNS6_6detail15normal_iteratorINS6_10device_ptrIKtEEEESL_NS6_8equal_toItEEEENSG_9not_fun_tINSD_8identityEEEEENSD_19counting_iterator_tIlEES8_S8_S8_S8_S8_S8_S8_S8_EEEEPS9_S9_NSD_9__find_if7functorIS9_EEEE10hipError_tPvRmT1_T2_T3_mT4_P12ihipStream_tbEUlT_E0_NS1_11comp_targetILNS1_3genE3ELNS1_11target_archE908ELNS1_3gpuE7ELNS1_3repE0EEENS1_30default_config_static_selectorELNS0_4arch9wavefront6targetE0EEEvS14_.has_indirect_call, 0
	.section	.AMDGPU.csdata,"",@progbits
; Kernel info:
; codeLenInByte = 0
; TotalNumSgprs: 0
; NumVgprs: 0
; ScratchSize: 0
; MemoryBound: 0
; FloatMode: 240
; IeeeMode: 1
; LDSByteSize: 0 bytes/workgroup (compile time only)
; SGPRBlocks: 0
; VGPRBlocks: 0
; NumSGPRsForWavesPerEU: 1
; NumVGPRsForWavesPerEU: 1
; Occupancy: 16
; WaveLimiterHint : 0
; COMPUTE_PGM_RSRC2:SCRATCH_EN: 0
; COMPUTE_PGM_RSRC2:USER_SGPR: 6
; COMPUTE_PGM_RSRC2:TRAP_HANDLER: 0
; COMPUTE_PGM_RSRC2:TGID_X_EN: 1
; COMPUTE_PGM_RSRC2:TGID_Y_EN: 0
; COMPUTE_PGM_RSRC2:TGID_Z_EN: 0
; COMPUTE_PGM_RSRC2:TIDIG_COMP_CNT: 0
	.section	.text._ZN7rocprim17ROCPRIM_400000_NS6detail17trampoline_kernelINS0_14default_configENS1_22reduce_config_selectorIN6thrust23THRUST_200600_302600_NS5tupleIblNS6_9null_typeES8_S8_S8_S8_S8_S8_S8_EEEEZNS1_11reduce_implILb1ES3_NS6_12zip_iteratorINS7_INS6_11hip_rocprim26transform_input_iterator_tIbNSD_35transform_pair_of_input_iterators_tIbNS6_6detail15normal_iteratorINS6_10device_ptrIKtEEEESL_NS6_8equal_toItEEEENSG_9not_fun_tINSD_8identityEEEEENSD_19counting_iterator_tIlEES8_S8_S8_S8_S8_S8_S8_S8_EEEEPS9_S9_NSD_9__find_if7functorIS9_EEEE10hipError_tPvRmT1_T2_T3_mT4_P12ihipStream_tbEUlT_E0_NS1_11comp_targetILNS1_3genE2ELNS1_11target_archE906ELNS1_3gpuE6ELNS1_3repE0EEENS1_30default_config_static_selectorELNS0_4arch9wavefront6targetE0EEEvS14_,"axG",@progbits,_ZN7rocprim17ROCPRIM_400000_NS6detail17trampoline_kernelINS0_14default_configENS1_22reduce_config_selectorIN6thrust23THRUST_200600_302600_NS5tupleIblNS6_9null_typeES8_S8_S8_S8_S8_S8_S8_EEEEZNS1_11reduce_implILb1ES3_NS6_12zip_iteratorINS7_INS6_11hip_rocprim26transform_input_iterator_tIbNSD_35transform_pair_of_input_iterators_tIbNS6_6detail15normal_iteratorINS6_10device_ptrIKtEEEESL_NS6_8equal_toItEEEENSG_9not_fun_tINSD_8identityEEEEENSD_19counting_iterator_tIlEES8_S8_S8_S8_S8_S8_S8_S8_EEEEPS9_S9_NSD_9__find_if7functorIS9_EEEE10hipError_tPvRmT1_T2_T3_mT4_P12ihipStream_tbEUlT_E0_NS1_11comp_targetILNS1_3genE2ELNS1_11target_archE906ELNS1_3gpuE6ELNS1_3repE0EEENS1_30default_config_static_selectorELNS0_4arch9wavefront6targetE0EEEvS14_,comdat
	.protected	_ZN7rocprim17ROCPRIM_400000_NS6detail17trampoline_kernelINS0_14default_configENS1_22reduce_config_selectorIN6thrust23THRUST_200600_302600_NS5tupleIblNS6_9null_typeES8_S8_S8_S8_S8_S8_S8_EEEEZNS1_11reduce_implILb1ES3_NS6_12zip_iteratorINS7_INS6_11hip_rocprim26transform_input_iterator_tIbNSD_35transform_pair_of_input_iterators_tIbNS6_6detail15normal_iteratorINS6_10device_ptrIKtEEEESL_NS6_8equal_toItEEEENSG_9not_fun_tINSD_8identityEEEEENSD_19counting_iterator_tIlEES8_S8_S8_S8_S8_S8_S8_S8_EEEEPS9_S9_NSD_9__find_if7functorIS9_EEEE10hipError_tPvRmT1_T2_T3_mT4_P12ihipStream_tbEUlT_E0_NS1_11comp_targetILNS1_3genE2ELNS1_11target_archE906ELNS1_3gpuE6ELNS1_3repE0EEENS1_30default_config_static_selectorELNS0_4arch9wavefront6targetE0EEEvS14_ ; -- Begin function _ZN7rocprim17ROCPRIM_400000_NS6detail17trampoline_kernelINS0_14default_configENS1_22reduce_config_selectorIN6thrust23THRUST_200600_302600_NS5tupleIblNS6_9null_typeES8_S8_S8_S8_S8_S8_S8_EEEEZNS1_11reduce_implILb1ES3_NS6_12zip_iteratorINS7_INS6_11hip_rocprim26transform_input_iterator_tIbNSD_35transform_pair_of_input_iterators_tIbNS6_6detail15normal_iteratorINS6_10device_ptrIKtEEEESL_NS6_8equal_toItEEEENSG_9not_fun_tINSD_8identityEEEEENSD_19counting_iterator_tIlEES8_S8_S8_S8_S8_S8_S8_S8_EEEEPS9_S9_NSD_9__find_if7functorIS9_EEEE10hipError_tPvRmT1_T2_T3_mT4_P12ihipStream_tbEUlT_E0_NS1_11comp_targetILNS1_3genE2ELNS1_11target_archE906ELNS1_3gpuE6ELNS1_3repE0EEENS1_30default_config_static_selectorELNS0_4arch9wavefront6targetE0EEEvS14_
	.globl	_ZN7rocprim17ROCPRIM_400000_NS6detail17trampoline_kernelINS0_14default_configENS1_22reduce_config_selectorIN6thrust23THRUST_200600_302600_NS5tupleIblNS6_9null_typeES8_S8_S8_S8_S8_S8_S8_EEEEZNS1_11reduce_implILb1ES3_NS6_12zip_iteratorINS7_INS6_11hip_rocprim26transform_input_iterator_tIbNSD_35transform_pair_of_input_iterators_tIbNS6_6detail15normal_iteratorINS6_10device_ptrIKtEEEESL_NS6_8equal_toItEEEENSG_9not_fun_tINSD_8identityEEEEENSD_19counting_iterator_tIlEES8_S8_S8_S8_S8_S8_S8_S8_EEEEPS9_S9_NSD_9__find_if7functorIS9_EEEE10hipError_tPvRmT1_T2_T3_mT4_P12ihipStream_tbEUlT_E0_NS1_11comp_targetILNS1_3genE2ELNS1_11target_archE906ELNS1_3gpuE6ELNS1_3repE0EEENS1_30default_config_static_selectorELNS0_4arch9wavefront6targetE0EEEvS14_
	.p2align	8
	.type	_ZN7rocprim17ROCPRIM_400000_NS6detail17trampoline_kernelINS0_14default_configENS1_22reduce_config_selectorIN6thrust23THRUST_200600_302600_NS5tupleIblNS6_9null_typeES8_S8_S8_S8_S8_S8_S8_EEEEZNS1_11reduce_implILb1ES3_NS6_12zip_iteratorINS7_INS6_11hip_rocprim26transform_input_iterator_tIbNSD_35transform_pair_of_input_iterators_tIbNS6_6detail15normal_iteratorINS6_10device_ptrIKtEEEESL_NS6_8equal_toItEEEENSG_9not_fun_tINSD_8identityEEEEENSD_19counting_iterator_tIlEES8_S8_S8_S8_S8_S8_S8_S8_EEEEPS9_S9_NSD_9__find_if7functorIS9_EEEE10hipError_tPvRmT1_T2_T3_mT4_P12ihipStream_tbEUlT_E0_NS1_11comp_targetILNS1_3genE2ELNS1_11target_archE906ELNS1_3gpuE6ELNS1_3repE0EEENS1_30default_config_static_selectorELNS0_4arch9wavefront6targetE0EEEvS14_,@function
_ZN7rocprim17ROCPRIM_400000_NS6detail17trampoline_kernelINS0_14default_configENS1_22reduce_config_selectorIN6thrust23THRUST_200600_302600_NS5tupleIblNS6_9null_typeES8_S8_S8_S8_S8_S8_S8_EEEEZNS1_11reduce_implILb1ES3_NS6_12zip_iteratorINS7_INS6_11hip_rocprim26transform_input_iterator_tIbNSD_35transform_pair_of_input_iterators_tIbNS6_6detail15normal_iteratorINS6_10device_ptrIKtEEEESL_NS6_8equal_toItEEEENSG_9not_fun_tINSD_8identityEEEEENSD_19counting_iterator_tIlEES8_S8_S8_S8_S8_S8_S8_S8_EEEEPS9_S9_NSD_9__find_if7functorIS9_EEEE10hipError_tPvRmT1_T2_T3_mT4_P12ihipStream_tbEUlT_E0_NS1_11comp_targetILNS1_3genE2ELNS1_11target_archE906ELNS1_3gpuE6ELNS1_3repE0EEENS1_30default_config_static_selectorELNS0_4arch9wavefront6targetE0EEEvS14_: ; @_ZN7rocprim17ROCPRIM_400000_NS6detail17trampoline_kernelINS0_14default_configENS1_22reduce_config_selectorIN6thrust23THRUST_200600_302600_NS5tupleIblNS6_9null_typeES8_S8_S8_S8_S8_S8_S8_EEEEZNS1_11reduce_implILb1ES3_NS6_12zip_iteratorINS7_INS6_11hip_rocprim26transform_input_iterator_tIbNSD_35transform_pair_of_input_iterators_tIbNS6_6detail15normal_iteratorINS6_10device_ptrIKtEEEESL_NS6_8equal_toItEEEENSG_9not_fun_tINSD_8identityEEEEENSD_19counting_iterator_tIlEES8_S8_S8_S8_S8_S8_S8_S8_EEEEPS9_S9_NSD_9__find_if7functorIS9_EEEE10hipError_tPvRmT1_T2_T3_mT4_P12ihipStream_tbEUlT_E0_NS1_11comp_targetILNS1_3genE2ELNS1_11target_archE906ELNS1_3gpuE6ELNS1_3repE0EEENS1_30default_config_static_selectorELNS0_4arch9wavefront6targetE0EEEvS14_
; %bb.0:
	.section	.rodata,"a",@progbits
	.p2align	6, 0x0
	.amdhsa_kernel _ZN7rocprim17ROCPRIM_400000_NS6detail17trampoline_kernelINS0_14default_configENS1_22reduce_config_selectorIN6thrust23THRUST_200600_302600_NS5tupleIblNS6_9null_typeES8_S8_S8_S8_S8_S8_S8_EEEEZNS1_11reduce_implILb1ES3_NS6_12zip_iteratorINS7_INS6_11hip_rocprim26transform_input_iterator_tIbNSD_35transform_pair_of_input_iterators_tIbNS6_6detail15normal_iteratorINS6_10device_ptrIKtEEEESL_NS6_8equal_toItEEEENSG_9not_fun_tINSD_8identityEEEEENSD_19counting_iterator_tIlEES8_S8_S8_S8_S8_S8_S8_S8_EEEEPS9_S9_NSD_9__find_if7functorIS9_EEEE10hipError_tPvRmT1_T2_T3_mT4_P12ihipStream_tbEUlT_E0_NS1_11comp_targetILNS1_3genE2ELNS1_11target_archE906ELNS1_3gpuE6ELNS1_3repE0EEENS1_30default_config_static_selectorELNS0_4arch9wavefront6targetE0EEEvS14_
		.amdhsa_group_segment_fixed_size 0
		.amdhsa_private_segment_fixed_size 0
		.amdhsa_kernarg_size 104
		.amdhsa_user_sgpr_count 6
		.amdhsa_user_sgpr_private_segment_buffer 1
		.amdhsa_user_sgpr_dispatch_ptr 0
		.amdhsa_user_sgpr_queue_ptr 0
		.amdhsa_user_sgpr_kernarg_segment_ptr 1
		.amdhsa_user_sgpr_dispatch_id 0
		.amdhsa_user_sgpr_flat_scratch_init 0
		.amdhsa_user_sgpr_private_segment_size 0
		.amdhsa_wavefront_size32 1
		.amdhsa_uses_dynamic_stack 0
		.amdhsa_system_sgpr_private_segment_wavefront_offset 0
		.amdhsa_system_sgpr_workgroup_id_x 1
		.amdhsa_system_sgpr_workgroup_id_y 0
		.amdhsa_system_sgpr_workgroup_id_z 0
		.amdhsa_system_sgpr_workgroup_info 0
		.amdhsa_system_vgpr_workitem_id 0
		.amdhsa_next_free_vgpr 1
		.amdhsa_next_free_sgpr 1
		.amdhsa_reserve_vcc 0
		.amdhsa_reserve_flat_scratch 0
		.amdhsa_float_round_mode_32 0
		.amdhsa_float_round_mode_16_64 0
		.amdhsa_float_denorm_mode_32 3
		.amdhsa_float_denorm_mode_16_64 3
		.amdhsa_dx10_clamp 1
		.amdhsa_ieee_mode 1
		.amdhsa_fp16_overflow 0
		.amdhsa_workgroup_processor_mode 1
		.amdhsa_memory_ordered 1
		.amdhsa_forward_progress 1
		.amdhsa_shared_vgpr_count 0
		.amdhsa_exception_fp_ieee_invalid_op 0
		.amdhsa_exception_fp_denorm_src 0
		.amdhsa_exception_fp_ieee_div_zero 0
		.amdhsa_exception_fp_ieee_overflow 0
		.amdhsa_exception_fp_ieee_underflow 0
		.amdhsa_exception_fp_ieee_inexact 0
		.amdhsa_exception_int_div_zero 0
	.end_amdhsa_kernel
	.section	.text._ZN7rocprim17ROCPRIM_400000_NS6detail17trampoline_kernelINS0_14default_configENS1_22reduce_config_selectorIN6thrust23THRUST_200600_302600_NS5tupleIblNS6_9null_typeES8_S8_S8_S8_S8_S8_S8_EEEEZNS1_11reduce_implILb1ES3_NS6_12zip_iteratorINS7_INS6_11hip_rocprim26transform_input_iterator_tIbNSD_35transform_pair_of_input_iterators_tIbNS6_6detail15normal_iteratorINS6_10device_ptrIKtEEEESL_NS6_8equal_toItEEEENSG_9not_fun_tINSD_8identityEEEEENSD_19counting_iterator_tIlEES8_S8_S8_S8_S8_S8_S8_S8_EEEEPS9_S9_NSD_9__find_if7functorIS9_EEEE10hipError_tPvRmT1_T2_T3_mT4_P12ihipStream_tbEUlT_E0_NS1_11comp_targetILNS1_3genE2ELNS1_11target_archE906ELNS1_3gpuE6ELNS1_3repE0EEENS1_30default_config_static_selectorELNS0_4arch9wavefront6targetE0EEEvS14_,"axG",@progbits,_ZN7rocprim17ROCPRIM_400000_NS6detail17trampoline_kernelINS0_14default_configENS1_22reduce_config_selectorIN6thrust23THRUST_200600_302600_NS5tupleIblNS6_9null_typeES8_S8_S8_S8_S8_S8_S8_EEEEZNS1_11reduce_implILb1ES3_NS6_12zip_iteratorINS7_INS6_11hip_rocprim26transform_input_iterator_tIbNSD_35transform_pair_of_input_iterators_tIbNS6_6detail15normal_iteratorINS6_10device_ptrIKtEEEESL_NS6_8equal_toItEEEENSG_9not_fun_tINSD_8identityEEEEENSD_19counting_iterator_tIlEES8_S8_S8_S8_S8_S8_S8_S8_EEEEPS9_S9_NSD_9__find_if7functorIS9_EEEE10hipError_tPvRmT1_T2_T3_mT4_P12ihipStream_tbEUlT_E0_NS1_11comp_targetILNS1_3genE2ELNS1_11target_archE906ELNS1_3gpuE6ELNS1_3repE0EEENS1_30default_config_static_selectorELNS0_4arch9wavefront6targetE0EEEvS14_,comdat
.Lfunc_end303:
	.size	_ZN7rocprim17ROCPRIM_400000_NS6detail17trampoline_kernelINS0_14default_configENS1_22reduce_config_selectorIN6thrust23THRUST_200600_302600_NS5tupleIblNS6_9null_typeES8_S8_S8_S8_S8_S8_S8_EEEEZNS1_11reduce_implILb1ES3_NS6_12zip_iteratorINS7_INS6_11hip_rocprim26transform_input_iterator_tIbNSD_35transform_pair_of_input_iterators_tIbNS6_6detail15normal_iteratorINS6_10device_ptrIKtEEEESL_NS6_8equal_toItEEEENSG_9not_fun_tINSD_8identityEEEEENSD_19counting_iterator_tIlEES8_S8_S8_S8_S8_S8_S8_S8_EEEEPS9_S9_NSD_9__find_if7functorIS9_EEEE10hipError_tPvRmT1_T2_T3_mT4_P12ihipStream_tbEUlT_E0_NS1_11comp_targetILNS1_3genE2ELNS1_11target_archE906ELNS1_3gpuE6ELNS1_3repE0EEENS1_30default_config_static_selectorELNS0_4arch9wavefront6targetE0EEEvS14_, .Lfunc_end303-_ZN7rocprim17ROCPRIM_400000_NS6detail17trampoline_kernelINS0_14default_configENS1_22reduce_config_selectorIN6thrust23THRUST_200600_302600_NS5tupleIblNS6_9null_typeES8_S8_S8_S8_S8_S8_S8_EEEEZNS1_11reduce_implILb1ES3_NS6_12zip_iteratorINS7_INS6_11hip_rocprim26transform_input_iterator_tIbNSD_35transform_pair_of_input_iterators_tIbNS6_6detail15normal_iteratorINS6_10device_ptrIKtEEEESL_NS6_8equal_toItEEEENSG_9not_fun_tINSD_8identityEEEEENSD_19counting_iterator_tIlEES8_S8_S8_S8_S8_S8_S8_S8_EEEEPS9_S9_NSD_9__find_if7functorIS9_EEEE10hipError_tPvRmT1_T2_T3_mT4_P12ihipStream_tbEUlT_E0_NS1_11comp_targetILNS1_3genE2ELNS1_11target_archE906ELNS1_3gpuE6ELNS1_3repE0EEENS1_30default_config_static_selectorELNS0_4arch9wavefront6targetE0EEEvS14_
                                        ; -- End function
	.set _ZN7rocprim17ROCPRIM_400000_NS6detail17trampoline_kernelINS0_14default_configENS1_22reduce_config_selectorIN6thrust23THRUST_200600_302600_NS5tupleIblNS6_9null_typeES8_S8_S8_S8_S8_S8_S8_EEEEZNS1_11reduce_implILb1ES3_NS6_12zip_iteratorINS7_INS6_11hip_rocprim26transform_input_iterator_tIbNSD_35transform_pair_of_input_iterators_tIbNS6_6detail15normal_iteratorINS6_10device_ptrIKtEEEESL_NS6_8equal_toItEEEENSG_9not_fun_tINSD_8identityEEEEENSD_19counting_iterator_tIlEES8_S8_S8_S8_S8_S8_S8_S8_EEEEPS9_S9_NSD_9__find_if7functorIS9_EEEE10hipError_tPvRmT1_T2_T3_mT4_P12ihipStream_tbEUlT_E0_NS1_11comp_targetILNS1_3genE2ELNS1_11target_archE906ELNS1_3gpuE6ELNS1_3repE0EEENS1_30default_config_static_selectorELNS0_4arch9wavefront6targetE0EEEvS14_.num_vgpr, 0
	.set _ZN7rocprim17ROCPRIM_400000_NS6detail17trampoline_kernelINS0_14default_configENS1_22reduce_config_selectorIN6thrust23THRUST_200600_302600_NS5tupleIblNS6_9null_typeES8_S8_S8_S8_S8_S8_S8_EEEEZNS1_11reduce_implILb1ES3_NS6_12zip_iteratorINS7_INS6_11hip_rocprim26transform_input_iterator_tIbNSD_35transform_pair_of_input_iterators_tIbNS6_6detail15normal_iteratorINS6_10device_ptrIKtEEEESL_NS6_8equal_toItEEEENSG_9not_fun_tINSD_8identityEEEEENSD_19counting_iterator_tIlEES8_S8_S8_S8_S8_S8_S8_S8_EEEEPS9_S9_NSD_9__find_if7functorIS9_EEEE10hipError_tPvRmT1_T2_T3_mT4_P12ihipStream_tbEUlT_E0_NS1_11comp_targetILNS1_3genE2ELNS1_11target_archE906ELNS1_3gpuE6ELNS1_3repE0EEENS1_30default_config_static_selectorELNS0_4arch9wavefront6targetE0EEEvS14_.num_agpr, 0
	.set _ZN7rocprim17ROCPRIM_400000_NS6detail17trampoline_kernelINS0_14default_configENS1_22reduce_config_selectorIN6thrust23THRUST_200600_302600_NS5tupleIblNS6_9null_typeES8_S8_S8_S8_S8_S8_S8_EEEEZNS1_11reduce_implILb1ES3_NS6_12zip_iteratorINS7_INS6_11hip_rocprim26transform_input_iterator_tIbNSD_35transform_pair_of_input_iterators_tIbNS6_6detail15normal_iteratorINS6_10device_ptrIKtEEEESL_NS6_8equal_toItEEEENSG_9not_fun_tINSD_8identityEEEEENSD_19counting_iterator_tIlEES8_S8_S8_S8_S8_S8_S8_S8_EEEEPS9_S9_NSD_9__find_if7functorIS9_EEEE10hipError_tPvRmT1_T2_T3_mT4_P12ihipStream_tbEUlT_E0_NS1_11comp_targetILNS1_3genE2ELNS1_11target_archE906ELNS1_3gpuE6ELNS1_3repE0EEENS1_30default_config_static_selectorELNS0_4arch9wavefront6targetE0EEEvS14_.numbered_sgpr, 0
	.set _ZN7rocprim17ROCPRIM_400000_NS6detail17trampoline_kernelINS0_14default_configENS1_22reduce_config_selectorIN6thrust23THRUST_200600_302600_NS5tupleIblNS6_9null_typeES8_S8_S8_S8_S8_S8_S8_EEEEZNS1_11reduce_implILb1ES3_NS6_12zip_iteratorINS7_INS6_11hip_rocprim26transform_input_iterator_tIbNSD_35transform_pair_of_input_iterators_tIbNS6_6detail15normal_iteratorINS6_10device_ptrIKtEEEESL_NS6_8equal_toItEEEENSG_9not_fun_tINSD_8identityEEEEENSD_19counting_iterator_tIlEES8_S8_S8_S8_S8_S8_S8_S8_EEEEPS9_S9_NSD_9__find_if7functorIS9_EEEE10hipError_tPvRmT1_T2_T3_mT4_P12ihipStream_tbEUlT_E0_NS1_11comp_targetILNS1_3genE2ELNS1_11target_archE906ELNS1_3gpuE6ELNS1_3repE0EEENS1_30default_config_static_selectorELNS0_4arch9wavefront6targetE0EEEvS14_.num_named_barrier, 0
	.set _ZN7rocprim17ROCPRIM_400000_NS6detail17trampoline_kernelINS0_14default_configENS1_22reduce_config_selectorIN6thrust23THRUST_200600_302600_NS5tupleIblNS6_9null_typeES8_S8_S8_S8_S8_S8_S8_EEEEZNS1_11reduce_implILb1ES3_NS6_12zip_iteratorINS7_INS6_11hip_rocprim26transform_input_iterator_tIbNSD_35transform_pair_of_input_iterators_tIbNS6_6detail15normal_iteratorINS6_10device_ptrIKtEEEESL_NS6_8equal_toItEEEENSG_9not_fun_tINSD_8identityEEEEENSD_19counting_iterator_tIlEES8_S8_S8_S8_S8_S8_S8_S8_EEEEPS9_S9_NSD_9__find_if7functorIS9_EEEE10hipError_tPvRmT1_T2_T3_mT4_P12ihipStream_tbEUlT_E0_NS1_11comp_targetILNS1_3genE2ELNS1_11target_archE906ELNS1_3gpuE6ELNS1_3repE0EEENS1_30default_config_static_selectorELNS0_4arch9wavefront6targetE0EEEvS14_.private_seg_size, 0
	.set _ZN7rocprim17ROCPRIM_400000_NS6detail17trampoline_kernelINS0_14default_configENS1_22reduce_config_selectorIN6thrust23THRUST_200600_302600_NS5tupleIblNS6_9null_typeES8_S8_S8_S8_S8_S8_S8_EEEEZNS1_11reduce_implILb1ES3_NS6_12zip_iteratorINS7_INS6_11hip_rocprim26transform_input_iterator_tIbNSD_35transform_pair_of_input_iterators_tIbNS6_6detail15normal_iteratorINS6_10device_ptrIKtEEEESL_NS6_8equal_toItEEEENSG_9not_fun_tINSD_8identityEEEEENSD_19counting_iterator_tIlEES8_S8_S8_S8_S8_S8_S8_S8_EEEEPS9_S9_NSD_9__find_if7functorIS9_EEEE10hipError_tPvRmT1_T2_T3_mT4_P12ihipStream_tbEUlT_E0_NS1_11comp_targetILNS1_3genE2ELNS1_11target_archE906ELNS1_3gpuE6ELNS1_3repE0EEENS1_30default_config_static_selectorELNS0_4arch9wavefront6targetE0EEEvS14_.uses_vcc, 0
	.set _ZN7rocprim17ROCPRIM_400000_NS6detail17trampoline_kernelINS0_14default_configENS1_22reduce_config_selectorIN6thrust23THRUST_200600_302600_NS5tupleIblNS6_9null_typeES8_S8_S8_S8_S8_S8_S8_EEEEZNS1_11reduce_implILb1ES3_NS6_12zip_iteratorINS7_INS6_11hip_rocprim26transform_input_iterator_tIbNSD_35transform_pair_of_input_iterators_tIbNS6_6detail15normal_iteratorINS6_10device_ptrIKtEEEESL_NS6_8equal_toItEEEENSG_9not_fun_tINSD_8identityEEEEENSD_19counting_iterator_tIlEES8_S8_S8_S8_S8_S8_S8_S8_EEEEPS9_S9_NSD_9__find_if7functorIS9_EEEE10hipError_tPvRmT1_T2_T3_mT4_P12ihipStream_tbEUlT_E0_NS1_11comp_targetILNS1_3genE2ELNS1_11target_archE906ELNS1_3gpuE6ELNS1_3repE0EEENS1_30default_config_static_selectorELNS0_4arch9wavefront6targetE0EEEvS14_.uses_flat_scratch, 0
	.set _ZN7rocprim17ROCPRIM_400000_NS6detail17trampoline_kernelINS0_14default_configENS1_22reduce_config_selectorIN6thrust23THRUST_200600_302600_NS5tupleIblNS6_9null_typeES8_S8_S8_S8_S8_S8_S8_EEEEZNS1_11reduce_implILb1ES3_NS6_12zip_iteratorINS7_INS6_11hip_rocprim26transform_input_iterator_tIbNSD_35transform_pair_of_input_iterators_tIbNS6_6detail15normal_iteratorINS6_10device_ptrIKtEEEESL_NS6_8equal_toItEEEENSG_9not_fun_tINSD_8identityEEEEENSD_19counting_iterator_tIlEES8_S8_S8_S8_S8_S8_S8_S8_EEEEPS9_S9_NSD_9__find_if7functorIS9_EEEE10hipError_tPvRmT1_T2_T3_mT4_P12ihipStream_tbEUlT_E0_NS1_11comp_targetILNS1_3genE2ELNS1_11target_archE906ELNS1_3gpuE6ELNS1_3repE0EEENS1_30default_config_static_selectorELNS0_4arch9wavefront6targetE0EEEvS14_.has_dyn_sized_stack, 0
	.set _ZN7rocprim17ROCPRIM_400000_NS6detail17trampoline_kernelINS0_14default_configENS1_22reduce_config_selectorIN6thrust23THRUST_200600_302600_NS5tupleIblNS6_9null_typeES8_S8_S8_S8_S8_S8_S8_EEEEZNS1_11reduce_implILb1ES3_NS6_12zip_iteratorINS7_INS6_11hip_rocprim26transform_input_iterator_tIbNSD_35transform_pair_of_input_iterators_tIbNS6_6detail15normal_iteratorINS6_10device_ptrIKtEEEESL_NS6_8equal_toItEEEENSG_9not_fun_tINSD_8identityEEEEENSD_19counting_iterator_tIlEES8_S8_S8_S8_S8_S8_S8_S8_EEEEPS9_S9_NSD_9__find_if7functorIS9_EEEE10hipError_tPvRmT1_T2_T3_mT4_P12ihipStream_tbEUlT_E0_NS1_11comp_targetILNS1_3genE2ELNS1_11target_archE906ELNS1_3gpuE6ELNS1_3repE0EEENS1_30default_config_static_selectorELNS0_4arch9wavefront6targetE0EEEvS14_.has_recursion, 0
	.set _ZN7rocprim17ROCPRIM_400000_NS6detail17trampoline_kernelINS0_14default_configENS1_22reduce_config_selectorIN6thrust23THRUST_200600_302600_NS5tupleIblNS6_9null_typeES8_S8_S8_S8_S8_S8_S8_EEEEZNS1_11reduce_implILb1ES3_NS6_12zip_iteratorINS7_INS6_11hip_rocprim26transform_input_iterator_tIbNSD_35transform_pair_of_input_iterators_tIbNS6_6detail15normal_iteratorINS6_10device_ptrIKtEEEESL_NS6_8equal_toItEEEENSG_9not_fun_tINSD_8identityEEEEENSD_19counting_iterator_tIlEES8_S8_S8_S8_S8_S8_S8_S8_EEEEPS9_S9_NSD_9__find_if7functorIS9_EEEE10hipError_tPvRmT1_T2_T3_mT4_P12ihipStream_tbEUlT_E0_NS1_11comp_targetILNS1_3genE2ELNS1_11target_archE906ELNS1_3gpuE6ELNS1_3repE0EEENS1_30default_config_static_selectorELNS0_4arch9wavefront6targetE0EEEvS14_.has_indirect_call, 0
	.section	.AMDGPU.csdata,"",@progbits
; Kernel info:
; codeLenInByte = 0
; TotalNumSgprs: 0
; NumVgprs: 0
; ScratchSize: 0
; MemoryBound: 0
; FloatMode: 240
; IeeeMode: 1
; LDSByteSize: 0 bytes/workgroup (compile time only)
; SGPRBlocks: 0
; VGPRBlocks: 0
; NumSGPRsForWavesPerEU: 1
; NumVGPRsForWavesPerEU: 1
; Occupancy: 16
; WaveLimiterHint : 0
; COMPUTE_PGM_RSRC2:SCRATCH_EN: 0
; COMPUTE_PGM_RSRC2:USER_SGPR: 6
; COMPUTE_PGM_RSRC2:TRAP_HANDLER: 0
; COMPUTE_PGM_RSRC2:TGID_X_EN: 1
; COMPUTE_PGM_RSRC2:TGID_Y_EN: 0
; COMPUTE_PGM_RSRC2:TGID_Z_EN: 0
; COMPUTE_PGM_RSRC2:TIDIG_COMP_CNT: 0
	.section	.text._ZN7rocprim17ROCPRIM_400000_NS6detail17trampoline_kernelINS0_14default_configENS1_22reduce_config_selectorIN6thrust23THRUST_200600_302600_NS5tupleIblNS6_9null_typeES8_S8_S8_S8_S8_S8_S8_EEEEZNS1_11reduce_implILb1ES3_NS6_12zip_iteratorINS7_INS6_11hip_rocprim26transform_input_iterator_tIbNSD_35transform_pair_of_input_iterators_tIbNS6_6detail15normal_iteratorINS6_10device_ptrIKtEEEESL_NS6_8equal_toItEEEENSG_9not_fun_tINSD_8identityEEEEENSD_19counting_iterator_tIlEES8_S8_S8_S8_S8_S8_S8_S8_EEEEPS9_S9_NSD_9__find_if7functorIS9_EEEE10hipError_tPvRmT1_T2_T3_mT4_P12ihipStream_tbEUlT_E0_NS1_11comp_targetILNS1_3genE10ELNS1_11target_archE1201ELNS1_3gpuE5ELNS1_3repE0EEENS1_30default_config_static_selectorELNS0_4arch9wavefront6targetE0EEEvS14_,"axG",@progbits,_ZN7rocprim17ROCPRIM_400000_NS6detail17trampoline_kernelINS0_14default_configENS1_22reduce_config_selectorIN6thrust23THRUST_200600_302600_NS5tupleIblNS6_9null_typeES8_S8_S8_S8_S8_S8_S8_EEEEZNS1_11reduce_implILb1ES3_NS6_12zip_iteratorINS7_INS6_11hip_rocprim26transform_input_iterator_tIbNSD_35transform_pair_of_input_iterators_tIbNS6_6detail15normal_iteratorINS6_10device_ptrIKtEEEESL_NS6_8equal_toItEEEENSG_9not_fun_tINSD_8identityEEEEENSD_19counting_iterator_tIlEES8_S8_S8_S8_S8_S8_S8_S8_EEEEPS9_S9_NSD_9__find_if7functorIS9_EEEE10hipError_tPvRmT1_T2_T3_mT4_P12ihipStream_tbEUlT_E0_NS1_11comp_targetILNS1_3genE10ELNS1_11target_archE1201ELNS1_3gpuE5ELNS1_3repE0EEENS1_30default_config_static_selectorELNS0_4arch9wavefront6targetE0EEEvS14_,comdat
	.protected	_ZN7rocprim17ROCPRIM_400000_NS6detail17trampoline_kernelINS0_14default_configENS1_22reduce_config_selectorIN6thrust23THRUST_200600_302600_NS5tupleIblNS6_9null_typeES8_S8_S8_S8_S8_S8_S8_EEEEZNS1_11reduce_implILb1ES3_NS6_12zip_iteratorINS7_INS6_11hip_rocprim26transform_input_iterator_tIbNSD_35transform_pair_of_input_iterators_tIbNS6_6detail15normal_iteratorINS6_10device_ptrIKtEEEESL_NS6_8equal_toItEEEENSG_9not_fun_tINSD_8identityEEEEENSD_19counting_iterator_tIlEES8_S8_S8_S8_S8_S8_S8_S8_EEEEPS9_S9_NSD_9__find_if7functorIS9_EEEE10hipError_tPvRmT1_T2_T3_mT4_P12ihipStream_tbEUlT_E0_NS1_11comp_targetILNS1_3genE10ELNS1_11target_archE1201ELNS1_3gpuE5ELNS1_3repE0EEENS1_30default_config_static_selectorELNS0_4arch9wavefront6targetE0EEEvS14_ ; -- Begin function _ZN7rocprim17ROCPRIM_400000_NS6detail17trampoline_kernelINS0_14default_configENS1_22reduce_config_selectorIN6thrust23THRUST_200600_302600_NS5tupleIblNS6_9null_typeES8_S8_S8_S8_S8_S8_S8_EEEEZNS1_11reduce_implILb1ES3_NS6_12zip_iteratorINS7_INS6_11hip_rocprim26transform_input_iterator_tIbNSD_35transform_pair_of_input_iterators_tIbNS6_6detail15normal_iteratorINS6_10device_ptrIKtEEEESL_NS6_8equal_toItEEEENSG_9not_fun_tINSD_8identityEEEEENSD_19counting_iterator_tIlEES8_S8_S8_S8_S8_S8_S8_S8_EEEEPS9_S9_NSD_9__find_if7functorIS9_EEEE10hipError_tPvRmT1_T2_T3_mT4_P12ihipStream_tbEUlT_E0_NS1_11comp_targetILNS1_3genE10ELNS1_11target_archE1201ELNS1_3gpuE5ELNS1_3repE0EEENS1_30default_config_static_selectorELNS0_4arch9wavefront6targetE0EEEvS14_
	.globl	_ZN7rocprim17ROCPRIM_400000_NS6detail17trampoline_kernelINS0_14default_configENS1_22reduce_config_selectorIN6thrust23THRUST_200600_302600_NS5tupleIblNS6_9null_typeES8_S8_S8_S8_S8_S8_S8_EEEEZNS1_11reduce_implILb1ES3_NS6_12zip_iteratorINS7_INS6_11hip_rocprim26transform_input_iterator_tIbNSD_35transform_pair_of_input_iterators_tIbNS6_6detail15normal_iteratorINS6_10device_ptrIKtEEEESL_NS6_8equal_toItEEEENSG_9not_fun_tINSD_8identityEEEEENSD_19counting_iterator_tIlEES8_S8_S8_S8_S8_S8_S8_S8_EEEEPS9_S9_NSD_9__find_if7functorIS9_EEEE10hipError_tPvRmT1_T2_T3_mT4_P12ihipStream_tbEUlT_E0_NS1_11comp_targetILNS1_3genE10ELNS1_11target_archE1201ELNS1_3gpuE5ELNS1_3repE0EEENS1_30default_config_static_selectorELNS0_4arch9wavefront6targetE0EEEvS14_
	.p2align	8
	.type	_ZN7rocprim17ROCPRIM_400000_NS6detail17trampoline_kernelINS0_14default_configENS1_22reduce_config_selectorIN6thrust23THRUST_200600_302600_NS5tupleIblNS6_9null_typeES8_S8_S8_S8_S8_S8_S8_EEEEZNS1_11reduce_implILb1ES3_NS6_12zip_iteratorINS7_INS6_11hip_rocprim26transform_input_iterator_tIbNSD_35transform_pair_of_input_iterators_tIbNS6_6detail15normal_iteratorINS6_10device_ptrIKtEEEESL_NS6_8equal_toItEEEENSG_9not_fun_tINSD_8identityEEEEENSD_19counting_iterator_tIlEES8_S8_S8_S8_S8_S8_S8_S8_EEEEPS9_S9_NSD_9__find_if7functorIS9_EEEE10hipError_tPvRmT1_T2_T3_mT4_P12ihipStream_tbEUlT_E0_NS1_11comp_targetILNS1_3genE10ELNS1_11target_archE1201ELNS1_3gpuE5ELNS1_3repE0EEENS1_30default_config_static_selectorELNS0_4arch9wavefront6targetE0EEEvS14_,@function
_ZN7rocprim17ROCPRIM_400000_NS6detail17trampoline_kernelINS0_14default_configENS1_22reduce_config_selectorIN6thrust23THRUST_200600_302600_NS5tupleIblNS6_9null_typeES8_S8_S8_S8_S8_S8_S8_EEEEZNS1_11reduce_implILb1ES3_NS6_12zip_iteratorINS7_INS6_11hip_rocprim26transform_input_iterator_tIbNSD_35transform_pair_of_input_iterators_tIbNS6_6detail15normal_iteratorINS6_10device_ptrIKtEEEESL_NS6_8equal_toItEEEENSG_9not_fun_tINSD_8identityEEEEENSD_19counting_iterator_tIlEES8_S8_S8_S8_S8_S8_S8_S8_EEEEPS9_S9_NSD_9__find_if7functorIS9_EEEE10hipError_tPvRmT1_T2_T3_mT4_P12ihipStream_tbEUlT_E0_NS1_11comp_targetILNS1_3genE10ELNS1_11target_archE1201ELNS1_3gpuE5ELNS1_3repE0EEENS1_30default_config_static_selectorELNS0_4arch9wavefront6targetE0EEEvS14_: ; @_ZN7rocprim17ROCPRIM_400000_NS6detail17trampoline_kernelINS0_14default_configENS1_22reduce_config_selectorIN6thrust23THRUST_200600_302600_NS5tupleIblNS6_9null_typeES8_S8_S8_S8_S8_S8_S8_EEEEZNS1_11reduce_implILb1ES3_NS6_12zip_iteratorINS7_INS6_11hip_rocprim26transform_input_iterator_tIbNSD_35transform_pair_of_input_iterators_tIbNS6_6detail15normal_iteratorINS6_10device_ptrIKtEEEESL_NS6_8equal_toItEEEENSG_9not_fun_tINSD_8identityEEEEENSD_19counting_iterator_tIlEES8_S8_S8_S8_S8_S8_S8_S8_EEEEPS9_S9_NSD_9__find_if7functorIS9_EEEE10hipError_tPvRmT1_T2_T3_mT4_P12ihipStream_tbEUlT_E0_NS1_11comp_targetILNS1_3genE10ELNS1_11target_archE1201ELNS1_3gpuE5ELNS1_3repE0EEENS1_30default_config_static_selectorELNS0_4arch9wavefront6targetE0EEEvS14_
; %bb.0:
	.section	.rodata,"a",@progbits
	.p2align	6, 0x0
	.amdhsa_kernel _ZN7rocprim17ROCPRIM_400000_NS6detail17trampoline_kernelINS0_14default_configENS1_22reduce_config_selectorIN6thrust23THRUST_200600_302600_NS5tupleIblNS6_9null_typeES8_S8_S8_S8_S8_S8_S8_EEEEZNS1_11reduce_implILb1ES3_NS6_12zip_iteratorINS7_INS6_11hip_rocprim26transform_input_iterator_tIbNSD_35transform_pair_of_input_iterators_tIbNS6_6detail15normal_iteratorINS6_10device_ptrIKtEEEESL_NS6_8equal_toItEEEENSG_9not_fun_tINSD_8identityEEEEENSD_19counting_iterator_tIlEES8_S8_S8_S8_S8_S8_S8_S8_EEEEPS9_S9_NSD_9__find_if7functorIS9_EEEE10hipError_tPvRmT1_T2_T3_mT4_P12ihipStream_tbEUlT_E0_NS1_11comp_targetILNS1_3genE10ELNS1_11target_archE1201ELNS1_3gpuE5ELNS1_3repE0EEENS1_30default_config_static_selectorELNS0_4arch9wavefront6targetE0EEEvS14_
		.amdhsa_group_segment_fixed_size 0
		.amdhsa_private_segment_fixed_size 0
		.amdhsa_kernarg_size 104
		.amdhsa_user_sgpr_count 6
		.amdhsa_user_sgpr_private_segment_buffer 1
		.amdhsa_user_sgpr_dispatch_ptr 0
		.amdhsa_user_sgpr_queue_ptr 0
		.amdhsa_user_sgpr_kernarg_segment_ptr 1
		.amdhsa_user_sgpr_dispatch_id 0
		.amdhsa_user_sgpr_flat_scratch_init 0
		.amdhsa_user_sgpr_private_segment_size 0
		.amdhsa_wavefront_size32 1
		.amdhsa_uses_dynamic_stack 0
		.amdhsa_system_sgpr_private_segment_wavefront_offset 0
		.amdhsa_system_sgpr_workgroup_id_x 1
		.amdhsa_system_sgpr_workgroup_id_y 0
		.amdhsa_system_sgpr_workgroup_id_z 0
		.amdhsa_system_sgpr_workgroup_info 0
		.amdhsa_system_vgpr_workitem_id 0
		.amdhsa_next_free_vgpr 1
		.amdhsa_next_free_sgpr 1
		.amdhsa_reserve_vcc 0
		.amdhsa_reserve_flat_scratch 0
		.amdhsa_float_round_mode_32 0
		.amdhsa_float_round_mode_16_64 0
		.amdhsa_float_denorm_mode_32 3
		.amdhsa_float_denorm_mode_16_64 3
		.amdhsa_dx10_clamp 1
		.amdhsa_ieee_mode 1
		.amdhsa_fp16_overflow 0
		.amdhsa_workgroup_processor_mode 1
		.amdhsa_memory_ordered 1
		.amdhsa_forward_progress 1
		.amdhsa_shared_vgpr_count 0
		.amdhsa_exception_fp_ieee_invalid_op 0
		.amdhsa_exception_fp_denorm_src 0
		.amdhsa_exception_fp_ieee_div_zero 0
		.amdhsa_exception_fp_ieee_overflow 0
		.amdhsa_exception_fp_ieee_underflow 0
		.amdhsa_exception_fp_ieee_inexact 0
		.amdhsa_exception_int_div_zero 0
	.end_amdhsa_kernel
	.section	.text._ZN7rocprim17ROCPRIM_400000_NS6detail17trampoline_kernelINS0_14default_configENS1_22reduce_config_selectorIN6thrust23THRUST_200600_302600_NS5tupleIblNS6_9null_typeES8_S8_S8_S8_S8_S8_S8_EEEEZNS1_11reduce_implILb1ES3_NS6_12zip_iteratorINS7_INS6_11hip_rocprim26transform_input_iterator_tIbNSD_35transform_pair_of_input_iterators_tIbNS6_6detail15normal_iteratorINS6_10device_ptrIKtEEEESL_NS6_8equal_toItEEEENSG_9not_fun_tINSD_8identityEEEEENSD_19counting_iterator_tIlEES8_S8_S8_S8_S8_S8_S8_S8_EEEEPS9_S9_NSD_9__find_if7functorIS9_EEEE10hipError_tPvRmT1_T2_T3_mT4_P12ihipStream_tbEUlT_E0_NS1_11comp_targetILNS1_3genE10ELNS1_11target_archE1201ELNS1_3gpuE5ELNS1_3repE0EEENS1_30default_config_static_selectorELNS0_4arch9wavefront6targetE0EEEvS14_,"axG",@progbits,_ZN7rocprim17ROCPRIM_400000_NS6detail17trampoline_kernelINS0_14default_configENS1_22reduce_config_selectorIN6thrust23THRUST_200600_302600_NS5tupleIblNS6_9null_typeES8_S8_S8_S8_S8_S8_S8_EEEEZNS1_11reduce_implILb1ES3_NS6_12zip_iteratorINS7_INS6_11hip_rocprim26transform_input_iterator_tIbNSD_35transform_pair_of_input_iterators_tIbNS6_6detail15normal_iteratorINS6_10device_ptrIKtEEEESL_NS6_8equal_toItEEEENSG_9not_fun_tINSD_8identityEEEEENSD_19counting_iterator_tIlEES8_S8_S8_S8_S8_S8_S8_S8_EEEEPS9_S9_NSD_9__find_if7functorIS9_EEEE10hipError_tPvRmT1_T2_T3_mT4_P12ihipStream_tbEUlT_E0_NS1_11comp_targetILNS1_3genE10ELNS1_11target_archE1201ELNS1_3gpuE5ELNS1_3repE0EEENS1_30default_config_static_selectorELNS0_4arch9wavefront6targetE0EEEvS14_,comdat
.Lfunc_end304:
	.size	_ZN7rocprim17ROCPRIM_400000_NS6detail17trampoline_kernelINS0_14default_configENS1_22reduce_config_selectorIN6thrust23THRUST_200600_302600_NS5tupleIblNS6_9null_typeES8_S8_S8_S8_S8_S8_S8_EEEEZNS1_11reduce_implILb1ES3_NS6_12zip_iteratorINS7_INS6_11hip_rocprim26transform_input_iterator_tIbNSD_35transform_pair_of_input_iterators_tIbNS6_6detail15normal_iteratorINS6_10device_ptrIKtEEEESL_NS6_8equal_toItEEEENSG_9not_fun_tINSD_8identityEEEEENSD_19counting_iterator_tIlEES8_S8_S8_S8_S8_S8_S8_S8_EEEEPS9_S9_NSD_9__find_if7functorIS9_EEEE10hipError_tPvRmT1_T2_T3_mT4_P12ihipStream_tbEUlT_E0_NS1_11comp_targetILNS1_3genE10ELNS1_11target_archE1201ELNS1_3gpuE5ELNS1_3repE0EEENS1_30default_config_static_selectorELNS0_4arch9wavefront6targetE0EEEvS14_, .Lfunc_end304-_ZN7rocprim17ROCPRIM_400000_NS6detail17trampoline_kernelINS0_14default_configENS1_22reduce_config_selectorIN6thrust23THRUST_200600_302600_NS5tupleIblNS6_9null_typeES8_S8_S8_S8_S8_S8_S8_EEEEZNS1_11reduce_implILb1ES3_NS6_12zip_iteratorINS7_INS6_11hip_rocprim26transform_input_iterator_tIbNSD_35transform_pair_of_input_iterators_tIbNS6_6detail15normal_iteratorINS6_10device_ptrIKtEEEESL_NS6_8equal_toItEEEENSG_9not_fun_tINSD_8identityEEEEENSD_19counting_iterator_tIlEES8_S8_S8_S8_S8_S8_S8_S8_EEEEPS9_S9_NSD_9__find_if7functorIS9_EEEE10hipError_tPvRmT1_T2_T3_mT4_P12ihipStream_tbEUlT_E0_NS1_11comp_targetILNS1_3genE10ELNS1_11target_archE1201ELNS1_3gpuE5ELNS1_3repE0EEENS1_30default_config_static_selectorELNS0_4arch9wavefront6targetE0EEEvS14_
                                        ; -- End function
	.set _ZN7rocprim17ROCPRIM_400000_NS6detail17trampoline_kernelINS0_14default_configENS1_22reduce_config_selectorIN6thrust23THRUST_200600_302600_NS5tupleIblNS6_9null_typeES8_S8_S8_S8_S8_S8_S8_EEEEZNS1_11reduce_implILb1ES3_NS6_12zip_iteratorINS7_INS6_11hip_rocprim26transform_input_iterator_tIbNSD_35transform_pair_of_input_iterators_tIbNS6_6detail15normal_iteratorINS6_10device_ptrIKtEEEESL_NS6_8equal_toItEEEENSG_9not_fun_tINSD_8identityEEEEENSD_19counting_iterator_tIlEES8_S8_S8_S8_S8_S8_S8_S8_EEEEPS9_S9_NSD_9__find_if7functorIS9_EEEE10hipError_tPvRmT1_T2_T3_mT4_P12ihipStream_tbEUlT_E0_NS1_11comp_targetILNS1_3genE10ELNS1_11target_archE1201ELNS1_3gpuE5ELNS1_3repE0EEENS1_30default_config_static_selectorELNS0_4arch9wavefront6targetE0EEEvS14_.num_vgpr, 0
	.set _ZN7rocprim17ROCPRIM_400000_NS6detail17trampoline_kernelINS0_14default_configENS1_22reduce_config_selectorIN6thrust23THRUST_200600_302600_NS5tupleIblNS6_9null_typeES8_S8_S8_S8_S8_S8_S8_EEEEZNS1_11reduce_implILb1ES3_NS6_12zip_iteratorINS7_INS6_11hip_rocprim26transform_input_iterator_tIbNSD_35transform_pair_of_input_iterators_tIbNS6_6detail15normal_iteratorINS6_10device_ptrIKtEEEESL_NS6_8equal_toItEEEENSG_9not_fun_tINSD_8identityEEEEENSD_19counting_iterator_tIlEES8_S8_S8_S8_S8_S8_S8_S8_EEEEPS9_S9_NSD_9__find_if7functorIS9_EEEE10hipError_tPvRmT1_T2_T3_mT4_P12ihipStream_tbEUlT_E0_NS1_11comp_targetILNS1_3genE10ELNS1_11target_archE1201ELNS1_3gpuE5ELNS1_3repE0EEENS1_30default_config_static_selectorELNS0_4arch9wavefront6targetE0EEEvS14_.num_agpr, 0
	.set _ZN7rocprim17ROCPRIM_400000_NS6detail17trampoline_kernelINS0_14default_configENS1_22reduce_config_selectorIN6thrust23THRUST_200600_302600_NS5tupleIblNS6_9null_typeES8_S8_S8_S8_S8_S8_S8_EEEEZNS1_11reduce_implILb1ES3_NS6_12zip_iteratorINS7_INS6_11hip_rocprim26transform_input_iterator_tIbNSD_35transform_pair_of_input_iterators_tIbNS6_6detail15normal_iteratorINS6_10device_ptrIKtEEEESL_NS6_8equal_toItEEEENSG_9not_fun_tINSD_8identityEEEEENSD_19counting_iterator_tIlEES8_S8_S8_S8_S8_S8_S8_S8_EEEEPS9_S9_NSD_9__find_if7functorIS9_EEEE10hipError_tPvRmT1_T2_T3_mT4_P12ihipStream_tbEUlT_E0_NS1_11comp_targetILNS1_3genE10ELNS1_11target_archE1201ELNS1_3gpuE5ELNS1_3repE0EEENS1_30default_config_static_selectorELNS0_4arch9wavefront6targetE0EEEvS14_.numbered_sgpr, 0
	.set _ZN7rocprim17ROCPRIM_400000_NS6detail17trampoline_kernelINS0_14default_configENS1_22reduce_config_selectorIN6thrust23THRUST_200600_302600_NS5tupleIblNS6_9null_typeES8_S8_S8_S8_S8_S8_S8_EEEEZNS1_11reduce_implILb1ES3_NS6_12zip_iteratorINS7_INS6_11hip_rocprim26transform_input_iterator_tIbNSD_35transform_pair_of_input_iterators_tIbNS6_6detail15normal_iteratorINS6_10device_ptrIKtEEEESL_NS6_8equal_toItEEEENSG_9not_fun_tINSD_8identityEEEEENSD_19counting_iterator_tIlEES8_S8_S8_S8_S8_S8_S8_S8_EEEEPS9_S9_NSD_9__find_if7functorIS9_EEEE10hipError_tPvRmT1_T2_T3_mT4_P12ihipStream_tbEUlT_E0_NS1_11comp_targetILNS1_3genE10ELNS1_11target_archE1201ELNS1_3gpuE5ELNS1_3repE0EEENS1_30default_config_static_selectorELNS0_4arch9wavefront6targetE0EEEvS14_.num_named_barrier, 0
	.set _ZN7rocprim17ROCPRIM_400000_NS6detail17trampoline_kernelINS0_14default_configENS1_22reduce_config_selectorIN6thrust23THRUST_200600_302600_NS5tupleIblNS6_9null_typeES8_S8_S8_S8_S8_S8_S8_EEEEZNS1_11reduce_implILb1ES3_NS6_12zip_iteratorINS7_INS6_11hip_rocprim26transform_input_iterator_tIbNSD_35transform_pair_of_input_iterators_tIbNS6_6detail15normal_iteratorINS6_10device_ptrIKtEEEESL_NS6_8equal_toItEEEENSG_9not_fun_tINSD_8identityEEEEENSD_19counting_iterator_tIlEES8_S8_S8_S8_S8_S8_S8_S8_EEEEPS9_S9_NSD_9__find_if7functorIS9_EEEE10hipError_tPvRmT1_T2_T3_mT4_P12ihipStream_tbEUlT_E0_NS1_11comp_targetILNS1_3genE10ELNS1_11target_archE1201ELNS1_3gpuE5ELNS1_3repE0EEENS1_30default_config_static_selectorELNS0_4arch9wavefront6targetE0EEEvS14_.private_seg_size, 0
	.set _ZN7rocprim17ROCPRIM_400000_NS6detail17trampoline_kernelINS0_14default_configENS1_22reduce_config_selectorIN6thrust23THRUST_200600_302600_NS5tupleIblNS6_9null_typeES8_S8_S8_S8_S8_S8_S8_EEEEZNS1_11reduce_implILb1ES3_NS6_12zip_iteratorINS7_INS6_11hip_rocprim26transform_input_iterator_tIbNSD_35transform_pair_of_input_iterators_tIbNS6_6detail15normal_iteratorINS6_10device_ptrIKtEEEESL_NS6_8equal_toItEEEENSG_9not_fun_tINSD_8identityEEEEENSD_19counting_iterator_tIlEES8_S8_S8_S8_S8_S8_S8_S8_EEEEPS9_S9_NSD_9__find_if7functorIS9_EEEE10hipError_tPvRmT1_T2_T3_mT4_P12ihipStream_tbEUlT_E0_NS1_11comp_targetILNS1_3genE10ELNS1_11target_archE1201ELNS1_3gpuE5ELNS1_3repE0EEENS1_30default_config_static_selectorELNS0_4arch9wavefront6targetE0EEEvS14_.uses_vcc, 0
	.set _ZN7rocprim17ROCPRIM_400000_NS6detail17trampoline_kernelINS0_14default_configENS1_22reduce_config_selectorIN6thrust23THRUST_200600_302600_NS5tupleIblNS6_9null_typeES8_S8_S8_S8_S8_S8_S8_EEEEZNS1_11reduce_implILb1ES3_NS6_12zip_iteratorINS7_INS6_11hip_rocprim26transform_input_iterator_tIbNSD_35transform_pair_of_input_iterators_tIbNS6_6detail15normal_iteratorINS6_10device_ptrIKtEEEESL_NS6_8equal_toItEEEENSG_9not_fun_tINSD_8identityEEEEENSD_19counting_iterator_tIlEES8_S8_S8_S8_S8_S8_S8_S8_EEEEPS9_S9_NSD_9__find_if7functorIS9_EEEE10hipError_tPvRmT1_T2_T3_mT4_P12ihipStream_tbEUlT_E0_NS1_11comp_targetILNS1_3genE10ELNS1_11target_archE1201ELNS1_3gpuE5ELNS1_3repE0EEENS1_30default_config_static_selectorELNS0_4arch9wavefront6targetE0EEEvS14_.uses_flat_scratch, 0
	.set _ZN7rocprim17ROCPRIM_400000_NS6detail17trampoline_kernelINS0_14default_configENS1_22reduce_config_selectorIN6thrust23THRUST_200600_302600_NS5tupleIblNS6_9null_typeES8_S8_S8_S8_S8_S8_S8_EEEEZNS1_11reduce_implILb1ES3_NS6_12zip_iteratorINS7_INS6_11hip_rocprim26transform_input_iterator_tIbNSD_35transform_pair_of_input_iterators_tIbNS6_6detail15normal_iteratorINS6_10device_ptrIKtEEEESL_NS6_8equal_toItEEEENSG_9not_fun_tINSD_8identityEEEEENSD_19counting_iterator_tIlEES8_S8_S8_S8_S8_S8_S8_S8_EEEEPS9_S9_NSD_9__find_if7functorIS9_EEEE10hipError_tPvRmT1_T2_T3_mT4_P12ihipStream_tbEUlT_E0_NS1_11comp_targetILNS1_3genE10ELNS1_11target_archE1201ELNS1_3gpuE5ELNS1_3repE0EEENS1_30default_config_static_selectorELNS0_4arch9wavefront6targetE0EEEvS14_.has_dyn_sized_stack, 0
	.set _ZN7rocprim17ROCPRIM_400000_NS6detail17trampoline_kernelINS0_14default_configENS1_22reduce_config_selectorIN6thrust23THRUST_200600_302600_NS5tupleIblNS6_9null_typeES8_S8_S8_S8_S8_S8_S8_EEEEZNS1_11reduce_implILb1ES3_NS6_12zip_iteratorINS7_INS6_11hip_rocprim26transform_input_iterator_tIbNSD_35transform_pair_of_input_iterators_tIbNS6_6detail15normal_iteratorINS6_10device_ptrIKtEEEESL_NS6_8equal_toItEEEENSG_9not_fun_tINSD_8identityEEEEENSD_19counting_iterator_tIlEES8_S8_S8_S8_S8_S8_S8_S8_EEEEPS9_S9_NSD_9__find_if7functorIS9_EEEE10hipError_tPvRmT1_T2_T3_mT4_P12ihipStream_tbEUlT_E0_NS1_11comp_targetILNS1_3genE10ELNS1_11target_archE1201ELNS1_3gpuE5ELNS1_3repE0EEENS1_30default_config_static_selectorELNS0_4arch9wavefront6targetE0EEEvS14_.has_recursion, 0
	.set _ZN7rocprim17ROCPRIM_400000_NS6detail17trampoline_kernelINS0_14default_configENS1_22reduce_config_selectorIN6thrust23THRUST_200600_302600_NS5tupleIblNS6_9null_typeES8_S8_S8_S8_S8_S8_S8_EEEEZNS1_11reduce_implILb1ES3_NS6_12zip_iteratorINS7_INS6_11hip_rocprim26transform_input_iterator_tIbNSD_35transform_pair_of_input_iterators_tIbNS6_6detail15normal_iteratorINS6_10device_ptrIKtEEEESL_NS6_8equal_toItEEEENSG_9not_fun_tINSD_8identityEEEEENSD_19counting_iterator_tIlEES8_S8_S8_S8_S8_S8_S8_S8_EEEEPS9_S9_NSD_9__find_if7functorIS9_EEEE10hipError_tPvRmT1_T2_T3_mT4_P12ihipStream_tbEUlT_E0_NS1_11comp_targetILNS1_3genE10ELNS1_11target_archE1201ELNS1_3gpuE5ELNS1_3repE0EEENS1_30default_config_static_selectorELNS0_4arch9wavefront6targetE0EEEvS14_.has_indirect_call, 0
	.section	.AMDGPU.csdata,"",@progbits
; Kernel info:
; codeLenInByte = 0
; TotalNumSgprs: 0
; NumVgprs: 0
; ScratchSize: 0
; MemoryBound: 0
; FloatMode: 240
; IeeeMode: 1
; LDSByteSize: 0 bytes/workgroup (compile time only)
; SGPRBlocks: 0
; VGPRBlocks: 0
; NumSGPRsForWavesPerEU: 1
; NumVGPRsForWavesPerEU: 1
; Occupancy: 16
; WaveLimiterHint : 0
; COMPUTE_PGM_RSRC2:SCRATCH_EN: 0
; COMPUTE_PGM_RSRC2:USER_SGPR: 6
; COMPUTE_PGM_RSRC2:TRAP_HANDLER: 0
; COMPUTE_PGM_RSRC2:TGID_X_EN: 1
; COMPUTE_PGM_RSRC2:TGID_Y_EN: 0
; COMPUTE_PGM_RSRC2:TGID_Z_EN: 0
; COMPUTE_PGM_RSRC2:TIDIG_COMP_CNT: 0
	.section	.text._ZN7rocprim17ROCPRIM_400000_NS6detail17trampoline_kernelINS0_14default_configENS1_22reduce_config_selectorIN6thrust23THRUST_200600_302600_NS5tupleIblNS6_9null_typeES8_S8_S8_S8_S8_S8_S8_EEEEZNS1_11reduce_implILb1ES3_NS6_12zip_iteratorINS7_INS6_11hip_rocprim26transform_input_iterator_tIbNSD_35transform_pair_of_input_iterators_tIbNS6_6detail15normal_iteratorINS6_10device_ptrIKtEEEESL_NS6_8equal_toItEEEENSG_9not_fun_tINSD_8identityEEEEENSD_19counting_iterator_tIlEES8_S8_S8_S8_S8_S8_S8_S8_EEEEPS9_S9_NSD_9__find_if7functorIS9_EEEE10hipError_tPvRmT1_T2_T3_mT4_P12ihipStream_tbEUlT_E0_NS1_11comp_targetILNS1_3genE10ELNS1_11target_archE1200ELNS1_3gpuE4ELNS1_3repE0EEENS1_30default_config_static_selectorELNS0_4arch9wavefront6targetE0EEEvS14_,"axG",@progbits,_ZN7rocprim17ROCPRIM_400000_NS6detail17trampoline_kernelINS0_14default_configENS1_22reduce_config_selectorIN6thrust23THRUST_200600_302600_NS5tupleIblNS6_9null_typeES8_S8_S8_S8_S8_S8_S8_EEEEZNS1_11reduce_implILb1ES3_NS6_12zip_iteratorINS7_INS6_11hip_rocprim26transform_input_iterator_tIbNSD_35transform_pair_of_input_iterators_tIbNS6_6detail15normal_iteratorINS6_10device_ptrIKtEEEESL_NS6_8equal_toItEEEENSG_9not_fun_tINSD_8identityEEEEENSD_19counting_iterator_tIlEES8_S8_S8_S8_S8_S8_S8_S8_EEEEPS9_S9_NSD_9__find_if7functorIS9_EEEE10hipError_tPvRmT1_T2_T3_mT4_P12ihipStream_tbEUlT_E0_NS1_11comp_targetILNS1_3genE10ELNS1_11target_archE1200ELNS1_3gpuE4ELNS1_3repE0EEENS1_30default_config_static_selectorELNS0_4arch9wavefront6targetE0EEEvS14_,comdat
	.protected	_ZN7rocprim17ROCPRIM_400000_NS6detail17trampoline_kernelINS0_14default_configENS1_22reduce_config_selectorIN6thrust23THRUST_200600_302600_NS5tupleIblNS6_9null_typeES8_S8_S8_S8_S8_S8_S8_EEEEZNS1_11reduce_implILb1ES3_NS6_12zip_iteratorINS7_INS6_11hip_rocprim26transform_input_iterator_tIbNSD_35transform_pair_of_input_iterators_tIbNS6_6detail15normal_iteratorINS6_10device_ptrIKtEEEESL_NS6_8equal_toItEEEENSG_9not_fun_tINSD_8identityEEEEENSD_19counting_iterator_tIlEES8_S8_S8_S8_S8_S8_S8_S8_EEEEPS9_S9_NSD_9__find_if7functorIS9_EEEE10hipError_tPvRmT1_T2_T3_mT4_P12ihipStream_tbEUlT_E0_NS1_11comp_targetILNS1_3genE10ELNS1_11target_archE1200ELNS1_3gpuE4ELNS1_3repE0EEENS1_30default_config_static_selectorELNS0_4arch9wavefront6targetE0EEEvS14_ ; -- Begin function _ZN7rocprim17ROCPRIM_400000_NS6detail17trampoline_kernelINS0_14default_configENS1_22reduce_config_selectorIN6thrust23THRUST_200600_302600_NS5tupleIblNS6_9null_typeES8_S8_S8_S8_S8_S8_S8_EEEEZNS1_11reduce_implILb1ES3_NS6_12zip_iteratorINS7_INS6_11hip_rocprim26transform_input_iterator_tIbNSD_35transform_pair_of_input_iterators_tIbNS6_6detail15normal_iteratorINS6_10device_ptrIKtEEEESL_NS6_8equal_toItEEEENSG_9not_fun_tINSD_8identityEEEEENSD_19counting_iterator_tIlEES8_S8_S8_S8_S8_S8_S8_S8_EEEEPS9_S9_NSD_9__find_if7functorIS9_EEEE10hipError_tPvRmT1_T2_T3_mT4_P12ihipStream_tbEUlT_E0_NS1_11comp_targetILNS1_3genE10ELNS1_11target_archE1200ELNS1_3gpuE4ELNS1_3repE0EEENS1_30default_config_static_selectorELNS0_4arch9wavefront6targetE0EEEvS14_
	.globl	_ZN7rocprim17ROCPRIM_400000_NS6detail17trampoline_kernelINS0_14default_configENS1_22reduce_config_selectorIN6thrust23THRUST_200600_302600_NS5tupleIblNS6_9null_typeES8_S8_S8_S8_S8_S8_S8_EEEEZNS1_11reduce_implILb1ES3_NS6_12zip_iteratorINS7_INS6_11hip_rocprim26transform_input_iterator_tIbNSD_35transform_pair_of_input_iterators_tIbNS6_6detail15normal_iteratorINS6_10device_ptrIKtEEEESL_NS6_8equal_toItEEEENSG_9not_fun_tINSD_8identityEEEEENSD_19counting_iterator_tIlEES8_S8_S8_S8_S8_S8_S8_S8_EEEEPS9_S9_NSD_9__find_if7functorIS9_EEEE10hipError_tPvRmT1_T2_T3_mT4_P12ihipStream_tbEUlT_E0_NS1_11comp_targetILNS1_3genE10ELNS1_11target_archE1200ELNS1_3gpuE4ELNS1_3repE0EEENS1_30default_config_static_selectorELNS0_4arch9wavefront6targetE0EEEvS14_
	.p2align	8
	.type	_ZN7rocprim17ROCPRIM_400000_NS6detail17trampoline_kernelINS0_14default_configENS1_22reduce_config_selectorIN6thrust23THRUST_200600_302600_NS5tupleIblNS6_9null_typeES8_S8_S8_S8_S8_S8_S8_EEEEZNS1_11reduce_implILb1ES3_NS6_12zip_iteratorINS7_INS6_11hip_rocprim26transform_input_iterator_tIbNSD_35transform_pair_of_input_iterators_tIbNS6_6detail15normal_iteratorINS6_10device_ptrIKtEEEESL_NS6_8equal_toItEEEENSG_9not_fun_tINSD_8identityEEEEENSD_19counting_iterator_tIlEES8_S8_S8_S8_S8_S8_S8_S8_EEEEPS9_S9_NSD_9__find_if7functorIS9_EEEE10hipError_tPvRmT1_T2_T3_mT4_P12ihipStream_tbEUlT_E0_NS1_11comp_targetILNS1_3genE10ELNS1_11target_archE1200ELNS1_3gpuE4ELNS1_3repE0EEENS1_30default_config_static_selectorELNS0_4arch9wavefront6targetE0EEEvS14_,@function
_ZN7rocprim17ROCPRIM_400000_NS6detail17trampoline_kernelINS0_14default_configENS1_22reduce_config_selectorIN6thrust23THRUST_200600_302600_NS5tupleIblNS6_9null_typeES8_S8_S8_S8_S8_S8_S8_EEEEZNS1_11reduce_implILb1ES3_NS6_12zip_iteratorINS7_INS6_11hip_rocprim26transform_input_iterator_tIbNSD_35transform_pair_of_input_iterators_tIbNS6_6detail15normal_iteratorINS6_10device_ptrIKtEEEESL_NS6_8equal_toItEEEENSG_9not_fun_tINSD_8identityEEEEENSD_19counting_iterator_tIlEES8_S8_S8_S8_S8_S8_S8_S8_EEEEPS9_S9_NSD_9__find_if7functorIS9_EEEE10hipError_tPvRmT1_T2_T3_mT4_P12ihipStream_tbEUlT_E0_NS1_11comp_targetILNS1_3genE10ELNS1_11target_archE1200ELNS1_3gpuE4ELNS1_3repE0EEENS1_30default_config_static_selectorELNS0_4arch9wavefront6targetE0EEEvS14_: ; @_ZN7rocprim17ROCPRIM_400000_NS6detail17trampoline_kernelINS0_14default_configENS1_22reduce_config_selectorIN6thrust23THRUST_200600_302600_NS5tupleIblNS6_9null_typeES8_S8_S8_S8_S8_S8_S8_EEEEZNS1_11reduce_implILb1ES3_NS6_12zip_iteratorINS7_INS6_11hip_rocprim26transform_input_iterator_tIbNSD_35transform_pair_of_input_iterators_tIbNS6_6detail15normal_iteratorINS6_10device_ptrIKtEEEESL_NS6_8equal_toItEEEENSG_9not_fun_tINSD_8identityEEEEENSD_19counting_iterator_tIlEES8_S8_S8_S8_S8_S8_S8_S8_EEEEPS9_S9_NSD_9__find_if7functorIS9_EEEE10hipError_tPvRmT1_T2_T3_mT4_P12ihipStream_tbEUlT_E0_NS1_11comp_targetILNS1_3genE10ELNS1_11target_archE1200ELNS1_3gpuE4ELNS1_3repE0EEENS1_30default_config_static_selectorELNS0_4arch9wavefront6targetE0EEEvS14_
; %bb.0:
	.section	.rodata,"a",@progbits
	.p2align	6, 0x0
	.amdhsa_kernel _ZN7rocprim17ROCPRIM_400000_NS6detail17trampoline_kernelINS0_14default_configENS1_22reduce_config_selectorIN6thrust23THRUST_200600_302600_NS5tupleIblNS6_9null_typeES8_S8_S8_S8_S8_S8_S8_EEEEZNS1_11reduce_implILb1ES3_NS6_12zip_iteratorINS7_INS6_11hip_rocprim26transform_input_iterator_tIbNSD_35transform_pair_of_input_iterators_tIbNS6_6detail15normal_iteratorINS6_10device_ptrIKtEEEESL_NS6_8equal_toItEEEENSG_9not_fun_tINSD_8identityEEEEENSD_19counting_iterator_tIlEES8_S8_S8_S8_S8_S8_S8_S8_EEEEPS9_S9_NSD_9__find_if7functorIS9_EEEE10hipError_tPvRmT1_T2_T3_mT4_P12ihipStream_tbEUlT_E0_NS1_11comp_targetILNS1_3genE10ELNS1_11target_archE1200ELNS1_3gpuE4ELNS1_3repE0EEENS1_30default_config_static_selectorELNS0_4arch9wavefront6targetE0EEEvS14_
		.amdhsa_group_segment_fixed_size 0
		.amdhsa_private_segment_fixed_size 0
		.amdhsa_kernarg_size 104
		.amdhsa_user_sgpr_count 6
		.amdhsa_user_sgpr_private_segment_buffer 1
		.amdhsa_user_sgpr_dispatch_ptr 0
		.amdhsa_user_sgpr_queue_ptr 0
		.amdhsa_user_sgpr_kernarg_segment_ptr 1
		.amdhsa_user_sgpr_dispatch_id 0
		.amdhsa_user_sgpr_flat_scratch_init 0
		.amdhsa_user_sgpr_private_segment_size 0
		.amdhsa_wavefront_size32 1
		.amdhsa_uses_dynamic_stack 0
		.amdhsa_system_sgpr_private_segment_wavefront_offset 0
		.amdhsa_system_sgpr_workgroup_id_x 1
		.amdhsa_system_sgpr_workgroup_id_y 0
		.amdhsa_system_sgpr_workgroup_id_z 0
		.amdhsa_system_sgpr_workgroup_info 0
		.amdhsa_system_vgpr_workitem_id 0
		.amdhsa_next_free_vgpr 1
		.amdhsa_next_free_sgpr 1
		.amdhsa_reserve_vcc 0
		.amdhsa_reserve_flat_scratch 0
		.amdhsa_float_round_mode_32 0
		.amdhsa_float_round_mode_16_64 0
		.amdhsa_float_denorm_mode_32 3
		.amdhsa_float_denorm_mode_16_64 3
		.amdhsa_dx10_clamp 1
		.amdhsa_ieee_mode 1
		.amdhsa_fp16_overflow 0
		.amdhsa_workgroup_processor_mode 1
		.amdhsa_memory_ordered 1
		.amdhsa_forward_progress 1
		.amdhsa_shared_vgpr_count 0
		.amdhsa_exception_fp_ieee_invalid_op 0
		.amdhsa_exception_fp_denorm_src 0
		.amdhsa_exception_fp_ieee_div_zero 0
		.amdhsa_exception_fp_ieee_overflow 0
		.amdhsa_exception_fp_ieee_underflow 0
		.amdhsa_exception_fp_ieee_inexact 0
		.amdhsa_exception_int_div_zero 0
	.end_amdhsa_kernel
	.section	.text._ZN7rocprim17ROCPRIM_400000_NS6detail17trampoline_kernelINS0_14default_configENS1_22reduce_config_selectorIN6thrust23THRUST_200600_302600_NS5tupleIblNS6_9null_typeES8_S8_S8_S8_S8_S8_S8_EEEEZNS1_11reduce_implILb1ES3_NS6_12zip_iteratorINS7_INS6_11hip_rocprim26transform_input_iterator_tIbNSD_35transform_pair_of_input_iterators_tIbNS6_6detail15normal_iteratorINS6_10device_ptrIKtEEEESL_NS6_8equal_toItEEEENSG_9not_fun_tINSD_8identityEEEEENSD_19counting_iterator_tIlEES8_S8_S8_S8_S8_S8_S8_S8_EEEEPS9_S9_NSD_9__find_if7functorIS9_EEEE10hipError_tPvRmT1_T2_T3_mT4_P12ihipStream_tbEUlT_E0_NS1_11comp_targetILNS1_3genE10ELNS1_11target_archE1200ELNS1_3gpuE4ELNS1_3repE0EEENS1_30default_config_static_selectorELNS0_4arch9wavefront6targetE0EEEvS14_,"axG",@progbits,_ZN7rocprim17ROCPRIM_400000_NS6detail17trampoline_kernelINS0_14default_configENS1_22reduce_config_selectorIN6thrust23THRUST_200600_302600_NS5tupleIblNS6_9null_typeES8_S8_S8_S8_S8_S8_S8_EEEEZNS1_11reduce_implILb1ES3_NS6_12zip_iteratorINS7_INS6_11hip_rocprim26transform_input_iterator_tIbNSD_35transform_pair_of_input_iterators_tIbNS6_6detail15normal_iteratorINS6_10device_ptrIKtEEEESL_NS6_8equal_toItEEEENSG_9not_fun_tINSD_8identityEEEEENSD_19counting_iterator_tIlEES8_S8_S8_S8_S8_S8_S8_S8_EEEEPS9_S9_NSD_9__find_if7functorIS9_EEEE10hipError_tPvRmT1_T2_T3_mT4_P12ihipStream_tbEUlT_E0_NS1_11comp_targetILNS1_3genE10ELNS1_11target_archE1200ELNS1_3gpuE4ELNS1_3repE0EEENS1_30default_config_static_selectorELNS0_4arch9wavefront6targetE0EEEvS14_,comdat
.Lfunc_end305:
	.size	_ZN7rocprim17ROCPRIM_400000_NS6detail17trampoline_kernelINS0_14default_configENS1_22reduce_config_selectorIN6thrust23THRUST_200600_302600_NS5tupleIblNS6_9null_typeES8_S8_S8_S8_S8_S8_S8_EEEEZNS1_11reduce_implILb1ES3_NS6_12zip_iteratorINS7_INS6_11hip_rocprim26transform_input_iterator_tIbNSD_35transform_pair_of_input_iterators_tIbNS6_6detail15normal_iteratorINS6_10device_ptrIKtEEEESL_NS6_8equal_toItEEEENSG_9not_fun_tINSD_8identityEEEEENSD_19counting_iterator_tIlEES8_S8_S8_S8_S8_S8_S8_S8_EEEEPS9_S9_NSD_9__find_if7functorIS9_EEEE10hipError_tPvRmT1_T2_T3_mT4_P12ihipStream_tbEUlT_E0_NS1_11comp_targetILNS1_3genE10ELNS1_11target_archE1200ELNS1_3gpuE4ELNS1_3repE0EEENS1_30default_config_static_selectorELNS0_4arch9wavefront6targetE0EEEvS14_, .Lfunc_end305-_ZN7rocprim17ROCPRIM_400000_NS6detail17trampoline_kernelINS0_14default_configENS1_22reduce_config_selectorIN6thrust23THRUST_200600_302600_NS5tupleIblNS6_9null_typeES8_S8_S8_S8_S8_S8_S8_EEEEZNS1_11reduce_implILb1ES3_NS6_12zip_iteratorINS7_INS6_11hip_rocprim26transform_input_iterator_tIbNSD_35transform_pair_of_input_iterators_tIbNS6_6detail15normal_iteratorINS6_10device_ptrIKtEEEESL_NS6_8equal_toItEEEENSG_9not_fun_tINSD_8identityEEEEENSD_19counting_iterator_tIlEES8_S8_S8_S8_S8_S8_S8_S8_EEEEPS9_S9_NSD_9__find_if7functorIS9_EEEE10hipError_tPvRmT1_T2_T3_mT4_P12ihipStream_tbEUlT_E0_NS1_11comp_targetILNS1_3genE10ELNS1_11target_archE1200ELNS1_3gpuE4ELNS1_3repE0EEENS1_30default_config_static_selectorELNS0_4arch9wavefront6targetE0EEEvS14_
                                        ; -- End function
	.set _ZN7rocprim17ROCPRIM_400000_NS6detail17trampoline_kernelINS0_14default_configENS1_22reduce_config_selectorIN6thrust23THRUST_200600_302600_NS5tupleIblNS6_9null_typeES8_S8_S8_S8_S8_S8_S8_EEEEZNS1_11reduce_implILb1ES3_NS6_12zip_iteratorINS7_INS6_11hip_rocprim26transform_input_iterator_tIbNSD_35transform_pair_of_input_iterators_tIbNS6_6detail15normal_iteratorINS6_10device_ptrIKtEEEESL_NS6_8equal_toItEEEENSG_9not_fun_tINSD_8identityEEEEENSD_19counting_iterator_tIlEES8_S8_S8_S8_S8_S8_S8_S8_EEEEPS9_S9_NSD_9__find_if7functorIS9_EEEE10hipError_tPvRmT1_T2_T3_mT4_P12ihipStream_tbEUlT_E0_NS1_11comp_targetILNS1_3genE10ELNS1_11target_archE1200ELNS1_3gpuE4ELNS1_3repE0EEENS1_30default_config_static_selectorELNS0_4arch9wavefront6targetE0EEEvS14_.num_vgpr, 0
	.set _ZN7rocprim17ROCPRIM_400000_NS6detail17trampoline_kernelINS0_14default_configENS1_22reduce_config_selectorIN6thrust23THRUST_200600_302600_NS5tupleIblNS6_9null_typeES8_S8_S8_S8_S8_S8_S8_EEEEZNS1_11reduce_implILb1ES3_NS6_12zip_iteratorINS7_INS6_11hip_rocprim26transform_input_iterator_tIbNSD_35transform_pair_of_input_iterators_tIbNS6_6detail15normal_iteratorINS6_10device_ptrIKtEEEESL_NS6_8equal_toItEEEENSG_9not_fun_tINSD_8identityEEEEENSD_19counting_iterator_tIlEES8_S8_S8_S8_S8_S8_S8_S8_EEEEPS9_S9_NSD_9__find_if7functorIS9_EEEE10hipError_tPvRmT1_T2_T3_mT4_P12ihipStream_tbEUlT_E0_NS1_11comp_targetILNS1_3genE10ELNS1_11target_archE1200ELNS1_3gpuE4ELNS1_3repE0EEENS1_30default_config_static_selectorELNS0_4arch9wavefront6targetE0EEEvS14_.num_agpr, 0
	.set _ZN7rocprim17ROCPRIM_400000_NS6detail17trampoline_kernelINS0_14default_configENS1_22reduce_config_selectorIN6thrust23THRUST_200600_302600_NS5tupleIblNS6_9null_typeES8_S8_S8_S8_S8_S8_S8_EEEEZNS1_11reduce_implILb1ES3_NS6_12zip_iteratorINS7_INS6_11hip_rocprim26transform_input_iterator_tIbNSD_35transform_pair_of_input_iterators_tIbNS6_6detail15normal_iteratorINS6_10device_ptrIKtEEEESL_NS6_8equal_toItEEEENSG_9not_fun_tINSD_8identityEEEEENSD_19counting_iterator_tIlEES8_S8_S8_S8_S8_S8_S8_S8_EEEEPS9_S9_NSD_9__find_if7functorIS9_EEEE10hipError_tPvRmT1_T2_T3_mT4_P12ihipStream_tbEUlT_E0_NS1_11comp_targetILNS1_3genE10ELNS1_11target_archE1200ELNS1_3gpuE4ELNS1_3repE0EEENS1_30default_config_static_selectorELNS0_4arch9wavefront6targetE0EEEvS14_.numbered_sgpr, 0
	.set _ZN7rocprim17ROCPRIM_400000_NS6detail17trampoline_kernelINS0_14default_configENS1_22reduce_config_selectorIN6thrust23THRUST_200600_302600_NS5tupleIblNS6_9null_typeES8_S8_S8_S8_S8_S8_S8_EEEEZNS1_11reduce_implILb1ES3_NS6_12zip_iteratorINS7_INS6_11hip_rocprim26transform_input_iterator_tIbNSD_35transform_pair_of_input_iterators_tIbNS6_6detail15normal_iteratorINS6_10device_ptrIKtEEEESL_NS6_8equal_toItEEEENSG_9not_fun_tINSD_8identityEEEEENSD_19counting_iterator_tIlEES8_S8_S8_S8_S8_S8_S8_S8_EEEEPS9_S9_NSD_9__find_if7functorIS9_EEEE10hipError_tPvRmT1_T2_T3_mT4_P12ihipStream_tbEUlT_E0_NS1_11comp_targetILNS1_3genE10ELNS1_11target_archE1200ELNS1_3gpuE4ELNS1_3repE0EEENS1_30default_config_static_selectorELNS0_4arch9wavefront6targetE0EEEvS14_.num_named_barrier, 0
	.set _ZN7rocprim17ROCPRIM_400000_NS6detail17trampoline_kernelINS0_14default_configENS1_22reduce_config_selectorIN6thrust23THRUST_200600_302600_NS5tupleIblNS6_9null_typeES8_S8_S8_S8_S8_S8_S8_EEEEZNS1_11reduce_implILb1ES3_NS6_12zip_iteratorINS7_INS6_11hip_rocprim26transform_input_iterator_tIbNSD_35transform_pair_of_input_iterators_tIbNS6_6detail15normal_iteratorINS6_10device_ptrIKtEEEESL_NS6_8equal_toItEEEENSG_9not_fun_tINSD_8identityEEEEENSD_19counting_iterator_tIlEES8_S8_S8_S8_S8_S8_S8_S8_EEEEPS9_S9_NSD_9__find_if7functorIS9_EEEE10hipError_tPvRmT1_T2_T3_mT4_P12ihipStream_tbEUlT_E0_NS1_11comp_targetILNS1_3genE10ELNS1_11target_archE1200ELNS1_3gpuE4ELNS1_3repE0EEENS1_30default_config_static_selectorELNS0_4arch9wavefront6targetE0EEEvS14_.private_seg_size, 0
	.set _ZN7rocprim17ROCPRIM_400000_NS6detail17trampoline_kernelINS0_14default_configENS1_22reduce_config_selectorIN6thrust23THRUST_200600_302600_NS5tupleIblNS6_9null_typeES8_S8_S8_S8_S8_S8_S8_EEEEZNS1_11reduce_implILb1ES3_NS6_12zip_iteratorINS7_INS6_11hip_rocprim26transform_input_iterator_tIbNSD_35transform_pair_of_input_iterators_tIbNS6_6detail15normal_iteratorINS6_10device_ptrIKtEEEESL_NS6_8equal_toItEEEENSG_9not_fun_tINSD_8identityEEEEENSD_19counting_iterator_tIlEES8_S8_S8_S8_S8_S8_S8_S8_EEEEPS9_S9_NSD_9__find_if7functorIS9_EEEE10hipError_tPvRmT1_T2_T3_mT4_P12ihipStream_tbEUlT_E0_NS1_11comp_targetILNS1_3genE10ELNS1_11target_archE1200ELNS1_3gpuE4ELNS1_3repE0EEENS1_30default_config_static_selectorELNS0_4arch9wavefront6targetE0EEEvS14_.uses_vcc, 0
	.set _ZN7rocprim17ROCPRIM_400000_NS6detail17trampoline_kernelINS0_14default_configENS1_22reduce_config_selectorIN6thrust23THRUST_200600_302600_NS5tupleIblNS6_9null_typeES8_S8_S8_S8_S8_S8_S8_EEEEZNS1_11reduce_implILb1ES3_NS6_12zip_iteratorINS7_INS6_11hip_rocprim26transform_input_iterator_tIbNSD_35transform_pair_of_input_iterators_tIbNS6_6detail15normal_iteratorINS6_10device_ptrIKtEEEESL_NS6_8equal_toItEEEENSG_9not_fun_tINSD_8identityEEEEENSD_19counting_iterator_tIlEES8_S8_S8_S8_S8_S8_S8_S8_EEEEPS9_S9_NSD_9__find_if7functorIS9_EEEE10hipError_tPvRmT1_T2_T3_mT4_P12ihipStream_tbEUlT_E0_NS1_11comp_targetILNS1_3genE10ELNS1_11target_archE1200ELNS1_3gpuE4ELNS1_3repE0EEENS1_30default_config_static_selectorELNS0_4arch9wavefront6targetE0EEEvS14_.uses_flat_scratch, 0
	.set _ZN7rocprim17ROCPRIM_400000_NS6detail17trampoline_kernelINS0_14default_configENS1_22reduce_config_selectorIN6thrust23THRUST_200600_302600_NS5tupleIblNS6_9null_typeES8_S8_S8_S8_S8_S8_S8_EEEEZNS1_11reduce_implILb1ES3_NS6_12zip_iteratorINS7_INS6_11hip_rocprim26transform_input_iterator_tIbNSD_35transform_pair_of_input_iterators_tIbNS6_6detail15normal_iteratorINS6_10device_ptrIKtEEEESL_NS6_8equal_toItEEEENSG_9not_fun_tINSD_8identityEEEEENSD_19counting_iterator_tIlEES8_S8_S8_S8_S8_S8_S8_S8_EEEEPS9_S9_NSD_9__find_if7functorIS9_EEEE10hipError_tPvRmT1_T2_T3_mT4_P12ihipStream_tbEUlT_E0_NS1_11comp_targetILNS1_3genE10ELNS1_11target_archE1200ELNS1_3gpuE4ELNS1_3repE0EEENS1_30default_config_static_selectorELNS0_4arch9wavefront6targetE0EEEvS14_.has_dyn_sized_stack, 0
	.set _ZN7rocprim17ROCPRIM_400000_NS6detail17trampoline_kernelINS0_14default_configENS1_22reduce_config_selectorIN6thrust23THRUST_200600_302600_NS5tupleIblNS6_9null_typeES8_S8_S8_S8_S8_S8_S8_EEEEZNS1_11reduce_implILb1ES3_NS6_12zip_iteratorINS7_INS6_11hip_rocprim26transform_input_iterator_tIbNSD_35transform_pair_of_input_iterators_tIbNS6_6detail15normal_iteratorINS6_10device_ptrIKtEEEESL_NS6_8equal_toItEEEENSG_9not_fun_tINSD_8identityEEEEENSD_19counting_iterator_tIlEES8_S8_S8_S8_S8_S8_S8_S8_EEEEPS9_S9_NSD_9__find_if7functorIS9_EEEE10hipError_tPvRmT1_T2_T3_mT4_P12ihipStream_tbEUlT_E0_NS1_11comp_targetILNS1_3genE10ELNS1_11target_archE1200ELNS1_3gpuE4ELNS1_3repE0EEENS1_30default_config_static_selectorELNS0_4arch9wavefront6targetE0EEEvS14_.has_recursion, 0
	.set _ZN7rocprim17ROCPRIM_400000_NS6detail17trampoline_kernelINS0_14default_configENS1_22reduce_config_selectorIN6thrust23THRUST_200600_302600_NS5tupleIblNS6_9null_typeES8_S8_S8_S8_S8_S8_S8_EEEEZNS1_11reduce_implILb1ES3_NS6_12zip_iteratorINS7_INS6_11hip_rocprim26transform_input_iterator_tIbNSD_35transform_pair_of_input_iterators_tIbNS6_6detail15normal_iteratorINS6_10device_ptrIKtEEEESL_NS6_8equal_toItEEEENSG_9not_fun_tINSD_8identityEEEEENSD_19counting_iterator_tIlEES8_S8_S8_S8_S8_S8_S8_S8_EEEEPS9_S9_NSD_9__find_if7functorIS9_EEEE10hipError_tPvRmT1_T2_T3_mT4_P12ihipStream_tbEUlT_E0_NS1_11comp_targetILNS1_3genE10ELNS1_11target_archE1200ELNS1_3gpuE4ELNS1_3repE0EEENS1_30default_config_static_selectorELNS0_4arch9wavefront6targetE0EEEvS14_.has_indirect_call, 0
	.section	.AMDGPU.csdata,"",@progbits
; Kernel info:
; codeLenInByte = 0
; TotalNumSgprs: 0
; NumVgprs: 0
; ScratchSize: 0
; MemoryBound: 0
; FloatMode: 240
; IeeeMode: 1
; LDSByteSize: 0 bytes/workgroup (compile time only)
; SGPRBlocks: 0
; VGPRBlocks: 0
; NumSGPRsForWavesPerEU: 1
; NumVGPRsForWavesPerEU: 1
; Occupancy: 16
; WaveLimiterHint : 0
; COMPUTE_PGM_RSRC2:SCRATCH_EN: 0
; COMPUTE_PGM_RSRC2:USER_SGPR: 6
; COMPUTE_PGM_RSRC2:TRAP_HANDLER: 0
; COMPUTE_PGM_RSRC2:TGID_X_EN: 1
; COMPUTE_PGM_RSRC2:TGID_Y_EN: 0
; COMPUTE_PGM_RSRC2:TGID_Z_EN: 0
; COMPUTE_PGM_RSRC2:TIDIG_COMP_CNT: 0
	.section	.text._ZN7rocprim17ROCPRIM_400000_NS6detail17trampoline_kernelINS0_14default_configENS1_22reduce_config_selectorIN6thrust23THRUST_200600_302600_NS5tupleIblNS6_9null_typeES8_S8_S8_S8_S8_S8_S8_EEEEZNS1_11reduce_implILb1ES3_NS6_12zip_iteratorINS7_INS6_11hip_rocprim26transform_input_iterator_tIbNSD_35transform_pair_of_input_iterators_tIbNS6_6detail15normal_iteratorINS6_10device_ptrIKtEEEESL_NS6_8equal_toItEEEENSG_9not_fun_tINSD_8identityEEEEENSD_19counting_iterator_tIlEES8_S8_S8_S8_S8_S8_S8_S8_EEEEPS9_S9_NSD_9__find_if7functorIS9_EEEE10hipError_tPvRmT1_T2_T3_mT4_P12ihipStream_tbEUlT_E0_NS1_11comp_targetILNS1_3genE9ELNS1_11target_archE1100ELNS1_3gpuE3ELNS1_3repE0EEENS1_30default_config_static_selectorELNS0_4arch9wavefront6targetE0EEEvS14_,"axG",@progbits,_ZN7rocprim17ROCPRIM_400000_NS6detail17trampoline_kernelINS0_14default_configENS1_22reduce_config_selectorIN6thrust23THRUST_200600_302600_NS5tupleIblNS6_9null_typeES8_S8_S8_S8_S8_S8_S8_EEEEZNS1_11reduce_implILb1ES3_NS6_12zip_iteratorINS7_INS6_11hip_rocprim26transform_input_iterator_tIbNSD_35transform_pair_of_input_iterators_tIbNS6_6detail15normal_iteratorINS6_10device_ptrIKtEEEESL_NS6_8equal_toItEEEENSG_9not_fun_tINSD_8identityEEEEENSD_19counting_iterator_tIlEES8_S8_S8_S8_S8_S8_S8_S8_EEEEPS9_S9_NSD_9__find_if7functorIS9_EEEE10hipError_tPvRmT1_T2_T3_mT4_P12ihipStream_tbEUlT_E0_NS1_11comp_targetILNS1_3genE9ELNS1_11target_archE1100ELNS1_3gpuE3ELNS1_3repE0EEENS1_30default_config_static_selectorELNS0_4arch9wavefront6targetE0EEEvS14_,comdat
	.protected	_ZN7rocprim17ROCPRIM_400000_NS6detail17trampoline_kernelINS0_14default_configENS1_22reduce_config_selectorIN6thrust23THRUST_200600_302600_NS5tupleIblNS6_9null_typeES8_S8_S8_S8_S8_S8_S8_EEEEZNS1_11reduce_implILb1ES3_NS6_12zip_iteratorINS7_INS6_11hip_rocprim26transform_input_iterator_tIbNSD_35transform_pair_of_input_iterators_tIbNS6_6detail15normal_iteratorINS6_10device_ptrIKtEEEESL_NS6_8equal_toItEEEENSG_9not_fun_tINSD_8identityEEEEENSD_19counting_iterator_tIlEES8_S8_S8_S8_S8_S8_S8_S8_EEEEPS9_S9_NSD_9__find_if7functorIS9_EEEE10hipError_tPvRmT1_T2_T3_mT4_P12ihipStream_tbEUlT_E0_NS1_11comp_targetILNS1_3genE9ELNS1_11target_archE1100ELNS1_3gpuE3ELNS1_3repE0EEENS1_30default_config_static_selectorELNS0_4arch9wavefront6targetE0EEEvS14_ ; -- Begin function _ZN7rocprim17ROCPRIM_400000_NS6detail17trampoline_kernelINS0_14default_configENS1_22reduce_config_selectorIN6thrust23THRUST_200600_302600_NS5tupleIblNS6_9null_typeES8_S8_S8_S8_S8_S8_S8_EEEEZNS1_11reduce_implILb1ES3_NS6_12zip_iteratorINS7_INS6_11hip_rocprim26transform_input_iterator_tIbNSD_35transform_pair_of_input_iterators_tIbNS6_6detail15normal_iteratorINS6_10device_ptrIKtEEEESL_NS6_8equal_toItEEEENSG_9not_fun_tINSD_8identityEEEEENSD_19counting_iterator_tIlEES8_S8_S8_S8_S8_S8_S8_S8_EEEEPS9_S9_NSD_9__find_if7functorIS9_EEEE10hipError_tPvRmT1_T2_T3_mT4_P12ihipStream_tbEUlT_E0_NS1_11comp_targetILNS1_3genE9ELNS1_11target_archE1100ELNS1_3gpuE3ELNS1_3repE0EEENS1_30default_config_static_selectorELNS0_4arch9wavefront6targetE0EEEvS14_
	.globl	_ZN7rocprim17ROCPRIM_400000_NS6detail17trampoline_kernelINS0_14default_configENS1_22reduce_config_selectorIN6thrust23THRUST_200600_302600_NS5tupleIblNS6_9null_typeES8_S8_S8_S8_S8_S8_S8_EEEEZNS1_11reduce_implILb1ES3_NS6_12zip_iteratorINS7_INS6_11hip_rocprim26transform_input_iterator_tIbNSD_35transform_pair_of_input_iterators_tIbNS6_6detail15normal_iteratorINS6_10device_ptrIKtEEEESL_NS6_8equal_toItEEEENSG_9not_fun_tINSD_8identityEEEEENSD_19counting_iterator_tIlEES8_S8_S8_S8_S8_S8_S8_S8_EEEEPS9_S9_NSD_9__find_if7functorIS9_EEEE10hipError_tPvRmT1_T2_T3_mT4_P12ihipStream_tbEUlT_E0_NS1_11comp_targetILNS1_3genE9ELNS1_11target_archE1100ELNS1_3gpuE3ELNS1_3repE0EEENS1_30default_config_static_selectorELNS0_4arch9wavefront6targetE0EEEvS14_
	.p2align	8
	.type	_ZN7rocprim17ROCPRIM_400000_NS6detail17trampoline_kernelINS0_14default_configENS1_22reduce_config_selectorIN6thrust23THRUST_200600_302600_NS5tupleIblNS6_9null_typeES8_S8_S8_S8_S8_S8_S8_EEEEZNS1_11reduce_implILb1ES3_NS6_12zip_iteratorINS7_INS6_11hip_rocprim26transform_input_iterator_tIbNSD_35transform_pair_of_input_iterators_tIbNS6_6detail15normal_iteratorINS6_10device_ptrIKtEEEESL_NS6_8equal_toItEEEENSG_9not_fun_tINSD_8identityEEEEENSD_19counting_iterator_tIlEES8_S8_S8_S8_S8_S8_S8_S8_EEEEPS9_S9_NSD_9__find_if7functorIS9_EEEE10hipError_tPvRmT1_T2_T3_mT4_P12ihipStream_tbEUlT_E0_NS1_11comp_targetILNS1_3genE9ELNS1_11target_archE1100ELNS1_3gpuE3ELNS1_3repE0EEENS1_30default_config_static_selectorELNS0_4arch9wavefront6targetE0EEEvS14_,@function
_ZN7rocprim17ROCPRIM_400000_NS6detail17trampoline_kernelINS0_14default_configENS1_22reduce_config_selectorIN6thrust23THRUST_200600_302600_NS5tupleIblNS6_9null_typeES8_S8_S8_S8_S8_S8_S8_EEEEZNS1_11reduce_implILb1ES3_NS6_12zip_iteratorINS7_INS6_11hip_rocprim26transform_input_iterator_tIbNSD_35transform_pair_of_input_iterators_tIbNS6_6detail15normal_iteratorINS6_10device_ptrIKtEEEESL_NS6_8equal_toItEEEENSG_9not_fun_tINSD_8identityEEEEENSD_19counting_iterator_tIlEES8_S8_S8_S8_S8_S8_S8_S8_EEEEPS9_S9_NSD_9__find_if7functorIS9_EEEE10hipError_tPvRmT1_T2_T3_mT4_P12ihipStream_tbEUlT_E0_NS1_11comp_targetILNS1_3genE9ELNS1_11target_archE1100ELNS1_3gpuE3ELNS1_3repE0EEENS1_30default_config_static_selectorELNS0_4arch9wavefront6targetE0EEEvS14_: ; @_ZN7rocprim17ROCPRIM_400000_NS6detail17trampoline_kernelINS0_14default_configENS1_22reduce_config_selectorIN6thrust23THRUST_200600_302600_NS5tupleIblNS6_9null_typeES8_S8_S8_S8_S8_S8_S8_EEEEZNS1_11reduce_implILb1ES3_NS6_12zip_iteratorINS7_INS6_11hip_rocprim26transform_input_iterator_tIbNSD_35transform_pair_of_input_iterators_tIbNS6_6detail15normal_iteratorINS6_10device_ptrIKtEEEESL_NS6_8equal_toItEEEENSG_9not_fun_tINSD_8identityEEEEENSD_19counting_iterator_tIlEES8_S8_S8_S8_S8_S8_S8_S8_EEEEPS9_S9_NSD_9__find_if7functorIS9_EEEE10hipError_tPvRmT1_T2_T3_mT4_P12ihipStream_tbEUlT_E0_NS1_11comp_targetILNS1_3genE9ELNS1_11target_archE1100ELNS1_3gpuE3ELNS1_3repE0EEENS1_30default_config_static_selectorELNS0_4arch9wavefront6targetE0EEEvS14_
; %bb.0:
	.section	.rodata,"a",@progbits
	.p2align	6, 0x0
	.amdhsa_kernel _ZN7rocprim17ROCPRIM_400000_NS6detail17trampoline_kernelINS0_14default_configENS1_22reduce_config_selectorIN6thrust23THRUST_200600_302600_NS5tupleIblNS6_9null_typeES8_S8_S8_S8_S8_S8_S8_EEEEZNS1_11reduce_implILb1ES3_NS6_12zip_iteratorINS7_INS6_11hip_rocprim26transform_input_iterator_tIbNSD_35transform_pair_of_input_iterators_tIbNS6_6detail15normal_iteratorINS6_10device_ptrIKtEEEESL_NS6_8equal_toItEEEENSG_9not_fun_tINSD_8identityEEEEENSD_19counting_iterator_tIlEES8_S8_S8_S8_S8_S8_S8_S8_EEEEPS9_S9_NSD_9__find_if7functorIS9_EEEE10hipError_tPvRmT1_T2_T3_mT4_P12ihipStream_tbEUlT_E0_NS1_11comp_targetILNS1_3genE9ELNS1_11target_archE1100ELNS1_3gpuE3ELNS1_3repE0EEENS1_30default_config_static_selectorELNS0_4arch9wavefront6targetE0EEEvS14_
		.amdhsa_group_segment_fixed_size 0
		.amdhsa_private_segment_fixed_size 0
		.amdhsa_kernarg_size 104
		.amdhsa_user_sgpr_count 6
		.amdhsa_user_sgpr_private_segment_buffer 1
		.amdhsa_user_sgpr_dispatch_ptr 0
		.amdhsa_user_sgpr_queue_ptr 0
		.amdhsa_user_sgpr_kernarg_segment_ptr 1
		.amdhsa_user_sgpr_dispatch_id 0
		.amdhsa_user_sgpr_flat_scratch_init 0
		.amdhsa_user_sgpr_private_segment_size 0
		.amdhsa_wavefront_size32 1
		.amdhsa_uses_dynamic_stack 0
		.amdhsa_system_sgpr_private_segment_wavefront_offset 0
		.amdhsa_system_sgpr_workgroup_id_x 1
		.amdhsa_system_sgpr_workgroup_id_y 0
		.amdhsa_system_sgpr_workgroup_id_z 0
		.amdhsa_system_sgpr_workgroup_info 0
		.amdhsa_system_vgpr_workitem_id 0
		.amdhsa_next_free_vgpr 1
		.amdhsa_next_free_sgpr 1
		.amdhsa_reserve_vcc 0
		.amdhsa_reserve_flat_scratch 0
		.amdhsa_float_round_mode_32 0
		.amdhsa_float_round_mode_16_64 0
		.amdhsa_float_denorm_mode_32 3
		.amdhsa_float_denorm_mode_16_64 3
		.amdhsa_dx10_clamp 1
		.amdhsa_ieee_mode 1
		.amdhsa_fp16_overflow 0
		.amdhsa_workgroup_processor_mode 1
		.amdhsa_memory_ordered 1
		.amdhsa_forward_progress 1
		.amdhsa_shared_vgpr_count 0
		.amdhsa_exception_fp_ieee_invalid_op 0
		.amdhsa_exception_fp_denorm_src 0
		.amdhsa_exception_fp_ieee_div_zero 0
		.amdhsa_exception_fp_ieee_overflow 0
		.amdhsa_exception_fp_ieee_underflow 0
		.amdhsa_exception_fp_ieee_inexact 0
		.amdhsa_exception_int_div_zero 0
	.end_amdhsa_kernel
	.section	.text._ZN7rocprim17ROCPRIM_400000_NS6detail17trampoline_kernelINS0_14default_configENS1_22reduce_config_selectorIN6thrust23THRUST_200600_302600_NS5tupleIblNS6_9null_typeES8_S8_S8_S8_S8_S8_S8_EEEEZNS1_11reduce_implILb1ES3_NS6_12zip_iteratorINS7_INS6_11hip_rocprim26transform_input_iterator_tIbNSD_35transform_pair_of_input_iterators_tIbNS6_6detail15normal_iteratorINS6_10device_ptrIKtEEEESL_NS6_8equal_toItEEEENSG_9not_fun_tINSD_8identityEEEEENSD_19counting_iterator_tIlEES8_S8_S8_S8_S8_S8_S8_S8_EEEEPS9_S9_NSD_9__find_if7functorIS9_EEEE10hipError_tPvRmT1_T2_T3_mT4_P12ihipStream_tbEUlT_E0_NS1_11comp_targetILNS1_3genE9ELNS1_11target_archE1100ELNS1_3gpuE3ELNS1_3repE0EEENS1_30default_config_static_selectorELNS0_4arch9wavefront6targetE0EEEvS14_,"axG",@progbits,_ZN7rocprim17ROCPRIM_400000_NS6detail17trampoline_kernelINS0_14default_configENS1_22reduce_config_selectorIN6thrust23THRUST_200600_302600_NS5tupleIblNS6_9null_typeES8_S8_S8_S8_S8_S8_S8_EEEEZNS1_11reduce_implILb1ES3_NS6_12zip_iteratorINS7_INS6_11hip_rocprim26transform_input_iterator_tIbNSD_35transform_pair_of_input_iterators_tIbNS6_6detail15normal_iteratorINS6_10device_ptrIKtEEEESL_NS6_8equal_toItEEEENSG_9not_fun_tINSD_8identityEEEEENSD_19counting_iterator_tIlEES8_S8_S8_S8_S8_S8_S8_S8_EEEEPS9_S9_NSD_9__find_if7functorIS9_EEEE10hipError_tPvRmT1_T2_T3_mT4_P12ihipStream_tbEUlT_E0_NS1_11comp_targetILNS1_3genE9ELNS1_11target_archE1100ELNS1_3gpuE3ELNS1_3repE0EEENS1_30default_config_static_selectorELNS0_4arch9wavefront6targetE0EEEvS14_,comdat
.Lfunc_end306:
	.size	_ZN7rocprim17ROCPRIM_400000_NS6detail17trampoline_kernelINS0_14default_configENS1_22reduce_config_selectorIN6thrust23THRUST_200600_302600_NS5tupleIblNS6_9null_typeES8_S8_S8_S8_S8_S8_S8_EEEEZNS1_11reduce_implILb1ES3_NS6_12zip_iteratorINS7_INS6_11hip_rocprim26transform_input_iterator_tIbNSD_35transform_pair_of_input_iterators_tIbNS6_6detail15normal_iteratorINS6_10device_ptrIKtEEEESL_NS6_8equal_toItEEEENSG_9not_fun_tINSD_8identityEEEEENSD_19counting_iterator_tIlEES8_S8_S8_S8_S8_S8_S8_S8_EEEEPS9_S9_NSD_9__find_if7functorIS9_EEEE10hipError_tPvRmT1_T2_T3_mT4_P12ihipStream_tbEUlT_E0_NS1_11comp_targetILNS1_3genE9ELNS1_11target_archE1100ELNS1_3gpuE3ELNS1_3repE0EEENS1_30default_config_static_selectorELNS0_4arch9wavefront6targetE0EEEvS14_, .Lfunc_end306-_ZN7rocprim17ROCPRIM_400000_NS6detail17trampoline_kernelINS0_14default_configENS1_22reduce_config_selectorIN6thrust23THRUST_200600_302600_NS5tupleIblNS6_9null_typeES8_S8_S8_S8_S8_S8_S8_EEEEZNS1_11reduce_implILb1ES3_NS6_12zip_iteratorINS7_INS6_11hip_rocprim26transform_input_iterator_tIbNSD_35transform_pair_of_input_iterators_tIbNS6_6detail15normal_iteratorINS6_10device_ptrIKtEEEESL_NS6_8equal_toItEEEENSG_9not_fun_tINSD_8identityEEEEENSD_19counting_iterator_tIlEES8_S8_S8_S8_S8_S8_S8_S8_EEEEPS9_S9_NSD_9__find_if7functorIS9_EEEE10hipError_tPvRmT1_T2_T3_mT4_P12ihipStream_tbEUlT_E0_NS1_11comp_targetILNS1_3genE9ELNS1_11target_archE1100ELNS1_3gpuE3ELNS1_3repE0EEENS1_30default_config_static_selectorELNS0_4arch9wavefront6targetE0EEEvS14_
                                        ; -- End function
	.set _ZN7rocprim17ROCPRIM_400000_NS6detail17trampoline_kernelINS0_14default_configENS1_22reduce_config_selectorIN6thrust23THRUST_200600_302600_NS5tupleIblNS6_9null_typeES8_S8_S8_S8_S8_S8_S8_EEEEZNS1_11reduce_implILb1ES3_NS6_12zip_iteratorINS7_INS6_11hip_rocprim26transform_input_iterator_tIbNSD_35transform_pair_of_input_iterators_tIbNS6_6detail15normal_iteratorINS6_10device_ptrIKtEEEESL_NS6_8equal_toItEEEENSG_9not_fun_tINSD_8identityEEEEENSD_19counting_iterator_tIlEES8_S8_S8_S8_S8_S8_S8_S8_EEEEPS9_S9_NSD_9__find_if7functorIS9_EEEE10hipError_tPvRmT1_T2_T3_mT4_P12ihipStream_tbEUlT_E0_NS1_11comp_targetILNS1_3genE9ELNS1_11target_archE1100ELNS1_3gpuE3ELNS1_3repE0EEENS1_30default_config_static_selectorELNS0_4arch9wavefront6targetE0EEEvS14_.num_vgpr, 0
	.set _ZN7rocprim17ROCPRIM_400000_NS6detail17trampoline_kernelINS0_14default_configENS1_22reduce_config_selectorIN6thrust23THRUST_200600_302600_NS5tupleIblNS6_9null_typeES8_S8_S8_S8_S8_S8_S8_EEEEZNS1_11reduce_implILb1ES3_NS6_12zip_iteratorINS7_INS6_11hip_rocprim26transform_input_iterator_tIbNSD_35transform_pair_of_input_iterators_tIbNS6_6detail15normal_iteratorINS6_10device_ptrIKtEEEESL_NS6_8equal_toItEEEENSG_9not_fun_tINSD_8identityEEEEENSD_19counting_iterator_tIlEES8_S8_S8_S8_S8_S8_S8_S8_EEEEPS9_S9_NSD_9__find_if7functorIS9_EEEE10hipError_tPvRmT1_T2_T3_mT4_P12ihipStream_tbEUlT_E0_NS1_11comp_targetILNS1_3genE9ELNS1_11target_archE1100ELNS1_3gpuE3ELNS1_3repE0EEENS1_30default_config_static_selectorELNS0_4arch9wavefront6targetE0EEEvS14_.num_agpr, 0
	.set _ZN7rocprim17ROCPRIM_400000_NS6detail17trampoline_kernelINS0_14default_configENS1_22reduce_config_selectorIN6thrust23THRUST_200600_302600_NS5tupleIblNS6_9null_typeES8_S8_S8_S8_S8_S8_S8_EEEEZNS1_11reduce_implILb1ES3_NS6_12zip_iteratorINS7_INS6_11hip_rocprim26transform_input_iterator_tIbNSD_35transform_pair_of_input_iterators_tIbNS6_6detail15normal_iteratorINS6_10device_ptrIKtEEEESL_NS6_8equal_toItEEEENSG_9not_fun_tINSD_8identityEEEEENSD_19counting_iterator_tIlEES8_S8_S8_S8_S8_S8_S8_S8_EEEEPS9_S9_NSD_9__find_if7functorIS9_EEEE10hipError_tPvRmT1_T2_T3_mT4_P12ihipStream_tbEUlT_E0_NS1_11comp_targetILNS1_3genE9ELNS1_11target_archE1100ELNS1_3gpuE3ELNS1_3repE0EEENS1_30default_config_static_selectorELNS0_4arch9wavefront6targetE0EEEvS14_.numbered_sgpr, 0
	.set _ZN7rocprim17ROCPRIM_400000_NS6detail17trampoline_kernelINS0_14default_configENS1_22reduce_config_selectorIN6thrust23THRUST_200600_302600_NS5tupleIblNS6_9null_typeES8_S8_S8_S8_S8_S8_S8_EEEEZNS1_11reduce_implILb1ES3_NS6_12zip_iteratorINS7_INS6_11hip_rocprim26transform_input_iterator_tIbNSD_35transform_pair_of_input_iterators_tIbNS6_6detail15normal_iteratorINS6_10device_ptrIKtEEEESL_NS6_8equal_toItEEEENSG_9not_fun_tINSD_8identityEEEEENSD_19counting_iterator_tIlEES8_S8_S8_S8_S8_S8_S8_S8_EEEEPS9_S9_NSD_9__find_if7functorIS9_EEEE10hipError_tPvRmT1_T2_T3_mT4_P12ihipStream_tbEUlT_E0_NS1_11comp_targetILNS1_3genE9ELNS1_11target_archE1100ELNS1_3gpuE3ELNS1_3repE0EEENS1_30default_config_static_selectorELNS0_4arch9wavefront6targetE0EEEvS14_.num_named_barrier, 0
	.set _ZN7rocprim17ROCPRIM_400000_NS6detail17trampoline_kernelINS0_14default_configENS1_22reduce_config_selectorIN6thrust23THRUST_200600_302600_NS5tupleIblNS6_9null_typeES8_S8_S8_S8_S8_S8_S8_EEEEZNS1_11reduce_implILb1ES3_NS6_12zip_iteratorINS7_INS6_11hip_rocprim26transform_input_iterator_tIbNSD_35transform_pair_of_input_iterators_tIbNS6_6detail15normal_iteratorINS6_10device_ptrIKtEEEESL_NS6_8equal_toItEEEENSG_9not_fun_tINSD_8identityEEEEENSD_19counting_iterator_tIlEES8_S8_S8_S8_S8_S8_S8_S8_EEEEPS9_S9_NSD_9__find_if7functorIS9_EEEE10hipError_tPvRmT1_T2_T3_mT4_P12ihipStream_tbEUlT_E0_NS1_11comp_targetILNS1_3genE9ELNS1_11target_archE1100ELNS1_3gpuE3ELNS1_3repE0EEENS1_30default_config_static_selectorELNS0_4arch9wavefront6targetE0EEEvS14_.private_seg_size, 0
	.set _ZN7rocprim17ROCPRIM_400000_NS6detail17trampoline_kernelINS0_14default_configENS1_22reduce_config_selectorIN6thrust23THRUST_200600_302600_NS5tupleIblNS6_9null_typeES8_S8_S8_S8_S8_S8_S8_EEEEZNS1_11reduce_implILb1ES3_NS6_12zip_iteratorINS7_INS6_11hip_rocprim26transform_input_iterator_tIbNSD_35transform_pair_of_input_iterators_tIbNS6_6detail15normal_iteratorINS6_10device_ptrIKtEEEESL_NS6_8equal_toItEEEENSG_9not_fun_tINSD_8identityEEEEENSD_19counting_iterator_tIlEES8_S8_S8_S8_S8_S8_S8_S8_EEEEPS9_S9_NSD_9__find_if7functorIS9_EEEE10hipError_tPvRmT1_T2_T3_mT4_P12ihipStream_tbEUlT_E0_NS1_11comp_targetILNS1_3genE9ELNS1_11target_archE1100ELNS1_3gpuE3ELNS1_3repE0EEENS1_30default_config_static_selectorELNS0_4arch9wavefront6targetE0EEEvS14_.uses_vcc, 0
	.set _ZN7rocprim17ROCPRIM_400000_NS6detail17trampoline_kernelINS0_14default_configENS1_22reduce_config_selectorIN6thrust23THRUST_200600_302600_NS5tupleIblNS6_9null_typeES8_S8_S8_S8_S8_S8_S8_EEEEZNS1_11reduce_implILb1ES3_NS6_12zip_iteratorINS7_INS6_11hip_rocprim26transform_input_iterator_tIbNSD_35transform_pair_of_input_iterators_tIbNS6_6detail15normal_iteratorINS6_10device_ptrIKtEEEESL_NS6_8equal_toItEEEENSG_9not_fun_tINSD_8identityEEEEENSD_19counting_iterator_tIlEES8_S8_S8_S8_S8_S8_S8_S8_EEEEPS9_S9_NSD_9__find_if7functorIS9_EEEE10hipError_tPvRmT1_T2_T3_mT4_P12ihipStream_tbEUlT_E0_NS1_11comp_targetILNS1_3genE9ELNS1_11target_archE1100ELNS1_3gpuE3ELNS1_3repE0EEENS1_30default_config_static_selectorELNS0_4arch9wavefront6targetE0EEEvS14_.uses_flat_scratch, 0
	.set _ZN7rocprim17ROCPRIM_400000_NS6detail17trampoline_kernelINS0_14default_configENS1_22reduce_config_selectorIN6thrust23THRUST_200600_302600_NS5tupleIblNS6_9null_typeES8_S8_S8_S8_S8_S8_S8_EEEEZNS1_11reduce_implILb1ES3_NS6_12zip_iteratorINS7_INS6_11hip_rocprim26transform_input_iterator_tIbNSD_35transform_pair_of_input_iterators_tIbNS6_6detail15normal_iteratorINS6_10device_ptrIKtEEEESL_NS6_8equal_toItEEEENSG_9not_fun_tINSD_8identityEEEEENSD_19counting_iterator_tIlEES8_S8_S8_S8_S8_S8_S8_S8_EEEEPS9_S9_NSD_9__find_if7functorIS9_EEEE10hipError_tPvRmT1_T2_T3_mT4_P12ihipStream_tbEUlT_E0_NS1_11comp_targetILNS1_3genE9ELNS1_11target_archE1100ELNS1_3gpuE3ELNS1_3repE0EEENS1_30default_config_static_selectorELNS0_4arch9wavefront6targetE0EEEvS14_.has_dyn_sized_stack, 0
	.set _ZN7rocprim17ROCPRIM_400000_NS6detail17trampoline_kernelINS0_14default_configENS1_22reduce_config_selectorIN6thrust23THRUST_200600_302600_NS5tupleIblNS6_9null_typeES8_S8_S8_S8_S8_S8_S8_EEEEZNS1_11reduce_implILb1ES3_NS6_12zip_iteratorINS7_INS6_11hip_rocprim26transform_input_iterator_tIbNSD_35transform_pair_of_input_iterators_tIbNS6_6detail15normal_iteratorINS6_10device_ptrIKtEEEESL_NS6_8equal_toItEEEENSG_9not_fun_tINSD_8identityEEEEENSD_19counting_iterator_tIlEES8_S8_S8_S8_S8_S8_S8_S8_EEEEPS9_S9_NSD_9__find_if7functorIS9_EEEE10hipError_tPvRmT1_T2_T3_mT4_P12ihipStream_tbEUlT_E0_NS1_11comp_targetILNS1_3genE9ELNS1_11target_archE1100ELNS1_3gpuE3ELNS1_3repE0EEENS1_30default_config_static_selectorELNS0_4arch9wavefront6targetE0EEEvS14_.has_recursion, 0
	.set _ZN7rocprim17ROCPRIM_400000_NS6detail17trampoline_kernelINS0_14default_configENS1_22reduce_config_selectorIN6thrust23THRUST_200600_302600_NS5tupleIblNS6_9null_typeES8_S8_S8_S8_S8_S8_S8_EEEEZNS1_11reduce_implILb1ES3_NS6_12zip_iteratorINS7_INS6_11hip_rocprim26transform_input_iterator_tIbNSD_35transform_pair_of_input_iterators_tIbNS6_6detail15normal_iteratorINS6_10device_ptrIKtEEEESL_NS6_8equal_toItEEEENSG_9not_fun_tINSD_8identityEEEEENSD_19counting_iterator_tIlEES8_S8_S8_S8_S8_S8_S8_S8_EEEEPS9_S9_NSD_9__find_if7functorIS9_EEEE10hipError_tPvRmT1_T2_T3_mT4_P12ihipStream_tbEUlT_E0_NS1_11comp_targetILNS1_3genE9ELNS1_11target_archE1100ELNS1_3gpuE3ELNS1_3repE0EEENS1_30default_config_static_selectorELNS0_4arch9wavefront6targetE0EEEvS14_.has_indirect_call, 0
	.section	.AMDGPU.csdata,"",@progbits
; Kernel info:
; codeLenInByte = 0
; TotalNumSgprs: 0
; NumVgprs: 0
; ScratchSize: 0
; MemoryBound: 0
; FloatMode: 240
; IeeeMode: 1
; LDSByteSize: 0 bytes/workgroup (compile time only)
; SGPRBlocks: 0
; VGPRBlocks: 0
; NumSGPRsForWavesPerEU: 1
; NumVGPRsForWavesPerEU: 1
; Occupancy: 16
; WaveLimiterHint : 0
; COMPUTE_PGM_RSRC2:SCRATCH_EN: 0
; COMPUTE_PGM_RSRC2:USER_SGPR: 6
; COMPUTE_PGM_RSRC2:TRAP_HANDLER: 0
; COMPUTE_PGM_RSRC2:TGID_X_EN: 1
; COMPUTE_PGM_RSRC2:TGID_Y_EN: 0
; COMPUTE_PGM_RSRC2:TGID_Z_EN: 0
; COMPUTE_PGM_RSRC2:TIDIG_COMP_CNT: 0
	.section	.text._ZN7rocprim17ROCPRIM_400000_NS6detail17trampoline_kernelINS0_14default_configENS1_22reduce_config_selectorIN6thrust23THRUST_200600_302600_NS5tupleIblNS6_9null_typeES8_S8_S8_S8_S8_S8_S8_EEEEZNS1_11reduce_implILb1ES3_NS6_12zip_iteratorINS7_INS6_11hip_rocprim26transform_input_iterator_tIbNSD_35transform_pair_of_input_iterators_tIbNS6_6detail15normal_iteratorINS6_10device_ptrIKtEEEESL_NS6_8equal_toItEEEENSG_9not_fun_tINSD_8identityEEEEENSD_19counting_iterator_tIlEES8_S8_S8_S8_S8_S8_S8_S8_EEEEPS9_S9_NSD_9__find_if7functorIS9_EEEE10hipError_tPvRmT1_T2_T3_mT4_P12ihipStream_tbEUlT_E0_NS1_11comp_targetILNS1_3genE8ELNS1_11target_archE1030ELNS1_3gpuE2ELNS1_3repE0EEENS1_30default_config_static_selectorELNS0_4arch9wavefront6targetE0EEEvS14_,"axG",@progbits,_ZN7rocprim17ROCPRIM_400000_NS6detail17trampoline_kernelINS0_14default_configENS1_22reduce_config_selectorIN6thrust23THRUST_200600_302600_NS5tupleIblNS6_9null_typeES8_S8_S8_S8_S8_S8_S8_EEEEZNS1_11reduce_implILb1ES3_NS6_12zip_iteratorINS7_INS6_11hip_rocprim26transform_input_iterator_tIbNSD_35transform_pair_of_input_iterators_tIbNS6_6detail15normal_iteratorINS6_10device_ptrIKtEEEESL_NS6_8equal_toItEEEENSG_9not_fun_tINSD_8identityEEEEENSD_19counting_iterator_tIlEES8_S8_S8_S8_S8_S8_S8_S8_EEEEPS9_S9_NSD_9__find_if7functorIS9_EEEE10hipError_tPvRmT1_T2_T3_mT4_P12ihipStream_tbEUlT_E0_NS1_11comp_targetILNS1_3genE8ELNS1_11target_archE1030ELNS1_3gpuE2ELNS1_3repE0EEENS1_30default_config_static_selectorELNS0_4arch9wavefront6targetE0EEEvS14_,comdat
	.protected	_ZN7rocprim17ROCPRIM_400000_NS6detail17trampoline_kernelINS0_14default_configENS1_22reduce_config_selectorIN6thrust23THRUST_200600_302600_NS5tupleIblNS6_9null_typeES8_S8_S8_S8_S8_S8_S8_EEEEZNS1_11reduce_implILb1ES3_NS6_12zip_iteratorINS7_INS6_11hip_rocprim26transform_input_iterator_tIbNSD_35transform_pair_of_input_iterators_tIbNS6_6detail15normal_iteratorINS6_10device_ptrIKtEEEESL_NS6_8equal_toItEEEENSG_9not_fun_tINSD_8identityEEEEENSD_19counting_iterator_tIlEES8_S8_S8_S8_S8_S8_S8_S8_EEEEPS9_S9_NSD_9__find_if7functorIS9_EEEE10hipError_tPvRmT1_T2_T3_mT4_P12ihipStream_tbEUlT_E0_NS1_11comp_targetILNS1_3genE8ELNS1_11target_archE1030ELNS1_3gpuE2ELNS1_3repE0EEENS1_30default_config_static_selectorELNS0_4arch9wavefront6targetE0EEEvS14_ ; -- Begin function _ZN7rocprim17ROCPRIM_400000_NS6detail17trampoline_kernelINS0_14default_configENS1_22reduce_config_selectorIN6thrust23THRUST_200600_302600_NS5tupleIblNS6_9null_typeES8_S8_S8_S8_S8_S8_S8_EEEEZNS1_11reduce_implILb1ES3_NS6_12zip_iteratorINS7_INS6_11hip_rocprim26transform_input_iterator_tIbNSD_35transform_pair_of_input_iterators_tIbNS6_6detail15normal_iteratorINS6_10device_ptrIKtEEEESL_NS6_8equal_toItEEEENSG_9not_fun_tINSD_8identityEEEEENSD_19counting_iterator_tIlEES8_S8_S8_S8_S8_S8_S8_S8_EEEEPS9_S9_NSD_9__find_if7functorIS9_EEEE10hipError_tPvRmT1_T2_T3_mT4_P12ihipStream_tbEUlT_E0_NS1_11comp_targetILNS1_3genE8ELNS1_11target_archE1030ELNS1_3gpuE2ELNS1_3repE0EEENS1_30default_config_static_selectorELNS0_4arch9wavefront6targetE0EEEvS14_
	.globl	_ZN7rocprim17ROCPRIM_400000_NS6detail17trampoline_kernelINS0_14default_configENS1_22reduce_config_selectorIN6thrust23THRUST_200600_302600_NS5tupleIblNS6_9null_typeES8_S8_S8_S8_S8_S8_S8_EEEEZNS1_11reduce_implILb1ES3_NS6_12zip_iteratorINS7_INS6_11hip_rocprim26transform_input_iterator_tIbNSD_35transform_pair_of_input_iterators_tIbNS6_6detail15normal_iteratorINS6_10device_ptrIKtEEEESL_NS6_8equal_toItEEEENSG_9not_fun_tINSD_8identityEEEEENSD_19counting_iterator_tIlEES8_S8_S8_S8_S8_S8_S8_S8_EEEEPS9_S9_NSD_9__find_if7functorIS9_EEEE10hipError_tPvRmT1_T2_T3_mT4_P12ihipStream_tbEUlT_E0_NS1_11comp_targetILNS1_3genE8ELNS1_11target_archE1030ELNS1_3gpuE2ELNS1_3repE0EEENS1_30default_config_static_selectorELNS0_4arch9wavefront6targetE0EEEvS14_
	.p2align	8
	.type	_ZN7rocprim17ROCPRIM_400000_NS6detail17trampoline_kernelINS0_14default_configENS1_22reduce_config_selectorIN6thrust23THRUST_200600_302600_NS5tupleIblNS6_9null_typeES8_S8_S8_S8_S8_S8_S8_EEEEZNS1_11reduce_implILb1ES3_NS6_12zip_iteratorINS7_INS6_11hip_rocprim26transform_input_iterator_tIbNSD_35transform_pair_of_input_iterators_tIbNS6_6detail15normal_iteratorINS6_10device_ptrIKtEEEESL_NS6_8equal_toItEEEENSG_9not_fun_tINSD_8identityEEEEENSD_19counting_iterator_tIlEES8_S8_S8_S8_S8_S8_S8_S8_EEEEPS9_S9_NSD_9__find_if7functorIS9_EEEE10hipError_tPvRmT1_T2_T3_mT4_P12ihipStream_tbEUlT_E0_NS1_11comp_targetILNS1_3genE8ELNS1_11target_archE1030ELNS1_3gpuE2ELNS1_3repE0EEENS1_30default_config_static_selectorELNS0_4arch9wavefront6targetE0EEEvS14_,@function
_ZN7rocprim17ROCPRIM_400000_NS6detail17trampoline_kernelINS0_14default_configENS1_22reduce_config_selectorIN6thrust23THRUST_200600_302600_NS5tupleIblNS6_9null_typeES8_S8_S8_S8_S8_S8_S8_EEEEZNS1_11reduce_implILb1ES3_NS6_12zip_iteratorINS7_INS6_11hip_rocprim26transform_input_iterator_tIbNSD_35transform_pair_of_input_iterators_tIbNS6_6detail15normal_iteratorINS6_10device_ptrIKtEEEESL_NS6_8equal_toItEEEENSG_9not_fun_tINSD_8identityEEEEENSD_19counting_iterator_tIlEES8_S8_S8_S8_S8_S8_S8_S8_EEEEPS9_S9_NSD_9__find_if7functorIS9_EEEE10hipError_tPvRmT1_T2_T3_mT4_P12ihipStream_tbEUlT_E0_NS1_11comp_targetILNS1_3genE8ELNS1_11target_archE1030ELNS1_3gpuE2ELNS1_3repE0EEENS1_30default_config_static_selectorELNS0_4arch9wavefront6targetE0EEEvS14_: ; @_ZN7rocprim17ROCPRIM_400000_NS6detail17trampoline_kernelINS0_14default_configENS1_22reduce_config_selectorIN6thrust23THRUST_200600_302600_NS5tupleIblNS6_9null_typeES8_S8_S8_S8_S8_S8_S8_EEEEZNS1_11reduce_implILb1ES3_NS6_12zip_iteratorINS7_INS6_11hip_rocprim26transform_input_iterator_tIbNSD_35transform_pair_of_input_iterators_tIbNS6_6detail15normal_iteratorINS6_10device_ptrIKtEEEESL_NS6_8equal_toItEEEENSG_9not_fun_tINSD_8identityEEEEENSD_19counting_iterator_tIlEES8_S8_S8_S8_S8_S8_S8_S8_EEEEPS9_S9_NSD_9__find_if7functorIS9_EEEE10hipError_tPvRmT1_T2_T3_mT4_P12ihipStream_tbEUlT_E0_NS1_11comp_targetILNS1_3genE8ELNS1_11target_archE1030ELNS1_3gpuE2ELNS1_3repE0EEENS1_30default_config_static_selectorELNS0_4arch9wavefront6targetE0EEEvS14_
; %bb.0:
	s_clause 0x2
	s_load_dwordx8 s[8:15], s[4:5], 0x20
	s_load_dwordx4 s[0:3], s[4:5], 0x0
	s_load_dwordx4 s[16:19], s[4:5], 0x40
	s_mov_b32 s23, 0
	v_lshlrev_b32_e32 v9, 1, v0
	v_mbcnt_lo_u32_b32 v7, -1, 0
	s_mov_b32 s7, s23
	s_waitcnt lgkmcnt(0)
	s_lshl_b64 s[20:21], s[10:11], 1
	s_add_u32 s26, s0, s20
	s_addc_u32 s27, s1, s21
	s_add_u32 s20, s2, s20
	s_addc_u32 s21, s3, s21
	s_lshl_b32 s22, s6, 9
	s_lshr_b64 s[24:25], s[12:13], 9
	s_lshl_b64 s[0:1], s[22:23], 1
	s_add_u32 s2, s26, s0
	s_addc_u32 s3, s27, s1
	s_add_u32 s20, s20, s0
	s_addc_u32 s21, s21, s1
	;; [unrolled: 2-line block ×4, first 2 shown]
	s_cmp_lg_u64 s[24:25], s[6:7]
	s_cbranch_scc0 .LBB307_18
; %bb.1:
	s_clause 0x3
	global_load_ushort v1, v9, s[2:3]
	global_load_ushort v2, v9, s[20:21]
	global_load_ushort v3, v9, s[20:21] offset:512
	global_load_ushort v4, v9, s[2:3] offset:512
	v_add_co_u32 v5, s0, s10, v0
	v_add_co_ci_u32_e64 v6, null, s11, 0, s0
	v_add_co_u32 v8, vcc_lo, 0x100, v5
	v_add_co_ci_u32_e64 v10, null, 0, v6, vcc_lo
	s_waitcnt vmcnt(2)
	v_cmp_ne_u16_e32 vcc_lo, v1, v2
	s_waitcnt vmcnt(0)
	v_cmp_ne_u16_e64 s0, v4, v3
	v_cndmask_b32_e32 v2, v10, v6, vcc_lo
	v_cndmask_b32_e32 v1, v8, v5, vcc_lo
	s_or_b32 s0, vcc_lo, s0
	v_cndmask_b32_e64 v5, 0, 1, s0
	v_mov_b32_dpp v4, v2 quad_perm:[1,0,3,2] row_mask:0xf bank_mask:0xf
	v_mov_b32_dpp v3, v1 quad_perm:[1,0,3,2] row_mask:0xf bank_mask:0xf
	;; [unrolled: 1-line block ×3, first 2 shown]
	v_cmp_lt_i64_e32 vcc_lo, v[1:2], v[3:4]
	v_and_b32_e32 v6, 1, v6
	s_and_b32 vcc_lo, s0, vcc_lo
	v_cndmask_b32_e32 v3, v3, v1, vcc_lo
	v_cndmask_b32_e32 v4, v4, v2, vcc_lo
	v_cmp_eq_u32_e32 vcc_lo, 1, v6
	v_cndmask_b32_e32 v2, v2, v4, vcc_lo
	v_cndmask_b32_e32 v1, v1, v3, vcc_lo
	v_cndmask_b32_e64 v5, v5, 1, vcc_lo
	v_mov_b32_dpp v4, v2 quad_perm:[2,3,0,1] row_mask:0xf bank_mask:0xf
	v_mov_b32_dpp v3, v1 quad_perm:[2,3,0,1] row_mask:0xf bank_mask:0xf
	v_and_b32_e32 v8, 1, v5
	v_mov_b32_dpp v6, v5 quad_perm:[2,3,0,1] row_mask:0xf bank_mask:0xf
	v_cmp_lt_i64_e32 vcc_lo, v[1:2], v[3:4]
	v_cmp_eq_u32_e64 s0, 1, v8
	v_and_b32_e32 v6, 1, v6
	s_and_b32 vcc_lo, s0, vcc_lo
	v_cmp_eq_u32_e64 s1, 1, v6
	v_cndmask_b32_e32 v3, v3, v1, vcc_lo
	v_cndmask_b32_e32 v4, v4, v2, vcc_lo
	v_cndmask_b32_e64 v5, v5, 1, s1
	v_cndmask_b32_e64 v1, v1, v3, s1
	;; [unrolled: 1-line block ×3, first 2 shown]
	v_and_b32_e32 v8, 1, v5
	v_mov_b32_dpp v3, v1 row_ror:4 row_mask:0xf bank_mask:0xf
	v_mov_b32_dpp v4, v2 row_ror:4 row_mask:0xf bank_mask:0xf
	;; [unrolled: 1-line block ×3, first 2 shown]
	v_cmp_eq_u32_e64 s0, 1, v8
	v_cmp_lt_i64_e32 vcc_lo, v[1:2], v[3:4]
	v_and_b32_e32 v6, 1, v6
	s_and_b32 vcc_lo, s0, vcc_lo
	v_cmp_eq_u32_e64 s1, 1, v6
	v_cndmask_b32_e32 v3, v3, v1, vcc_lo
	v_cndmask_b32_e32 v4, v4, v2, vcc_lo
	v_cndmask_b32_e64 v5, v5, 1, s1
	v_cndmask_b32_e64 v1, v1, v3, s1
	;; [unrolled: 1-line block ×3, first 2 shown]
	v_and_b32_e32 v8, 1, v5
	v_mov_b32_dpp v3, v1 row_ror:8 row_mask:0xf bank_mask:0xf
	v_mov_b32_dpp v4, v2 row_ror:8 row_mask:0xf bank_mask:0xf
	v_mov_b32_dpp v6, v5 row_ror:8 row_mask:0xf bank_mask:0xf
	v_cmp_eq_u32_e64 s0, 1, v8
	v_cmp_lt_i64_e32 vcc_lo, v[1:2], v[3:4]
	v_and_b32_e32 v6, 1, v6
	s_and_b32 vcc_lo, s0, vcc_lo
	v_cmp_eq_u32_e64 s1, 1, v6
	v_cndmask_b32_e32 v3, v3, v1, vcc_lo
	v_cndmask_b32_e32 v4, v4, v2, vcc_lo
	v_cndmask_b32_e64 v5, v5, 1, s1
	v_cndmask_b32_e64 v1, v1, v3, s1
	;; [unrolled: 1-line block ×3, first 2 shown]
	ds_swizzle_b32 v6, v5 offset:swizzle(BROADCAST,32,15)
	ds_swizzle_b32 v3, v1 offset:swizzle(BROADCAST,32,15)
	;; [unrolled: 1-line block ×3, first 2 shown]
	v_and_b32_e32 v8, 1, v5
	v_cmp_eq_u32_e64 s0, 1, v8
	s_waitcnt lgkmcnt(2)
	v_and_b32_e32 v6, 1, v6
	s_waitcnt lgkmcnt(0)
	v_cmp_lt_i64_e32 vcc_lo, v[1:2], v[3:4]
	v_cmp_eq_u32_e64 s1, 1, v6
	v_mov_b32_e32 v6, 0
	s_and_b32 vcc_lo, s0, vcc_lo
	s_mov_b32 s0, exec_lo
	v_cndmask_b32_e32 v3, v3, v1, vcc_lo
	v_cndmask_b32_e32 v4, v4, v2, vcc_lo
	v_cndmask_b32_e64 v5, v5, 1, s1
	v_cndmask_b32_e64 v1, v1, v3, s1
	;; [unrolled: 1-line block ×3, first 2 shown]
	ds_bpermute_b32 v8, v6, v5 offset:124
	ds_bpermute_b32 v1, v6, v1 offset:124
	;; [unrolled: 1-line block ×3, first 2 shown]
	v_cmpx_eq_u32_e32 0, v7
	s_cbranch_execz .LBB307_3
; %bb.2:
	v_lshrrev_b32_e32 v3, 1, v0
	v_and_b32_e32 v3, 0x70, v3
	s_waitcnt lgkmcnt(2)
	ds_write_b8 v3, v8
	s_waitcnt lgkmcnt(1)
	ds_write_b64 v3, v[1:2] offset:8
.LBB307_3:
	s_or_b32 exec_lo, exec_lo, s0
	s_mov_b32 s0, exec_lo
	s_waitcnt lgkmcnt(0)
	s_barrier
	buffer_gl0_inv
	v_cmpx_gt_u32_e32 32, v0
	s_cbranch_execz .LBB307_17
; %bb.4:
	v_and_b32_e32 v8, 7, v7
	v_lshlrev_b32_e32 v1, 4, v8
	v_cmp_ne_u32_e32 vcc_lo, 7, v8
	ds_read_u8 v11, v1
	ds_read_b64 v[3:4], v1 offset:8
	v_add_co_ci_u32_e64 v2, null, 0, v7, vcc_lo
	v_lshlrev_b32_e32 v2, 2, v2
	s_waitcnt lgkmcnt(1)
	v_and_b32_e32 v1, 0xff, v11
	s_waitcnt lgkmcnt(0)
	ds_bpermute_b32 v5, v2, v3
	ds_bpermute_b32 v6, v2, v4
	;; [unrolled: 1-line block ×3, first 2 shown]
	s_waitcnt lgkmcnt(0)
	v_and_b32_e32 v1, v11, v12
	v_and_b32_e32 v1, 1, v1
	v_cmp_eq_u32_e32 vcc_lo, 1, v1
                                        ; implicit-def: $vgpr1_vgpr2
	s_and_saveexec_b32 s1, vcc_lo
	s_xor_b32 s1, exec_lo, s1
; %bb.5:
	v_cmp_lt_i64_e32 vcc_lo, v[5:6], v[3:4]
                                        ; implicit-def: $vgpr11
                                        ; implicit-def: $vgpr12
	v_cndmask_b32_e32 v2, v4, v6, vcc_lo
	v_cndmask_b32_e32 v1, v3, v5, vcc_lo
                                        ; implicit-def: $vgpr5_vgpr6
                                        ; implicit-def: $vgpr3_vgpr4
; %bb.6:
	s_or_saveexec_b32 s1, s1
	v_mov_b32_e32 v10, 1
	s_xor_b32 exec_lo, exec_lo, s1
; %bb.7:
	v_and_b32_e32 v1, 1, v11
	v_and_b32_e32 v10, 0xff, v12
	v_cmp_eq_u32_e32 vcc_lo, 1, v1
	v_cndmask_b32_e32 v2, v6, v4, vcc_lo
	v_cndmask_b32_e32 v1, v5, v3, vcc_lo
	v_cndmask_b32_e64 v10, v10, 1, vcc_lo
; %bb.8:
	s_or_b32 exec_lo, exec_lo, s1
	v_cmp_gt_u32_e32 vcc_lo, 6, v8
	v_cndmask_b32_e64 v3, 0, 2, vcc_lo
	v_add_lshl_u32 v3, v3, v7, 2
	ds_bpermute_b32 v8, v3, v10
	ds_bpermute_b32 v5, v3, v1
	;; [unrolled: 1-line block ×3, first 2 shown]
	s_waitcnt lgkmcnt(2)
	v_and_b32_e32 v3, v10, v8
	v_and_b32_e32 v3, 1, v3
	v_cmp_eq_u32_e32 vcc_lo, 1, v3
                                        ; implicit-def: $vgpr3_vgpr4
	s_and_saveexec_b32 s1, vcc_lo
	s_xor_b32 s1, exec_lo, s1
	s_cbranch_execz .LBB307_10
; %bb.9:
	s_waitcnt lgkmcnt(0)
	v_cmp_lt_i64_e32 vcc_lo, v[5:6], v[1:2]
                                        ; implicit-def: $vgpr10
                                        ; implicit-def: $vgpr8
	v_cndmask_b32_e32 v4, v2, v6, vcc_lo
	v_cndmask_b32_e32 v3, v1, v5, vcc_lo
                                        ; implicit-def: $vgpr5_vgpr6
                                        ; implicit-def: $vgpr1_vgpr2
.LBB307_10:
	s_or_saveexec_b32 s1, s1
	v_lshlrev_b32_e32 v12, 2, v7
	v_mov_b32_e32 v11, 1
	s_xor_b32 exec_lo, exec_lo, s1
	s_cbranch_execz .LBB307_12
; %bb.11:
	v_and_b32_e32 v3, 1, v10
	v_and_b32_e32 v8, 0xff, v8
	v_cmp_eq_u32_e32 vcc_lo, 1, v3
	s_waitcnt lgkmcnt(0)
	v_cndmask_b32_e32 v4, v6, v2, vcc_lo
	v_cndmask_b32_e32 v3, v5, v1, vcc_lo
	v_cndmask_b32_e64 v11, v8, 1, vcc_lo
.LBB307_12:
	s_or_b32 exec_lo, exec_lo, s1
	v_or_b32_e32 v1, 16, v12
	ds_bpermute_b32 v10, v1, v11
	s_waitcnt lgkmcnt(2)
	ds_bpermute_b32 v5, v1, v3
	s_waitcnt lgkmcnt(2)
	;; [unrolled: 2-line block ×3, first 2 shown]
	v_and_b32_e32 v1, v11, v10
	v_and_b32_e32 v1, 1, v1
	v_cmp_eq_u32_e32 vcc_lo, 1, v1
                                        ; implicit-def: $vgpr1_vgpr2
	s_and_saveexec_b32 s1, vcc_lo
	s_xor_b32 s1, exec_lo, s1
	s_cbranch_execz .LBB307_14
; %bb.13:
	s_waitcnt lgkmcnt(0)
	v_cmp_lt_i64_e32 vcc_lo, v[5:6], v[3:4]
                                        ; implicit-def: $vgpr11
                                        ; implicit-def: $vgpr10
	v_cndmask_b32_e32 v2, v4, v6, vcc_lo
	v_cndmask_b32_e32 v1, v3, v5, vcc_lo
                                        ; implicit-def: $vgpr5_vgpr6
                                        ; implicit-def: $vgpr3_vgpr4
.LBB307_14:
	s_or_saveexec_b32 s1, s1
	v_mov_b32_e32 v8, 1
	s_xor_b32 exec_lo, exec_lo, s1
	s_cbranch_execz .LBB307_16
; %bb.15:
	v_and_b32_e32 v1, 1, v11
	v_cmp_eq_u32_e32 vcc_lo, 1, v1
	s_waitcnt lgkmcnt(0)
	v_cndmask_b32_e32 v2, v6, v4, vcc_lo
	v_cndmask_b32_e32 v1, v5, v3, vcc_lo
	v_cndmask_b32_e64 v8, v10, 1, vcc_lo
.LBB307_16:
	s_or_b32 exec_lo, exec_lo, s1
.LBB307_17:
	s_or_b32 exec_lo, exec_lo, s0
	s_load_dwordx2 s[8:9], s[4:5], 0x58
	s_branch .LBB307_76
.LBB307_18:
                                        ; implicit-def: $vgpr1_vgpr2
                                        ; implicit-def: $vgpr8
	s_load_dwordx2 s[8:9], s[4:5], 0x58
	s_cbranch_execz .LBB307_76
; %bb.19:
	v_mov_b32_e32 v3, 0
	v_mov_b32_e32 v1, 0
	s_waitcnt lgkmcnt(0)
	v_mov_b32_e32 v5, 0
	v_mov_b32_e32 v4, 0
	;; [unrolled: 1-line block ×4, first 2 shown]
	s_sub_i32 s22, s12, s22
	s_mov_b32 s0, exec_lo
	v_cmpx_gt_u32_e64 s22, v0
	s_cbranch_execz .LBB307_21
; %bb.20:
	s_clause 0x1
	global_load_ushort v6, v9, s[2:3]
	global_load_ushort v8, v9, s[20:21]
	v_add_co_u32 v1, s1, s10, v0
	v_add_co_ci_u32_e64 v2, null, s11, 0, s1
	s_waitcnt vmcnt(0)
	v_cmp_ne_u16_e32 vcc_lo, v6, v8
	v_cndmask_b32_e64 v6, 0, 1, vcc_lo
.LBB307_21:
	s_or_b32 exec_lo, exec_lo, s0
	v_or_b32_e32 v8, 0x100, v0
	v_cmp_gt_u32_e32 vcc_lo, s22, v8
	s_and_saveexec_b32 s1, vcc_lo
	s_cbranch_execz .LBB307_23
; %bb.22:
	s_clause 0x1
	global_load_ushort v5, v9, s[2:3] offset:512
	global_load_ushort v9, v9, s[20:21] offset:512
	v_add_co_u32 v3, s0, s10, v8
	v_add_co_ci_u32_e64 v4, null, s11, 0, s0
	s_waitcnt vmcnt(0)
	v_cmp_ne_u16_e64 s0, v5, v9
	v_cndmask_b32_e64 v5, 0, 1, s0
.LBB307_23:
	s_or_b32 exec_lo, exec_lo, s1
	v_and_b32_e32 v8, 1, v5
	v_cmp_lt_i64_e64 s0, v[3:4], v[1:2]
	v_and_b32_e32 v9, 1, v6
	v_and_b32_e32 v5, 0xffff, v5
	;; [unrolled: 1-line block ×3, first 2 shown]
	v_cmp_eq_u32_e64 s1, 1, v8
	v_cmp_eq_u32_e64 s2, 1, v9
	s_and_b32 s0, s1, s0
	s_mov_b32 s1, exec_lo
	v_cndmask_b32_e64 v8, v2, v4, s0
	v_cndmask_b32_e64 v9, v1, v3, s0
	v_cmp_ne_u32_e64 s0, 31, v7
	v_cndmask_b32_e64 v5, v5, 1, s2
	v_cndmask_b32_e64 v4, v4, v8, s2
	;; [unrolled: 1-line block ×3, first 2 shown]
	v_add_co_ci_u32_e64 v10, null, 0, v7, s0
	v_cndmask_b32_e32 v8, v6, v5, vcc_lo
	v_cndmask_b32_e32 v2, v2, v4, vcc_lo
	;; [unrolled: 1-line block ×3, first 2 shown]
	v_lshlrev_b32_e32 v9, 2, v10
	v_and_b32_e32 v5, 0xe0, v0
	s_min_u32 s0, s22, 0x100
	ds_bpermute_b32 v6, v9, v8
	ds_bpermute_b32 v3, v9, v1
	;; [unrolled: 1-line block ×3, first 2 shown]
	v_sub_nc_u32_e64 v5, s0, v5 clamp
	v_add_nc_u32_e32 v9, 1, v7
	v_cmpx_lt_u32_e64 v9, v5
	s_cbranch_execz .LBB307_29
; %bb.24:
	s_waitcnt lgkmcnt(2)
	v_and_b32_e32 v9, v8, v6
	s_mov_b32 s2, exec_lo
	v_cmpx_ne_u32_e32 0, v9
	s_xor_b32 s2, exec_lo, s2
	s_cbranch_execz .LBB307_26
; %bb.25:
	s_waitcnt lgkmcnt(0)
	v_cmp_lt_i64_e32 vcc_lo, v[3:4], v[1:2]
                                        ; implicit-def: $vgpr8
                                        ; implicit-def: $vgpr6
	v_cndmask_b32_e32 v2, v2, v4, vcc_lo
	v_cndmask_b32_e32 v1, v1, v3, vcc_lo
                                        ; implicit-def: $vgpr3_vgpr4
.LBB307_26:
	s_or_saveexec_b32 s2, s2
	v_mov_b32_e32 v9, 1
	s_xor_b32 exec_lo, exec_lo, s2
	s_cbranch_execz .LBB307_28
; %bb.27:
	v_and_b32_e32 v8, 1, v8
	v_and_b32_e32 v6, 0xff, v6
	v_cmp_eq_u32_e32 vcc_lo, 1, v8
	s_waitcnt lgkmcnt(0)
	v_cndmask_b32_e32 v2, v4, v2, vcc_lo
	v_cndmask_b32_e32 v1, v3, v1, vcc_lo
	v_cndmask_b32_e64 v9, v6, 1, vcc_lo
.LBB307_28:
	s_or_b32 exec_lo, exec_lo, s2
	v_mov_b32_e32 v8, v9
.LBB307_29:
	s_or_b32 exec_lo, exec_lo, s1
	v_cmp_gt_u32_e32 vcc_lo, 30, v7
	v_add_nc_u32_e32 v9, 2, v7
	s_mov_b32 s1, exec_lo
	s_waitcnt lgkmcnt(1)
	v_cndmask_b32_e64 v3, 0, 2, vcc_lo
	s_waitcnt lgkmcnt(0)
	v_add_lshl_u32 v4, v3, v7, 2
	ds_bpermute_b32 v6, v4, v8
	ds_bpermute_b32 v3, v4, v1
	ds_bpermute_b32 v4, v4, v2
	v_cmpx_lt_u32_e64 v9, v5
	s_cbranch_execz .LBB307_35
; %bb.30:
	s_waitcnt lgkmcnt(2)
	v_and_b32_e32 v9, v8, v6
	s_mov_b32 s2, exec_lo
	v_and_b32_e32 v9, 1, v9
	v_cmpx_eq_u32_e32 1, v9
	s_xor_b32 s2, exec_lo, s2
	s_cbranch_execz .LBB307_32
; %bb.31:
	s_waitcnt lgkmcnt(0)
	v_cmp_lt_i64_e32 vcc_lo, v[3:4], v[1:2]
                                        ; implicit-def: $vgpr8
                                        ; implicit-def: $vgpr6
	v_cndmask_b32_e32 v2, v2, v4, vcc_lo
	v_cndmask_b32_e32 v1, v1, v3, vcc_lo
                                        ; implicit-def: $vgpr3_vgpr4
.LBB307_32:
	s_or_saveexec_b32 s2, s2
	v_mov_b32_e32 v9, 1
	s_xor_b32 exec_lo, exec_lo, s2
	s_cbranch_execz .LBB307_34
; %bb.33:
	v_and_b32_e32 v8, 1, v8
	v_and_b32_e32 v6, 0xff, v6
	v_cmp_eq_u32_e32 vcc_lo, 1, v8
	s_waitcnt lgkmcnt(0)
	v_cndmask_b32_e32 v2, v4, v2, vcc_lo
	v_cndmask_b32_e32 v1, v3, v1, vcc_lo
	v_cndmask_b32_e64 v9, v6, 1, vcc_lo
.LBB307_34:
	s_or_b32 exec_lo, exec_lo, s2
	v_mov_b32_e32 v8, v9
.LBB307_35:
	s_or_b32 exec_lo, exec_lo, s1
	v_cmp_gt_u32_e32 vcc_lo, 28, v7
	v_add_nc_u32_e32 v9, 4, v7
	s_mov_b32 s1, exec_lo
	s_waitcnt lgkmcnt(1)
	v_cndmask_b32_e64 v3, 0, 4, vcc_lo
	s_waitcnt lgkmcnt(0)
	v_add_lshl_u32 v4, v3, v7, 2
	ds_bpermute_b32 v6, v4, v8
	ds_bpermute_b32 v3, v4, v1
	ds_bpermute_b32 v4, v4, v2
	v_cmpx_lt_u32_e64 v9, v5
	s_cbranch_execz .LBB307_41
; %bb.36:
	s_waitcnt lgkmcnt(2)
	v_and_b32_e32 v9, v8, v6
	s_mov_b32 s2, exec_lo
	v_and_b32_e32 v9, 1, v9
	v_cmpx_eq_u32_e32 1, v9
	s_xor_b32 s2, exec_lo, s2
	s_cbranch_execz .LBB307_38
; %bb.37:
	s_waitcnt lgkmcnt(0)
	v_cmp_lt_i64_e32 vcc_lo, v[3:4], v[1:2]
                                        ; implicit-def: $vgpr8
                                        ; implicit-def: $vgpr6
	v_cndmask_b32_e32 v2, v2, v4, vcc_lo
	v_cndmask_b32_e32 v1, v1, v3, vcc_lo
                                        ; implicit-def: $vgpr3_vgpr4
.LBB307_38:
	s_or_saveexec_b32 s2, s2
	v_mov_b32_e32 v9, 1
	s_xor_b32 exec_lo, exec_lo, s2
	s_cbranch_execz .LBB307_40
; %bb.39:
	v_and_b32_e32 v8, 1, v8
	v_and_b32_e32 v6, 0xff, v6
	v_cmp_eq_u32_e32 vcc_lo, 1, v8
	s_waitcnt lgkmcnt(0)
	v_cndmask_b32_e32 v2, v4, v2, vcc_lo
	v_cndmask_b32_e32 v1, v3, v1, vcc_lo
	v_cndmask_b32_e64 v9, v6, 1, vcc_lo
.LBB307_40:
	s_or_b32 exec_lo, exec_lo, s2
	v_mov_b32_e32 v8, v9
.LBB307_41:
	;; [unrolled: 46-line block ×3, first 2 shown]
	s_or_b32 exec_lo, exec_lo, s1
	s_waitcnt lgkmcnt(2)
	v_lshlrev_b32_e32 v6, 2, v7
	v_add_nc_u32_e32 v10, 16, v7
	s_waitcnt lgkmcnt(0)
	v_or_b32_e32 v4, 64, v6
	v_cmp_lt_u32_e32 vcc_lo, v10, v5
	v_mov_b32_e32 v5, v8
	ds_bpermute_b32 v9, v4, v8
	ds_bpermute_b32 v3, v4, v1
	;; [unrolled: 1-line block ×3, first 2 shown]
	s_and_saveexec_b32 s1, vcc_lo
	s_cbranch_execz .LBB307_53
; %bb.48:
	s_waitcnt lgkmcnt(2)
	v_and_b32_e32 v5, v8, v9
	s_mov_b32 s2, exec_lo
	v_and_b32_e32 v5, 1, v5
	v_cmpx_eq_u32_e32 1, v5
	s_xor_b32 s2, exec_lo, s2
	s_cbranch_execz .LBB307_50
; %bb.49:
	s_waitcnt lgkmcnt(0)
	v_cmp_lt_i64_e32 vcc_lo, v[3:4], v[1:2]
                                        ; implicit-def: $vgpr8
                                        ; implicit-def: $vgpr9
	v_cndmask_b32_e32 v2, v2, v4, vcc_lo
	v_cndmask_b32_e32 v1, v1, v3, vcc_lo
                                        ; implicit-def: $vgpr3_vgpr4
.LBB307_50:
	s_or_saveexec_b32 s2, s2
	v_mov_b32_e32 v5, 1
	s_xor_b32 exec_lo, exec_lo, s2
	s_cbranch_execz .LBB307_52
; %bb.51:
	v_and_b32_e32 v5, 1, v8
	v_cmp_eq_u32_e32 vcc_lo, 1, v5
	v_cndmask_b32_e64 v5, v9, 1, vcc_lo
	s_waitcnt lgkmcnt(0)
	v_cndmask_b32_e32 v2, v4, v2, vcc_lo
	v_cndmask_b32_e32 v1, v3, v1, vcc_lo
.LBB307_52:
	s_or_b32 exec_lo, exec_lo, s2
	v_and_b32_e32 v8, 0xff, v5
.LBB307_53:
	s_or_b32 exec_lo, exec_lo, s1
	s_mov_b32 s1, exec_lo
	v_cmpx_eq_u32_e32 0, v7
	s_cbranch_execz .LBB307_55
; %bb.54:
	s_waitcnt lgkmcnt(1)
	v_lshrrev_b32_e32 v3, 1, v0
	v_and_b32_e32 v3, 0x70, v3
	ds_write_b8 v3, v5 offset:128
	ds_write_b64 v3, v[1:2] offset:136
.LBB307_55:
	s_or_b32 exec_lo, exec_lo, s1
	s_mov_b32 s1, exec_lo
	s_waitcnt lgkmcnt(0)
	s_barrier
	buffer_gl0_inv
	v_cmpx_gt_u32_e32 8, v0
	s_cbranch_execz .LBB307_75
; %bb.56:
	v_lshlrev_b32_e32 v1, 4, v7
	v_and_b32_e32 v5, 7, v7
	s_add_i32 s0, s0, 31
	s_mov_b32 s2, exec_lo
	s_lshr_b32 s0, s0, 5
	ds_read_u8 v9, v1 offset:128
	ds_read_b64 v[1:2], v1 offset:136
	v_cmp_ne_u32_e32 vcc_lo, 7, v5
	v_add_nc_u32_e32 v11, 1, v5
	v_add_co_ci_u32_e64 v3, null, 0, v7, vcc_lo
	v_lshlrev_b32_e32 v4, 2, v3
	s_waitcnt lgkmcnt(1)
	v_and_b32_e32 v8, 0xff, v9
	s_waitcnt lgkmcnt(0)
	ds_bpermute_b32 v3, v4, v1
	ds_bpermute_b32 v10, v4, v8
	;; [unrolled: 1-line block ×3, first 2 shown]
	v_cmpx_gt_u32_e64 s0, v11
	s_cbranch_execz .LBB307_62
; %bb.57:
	s_waitcnt lgkmcnt(1)
	v_and_b32_e32 v8, v8, v10
	s_mov_b32 s3, exec_lo
	v_and_b32_e32 v8, 1, v8
	v_cmpx_eq_u32_e32 1, v8
	s_xor_b32 s3, exec_lo, s3
	s_cbranch_execz .LBB307_59
; %bb.58:
	s_waitcnt lgkmcnt(0)
	v_cmp_lt_i64_e32 vcc_lo, v[3:4], v[1:2]
                                        ; implicit-def: $vgpr9
                                        ; implicit-def: $vgpr10
	v_cndmask_b32_e32 v2, v2, v4, vcc_lo
	v_cndmask_b32_e32 v1, v1, v3, vcc_lo
                                        ; implicit-def: $vgpr3_vgpr4
.LBB307_59:
	s_or_saveexec_b32 s3, s3
	v_mov_b32_e32 v8, 1
	s_xor_b32 exec_lo, exec_lo, s3
	s_cbranch_execz .LBB307_61
; %bb.60:
	v_and_b32_e32 v8, 1, v9
	v_cmp_eq_u32_e32 vcc_lo, 1, v8
	v_and_b32_e32 v8, 0xff, v10
	s_waitcnt lgkmcnt(0)
	v_cndmask_b32_e32 v2, v4, v2, vcc_lo
	v_cndmask_b32_e32 v1, v3, v1, vcc_lo
	v_cndmask_b32_e64 v8, v8, 1, vcc_lo
.LBB307_61:
	s_or_b32 exec_lo, exec_lo, s3
.LBB307_62:
	s_or_b32 exec_lo, exec_lo, s2
	v_cmp_gt_u32_e32 vcc_lo, 6, v5
	v_add_nc_u32_e32 v9, 2, v5
	s_mov_b32 s2, exec_lo
	s_waitcnt lgkmcnt(2)
	v_cndmask_b32_e64 v3, 0, 2, vcc_lo
	s_waitcnt lgkmcnt(0)
	v_add_lshl_u32 v4, v3, v7, 2
	ds_bpermute_b32 v7, v4, v8
	ds_bpermute_b32 v3, v4, v1
	;; [unrolled: 1-line block ×3, first 2 shown]
	v_cmpx_gt_u32_e64 s0, v9
	s_cbranch_execz .LBB307_68
; %bb.63:
	s_waitcnt lgkmcnt(2)
	v_and_b32_e32 v9, v8, v7
	s_mov_b32 s3, exec_lo
	v_and_b32_e32 v9, 1, v9
	v_cmpx_eq_u32_e32 1, v9
	s_xor_b32 s3, exec_lo, s3
	s_cbranch_execz .LBB307_65
; %bb.64:
	s_waitcnt lgkmcnt(0)
	v_cmp_lt_i64_e32 vcc_lo, v[3:4], v[1:2]
                                        ; implicit-def: $vgpr8
                                        ; implicit-def: $vgpr7
	v_cndmask_b32_e32 v2, v2, v4, vcc_lo
	v_cndmask_b32_e32 v1, v1, v3, vcc_lo
                                        ; implicit-def: $vgpr3_vgpr4
.LBB307_65:
	s_or_saveexec_b32 s3, s3
	v_mov_b32_e32 v9, 1
	s_xor_b32 exec_lo, exec_lo, s3
	s_cbranch_execz .LBB307_67
; %bb.66:
	v_and_b32_e32 v8, 1, v8
	v_and_b32_e32 v7, 0xff, v7
	v_cmp_eq_u32_e32 vcc_lo, 1, v8
	s_waitcnt lgkmcnt(0)
	v_cndmask_b32_e32 v2, v4, v2, vcc_lo
	v_cndmask_b32_e32 v1, v3, v1, vcc_lo
	v_cndmask_b32_e64 v9, v7, 1, vcc_lo
.LBB307_67:
	s_or_b32 exec_lo, exec_lo, s3
	v_mov_b32_e32 v8, v9
.LBB307_68:
	s_or_b32 exec_lo, exec_lo, s2
	s_waitcnt lgkmcnt(0)
	v_or_b32_e32 v4, 16, v6
	v_add_nc_u32_e32 v5, 4, v5
	ds_bpermute_b32 v6, v4, v8
	ds_bpermute_b32 v3, v4, v1
	;; [unrolled: 1-line block ×3, first 2 shown]
	v_cmp_gt_u32_e32 vcc_lo, s0, v5
	s_and_saveexec_b32 s0, vcc_lo
	s_cbranch_execz .LBB307_74
; %bb.69:
	s_waitcnt lgkmcnt(2)
	v_and_b32_e32 v5, v8, v6
	s_mov_b32 s2, exec_lo
	v_and_b32_e32 v5, 1, v5
	v_cmpx_eq_u32_e32 1, v5
	s_xor_b32 s2, exec_lo, s2
	s_cbranch_execz .LBB307_71
; %bb.70:
	s_waitcnt lgkmcnt(0)
	v_cmp_lt_i64_e32 vcc_lo, v[3:4], v[1:2]
                                        ; implicit-def: $vgpr8
                                        ; implicit-def: $vgpr6
	v_cndmask_b32_e32 v2, v2, v4, vcc_lo
	v_cndmask_b32_e32 v1, v1, v3, vcc_lo
                                        ; implicit-def: $vgpr3_vgpr4
.LBB307_71:
	s_or_saveexec_b32 s2, s2
	v_mov_b32_e32 v5, 1
	s_xor_b32 exec_lo, exec_lo, s2
	s_cbranch_execz .LBB307_73
; %bb.72:
	v_and_b32_e32 v5, 1, v8
	v_cmp_eq_u32_e32 vcc_lo, 1, v5
	s_waitcnt lgkmcnt(0)
	v_cndmask_b32_e32 v2, v4, v2, vcc_lo
	v_cndmask_b32_e32 v1, v3, v1, vcc_lo
	v_cndmask_b32_e64 v5, v6, 1, vcc_lo
.LBB307_73:
	s_or_b32 exec_lo, exec_lo, s2
	v_mov_b32_e32 v8, v5
.LBB307_74:
	s_or_b32 exec_lo, exec_lo, s0
.LBB307_75:
	s_or_b32 exec_lo, exec_lo, s1
.LBB307_76:
	s_load_dword s0, s[4:5], 0x50
	s_mov_b32 s1, exec_lo
	v_cmpx_eq_u32_e32 0, v0
	s_cbranch_execz .LBB307_78
; %bb.77:
	s_mul_i32 s1, s18, s17
	s_mul_hi_u32 s2, s18, s16
	s_mul_i32 s3, s19, s16
	s_add_i32 s1, s2, s1
	s_mul_i32 s2, s18, s16
	s_add_i32 s3, s1, s3
	v_mov_b32_e32 v0, 0
	s_lshl_b64 s[2:3], s[2:3], 4
	s_add_u32 s1, s14, s2
	s_addc_u32 s4, s15, s3
	s_cmp_eq_u64 s[12:13], 0
	s_cselect_b32 s5, -1, 0
	s_lshl_b64 s[2:3], s[6:7], 4
	s_waitcnt lgkmcnt(0)
	v_cndmask_b32_e64 v3, v8, s0, s5
	v_cndmask_b32_e64 v2, v2, s9, s5
	;; [unrolled: 1-line block ×3, first 2 shown]
	s_add_u32 s0, s1, s2
	s_addc_u32 s1, s4, s3
	global_store_byte v0, v3, s[0:1]
	global_store_dwordx2 v0, v[1:2], s[0:1] offset:8
.LBB307_78:
	s_endpgm
	.section	.rodata,"a",@progbits
	.p2align	6, 0x0
	.amdhsa_kernel _ZN7rocprim17ROCPRIM_400000_NS6detail17trampoline_kernelINS0_14default_configENS1_22reduce_config_selectorIN6thrust23THRUST_200600_302600_NS5tupleIblNS6_9null_typeES8_S8_S8_S8_S8_S8_S8_EEEEZNS1_11reduce_implILb1ES3_NS6_12zip_iteratorINS7_INS6_11hip_rocprim26transform_input_iterator_tIbNSD_35transform_pair_of_input_iterators_tIbNS6_6detail15normal_iteratorINS6_10device_ptrIKtEEEESL_NS6_8equal_toItEEEENSG_9not_fun_tINSD_8identityEEEEENSD_19counting_iterator_tIlEES8_S8_S8_S8_S8_S8_S8_S8_EEEEPS9_S9_NSD_9__find_if7functorIS9_EEEE10hipError_tPvRmT1_T2_T3_mT4_P12ihipStream_tbEUlT_E0_NS1_11comp_targetILNS1_3genE8ELNS1_11target_archE1030ELNS1_3gpuE2ELNS1_3repE0EEENS1_30default_config_static_selectorELNS0_4arch9wavefront6targetE0EEEvS14_
		.amdhsa_group_segment_fixed_size 256
		.amdhsa_private_segment_fixed_size 0
		.amdhsa_kernarg_size 104
		.amdhsa_user_sgpr_count 6
		.amdhsa_user_sgpr_private_segment_buffer 1
		.amdhsa_user_sgpr_dispatch_ptr 0
		.amdhsa_user_sgpr_queue_ptr 0
		.amdhsa_user_sgpr_kernarg_segment_ptr 1
		.amdhsa_user_sgpr_dispatch_id 0
		.amdhsa_user_sgpr_flat_scratch_init 0
		.amdhsa_user_sgpr_private_segment_size 0
		.amdhsa_wavefront_size32 1
		.amdhsa_uses_dynamic_stack 0
		.amdhsa_system_sgpr_private_segment_wavefront_offset 0
		.amdhsa_system_sgpr_workgroup_id_x 1
		.amdhsa_system_sgpr_workgroup_id_y 0
		.amdhsa_system_sgpr_workgroup_id_z 0
		.amdhsa_system_sgpr_workgroup_info 0
		.amdhsa_system_vgpr_workitem_id 0
		.amdhsa_next_free_vgpr 13
		.amdhsa_next_free_sgpr 28
		.amdhsa_reserve_vcc 1
		.amdhsa_reserve_flat_scratch 0
		.amdhsa_float_round_mode_32 0
		.amdhsa_float_round_mode_16_64 0
		.amdhsa_float_denorm_mode_32 3
		.amdhsa_float_denorm_mode_16_64 3
		.amdhsa_dx10_clamp 1
		.amdhsa_ieee_mode 1
		.amdhsa_fp16_overflow 0
		.amdhsa_workgroup_processor_mode 1
		.amdhsa_memory_ordered 1
		.amdhsa_forward_progress 1
		.amdhsa_shared_vgpr_count 0
		.amdhsa_exception_fp_ieee_invalid_op 0
		.amdhsa_exception_fp_denorm_src 0
		.amdhsa_exception_fp_ieee_div_zero 0
		.amdhsa_exception_fp_ieee_overflow 0
		.amdhsa_exception_fp_ieee_underflow 0
		.amdhsa_exception_fp_ieee_inexact 0
		.amdhsa_exception_int_div_zero 0
	.end_amdhsa_kernel
	.section	.text._ZN7rocprim17ROCPRIM_400000_NS6detail17trampoline_kernelINS0_14default_configENS1_22reduce_config_selectorIN6thrust23THRUST_200600_302600_NS5tupleIblNS6_9null_typeES8_S8_S8_S8_S8_S8_S8_EEEEZNS1_11reduce_implILb1ES3_NS6_12zip_iteratorINS7_INS6_11hip_rocprim26transform_input_iterator_tIbNSD_35transform_pair_of_input_iterators_tIbNS6_6detail15normal_iteratorINS6_10device_ptrIKtEEEESL_NS6_8equal_toItEEEENSG_9not_fun_tINSD_8identityEEEEENSD_19counting_iterator_tIlEES8_S8_S8_S8_S8_S8_S8_S8_EEEEPS9_S9_NSD_9__find_if7functorIS9_EEEE10hipError_tPvRmT1_T2_T3_mT4_P12ihipStream_tbEUlT_E0_NS1_11comp_targetILNS1_3genE8ELNS1_11target_archE1030ELNS1_3gpuE2ELNS1_3repE0EEENS1_30default_config_static_selectorELNS0_4arch9wavefront6targetE0EEEvS14_,"axG",@progbits,_ZN7rocprim17ROCPRIM_400000_NS6detail17trampoline_kernelINS0_14default_configENS1_22reduce_config_selectorIN6thrust23THRUST_200600_302600_NS5tupleIblNS6_9null_typeES8_S8_S8_S8_S8_S8_S8_EEEEZNS1_11reduce_implILb1ES3_NS6_12zip_iteratorINS7_INS6_11hip_rocprim26transform_input_iterator_tIbNSD_35transform_pair_of_input_iterators_tIbNS6_6detail15normal_iteratorINS6_10device_ptrIKtEEEESL_NS6_8equal_toItEEEENSG_9not_fun_tINSD_8identityEEEEENSD_19counting_iterator_tIlEES8_S8_S8_S8_S8_S8_S8_S8_EEEEPS9_S9_NSD_9__find_if7functorIS9_EEEE10hipError_tPvRmT1_T2_T3_mT4_P12ihipStream_tbEUlT_E0_NS1_11comp_targetILNS1_3genE8ELNS1_11target_archE1030ELNS1_3gpuE2ELNS1_3repE0EEENS1_30default_config_static_selectorELNS0_4arch9wavefront6targetE0EEEvS14_,comdat
.Lfunc_end307:
	.size	_ZN7rocprim17ROCPRIM_400000_NS6detail17trampoline_kernelINS0_14default_configENS1_22reduce_config_selectorIN6thrust23THRUST_200600_302600_NS5tupleIblNS6_9null_typeES8_S8_S8_S8_S8_S8_S8_EEEEZNS1_11reduce_implILb1ES3_NS6_12zip_iteratorINS7_INS6_11hip_rocprim26transform_input_iterator_tIbNSD_35transform_pair_of_input_iterators_tIbNS6_6detail15normal_iteratorINS6_10device_ptrIKtEEEESL_NS6_8equal_toItEEEENSG_9not_fun_tINSD_8identityEEEEENSD_19counting_iterator_tIlEES8_S8_S8_S8_S8_S8_S8_S8_EEEEPS9_S9_NSD_9__find_if7functorIS9_EEEE10hipError_tPvRmT1_T2_T3_mT4_P12ihipStream_tbEUlT_E0_NS1_11comp_targetILNS1_3genE8ELNS1_11target_archE1030ELNS1_3gpuE2ELNS1_3repE0EEENS1_30default_config_static_selectorELNS0_4arch9wavefront6targetE0EEEvS14_, .Lfunc_end307-_ZN7rocprim17ROCPRIM_400000_NS6detail17trampoline_kernelINS0_14default_configENS1_22reduce_config_selectorIN6thrust23THRUST_200600_302600_NS5tupleIblNS6_9null_typeES8_S8_S8_S8_S8_S8_S8_EEEEZNS1_11reduce_implILb1ES3_NS6_12zip_iteratorINS7_INS6_11hip_rocprim26transform_input_iterator_tIbNSD_35transform_pair_of_input_iterators_tIbNS6_6detail15normal_iteratorINS6_10device_ptrIKtEEEESL_NS6_8equal_toItEEEENSG_9not_fun_tINSD_8identityEEEEENSD_19counting_iterator_tIlEES8_S8_S8_S8_S8_S8_S8_S8_EEEEPS9_S9_NSD_9__find_if7functorIS9_EEEE10hipError_tPvRmT1_T2_T3_mT4_P12ihipStream_tbEUlT_E0_NS1_11comp_targetILNS1_3genE8ELNS1_11target_archE1030ELNS1_3gpuE2ELNS1_3repE0EEENS1_30default_config_static_selectorELNS0_4arch9wavefront6targetE0EEEvS14_
                                        ; -- End function
	.set _ZN7rocprim17ROCPRIM_400000_NS6detail17trampoline_kernelINS0_14default_configENS1_22reduce_config_selectorIN6thrust23THRUST_200600_302600_NS5tupleIblNS6_9null_typeES8_S8_S8_S8_S8_S8_S8_EEEEZNS1_11reduce_implILb1ES3_NS6_12zip_iteratorINS7_INS6_11hip_rocprim26transform_input_iterator_tIbNSD_35transform_pair_of_input_iterators_tIbNS6_6detail15normal_iteratorINS6_10device_ptrIKtEEEESL_NS6_8equal_toItEEEENSG_9not_fun_tINSD_8identityEEEEENSD_19counting_iterator_tIlEES8_S8_S8_S8_S8_S8_S8_S8_EEEEPS9_S9_NSD_9__find_if7functorIS9_EEEE10hipError_tPvRmT1_T2_T3_mT4_P12ihipStream_tbEUlT_E0_NS1_11comp_targetILNS1_3genE8ELNS1_11target_archE1030ELNS1_3gpuE2ELNS1_3repE0EEENS1_30default_config_static_selectorELNS0_4arch9wavefront6targetE0EEEvS14_.num_vgpr, 13
	.set _ZN7rocprim17ROCPRIM_400000_NS6detail17trampoline_kernelINS0_14default_configENS1_22reduce_config_selectorIN6thrust23THRUST_200600_302600_NS5tupleIblNS6_9null_typeES8_S8_S8_S8_S8_S8_S8_EEEEZNS1_11reduce_implILb1ES3_NS6_12zip_iteratorINS7_INS6_11hip_rocprim26transform_input_iterator_tIbNSD_35transform_pair_of_input_iterators_tIbNS6_6detail15normal_iteratorINS6_10device_ptrIKtEEEESL_NS6_8equal_toItEEEENSG_9not_fun_tINSD_8identityEEEEENSD_19counting_iterator_tIlEES8_S8_S8_S8_S8_S8_S8_S8_EEEEPS9_S9_NSD_9__find_if7functorIS9_EEEE10hipError_tPvRmT1_T2_T3_mT4_P12ihipStream_tbEUlT_E0_NS1_11comp_targetILNS1_3genE8ELNS1_11target_archE1030ELNS1_3gpuE2ELNS1_3repE0EEENS1_30default_config_static_selectorELNS0_4arch9wavefront6targetE0EEEvS14_.num_agpr, 0
	.set _ZN7rocprim17ROCPRIM_400000_NS6detail17trampoline_kernelINS0_14default_configENS1_22reduce_config_selectorIN6thrust23THRUST_200600_302600_NS5tupleIblNS6_9null_typeES8_S8_S8_S8_S8_S8_S8_EEEEZNS1_11reduce_implILb1ES3_NS6_12zip_iteratorINS7_INS6_11hip_rocprim26transform_input_iterator_tIbNSD_35transform_pair_of_input_iterators_tIbNS6_6detail15normal_iteratorINS6_10device_ptrIKtEEEESL_NS6_8equal_toItEEEENSG_9not_fun_tINSD_8identityEEEEENSD_19counting_iterator_tIlEES8_S8_S8_S8_S8_S8_S8_S8_EEEEPS9_S9_NSD_9__find_if7functorIS9_EEEE10hipError_tPvRmT1_T2_T3_mT4_P12ihipStream_tbEUlT_E0_NS1_11comp_targetILNS1_3genE8ELNS1_11target_archE1030ELNS1_3gpuE2ELNS1_3repE0EEENS1_30default_config_static_selectorELNS0_4arch9wavefront6targetE0EEEvS14_.numbered_sgpr, 28
	.set _ZN7rocprim17ROCPRIM_400000_NS6detail17trampoline_kernelINS0_14default_configENS1_22reduce_config_selectorIN6thrust23THRUST_200600_302600_NS5tupleIblNS6_9null_typeES8_S8_S8_S8_S8_S8_S8_EEEEZNS1_11reduce_implILb1ES3_NS6_12zip_iteratorINS7_INS6_11hip_rocprim26transform_input_iterator_tIbNSD_35transform_pair_of_input_iterators_tIbNS6_6detail15normal_iteratorINS6_10device_ptrIKtEEEESL_NS6_8equal_toItEEEENSG_9not_fun_tINSD_8identityEEEEENSD_19counting_iterator_tIlEES8_S8_S8_S8_S8_S8_S8_S8_EEEEPS9_S9_NSD_9__find_if7functorIS9_EEEE10hipError_tPvRmT1_T2_T3_mT4_P12ihipStream_tbEUlT_E0_NS1_11comp_targetILNS1_3genE8ELNS1_11target_archE1030ELNS1_3gpuE2ELNS1_3repE0EEENS1_30default_config_static_selectorELNS0_4arch9wavefront6targetE0EEEvS14_.num_named_barrier, 0
	.set _ZN7rocprim17ROCPRIM_400000_NS6detail17trampoline_kernelINS0_14default_configENS1_22reduce_config_selectorIN6thrust23THRUST_200600_302600_NS5tupleIblNS6_9null_typeES8_S8_S8_S8_S8_S8_S8_EEEEZNS1_11reduce_implILb1ES3_NS6_12zip_iteratorINS7_INS6_11hip_rocprim26transform_input_iterator_tIbNSD_35transform_pair_of_input_iterators_tIbNS6_6detail15normal_iteratorINS6_10device_ptrIKtEEEESL_NS6_8equal_toItEEEENSG_9not_fun_tINSD_8identityEEEEENSD_19counting_iterator_tIlEES8_S8_S8_S8_S8_S8_S8_S8_EEEEPS9_S9_NSD_9__find_if7functorIS9_EEEE10hipError_tPvRmT1_T2_T3_mT4_P12ihipStream_tbEUlT_E0_NS1_11comp_targetILNS1_3genE8ELNS1_11target_archE1030ELNS1_3gpuE2ELNS1_3repE0EEENS1_30default_config_static_selectorELNS0_4arch9wavefront6targetE0EEEvS14_.private_seg_size, 0
	.set _ZN7rocprim17ROCPRIM_400000_NS6detail17trampoline_kernelINS0_14default_configENS1_22reduce_config_selectorIN6thrust23THRUST_200600_302600_NS5tupleIblNS6_9null_typeES8_S8_S8_S8_S8_S8_S8_EEEEZNS1_11reduce_implILb1ES3_NS6_12zip_iteratorINS7_INS6_11hip_rocprim26transform_input_iterator_tIbNSD_35transform_pair_of_input_iterators_tIbNS6_6detail15normal_iteratorINS6_10device_ptrIKtEEEESL_NS6_8equal_toItEEEENSG_9not_fun_tINSD_8identityEEEEENSD_19counting_iterator_tIlEES8_S8_S8_S8_S8_S8_S8_S8_EEEEPS9_S9_NSD_9__find_if7functorIS9_EEEE10hipError_tPvRmT1_T2_T3_mT4_P12ihipStream_tbEUlT_E0_NS1_11comp_targetILNS1_3genE8ELNS1_11target_archE1030ELNS1_3gpuE2ELNS1_3repE0EEENS1_30default_config_static_selectorELNS0_4arch9wavefront6targetE0EEEvS14_.uses_vcc, 1
	.set _ZN7rocprim17ROCPRIM_400000_NS6detail17trampoline_kernelINS0_14default_configENS1_22reduce_config_selectorIN6thrust23THRUST_200600_302600_NS5tupleIblNS6_9null_typeES8_S8_S8_S8_S8_S8_S8_EEEEZNS1_11reduce_implILb1ES3_NS6_12zip_iteratorINS7_INS6_11hip_rocprim26transform_input_iterator_tIbNSD_35transform_pair_of_input_iterators_tIbNS6_6detail15normal_iteratorINS6_10device_ptrIKtEEEESL_NS6_8equal_toItEEEENSG_9not_fun_tINSD_8identityEEEEENSD_19counting_iterator_tIlEES8_S8_S8_S8_S8_S8_S8_S8_EEEEPS9_S9_NSD_9__find_if7functorIS9_EEEE10hipError_tPvRmT1_T2_T3_mT4_P12ihipStream_tbEUlT_E0_NS1_11comp_targetILNS1_3genE8ELNS1_11target_archE1030ELNS1_3gpuE2ELNS1_3repE0EEENS1_30default_config_static_selectorELNS0_4arch9wavefront6targetE0EEEvS14_.uses_flat_scratch, 0
	.set _ZN7rocprim17ROCPRIM_400000_NS6detail17trampoline_kernelINS0_14default_configENS1_22reduce_config_selectorIN6thrust23THRUST_200600_302600_NS5tupleIblNS6_9null_typeES8_S8_S8_S8_S8_S8_S8_EEEEZNS1_11reduce_implILb1ES3_NS6_12zip_iteratorINS7_INS6_11hip_rocprim26transform_input_iterator_tIbNSD_35transform_pair_of_input_iterators_tIbNS6_6detail15normal_iteratorINS6_10device_ptrIKtEEEESL_NS6_8equal_toItEEEENSG_9not_fun_tINSD_8identityEEEEENSD_19counting_iterator_tIlEES8_S8_S8_S8_S8_S8_S8_S8_EEEEPS9_S9_NSD_9__find_if7functorIS9_EEEE10hipError_tPvRmT1_T2_T3_mT4_P12ihipStream_tbEUlT_E0_NS1_11comp_targetILNS1_3genE8ELNS1_11target_archE1030ELNS1_3gpuE2ELNS1_3repE0EEENS1_30default_config_static_selectorELNS0_4arch9wavefront6targetE0EEEvS14_.has_dyn_sized_stack, 0
	.set _ZN7rocprim17ROCPRIM_400000_NS6detail17trampoline_kernelINS0_14default_configENS1_22reduce_config_selectorIN6thrust23THRUST_200600_302600_NS5tupleIblNS6_9null_typeES8_S8_S8_S8_S8_S8_S8_EEEEZNS1_11reduce_implILb1ES3_NS6_12zip_iteratorINS7_INS6_11hip_rocprim26transform_input_iterator_tIbNSD_35transform_pair_of_input_iterators_tIbNS6_6detail15normal_iteratorINS6_10device_ptrIKtEEEESL_NS6_8equal_toItEEEENSG_9not_fun_tINSD_8identityEEEEENSD_19counting_iterator_tIlEES8_S8_S8_S8_S8_S8_S8_S8_EEEEPS9_S9_NSD_9__find_if7functorIS9_EEEE10hipError_tPvRmT1_T2_T3_mT4_P12ihipStream_tbEUlT_E0_NS1_11comp_targetILNS1_3genE8ELNS1_11target_archE1030ELNS1_3gpuE2ELNS1_3repE0EEENS1_30default_config_static_selectorELNS0_4arch9wavefront6targetE0EEEvS14_.has_recursion, 0
	.set _ZN7rocprim17ROCPRIM_400000_NS6detail17trampoline_kernelINS0_14default_configENS1_22reduce_config_selectorIN6thrust23THRUST_200600_302600_NS5tupleIblNS6_9null_typeES8_S8_S8_S8_S8_S8_S8_EEEEZNS1_11reduce_implILb1ES3_NS6_12zip_iteratorINS7_INS6_11hip_rocprim26transform_input_iterator_tIbNSD_35transform_pair_of_input_iterators_tIbNS6_6detail15normal_iteratorINS6_10device_ptrIKtEEEESL_NS6_8equal_toItEEEENSG_9not_fun_tINSD_8identityEEEEENSD_19counting_iterator_tIlEES8_S8_S8_S8_S8_S8_S8_S8_EEEEPS9_S9_NSD_9__find_if7functorIS9_EEEE10hipError_tPvRmT1_T2_T3_mT4_P12ihipStream_tbEUlT_E0_NS1_11comp_targetILNS1_3genE8ELNS1_11target_archE1030ELNS1_3gpuE2ELNS1_3repE0EEENS1_30default_config_static_selectorELNS0_4arch9wavefront6targetE0EEEvS14_.has_indirect_call, 0
	.section	.AMDGPU.csdata,"",@progbits
; Kernel info:
; codeLenInByte = 3168
; TotalNumSgprs: 30
; NumVgprs: 13
; ScratchSize: 0
; MemoryBound: 0
; FloatMode: 240
; IeeeMode: 1
; LDSByteSize: 256 bytes/workgroup (compile time only)
; SGPRBlocks: 0
; VGPRBlocks: 1
; NumSGPRsForWavesPerEU: 30
; NumVGPRsForWavesPerEU: 13
; Occupancy: 16
; WaveLimiterHint : 0
; COMPUTE_PGM_RSRC2:SCRATCH_EN: 0
; COMPUTE_PGM_RSRC2:USER_SGPR: 6
; COMPUTE_PGM_RSRC2:TRAP_HANDLER: 0
; COMPUTE_PGM_RSRC2:TGID_X_EN: 1
; COMPUTE_PGM_RSRC2:TGID_Y_EN: 0
; COMPUTE_PGM_RSRC2:TGID_Z_EN: 0
; COMPUTE_PGM_RSRC2:TIDIG_COMP_CNT: 0
	.section	.text._ZN7rocprim17ROCPRIM_400000_NS6detail17trampoline_kernelINS0_14default_configENS1_22reduce_config_selectorIN6thrust23THRUST_200600_302600_NS5tupleIblNS6_9null_typeES8_S8_S8_S8_S8_S8_S8_EEEEZNS1_11reduce_implILb1ES3_NS6_12zip_iteratorINS7_INS6_11hip_rocprim26transform_input_iterator_tIbNSD_35transform_pair_of_input_iterators_tIbNS6_6detail15normal_iteratorINS6_10device_ptrIKtEEEESL_NS6_8equal_toItEEEENSG_9not_fun_tINSD_8identityEEEEENSD_19counting_iterator_tIlEES8_S8_S8_S8_S8_S8_S8_S8_EEEEPS9_S9_NSD_9__find_if7functorIS9_EEEE10hipError_tPvRmT1_T2_T3_mT4_P12ihipStream_tbEUlT_E1_NS1_11comp_targetILNS1_3genE0ELNS1_11target_archE4294967295ELNS1_3gpuE0ELNS1_3repE0EEENS1_30default_config_static_selectorELNS0_4arch9wavefront6targetE0EEEvS14_,"axG",@progbits,_ZN7rocprim17ROCPRIM_400000_NS6detail17trampoline_kernelINS0_14default_configENS1_22reduce_config_selectorIN6thrust23THRUST_200600_302600_NS5tupleIblNS6_9null_typeES8_S8_S8_S8_S8_S8_S8_EEEEZNS1_11reduce_implILb1ES3_NS6_12zip_iteratorINS7_INS6_11hip_rocprim26transform_input_iterator_tIbNSD_35transform_pair_of_input_iterators_tIbNS6_6detail15normal_iteratorINS6_10device_ptrIKtEEEESL_NS6_8equal_toItEEEENSG_9not_fun_tINSD_8identityEEEEENSD_19counting_iterator_tIlEES8_S8_S8_S8_S8_S8_S8_S8_EEEEPS9_S9_NSD_9__find_if7functorIS9_EEEE10hipError_tPvRmT1_T2_T3_mT4_P12ihipStream_tbEUlT_E1_NS1_11comp_targetILNS1_3genE0ELNS1_11target_archE4294967295ELNS1_3gpuE0ELNS1_3repE0EEENS1_30default_config_static_selectorELNS0_4arch9wavefront6targetE0EEEvS14_,comdat
	.protected	_ZN7rocprim17ROCPRIM_400000_NS6detail17trampoline_kernelINS0_14default_configENS1_22reduce_config_selectorIN6thrust23THRUST_200600_302600_NS5tupleIblNS6_9null_typeES8_S8_S8_S8_S8_S8_S8_EEEEZNS1_11reduce_implILb1ES3_NS6_12zip_iteratorINS7_INS6_11hip_rocprim26transform_input_iterator_tIbNSD_35transform_pair_of_input_iterators_tIbNS6_6detail15normal_iteratorINS6_10device_ptrIKtEEEESL_NS6_8equal_toItEEEENSG_9not_fun_tINSD_8identityEEEEENSD_19counting_iterator_tIlEES8_S8_S8_S8_S8_S8_S8_S8_EEEEPS9_S9_NSD_9__find_if7functorIS9_EEEE10hipError_tPvRmT1_T2_T3_mT4_P12ihipStream_tbEUlT_E1_NS1_11comp_targetILNS1_3genE0ELNS1_11target_archE4294967295ELNS1_3gpuE0ELNS1_3repE0EEENS1_30default_config_static_selectorELNS0_4arch9wavefront6targetE0EEEvS14_ ; -- Begin function _ZN7rocprim17ROCPRIM_400000_NS6detail17trampoline_kernelINS0_14default_configENS1_22reduce_config_selectorIN6thrust23THRUST_200600_302600_NS5tupleIblNS6_9null_typeES8_S8_S8_S8_S8_S8_S8_EEEEZNS1_11reduce_implILb1ES3_NS6_12zip_iteratorINS7_INS6_11hip_rocprim26transform_input_iterator_tIbNSD_35transform_pair_of_input_iterators_tIbNS6_6detail15normal_iteratorINS6_10device_ptrIKtEEEESL_NS6_8equal_toItEEEENSG_9not_fun_tINSD_8identityEEEEENSD_19counting_iterator_tIlEES8_S8_S8_S8_S8_S8_S8_S8_EEEEPS9_S9_NSD_9__find_if7functorIS9_EEEE10hipError_tPvRmT1_T2_T3_mT4_P12ihipStream_tbEUlT_E1_NS1_11comp_targetILNS1_3genE0ELNS1_11target_archE4294967295ELNS1_3gpuE0ELNS1_3repE0EEENS1_30default_config_static_selectorELNS0_4arch9wavefront6targetE0EEEvS14_
	.globl	_ZN7rocprim17ROCPRIM_400000_NS6detail17trampoline_kernelINS0_14default_configENS1_22reduce_config_selectorIN6thrust23THRUST_200600_302600_NS5tupleIblNS6_9null_typeES8_S8_S8_S8_S8_S8_S8_EEEEZNS1_11reduce_implILb1ES3_NS6_12zip_iteratorINS7_INS6_11hip_rocprim26transform_input_iterator_tIbNSD_35transform_pair_of_input_iterators_tIbNS6_6detail15normal_iteratorINS6_10device_ptrIKtEEEESL_NS6_8equal_toItEEEENSG_9not_fun_tINSD_8identityEEEEENSD_19counting_iterator_tIlEES8_S8_S8_S8_S8_S8_S8_S8_EEEEPS9_S9_NSD_9__find_if7functorIS9_EEEE10hipError_tPvRmT1_T2_T3_mT4_P12ihipStream_tbEUlT_E1_NS1_11comp_targetILNS1_3genE0ELNS1_11target_archE4294967295ELNS1_3gpuE0ELNS1_3repE0EEENS1_30default_config_static_selectorELNS0_4arch9wavefront6targetE0EEEvS14_
	.p2align	8
	.type	_ZN7rocprim17ROCPRIM_400000_NS6detail17trampoline_kernelINS0_14default_configENS1_22reduce_config_selectorIN6thrust23THRUST_200600_302600_NS5tupleIblNS6_9null_typeES8_S8_S8_S8_S8_S8_S8_EEEEZNS1_11reduce_implILb1ES3_NS6_12zip_iteratorINS7_INS6_11hip_rocprim26transform_input_iterator_tIbNSD_35transform_pair_of_input_iterators_tIbNS6_6detail15normal_iteratorINS6_10device_ptrIKtEEEESL_NS6_8equal_toItEEEENSG_9not_fun_tINSD_8identityEEEEENSD_19counting_iterator_tIlEES8_S8_S8_S8_S8_S8_S8_S8_EEEEPS9_S9_NSD_9__find_if7functorIS9_EEEE10hipError_tPvRmT1_T2_T3_mT4_P12ihipStream_tbEUlT_E1_NS1_11comp_targetILNS1_3genE0ELNS1_11target_archE4294967295ELNS1_3gpuE0ELNS1_3repE0EEENS1_30default_config_static_selectorELNS0_4arch9wavefront6targetE0EEEvS14_,@function
_ZN7rocprim17ROCPRIM_400000_NS6detail17trampoline_kernelINS0_14default_configENS1_22reduce_config_selectorIN6thrust23THRUST_200600_302600_NS5tupleIblNS6_9null_typeES8_S8_S8_S8_S8_S8_S8_EEEEZNS1_11reduce_implILb1ES3_NS6_12zip_iteratorINS7_INS6_11hip_rocprim26transform_input_iterator_tIbNSD_35transform_pair_of_input_iterators_tIbNS6_6detail15normal_iteratorINS6_10device_ptrIKtEEEESL_NS6_8equal_toItEEEENSG_9not_fun_tINSD_8identityEEEEENSD_19counting_iterator_tIlEES8_S8_S8_S8_S8_S8_S8_S8_EEEEPS9_S9_NSD_9__find_if7functorIS9_EEEE10hipError_tPvRmT1_T2_T3_mT4_P12ihipStream_tbEUlT_E1_NS1_11comp_targetILNS1_3genE0ELNS1_11target_archE4294967295ELNS1_3gpuE0ELNS1_3repE0EEENS1_30default_config_static_selectorELNS0_4arch9wavefront6targetE0EEEvS14_: ; @_ZN7rocprim17ROCPRIM_400000_NS6detail17trampoline_kernelINS0_14default_configENS1_22reduce_config_selectorIN6thrust23THRUST_200600_302600_NS5tupleIblNS6_9null_typeES8_S8_S8_S8_S8_S8_S8_EEEEZNS1_11reduce_implILb1ES3_NS6_12zip_iteratorINS7_INS6_11hip_rocprim26transform_input_iterator_tIbNSD_35transform_pair_of_input_iterators_tIbNS6_6detail15normal_iteratorINS6_10device_ptrIKtEEEESL_NS6_8equal_toItEEEENSG_9not_fun_tINSD_8identityEEEEENSD_19counting_iterator_tIlEES8_S8_S8_S8_S8_S8_S8_S8_EEEEPS9_S9_NSD_9__find_if7functorIS9_EEEE10hipError_tPvRmT1_T2_T3_mT4_P12ihipStream_tbEUlT_E1_NS1_11comp_targetILNS1_3genE0ELNS1_11target_archE4294967295ELNS1_3gpuE0ELNS1_3repE0EEENS1_30default_config_static_selectorELNS0_4arch9wavefront6targetE0EEEvS14_
; %bb.0:
	.section	.rodata,"a",@progbits
	.p2align	6, 0x0
	.amdhsa_kernel _ZN7rocprim17ROCPRIM_400000_NS6detail17trampoline_kernelINS0_14default_configENS1_22reduce_config_selectorIN6thrust23THRUST_200600_302600_NS5tupleIblNS6_9null_typeES8_S8_S8_S8_S8_S8_S8_EEEEZNS1_11reduce_implILb1ES3_NS6_12zip_iteratorINS7_INS6_11hip_rocprim26transform_input_iterator_tIbNSD_35transform_pair_of_input_iterators_tIbNS6_6detail15normal_iteratorINS6_10device_ptrIKtEEEESL_NS6_8equal_toItEEEENSG_9not_fun_tINSD_8identityEEEEENSD_19counting_iterator_tIlEES8_S8_S8_S8_S8_S8_S8_S8_EEEEPS9_S9_NSD_9__find_if7functorIS9_EEEE10hipError_tPvRmT1_T2_T3_mT4_P12ihipStream_tbEUlT_E1_NS1_11comp_targetILNS1_3genE0ELNS1_11target_archE4294967295ELNS1_3gpuE0ELNS1_3repE0EEENS1_30default_config_static_selectorELNS0_4arch9wavefront6targetE0EEEvS14_
		.amdhsa_group_segment_fixed_size 0
		.amdhsa_private_segment_fixed_size 0
		.amdhsa_kernarg_size 88
		.amdhsa_user_sgpr_count 6
		.amdhsa_user_sgpr_private_segment_buffer 1
		.amdhsa_user_sgpr_dispatch_ptr 0
		.amdhsa_user_sgpr_queue_ptr 0
		.amdhsa_user_sgpr_kernarg_segment_ptr 1
		.amdhsa_user_sgpr_dispatch_id 0
		.amdhsa_user_sgpr_flat_scratch_init 0
		.amdhsa_user_sgpr_private_segment_size 0
		.amdhsa_wavefront_size32 1
		.amdhsa_uses_dynamic_stack 0
		.amdhsa_system_sgpr_private_segment_wavefront_offset 0
		.amdhsa_system_sgpr_workgroup_id_x 1
		.amdhsa_system_sgpr_workgroup_id_y 0
		.amdhsa_system_sgpr_workgroup_id_z 0
		.amdhsa_system_sgpr_workgroup_info 0
		.amdhsa_system_vgpr_workitem_id 0
		.amdhsa_next_free_vgpr 1
		.amdhsa_next_free_sgpr 1
		.amdhsa_reserve_vcc 0
		.amdhsa_reserve_flat_scratch 0
		.amdhsa_float_round_mode_32 0
		.amdhsa_float_round_mode_16_64 0
		.amdhsa_float_denorm_mode_32 3
		.amdhsa_float_denorm_mode_16_64 3
		.amdhsa_dx10_clamp 1
		.amdhsa_ieee_mode 1
		.amdhsa_fp16_overflow 0
		.amdhsa_workgroup_processor_mode 1
		.amdhsa_memory_ordered 1
		.amdhsa_forward_progress 1
		.amdhsa_shared_vgpr_count 0
		.amdhsa_exception_fp_ieee_invalid_op 0
		.amdhsa_exception_fp_denorm_src 0
		.amdhsa_exception_fp_ieee_div_zero 0
		.amdhsa_exception_fp_ieee_overflow 0
		.amdhsa_exception_fp_ieee_underflow 0
		.amdhsa_exception_fp_ieee_inexact 0
		.amdhsa_exception_int_div_zero 0
	.end_amdhsa_kernel
	.section	.text._ZN7rocprim17ROCPRIM_400000_NS6detail17trampoline_kernelINS0_14default_configENS1_22reduce_config_selectorIN6thrust23THRUST_200600_302600_NS5tupleIblNS6_9null_typeES8_S8_S8_S8_S8_S8_S8_EEEEZNS1_11reduce_implILb1ES3_NS6_12zip_iteratorINS7_INS6_11hip_rocprim26transform_input_iterator_tIbNSD_35transform_pair_of_input_iterators_tIbNS6_6detail15normal_iteratorINS6_10device_ptrIKtEEEESL_NS6_8equal_toItEEEENSG_9not_fun_tINSD_8identityEEEEENSD_19counting_iterator_tIlEES8_S8_S8_S8_S8_S8_S8_S8_EEEEPS9_S9_NSD_9__find_if7functorIS9_EEEE10hipError_tPvRmT1_T2_T3_mT4_P12ihipStream_tbEUlT_E1_NS1_11comp_targetILNS1_3genE0ELNS1_11target_archE4294967295ELNS1_3gpuE0ELNS1_3repE0EEENS1_30default_config_static_selectorELNS0_4arch9wavefront6targetE0EEEvS14_,"axG",@progbits,_ZN7rocprim17ROCPRIM_400000_NS6detail17trampoline_kernelINS0_14default_configENS1_22reduce_config_selectorIN6thrust23THRUST_200600_302600_NS5tupleIblNS6_9null_typeES8_S8_S8_S8_S8_S8_S8_EEEEZNS1_11reduce_implILb1ES3_NS6_12zip_iteratorINS7_INS6_11hip_rocprim26transform_input_iterator_tIbNSD_35transform_pair_of_input_iterators_tIbNS6_6detail15normal_iteratorINS6_10device_ptrIKtEEEESL_NS6_8equal_toItEEEENSG_9not_fun_tINSD_8identityEEEEENSD_19counting_iterator_tIlEES8_S8_S8_S8_S8_S8_S8_S8_EEEEPS9_S9_NSD_9__find_if7functorIS9_EEEE10hipError_tPvRmT1_T2_T3_mT4_P12ihipStream_tbEUlT_E1_NS1_11comp_targetILNS1_3genE0ELNS1_11target_archE4294967295ELNS1_3gpuE0ELNS1_3repE0EEENS1_30default_config_static_selectorELNS0_4arch9wavefront6targetE0EEEvS14_,comdat
.Lfunc_end308:
	.size	_ZN7rocprim17ROCPRIM_400000_NS6detail17trampoline_kernelINS0_14default_configENS1_22reduce_config_selectorIN6thrust23THRUST_200600_302600_NS5tupleIblNS6_9null_typeES8_S8_S8_S8_S8_S8_S8_EEEEZNS1_11reduce_implILb1ES3_NS6_12zip_iteratorINS7_INS6_11hip_rocprim26transform_input_iterator_tIbNSD_35transform_pair_of_input_iterators_tIbNS6_6detail15normal_iteratorINS6_10device_ptrIKtEEEESL_NS6_8equal_toItEEEENSG_9not_fun_tINSD_8identityEEEEENSD_19counting_iterator_tIlEES8_S8_S8_S8_S8_S8_S8_S8_EEEEPS9_S9_NSD_9__find_if7functorIS9_EEEE10hipError_tPvRmT1_T2_T3_mT4_P12ihipStream_tbEUlT_E1_NS1_11comp_targetILNS1_3genE0ELNS1_11target_archE4294967295ELNS1_3gpuE0ELNS1_3repE0EEENS1_30default_config_static_selectorELNS0_4arch9wavefront6targetE0EEEvS14_, .Lfunc_end308-_ZN7rocprim17ROCPRIM_400000_NS6detail17trampoline_kernelINS0_14default_configENS1_22reduce_config_selectorIN6thrust23THRUST_200600_302600_NS5tupleIblNS6_9null_typeES8_S8_S8_S8_S8_S8_S8_EEEEZNS1_11reduce_implILb1ES3_NS6_12zip_iteratorINS7_INS6_11hip_rocprim26transform_input_iterator_tIbNSD_35transform_pair_of_input_iterators_tIbNS6_6detail15normal_iteratorINS6_10device_ptrIKtEEEESL_NS6_8equal_toItEEEENSG_9not_fun_tINSD_8identityEEEEENSD_19counting_iterator_tIlEES8_S8_S8_S8_S8_S8_S8_S8_EEEEPS9_S9_NSD_9__find_if7functorIS9_EEEE10hipError_tPvRmT1_T2_T3_mT4_P12ihipStream_tbEUlT_E1_NS1_11comp_targetILNS1_3genE0ELNS1_11target_archE4294967295ELNS1_3gpuE0ELNS1_3repE0EEENS1_30default_config_static_selectorELNS0_4arch9wavefront6targetE0EEEvS14_
                                        ; -- End function
	.set _ZN7rocprim17ROCPRIM_400000_NS6detail17trampoline_kernelINS0_14default_configENS1_22reduce_config_selectorIN6thrust23THRUST_200600_302600_NS5tupleIblNS6_9null_typeES8_S8_S8_S8_S8_S8_S8_EEEEZNS1_11reduce_implILb1ES3_NS6_12zip_iteratorINS7_INS6_11hip_rocprim26transform_input_iterator_tIbNSD_35transform_pair_of_input_iterators_tIbNS6_6detail15normal_iteratorINS6_10device_ptrIKtEEEESL_NS6_8equal_toItEEEENSG_9not_fun_tINSD_8identityEEEEENSD_19counting_iterator_tIlEES8_S8_S8_S8_S8_S8_S8_S8_EEEEPS9_S9_NSD_9__find_if7functorIS9_EEEE10hipError_tPvRmT1_T2_T3_mT4_P12ihipStream_tbEUlT_E1_NS1_11comp_targetILNS1_3genE0ELNS1_11target_archE4294967295ELNS1_3gpuE0ELNS1_3repE0EEENS1_30default_config_static_selectorELNS0_4arch9wavefront6targetE0EEEvS14_.num_vgpr, 0
	.set _ZN7rocprim17ROCPRIM_400000_NS6detail17trampoline_kernelINS0_14default_configENS1_22reduce_config_selectorIN6thrust23THRUST_200600_302600_NS5tupleIblNS6_9null_typeES8_S8_S8_S8_S8_S8_S8_EEEEZNS1_11reduce_implILb1ES3_NS6_12zip_iteratorINS7_INS6_11hip_rocprim26transform_input_iterator_tIbNSD_35transform_pair_of_input_iterators_tIbNS6_6detail15normal_iteratorINS6_10device_ptrIKtEEEESL_NS6_8equal_toItEEEENSG_9not_fun_tINSD_8identityEEEEENSD_19counting_iterator_tIlEES8_S8_S8_S8_S8_S8_S8_S8_EEEEPS9_S9_NSD_9__find_if7functorIS9_EEEE10hipError_tPvRmT1_T2_T3_mT4_P12ihipStream_tbEUlT_E1_NS1_11comp_targetILNS1_3genE0ELNS1_11target_archE4294967295ELNS1_3gpuE0ELNS1_3repE0EEENS1_30default_config_static_selectorELNS0_4arch9wavefront6targetE0EEEvS14_.num_agpr, 0
	.set _ZN7rocprim17ROCPRIM_400000_NS6detail17trampoline_kernelINS0_14default_configENS1_22reduce_config_selectorIN6thrust23THRUST_200600_302600_NS5tupleIblNS6_9null_typeES8_S8_S8_S8_S8_S8_S8_EEEEZNS1_11reduce_implILb1ES3_NS6_12zip_iteratorINS7_INS6_11hip_rocprim26transform_input_iterator_tIbNSD_35transform_pair_of_input_iterators_tIbNS6_6detail15normal_iteratorINS6_10device_ptrIKtEEEESL_NS6_8equal_toItEEEENSG_9not_fun_tINSD_8identityEEEEENSD_19counting_iterator_tIlEES8_S8_S8_S8_S8_S8_S8_S8_EEEEPS9_S9_NSD_9__find_if7functorIS9_EEEE10hipError_tPvRmT1_T2_T3_mT4_P12ihipStream_tbEUlT_E1_NS1_11comp_targetILNS1_3genE0ELNS1_11target_archE4294967295ELNS1_3gpuE0ELNS1_3repE0EEENS1_30default_config_static_selectorELNS0_4arch9wavefront6targetE0EEEvS14_.numbered_sgpr, 0
	.set _ZN7rocprim17ROCPRIM_400000_NS6detail17trampoline_kernelINS0_14default_configENS1_22reduce_config_selectorIN6thrust23THRUST_200600_302600_NS5tupleIblNS6_9null_typeES8_S8_S8_S8_S8_S8_S8_EEEEZNS1_11reduce_implILb1ES3_NS6_12zip_iteratorINS7_INS6_11hip_rocprim26transform_input_iterator_tIbNSD_35transform_pair_of_input_iterators_tIbNS6_6detail15normal_iteratorINS6_10device_ptrIKtEEEESL_NS6_8equal_toItEEEENSG_9not_fun_tINSD_8identityEEEEENSD_19counting_iterator_tIlEES8_S8_S8_S8_S8_S8_S8_S8_EEEEPS9_S9_NSD_9__find_if7functorIS9_EEEE10hipError_tPvRmT1_T2_T3_mT4_P12ihipStream_tbEUlT_E1_NS1_11comp_targetILNS1_3genE0ELNS1_11target_archE4294967295ELNS1_3gpuE0ELNS1_3repE0EEENS1_30default_config_static_selectorELNS0_4arch9wavefront6targetE0EEEvS14_.num_named_barrier, 0
	.set _ZN7rocprim17ROCPRIM_400000_NS6detail17trampoline_kernelINS0_14default_configENS1_22reduce_config_selectorIN6thrust23THRUST_200600_302600_NS5tupleIblNS6_9null_typeES8_S8_S8_S8_S8_S8_S8_EEEEZNS1_11reduce_implILb1ES3_NS6_12zip_iteratorINS7_INS6_11hip_rocprim26transform_input_iterator_tIbNSD_35transform_pair_of_input_iterators_tIbNS6_6detail15normal_iteratorINS6_10device_ptrIKtEEEESL_NS6_8equal_toItEEEENSG_9not_fun_tINSD_8identityEEEEENSD_19counting_iterator_tIlEES8_S8_S8_S8_S8_S8_S8_S8_EEEEPS9_S9_NSD_9__find_if7functorIS9_EEEE10hipError_tPvRmT1_T2_T3_mT4_P12ihipStream_tbEUlT_E1_NS1_11comp_targetILNS1_3genE0ELNS1_11target_archE4294967295ELNS1_3gpuE0ELNS1_3repE0EEENS1_30default_config_static_selectorELNS0_4arch9wavefront6targetE0EEEvS14_.private_seg_size, 0
	.set _ZN7rocprim17ROCPRIM_400000_NS6detail17trampoline_kernelINS0_14default_configENS1_22reduce_config_selectorIN6thrust23THRUST_200600_302600_NS5tupleIblNS6_9null_typeES8_S8_S8_S8_S8_S8_S8_EEEEZNS1_11reduce_implILb1ES3_NS6_12zip_iteratorINS7_INS6_11hip_rocprim26transform_input_iterator_tIbNSD_35transform_pair_of_input_iterators_tIbNS6_6detail15normal_iteratorINS6_10device_ptrIKtEEEESL_NS6_8equal_toItEEEENSG_9not_fun_tINSD_8identityEEEEENSD_19counting_iterator_tIlEES8_S8_S8_S8_S8_S8_S8_S8_EEEEPS9_S9_NSD_9__find_if7functorIS9_EEEE10hipError_tPvRmT1_T2_T3_mT4_P12ihipStream_tbEUlT_E1_NS1_11comp_targetILNS1_3genE0ELNS1_11target_archE4294967295ELNS1_3gpuE0ELNS1_3repE0EEENS1_30default_config_static_selectorELNS0_4arch9wavefront6targetE0EEEvS14_.uses_vcc, 0
	.set _ZN7rocprim17ROCPRIM_400000_NS6detail17trampoline_kernelINS0_14default_configENS1_22reduce_config_selectorIN6thrust23THRUST_200600_302600_NS5tupleIblNS6_9null_typeES8_S8_S8_S8_S8_S8_S8_EEEEZNS1_11reduce_implILb1ES3_NS6_12zip_iteratorINS7_INS6_11hip_rocprim26transform_input_iterator_tIbNSD_35transform_pair_of_input_iterators_tIbNS6_6detail15normal_iteratorINS6_10device_ptrIKtEEEESL_NS6_8equal_toItEEEENSG_9not_fun_tINSD_8identityEEEEENSD_19counting_iterator_tIlEES8_S8_S8_S8_S8_S8_S8_S8_EEEEPS9_S9_NSD_9__find_if7functorIS9_EEEE10hipError_tPvRmT1_T2_T3_mT4_P12ihipStream_tbEUlT_E1_NS1_11comp_targetILNS1_3genE0ELNS1_11target_archE4294967295ELNS1_3gpuE0ELNS1_3repE0EEENS1_30default_config_static_selectorELNS0_4arch9wavefront6targetE0EEEvS14_.uses_flat_scratch, 0
	.set _ZN7rocprim17ROCPRIM_400000_NS6detail17trampoline_kernelINS0_14default_configENS1_22reduce_config_selectorIN6thrust23THRUST_200600_302600_NS5tupleIblNS6_9null_typeES8_S8_S8_S8_S8_S8_S8_EEEEZNS1_11reduce_implILb1ES3_NS6_12zip_iteratorINS7_INS6_11hip_rocprim26transform_input_iterator_tIbNSD_35transform_pair_of_input_iterators_tIbNS6_6detail15normal_iteratorINS6_10device_ptrIKtEEEESL_NS6_8equal_toItEEEENSG_9not_fun_tINSD_8identityEEEEENSD_19counting_iterator_tIlEES8_S8_S8_S8_S8_S8_S8_S8_EEEEPS9_S9_NSD_9__find_if7functorIS9_EEEE10hipError_tPvRmT1_T2_T3_mT4_P12ihipStream_tbEUlT_E1_NS1_11comp_targetILNS1_3genE0ELNS1_11target_archE4294967295ELNS1_3gpuE0ELNS1_3repE0EEENS1_30default_config_static_selectorELNS0_4arch9wavefront6targetE0EEEvS14_.has_dyn_sized_stack, 0
	.set _ZN7rocprim17ROCPRIM_400000_NS6detail17trampoline_kernelINS0_14default_configENS1_22reduce_config_selectorIN6thrust23THRUST_200600_302600_NS5tupleIblNS6_9null_typeES8_S8_S8_S8_S8_S8_S8_EEEEZNS1_11reduce_implILb1ES3_NS6_12zip_iteratorINS7_INS6_11hip_rocprim26transform_input_iterator_tIbNSD_35transform_pair_of_input_iterators_tIbNS6_6detail15normal_iteratorINS6_10device_ptrIKtEEEESL_NS6_8equal_toItEEEENSG_9not_fun_tINSD_8identityEEEEENSD_19counting_iterator_tIlEES8_S8_S8_S8_S8_S8_S8_S8_EEEEPS9_S9_NSD_9__find_if7functorIS9_EEEE10hipError_tPvRmT1_T2_T3_mT4_P12ihipStream_tbEUlT_E1_NS1_11comp_targetILNS1_3genE0ELNS1_11target_archE4294967295ELNS1_3gpuE0ELNS1_3repE0EEENS1_30default_config_static_selectorELNS0_4arch9wavefront6targetE0EEEvS14_.has_recursion, 0
	.set _ZN7rocprim17ROCPRIM_400000_NS6detail17trampoline_kernelINS0_14default_configENS1_22reduce_config_selectorIN6thrust23THRUST_200600_302600_NS5tupleIblNS6_9null_typeES8_S8_S8_S8_S8_S8_S8_EEEEZNS1_11reduce_implILb1ES3_NS6_12zip_iteratorINS7_INS6_11hip_rocprim26transform_input_iterator_tIbNSD_35transform_pair_of_input_iterators_tIbNS6_6detail15normal_iteratorINS6_10device_ptrIKtEEEESL_NS6_8equal_toItEEEENSG_9not_fun_tINSD_8identityEEEEENSD_19counting_iterator_tIlEES8_S8_S8_S8_S8_S8_S8_S8_EEEEPS9_S9_NSD_9__find_if7functorIS9_EEEE10hipError_tPvRmT1_T2_T3_mT4_P12ihipStream_tbEUlT_E1_NS1_11comp_targetILNS1_3genE0ELNS1_11target_archE4294967295ELNS1_3gpuE0ELNS1_3repE0EEENS1_30default_config_static_selectorELNS0_4arch9wavefront6targetE0EEEvS14_.has_indirect_call, 0
	.section	.AMDGPU.csdata,"",@progbits
; Kernel info:
; codeLenInByte = 0
; TotalNumSgprs: 0
; NumVgprs: 0
; ScratchSize: 0
; MemoryBound: 0
; FloatMode: 240
; IeeeMode: 1
; LDSByteSize: 0 bytes/workgroup (compile time only)
; SGPRBlocks: 0
; VGPRBlocks: 0
; NumSGPRsForWavesPerEU: 1
; NumVGPRsForWavesPerEU: 1
; Occupancy: 16
; WaveLimiterHint : 0
; COMPUTE_PGM_RSRC2:SCRATCH_EN: 0
; COMPUTE_PGM_RSRC2:USER_SGPR: 6
; COMPUTE_PGM_RSRC2:TRAP_HANDLER: 0
; COMPUTE_PGM_RSRC2:TGID_X_EN: 1
; COMPUTE_PGM_RSRC2:TGID_Y_EN: 0
; COMPUTE_PGM_RSRC2:TGID_Z_EN: 0
; COMPUTE_PGM_RSRC2:TIDIG_COMP_CNT: 0
	.section	.text._ZN7rocprim17ROCPRIM_400000_NS6detail17trampoline_kernelINS0_14default_configENS1_22reduce_config_selectorIN6thrust23THRUST_200600_302600_NS5tupleIblNS6_9null_typeES8_S8_S8_S8_S8_S8_S8_EEEEZNS1_11reduce_implILb1ES3_NS6_12zip_iteratorINS7_INS6_11hip_rocprim26transform_input_iterator_tIbNSD_35transform_pair_of_input_iterators_tIbNS6_6detail15normal_iteratorINS6_10device_ptrIKtEEEESL_NS6_8equal_toItEEEENSG_9not_fun_tINSD_8identityEEEEENSD_19counting_iterator_tIlEES8_S8_S8_S8_S8_S8_S8_S8_EEEEPS9_S9_NSD_9__find_if7functorIS9_EEEE10hipError_tPvRmT1_T2_T3_mT4_P12ihipStream_tbEUlT_E1_NS1_11comp_targetILNS1_3genE5ELNS1_11target_archE942ELNS1_3gpuE9ELNS1_3repE0EEENS1_30default_config_static_selectorELNS0_4arch9wavefront6targetE0EEEvS14_,"axG",@progbits,_ZN7rocprim17ROCPRIM_400000_NS6detail17trampoline_kernelINS0_14default_configENS1_22reduce_config_selectorIN6thrust23THRUST_200600_302600_NS5tupleIblNS6_9null_typeES8_S8_S8_S8_S8_S8_S8_EEEEZNS1_11reduce_implILb1ES3_NS6_12zip_iteratorINS7_INS6_11hip_rocprim26transform_input_iterator_tIbNSD_35transform_pair_of_input_iterators_tIbNS6_6detail15normal_iteratorINS6_10device_ptrIKtEEEESL_NS6_8equal_toItEEEENSG_9not_fun_tINSD_8identityEEEEENSD_19counting_iterator_tIlEES8_S8_S8_S8_S8_S8_S8_S8_EEEEPS9_S9_NSD_9__find_if7functorIS9_EEEE10hipError_tPvRmT1_T2_T3_mT4_P12ihipStream_tbEUlT_E1_NS1_11comp_targetILNS1_3genE5ELNS1_11target_archE942ELNS1_3gpuE9ELNS1_3repE0EEENS1_30default_config_static_selectorELNS0_4arch9wavefront6targetE0EEEvS14_,comdat
	.protected	_ZN7rocprim17ROCPRIM_400000_NS6detail17trampoline_kernelINS0_14default_configENS1_22reduce_config_selectorIN6thrust23THRUST_200600_302600_NS5tupleIblNS6_9null_typeES8_S8_S8_S8_S8_S8_S8_EEEEZNS1_11reduce_implILb1ES3_NS6_12zip_iteratorINS7_INS6_11hip_rocprim26transform_input_iterator_tIbNSD_35transform_pair_of_input_iterators_tIbNS6_6detail15normal_iteratorINS6_10device_ptrIKtEEEESL_NS6_8equal_toItEEEENSG_9not_fun_tINSD_8identityEEEEENSD_19counting_iterator_tIlEES8_S8_S8_S8_S8_S8_S8_S8_EEEEPS9_S9_NSD_9__find_if7functorIS9_EEEE10hipError_tPvRmT1_T2_T3_mT4_P12ihipStream_tbEUlT_E1_NS1_11comp_targetILNS1_3genE5ELNS1_11target_archE942ELNS1_3gpuE9ELNS1_3repE0EEENS1_30default_config_static_selectorELNS0_4arch9wavefront6targetE0EEEvS14_ ; -- Begin function _ZN7rocprim17ROCPRIM_400000_NS6detail17trampoline_kernelINS0_14default_configENS1_22reduce_config_selectorIN6thrust23THRUST_200600_302600_NS5tupleIblNS6_9null_typeES8_S8_S8_S8_S8_S8_S8_EEEEZNS1_11reduce_implILb1ES3_NS6_12zip_iteratorINS7_INS6_11hip_rocprim26transform_input_iterator_tIbNSD_35transform_pair_of_input_iterators_tIbNS6_6detail15normal_iteratorINS6_10device_ptrIKtEEEESL_NS6_8equal_toItEEEENSG_9not_fun_tINSD_8identityEEEEENSD_19counting_iterator_tIlEES8_S8_S8_S8_S8_S8_S8_S8_EEEEPS9_S9_NSD_9__find_if7functorIS9_EEEE10hipError_tPvRmT1_T2_T3_mT4_P12ihipStream_tbEUlT_E1_NS1_11comp_targetILNS1_3genE5ELNS1_11target_archE942ELNS1_3gpuE9ELNS1_3repE0EEENS1_30default_config_static_selectorELNS0_4arch9wavefront6targetE0EEEvS14_
	.globl	_ZN7rocprim17ROCPRIM_400000_NS6detail17trampoline_kernelINS0_14default_configENS1_22reduce_config_selectorIN6thrust23THRUST_200600_302600_NS5tupleIblNS6_9null_typeES8_S8_S8_S8_S8_S8_S8_EEEEZNS1_11reduce_implILb1ES3_NS6_12zip_iteratorINS7_INS6_11hip_rocprim26transform_input_iterator_tIbNSD_35transform_pair_of_input_iterators_tIbNS6_6detail15normal_iteratorINS6_10device_ptrIKtEEEESL_NS6_8equal_toItEEEENSG_9not_fun_tINSD_8identityEEEEENSD_19counting_iterator_tIlEES8_S8_S8_S8_S8_S8_S8_S8_EEEEPS9_S9_NSD_9__find_if7functorIS9_EEEE10hipError_tPvRmT1_T2_T3_mT4_P12ihipStream_tbEUlT_E1_NS1_11comp_targetILNS1_3genE5ELNS1_11target_archE942ELNS1_3gpuE9ELNS1_3repE0EEENS1_30default_config_static_selectorELNS0_4arch9wavefront6targetE0EEEvS14_
	.p2align	8
	.type	_ZN7rocprim17ROCPRIM_400000_NS6detail17trampoline_kernelINS0_14default_configENS1_22reduce_config_selectorIN6thrust23THRUST_200600_302600_NS5tupleIblNS6_9null_typeES8_S8_S8_S8_S8_S8_S8_EEEEZNS1_11reduce_implILb1ES3_NS6_12zip_iteratorINS7_INS6_11hip_rocprim26transform_input_iterator_tIbNSD_35transform_pair_of_input_iterators_tIbNS6_6detail15normal_iteratorINS6_10device_ptrIKtEEEESL_NS6_8equal_toItEEEENSG_9not_fun_tINSD_8identityEEEEENSD_19counting_iterator_tIlEES8_S8_S8_S8_S8_S8_S8_S8_EEEEPS9_S9_NSD_9__find_if7functorIS9_EEEE10hipError_tPvRmT1_T2_T3_mT4_P12ihipStream_tbEUlT_E1_NS1_11comp_targetILNS1_3genE5ELNS1_11target_archE942ELNS1_3gpuE9ELNS1_3repE0EEENS1_30default_config_static_selectorELNS0_4arch9wavefront6targetE0EEEvS14_,@function
_ZN7rocprim17ROCPRIM_400000_NS6detail17trampoline_kernelINS0_14default_configENS1_22reduce_config_selectorIN6thrust23THRUST_200600_302600_NS5tupleIblNS6_9null_typeES8_S8_S8_S8_S8_S8_S8_EEEEZNS1_11reduce_implILb1ES3_NS6_12zip_iteratorINS7_INS6_11hip_rocprim26transform_input_iterator_tIbNSD_35transform_pair_of_input_iterators_tIbNS6_6detail15normal_iteratorINS6_10device_ptrIKtEEEESL_NS6_8equal_toItEEEENSG_9not_fun_tINSD_8identityEEEEENSD_19counting_iterator_tIlEES8_S8_S8_S8_S8_S8_S8_S8_EEEEPS9_S9_NSD_9__find_if7functorIS9_EEEE10hipError_tPvRmT1_T2_T3_mT4_P12ihipStream_tbEUlT_E1_NS1_11comp_targetILNS1_3genE5ELNS1_11target_archE942ELNS1_3gpuE9ELNS1_3repE0EEENS1_30default_config_static_selectorELNS0_4arch9wavefront6targetE0EEEvS14_: ; @_ZN7rocprim17ROCPRIM_400000_NS6detail17trampoline_kernelINS0_14default_configENS1_22reduce_config_selectorIN6thrust23THRUST_200600_302600_NS5tupleIblNS6_9null_typeES8_S8_S8_S8_S8_S8_S8_EEEEZNS1_11reduce_implILb1ES3_NS6_12zip_iteratorINS7_INS6_11hip_rocprim26transform_input_iterator_tIbNSD_35transform_pair_of_input_iterators_tIbNS6_6detail15normal_iteratorINS6_10device_ptrIKtEEEESL_NS6_8equal_toItEEEENSG_9not_fun_tINSD_8identityEEEEENSD_19counting_iterator_tIlEES8_S8_S8_S8_S8_S8_S8_S8_EEEEPS9_S9_NSD_9__find_if7functorIS9_EEEE10hipError_tPvRmT1_T2_T3_mT4_P12ihipStream_tbEUlT_E1_NS1_11comp_targetILNS1_3genE5ELNS1_11target_archE942ELNS1_3gpuE9ELNS1_3repE0EEENS1_30default_config_static_selectorELNS0_4arch9wavefront6targetE0EEEvS14_
; %bb.0:
	.section	.rodata,"a",@progbits
	.p2align	6, 0x0
	.amdhsa_kernel _ZN7rocprim17ROCPRIM_400000_NS6detail17trampoline_kernelINS0_14default_configENS1_22reduce_config_selectorIN6thrust23THRUST_200600_302600_NS5tupleIblNS6_9null_typeES8_S8_S8_S8_S8_S8_S8_EEEEZNS1_11reduce_implILb1ES3_NS6_12zip_iteratorINS7_INS6_11hip_rocprim26transform_input_iterator_tIbNSD_35transform_pair_of_input_iterators_tIbNS6_6detail15normal_iteratorINS6_10device_ptrIKtEEEESL_NS6_8equal_toItEEEENSG_9not_fun_tINSD_8identityEEEEENSD_19counting_iterator_tIlEES8_S8_S8_S8_S8_S8_S8_S8_EEEEPS9_S9_NSD_9__find_if7functorIS9_EEEE10hipError_tPvRmT1_T2_T3_mT4_P12ihipStream_tbEUlT_E1_NS1_11comp_targetILNS1_3genE5ELNS1_11target_archE942ELNS1_3gpuE9ELNS1_3repE0EEENS1_30default_config_static_selectorELNS0_4arch9wavefront6targetE0EEEvS14_
		.amdhsa_group_segment_fixed_size 0
		.amdhsa_private_segment_fixed_size 0
		.amdhsa_kernarg_size 88
		.amdhsa_user_sgpr_count 6
		.amdhsa_user_sgpr_private_segment_buffer 1
		.amdhsa_user_sgpr_dispatch_ptr 0
		.amdhsa_user_sgpr_queue_ptr 0
		.amdhsa_user_sgpr_kernarg_segment_ptr 1
		.amdhsa_user_sgpr_dispatch_id 0
		.amdhsa_user_sgpr_flat_scratch_init 0
		.amdhsa_user_sgpr_private_segment_size 0
		.amdhsa_wavefront_size32 1
		.amdhsa_uses_dynamic_stack 0
		.amdhsa_system_sgpr_private_segment_wavefront_offset 0
		.amdhsa_system_sgpr_workgroup_id_x 1
		.amdhsa_system_sgpr_workgroup_id_y 0
		.amdhsa_system_sgpr_workgroup_id_z 0
		.amdhsa_system_sgpr_workgroup_info 0
		.amdhsa_system_vgpr_workitem_id 0
		.amdhsa_next_free_vgpr 1
		.amdhsa_next_free_sgpr 1
		.amdhsa_reserve_vcc 0
		.amdhsa_reserve_flat_scratch 0
		.amdhsa_float_round_mode_32 0
		.amdhsa_float_round_mode_16_64 0
		.amdhsa_float_denorm_mode_32 3
		.amdhsa_float_denorm_mode_16_64 3
		.amdhsa_dx10_clamp 1
		.amdhsa_ieee_mode 1
		.amdhsa_fp16_overflow 0
		.amdhsa_workgroup_processor_mode 1
		.amdhsa_memory_ordered 1
		.amdhsa_forward_progress 1
		.amdhsa_shared_vgpr_count 0
		.amdhsa_exception_fp_ieee_invalid_op 0
		.amdhsa_exception_fp_denorm_src 0
		.amdhsa_exception_fp_ieee_div_zero 0
		.amdhsa_exception_fp_ieee_overflow 0
		.amdhsa_exception_fp_ieee_underflow 0
		.amdhsa_exception_fp_ieee_inexact 0
		.amdhsa_exception_int_div_zero 0
	.end_amdhsa_kernel
	.section	.text._ZN7rocprim17ROCPRIM_400000_NS6detail17trampoline_kernelINS0_14default_configENS1_22reduce_config_selectorIN6thrust23THRUST_200600_302600_NS5tupleIblNS6_9null_typeES8_S8_S8_S8_S8_S8_S8_EEEEZNS1_11reduce_implILb1ES3_NS6_12zip_iteratorINS7_INS6_11hip_rocprim26transform_input_iterator_tIbNSD_35transform_pair_of_input_iterators_tIbNS6_6detail15normal_iteratorINS6_10device_ptrIKtEEEESL_NS6_8equal_toItEEEENSG_9not_fun_tINSD_8identityEEEEENSD_19counting_iterator_tIlEES8_S8_S8_S8_S8_S8_S8_S8_EEEEPS9_S9_NSD_9__find_if7functorIS9_EEEE10hipError_tPvRmT1_T2_T3_mT4_P12ihipStream_tbEUlT_E1_NS1_11comp_targetILNS1_3genE5ELNS1_11target_archE942ELNS1_3gpuE9ELNS1_3repE0EEENS1_30default_config_static_selectorELNS0_4arch9wavefront6targetE0EEEvS14_,"axG",@progbits,_ZN7rocprim17ROCPRIM_400000_NS6detail17trampoline_kernelINS0_14default_configENS1_22reduce_config_selectorIN6thrust23THRUST_200600_302600_NS5tupleIblNS6_9null_typeES8_S8_S8_S8_S8_S8_S8_EEEEZNS1_11reduce_implILb1ES3_NS6_12zip_iteratorINS7_INS6_11hip_rocprim26transform_input_iterator_tIbNSD_35transform_pair_of_input_iterators_tIbNS6_6detail15normal_iteratorINS6_10device_ptrIKtEEEESL_NS6_8equal_toItEEEENSG_9not_fun_tINSD_8identityEEEEENSD_19counting_iterator_tIlEES8_S8_S8_S8_S8_S8_S8_S8_EEEEPS9_S9_NSD_9__find_if7functorIS9_EEEE10hipError_tPvRmT1_T2_T3_mT4_P12ihipStream_tbEUlT_E1_NS1_11comp_targetILNS1_3genE5ELNS1_11target_archE942ELNS1_3gpuE9ELNS1_3repE0EEENS1_30default_config_static_selectorELNS0_4arch9wavefront6targetE0EEEvS14_,comdat
.Lfunc_end309:
	.size	_ZN7rocprim17ROCPRIM_400000_NS6detail17trampoline_kernelINS0_14default_configENS1_22reduce_config_selectorIN6thrust23THRUST_200600_302600_NS5tupleIblNS6_9null_typeES8_S8_S8_S8_S8_S8_S8_EEEEZNS1_11reduce_implILb1ES3_NS6_12zip_iteratorINS7_INS6_11hip_rocprim26transform_input_iterator_tIbNSD_35transform_pair_of_input_iterators_tIbNS6_6detail15normal_iteratorINS6_10device_ptrIKtEEEESL_NS6_8equal_toItEEEENSG_9not_fun_tINSD_8identityEEEEENSD_19counting_iterator_tIlEES8_S8_S8_S8_S8_S8_S8_S8_EEEEPS9_S9_NSD_9__find_if7functorIS9_EEEE10hipError_tPvRmT1_T2_T3_mT4_P12ihipStream_tbEUlT_E1_NS1_11comp_targetILNS1_3genE5ELNS1_11target_archE942ELNS1_3gpuE9ELNS1_3repE0EEENS1_30default_config_static_selectorELNS0_4arch9wavefront6targetE0EEEvS14_, .Lfunc_end309-_ZN7rocprim17ROCPRIM_400000_NS6detail17trampoline_kernelINS0_14default_configENS1_22reduce_config_selectorIN6thrust23THRUST_200600_302600_NS5tupleIblNS6_9null_typeES8_S8_S8_S8_S8_S8_S8_EEEEZNS1_11reduce_implILb1ES3_NS6_12zip_iteratorINS7_INS6_11hip_rocprim26transform_input_iterator_tIbNSD_35transform_pair_of_input_iterators_tIbNS6_6detail15normal_iteratorINS6_10device_ptrIKtEEEESL_NS6_8equal_toItEEEENSG_9not_fun_tINSD_8identityEEEEENSD_19counting_iterator_tIlEES8_S8_S8_S8_S8_S8_S8_S8_EEEEPS9_S9_NSD_9__find_if7functorIS9_EEEE10hipError_tPvRmT1_T2_T3_mT4_P12ihipStream_tbEUlT_E1_NS1_11comp_targetILNS1_3genE5ELNS1_11target_archE942ELNS1_3gpuE9ELNS1_3repE0EEENS1_30default_config_static_selectorELNS0_4arch9wavefront6targetE0EEEvS14_
                                        ; -- End function
	.set _ZN7rocprim17ROCPRIM_400000_NS6detail17trampoline_kernelINS0_14default_configENS1_22reduce_config_selectorIN6thrust23THRUST_200600_302600_NS5tupleIblNS6_9null_typeES8_S8_S8_S8_S8_S8_S8_EEEEZNS1_11reduce_implILb1ES3_NS6_12zip_iteratorINS7_INS6_11hip_rocprim26transform_input_iterator_tIbNSD_35transform_pair_of_input_iterators_tIbNS6_6detail15normal_iteratorINS6_10device_ptrIKtEEEESL_NS6_8equal_toItEEEENSG_9not_fun_tINSD_8identityEEEEENSD_19counting_iterator_tIlEES8_S8_S8_S8_S8_S8_S8_S8_EEEEPS9_S9_NSD_9__find_if7functorIS9_EEEE10hipError_tPvRmT1_T2_T3_mT4_P12ihipStream_tbEUlT_E1_NS1_11comp_targetILNS1_3genE5ELNS1_11target_archE942ELNS1_3gpuE9ELNS1_3repE0EEENS1_30default_config_static_selectorELNS0_4arch9wavefront6targetE0EEEvS14_.num_vgpr, 0
	.set _ZN7rocprim17ROCPRIM_400000_NS6detail17trampoline_kernelINS0_14default_configENS1_22reduce_config_selectorIN6thrust23THRUST_200600_302600_NS5tupleIblNS6_9null_typeES8_S8_S8_S8_S8_S8_S8_EEEEZNS1_11reduce_implILb1ES3_NS6_12zip_iteratorINS7_INS6_11hip_rocprim26transform_input_iterator_tIbNSD_35transform_pair_of_input_iterators_tIbNS6_6detail15normal_iteratorINS6_10device_ptrIKtEEEESL_NS6_8equal_toItEEEENSG_9not_fun_tINSD_8identityEEEEENSD_19counting_iterator_tIlEES8_S8_S8_S8_S8_S8_S8_S8_EEEEPS9_S9_NSD_9__find_if7functorIS9_EEEE10hipError_tPvRmT1_T2_T3_mT4_P12ihipStream_tbEUlT_E1_NS1_11comp_targetILNS1_3genE5ELNS1_11target_archE942ELNS1_3gpuE9ELNS1_3repE0EEENS1_30default_config_static_selectorELNS0_4arch9wavefront6targetE0EEEvS14_.num_agpr, 0
	.set _ZN7rocprim17ROCPRIM_400000_NS6detail17trampoline_kernelINS0_14default_configENS1_22reduce_config_selectorIN6thrust23THRUST_200600_302600_NS5tupleIblNS6_9null_typeES8_S8_S8_S8_S8_S8_S8_EEEEZNS1_11reduce_implILb1ES3_NS6_12zip_iteratorINS7_INS6_11hip_rocprim26transform_input_iterator_tIbNSD_35transform_pair_of_input_iterators_tIbNS6_6detail15normal_iteratorINS6_10device_ptrIKtEEEESL_NS6_8equal_toItEEEENSG_9not_fun_tINSD_8identityEEEEENSD_19counting_iterator_tIlEES8_S8_S8_S8_S8_S8_S8_S8_EEEEPS9_S9_NSD_9__find_if7functorIS9_EEEE10hipError_tPvRmT1_T2_T3_mT4_P12ihipStream_tbEUlT_E1_NS1_11comp_targetILNS1_3genE5ELNS1_11target_archE942ELNS1_3gpuE9ELNS1_3repE0EEENS1_30default_config_static_selectorELNS0_4arch9wavefront6targetE0EEEvS14_.numbered_sgpr, 0
	.set _ZN7rocprim17ROCPRIM_400000_NS6detail17trampoline_kernelINS0_14default_configENS1_22reduce_config_selectorIN6thrust23THRUST_200600_302600_NS5tupleIblNS6_9null_typeES8_S8_S8_S8_S8_S8_S8_EEEEZNS1_11reduce_implILb1ES3_NS6_12zip_iteratorINS7_INS6_11hip_rocprim26transform_input_iterator_tIbNSD_35transform_pair_of_input_iterators_tIbNS6_6detail15normal_iteratorINS6_10device_ptrIKtEEEESL_NS6_8equal_toItEEEENSG_9not_fun_tINSD_8identityEEEEENSD_19counting_iterator_tIlEES8_S8_S8_S8_S8_S8_S8_S8_EEEEPS9_S9_NSD_9__find_if7functorIS9_EEEE10hipError_tPvRmT1_T2_T3_mT4_P12ihipStream_tbEUlT_E1_NS1_11comp_targetILNS1_3genE5ELNS1_11target_archE942ELNS1_3gpuE9ELNS1_3repE0EEENS1_30default_config_static_selectorELNS0_4arch9wavefront6targetE0EEEvS14_.num_named_barrier, 0
	.set _ZN7rocprim17ROCPRIM_400000_NS6detail17trampoline_kernelINS0_14default_configENS1_22reduce_config_selectorIN6thrust23THRUST_200600_302600_NS5tupleIblNS6_9null_typeES8_S8_S8_S8_S8_S8_S8_EEEEZNS1_11reduce_implILb1ES3_NS6_12zip_iteratorINS7_INS6_11hip_rocprim26transform_input_iterator_tIbNSD_35transform_pair_of_input_iterators_tIbNS6_6detail15normal_iteratorINS6_10device_ptrIKtEEEESL_NS6_8equal_toItEEEENSG_9not_fun_tINSD_8identityEEEEENSD_19counting_iterator_tIlEES8_S8_S8_S8_S8_S8_S8_S8_EEEEPS9_S9_NSD_9__find_if7functorIS9_EEEE10hipError_tPvRmT1_T2_T3_mT4_P12ihipStream_tbEUlT_E1_NS1_11comp_targetILNS1_3genE5ELNS1_11target_archE942ELNS1_3gpuE9ELNS1_3repE0EEENS1_30default_config_static_selectorELNS0_4arch9wavefront6targetE0EEEvS14_.private_seg_size, 0
	.set _ZN7rocprim17ROCPRIM_400000_NS6detail17trampoline_kernelINS0_14default_configENS1_22reduce_config_selectorIN6thrust23THRUST_200600_302600_NS5tupleIblNS6_9null_typeES8_S8_S8_S8_S8_S8_S8_EEEEZNS1_11reduce_implILb1ES3_NS6_12zip_iteratorINS7_INS6_11hip_rocprim26transform_input_iterator_tIbNSD_35transform_pair_of_input_iterators_tIbNS6_6detail15normal_iteratorINS6_10device_ptrIKtEEEESL_NS6_8equal_toItEEEENSG_9not_fun_tINSD_8identityEEEEENSD_19counting_iterator_tIlEES8_S8_S8_S8_S8_S8_S8_S8_EEEEPS9_S9_NSD_9__find_if7functorIS9_EEEE10hipError_tPvRmT1_T2_T3_mT4_P12ihipStream_tbEUlT_E1_NS1_11comp_targetILNS1_3genE5ELNS1_11target_archE942ELNS1_3gpuE9ELNS1_3repE0EEENS1_30default_config_static_selectorELNS0_4arch9wavefront6targetE0EEEvS14_.uses_vcc, 0
	.set _ZN7rocprim17ROCPRIM_400000_NS6detail17trampoline_kernelINS0_14default_configENS1_22reduce_config_selectorIN6thrust23THRUST_200600_302600_NS5tupleIblNS6_9null_typeES8_S8_S8_S8_S8_S8_S8_EEEEZNS1_11reduce_implILb1ES3_NS6_12zip_iteratorINS7_INS6_11hip_rocprim26transform_input_iterator_tIbNSD_35transform_pair_of_input_iterators_tIbNS6_6detail15normal_iteratorINS6_10device_ptrIKtEEEESL_NS6_8equal_toItEEEENSG_9not_fun_tINSD_8identityEEEEENSD_19counting_iterator_tIlEES8_S8_S8_S8_S8_S8_S8_S8_EEEEPS9_S9_NSD_9__find_if7functorIS9_EEEE10hipError_tPvRmT1_T2_T3_mT4_P12ihipStream_tbEUlT_E1_NS1_11comp_targetILNS1_3genE5ELNS1_11target_archE942ELNS1_3gpuE9ELNS1_3repE0EEENS1_30default_config_static_selectorELNS0_4arch9wavefront6targetE0EEEvS14_.uses_flat_scratch, 0
	.set _ZN7rocprim17ROCPRIM_400000_NS6detail17trampoline_kernelINS0_14default_configENS1_22reduce_config_selectorIN6thrust23THRUST_200600_302600_NS5tupleIblNS6_9null_typeES8_S8_S8_S8_S8_S8_S8_EEEEZNS1_11reduce_implILb1ES3_NS6_12zip_iteratorINS7_INS6_11hip_rocprim26transform_input_iterator_tIbNSD_35transform_pair_of_input_iterators_tIbNS6_6detail15normal_iteratorINS6_10device_ptrIKtEEEESL_NS6_8equal_toItEEEENSG_9not_fun_tINSD_8identityEEEEENSD_19counting_iterator_tIlEES8_S8_S8_S8_S8_S8_S8_S8_EEEEPS9_S9_NSD_9__find_if7functorIS9_EEEE10hipError_tPvRmT1_T2_T3_mT4_P12ihipStream_tbEUlT_E1_NS1_11comp_targetILNS1_3genE5ELNS1_11target_archE942ELNS1_3gpuE9ELNS1_3repE0EEENS1_30default_config_static_selectorELNS0_4arch9wavefront6targetE0EEEvS14_.has_dyn_sized_stack, 0
	.set _ZN7rocprim17ROCPRIM_400000_NS6detail17trampoline_kernelINS0_14default_configENS1_22reduce_config_selectorIN6thrust23THRUST_200600_302600_NS5tupleIblNS6_9null_typeES8_S8_S8_S8_S8_S8_S8_EEEEZNS1_11reduce_implILb1ES3_NS6_12zip_iteratorINS7_INS6_11hip_rocprim26transform_input_iterator_tIbNSD_35transform_pair_of_input_iterators_tIbNS6_6detail15normal_iteratorINS6_10device_ptrIKtEEEESL_NS6_8equal_toItEEEENSG_9not_fun_tINSD_8identityEEEEENSD_19counting_iterator_tIlEES8_S8_S8_S8_S8_S8_S8_S8_EEEEPS9_S9_NSD_9__find_if7functorIS9_EEEE10hipError_tPvRmT1_T2_T3_mT4_P12ihipStream_tbEUlT_E1_NS1_11comp_targetILNS1_3genE5ELNS1_11target_archE942ELNS1_3gpuE9ELNS1_3repE0EEENS1_30default_config_static_selectorELNS0_4arch9wavefront6targetE0EEEvS14_.has_recursion, 0
	.set _ZN7rocprim17ROCPRIM_400000_NS6detail17trampoline_kernelINS0_14default_configENS1_22reduce_config_selectorIN6thrust23THRUST_200600_302600_NS5tupleIblNS6_9null_typeES8_S8_S8_S8_S8_S8_S8_EEEEZNS1_11reduce_implILb1ES3_NS6_12zip_iteratorINS7_INS6_11hip_rocprim26transform_input_iterator_tIbNSD_35transform_pair_of_input_iterators_tIbNS6_6detail15normal_iteratorINS6_10device_ptrIKtEEEESL_NS6_8equal_toItEEEENSG_9not_fun_tINSD_8identityEEEEENSD_19counting_iterator_tIlEES8_S8_S8_S8_S8_S8_S8_S8_EEEEPS9_S9_NSD_9__find_if7functorIS9_EEEE10hipError_tPvRmT1_T2_T3_mT4_P12ihipStream_tbEUlT_E1_NS1_11comp_targetILNS1_3genE5ELNS1_11target_archE942ELNS1_3gpuE9ELNS1_3repE0EEENS1_30default_config_static_selectorELNS0_4arch9wavefront6targetE0EEEvS14_.has_indirect_call, 0
	.section	.AMDGPU.csdata,"",@progbits
; Kernel info:
; codeLenInByte = 0
; TotalNumSgprs: 0
; NumVgprs: 0
; ScratchSize: 0
; MemoryBound: 0
; FloatMode: 240
; IeeeMode: 1
; LDSByteSize: 0 bytes/workgroup (compile time only)
; SGPRBlocks: 0
; VGPRBlocks: 0
; NumSGPRsForWavesPerEU: 1
; NumVGPRsForWavesPerEU: 1
; Occupancy: 16
; WaveLimiterHint : 0
; COMPUTE_PGM_RSRC2:SCRATCH_EN: 0
; COMPUTE_PGM_RSRC2:USER_SGPR: 6
; COMPUTE_PGM_RSRC2:TRAP_HANDLER: 0
; COMPUTE_PGM_RSRC2:TGID_X_EN: 1
; COMPUTE_PGM_RSRC2:TGID_Y_EN: 0
; COMPUTE_PGM_RSRC2:TGID_Z_EN: 0
; COMPUTE_PGM_RSRC2:TIDIG_COMP_CNT: 0
	.section	.text._ZN7rocprim17ROCPRIM_400000_NS6detail17trampoline_kernelINS0_14default_configENS1_22reduce_config_selectorIN6thrust23THRUST_200600_302600_NS5tupleIblNS6_9null_typeES8_S8_S8_S8_S8_S8_S8_EEEEZNS1_11reduce_implILb1ES3_NS6_12zip_iteratorINS7_INS6_11hip_rocprim26transform_input_iterator_tIbNSD_35transform_pair_of_input_iterators_tIbNS6_6detail15normal_iteratorINS6_10device_ptrIKtEEEESL_NS6_8equal_toItEEEENSG_9not_fun_tINSD_8identityEEEEENSD_19counting_iterator_tIlEES8_S8_S8_S8_S8_S8_S8_S8_EEEEPS9_S9_NSD_9__find_if7functorIS9_EEEE10hipError_tPvRmT1_T2_T3_mT4_P12ihipStream_tbEUlT_E1_NS1_11comp_targetILNS1_3genE4ELNS1_11target_archE910ELNS1_3gpuE8ELNS1_3repE0EEENS1_30default_config_static_selectorELNS0_4arch9wavefront6targetE0EEEvS14_,"axG",@progbits,_ZN7rocprim17ROCPRIM_400000_NS6detail17trampoline_kernelINS0_14default_configENS1_22reduce_config_selectorIN6thrust23THRUST_200600_302600_NS5tupleIblNS6_9null_typeES8_S8_S8_S8_S8_S8_S8_EEEEZNS1_11reduce_implILb1ES3_NS6_12zip_iteratorINS7_INS6_11hip_rocprim26transform_input_iterator_tIbNSD_35transform_pair_of_input_iterators_tIbNS6_6detail15normal_iteratorINS6_10device_ptrIKtEEEESL_NS6_8equal_toItEEEENSG_9not_fun_tINSD_8identityEEEEENSD_19counting_iterator_tIlEES8_S8_S8_S8_S8_S8_S8_S8_EEEEPS9_S9_NSD_9__find_if7functorIS9_EEEE10hipError_tPvRmT1_T2_T3_mT4_P12ihipStream_tbEUlT_E1_NS1_11comp_targetILNS1_3genE4ELNS1_11target_archE910ELNS1_3gpuE8ELNS1_3repE0EEENS1_30default_config_static_selectorELNS0_4arch9wavefront6targetE0EEEvS14_,comdat
	.protected	_ZN7rocprim17ROCPRIM_400000_NS6detail17trampoline_kernelINS0_14default_configENS1_22reduce_config_selectorIN6thrust23THRUST_200600_302600_NS5tupleIblNS6_9null_typeES8_S8_S8_S8_S8_S8_S8_EEEEZNS1_11reduce_implILb1ES3_NS6_12zip_iteratorINS7_INS6_11hip_rocprim26transform_input_iterator_tIbNSD_35transform_pair_of_input_iterators_tIbNS6_6detail15normal_iteratorINS6_10device_ptrIKtEEEESL_NS6_8equal_toItEEEENSG_9not_fun_tINSD_8identityEEEEENSD_19counting_iterator_tIlEES8_S8_S8_S8_S8_S8_S8_S8_EEEEPS9_S9_NSD_9__find_if7functorIS9_EEEE10hipError_tPvRmT1_T2_T3_mT4_P12ihipStream_tbEUlT_E1_NS1_11comp_targetILNS1_3genE4ELNS1_11target_archE910ELNS1_3gpuE8ELNS1_3repE0EEENS1_30default_config_static_selectorELNS0_4arch9wavefront6targetE0EEEvS14_ ; -- Begin function _ZN7rocprim17ROCPRIM_400000_NS6detail17trampoline_kernelINS0_14default_configENS1_22reduce_config_selectorIN6thrust23THRUST_200600_302600_NS5tupleIblNS6_9null_typeES8_S8_S8_S8_S8_S8_S8_EEEEZNS1_11reduce_implILb1ES3_NS6_12zip_iteratorINS7_INS6_11hip_rocprim26transform_input_iterator_tIbNSD_35transform_pair_of_input_iterators_tIbNS6_6detail15normal_iteratorINS6_10device_ptrIKtEEEESL_NS6_8equal_toItEEEENSG_9not_fun_tINSD_8identityEEEEENSD_19counting_iterator_tIlEES8_S8_S8_S8_S8_S8_S8_S8_EEEEPS9_S9_NSD_9__find_if7functorIS9_EEEE10hipError_tPvRmT1_T2_T3_mT4_P12ihipStream_tbEUlT_E1_NS1_11comp_targetILNS1_3genE4ELNS1_11target_archE910ELNS1_3gpuE8ELNS1_3repE0EEENS1_30default_config_static_selectorELNS0_4arch9wavefront6targetE0EEEvS14_
	.globl	_ZN7rocprim17ROCPRIM_400000_NS6detail17trampoline_kernelINS0_14default_configENS1_22reduce_config_selectorIN6thrust23THRUST_200600_302600_NS5tupleIblNS6_9null_typeES8_S8_S8_S8_S8_S8_S8_EEEEZNS1_11reduce_implILb1ES3_NS6_12zip_iteratorINS7_INS6_11hip_rocprim26transform_input_iterator_tIbNSD_35transform_pair_of_input_iterators_tIbNS6_6detail15normal_iteratorINS6_10device_ptrIKtEEEESL_NS6_8equal_toItEEEENSG_9not_fun_tINSD_8identityEEEEENSD_19counting_iterator_tIlEES8_S8_S8_S8_S8_S8_S8_S8_EEEEPS9_S9_NSD_9__find_if7functorIS9_EEEE10hipError_tPvRmT1_T2_T3_mT4_P12ihipStream_tbEUlT_E1_NS1_11comp_targetILNS1_3genE4ELNS1_11target_archE910ELNS1_3gpuE8ELNS1_3repE0EEENS1_30default_config_static_selectorELNS0_4arch9wavefront6targetE0EEEvS14_
	.p2align	8
	.type	_ZN7rocprim17ROCPRIM_400000_NS6detail17trampoline_kernelINS0_14default_configENS1_22reduce_config_selectorIN6thrust23THRUST_200600_302600_NS5tupleIblNS6_9null_typeES8_S8_S8_S8_S8_S8_S8_EEEEZNS1_11reduce_implILb1ES3_NS6_12zip_iteratorINS7_INS6_11hip_rocprim26transform_input_iterator_tIbNSD_35transform_pair_of_input_iterators_tIbNS6_6detail15normal_iteratorINS6_10device_ptrIKtEEEESL_NS6_8equal_toItEEEENSG_9not_fun_tINSD_8identityEEEEENSD_19counting_iterator_tIlEES8_S8_S8_S8_S8_S8_S8_S8_EEEEPS9_S9_NSD_9__find_if7functorIS9_EEEE10hipError_tPvRmT1_T2_T3_mT4_P12ihipStream_tbEUlT_E1_NS1_11comp_targetILNS1_3genE4ELNS1_11target_archE910ELNS1_3gpuE8ELNS1_3repE0EEENS1_30default_config_static_selectorELNS0_4arch9wavefront6targetE0EEEvS14_,@function
_ZN7rocprim17ROCPRIM_400000_NS6detail17trampoline_kernelINS0_14default_configENS1_22reduce_config_selectorIN6thrust23THRUST_200600_302600_NS5tupleIblNS6_9null_typeES8_S8_S8_S8_S8_S8_S8_EEEEZNS1_11reduce_implILb1ES3_NS6_12zip_iteratorINS7_INS6_11hip_rocprim26transform_input_iterator_tIbNSD_35transform_pair_of_input_iterators_tIbNS6_6detail15normal_iteratorINS6_10device_ptrIKtEEEESL_NS6_8equal_toItEEEENSG_9not_fun_tINSD_8identityEEEEENSD_19counting_iterator_tIlEES8_S8_S8_S8_S8_S8_S8_S8_EEEEPS9_S9_NSD_9__find_if7functorIS9_EEEE10hipError_tPvRmT1_T2_T3_mT4_P12ihipStream_tbEUlT_E1_NS1_11comp_targetILNS1_3genE4ELNS1_11target_archE910ELNS1_3gpuE8ELNS1_3repE0EEENS1_30default_config_static_selectorELNS0_4arch9wavefront6targetE0EEEvS14_: ; @_ZN7rocprim17ROCPRIM_400000_NS6detail17trampoline_kernelINS0_14default_configENS1_22reduce_config_selectorIN6thrust23THRUST_200600_302600_NS5tupleIblNS6_9null_typeES8_S8_S8_S8_S8_S8_S8_EEEEZNS1_11reduce_implILb1ES3_NS6_12zip_iteratorINS7_INS6_11hip_rocprim26transform_input_iterator_tIbNSD_35transform_pair_of_input_iterators_tIbNS6_6detail15normal_iteratorINS6_10device_ptrIKtEEEESL_NS6_8equal_toItEEEENSG_9not_fun_tINSD_8identityEEEEENSD_19counting_iterator_tIlEES8_S8_S8_S8_S8_S8_S8_S8_EEEEPS9_S9_NSD_9__find_if7functorIS9_EEEE10hipError_tPvRmT1_T2_T3_mT4_P12ihipStream_tbEUlT_E1_NS1_11comp_targetILNS1_3genE4ELNS1_11target_archE910ELNS1_3gpuE8ELNS1_3repE0EEENS1_30default_config_static_selectorELNS0_4arch9wavefront6targetE0EEEvS14_
; %bb.0:
	.section	.rodata,"a",@progbits
	.p2align	6, 0x0
	.amdhsa_kernel _ZN7rocprim17ROCPRIM_400000_NS6detail17trampoline_kernelINS0_14default_configENS1_22reduce_config_selectorIN6thrust23THRUST_200600_302600_NS5tupleIblNS6_9null_typeES8_S8_S8_S8_S8_S8_S8_EEEEZNS1_11reduce_implILb1ES3_NS6_12zip_iteratorINS7_INS6_11hip_rocprim26transform_input_iterator_tIbNSD_35transform_pair_of_input_iterators_tIbNS6_6detail15normal_iteratorINS6_10device_ptrIKtEEEESL_NS6_8equal_toItEEEENSG_9not_fun_tINSD_8identityEEEEENSD_19counting_iterator_tIlEES8_S8_S8_S8_S8_S8_S8_S8_EEEEPS9_S9_NSD_9__find_if7functorIS9_EEEE10hipError_tPvRmT1_T2_T3_mT4_P12ihipStream_tbEUlT_E1_NS1_11comp_targetILNS1_3genE4ELNS1_11target_archE910ELNS1_3gpuE8ELNS1_3repE0EEENS1_30default_config_static_selectorELNS0_4arch9wavefront6targetE0EEEvS14_
		.amdhsa_group_segment_fixed_size 0
		.amdhsa_private_segment_fixed_size 0
		.amdhsa_kernarg_size 88
		.amdhsa_user_sgpr_count 6
		.amdhsa_user_sgpr_private_segment_buffer 1
		.amdhsa_user_sgpr_dispatch_ptr 0
		.amdhsa_user_sgpr_queue_ptr 0
		.amdhsa_user_sgpr_kernarg_segment_ptr 1
		.amdhsa_user_sgpr_dispatch_id 0
		.amdhsa_user_sgpr_flat_scratch_init 0
		.amdhsa_user_sgpr_private_segment_size 0
		.amdhsa_wavefront_size32 1
		.amdhsa_uses_dynamic_stack 0
		.amdhsa_system_sgpr_private_segment_wavefront_offset 0
		.amdhsa_system_sgpr_workgroup_id_x 1
		.amdhsa_system_sgpr_workgroup_id_y 0
		.amdhsa_system_sgpr_workgroup_id_z 0
		.amdhsa_system_sgpr_workgroup_info 0
		.amdhsa_system_vgpr_workitem_id 0
		.amdhsa_next_free_vgpr 1
		.amdhsa_next_free_sgpr 1
		.amdhsa_reserve_vcc 0
		.amdhsa_reserve_flat_scratch 0
		.amdhsa_float_round_mode_32 0
		.amdhsa_float_round_mode_16_64 0
		.amdhsa_float_denorm_mode_32 3
		.amdhsa_float_denorm_mode_16_64 3
		.amdhsa_dx10_clamp 1
		.amdhsa_ieee_mode 1
		.amdhsa_fp16_overflow 0
		.amdhsa_workgroup_processor_mode 1
		.amdhsa_memory_ordered 1
		.amdhsa_forward_progress 1
		.amdhsa_shared_vgpr_count 0
		.amdhsa_exception_fp_ieee_invalid_op 0
		.amdhsa_exception_fp_denorm_src 0
		.amdhsa_exception_fp_ieee_div_zero 0
		.amdhsa_exception_fp_ieee_overflow 0
		.amdhsa_exception_fp_ieee_underflow 0
		.amdhsa_exception_fp_ieee_inexact 0
		.amdhsa_exception_int_div_zero 0
	.end_amdhsa_kernel
	.section	.text._ZN7rocprim17ROCPRIM_400000_NS6detail17trampoline_kernelINS0_14default_configENS1_22reduce_config_selectorIN6thrust23THRUST_200600_302600_NS5tupleIblNS6_9null_typeES8_S8_S8_S8_S8_S8_S8_EEEEZNS1_11reduce_implILb1ES3_NS6_12zip_iteratorINS7_INS6_11hip_rocprim26transform_input_iterator_tIbNSD_35transform_pair_of_input_iterators_tIbNS6_6detail15normal_iteratorINS6_10device_ptrIKtEEEESL_NS6_8equal_toItEEEENSG_9not_fun_tINSD_8identityEEEEENSD_19counting_iterator_tIlEES8_S8_S8_S8_S8_S8_S8_S8_EEEEPS9_S9_NSD_9__find_if7functorIS9_EEEE10hipError_tPvRmT1_T2_T3_mT4_P12ihipStream_tbEUlT_E1_NS1_11comp_targetILNS1_3genE4ELNS1_11target_archE910ELNS1_3gpuE8ELNS1_3repE0EEENS1_30default_config_static_selectorELNS0_4arch9wavefront6targetE0EEEvS14_,"axG",@progbits,_ZN7rocprim17ROCPRIM_400000_NS6detail17trampoline_kernelINS0_14default_configENS1_22reduce_config_selectorIN6thrust23THRUST_200600_302600_NS5tupleIblNS6_9null_typeES8_S8_S8_S8_S8_S8_S8_EEEEZNS1_11reduce_implILb1ES3_NS6_12zip_iteratorINS7_INS6_11hip_rocprim26transform_input_iterator_tIbNSD_35transform_pair_of_input_iterators_tIbNS6_6detail15normal_iteratorINS6_10device_ptrIKtEEEESL_NS6_8equal_toItEEEENSG_9not_fun_tINSD_8identityEEEEENSD_19counting_iterator_tIlEES8_S8_S8_S8_S8_S8_S8_S8_EEEEPS9_S9_NSD_9__find_if7functorIS9_EEEE10hipError_tPvRmT1_T2_T3_mT4_P12ihipStream_tbEUlT_E1_NS1_11comp_targetILNS1_3genE4ELNS1_11target_archE910ELNS1_3gpuE8ELNS1_3repE0EEENS1_30default_config_static_selectorELNS0_4arch9wavefront6targetE0EEEvS14_,comdat
.Lfunc_end310:
	.size	_ZN7rocprim17ROCPRIM_400000_NS6detail17trampoline_kernelINS0_14default_configENS1_22reduce_config_selectorIN6thrust23THRUST_200600_302600_NS5tupleIblNS6_9null_typeES8_S8_S8_S8_S8_S8_S8_EEEEZNS1_11reduce_implILb1ES3_NS6_12zip_iteratorINS7_INS6_11hip_rocprim26transform_input_iterator_tIbNSD_35transform_pair_of_input_iterators_tIbNS6_6detail15normal_iteratorINS6_10device_ptrIKtEEEESL_NS6_8equal_toItEEEENSG_9not_fun_tINSD_8identityEEEEENSD_19counting_iterator_tIlEES8_S8_S8_S8_S8_S8_S8_S8_EEEEPS9_S9_NSD_9__find_if7functorIS9_EEEE10hipError_tPvRmT1_T2_T3_mT4_P12ihipStream_tbEUlT_E1_NS1_11comp_targetILNS1_3genE4ELNS1_11target_archE910ELNS1_3gpuE8ELNS1_3repE0EEENS1_30default_config_static_selectorELNS0_4arch9wavefront6targetE0EEEvS14_, .Lfunc_end310-_ZN7rocprim17ROCPRIM_400000_NS6detail17trampoline_kernelINS0_14default_configENS1_22reduce_config_selectorIN6thrust23THRUST_200600_302600_NS5tupleIblNS6_9null_typeES8_S8_S8_S8_S8_S8_S8_EEEEZNS1_11reduce_implILb1ES3_NS6_12zip_iteratorINS7_INS6_11hip_rocprim26transform_input_iterator_tIbNSD_35transform_pair_of_input_iterators_tIbNS6_6detail15normal_iteratorINS6_10device_ptrIKtEEEESL_NS6_8equal_toItEEEENSG_9not_fun_tINSD_8identityEEEEENSD_19counting_iterator_tIlEES8_S8_S8_S8_S8_S8_S8_S8_EEEEPS9_S9_NSD_9__find_if7functorIS9_EEEE10hipError_tPvRmT1_T2_T3_mT4_P12ihipStream_tbEUlT_E1_NS1_11comp_targetILNS1_3genE4ELNS1_11target_archE910ELNS1_3gpuE8ELNS1_3repE0EEENS1_30default_config_static_selectorELNS0_4arch9wavefront6targetE0EEEvS14_
                                        ; -- End function
	.set _ZN7rocprim17ROCPRIM_400000_NS6detail17trampoline_kernelINS0_14default_configENS1_22reduce_config_selectorIN6thrust23THRUST_200600_302600_NS5tupleIblNS6_9null_typeES8_S8_S8_S8_S8_S8_S8_EEEEZNS1_11reduce_implILb1ES3_NS6_12zip_iteratorINS7_INS6_11hip_rocprim26transform_input_iterator_tIbNSD_35transform_pair_of_input_iterators_tIbNS6_6detail15normal_iteratorINS6_10device_ptrIKtEEEESL_NS6_8equal_toItEEEENSG_9not_fun_tINSD_8identityEEEEENSD_19counting_iterator_tIlEES8_S8_S8_S8_S8_S8_S8_S8_EEEEPS9_S9_NSD_9__find_if7functorIS9_EEEE10hipError_tPvRmT1_T2_T3_mT4_P12ihipStream_tbEUlT_E1_NS1_11comp_targetILNS1_3genE4ELNS1_11target_archE910ELNS1_3gpuE8ELNS1_3repE0EEENS1_30default_config_static_selectorELNS0_4arch9wavefront6targetE0EEEvS14_.num_vgpr, 0
	.set _ZN7rocprim17ROCPRIM_400000_NS6detail17trampoline_kernelINS0_14default_configENS1_22reduce_config_selectorIN6thrust23THRUST_200600_302600_NS5tupleIblNS6_9null_typeES8_S8_S8_S8_S8_S8_S8_EEEEZNS1_11reduce_implILb1ES3_NS6_12zip_iteratorINS7_INS6_11hip_rocprim26transform_input_iterator_tIbNSD_35transform_pair_of_input_iterators_tIbNS6_6detail15normal_iteratorINS6_10device_ptrIKtEEEESL_NS6_8equal_toItEEEENSG_9not_fun_tINSD_8identityEEEEENSD_19counting_iterator_tIlEES8_S8_S8_S8_S8_S8_S8_S8_EEEEPS9_S9_NSD_9__find_if7functorIS9_EEEE10hipError_tPvRmT1_T2_T3_mT4_P12ihipStream_tbEUlT_E1_NS1_11comp_targetILNS1_3genE4ELNS1_11target_archE910ELNS1_3gpuE8ELNS1_3repE0EEENS1_30default_config_static_selectorELNS0_4arch9wavefront6targetE0EEEvS14_.num_agpr, 0
	.set _ZN7rocprim17ROCPRIM_400000_NS6detail17trampoline_kernelINS0_14default_configENS1_22reduce_config_selectorIN6thrust23THRUST_200600_302600_NS5tupleIblNS6_9null_typeES8_S8_S8_S8_S8_S8_S8_EEEEZNS1_11reduce_implILb1ES3_NS6_12zip_iteratorINS7_INS6_11hip_rocprim26transform_input_iterator_tIbNSD_35transform_pair_of_input_iterators_tIbNS6_6detail15normal_iteratorINS6_10device_ptrIKtEEEESL_NS6_8equal_toItEEEENSG_9not_fun_tINSD_8identityEEEEENSD_19counting_iterator_tIlEES8_S8_S8_S8_S8_S8_S8_S8_EEEEPS9_S9_NSD_9__find_if7functorIS9_EEEE10hipError_tPvRmT1_T2_T3_mT4_P12ihipStream_tbEUlT_E1_NS1_11comp_targetILNS1_3genE4ELNS1_11target_archE910ELNS1_3gpuE8ELNS1_3repE0EEENS1_30default_config_static_selectorELNS0_4arch9wavefront6targetE0EEEvS14_.numbered_sgpr, 0
	.set _ZN7rocprim17ROCPRIM_400000_NS6detail17trampoline_kernelINS0_14default_configENS1_22reduce_config_selectorIN6thrust23THRUST_200600_302600_NS5tupleIblNS6_9null_typeES8_S8_S8_S8_S8_S8_S8_EEEEZNS1_11reduce_implILb1ES3_NS6_12zip_iteratorINS7_INS6_11hip_rocprim26transform_input_iterator_tIbNSD_35transform_pair_of_input_iterators_tIbNS6_6detail15normal_iteratorINS6_10device_ptrIKtEEEESL_NS6_8equal_toItEEEENSG_9not_fun_tINSD_8identityEEEEENSD_19counting_iterator_tIlEES8_S8_S8_S8_S8_S8_S8_S8_EEEEPS9_S9_NSD_9__find_if7functorIS9_EEEE10hipError_tPvRmT1_T2_T3_mT4_P12ihipStream_tbEUlT_E1_NS1_11comp_targetILNS1_3genE4ELNS1_11target_archE910ELNS1_3gpuE8ELNS1_3repE0EEENS1_30default_config_static_selectorELNS0_4arch9wavefront6targetE0EEEvS14_.num_named_barrier, 0
	.set _ZN7rocprim17ROCPRIM_400000_NS6detail17trampoline_kernelINS0_14default_configENS1_22reduce_config_selectorIN6thrust23THRUST_200600_302600_NS5tupleIblNS6_9null_typeES8_S8_S8_S8_S8_S8_S8_EEEEZNS1_11reduce_implILb1ES3_NS6_12zip_iteratorINS7_INS6_11hip_rocprim26transform_input_iterator_tIbNSD_35transform_pair_of_input_iterators_tIbNS6_6detail15normal_iteratorINS6_10device_ptrIKtEEEESL_NS6_8equal_toItEEEENSG_9not_fun_tINSD_8identityEEEEENSD_19counting_iterator_tIlEES8_S8_S8_S8_S8_S8_S8_S8_EEEEPS9_S9_NSD_9__find_if7functorIS9_EEEE10hipError_tPvRmT1_T2_T3_mT4_P12ihipStream_tbEUlT_E1_NS1_11comp_targetILNS1_3genE4ELNS1_11target_archE910ELNS1_3gpuE8ELNS1_3repE0EEENS1_30default_config_static_selectorELNS0_4arch9wavefront6targetE0EEEvS14_.private_seg_size, 0
	.set _ZN7rocprim17ROCPRIM_400000_NS6detail17trampoline_kernelINS0_14default_configENS1_22reduce_config_selectorIN6thrust23THRUST_200600_302600_NS5tupleIblNS6_9null_typeES8_S8_S8_S8_S8_S8_S8_EEEEZNS1_11reduce_implILb1ES3_NS6_12zip_iteratorINS7_INS6_11hip_rocprim26transform_input_iterator_tIbNSD_35transform_pair_of_input_iterators_tIbNS6_6detail15normal_iteratorINS6_10device_ptrIKtEEEESL_NS6_8equal_toItEEEENSG_9not_fun_tINSD_8identityEEEEENSD_19counting_iterator_tIlEES8_S8_S8_S8_S8_S8_S8_S8_EEEEPS9_S9_NSD_9__find_if7functorIS9_EEEE10hipError_tPvRmT1_T2_T3_mT4_P12ihipStream_tbEUlT_E1_NS1_11comp_targetILNS1_3genE4ELNS1_11target_archE910ELNS1_3gpuE8ELNS1_3repE0EEENS1_30default_config_static_selectorELNS0_4arch9wavefront6targetE0EEEvS14_.uses_vcc, 0
	.set _ZN7rocprim17ROCPRIM_400000_NS6detail17trampoline_kernelINS0_14default_configENS1_22reduce_config_selectorIN6thrust23THRUST_200600_302600_NS5tupleIblNS6_9null_typeES8_S8_S8_S8_S8_S8_S8_EEEEZNS1_11reduce_implILb1ES3_NS6_12zip_iteratorINS7_INS6_11hip_rocprim26transform_input_iterator_tIbNSD_35transform_pair_of_input_iterators_tIbNS6_6detail15normal_iteratorINS6_10device_ptrIKtEEEESL_NS6_8equal_toItEEEENSG_9not_fun_tINSD_8identityEEEEENSD_19counting_iterator_tIlEES8_S8_S8_S8_S8_S8_S8_S8_EEEEPS9_S9_NSD_9__find_if7functorIS9_EEEE10hipError_tPvRmT1_T2_T3_mT4_P12ihipStream_tbEUlT_E1_NS1_11comp_targetILNS1_3genE4ELNS1_11target_archE910ELNS1_3gpuE8ELNS1_3repE0EEENS1_30default_config_static_selectorELNS0_4arch9wavefront6targetE0EEEvS14_.uses_flat_scratch, 0
	.set _ZN7rocprim17ROCPRIM_400000_NS6detail17trampoline_kernelINS0_14default_configENS1_22reduce_config_selectorIN6thrust23THRUST_200600_302600_NS5tupleIblNS6_9null_typeES8_S8_S8_S8_S8_S8_S8_EEEEZNS1_11reduce_implILb1ES3_NS6_12zip_iteratorINS7_INS6_11hip_rocprim26transform_input_iterator_tIbNSD_35transform_pair_of_input_iterators_tIbNS6_6detail15normal_iteratorINS6_10device_ptrIKtEEEESL_NS6_8equal_toItEEEENSG_9not_fun_tINSD_8identityEEEEENSD_19counting_iterator_tIlEES8_S8_S8_S8_S8_S8_S8_S8_EEEEPS9_S9_NSD_9__find_if7functorIS9_EEEE10hipError_tPvRmT1_T2_T3_mT4_P12ihipStream_tbEUlT_E1_NS1_11comp_targetILNS1_3genE4ELNS1_11target_archE910ELNS1_3gpuE8ELNS1_3repE0EEENS1_30default_config_static_selectorELNS0_4arch9wavefront6targetE0EEEvS14_.has_dyn_sized_stack, 0
	.set _ZN7rocprim17ROCPRIM_400000_NS6detail17trampoline_kernelINS0_14default_configENS1_22reduce_config_selectorIN6thrust23THRUST_200600_302600_NS5tupleIblNS6_9null_typeES8_S8_S8_S8_S8_S8_S8_EEEEZNS1_11reduce_implILb1ES3_NS6_12zip_iteratorINS7_INS6_11hip_rocprim26transform_input_iterator_tIbNSD_35transform_pair_of_input_iterators_tIbNS6_6detail15normal_iteratorINS6_10device_ptrIKtEEEESL_NS6_8equal_toItEEEENSG_9not_fun_tINSD_8identityEEEEENSD_19counting_iterator_tIlEES8_S8_S8_S8_S8_S8_S8_S8_EEEEPS9_S9_NSD_9__find_if7functorIS9_EEEE10hipError_tPvRmT1_T2_T3_mT4_P12ihipStream_tbEUlT_E1_NS1_11comp_targetILNS1_3genE4ELNS1_11target_archE910ELNS1_3gpuE8ELNS1_3repE0EEENS1_30default_config_static_selectorELNS0_4arch9wavefront6targetE0EEEvS14_.has_recursion, 0
	.set _ZN7rocprim17ROCPRIM_400000_NS6detail17trampoline_kernelINS0_14default_configENS1_22reduce_config_selectorIN6thrust23THRUST_200600_302600_NS5tupleIblNS6_9null_typeES8_S8_S8_S8_S8_S8_S8_EEEEZNS1_11reduce_implILb1ES3_NS6_12zip_iteratorINS7_INS6_11hip_rocprim26transform_input_iterator_tIbNSD_35transform_pair_of_input_iterators_tIbNS6_6detail15normal_iteratorINS6_10device_ptrIKtEEEESL_NS6_8equal_toItEEEENSG_9not_fun_tINSD_8identityEEEEENSD_19counting_iterator_tIlEES8_S8_S8_S8_S8_S8_S8_S8_EEEEPS9_S9_NSD_9__find_if7functorIS9_EEEE10hipError_tPvRmT1_T2_T3_mT4_P12ihipStream_tbEUlT_E1_NS1_11comp_targetILNS1_3genE4ELNS1_11target_archE910ELNS1_3gpuE8ELNS1_3repE0EEENS1_30default_config_static_selectorELNS0_4arch9wavefront6targetE0EEEvS14_.has_indirect_call, 0
	.section	.AMDGPU.csdata,"",@progbits
; Kernel info:
; codeLenInByte = 0
; TotalNumSgprs: 0
; NumVgprs: 0
; ScratchSize: 0
; MemoryBound: 0
; FloatMode: 240
; IeeeMode: 1
; LDSByteSize: 0 bytes/workgroup (compile time only)
; SGPRBlocks: 0
; VGPRBlocks: 0
; NumSGPRsForWavesPerEU: 1
; NumVGPRsForWavesPerEU: 1
; Occupancy: 16
; WaveLimiterHint : 0
; COMPUTE_PGM_RSRC2:SCRATCH_EN: 0
; COMPUTE_PGM_RSRC2:USER_SGPR: 6
; COMPUTE_PGM_RSRC2:TRAP_HANDLER: 0
; COMPUTE_PGM_RSRC2:TGID_X_EN: 1
; COMPUTE_PGM_RSRC2:TGID_Y_EN: 0
; COMPUTE_PGM_RSRC2:TGID_Z_EN: 0
; COMPUTE_PGM_RSRC2:TIDIG_COMP_CNT: 0
	.section	.text._ZN7rocprim17ROCPRIM_400000_NS6detail17trampoline_kernelINS0_14default_configENS1_22reduce_config_selectorIN6thrust23THRUST_200600_302600_NS5tupleIblNS6_9null_typeES8_S8_S8_S8_S8_S8_S8_EEEEZNS1_11reduce_implILb1ES3_NS6_12zip_iteratorINS7_INS6_11hip_rocprim26transform_input_iterator_tIbNSD_35transform_pair_of_input_iterators_tIbNS6_6detail15normal_iteratorINS6_10device_ptrIKtEEEESL_NS6_8equal_toItEEEENSG_9not_fun_tINSD_8identityEEEEENSD_19counting_iterator_tIlEES8_S8_S8_S8_S8_S8_S8_S8_EEEEPS9_S9_NSD_9__find_if7functorIS9_EEEE10hipError_tPvRmT1_T2_T3_mT4_P12ihipStream_tbEUlT_E1_NS1_11comp_targetILNS1_3genE3ELNS1_11target_archE908ELNS1_3gpuE7ELNS1_3repE0EEENS1_30default_config_static_selectorELNS0_4arch9wavefront6targetE0EEEvS14_,"axG",@progbits,_ZN7rocprim17ROCPRIM_400000_NS6detail17trampoline_kernelINS0_14default_configENS1_22reduce_config_selectorIN6thrust23THRUST_200600_302600_NS5tupleIblNS6_9null_typeES8_S8_S8_S8_S8_S8_S8_EEEEZNS1_11reduce_implILb1ES3_NS6_12zip_iteratorINS7_INS6_11hip_rocprim26transform_input_iterator_tIbNSD_35transform_pair_of_input_iterators_tIbNS6_6detail15normal_iteratorINS6_10device_ptrIKtEEEESL_NS6_8equal_toItEEEENSG_9not_fun_tINSD_8identityEEEEENSD_19counting_iterator_tIlEES8_S8_S8_S8_S8_S8_S8_S8_EEEEPS9_S9_NSD_9__find_if7functorIS9_EEEE10hipError_tPvRmT1_T2_T3_mT4_P12ihipStream_tbEUlT_E1_NS1_11comp_targetILNS1_3genE3ELNS1_11target_archE908ELNS1_3gpuE7ELNS1_3repE0EEENS1_30default_config_static_selectorELNS0_4arch9wavefront6targetE0EEEvS14_,comdat
	.protected	_ZN7rocprim17ROCPRIM_400000_NS6detail17trampoline_kernelINS0_14default_configENS1_22reduce_config_selectorIN6thrust23THRUST_200600_302600_NS5tupleIblNS6_9null_typeES8_S8_S8_S8_S8_S8_S8_EEEEZNS1_11reduce_implILb1ES3_NS6_12zip_iteratorINS7_INS6_11hip_rocprim26transform_input_iterator_tIbNSD_35transform_pair_of_input_iterators_tIbNS6_6detail15normal_iteratorINS6_10device_ptrIKtEEEESL_NS6_8equal_toItEEEENSG_9not_fun_tINSD_8identityEEEEENSD_19counting_iterator_tIlEES8_S8_S8_S8_S8_S8_S8_S8_EEEEPS9_S9_NSD_9__find_if7functorIS9_EEEE10hipError_tPvRmT1_T2_T3_mT4_P12ihipStream_tbEUlT_E1_NS1_11comp_targetILNS1_3genE3ELNS1_11target_archE908ELNS1_3gpuE7ELNS1_3repE0EEENS1_30default_config_static_selectorELNS0_4arch9wavefront6targetE0EEEvS14_ ; -- Begin function _ZN7rocprim17ROCPRIM_400000_NS6detail17trampoline_kernelINS0_14default_configENS1_22reduce_config_selectorIN6thrust23THRUST_200600_302600_NS5tupleIblNS6_9null_typeES8_S8_S8_S8_S8_S8_S8_EEEEZNS1_11reduce_implILb1ES3_NS6_12zip_iteratorINS7_INS6_11hip_rocprim26transform_input_iterator_tIbNSD_35transform_pair_of_input_iterators_tIbNS6_6detail15normal_iteratorINS6_10device_ptrIKtEEEESL_NS6_8equal_toItEEEENSG_9not_fun_tINSD_8identityEEEEENSD_19counting_iterator_tIlEES8_S8_S8_S8_S8_S8_S8_S8_EEEEPS9_S9_NSD_9__find_if7functorIS9_EEEE10hipError_tPvRmT1_T2_T3_mT4_P12ihipStream_tbEUlT_E1_NS1_11comp_targetILNS1_3genE3ELNS1_11target_archE908ELNS1_3gpuE7ELNS1_3repE0EEENS1_30default_config_static_selectorELNS0_4arch9wavefront6targetE0EEEvS14_
	.globl	_ZN7rocprim17ROCPRIM_400000_NS6detail17trampoline_kernelINS0_14default_configENS1_22reduce_config_selectorIN6thrust23THRUST_200600_302600_NS5tupleIblNS6_9null_typeES8_S8_S8_S8_S8_S8_S8_EEEEZNS1_11reduce_implILb1ES3_NS6_12zip_iteratorINS7_INS6_11hip_rocprim26transform_input_iterator_tIbNSD_35transform_pair_of_input_iterators_tIbNS6_6detail15normal_iteratorINS6_10device_ptrIKtEEEESL_NS6_8equal_toItEEEENSG_9not_fun_tINSD_8identityEEEEENSD_19counting_iterator_tIlEES8_S8_S8_S8_S8_S8_S8_S8_EEEEPS9_S9_NSD_9__find_if7functorIS9_EEEE10hipError_tPvRmT1_T2_T3_mT4_P12ihipStream_tbEUlT_E1_NS1_11comp_targetILNS1_3genE3ELNS1_11target_archE908ELNS1_3gpuE7ELNS1_3repE0EEENS1_30default_config_static_selectorELNS0_4arch9wavefront6targetE0EEEvS14_
	.p2align	8
	.type	_ZN7rocprim17ROCPRIM_400000_NS6detail17trampoline_kernelINS0_14default_configENS1_22reduce_config_selectorIN6thrust23THRUST_200600_302600_NS5tupleIblNS6_9null_typeES8_S8_S8_S8_S8_S8_S8_EEEEZNS1_11reduce_implILb1ES3_NS6_12zip_iteratorINS7_INS6_11hip_rocprim26transform_input_iterator_tIbNSD_35transform_pair_of_input_iterators_tIbNS6_6detail15normal_iteratorINS6_10device_ptrIKtEEEESL_NS6_8equal_toItEEEENSG_9not_fun_tINSD_8identityEEEEENSD_19counting_iterator_tIlEES8_S8_S8_S8_S8_S8_S8_S8_EEEEPS9_S9_NSD_9__find_if7functorIS9_EEEE10hipError_tPvRmT1_T2_T3_mT4_P12ihipStream_tbEUlT_E1_NS1_11comp_targetILNS1_3genE3ELNS1_11target_archE908ELNS1_3gpuE7ELNS1_3repE0EEENS1_30default_config_static_selectorELNS0_4arch9wavefront6targetE0EEEvS14_,@function
_ZN7rocprim17ROCPRIM_400000_NS6detail17trampoline_kernelINS0_14default_configENS1_22reduce_config_selectorIN6thrust23THRUST_200600_302600_NS5tupleIblNS6_9null_typeES8_S8_S8_S8_S8_S8_S8_EEEEZNS1_11reduce_implILb1ES3_NS6_12zip_iteratorINS7_INS6_11hip_rocprim26transform_input_iterator_tIbNSD_35transform_pair_of_input_iterators_tIbNS6_6detail15normal_iteratorINS6_10device_ptrIKtEEEESL_NS6_8equal_toItEEEENSG_9not_fun_tINSD_8identityEEEEENSD_19counting_iterator_tIlEES8_S8_S8_S8_S8_S8_S8_S8_EEEEPS9_S9_NSD_9__find_if7functorIS9_EEEE10hipError_tPvRmT1_T2_T3_mT4_P12ihipStream_tbEUlT_E1_NS1_11comp_targetILNS1_3genE3ELNS1_11target_archE908ELNS1_3gpuE7ELNS1_3repE0EEENS1_30default_config_static_selectorELNS0_4arch9wavefront6targetE0EEEvS14_: ; @_ZN7rocprim17ROCPRIM_400000_NS6detail17trampoline_kernelINS0_14default_configENS1_22reduce_config_selectorIN6thrust23THRUST_200600_302600_NS5tupleIblNS6_9null_typeES8_S8_S8_S8_S8_S8_S8_EEEEZNS1_11reduce_implILb1ES3_NS6_12zip_iteratorINS7_INS6_11hip_rocprim26transform_input_iterator_tIbNSD_35transform_pair_of_input_iterators_tIbNS6_6detail15normal_iteratorINS6_10device_ptrIKtEEEESL_NS6_8equal_toItEEEENSG_9not_fun_tINSD_8identityEEEEENSD_19counting_iterator_tIlEES8_S8_S8_S8_S8_S8_S8_S8_EEEEPS9_S9_NSD_9__find_if7functorIS9_EEEE10hipError_tPvRmT1_T2_T3_mT4_P12ihipStream_tbEUlT_E1_NS1_11comp_targetILNS1_3genE3ELNS1_11target_archE908ELNS1_3gpuE7ELNS1_3repE0EEENS1_30default_config_static_selectorELNS0_4arch9wavefront6targetE0EEEvS14_
; %bb.0:
	.section	.rodata,"a",@progbits
	.p2align	6, 0x0
	.amdhsa_kernel _ZN7rocprim17ROCPRIM_400000_NS6detail17trampoline_kernelINS0_14default_configENS1_22reduce_config_selectorIN6thrust23THRUST_200600_302600_NS5tupleIblNS6_9null_typeES8_S8_S8_S8_S8_S8_S8_EEEEZNS1_11reduce_implILb1ES3_NS6_12zip_iteratorINS7_INS6_11hip_rocprim26transform_input_iterator_tIbNSD_35transform_pair_of_input_iterators_tIbNS6_6detail15normal_iteratorINS6_10device_ptrIKtEEEESL_NS6_8equal_toItEEEENSG_9not_fun_tINSD_8identityEEEEENSD_19counting_iterator_tIlEES8_S8_S8_S8_S8_S8_S8_S8_EEEEPS9_S9_NSD_9__find_if7functorIS9_EEEE10hipError_tPvRmT1_T2_T3_mT4_P12ihipStream_tbEUlT_E1_NS1_11comp_targetILNS1_3genE3ELNS1_11target_archE908ELNS1_3gpuE7ELNS1_3repE0EEENS1_30default_config_static_selectorELNS0_4arch9wavefront6targetE0EEEvS14_
		.amdhsa_group_segment_fixed_size 0
		.amdhsa_private_segment_fixed_size 0
		.amdhsa_kernarg_size 88
		.amdhsa_user_sgpr_count 6
		.amdhsa_user_sgpr_private_segment_buffer 1
		.amdhsa_user_sgpr_dispatch_ptr 0
		.amdhsa_user_sgpr_queue_ptr 0
		.amdhsa_user_sgpr_kernarg_segment_ptr 1
		.amdhsa_user_sgpr_dispatch_id 0
		.amdhsa_user_sgpr_flat_scratch_init 0
		.amdhsa_user_sgpr_private_segment_size 0
		.amdhsa_wavefront_size32 1
		.amdhsa_uses_dynamic_stack 0
		.amdhsa_system_sgpr_private_segment_wavefront_offset 0
		.amdhsa_system_sgpr_workgroup_id_x 1
		.amdhsa_system_sgpr_workgroup_id_y 0
		.amdhsa_system_sgpr_workgroup_id_z 0
		.amdhsa_system_sgpr_workgroup_info 0
		.amdhsa_system_vgpr_workitem_id 0
		.amdhsa_next_free_vgpr 1
		.amdhsa_next_free_sgpr 1
		.amdhsa_reserve_vcc 0
		.amdhsa_reserve_flat_scratch 0
		.amdhsa_float_round_mode_32 0
		.amdhsa_float_round_mode_16_64 0
		.amdhsa_float_denorm_mode_32 3
		.amdhsa_float_denorm_mode_16_64 3
		.amdhsa_dx10_clamp 1
		.amdhsa_ieee_mode 1
		.amdhsa_fp16_overflow 0
		.amdhsa_workgroup_processor_mode 1
		.amdhsa_memory_ordered 1
		.amdhsa_forward_progress 1
		.amdhsa_shared_vgpr_count 0
		.amdhsa_exception_fp_ieee_invalid_op 0
		.amdhsa_exception_fp_denorm_src 0
		.amdhsa_exception_fp_ieee_div_zero 0
		.amdhsa_exception_fp_ieee_overflow 0
		.amdhsa_exception_fp_ieee_underflow 0
		.amdhsa_exception_fp_ieee_inexact 0
		.amdhsa_exception_int_div_zero 0
	.end_amdhsa_kernel
	.section	.text._ZN7rocprim17ROCPRIM_400000_NS6detail17trampoline_kernelINS0_14default_configENS1_22reduce_config_selectorIN6thrust23THRUST_200600_302600_NS5tupleIblNS6_9null_typeES8_S8_S8_S8_S8_S8_S8_EEEEZNS1_11reduce_implILb1ES3_NS6_12zip_iteratorINS7_INS6_11hip_rocprim26transform_input_iterator_tIbNSD_35transform_pair_of_input_iterators_tIbNS6_6detail15normal_iteratorINS6_10device_ptrIKtEEEESL_NS6_8equal_toItEEEENSG_9not_fun_tINSD_8identityEEEEENSD_19counting_iterator_tIlEES8_S8_S8_S8_S8_S8_S8_S8_EEEEPS9_S9_NSD_9__find_if7functorIS9_EEEE10hipError_tPvRmT1_T2_T3_mT4_P12ihipStream_tbEUlT_E1_NS1_11comp_targetILNS1_3genE3ELNS1_11target_archE908ELNS1_3gpuE7ELNS1_3repE0EEENS1_30default_config_static_selectorELNS0_4arch9wavefront6targetE0EEEvS14_,"axG",@progbits,_ZN7rocprim17ROCPRIM_400000_NS6detail17trampoline_kernelINS0_14default_configENS1_22reduce_config_selectorIN6thrust23THRUST_200600_302600_NS5tupleIblNS6_9null_typeES8_S8_S8_S8_S8_S8_S8_EEEEZNS1_11reduce_implILb1ES3_NS6_12zip_iteratorINS7_INS6_11hip_rocprim26transform_input_iterator_tIbNSD_35transform_pair_of_input_iterators_tIbNS6_6detail15normal_iteratorINS6_10device_ptrIKtEEEESL_NS6_8equal_toItEEEENSG_9not_fun_tINSD_8identityEEEEENSD_19counting_iterator_tIlEES8_S8_S8_S8_S8_S8_S8_S8_EEEEPS9_S9_NSD_9__find_if7functorIS9_EEEE10hipError_tPvRmT1_T2_T3_mT4_P12ihipStream_tbEUlT_E1_NS1_11comp_targetILNS1_3genE3ELNS1_11target_archE908ELNS1_3gpuE7ELNS1_3repE0EEENS1_30default_config_static_selectorELNS0_4arch9wavefront6targetE0EEEvS14_,comdat
.Lfunc_end311:
	.size	_ZN7rocprim17ROCPRIM_400000_NS6detail17trampoline_kernelINS0_14default_configENS1_22reduce_config_selectorIN6thrust23THRUST_200600_302600_NS5tupleIblNS6_9null_typeES8_S8_S8_S8_S8_S8_S8_EEEEZNS1_11reduce_implILb1ES3_NS6_12zip_iteratorINS7_INS6_11hip_rocprim26transform_input_iterator_tIbNSD_35transform_pair_of_input_iterators_tIbNS6_6detail15normal_iteratorINS6_10device_ptrIKtEEEESL_NS6_8equal_toItEEEENSG_9not_fun_tINSD_8identityEEEEENSD_19counting_iterator_tIlEES8_S8_S8_S8_S8_S8_S8_S8_EEEEPS9_S9_NSD_9__find_if7functorIS9_EEEE10hipError_tPvRmT1_T2_T3_mT4_P12ihipStream_tbEUlT_E1_NS1_11comp_targetILNS1_3genE3ELNS1_11target_archE908ELNS1_3gpuE7ELNS1_3repE0EEENS1_30default_config_static_selectorELNS0_4arch9wavefront6targetE0EEEvS14_, .Lfunc_end311-_ZN7rocprim17ROCPRIM_400000_NS6detail17trampoline_kernelINS0_14default_configENS1_22reduce_config_selectorIN6thrust23THRUST_200600_302600_NS5tupleIblNS6_9null_typeES8_S8_S8_S8_S8_S8_S8_EEEEZNS1_11reduce_implILb1ES3_NS6_12zip_iteratorINS7_INS6_11hip_rocprim26transform_input_iterator_tIbNSD_35transform_pair_of_input_iterators_tIbNS6_6detail15normal_iteratorINS6_10device_ptrIKtEEEESL_NS6_8equal_toItEEEENSG_9not_fun_tINSD_8identityEEEEENSD_19counting_iterator_tIlEES8_S8_S8_S8_S8_S8_S8_S8_EEEEPS9_S9_NSD_9__find_if7functorIS9_EEEE10hipError_tPvRmT1_T2_T3_mT4_P12ihipStream_tbEUlT_E1_NS1_11comp_targetILNS1_3genE3ELNS1_11target_archE908ELNS1_3gpuE7ELNS1_3repE0EEENS1_30default_config_static_selectorELNS0_4arch9wavefront6targetE0EEEvS14_
                                        ; -- End function
	.set _ZN7rocprim17ROCPRIM_400000_NS6detail17trampoline_kernelINS0_14default_configENS1_22reduce_config_selectorIN6thrust23THRUST_200600_302600_NS5tupleIblNS6_9null_typeES8_S8_S8_S8_S8_S8_S8_EEEEZNS1_11reduce_implILb1ES3_NS6_12zip_iteratorINS7_INS6_11hip_rocprim26transform_input_iterator_tIbNSD_35transform_pair_of_input_iterators_tIbNS6_6detail15normal_iteratorINS6_10device_ptrIKtEEEESL_NS6_8equal_toItEEEENSG_9not_fun_tINSD_8identityEEEEENSD_19counting_iterator_tIlEES8_S8_S8_S8_S8_S8_S8_S8_EEEEPS9_S9_NSD_9__find_if7functorIS9_EEEE10hipError_tPvRmT1_T2_T3_mT4_P12ihipStream_tbEUlT_E1_NS1_11comp_targetILNS1_3genE3ELNS1_11target_archE908ELNS1_3gpuE7ELNS1_3repE0EEENS1_30default_config_static_selectorELNS0_4arch9wavefront6targetE0EEEvS14_.num_vgpr, 0
	.set _ZN7rocprim17ROCPRIM_400000_NS6detail17trampoline_kernelINS0_14default_configENS1_22reduce_config_selectorIN6thrust23THRUST_200600_302600_NS5tupleIblNS6_9null_typeES8_S8_S8_S8_S8_S8_S8_EEEEZNS1_11reduce_implILb1ES3_NS6_12zip_iteratorINS7_INS6_11hip_rocprim26transform_input_iterator_tIbNSD_35transform_pair_of_input_iterators_tIbNS6_6detail15normal_iteratorINS6_10device_ptrIKtEEEESL_NS6_8equal_toItEEEENSG_9not_fun_tINSD_8identityEEEEENSD_19counting_iterator_tIlEES8_S8_S8_S8_S8_S8_S8_S8_EEEEPS9_S9_NSD_9__find_if7functorIS9_EEEE10hipError_tPvRmT1_T2_T3_mT4_P12ihipStream_tbEUlT_E1_NS1_11comp_targetILNS1_3genE3ELNS1_11target_archE908ELNS1_3gpuE7ELNS1_3repE0EEENS1_30default_config_static_selectorELNS0_4arch9wavefront6targetE0EEEvS14_.num_agpr, 0
	.set _ZN7rocprim17ROCPRIM_400000_NS6detail17trampoline_kernelINS0_14default_configENS1_22reduce_config_selectorIN6thrust23THRUST_200600_302600_NS5tupleIblNS6_9null_typeES8_S8_S8_S8_S8_S8_S8_EEEEZNS1_11reduce_implILb1ES3_NS6_12zip_iteratorINS7_INS6_11hip_rocprim26transform_input_iterator_tIbNSD_35transform_pair_of_input_iterators_tIbNS6_6detail15normal_iteratorINS6_10device_ptrIKtEEEESL_NS6_8equal_toItEEEENSG_9not_fun_tINSD_8identityEEEEENSD_19counting_iterator_tIlEES8_S8_S8_S8_S8_S8_S8_S8_EEEEPS9_S9_NSD_9__find_if7functorIS9_EEEE10hipError_tPvRmT1_T2_T3_mT4_P12ihipStream_tbEUlT_E1_NS1_11comp_targetILNS1_3genE3ELNS1_11target_archE908ELNS1_3gpuE7ELNS1_3repE0EEENS1_30default_config_static_selectorELNS0_4arch9wavefront6targetE0EEEvS14_.numbered_sgpr, 0
	.set _ZN7rocprim17ROCPRIM_400000_NS6detail17trampoline_kernelINS0_14default_configENS1_22reduce_config_selectorIN6thrust23THRUST_200600_302600_NS5tupleIblNS6_9null_typeES8_S8_S8_S8_S8_S8_S8_EEEEZNS1_11reduce_implILb1ES3_NS6_12zip_iteratorINS7_INS6_11hip_rocprim26transform_input_iterator_tIbNSD_35transform_pair_of_input_iterators_tIbNS6_6detail15normal_iteratorINS6_10device_ptrIKtEEEESL_NS6_8equal_toItEEEENSG_9not_fun_tINSD_8identityEEEEENSD_19counting_iterator_tIlEES8_S8_S8_S8_S8_S8_S8_S8_EEEEPS9_S9_NSD_9__find_if7functorIS9_EEEE10hipError_tPvRmT1_T2_T3_mT4_P12ihipStream_tbEUlT_E1_NS1_11comp_targetILNS1_3genE3ELNS1_11target_archE908ELNS1_3gpuE7ELNS1_3repE0EEENS1_30default_config_static_selectorELNS0_4arch9wavefront6targetE0EEEvS14_.num_named_barrier, 0
	.set _ZN7rocprim17ROCPRIM_400000_NS6detail17trampoline_kernelINS0_14default_configENS1_22reduce_config_selectorIN6thrust23THRUST_200600_302600_NS5tupleIblNS6_9null_typeES8_S8_S8_S8_S8_S8_S8_EEEEZNS1_11reduce_implILb1ES3_NS6_12zip_iteratorINS7_INS6_11hip_rocprim26transform_input_iterator_tIbNSD_35transform_pair_of_input_iterators_tIbNS6_6detail15normal_iteratorINS6_10device_ptrIKtEEEESL_NS6_8equal_toItEEEENSG_9not_fun_tINSD_8identityEEEEENSD_19counting_iterator_tIlEES8_S8_S8_S8_S8_S8_S8_S8_EEEEPS9_S9_NSD_9__find_if7functorIS9_EEEE10hipError_tPvRmT1_T2_T3_mT4_P12ihipStream_tbEUlT_E1_NS1_11comp_targetILNS1_3genE3ELNS1_11target_archE908ELNS1_3gpuE7ELNS1_3repE0EEENS1_30default_config_static_selectorELNS0_4arch9wavefront6targetE0EEEvS14_.private_seg_size, 0
	.set _ZN7rocprim17ROCPRIM_400000_NS6detail17trampoline_kernelINS0_14default_configENS1_22reduce_config_selectorIN6thrust23THRUST_200600_302600_NS5tupleIblNS6_9null_typeES8_S8_S8_S8_S8_S8_S8_EEEEZNS1_11reduce_implILb1ES3_NS6_12zip_iteratorINS7_INS6_11hip_rocprim26transform_input_iterator_tIbNSD_35transform_pair_of_input_iterators_tIbNS6_6detail15normal_iteratorINS6_10device_ptrIKtEEEESL_NS6_8equal_toItEEEENSG_9not_fun_tINSD_8identityEEEEENSD_19counting_iterator_tIlEES8_S8_S8_S8_S8_S8_S8_S8_EEEEPS9_S9_NSD_9__find_if7functorIS9_EEEE10hipError_tPvRmT1_T2_T3_mT4_P12ihipStream_tbEUlT_E1_NS1_11comp_targetILNS1_3genE3ELNS1_11target_archE908ELNS1_3gpuE7ELNS1_3repE0EEENS1_30default_config_static_selectorELNS0_4arch9wavefront6targetE0EEEvS14_.uses_vcc, 0
	.set _ZN7rocprim17ROCPRIM_400000_NS6detail17trampoline_kernelINS0_14default_configENS1_22reduce_config_selectorIN6thrust23THRUST_200600_302600_NS5tupleIblNS6_9null_typeES8_S8_S8_S8_S8_S8_S8_EEEEZNS1_11reduce_implILb1ES3_NS6_12zip_iteratorINS7_INS6_11hip_rocprim26transform_input_iterator_tIbNSD_35transform_pair_of_input_iterators_tIbNS6_6detail15normal_iteratorINS6_10device_ptrIKtEEEESL_NS6_8equal_toItEEEENSG_9not_fun_tINSD_8identityEEEEENSD_19counting_iterator_tIlEES8_S8_S8_S8_S8_S8_S8_S8_EEEEPS9_S9_NSD_9__find_if7functorIS9_EEEE10hipError_tPvRmT1_T2_T3_mT4_P12ihipStream_tbEUlT_E1_NS1_11comp_targetILNS1_3genE3ELNS1_11target_archE908ELNS1_3gpuE7ELNS1_3repE0EEENS1_30default_config_static_selectorELNS0_4arch9wavefront6targetE0EEEvS14_.uses_flat_scratch, 0
	.set _ZN7rocprim17ROCPRIM_400000_NS6detail17trampoline_kernelINS0_14default_configENS1_22reduce_config_selectorIN6thrust23THRUST_200600_302600_NS5tupleIblNS6_9null_typeES8_S8_S8_S8_S8_S8_S8_EEEEZNS1_11reduce_implILb1ES3_NS6_12zip_iteratorINS7_INS6_11hip_rocprim26transform_input_iterator_tIbNSD_35transform_pair_of_input_iterators_tIbNS6_6detail15normal_iteratorINS6_10device_ptrIKtEEEESL_NS6_8equal_toItEEEENSG_9not_fun_tINSD_8identityEEEEENSD_19counting_iterator_tIlEES8_S8_S8_S8_S8_S8_S8_S8_EEEEPS9_S9_NSD_9__find_if7functorIS9_EEEE10hipError_tPvRmT1_T2_T3_mT4_P12ihipStream_tbEUlT_E1_NS1_11comp_targetILNS1_3genE3ELNS1_11target_archE908ELNS1_3gpuE7ELNS1_3repE0EEENS1_30default_config_static_selectorELNS0_4arch9wavefront6targetE0EEEvS14_.has_dyn_sized_stack, 0
	.set _ZN7rocprim17ROCPRIM_400000_NS6detail17trampoline_kernelINS0_14default_configENS1_22reduce_config_selectorIN6thrust23THRUST_200600_302600_NS5tupleIblNS6_9null_typeES8_S8_S8_S8_S8_S8_S8_EEEEZNS1_11reduce_implILb1ES3_NS6_12zip_iteratorINS7_INS6_11hip_rocprim26transform_input_iterator_tIbNSD_35transform_pair_of_input_iterators_tIbNS6_6detail15normal_iteratorINS6_10device_ptrIKtEEEESL_NS6_8equal_toItEEEENSG_9not_fun_tINSD_8identityEEEEENSD_19counting_iterator_tIlEES8_S8_S8_S8_S8_S8_S8_S8_EEEEPS9_S9_NSD_9__find_if7functorIS9_EEEE10hipError_tPvRmT1_T2_T3_mT4_P12ihipStream_tbEUlT_E1_NS1_11comp_targetILNS1_3genE3ELNS1_11target_archE908ELNS1_3gpuE7ELNS1_3repE0EEENS1_30default_config_static_selectorELNS0_4arch9wavefront6targetE0EEEvS14_.has_recursion, 0
	.set _ZN7rocprim17ROCPRIM_400000_NS6detail17trampoline_kernelINS0_14default_configENS1_22reduce_config_selectorIN6thrust23THRUST_200600_302600_NS5tupleIblNS6_9null_typeES8_S8_S8_S8_S8_S8_S8_EEEEZNS1_11reduce_implILb1ES3_NS6_12zip_iteratorINS7_INS6_11hip_rocprim26transform_input_iterator_tIbNSD_35transform_pair_of_input_iterators_tIbNS6_6detail15normal_iteratorINS6_10device_ptrIKtEEEESL_NS6_8equal_toItEEEENSG_9not_fun_tINSD_8identityEEEEENSD_19counting_iterator_tIlEES8_S8_S8_S8_S8_S8_S8_S8_EEEEPS9_S9_NSD_9__find_if7functorIS9_EEEE10hipError_tPvRmT1_T2_T3_mT4_P12ihipStream_tbEUlT_E1_NS1_11comp_targetILNS1_3genE3ELNS1_11target_archE908ELNS1_3gpuE7ELNS1_3repE0EEENS1_30default_config_static_selectorELNS0_4arch9wavefront6targetE0EEEvS14_.has_indirect_call, 0
	.section	.AMDGPU.csdata,"",@progbits
; Kernel info:
; codeLenInByte = 0
; TotalNumSgprs: 0
; NumVgprs: 0
; ScratchSize: 0
; MemoryBound: 0
; FloatMode: 240
; IeeeMode: 1
; LDSByteSize: 0 bytes/workgroup (compile time only)
; SGPRBlocks: 0
; VGPRBlocks: 0
; NumSGPRsForWavesPerEU: 1
; NumVGPRsForWavesPerEU: 1
; Occupancy: 16
; WaveLimiterHint : 0
; COMPUTE_PGM_RSRC2:SCRATCH_EN: 0
; COMPUTE_PGM_RSRC2:USER_SGPR: 6
; COMPUTE_PGM_RSRC2:TRAP_HANDLER: 0
; COMPUTE_PGM_RSRC2:TGID_X_EN: 1
; COMPUTE_PGM_RSRC2:TGID_Y_EN: 0
; COMPUTE_PGM_RSRC2:TGID_Z_EN: 0
; COMPUTE_PGM_RSRC2:TIDIG_COMP_CNT: 0
	.section	.text._ZN7rocprim17ROCPRIM_400000_NS6detail17trampoline_kernelINS0_14default_configENS1_22reduce_config_selectorIN6thrust23THRUST_200600_302600_NS5tupleIblNS6_9null_typeES8_S8_S8_S8_S8_S8_S8_EEEEZNS1_11reduce_implILb1ES3_NS6_12zip_iteratorINS7_INS6_11hip_rocprim26transform_input_iterator_tIbNSD_35transform_pair_of_input_iterators_tIbNS6_6detail15normal_iteratorINS6_10device_ptrIKtEEEESL_NS6_8equal_toItEEEENSG_9not_fun_tINSD_8identityEEEEENSD_19counting_iterator_tIlEES8_S8_S8_S8_S8_S8_S8_S8_EEEEPS9_S9_NSD_9__find_if7functorIS9_EEEE10hipError_tPvRmT1_T2_T3_mT4_P12ihipStream_tbEUlT_E1_NS1_11comp_targetILNS1_3genE2ELNS1_11target_archE906ELNS1_3gpuE6ELNS1_3repE0EEENS1_30default_config_static_selectorELNS0_4arch9wavefront6targetE0EEEvS14_,"axG",@progbits,_ZN7rocprim17ROCPRIM_400000_NS6detail17trampoline_kernelINS0_14default_configENS1_22reduce_config_selectorIN6thrust23THRUST_200600_302600_NS5tupleIblNS6_9null_typeES8_S8_S8_S8_S8_S8_S8_EEEEZNS1_11reduce_implILb1ES3_NS6_12zip_iteratorINS7_INS6_11hip_rocprim26transform_input_iterator_tIbNSD_35transform_pair_of_input_iterators_tIbNS6_6detail15normal_iteratorINS6_10device_ptrIKtEEEESL_NS6_8equal_toItEEEENSG_9not_fun_tINSD_8identityEEEEENSD_19counting_iterator_tIlEES8_S8_S8_S8_S8_S8_S8_S8_EEEEPS9_S9_NSD_9__find_if7functorIS9_EEEE10hipError_tPvRmT1_T2_T3_mT4_P12ihipStream_tbEUlT_E1_NS1_11comp_targetILNS1_3genE2ELNS1_11target_archE906ELNS1_3gpuE6ELNS1_3repE0EEENS1_30default_config_static_selectorELNS0_4arch9wavefront6targetE0EEEvS14_,comdat
	.protected	_ZN7rocprim17ROCPRIM_400000_NS6detail17trampoline_kernelINS0_14default_configENS1_22reduce_config_selectorIN6thrust23THRUST_200600_302600_NS5tupleIblNS6_9null_typeES8_S8_S8_S8_S8_S8_S8_EEEEZNS1_11reduce_implILb1ES3_NS6_12zip_iteratorINS7_INS6_11hip_rocprim26transform_input_iterator_tIbNSD_35transform_pair_of_input_iterators_tIbNS6_6detail15normal_iteratorINS6_10device_ptrIKtEEEESL_NS6_8equal_toItEEEENSG_9not_fun_tINSD_8identityEEEEENSD_19counting_iterator_tIlEES8_S8_S8_S8_S8_S8_S8_S8_EEEEPS9_S9_NSD_9__find_if7functorIS9_EEEE10hipError_tPvRmT1_T2_T3_mT4_P12ihipStream_tbEUlT_E1_NS1_11comp_targetILNS1_3genE2ELNS1_11target_archE906ELNS1_3gpuE6ELNS1_3repE0EEENS1_30default_config_static_selectorELNS0_4arch9wavefront6targetE0EEEvS14_ ; -- Begin function _ZN7rocprim17ROCPRIM_400000_NS6detail17trampoline_kernelINS0_14default_configENS1_22reduce_config_selectorIN6thrust23THRUST_200600_302600_NS5tupleIblNS6_9null_typeES8_S8_S8_S8_S8_S8_S8_EEEEZNS1_11reduce_implILb1ES3_NS6_12zip_iteratorINS7_INS6_11hip_rocprim26transform_input_iterator_tIbNSD_35transform_pair_of_input_iterators_tIbNS6_6detail15normal_iteratorINS6_10device_ptrIKtEEEESL_NS6_8equal_toItEEEENSG_9not_fun_tINSD_8identityEEEEENSD_19counting_iterator_tIlEES8_S8_S8_S8_S8_S8_S8_S8_EEEEPS9_S9_NSD_9__find_if7functorIS9_EEEE10hipError_tPvRmT1_T2_T3_mT4_P12ihipStream_tbEUlT_E1_NS1_11comp_targetILNS1_3genE2ELNS1_11target_archE906ELNS1_3gpuE6ELNS1_3repE0EEENS1_30default_config_static_selectorELNS0_4arch9wavefront6targetE0EEEvS14_
	.globl	_ZN7rocprim17ROCPRIM_400000_NS6detail17trampoline_kernelINS0_14default_configENS1_22reduce_config_selectorIN6thrust23THRUST_200600_302600_NS5tupleIblNS6_9null_typeES8_S8_S8_S8_S8_S8_S8_EEEEZNS1_11reduce_implILb1ES3_NS6_12zip_iteratorINS7_INS6_11hip_rocprim26transform_input_iterator_tIbNSD_35transform_pair_of_input_iterators_tIbNS6_6detail15normal_iteratorINS6_10device_ptrIKtEEEESL_NS6_8equal_toItEEEENSG_9not_fun_tINSD_8identityEEEEENSD_19counting_iterator_tIlEES8_S8_S8_S8_S8_S8_S8_S8_EEEEPS9_S9_NSD_9__find_if7functorIS9_EEEE10hipError_tPvRmT1_T2_T3_mT4_P12ihipStream_tbEUlT_E1_NS1_11comp_targetILNS1_3genE2ELNS1_11target_archE906ELNS1_3gpuE6ELNS1_3repE0EEENS1_30default_config_static_selectorELNS0_4arch9wavefront6targetE0EEEvS14_
	.p2align	8
	.type	_ZN7rocprim17ROCPRIM_400000_NS6detail17trampoline_kernelINS0_14default_configENS1_22reduce_config_selectorIN6thrust23THRUST_200600_302600_NS5tupleIblNS6_9null_typeES8_S8_S8_S8_S8_S8_S8_EEEEZNS1_11reduce_implILb1ES3_NS6_12zip_iteratorINS7_INS6_11hip_rocprim26transform_input_iterator_tIbNSD_35transform_pair_of_input_iterators_tIbNS6_6detail15normal_iteratorINS6_10device_ptrIKtEEEESL_NS6_8equal_toItEEEENSG_9not_fun_tINSD_8identityEEEEENSD_19counting_iterator_tIlEES8_S8_S8_S8_S8_S8_S8_S8_EEEEPS9_S9_NSD_9__find_if7functorIS9_EEEE10hipError_tPvRmT1_T2_T3_mT4_P12ihipStream_tbEUlT_E1_NS1_11comp_targetILNS1_3genE2ELNS1_11target_archE906ELNS1_3gpuE6ELNS1_3repE0EEENS1_30default_config_static_selectorELNS0_4arch9wavefront6targetE0EEEvS14_,@function
_ZN7rocprim17ROCPRIM_400000_NS6detail17trampoline_kernelINS0_14default_configENS1_22reduce_config_selectorIN6thrust23THRUST_200600_302600_NS5tupleIblNS6_9null_typeES8_S8_S8_S8_S8_S8_S8_EEEEZNS1_11reduce_implILb1ES3_NS6_12zip_iteratorINS7_INS6_11hip_rocprim26transform_input_iterator_tIbNSD_35transform_pair_of_input_iterators_tIbNS6_6detail15normal_iteratorINS6_10device_ptrIKtEEEESL_NS6_8equal_toItEEEENSG_9not_fun_tINSD_8identityEEEEENSD_19counting_iterator_tIlEES8_S8_S8_S8_S8_S8_S8_S8_EEEEPS9_S9_NSD_9__find_if7functorIS9_EEEE10hipError_tPvRmT1_T2_T3_mT4_P12ihipStream_tbEUlT_E1_NS1_11comp_targetILNS1_3genE2ELNS1_11target_archE906ELNS1_3gpuE6ELNS1_3repE0EEENS1_30default_config_static_selectorELNS0_4arch9wavefront6targetE0EEEvS14_: ; @_ZN7rocprim17ROCPRIM_400000_NS6detail17trampoline_kernelINS0_14default_configENS1_22reduce_config_selectorIN6thrust23THRUST_200600_302600_NS5tupleIblNS6_9null_typeES8_S8_S8_S8_S8_S8_S8_EEEEZNS1_11reduce_implILb1ES3_NS6_12zip_iteratorINS7_INS6_11hip_rocprim26transform_input_iterator_tIbNSD_35transform_pair_of_input_iterators_tIbNS6_6detail15normal_iteratorINS6_10device_ptrIKtEEEESL_NS6_8equal_toItEEEENSG_9not_fun_tINSD_8identityEEEEENSD_19counting_iterator_tIlEES8_S8_S8_S8_S8_S8_S8_S8_EEEEPS9_S9_NSD_9__find_if7functorIS9_EEEE10hipError_tPvRmT1_T2_T3_mT4_P12ihipStream_tbEUlT_E1_NS1_11comp_targetILNS1_3genE2ELNS1_11target_archE906ELNS1_3gpuE6ELNS1_3repE0EEENS1_30default_config_static_selectorELNS0_4arch9wavefront6targetE0EEEvS14_
; %bb.0:
	.section	.rodata,"a",@progbits
	.p2align	6, 0x0
	.amdhsa_kernel _ZN7rocprim17ROCPRIM_400000_NS6detail17trampoline_kernelINS0_14default_configENS1_22reduce_config_selectorIN6thrust23THRUST_200600_302600_NS5tupleIblNS6_9null_typeES8_S8_S8_S8_S8_S8_S8_EEEEZNS1_11reduce_implILb1ES3_NS6_12zip_iteratorINS7_INS6_11hip_rocprim26transform_input_iterator_tIbNSD_35transform_pair_of_input_iterators_tIbNS6_6detail15normal_iteratorINS6_10device_ptrIKtEEEESL_NS6_8equal_toItEEEENSG_9not_fun_tINSD_8identityEEEEENSD_19counting_iterator_tIlEES8_S8_S8_S8_S8_S8_S8_S8_EEEEPS9_S9_NSD_9__find_if7functorIS9_EEEE10hipError_tPvRmT1_T2_T3_mT4_P12ihipStream_tbEUlT_E1_NS1_11comp_targetILNS1_3genE2ELNS1_11target_archE906ELNS1_3gpuE6ELNS1_3repE0EEENS1_30default_config_static_selectorELNS0_4arch9wavefront6targetE0EEEvS14_
		.amdhsa_group_segment_fixed_size 0
		.amdhsa_private_segment_fixed_size 0
		.amdhsa_kernarg_size 88
		.amdhsa_user_sgpr_count 6
		.amdhsa_user_sgpr_private_segment_buffer 1
		.amdhsa_user_sgpr_dispatch_ptr 0
		.amdhsa_user_sgpr_queue_ptr 0
		.amdhsa_user_sgpr_kernarg_segment_ptr 1
		.amdhsa_user_sgpr_dispatch_id 0
		.amdhsa_user_sgpr_flat_scratch_init 0
		.amdhsa_user_sgpr_private_segment_size 0
		.amdhsa_wavefront_size32 1
		.amdhsa_uses_dynamic_stack 0
		.amdhsa_system_sgpr_private_segment_wavefront_offset 0
		.amdhsa_system_sgpr_workgroup_id_x 1
		.amdhsa_system_sgpr_workgroup_id_y 0
		.amdhsa_system_sgpr_workgroup_id_z 0
		.amdhsa_system_sgpr_workgroup_info 0
		.amdhsa_system_vgpr_workitem_id 0
		.amdhsa_next_free_vgpr 1
		.amdhsa_next_free_sgpr 1
		.amdhsa_reserve_vcc 0
		.amdhsa_reserve_flat_scratch 0
		.amdhsa_float_round_mode_32 0
		.amdhsa_float_round_mode_16_64 0
		.amdhsa_float_denorm_mode_32 3
		.amdhsa_float_denorm_mode_16_64 3
		.amdhsa_dx10_clamp 1
		.amdhsa_ieee_mode 1
		.amdhsa_fp16_overflow 0
		.amdhsa_workgroup_processor_mode 1
		.amdhsa_memory_ordered 1
		.amdhsa_forward_progress 1
		.amdhsa_shared_vgpr_count 0
		.amdhsa_exception_fp_ieee_invalid_op 0
		.amdhsa_exception_fp_denorm_src 0
		.amdhsa_exception_fp_ieee_div_zero 0
		.amdhsa_exception_fp_ieee_overflow 0
		.amdhsa_exception_fp_ieee_underflow 0
		.amdhsa_exception_fp_ieee_inexact 0
		.amdhsa_exception_int_div_zero 0
	.end_amdhsa_kernel
	.section	.text._ZN7rocprim17ROCPRIM_400000_NS6detail17trampoline_kernelINS0_14default_configENS1_22reduce_config_selectorIN6thrust23THRUST_200600_302600_NS5tupleIblNS6_9null_typeES8_S8_S8_S8_S8_S8_S8_EEEEZNS1_11reduce_implILb1ES3_NS6_12zip_iteratorINS7_INS6_11hip_rocprim26transform_input_iterator_tIbNSD_35transform_pair_of_input_iterators_tIbNS6_6detail15normal_iteratorINS6_10device_ptrIKtEEEESL_NS6_8equal_toItEEEENSG_9not_fun_tINSD_8identityEEEEENSD_19counting_iterator_tIlEES8_S8_S8_S8_S8_S8_S8_S8_EEEEPS9_S9_NSD_9__find_if7functorIS9_EEEE10hipError_tPvRmT1_T2_T3_mT4_P12ihipStream_tbEUlT_E1_NS1_11comp_targetILNS1_3genE2ELNS1_11target_archE906ELNS1_3gpuE6ELNS1_3repE0EEENS1_30default_config_static_selectorELNS0_4arch9wavefront6targetE0EEEvS14_,"axG",@progbits,_ZN7rocprim17ROCPRIM_400000_NS6detail17trampoline_kernelINS0_14default_configENS1_22reduce_config_selectorIN6thrust23THRUST_200600_302600_NS5tupleIblNS6_9null_typeES8_S8_S8_S8_S8_S8_S8_EEEEZNS1_11reduce_implILb1ES3_NS6_12zip_iteratorINS7_INS6_11hip_rocprim26transform_input_iterator_tIbNSD_35transform_pair_of_input_iterators_tIbNS6_6detail15normal_iteratorINS6_10device_ptrIKtEEEESL_NS6_8equal_toItEEEENSG_9not_fun_tINSD_8identityEEEEENSD_19counting_iterator_tIlEES8_S8_S8_S8_S8_S8_S8_S8_EEEEPS9_S9_NSD_9__find_if7functorIS9_EEEE10hipError_tPvRmT1_T2_T3_mT4_P12ihipStream_tbEUlT_E1_NS1_11comp_targetILNS1_3genE2ELNS1_11target_archE906ELNS1_3gpuE6ELNS1_3repE0EEENS1_30default_config_static_selectorELNS0_4arch9wavefront6targetE0EEEvS14_,comdat
.Lfunc_end312:
	.size	_ZN7rocprim17ROCPRIM_400000_NS6detail17trampoline_kernelINS0_14default_configENS1_22reduce_config_selectorIN6thrust23THRUST_200600_302600_NS5tupleIblNS6_9null_typeES8_S8_S8_S8_S8_S8_S8_EEEEZNS1_11reduce_implILb1ES3_NS6_12zip_iteratorINS7_INS6_11hip_rocprim26transform_input_iterator_tIbNSD_35transform_pair_of_input_iterators_tIbNS6_6detail15normal_iteratorINS6_10device_ptrIKtEEEESL_NS6_8equal_toItEEEENSG_9not_fun_tINSD_8identityEEEEENSD_19counting_iterator_tIlEES8_S8_S8_S8_S8_S8_S8_S8_EEEEPS9_S9_NSD_9__find_if7functorIS9_EEEE10hipError_tPvRmT1_T2_T3_mT4_P12ihipStream_tbEUlT_E1_NS1_11comp_targetILNS1_3genE2ELNS1_11target_archE906ELNS1_3gpuE6ELNS1_3repE0EEENS1_30default_config_static_selectorELNS0_4arch9wavefront6targetE0EEEvS14_, .Lfunc_end312-_ZN7rocprim17ROCPRIM_400000_NS6detail17trampoline_kernelINS0_14default_configENS1_22reduce_config_selectorIN6thrust23THRUST_200600_302600_NS5tupleIblNS6_9null_typeES8_S8_S8_S8_S8_S8_S8_EEEEZNS1_11reduce_implILb1ES3_NS6_12zip_iteratorINS7_INS6_11hip_rocprim26transform_input_iterator_tIbNSD_35transform_pair_of_input_iterators_tIbNS6_6detail15normal_iteratorINS6_10device_ptrIKtEEEESL_NS6_8equal_toItEEEENSG_9not_fun_tINSD_8identityEEEEENSD_19counting_iterator_tIlEES8_S8_S8_S8_S8_S8_S8_S8_EEEEPS9_S9_NSD_9__find_if7functorIS9_EEEE10hipError_tPvRmT1_T2_T3_mT4_P12ihipStream_tbEUlT_E1_NS1_11comp_targetILNS1_3genE2ELNS1_11target_archE906ELNS1_3gpuE6ELNS1_3repE0EEENS1_30default_config_static_selectorELNS0_4arch9wavefront6targetE0EEEvS14_
                                        ; -- End function
	.set _ZN7rocprim17ROCPRIM_400000_NS6detail17trampoline_kernelINS0_14default_configENS1_22reduce_config_selectorIN6thrust23THRUST_200600_302600_NS5tupleIblNS6_9null_typeES8_S8_S8_S8_S8_S8_S8_EEEEZNS1_11reduce_implILb1ES3_NS6_12zip_iteratorINS7_INS6_11hip_rocprim26transform_input_iterator_tIbNSD_35transform_pair_of_input_iterators_tIbNS6_6detail15normal_iteratorINS6_10device_ptrIKtEEEESL_NS6_8equal_toItEEEENSG_9not_fun_tINSD_8identityEEEEENSD_19counting_iterator_tIlEES8_S8_S8_S8_S8_S8_S8_S8_EEEEPS9_S9_NSD_9__find_if7functorIS9_EEEE10hipError_tPvRmT1_T2_T3_mT4_P12ihipStream_tbEUlT_E1_NS1_11comp_targetILNS1_3genE2ELNS1_11target_archE906ELNS1_3gpuE6ELNS1_3repE0EEENS1_30default_config_static_selectorELNS0_4arch9wavefront6targetE0EEEvS14_.num_vgpr, 0
	.set _ZN7rocprim17ROCPRIM_400000_NS6detail17trampoline_kernelINS0_14default_configENS1_22reduce_config_selectorIN6thrust23THRUST_200600_302600_NS5tupleIblNS6_9null_typeES8_S8_S8_S8_S8_S8_S8_EEEEZNS1_11reduce_implILb1ES3_NS6_12zip_iteratorINS7_INS6_11hip_rocprim26transform_input_iterator_tIbNSD_35transform_pair_of_input_iterators_tIbNS6_6detail15normal_iteratorINS6_10device_ptrIKtEEEESL_NS6_8equal_toItEEEENSG_9not_fun_tINSD_8identityEEEEENSD_19counting_iterator_tIlEES8_S8_S8_S8_S8_S8_S8_S8_EEEEPS9_S9_NSD_9__find_if7functorIS9_EEEE10hipError_tPvRmT1_T2_T3_mT4_P12ihipStream_tbEUlT_E1_NS1_11comp_targetILNS1_3genE2ELNS1_11target_archE906ELNS1_3gpuE6ELNS1_3repE0EEENS1_30default_config_static_selectorELNS0_4arch9wavefront6targetE0EEEvS14_.num_agpr, 0
	.set _ZN7rocprim17ROCPRIM_400000_NS6detail17trampoline_kernelINS0_14default_configENS1_22reduce_config_selectorIN6thrust23THRUST_200600_302600_NS5tupleIblNS6_9null_typeES8_S8_S8_S8_S8_S8_S8_EEEEZNS1_11reduce_implILb1ES3_NS6_12zip_iteratorINS7_INS6_11hip_rocprim26transform_input_iterator_tIbNSD_35transform_pair_of_input_iterators_tIbNS6_6detail15normal_iteratorINS6_10device_ptrIKtEEEESL_NS6_8equal_toItEEEENSG_9not_fun_tINSD_8identityEEEEENSD_19counting_iterator_tIlEES8_S8_S8_S8_S8_S8_S8_S8_EEEEPS9_S9_NSD_9__find_if7functorIS9_EEEE10hipError_tPvRmT1_T2_T3_mT4_P12ihipStream_tbEUlT_E1_NS1_11comp_targetILNS1_3genE2ELNS1_11target_archE906ELNS1_3gpuE6ELNS1_3repE0EEENS1_30default_config_static_selectorELNS0_4arch9wavefront6targetE0EEEvS14_.numbered_sgpr, 0
	.set _ZN7rocprim17ROCPRIM_400000_NS6detail17trampoline_kernelINS0_14default_configENS1_22reduce_config_selectorIN6thrust23THRUST_200600_302600_NS5tupleIblNS6_9null_typeES8_S8_S8_S8_S8_S8_S8_EEEEZNS1_11reduce_implILb1ES3_NS6_12zip_iteratorINS7_INS6_11hip_rocprim26transform_input_iterator_tIbNSD_35transform_pair_of_input_iterators_tIbNS6_6detail15normal_iteratorINS6_10device_ptrIKtEEEESL_NS6_8equal_toItEEEENSG_9not_fun_tINSD_8identityEEEEENSD_19counting_iterator_tIlEES8_S8_S8_S8_S8_S8_S8_S8_EEEEPS9_S9_NSD_9__find_if7functorIS9_EEEE10hipError_tPvRmT1_T2_T3_mT4_P12ihipStream_tbEUlT_E1_NS1_11comp_targetILNS1_3genE2ELNS1_11target_archE906ELNS1_3gpuE6ELNS1_3repE0EEENS1_30default_config_static_selectorELNS0_4arch9wavefront6targetE0EEEvS14_.num_named_barrier, 0
	.set _ZN7rocprim17ROCPRIM_400000_NS6detail17trampoline_kernelINS0_14default_configENS1_22reduce_config_selectorIN6thrust23THRUST_200600_302600_NS5tupleIblNS6_9null_typeES8_S8_S8_S8_S8_S8_S8_EEEEZNS1_11reduce_implILb1ES3_NS6_12zip_iteratorINS7_INS6_11hip_rocprim26transform_input_iterator_tIbNSD_35transform_pair_of_input_iterators_tIbNS6_6detail15normal_iteratorINS6_10device_ptrIKtEEEESL_NS6_8equal_toItEEEENSG_9not_fun_tINSD_8identityEEEEENSD_19counting_iterator_tIlEES8_S8_S8_S8_S8_S8_S8_S8_EEEEPS9_S9_NSD_9__find_if7functorIS9_EEEE10hipError_tPvRmT1_T2_T3_mT4_P12ihipStream_tbEUlT_E1_NS1_11comp_targetILNS1_3genE2ELNS1_11target_archE906ELNS1_3gpuE6ELNS1_3repE0EEENS1_30default_config_static_selectorELNS0_4arch9wavefront6targetE0EEEvS14_.private_seg_size, 0
	.set _ZN7rocprim17ROCPRIM_400000_NS6detail17trampoline_kernelINS0_14default_configENS1_22reduce_config_selectorIN6thrust23THRUST_200600_302600_NS5tupleIblNS6_9null_typeES8_S8_S8_S8_S8_S8_S8_EEEEZNS1_11reduce_implILb1ES3_NS6_12zip_iteratorINS7_INS6_11hip_rocprim26transform_input_iterator_tIbNSD_35transform_pair_of_input_iterators_tIbNS6_6detail15normal_iteratorINS6_10device_ptrIKtEEEESL_NS6_8equal_toItEEEENSG_9not_fun_tINSD_8identityEEEEENSD_19counting_iterator_tIlEES8_S8_S8_S8_S8_S8_S8_S8_EEEEPS9_S9_NSD_9__find_if7functorIS9_EEEE10hipError_tPvRmT1_T2_T3_mT4_P12ihipStream_tbEUlT_E1_NS1_11comp_targetILNS1_3genE2ELNS1_11target_archE906ELNS1_3gpuE6ELNS1_3repE0EEENS1_30default_config_static_selectorELNS0_4arch9wavefront6targetE0EEEvS14_.uses_vcc, 0
	.set _ZN7rocprim17ROCPRIM_400000_NS6detail17trampoline_kernelINS0_14default_configENS1_22reduce_config_selectorIN6thrust23THRUST_200600_302600_NS5tupleIblNS6_9null_typeES8_S8_S8_S8_S8_S8_S8_EEEEZNS1_11reduce_implILb1ES3_NS6_12zip_iteratorINS7_INS6_11hip_rocprim26transform_input_iterator_tIbNSD_35transform_pair_of_input_iterators_tIbNS6_6detail15normal_iteratorINS6_10device_ptrIKtEEEESL_NS6_8equal_toItEEEENSG_9not_fun_tINSD_8identityEEEEENSD_19counting_iterator_tIlEES8_S8_S8_S8_S8_S8_S8_S8_EEEEPS9_S9_NSD_9__find_if7functorIS9_EEEE10hipError_tPvRmT1_T2_T3_mT4_P12ihipStream_tbEUlT_E1_NS1_11comp_targetILNS1_3genE2ELNS1_11target_archE906ELNS1_3gpuE6ELNS1_3repE0EEENS1_30default_config_static_selectorELNS0_4arch9wavefront6targetE0EEEvS14_.uses_flat_scratch, 0
	.set _ZN7rocprim17ROCPRIM_400000_NS6detail17trampoline_kernelINS0_14default_configENS1_22reduce_config_selectorIN6thrust23THRUST_200600_302600_NS5tupleIblNS6_9null_typeES8_S8_S8_S8_S8_S8_S8_EEEEZNS1_11reduce_implILb1ES3_NS6_12zip_iteratorINS7_INS6_11hip_rocprim26transform_input_iterator_tIbNSD_35transform_pair_of_input_iterators_tIbNS6_6detail15normal_iteratorINS6_10device_ptrIKtEEEESL_NS6_8equal_toItEEEENSG_9not_fun_tINSD_8identityEEEEENSD_19counting_iterator_tIlEES8_S8_S8_S8_S8_S8_S8_S8_EEEEPS9_S9_NSD_9__find_if7functorIS9_EEEE10hipError_tPvRmT1_T2_T3_mT4_P12ihipStream_tbEUlT_E1_NS1_11comp_targetILNS1_3genE2ELNS1_11target_archE906ELNS1_3gpuE6ELNS1_3repE0EEENS1_30default_config_static_selectorELNS0_4arch9wavefront6targetE0EEEvS14_.has_dyn_sized_stack, 0
	.set _ZN7rocprim17ROCPRIM_400000_NS6detail17trampoline_kernelINS0_14default_configENS1_22reduce_config_selectorIN6thrust23THRUST_200600_302600_NS5tupleIblNS6_9null_typeES8_S8_S8_S8_S8_S8_S8_EEEEZNS1_11reduce_implILb1ES3_NS6_12zip_iteratorINS7_INS6_11hip_rocprim26transform_input_iterator_tIbNSD_35transform_pair_of_input_iterators_tIbNS6_6detail15normal_iteratorINS6_10device_ptrIKtEEEESL_NS6_8equal_toItEEEENSG_9not_fun_tINSD_8identityEEEEENSD_19counting_iterator_tIlEES8_S8_S8_S8_S8_S8_S8_S8_EEEEPS9_S9_NSD_9__find_if7functorIS9_EEEE10hipError_tPvRmT1_T2_T3_mT4_P12ihipStream_tbEUlT_E1_NS1_11comp_targetILNS1_3genE2ELNS1_11target_archE906ELNS1_3gpuE6ELNS1_3repE0EEENS1_30default_config_static_selectorELNS0_4arch9wavefront6targetE0EEEvS14_.has_recursion, 0
	.set _ZN7rocprim17ROCPRIM_400000_NS6detail17trampoline_kernelINS0_14default_configENS1_22reduce_config_selectorIN6thrust23THRUST_200600_302600_NS5tupleIblNS6_9null_typeES8_S8_S8_S8_S8_S8_S8_EEEEZNS1_11reduce_implILb1ES3_NS6_12zip_iteratorINS7_INS6_11hip_rocprim26transform_input_iterator_tIbNSD_35transform_pair_of_input_iterators_tIbNS6_6detail15normal_iteratorINS6_10device_ptrIKtEEEESL_NS6_8equal_toItEEEENSG_9not_fun_tINSD_8identityEEEEENSD_19counting_iterator_tIlEES8_S8_S8_S8_S8_S8_S8_S8_EEEEPS9_S9_NSD_9__find_if7functorIS9_EEEE10hipError_tPvRmT1_T2_T3_mT4_P12ihipStream_tbEUlT_E1_NS1_11comp_targetILNS1_3genE2ELNS1_11target_archE906ELNS1_3gpuE6ELNS1_3repE0EEENS1_30default_config_static_selectorELNS0_4arch9wavefront6targetE0EEEvS14_.has_indirect_call, 0
	.section	.AMDGPU.csdata,"",@progbits
; Kernel info:
; codeLenInByte = 0
; TotalNumSgprs: 0
; NumVgprs: 0
; ScratchSize: 0
; MemoryBound: 0
; FloatMode: 240
; IeeeMode: 1
; LDSByteSize: 0 bytes/workgroup (compile time only)
; SGPRBlocks: 0
; VGPRBlocks: 0
; NumSGPRsForWavesPerEU: 1
; NumVGPRsForWavesPerEU: 1
; Occupancy: 16
; WaveLimiterHint : 0
; COMPUTE_PGM_RSRC2:SCRATCH_EN: 0
; COMPUTE_PGM_RSRC2:USER_SGPR: 6
; COMPUTE_PGM_RSRC2:TRAP_HANDLER: 0
; COMPUTE_PGM_RSRC2:TGID_X_EN: 1
; COMPUTE_PGM_RSRC2:TGID_Y_EN: 0
; COMPUTE_PGM_RSRC2:TGID_Z_EN: 0
; COMPUTE_PGM_RSRC2:TIDIG_COMP_CNT: 0
	.section	.text._ZN7rocprim17ROCPRIM_400000_NS6detail17trampoline_kernelINS0_14default_configENS1_22reduce_config_selectorIN6thrust23THRUST_200600_302600_NS5tupleIblNS6_9null_typeES8_S8_S8_S8_S8_S8_S8_EEEEZNS1_11reduce_implILb1ES3_NS6_12zip_iteratorINS7_INS6_11hip_rocprim26transform_input_iterator_tIbNSD_35transform_pair_of_input_iterators_tIbNS6_6detail15normal_iteratorINS6_10device_ptrIKtEEEESL_NS6_8equal_toItEEEENSG_9not_fun_tINSD_8identityEEEEENSD_19counting_iterator_tIlEES8_S8_S8_S8_S8_S8_S8_S8_EEEEPS9_S9_NSD_9__find_if7functorIS9_EEEE10hipError_tPvRmT1_T2_T3_mT4_P12ihipStream_tbEUlT_E1_NS1_11comp_targetILNS1_3genE10ELNS1_11target_archE1201ELNS1_3gpuE5ELNS1_3repE0EEENS1_30default_config_static_selectorELNS0_4arch9wavefront6targetE0EEEvS14_,"axG",@progbits,_ZN7rocprim17ROCPRIM_400000_NS6detail17trampoline_kernelINS0_14default_configENS1_22reduce_config_selectorIN6thrust23THRUST_200600_302600_NS5tupleIblNS6_9null_typeES8_S8_S8_S8_S8_S8_S8_EEEEZNS1_11reduce_implILb1ES3_NS6_12zip_iteratorINS7_INS6_11hip_rocprim26transform_input_iterator_tIbNSD_35transform_pair_of_input_iterators_tIbNS6_6detail15normal_iteratorINS6_10device_ptrIKtEEEESL_NS6_8equal_toItEEEENSG_9not_fun_tINSD_8identityEEEEENSD_19counting_iterator_tIlEES8_S8_S8_S8_S8_S8_S8_S8_EEEEPS9_S9_NSD_9__find_if7functorIS9_EEEE10hipError_tPvRmT1_T2_T3_mT4_P12ihipStream_tbEUlT_E1_NS1_11comp_targetILNS1_3genE10ELNS1_11target_archE1201ELNS1_3gpuE5ELNS1_3repE0EEENS1_30default_config_static_selectorELNS0_4arch9wavefront6targetE0EEEvS14_,comdat
	.protected	_ZN7rocprim17ROCPRIM_400000_NS6detail17trampoline_kernelINS0_14default_configENS1_22reduce_config_selectorIN6thrust23THRUST_200600_302600_NS5tupleIblNS6_9null_typeES8_S8_S8_S8_S8_S8_S8_EEEEZNS1_11reduce_implILb1ES3_NS6_12zip_iteratorINS7_INS6_11hip_rocprim26transform_input_iterator_tIbNSD_35transform_pair_of_input_iterators_tIbNS6_6detail15normal_iteratorINS6_10device_ptrIKtEEEESL_NS6_8equal_toItEEEENSG_9not_fun_tINSD_8identityEEEEENSD_19counting_iterator_tIlEES8_S8_S8_S8_S8_S8_S8_S8_EEEEPS9_S9_NSD_9__find_if7functorIS9_EEEE10hipError_tPvRmT1_T2_T3_mT4_P12ihipStream_tbEUlT_E1_NS1_11comp_targetILNS1_3genE10ELNS1_11target_archE1201ELNS1_3gpuE5ELNS1_3repE0EEENS1_30default_config_static_selectorELNS0_4arch9wavefront6targetE0EEEvS14_ ; -- Begin function _ZN7rocprim17ROCPRIM_400000_NS6detail17trampoline_kernelINS0_14default_configENS1_22reduce_config_selectorIN6thrust23THRUST_200600_302600_NS5tupleIblNS6_9null_typeES8_S8_S8_S8_S8_S8_S8_EEEEZNS1_11reduce_implILb1ES3_NS6_12zip_iteratorINS7_INS6_11hip_rocprim26transform_input_iterator_tIbNSD_35transform_pair_of_input_iterators_tIbNS6_6detail15normal_iteratorINS6_10device_ptrIKtEEEESL_NS6_8equal_toItEEEENSG_9not_fun_tINSD_8identityEEEEENSD_19counting_iterator_tIlEES8_S8_S8_S8_S8_S8_S8_S8_EEEEPS9_S9_NSD_9__find_if7functorIS9_EEEE10hipError_tPvRmT1_T2_T3_mT4_P12ihipStream_tbEUlT_E1_NS1_11comp_targetILNS1_3genE10ELNS1_11target_archE1201ELNS1_3gpuE5ELNS1_3repE0EEENS1_30default_config_static_selectorELNS0_4arch9wavefront6targetE0EEEvS14_
	.globl	_ZN7rocprim17ROCPRIM_400000_NS6detail17trampoline_kernelINS0_14default_configENS1_22reduce_config_selectorIN6thrust23THRUST_200600_302600_NS5tupleIblNS6_9null_typeES8_S8_S8_S8_S8_S8_S8_EEEEZNS1_11reduce_implILb1ES3_NS6_12zip_iteratorINS7_INS6_11hip_rocprim26transform_input_iterator_tIbNSD_35transform_pair_of_input_iterators_tIbNS6_6detail15normal_iteratorINS6_10device_ptrIKtEEEESL_NS6_8equal_toItEEEENSG_9not_fun_tINSD_8identityEEEEENSD_19counting_iterator_tIlEES8_S8_S8_S8_S8_S8_S8_S8_EEEEPS9_S9_NSD_9__find_if7functorIS9_EEEE10hipError_tPvRmT1_T2_T3_mT4_P12ihipStream_tbEUlT_E1_NS1_11comp_targetILNS1_3genE10ELNS1_11target_archE1201ELNS1_3gpuE5ELNS1_3repE0EEENS1_30default_config_static_selectorELNS0_4arch9wavefront6targetE0EEEvS14_
	.p2align	8
	.type	_ZN7rocprim17ROCPRIM_400000_NS6detail17trampoline_kernelINS0_14default_configENS1_22reduce_config_selectorIN6thrust23THRUST_200600_302600_NS5tupleIblNS6_9null_typeES8_S8_S8_S8_S8_S8_S8_EEEEZNS1_11reduce_implILb1ES3_NS6_12zip_iteratorINS7_INS6_11hip_rocprim26transform_input_iterator_tIbNSD_35transform_pair_of_input_iterators_tIbNS6_6detail15normal_iteratorINS6_10device_ptrIKtEEEESL_NS6_8equal_toItEEEENSG_9not_fun_tINSD_8identityEEEEENSD_19counting_iterator_tIlEES8_S8_S8_S8_S8_S8_S8_S8_EEEEPS9_S9_NSD_9__find_if7functorIS9_EEEE10hipError_tPvRmT1_T2_T3_mT4_P12ihipStream_tbEUlT_E1_NS1_11comp_targetILNS1_3genE10ELNS1_11target_archE1201ELNS1_3gpuE5ELNS1_3repE0EEENS1_30default_config_static_selectorELNS0_4arch9wavefront6targetE0EEEvS14_,@function
_ZN7rocprim17ROCPRIM_400000_NS6detail17trampoline_kernelINS0_14default_configENS1_22reduce_config_selectorIN6thrust23THRUST_200600_302600_NS5tupleIblNS6_9null_typeES8_S8_S8_S8_S8_S8_S8_EEEEZNS1_11reduce_implILb1ES3_NS6_12zip_iteratorINS7_INS6_11hip_rocprim26transform_input_iterator_tIbNSD_35transform_pair_of_input_iterators_tIbNS6_6detail15normal_iteratorINS6_10device_ptrIKtEEEESL_NS6_8equal_toItEEEENSG_9not_fun_tINSD_8identityEEEEENSD_19counting_iterator_tIlEES8_S8_S8_S8_S8_S8_S8_S8_EEEEPS9_S9_NSD_9__find_if7functorIS9_EEEE10hipError_tPvRmT1_T2_T3_mT4_P12ihipStream_tbEUlT_E1_NS1_11comp_targetILNS1_3genE10ELNS1_11target_archE1201ELNS1_3gpuE5ELNS1_3repE0EEENS1_30default_config_static_selectorELNS0_4arch9wavefront6targetE0EEEvS14_: ; @_ZN7rocprim17ROCPRIM_400000_NS6detail17trampoline_kernelINS0_14default_configENS1_22reduce_config_selectorIN6thrust23THRUST_200600_302600_NS5tupleIblNS6_9null_typeES8_S8_S8_S8_S8_S8_S8_EEEEZNS1_11reduce_implILb1ES3_NS6_12zip_iteratorINS7_INS6_11hip_rocprim26transform_input_iterator_tIbNSD_35transform_pair_of_input_iterators_tIbNS6_6detail15normal_iteratorINS6_10device_ptrIKtEEEESL_NS6_8equal_toItEEEENSG_9not_fun_tINSD_8identityEEEEENSD_19counting_iterator_tIlEES8_S8_S8_S8_S8_S8_S8_S8_EEEEPS9_S9_NSD_9__find_if7functorIS9_EEEE10hipError_tPvRmT1_T2_T3_mT4_P12ihipStream_tbEUlT_E1_NS1_11comp_targetILNS1_3genE10ELNS1_11target_archE1201ELNS1_3gpuE5ELNS1_3repE0EEENS1_30default_config_static_selectorELNS0_4arch9wavefront6targetE0EEEvS14_
; %bb.0:
	.section	.rodata,"a",@progbits
	.p2align	6, 0x0
	.amdhsa_kernel _ZN7rocprim17ROCPRIM_400000_NS6detail17trampoline_kernelINS0_14default_configENS1_22reduce_config_selectorIN6thrust23THRUST_200600_302600_NS5tupleIblNS6_9null_typeES8_S8_S8_S8_S8_S8_S8_EEEEZNS1_11reduce_implILb1ES3_NS6_12zip_iteratorINS7_INS6_11hip_rocprim26transform_input_iterator_tIbNSD_35transform_pair_of_input_iterators_tIbNS6_6detail15normal_iteratorINS6_10device_ptrIKtEEEESL_NS6_8equal_toItEEEENSG_9not_fun_tINSD_8identityEEEEENSD_19counting_iterator_tIlEES8_S8_S8_S8_S8_S8_S8_S8_EEEEPS9_S9_NSD_9__find_if7functorIS9_EEEE10hipError_tPvRmT1_T2_T3_mT4_P12ihipStream_tbEUlT_E1_NS1_11comp_targetILNS1_3genE10ELNS1_11target_archE1201ELNS1_3gpuE5ELNS1_3repE0EEENS1_30default_config_static_selectorELNS0_4arch9wavefront6targetE0EEEvS14_
		.amdhsa_group_segment_fixed_size 0
		.amdhsa_private_segment_fixed_size 0
		.amdhsa_kernarg_size 88
		.amdhsa_user_sgpr_count 6
		.amdhsa_user_sgpr_private_segment_buffer 1
		.amdhsa_user_sgpr_dispatch_ptr 0
		.amdhsa_user_sgpr_queue_ptr 0
		.amdhsa_user_sgpr_kernarg_segment_ptr 1
		.amdhsa_user_sgpr_dispatch_id 0
		.amdhsa_user_sgpr_flat_scratch_init 0
		.amdhsa_user_sgpr_private_segment_size 0
		.amdhsa_wavefront_size32 1
		.amdhsa_uses_dynamic_stack 0
		.amdhsa_system_sgpr_private_segment_wavefront_offset 0
		.amdhsa_system_sgpr_workgroup_id_x 1
		.amdhsa_system_sgpr_workgroup_id_y 0
		.amdhsa_system_sgpr_workgroup_id_z 0
		.amdhsa_system_sgpr_workgroup_info 0
		.amdhsa_system_vgpr_workitem_id 0
		.amdhsa_next_free_vgpr 1
		.amdhsa_next_free_sgpr 1
		.amdhsa_reserve_vcc 0
		.amdhsa_reserve_flat_scratch 0
		.amdhsa_float_round_mode_32 0
		.amdhsa_float_round_mode_16_64 0
		.amdhsa_float_denorm_mode_32 3
		.amdhsa_float_denorm_mode_16_64 3
		.amdhsa_dx10_clamp 1
		.amdhsa_ieee_mode 1
		.amdhsa_fp16_overflow 0
		.amdhsa_workgroup_processor_mode 1
		.amdhsa_memory_ordered 1
		.amdhsa_forward_progress 1
		.amdhsa_shared_vgpr_count 0
		.amdhsa_exception_fp_ieee_invalid_op 0
		.amdhsa_exception_fp_denorm_src 0
		.amdhsa_exception_fp_ieee_div_zero 0
		.amdhsa_exception_fp_ieee_overflow 0
		.amdhsa_exception_fp_ieee_underflow 0
		.amdhsa_exception_fp_ieee_inexact 0
		.amdhsa_exception_int_div_zero 0
	.end_amdhsa_kernel
	.section	.text._ZN7rocprim17ROCPRIM_400000_NS6detail17trampoline_kernelINS0_14default_configENS1_22reduce_config_selectorIN6thrust23THRUST_200600_302600_NS5tupleIblNS6_9null_typeES8_S8_S8_S8_S8_S8_S8_EEEEZNS1_11reduce_implILb1ES3_NS6_12zip_iteratorINS7_INS6_11hip_rocprim26transform_input_iterator_tIbNSD_35transform_pair_of_input_iterators_tIbNS6_6detail15normal_iteratorINS6_10device_ptrIKtEEEESL_NS6_8equal_toItEEEENSG_9not_fun_tINSD_8identityEEEEENSD_19counting_iterator_tIlEES8_S8_S8_S8_S8_S8_S8_S8_EEEEPS9_S9_NSD_9__find_if7functorIS9_EEEE10hipError_tPvRmT1_T2_T3_mT4_P12ihipStream_tbEUlT_E1_NS1_11comp_targetILNS1_3genE10ELNS1_11target_archE1201ELNS1_3gpuE5ELNS1_3repE0EEENS1_30default_config_static_selectorELNS0_4arch9wavefront6targetE0EEEvS14_,"axG",@progbits,_ZN7rocprim17ROCPRIM_400000_NS6detail17trampoline_kernelINS0_14default_configENS1_22reduce_config_selectorIN6thrust23THRUST_200600_302600_NS5tupleIblNS6_9null_typeES8_S8_S8_S8_S8_S8_S8_EEEEZNS1_11reduce_implILb1ES3_NS6_12zip_iteratorINS7_INS6_11hip_rocprim26transform_input_iterator_tIbNSD_35transform_pair_of_input_iterators_tIbNS6_6detail15normal_iteratorINS6_10device_ptrIKtEEEESL_NS6_8equal_toItEEEENSG_9not_fun_tINSD_8identityEEEEENSD_19counting_iterator_tIlEES8_S8_S8_S8_S8_S8_S8_S8_EEEEPS9_S9_NSD_9__find_if7functorIS9_EEEE10hipError_tPvRmT1_T2_T3_mT4_P12ihipStream_tbEUlT_E1_NS1_11comp_targetILNS1_3genE10ELNS1_11target_archE1201ELNS1_3gpuE5ELNS1_3repE0EEENS1_30default_config_static_selectorELNS0_4arch9wavefront6targetE0EEEvS14_,comdat
.Lfunc_end313:
	.size	_ZN7rocprim17ROCPRIM_400000_NS6detail17trampoline_kernelINS0_14default_configENS1_22reduce_config_selectorIN6thrust23THRUST_200600_302600_NS5tupleIblNS6_9null_typeES8_S8_S8_S8_S8_S8_S8_EEEEZNS1_11reduce_implILb1ES3_NS6_12zip_iteratorINS7_INS6_11hip_rocprim26transform_input_iterator_tIbNSD_35transform_pair_of_input_iterators_tIbNS6_6detail15normal_iteratorINS6_10device_ptrIKtEEEESL_NS6_8equal_toItEEEENSG_9not_fun_tINSD_8identityEEEEENSD_19counting_iterator_tIlEES8_S8_S8_S8_S8_S8_S8_S8_EEEEPS9_S9_NSD_9__find_if7functorIS9_EEEE10hipError_tPvRmT1_T2_T3_mT4_P12ihipStream_tbEUlT_E1_NS1_11comp_targetILNS1_3genE10ELNS1_11target_archE1201ELNS1_3gpuE5ELNS1_3repE0EEENS1_30default_config_static_selectorELNS0_4arch9wavefront6targetE0EEEvS14_, .Lfunc_end313-_ZN7rocprim17ROCPRIM_400000_NS6detail17trampoline_kernelINS0_14default_configENS1_22reduce_config_selectorIN6thrust23THRUST_200600_302600_NS5tupleIblNS6_9null_typeES8_S8_S8_S8_S8_S8_S8_EEEEZNS1_11reduce_implILb1ES3_NS6_12zip_iteratorINS7_INS6_11hip_rocprim26transform_input_iterator_tIbNSD_35transform_pair_of_input_iterators_tIbNS6_6detail15normal_iteratorINS6_10device_ptrIKtEEEESL_NS6_8equal_toItEEEENSG_9not_fun_tINSD_8identityEEEEENSD_19counting_iterator_tIlEES8_S8_S8_S8_S8_S8_S8_S8_EEEEPS9_S9_NSD_9__find_if7functorIS9_EEEE10hipError_tPvRmT1_T2_T3_mT4_P12ihipStream_tbEUlT_E1_NS1_11comp_targetILNS1_3genE10ELNS1_11target_archE1201ELNS1_3gpuE5ELNS1_3repE0EEENS1_30default_config_static_selectorELNS0_4arch9wavefront6targetE0EEEvS14_
                                        ; -- End function
	.set _ZN7rocprim17ROCPRIM_400000_NS6detail17trampoline_kernelINS0_14default_configENS1_22reduce_config_selectorIN6thrust23THRUST_200600_302600_NS5tupleIblNS6_9null_typeES8_S8_S8_S8_S8_S8_S8_EEEEZNS1_11reduce_implILb1ES3_NS6_12zip_iteratorINS7_INS6_11hip_rocprim26transform_input_iterator_tIbNSD_35transform_pair_of_input_iterators_tIbNS6_6detail15normal_iteratorINS6_10device_ptrIKtEEEESL_NS6_8equal_toItEEEENSG_9not_fun_tINSD_8identityEEEEENSD_19counting_iterator_tIlEES8_S8_S8_S8_S8_S8_S8_S8_EEEEPS9_S9_NSD_9__find_if7functorIS9_EEEE10hipError_tPvRmT1_T2_T3_mT4_P12ihipStream_tbEUlT_E1_NS1_11comp_targetILNS1_3genE10ELNS1_11target_archE1201ELNS1_3gpuE5ELNS1_3repE0EEENS1_30default_config_static_selectorELNS0_4arch9wavefront6targetE0EEEvS14_.num_vgpr, 0
	.set _ZN7rocprim17ROCPRIM_400000_NS6detail17trampoline_kernelINS0_14default_configENS1_22reduce_config_selectorIN6thrust23THRUST_200600_302600_NS5tupleIblNS6_9null_typeES8_S8_S8_S8_S8_S8_S8_EEEEZNS1_11reduce_implILb1ES3_NS6_12zip_iteratorINS7_INS6_11hip_rocprim26transform_input_iterator_tIbNSD_35transform_pair_of_input_iterators_tIbNS6_6detail15normal_iteratorINS6_10device_ptrIKtEEEESL_NS6_8equal_toItEEEENSG_9not_fun_tINSD_8identityEEEEENSD_19counting_iterator_tIlEES8_S8_S8_S8_S8_S8_S8_S8_EEEEPS9_S9_NSD_9__find_if7functorIS9_EEEE10hipError_tPvRmT1_T2_T3_mT4_P12ihipStream_tbEUlT_E1_NS1_11comp_targetILNS1_3genE10ELNS1_11target_archE1201ELNS1_3gpuE5ELNS1_3repE0EEENS1_30default_config_static_selectorELNS0_4arch9wavefront6targetE0EEEvS14_.num_agpr, 0
	.set _ZN7rocprim17ROCPRIM_400000_NS6detail17trampoline_kernelINS0_14default_configENS1_22reduce_config_selectorIN6thrust23THRUST_200600_302600_NS5tupleIblNS6_9null_typeES8_S8_S8_S8_S8_S8_S8_EEEEZNS1_11reduce_implILb1ES3_NS6_12zip_iteratorINS7_INS6_11hip_rocprim26transform_input_iterator_tIbNSD_35transform_pair_of_input_iterators_tIbNS6_6detail15normal_iteratorINS6_10device_ptrIKtEEEESL_NS6_8equal_toItEEEENSG_9not_fun_tINSD_8identityEEEEENSD_19counting_iterator_tIlEES8_S8_S8_S8_S8_S8_S8_S8_EEEEPS9_S9_NSD_9__find_if7functorIS9_EEEE10hipError_tPvRmT1_T2_T3_mT4_P12ihipStream_tbEUlT_E1_NS1_11comp_targetILNS1_3genE10ELNS1_11target_archE1201ELNS1_3gpuE5ELNS1_3repE0EEENS1_30default_config_static_selectorELNS0_4arch9wavefront6targetE0EEEvS14_.numbered_sgpr, 0
	.set _ZN7rocprim17ROCPRIM_400000_NS6detail17trampoline_kernelINS0_14default_configENS1_22reduce_config_selectorIN6thrust23THRUST_200600_302600_NS5tupleIblNS6_9null_typeES8_S8_S8_S8_S8_S8_S8_EEEEZNS1_11reduce_implILb1ES3_NS6_12zip_iteratorINS7_INS6_11hip_rocprim26transform_input_iterator_tIbNSD_35transform_pair_of_input_iterators_tIbNS6_6detail15normal_iteratorINS6_10device_ptrIKtEEEESL_NS6_8equal_toItEEEENSG_9not_fun_tINSD_8identityEEEEENSD_19counting_iterator_tIlEES8_S8_S8_S8_S8_S8_S8_S8_EEEEPS9_S9_NSD_9__find_if7functorIS9_EEEE10hipError_tPvRmT1_T2_T3_mT4_P12ihipStream_tbEUlT_E1_NS1_11comp_targetILNS1_3genE10ELNS1_11target_archE1201ELNS1_3gpuE5ELNS1_3repE0EEENS1_30default_config_static_selectorELNS0_4arch9wavefront6targetE0EEEvS14_.num_named_barrier, 0
	.set _ZN7rocprim17ROCPRIM_400000_NS6detail17trampoline_kernelINS0_14default_configENS1_22reduce_config_selectorIN6thrust23THRUST_200600_302600_NS5tupleIblNS6_9null_typeES8_S8_S8_S8_S8_S8_S8_EEEEZNS1_11reduce_implILb1ES3_NS6_12zip_iteratorINS7_INS6_11hip_rocprim26transform_input_iterator_tIbNSD_35transform_pair_of_input_iterators_tIbNS6_6detail15normal_iteratorINS6_10device_ptrIKtEEEESL_NS6_8equal_toItEEEENSG_9not_fun_tINSD_8identityEEEEENSD_19counting_iterator_tIlEES8_S8_S8_S8_S8_S8_S8_S8_EEEEPS9_S9_NSD_9__find_if7functorIS9_EEEE10hipError_tPvRmT1_T2_T3_mT4_P12ihipStream_tbEUlT_E1_NS1_11comp_targetILNS1_3genE10ELNS1_11target_archE1201ELNS1_3gpuE5ELNS1_3repE0EEENS1_30default_config_static_selectorELNS0_4arch9wavefront6targetE0EEEvS14_.private_seg_size, 0
	.set _ZN7rocprim17ROCPRIM_400000_NS6detail17trampoline_kernelINS0_14default_configENS1_22reduce_config_selectorIN6thrust23THRUST_200600_302600_NS5tupleIblNS6_9null_typeES8_S8_S8_S8_S8_S8_S8_EEEEZNS1_11reduce_implILb1ES3_NS6_12zip_iteratorINS7_INS6_11hip_rocprim26transform_input_iterator_tIbNSD_35transform_pair_of_input_iterators_tIbNS6_6detail15normal_iteratorINS6_10device_ptrIKtEEEESL_NS6_8equal_toItEEEENSG_9not_fun_tINSD_8identityEEEEENSD_19counting_iterator_tIlEES8_S8_S8_S8_S8_S8_S8_S8_EEEEPS9_S9_NSD_9__find_if7functorIS9_EEEE10hipError_tPvRmT1_T2_T3_mT4_P12ihipStream_tbEUlT_E1_NS1_11comp_targetILNS1_3genE10ELNS1_11target_archE1201ELNS1_3gpuE5ELNS1_3repE0EEENS1_30default_config_static_selectorELNS0_4arch9wavefront6targetE0EEEvS14_.uses_vcc, 0
	.set _ZN7rocprim17ROCPRIM_400000_NS6detail17trampoline_kernelINS0_14default_configENS1_22reduce_config_selectorIN6thrust23THRUST_200600_302600_NS5tupleIblNS6_9null_typeES8_S8_S8_S8_S8_S8_S8_EEEEZNS1_11reduce_implILb1ES3_NS6_12zip_iteratorINS7_INS6_11hip_rocprim26transform_input_iterator_tIbNSD_35transform_pair_of_input_iterators_tIbNS6_6detail15normal_iteratorINS6_10device_ptrIKtEEEESL_NS6_8equal_toItEEEENSG_9not_fun_tINSD_8identityEEEEENSD_19counting_iterator_tIlEES8_S8_S8_S8_S8_S8_S8_S8_EEEEPS9_S9_NSD_9__find_if7functorIS9_EEEE10hipError_tPvRmT1_T2_T3_mT4_P12ihipStream_tbEUlT_E1_NS1_11comp_targetILNS1_3genE10ELNS1_11target_archE1201ELNS1_3gpuE5ELNS1_3repE0EEENS1_30default_config_static_selectorELNS0_4arch9wavefront6targetE0EEEvS14_.uses_flat_scratch, 0
	.set _ZN7rocprim17ROCPRIM_400000_NS6detail17trampoline_kernelINS0_14default_configENS1_22reduce_config_selectorIN6thrust23THRUST_200600_302600_NS5tupleIblNS6_9null_typeES8_S8_S8_S8_S8_S8_S8_EEEEZNS1_11reduce_implILb1ES3_NS6_12zip_iteratorINS7_INS6_11hip_rocprim26transform_input_iterator_tIbNSD_35transform_pair_of_input_iterators_tIbNS6_6detail15normal_iteratorINS6_10device_ptrIKtEEEESL_NS6_8equal_toItEEEENSG_9not_fun_tINSD_8identityEEEEENSD_19counting_iterator_tIlEES8_S8_S8_S8_S8_S8_S8_S8_EEEEPS9_S9_NSD_9__find_if7functorIS9_EEEE10hipError_tPvRmT1_T2_T3_mT4_P12ihipStream_tbEUlT_E1_NS1_11comp_targetILNS1_3genE10ELNS1_11target_archE1201ELNS1_3gpuE5ELNS1_3repE0EEENS1_30default_config_static_selectorELNS0_4arch9wavefront6targetE0EEEvS14_.has_dyn_sized_stack, 0
	.set _ZN7rocprim17ROCPRIM_400000_NS6detail17trampoline_kernelINS0_14default_configENS1_22reduce_config_selectorIN6thrust23THRUST_200600_302600_NS5tupleIblNS6_9null_typeES8_S8_S8_S8_S8_S8_S8_EEEEZNS1_11reduce_implILb1ES3_NS6_12zip_iteratorINS7_INS6_11hip_rocprim26transform_input_iterator_tIbNSD_35transform_pair_of_input_iterators_tIbNS6_6detail15normal_iteratorINS6_10device_ptrIKtEEEESL_NS6_8equal_toItEEEENSG_9not_fun_tINSD_8identityEEEEENSD_19counting_iterator_tIlEES8_S8_S8_S8_S8_S8_S8_S8_EEEEPS9_S9_NSD_9__find_if7functorIS9_EEEE10hipError_tPvRmT1_T2_T3_mT4_P12ihipStream_tbEUlT_E1_NS1_11comp_targetILNS1_3genE10ELNS1_11target_archE1201ELNS1_3gpuE5ELNS1_3repE0EEENS1_30default_config_static_selectorELNS0_4arch9wavefront6targetE0EEEvS14_.has_recursion, 0
	.set _ZN7rocprim17ROCPRIM_400000_NS6detail17trampoline_kernelINS0_14default_configENS1_22reduce_config_selectorIN6thrust23THRUST_200600_302600_NS5tupleIblNS6_9null_typeES8_S8_S8_S8_S8_S8_S8_EEEEZNS1_11reduce_implILb1ES3_NS6_12zip_iteratorINS7_INS6_11hip_rocprim26transform_input_iterator_tIbNSD_35transform_pair_of_input_iterators_tIbNS6_6detail15normal_iteratorINS6_10device_ptrIKtEEEESL_NS6_8equal_toItEEEENSG_9not_fun_tINSD_8identityEEEEENSD_19counting_iterator_tIlEES8_S8_S8_S8_S8_S8_S8_S8_EEEEPS9_S9_NSD_9__find_if7functorIS9_EEEE10hipError_tPvRmT1_T2_T3_mT4_P12ihipStream_tbEUlT_E1_NS1_11comp_targetILNS1_3genE10ELNS1_11target_archE1201ELNS1_3gpuE5ELNS1_3repE0EEENS1_30default_config_static_selectorELNS0_4arch9wavefront6targetE0EEEvS14_.has_indirect_call, 0
	.section	.AMDGPU.csdata,"",@progbits
; Kernel info:
; codeLenInByte = 0
; TotalNumSgprs: 0
; NumVgprs: 0
; ScratchSize: 0
; MemoryBound: 0
; FloatMode: 240
; IeeeMode: 1
; LDSByteSize: 0 bytes/workgroup (compile time only)
; SGPRBlocks: 0
; VGPRBlocks: 0
; NumSGPRsForWavesPerEU: 1
; NumVGPRsForWavesPerEU: 1
; Occupancy: 16
; WaveLimiterHint : 0
; COMPUTE_PGM_RSRC2:SCRATCH_EN: 0
; COMPUTE_PGM_RSRC2:USER_SGPR: 6
; COMPUTE_PGM_RSRC2:TRAP_HANDLER: 0
; COMPUTE_PGM_RSRC2:TGID_X_EN: 1
; COMPUTE_PGM_RSRC2:TGID_Y_EN: 0
; COMPUTE_PGM_RSRC2:TGID_Z_EN: 0
; COMPUTE_PGM_RSRC2:TIDIG_COMP_CNT: 0
	.section	.text._ZN7rocprim17ROCPRIM_400000_NS6detail17trampoline_kernelINS0_14default_configENS1_22reduce_config_selectorIN6thrust23THRUST_200600_302600_NS5tupleIblNS6_9null_typeES8_S8_S8_S8_S8_S8_S8_EEEEZNS1_11reduce_implILb1ES3_NS6_12zip_iteratorINS7_INS6_11hip_rocprim26transform_input_iterator_tIbNSD_35transform_pair_of_input_iterators_tIbNS6_6detail15normal_iteratorINS6_10device_ptrIKtEEEESL_NS6_8equal_toItEEEENSG_9not_fun_tINSD_8identityEEEEENSD_19counting_iterator_tIlEES8_S8_S8_S8_S8_S8_S8_S8_EEEEPS9_S9_NSD_9__find_if7functorIS9_EEEE10hipError_tPvRmT1_T2_T3_mT4_P12ihipStream_tbEUlT_E1_NS1_11comp_targetILNS1_3genE10ELNS1_11target_archE1200ELNS1_3gpuE4ELNS1_3repE0EEENS1_30default_config_static_selectorELNS0_4arch9wavefront6targetE0EEEvS14_,"axG",@progbits,_ZN7rocprim17ROCPRIM_400000_NS6detail17trampoline_kernelINS0_14default_configENS1_22reduce_config_selectorIN6thrust23THRUST_200600_302600_NS5tupleIblNS6_9null_typeES8_S8_S8_S8_S8_S8_S8_EEEEZNS1_11reduce_implILb1ES3_NS6_12zip_iteratorINS7_INS6_11hip_rocprim26transform_input_iterator_tIbNSD_35transform_pair_of_input_iterators_tIbNS6_6detail15normal_iteratorINS6_10device_ptrIKtEEEESL_NS6_8equal_toItEEEENSG_9not_fun_tINSD_8identityEEEEENSD_19counting_iterator_tIlEES8_S8_S8_S8_S8_S8_S8_S8_EEEEPS9_S9_NSD_9__find_if7functorIS9_EEEE10hipError_tPvRmT1_T2_T3_mT4_P12ihipStream_tbEUlT_E1_NS1_11comp_targetILNS1_3genE10ELNS1_11target_archE1200ELNS1_3gpuE4ELNS1_3repE0EEENS1_30default_config_static_selectorELNS0_4arch9wavefront6targetE0EEEvS14_,comdat
	.protected	_ZN7rocprim17ROCPRIM_400000_NS6detail17trampoline_kernelINS0_14default_configENS1_22reduce_config_selectorIN6thrust23THRUST_200600_302600_NS5tupleIblNS6_9null_typeES8_S8_S8_S8_S8_S8_S8_EEEEZNS1_11reduce_implILb1ES3_NS6_12zip_iteratorINS7_INS6_11hip_rocprim26transform_input_iterator_tIbNSD_35transform_pair_of_input_iterators_tIbNS6_6detail15normal_iteratorINS6_10device_ptrIKtEEEESL_NS6_8equal_toItEEEENSG_9not_fun_tINSD_8identityEEEEENSD_19counting_iterator_tIlEES8_S8_S8_S8_S8_S8_S8_S8_EEEEPS9_S9_NSD_9__find_if7functorIS9_EEEE10hipError_tPvRmT1_T2_T3_mT4_P12ihipStream_tbEUlT_E1_NS1_11comp_targetILNS1_3genE10ELNS1_11target_archE1200ELNS1_3gpuE4ELNS1_3repE0EEENS1_30default_config_static_selectorELNS0_4arch9wavefront6targetE0EEEvS14_ ; -- Begin function _ZN7rocprim17ROCPRIM_400000_NS6detail17trampoline_kernelINS0_14default_configENS1_22reduce_config_selectorIN6thrust23THRUST_200600_302600_NS5tupleIblNS6_9null_typeES8_S8_S8_S8_S8_S8_S8_EEEEZNS1_11reduce_implILb1ES3_NS6_12zip_iteratorINS7_INS6_11hip_rocprim26transform_input_iterator_tIbNSD_35transform_pair_of_input_iterators_tIbNS6_6detail15normal_iteratorINS6_10device_ptrIKtEEEESL_NS6_8equal_toItEEEENSG_9not_fun_tINSD_8identityEEEEENSD_19counting_iterator_tIlEES8_S8_S8_S8_S8_S8_S8_S8_EEEEPS9_S9_NSD_9__find_if7functorIS9_EEEE10hipError_tPvRmT1_T2_T3_mT4_P12ihipStream_tbEUlT_E1_NS1_11comp_targetILNS1_3genE10ELNS1_11target_archE1200ELNS1_3gpuE4ELNS1_3repE0EEENS1_30default_config_static_selectorELNS0_4arch9wavefront6targetE0EEEvS14_
	.globl	_ZN7rocprim17ROCPRIM_400000_NS6detail17trampoline_kernelINS0_14default_configENS1_22reduce_config_selectorIN6thrust23THRUST_200600_302600_NS5tupleIblNS6_9null_typeES8_S8_S8_S8_S8_S8_S8_EEEEZNS1_11reduce_implILb1ES3_NS6_12zip_iteratorINS7_INS6_11hip_rocprim26transform_input_iterator_tIbNSD_35transform_pair_of_input_iterators_tIbNS6_6detail15normal_iteratorINS6_10device_ptrIKtEEEESL_NS6_8equal_toItEEEENSG_9not_fun_tINSD_8identityEEEEENSD_19counting_iterator_tIlEES8_S8_S8_S8_S8_S8_S8_S8_EEEEPS9_S9_NSD_9__find_if7functorIS9_EEEE10hipError_tPvRmT1_T2_T3_mT4_P12ihipStream_tbEUlT_E1_NS1_11comp_targetILNS1_3genE10ELNS1_11target_archE1200ELNS1_3gpuE4ELNS1_3repE0EEENS1_30default_config_static_selectorELNS0_4arch9wavefront6targetE0EEEvS14_
	.p2align	8
	.type	_ZN7rocprim17ROCPRIM_400000_NS6detail17trampoline_kernelINS0_14default_configENS1_22reduce_config_selectorIN6thrust23THRUST_200600_302600_NS5tupleIblNS6_9null_typeES8_S8_S8_S8_S8_S8_S8_EEEEZNS1_11reduce_implILb1ES3_NS6_12zip_iteratorINS7_INS6_11hip_rocprim26transform_input_iterator_tIbNSD_35transform_pair_of_input_iterators_tIbNS6_6detail15normal_iteratorINS6_10device_ptrIKtEEEESL_NS6_8equal_toItEEEENSG_9not_fun_tINSD_8identityEEEEENSD_19counting_iterator_tIlEES8_S8_S8_S8_S8_S8_S8_S8_EEEEPS9_S9_NSD_9__find_if7functorIS9_EEEE10hipError_tPvRmT1_T2_T3_mT4_P12ihipStream_tbEUlT_E1_NS1_11comp_targetILNS1_3genE10ELNS1_11target_archE1200ELNS1_3gpuE4ELNS1_3repE0EEENS1_30default_config_static_selectorELNS0_4arch9wavefront6targetE0EEEvS14_,@function
_ZN7rocprim17ROCPRIM_400000_NS6detail17trampoline_kernelINS0_14default_configENS1_22reduce_config_selectorIN6thrust23THRUST_200600_302600_NS5tupleIblNS6_9null_typeES8_S8_S8_S8_S8_S8_S8_EEEEZNS1_11reduce_implILb1ES3_NS6_12zip_iteratorINS7_INS6_11hip_rocprim26transform_input_iterator_tIbNSD_35transform_pair_of_input_iterators_tIbNS6_6detail15normal_iteratorINS6_10device_ptrIKtEEEESL_NS6_8equal_toItEEEENSG_9not_fun_tINSD_8identityEEEEENSD_19counting_iterator_tIlEES8_S8_S8_S8_S8_S8_S8_S8_EEEEPS9_S9_NSD_9__find_if7functorIS9_EEEE10hipError_tPvRmT1_T2_T3_mT4_P12ihipStream_tbEUlT_E1_NS1_11comp_targetILNS1_3genE10ELNS1_11target_archE1200ELNS1_3gpuE4ELNS1_3repE0EEENS1_30default_config_static_selectorELNS0_4arch9wavefront6targetE0EEEvS14_: ; @_ZN7rocprim17ROCPRIM_400000_NS6detail17trampoline_kernelINS0_14default_configENS1_22reduce_config_selectorIN6thrust23THRUST_200600_302600_NS5tupleIblNS6_9null_typeES8_S8_S8_S8_S8_S8_S8_EEEEZNS1_11reduce_implILb1ES3_NS6_12zip_iteratorINS7_INS6_11hip_rocprim26transform_input_iterator_tIbNSD_35transform_pair_of_input_iterators_tIbNS6_6detail15normal_iteratorINS6_10device_ptrIKtEEEESL_NS6_8equal_toItEEEENSG_9not_fun_tINSD_8identityEEEEENSD_19counting_iterator_tIlEES8_S8_S8_S8_S8_S8_S8_S8_EEEEPS9_S9_NSD_9__find_if7functorIS9_EEEE10hipError_tPvRmT1_T2_T3_mT4_P12ihipStream_tbEUlT_E1_NS1_11comp_targetILNS1_3genE10ELNS1_11target_archE1200ELNS1_3gpuE4ELNS1_3repE0EEENS1_30default_config_static_selectorELNS0_4arch9wavefront6targetE0EEEvS14_
; %bb.0:
	.section	.rodata,"a",@progbits
	.p2align	6, 0x0
	.amdhsa_kernel _ZN7rocprim17ROCPRIM_400000_NS6detail17trampoline_kernelINS0_14default_configENS1_22reduce_config_selectorIN6thrust23THRUST_200600_302600_NS5tupleIblNS6_9null_typeES8_S8_S8_S8_S8_S8_S8_EEEEZNS1_11reduce_implILb1ES3_NS6_12zip_iteratorINS7_INS6_11hip_rocprim26transform_input_iterator_tIbNSD_35transform_pair_of_input_iterators_tIbNS6_6detail15normal_iteratorINS6_10device_ptrIKtEEEESL_NS6_8equal_toItEEEENSG_9not_fun_tINSD_8identityEEEEENSD_19counting_iterator_tIlEES8_S8_S8_S8_S8_S8_S8_S8_EEEEPS9_S9_NSD_9__find_if7functorIS9_EEEE10hipError_tPvRmT1_T2_T3_mT4_P12ihipStream_tbEUlT_E1_NS1_11comp_targetILNS1_3genE10ELNS1_11target_archE1200ELNS1_3gpuE4ELNS1_3repE0EEENS1_30default_config_static_selectorELNS0_4arch9wavefront6targetE0EEEvS14_
		.amdhsa_group_segment_fixed_size 0
		.amdhsa_private_segment_fixed_size 0
		.amdhsa_kernarg_size 88
		.amdhsa_user_sgpr_count 6
		.amdhsa_user_sgpr_private_segment_buffer 1
		.amdhsa_user_sgpr_dispatch_ptr 0
		.amdhsa_user_sgpr_queue_ptr 0
		.amdhsa_user_sgpr_kernarg_segment_ptr 1
		.amdhsa_user_sgpr_dispatch_id 0
		.amdhsa_user_sgpr_flat_scratch_init 0
		.amdhsa_user_sgpr_private_segment_size 0
		.amdhsa_wavefront_size32 1
		.amdhsa_uses_dynamic_stack 0
		.amdhsa_system_sgpr_private_segment_wavefront_offset 0
		.amdhsa_system_sgpr_workgroup_id_x 1
		.amdhsa_system_sgpr_workgroup_id_y 0
		.amdhsa_system_sgpr_workgroup_id_z 0
		.amdhsa_system_sgpr_workgroup_info 0
		.amdhsa_system_vgpr_workitem_id 0
		.amdhsa_next_free_vgpr 1
		.amdhsa_next_free_sgpr 1
		.amdhsa_reserve_vcc 0
		.amdhsa_reserve_flat_scratch 0
		.amdhsa_float_round_mode_32 0
		.amdhsa_float_round_mode_16_64 0
		.amdhsa_float_denorm_mode_32 3
		.amdhsa_float_denorm_mode_16_64 3
		.amdhsa_dx10_clamp 1
		.amdhsa_ieee_mode 1
		.amdhsa_fp16_overflow 0
		.amdhsa_workgroup_processor_mode 1
		.amdhsa_memory_ordered 1
		.amdhsa_forward_progress 1
		.amdhsa_shared_vgpr_count 0
		.amdhsa_exception_fp_ieee_invalid_op 0
		.amdhsa_exception_fp_denorm_src 0
		.amdhsa_exception_fp_ieee_div_zero 0
		.amdhsa_exception_fp_ieee_overflow 0
		.amdhsa_exception_fp_ieee_underflow 0
		.amdhsa_exception_fp_ieee_inexact 0
		.amdhsa_exception_int_div_zero 0
	.end_amdhsa_kernel
	.section	.text._ZN7rocprim17ROCPRIM_400000_NS6detail17trampoline_kernelINS0_14default_configENS1_22reduce_config_selectorIN6thrust23THRUST_200600_302600_NS5tupleIblNS6_9null_typeES8_S8_S8_S8_S8_S8_S8_EEEEZNS1_11reduce_implILb1ES3_NS6_12zip_iteratorINS7_INS6_11hip_rocprim26transform_input_iterator_tIbNSD_35transform_pair_of_input_iterators_tIbNS6_6detail15normal_iteratorINS6_10device_ptrIKtEEEESL_NS6_8equal_toItEEEENSG_9not_fun_tINSD_8identityEEEEENSD_19counting_iterator_tIlEES8_S8_S8_S8_S8_S8_S8_S8_EEEEPS9_S9_NSD_9__find_if7functorIS9_EEEE10hipError_tPvRmT1_T2_T3_mT4_P12ihipStream_tbEUlT_E1_NS1_11comp_targetILNS1_3genE10ELNS1_11target_archE1200ELNS1_3gpuE4ELNS1_3repE0EEENS1_30default_config_static_selectorELNS0_4arch9wavefront6targetE0EEEvS14_,"axG",@progbits,_ZN7rocprim17ROCPRIM_400000_NS6detail17trampoline_kernelINS0_14default_configENS1_22reduce_config_selectorIN6thrust23THRUST_200600_302600_NS5tupleIblNS6_9null_typeES8_S8_S8_S8_S8_S8_S8_EEEEZNS1_11reduce_implILb1ES3_NS6_12zip_iteratorINS7_INS6_11hip_rocprim26transform_input_iterator_tIbNSD_35transform_pair_of_input_iterators_tIbNS6_6detail15normal_iteratorINS6_10device_ptrIKtEEEESL_NS6_8equal_toItEEEENSG_9not_fun_tINSD_8identityEEEEENSD_19counting_iterator_tIlEES8_S8_S8_S8_S8_S8_S8_S8_EEEEPS9_S9_NSD_9__find_if7functorIS9_EEEE10hipError_tPvRmT1_T2_T3_mT4_P12ihipStream_tbEUlT_E1_NS1_11comp_targetILNS1_3genE10ELNS1_11target_archE1200ELNS1_3gpuE4ELNS1_3repE0EEENS1_30default_config_static_selectorELNS0_4arch9wavefront6targetE0EEEvS14_,comdat
.Lfunc_end314:
	.size	_ZN7rocprim17ROCPRIM_400000_NS6detail17trampoline_kernelINS0_14default_configENS1_22reduce_config_selectorIN6thrust23THRUST_200600_302600_NS5tupleIblNS6_9null_typeES8_S8_S8_S8_S8_S8_S8_EEEEZNS1_11reduce_implILb1ES3_NS6_12zip_iteratorINS7_INS6_11hip_rocprim26transform_input_iterator_tIbNSD_35transform_pair_of_input_iterators_tIbNS6_6detail15normal_iteratorINS6_10device_ptrIKtEEEESL_NS6_8equal_toItEEEENSG_9not_fun_tINSD_8identityEEEEENSD_19counting_iterator_tIlEES8_S8_S8_S8_S8_S8_S8_S8_EEEEPS9_S9_NSD_9__find_if7functorIS9_EEEE10hipError_tPvRmT1_T2_T3_mT4_P12ihipStream_tbEUlT_E1_NS1_11comp_targetILNS1_3genE10ELNS1_11target_archE1200ELNS1_3gpuE4ELNS1_3repE0EEENS1_30default_config_static_selectorELNS0_4arch9wavefront6targetE0EEEvS14_, .Lfunc_end314-_ZN7rocprim17ROCPRIM_400000_NS6detail17trampoline_kernelINS0_14default_configENS1_22reduce_config_selectorIN6thrust23THRUST_200600_302600_NS5tupleIblNS6_9null_typeES8_S8_S8_S8_S8_S8_S8_EEEEZNS1_11reduce_implILb1ES3_NS6_12zip_iteratorINS7_INS6_11hip_rocprim26transform_input_iterator_tIbNSD_35transform_pair_of_input_iterators_tIbNS6_6detail15normal_iteratorINS6_10device_ptrIKtEEEESL_NS6_8equal_toItEEEENSG_9not_fun_tINSD_8identityEEEEENSD_19counting_iterator_tIlEES8_S8_S8_S8_S8_S8_S8_S8_EEEEPS9_S9_NSD_9__find_if7functorIS9_EEEE10hipError_tPvRmT1_T2_T3_mT4_P12ihipStream_tbEUlT_E1_NS1_11comp_targetILNS1_3genE10ELNS1_11target_archE1200ELNS1_3gpuE4ELNS1_3repE0EEENS1_30default_config_static_selectorELNS0_4arch9wavefront6targetE0EEEvS14_
                                        ; -- End function
	.set _ZN7rocprim17ROCPRIM_400000_NS6detail17trampoline_kernelINS0_14default_configENS1_22reduce_config_selectorIN6thrust23THRUST_200600_302600_NS5tupleIblNS6_9null_typeES8_S8_S8_S8_S8_S8_S8_EEEEZNS1_11reduce_implILb1ES3_NS6_12zip_iteratorINS7_INS6_11hip_rocprim26transform_input_iterator_tIbNSD_35transform_pair_of_input_iterators_tIbNS6_6detail15normal_iteratorINS6_10device_ptrIKtEEEESL_NS6_8equal_toItEEEENSG_9not_fun_tINSD_8identityEEEEENSD_19counting_iterator_tIlEES8_S8_S8_S8_S8_S8_S8_S8_EEEEPS9_S9_NSD_9__find_if7functorIS9_EEEE10hipError_tPvRmT1_T2_T3_mT4_P12ihipStream_tbEUlT_E1_NS1_11comp_targetILNS1_3genE10ELNS1_11target_archE1200ELNS1_3gpuE4ELNS1_3repE0EEENS1_30default_config_static_selectorELNS0_4arch9wavefront6targetE0EEEvS14_.num_vgpr, 0
	.set _ZN7rocprim17ROCPRIM_400000_NS6detail17trampoline_kernelINS0_14default_configENS1_22reduce_config_selectorIN6thrust23THRUST_200600_302600_NS5tupleIblNS6_9null_typeES8_S8_S8_S8_S8_S8_S8_EEEEZNS1_11reduce_implILb1ES3_NS6_12zip_iteratorINS7_INS6_11hip_rocprim26transform_input_iterator_tIbNSD_35transform_pair_of_input_iterators_tIbNS6_6detail15normal_iteratorINS6_10device_ptrIKtEEEESL_NS6_8equal_toItEEEENSG_9not_fun_tINSD_8identityEEEEENSD_19counting_iterator_tIlEES8_S8_S8_S8_S8_S8_S8_S8_EEEEPS9_S9_NSD_9__find_if7functorIS9_EEEE10hipError_tPvRmT1_T2_T3_mT4_P12ihipStream_tbEUlT_E1_NS1_11comp_targetILNS1_3genE10ELNS1_11target_archE1200ELNS1_3gpuE4ELNS1_3repE0EEENS1_30default_config_static_selectorELNS0_4arch9wavefront6targetE0EEEvS14_.num_agpr, 0
	.set _ZN7rocprim17ROCPRIM_400000_NS6detail17trampoline_kernelINS0_14default_configENS1_22reduce_config_selectorIN6thrust23THRUST_200600_302600_NS5tupleIblNS6_9null_typeES8_S8_S8_S8_S8_S8_S8_EEEEZNS1_11reduce_implILb1ES3_NS6_12zip_iteratorINS7_INS6_11hip_rocprim26transform_input_iterator_tIbNSD_35transform_pair_of_input_iterators_tIbNS6_6detail15normal_iteratorINS6_10device_ptrIKtEEEESL_NS6_8equal_toItEEEENSG_9not_fun_tINSD_8identityEEEEENSD_19counting_iterator_tIlEES8_S8_S8_S8_S8_S8_S8_S8_EEEEPS9_S9_NSD_9__find_if7functorIS9_EEEE10hipError_tPvRmT1_T2_T3_mT4_P12ihipStream_tbEUlT_E1_NS1_11comp_targetILNS1_3genE10ELNS1_11target_archE1200ELNS1_3gpuE4ELNS1_3repE0EEENS1_30default_config_static_selectorELNS0_4arch9wavefront6targetE0EEEvS14_.numbered_sgpr, 0
	.set _ZN7rocprim17ROCPRIM_400000_NS6detail17trampoline_kernelINS0_14default_configENS1_22reduce_config_selectorIN6thrust23THRUST_200600_302600_NS5tupleIblNS6_9null_typeES8_S8_S8_S8_S8_S8_S8_EEEEZNS1_11reduce_implILb1ES3_NS6_12zip_iteratorINS7_INS6_11hip_rocprim26transform_input_iterator_tIbNSD_35transform_pair_of_input_iterators_tIbNS6_6detail15normal_iteratorINS6_10device_ptrIKtEEEESL_NS6_8equal_toItEEEENSG_9not_fun_tINSD_8identityEEEEENSD_19counting_iterator_tIlEES8_S8_S8_S8_S8_S8_S8_S8_EEEEPS9_S9_NSD_9__find_if7functorIS9_EEEE10hipError_tPvRmT1_T2_T3_mT4_P12ihipStream_tbEUlT_E1_NS1_11comp_targetILNS1_3genE10ELNS1_11target_archE1200ELNS1_3gpuE4ELNS1_3repE0EEENS1_30default_config_static_selectorELNS0_4arch9wavefront6targetE0EEEvS14_.num_named_barrier, 0
	.set _ZN7rocprim17ROCPRIM_400000_NS6detail17trampoline_kernelINS0_14default_configENS1_22reduce_config_selectorIN6thrust23THRUST_200600_302600_NS5tupleIblNS6_9null_typeES8_S8_S8_S8_S8_S8_S8_EEEEZNS1_11reduce_implILb1ES3_NS6_12zip_iteratorINS7_INS6_11hip_rocprim26transform_input_iterator_tIbNSD_35transform_pair_of_input_iterators_tIbNS6_6detail15normal_iteratorINS6_10device_ptrIKtEEEESL_NS6_8equal_toItEEEENSG_9not_fun_tINSD_8identityEEEEENSD_19counting_iterator_tIlEES8_S8_S8_S8_S8_S8_S8_S8_EEEEPS9_S9_NSD_9__find_if7functorIS9_EEEE10hipError_tPvRmT1_T2_T3_mT4_P12ihipStream_tbEUlT_E1_NS1_11comp_targetILNS1_3genE10ELNS1_11target_archE1200ELNS1_3gpuE4ELNS1_3repE0EEENS1_30default_config_static_selectorELNS0_4arch9wavefront6targetE0EEEvS14_.private_seg_size, 0
	.set _ZN7rocprim17ROCPRIM_400000_NS6detail17trampoline_kernelINS0_14default_configENS1_22reduce_config_selectorIN6thrust23THRUST_200600_302600_NS5tupleIblNS6_9null_typeES8_S8_S8_S8_S8_S8_S8_EEEEZNS1_11reduce_implILb1ES3_NS6_12zip_iteratorINS7_INS6_11hip_rocprim26transform_input_iterator_tIbNSD_35transform_pair_of_input_iterators_tIbNS6_6detail15normal_iteratorINS6_10device_ptrIKtEEEESL_NS6_8equal_toItEEEENSG_9not_fun_tINSD_8identityEEEEENSD_19counting_iterator_tIlEES8_S8_S8_S8_S8_S8_S8_S8_EEEEPS9_S9_NSD_9__find_if7functorIS9_EEEE10hipError_tPvRmT1_T2_T3_mT4_P12ihipStream_tbEUlT_E1_NS1_11comp_targetILNS1_3genE10ELNS1_11target_archE1200ELNS1_3gpuE4ELNS1_3repE0EEENS1_30default_config_static_selectorELNS0_4arch9wavefront6targetE0EEEvS14_.uses_vcc, 0
	.set _ZN7rocprim17ROCPRIM_400000_NS6detail17trampoline_kernelINS0_14default_configENS1_22reduce_config_selectorIN6thrust23THRUST_200600_302600_NS5tupleIblNS6_9null_typeES8_S8_S8_S8_S8_S8_S8_EEEEZNS1_11reduce_implILb1ES3_NS6_12zip_iteratorINS7_INS6_11hip_rocprim26transform_input_iterator_tIbNSD_35transform_pair_of_input_iterators_tIbNS6_6detail15normal_iteratorINS6_10device_ptrIKtEEEESL_NS6_8equal_toItEEEENSG_9not_fun_tINSD_8identityEEEEENSD_19counting_iterator_tIlEES8_S8_S8_S8_S8_S8_S8_S8_EEEEPS9_S9_NSD_9__find_if7functorIS9_EEEE10hipError_tPvRmT1_T2_T3_mT4_P12ihipStream_tbEUlT_E1_NS1_11comp_targetILNS1_3genE10ELNS1_11target_archE1200ELNS1_3gpuE4ELNS1_3repE0EEENS1_30default_config_static_selectorELNS0_4arch9wavefront6targetE0EEEvS14_.uses_flat_scratch, 0
	.set _ZN7rocprim17ROCPRIM_400000_NS6detail17trampoline_kernelINS0_14default_configENS1_22reduce_config_selectorIN6thrust23THRUST_200600_302600_NS5tupleIblNS6_9null_typeES8_S8_S8_S8_S8_S8_S8_EEEEZNS1_11reduce_implILb1ES3_NS6_12zip_iteratorINS7_INS6_11hip_rocprim26transform_input_iterator_tIbNSD_35transform_pair_of_input_iterators_tIbNS6_6detail15normal_iteratorINS6_10device_ptrIKtEEEESL_NS6_8equal_toItEEEENSG_9not_fun_tINSD_8identityEEEEENSD_19counting_iterator_tIlEES8_S8_S8_S8_S8_S8_S8_S8_EEEEPS9_S9_NSD_9__find_if7functorIS9_EEEE10hipError_tPvRmT1_T2_T3_mT4_P12ihipStream_tbEUlT_E1_NS1_11comp_targetILNS1_3genE10ELNS1_11target_archE1200ELNS1_3gpuE4ELNS1_3repE0EEENS1_30default_config_static_selectorELNS0_4arch9wavefront6targetE0EEEvS14_.has_dyn_sized_stack, 0
	.set _ZN7rocprim17ROCPRIM_400000_NS6detail17trampoline_kernelINS0_14default_configENS1_22reduce_config_selectorIN6thrust23THRUST_200600_302600_NS5tupleIblNS6_9null_typeES8_S8_S8_S8_S8_S8_S8_EEEEZNS1_11reduce_implILb1ES3_NS6_12zip_iteratorINS7_INS6_11hip_rocprim26transform_input_iterator_tIbNSD_35transform_pair_of_input_iterators_tIbNS6_6detail15normal_iteratorINS6_10device_ptrIKtEEEESL_NS6_8equal_toItEEEENSG_9not_fun_tINSD_8identityEEEEENSD_19counting_iterator_tIlEES8_S8_S8_S8_S8_S8_S8_S8_EEEEPS9_S9_NSD_9__find_if7functorIS9_EEEE10hipError_tPvRmT1_T2_T3_mT4_P12ihipStream_tbEUlT_E1_NS1_11comp_targetILNS1_3genE10ELNS1_11target_archE1200ELNS1_3gpuE4ELNS1_3repE0EEENS1_30default_config_static_selectorELNS0_4arch9wavefront6targetE0EEEvS14_.has_recursion, 0
	.set _ZN7rocprim17ROCPRIM_400000_NS6detail17trampoline_kernelINS0_14default_configENS1_22reduce_config_selectorIN6thrust23THRUST_200600_302600_NS5tupleIblNS6_9null_typeES8_S8_S8_S8_S8_S8_S8_EEEEZNS1_11reduce_implILb1ES3_NS6_12zip_iteratorINS7_INS6_11hip_rocprim26transform_input_iterator_tIbNSD_35transform_pair_of_input_iterators_tIbNS6_6detail15normal_iteratorINS6_10device_ptrIKtEEEESL_NS6_8equal_toItEEEENSG_9not_fun_tINSD_8identityEEEEENSD_19counting_iterator_tIlEES8_S8_S8_S8_S8_S8_S8_S8_EEEEPS9_S9_NSD_9__find_if7functorIS9_EEEE10hipError_tPvRmT1_T2_T3_mT4_P12ihipStream_tbEUlT_E1_NS1_11comp_targetILNS1_3genE10ELNS1_11target_archE1200ELNS1_3gpuE4ELNS1_3repE0EEENS1_30default_config_static_selectorELNS0_4arch9wavefront6targetE0EEEvS14_.has_indirect_call, 0
	.section	.AMDGPU.csdata,"",@progbits
; Kernel info:
; codeLenInByte = 0
; TotalNumSgprs: 0
; NumVgprs: 0
; ScratchSize: 0
; MemoryBound: 0
; FloatMode: 240
; IeeeMode: 1
; LDSByteSize: 0 bytes/workgroup (compile time only)
; SGPRBlocks: 0
; VGPRBlocks: 0
; NumSGPRsForWavesPerEU: 1
; NumVGPRsForWavesPerEU: 1
; Occupancy: 16
; WaveLimiterHint : 0
; COMPUTE_PGM_RSRC2:SCRATCH_EN: 0
; COMPUTE_PGM_RSRC2:USER_SGPR: 6
; COMPUTE_PGM_RSRC2:TRAP_HANDLER: 0
; COMPUTE_PGM_RSRC2:TGID_X_EN: 1
; COMPUTE_PGM_RSRC2:TGID_Y_EN: 0
; COMPUTE_PGM_RSRC2:TGID_Z_EN: 0
; COMPUTE_PGM_RSRC2:TIDIG_COMP_CNT: 0
	.section	.text._ZN7rocprim17ROCPRIM_400000_NS6detail17trampoline_kernelINS0_14default_configENS1_22reduce_config_selectorIN6thrust23THRUST_200600_302600_NS5tupleIblNS6_9null_typeES8_S8_S8_S8_S8_S8_S8_EEEEZNS1_11reduce_implILb1ES3_NS6_12zip_iteratorINS7_INS6_11hip_rocprim26transform_input_iterator_tIbNSD_35transform_pair_of_input_iterators_tIbNS6_6detail15normal_iteratorINS6_10device_ptrIKtEEEESL_NS6_8equal_toItEEEENSG_9not_fun_tINSD_8identityEEEEENSD_19counting_iterator_tIlEES8_S8_S8_S8_S8_S8_S8_S8_EEEEPS9_S9_NSD_9__find_if7functorIS9_EEEE10hipError_tPvRmT1_T2_T3_mT4_P12ihipStream_tbEUlT_E1_NS1_11comp_targetILNS1_3genE9ELNS1_11target_archE1100ELNS1_3gpuE3ELNS1_3repE0EEENS1_30default_config_static_selectorELNS0_4arch9wavefront6targetE0EEEvS14_,"axG",@progbits,_ZN7rocprim17ROCPRIM_400000_NS6detail17trampoline_kernelINS0_14default_configENS1_22reduce_config_selectorIN6thrust23THRUST_200600_302600_NS5tupleIblNS6_9null_typeES8_S8_S8_S8_S8_S8_S8_EEEEZNS1_11reduce_implILb1ES3_NS6_12zip_iteratorINS7_INS6_11hip_rocprim26transform_input_iterator_tIbNSD_35transform_pair_of_input_iterators_tIbNS6_6detail15normal_iteratorINS6_10device_ptrIKtEEEESL_NS6_8equal_toItEEEENSG_9not_fun_tINSD_8identityEEEEENSD_19counting_iterator_tIlEES8_S8_S8_S8_S8_S8_S8_S8_EEEEPS9_S9_NSD_9__find_if7functorIS9_EEEE10hipError_tPvRmT1_T2_T3_mT4_P12ihipStream_tbEUlT_E1_NS1_11comp_targetILNS1_3genE9ELNS1_11target_archE1100ELNS1_3gpuE3ELNS1_3repE0EEENS1_30default_config_static_selectorELNS0_4arch9wavefront6targetE0EEEvS14_,comdat
	.protected	_ZN7rocprim17ROCPRIM_400000_NS6detail17trampoline_kernelINS0_14default_configENS1_22reduce_config_selectorIN6thrust23THRUST_200600_302600_NS5tupleIblNS6_9null_typeES8_S8_S8_S8_S8_S8_S8_EEEEZNS1_11reduce_implILb1ES3_NS6_12zip_iteratorINS7_INS6_11hip_rocprim26transform_input_iterator_tIbNSD_35transform_pair_of_input_iterators_tIbNS6_6detail15normal_iteratorINS6_10device_ptrIKtEEEESL_NS6_8equal_toItEEEENSG_9not_fun_tINSD_8identityEEEEENSD_19counting_iterator_tIlEES8_S8_S8_S8_S8_S8_S8_S8_EEEEPS9_S9_NSD_9__find_if7functorIS9_EEEE10hipError_tPvRmT1_T2_T3_mT4_P12ihipStream_tbEUlT_E1_NS1_11comp_targetILNS1_3genE9ELNS1_11target_archE1100ELNS1_3gpuE3ELNS1_3repE0EEENS1_30default_config_static_selectorELNS0_4arch9wavefront6targetE0EEEvS14_ ; -- Begin function _ZN7rocprim17ROCPRIM_400000_NS6detail17trampoline_kernelINS0_14default_configENS1_22reduce_config_selectorIN6thrust23THRUST_200600_302600_NS5tupleIblNS6_9null_typeES8_S8_S8_S8_S8_S8_S8_EEEEZNS1_11reduce_implILb1ES3_NS6_12zip_iteratorINS7_INS6_11hip_rocprim26transform_input_iterator_tIbNSD_35transform_pair_of_input_iterators_tIbNS6_6detail15normal_iteratorINS6_10device_ptrIKtEEEESL_NS6_8equal_toItEEEENSG_9not_fun_tINSD_8identityEEEEENSD_19counting_iterator_tIlEES8_S8_S8_S8_S8_S8_S8_S8_EEEEPS9_S9_NSD_9__find_if7functorIS9_EEEE10hipError_tPvRmT1_T2_T3_mT4_P12ihipStream_tbEUlT_E1_NS1_11comp_targetILNS1_3genE9ELNS1_11target_archE1100ELNS1_3gpuE3ELNS1_3repE0EEENS1_30default_config_static_selectorELNS0_4arch9wavefront6targetE0EEEvS14_
	.globl	_ZN7rocprim17ROCPRIM_400000_NS6detail17trampoline_kernelINS0_14default_configENS1_22reduce_config_selectorIN6thrust23THRUST_200600_302600_NS5tupleIblNS6_9null_typeES8_S8_S8_S8_S8_S8_S8_EEEEZNS1_11reduce_implILb1ES3_NS6_12zip_iteratorINS7_INS6_11hip_rocprim26transform_input_iterator_tIbNSD_35transform_pair_of_input_iterators_tIbNS6_6detail15normal_iteratorINS6_10device_ptrIKtEEEESL_NS6_8equal_toItEEEENSG_9not_fun_tINSD_8identityEEEEENSD_19counting_iterator_tIlEES8_S8_S8_S8_S8_S8_S8_S8_EEEEPS9_S9_NSD_9__find_if7functorIS9_EEEE10hipError_tPvRmT1_T2_T3_mT4_P12ihipStream_tbEUlT_E1_NS1_11comp_targetILNS1_3genE9ELNS1_11target_archE1100ELNS1_3gpuE3ELNS1_3repE0EEENS1_30default_config_static_selectorELNS0_4arch9wavefront6targetE0EEEvS14_
	.p2align	8
	.type	_ZN7rocprim17ROCPRIM_400000_NS6detail17trampoline_kernelINS0_14default_configENS1_22reduce_config_selectorIN6thrust23THRUST_200600_302600_NS5tupleIblNS6_9null_typeES8_S8_S8_S8_S8_S8_S8_EEEEZNS1_11reduce_implILb1ES3_NS6_12zip_iteratorINS7_INS6_11hip_rocprim26transform_input_iterator_tIbNSD_35transform_pair_of_input_iterators_tIbNS6_6detail15normal_iteratorINS6_10device_ptrIKtEEEESL_NS6_8equal_toItEEEENSG_9not_fun_tINSD_8identityEEEEENSD_19counting_iterator_tIlEES8_S8_S8_S8_S8_S8_S8_S8_EEEEPS9_S9_NSD_9__find_if7functorIS9_EEEE10hipError_tPvRmT1_T2_T3_mT4_P12ihipStream_tbEUlT_E1_NS1_11comp_targetILNS1_3genE9ELNS1_11target_archE1100ELNS1_3gpuE3ELNS1_3repE0EEENS1_30default_config_static_selectorELNS0_4arch9wavefront6targetE0EEEvS14_,@function
_ZN7rocprim17ROCPRIM_400000_NS6detail17trampoline_kernelINS0_14default_configENS1_22reduce_config_selectorIN6thrust23THRUST_200600_302600_NS5tupleIblNS6_9null_typeES8_S8_S8_S8_S8_S8_S8_EEEEZNS1_11reduce_implILb1ES3_NS6_12zip_iteratorINS7_INS6_11hip_rocprim26transform_input_iterator_tIbNSD_35transform_pair_of_input_iterators_tIbNS6_6detail15normal_iteratorINS6_10device_ptrIKtEEEESL_NS6_8equal_toItEEEENSG_9not_fun_tINSD_8identityEEEEENSD_19counting_iterator_tIlEES8_S8_S8_S8_S8_S8_S8_S8_EEEEPS9_S9_NSD_9__find_if7functorIS9_EEEE10hipError_tPvRmT1_T2_T3_mT4_P12ihipStream_tbEUlT_E1_NS1_11comp_targetILNS1_3genE9ELNS1_11target_archE1100ELNS1_3gpuE3ELNS1_3repE0EEENS1_30default_config_static_selectorELNS0_4arch9wavefront6targetE0EEEvS14_: ; @_ZN7rocprim17ROCPRIM_400000_NS6detail17trampoline_kernelINS0_14default_configENS1_22reduce_config_selectorIN6thrust23THRUST_200600_302600_NS5tupleIblNS6_9null_typeES8_S8_S8_S8_S8_S8_S8_EEEEZNS1_11reduce_implILb1ES3_NS6_12zip_iteratorINS7_INS6_11hip_rocprim26transform_input_iterator_tIbNSD_35transform_pair_of_input_iterators_tIbNS6_6detail15normal_iteratorINS6_10device_ptrIKtEEEESL_NS6_8equal_toItEEEENSG_9not_fun_tINSD_8identityEEEEENSD_19counting_iterator_tIlEES8_S8_S8_S8_S8_S8_S8_S8_EEEEPS9_S9_NSD_9__find_if7functorIS9_EEEE10hipError_tPvRmT1_T2_T3_mT4_P12ihipStream_tbEUlT_E1_NS1_11comp_targetILNS1_3genE9ELNS1_11target_archE1100ELNS1_3gpuE3ELNS1_3repE0EEENS1_30default_config_static_selectorELNS0_4arch9wavefront6targetE0EEEvS14_
; %bb.0:
	.section	.rodata,"a",@progbits
	.p2align	6, 0x0
	.amdhsa_kernel _ZN7rocprim17ROCPRIM_400000_NS6detail17trampoline_kernelINS0_14default_configENS1_22reduce_config_selectorIN6thrust23THRUST_200600_302600_NS5tupleIblNS6_9null_typeES8_S8_S8_S8_S8_S8_S8_EEEEZNS1_11reduce_implILb1ES3_NS6_12zip_iteratorINS7_INS6_11hip_rocprim26transform_input_iterator_tIbNSD_35transform_pair_of_input_iterators_tIbNS6_6detail15normal_iteratorINS6_10device_ptrIKtEEEESL_NS6_8equal_toItEEEENSG_9not_fun_tINSD_8identityEEEEENSD_19counting_iterator_tIlEES8_S8_S8_S8_S8_S8_S8_S8_EEEEPS9_S9_NSD_9__find_if7functorIS9_EEEE10hipError_tPvRmT1_T2_T3_mT4_P12ihipStream_tbEUlT_E1_NS1_11comp_targetILNS1_3genE9ELNS1_11target_archE1100ELNS1_3gpuE3ELNS1_3repE0EEENS1_30default_config_static_selectorELNS0_4arch9wavefront6targetE0EEEvS14_
		.amdhsa_group_segment_fixed_size 0
		.amdhsa_private_segment_fixed_size 0
		.amdhsa_kernarg_size 88
		.amdhsa_user_sgpr_count 6
		.amdhsa_user_sgpr_private_segment_buffer 1
		.amdhsa_user_sgpr_dispatch_ptr 0
		.amdhsa_user_sgpr_queue_ptr 0
		.amdhsa_user_sgpr_kernarg_segment_ptr 1
		.amdhsa_user_sgpr_dispatch_id 0
		.amdhsa_user_sgpr_flat_scratch_init 0
		.amdhsa_user_sgpr_private_segment_size 0
		.amdhsa_wavefront_size32 1
		.amdhsa_uses_dynamic_stack 0
		.amdhsa_system_sgpr_private_segment_wavefront_offset 0
		.amdhsa_system_sgpr_workgroup_id_x 1
		.amdhsa_system_sgpr_workgroup_id_y 0
		.amdhsa_system_sgpr_workgroup_id_z 0
		.amdhsa_system_sgpr_workgroup_info 0
		.amdhsa_system_vgpr_workitem_id 0
		.amdhsa_next_free_vgpr 1
		.amdhsa_next_free_sgpr 1
		.amdhsa_reserve_vcc 0
		.amdhsa_reserve_flat_scratch 0
		.amdhsa_float_round_mode_32 0
		.amdhsa_float_round_mode_16_64 0
		.amdhsa_float_denorm_mode_32 3
		.amdhsa_float_denorm_mode_16_64 3
		.amdhsa_dx10_clamp 1
		.amdhsa_ieee_mode 1
		.amdhsa_fp16_overflow 0
		.amdhsa_workgroup_processor_mode 1
		.amdhsa_memory_ordered 1
		.amdhsa_forward_progress 1
		.amdhsa_shared_vgpr_count 0
		.amdhsa_exception_fp_ieee_invalid_op 0
		.amdhsa_exception_fp_denorm_src 0
		.amdhsa_exception_fp_ieee_div_zero 0
		.amdhsa_exception_fp_ieee_overflow 0
		.amdhsa_exception_fp_ieee_underflow 0
		.amdhsa_exception_fp_ieee_inexact 0
		.amdhsa_exception_int_div_zero 0
	.end_amdhsa_kernel
	.section	.text._ZN7rocprim17ROCPRIM_400000_NS6detail17trampoline_kernelINS0_14default_configENS1_22reduce_config_selectorIN6thrust23THRUST_200600_302600_NS5tupleIblNS6_9null_typeES8_S8_S8_S8_S8_S8_S8_EEEEZNS1_11reduce_implILb1ES3_NS6_12zip_iteratorINS7_INS6_11hip_rocprim26transform_input_iterator_tIbNSD_35transform_pair_of_input_iterators_tIbNS6_6detail15normal_iteratorINS6_10device_ptrIKtEEEESL_NS6_8equal_toItEEEENSG_9not_fun_tINSD_8identityEEEEENSD_19counting_iterator_tIlEES8_S8_S8_S8_S8_S8_S8_S8_EEEEPS9_S9_NSD_9__find_if7functorIS9_EEEE10hipError_tPvRmT1_T2_T3_mT4_P12ihipStream_tbEUlT_E1_NS1_11comp_targetILNS1_3genE9ELNS1_11target_archE1100ELNS1_3gpuE3ELNS1_3repE0EEENS1_30default_config_static_selectorELNS0_4arch9wavefront6targetE0EEEvS14_,"axG",@progbits,_ZN7rocprim17ROCPRIM_400000_NS6detail17trampoline_kernelINS0_14default_configENS1_22reduce_config_selectorIN6thrust23THRUST_200600_302600_NS5tupleIblNS6_9null_typeES8_S8_S8_S8_S8_S8_S8_EEEEZNS1_11reduce_implILb1ES3_NS6_12zip_iteratorINS7_INS6_11hip_rocprim26transform_input_iterator_tIbNSD_35transform_pair_of_input_iterators_tIbNS6_6detail15normal_iteratorINS6_10device_ptrIKtEEEESL_NS6_8equal_toItEEEENSG_9not_fun_tINSD_8identityEEEEENSD_19counting_iterator_tIlEES8_S8_S8_S8_S8_S8_S8_S8_EEEEPS9_S9_NSD_9__find_if7functorIS9_EEEE10hipError_tPvRmT1_T2_T3_mT4_P12ihipStream_tbEUlT_E1_NS1_11comp_targetILNS1_3genE9ELNS1_11target_archE1100ELNS1_3gpuE3ELNS1_3repE0EEENS1_30default_config_static_selectorELNS0_4arch9wavefront6targetE0EEEvS14_,comdat
.Lfunc_end315:
	.size	_ZN7rocprim17ROCPRIM_400000_NS6detail17trampoline_kernelINS0_14default_configENS1_22reduce_config_selectorIN6thrust23THRUST_200600_302600_NS5tupleIblNS6_9null_typeES8_S8_S8_S8_S8_S8_S8_EEEEZNS1_11reduce_implILb1ES3_NS6_12zip_iteratorINS7_INS6_11hip_rocprim26transform_input_iterator_tIbNSD_35transform_pair_of_input_iterators_tIbNS6_6detail15normal_iteratorINS6_10device_ptrIKtEEEESL_NS6_8equal_toItEEEENSG_9not_fun_tINSD_8identityEEEEENSD_19counting_iterator_tIlEES8_S8_S8_S8_S8_S8_S8_S8_EEEEPS9_S9_NSD_9__find_if7functorIS9_EEEE10hipError_tPvRmT1_T2_T3_mT4_P12ihipStream_tbEUlT_E1_NS1_11comp_targetILNS1_3genE9ELNS1_11target_archE1100ELNS1_3gpuE3ELNS1_3repE0EEENS1_30default_config_static_selectorELNS0_4arch9wavefront6targetE0EEEvS14_, .Lfunc_end315-_ZN7rocprim17ROCPRIM_400000_NS6detail17trampoline_kernelINS0_14default_configENS1_22reduce_config_selectorIN6thrust23THRUST_200600_302600_NS5tupleIblNS6_9null_typeES8_S8_S8_S8_S8_S8_S8_EEEEZNS1_11reduce_implILb1ES3_NS6_12zip_iteratorINS7_INS6_11hip_rocprim26transform_input_iterator_tIbNSD_35transform_pair_of_input_iterators_tIbNS6_6detail15normal_iteratorINS6_10device_ptrIKtEEEESL_NS6_8equal_toItEEEENSG_9not_fun_tINSD_8identityEEEEENSD_19counting_iterator_tIlEES8_S8_S8_S8_S8_S8_S8_S8_EEEEPS9_S9_NSD_9__find_if7functorIS9_EEEE10hipError_tPvRmT1_T2_T3_mT4_P12ihipStream_tbEUlT_E1_NS1_11comp_targetILNS1_3genE9ELNS1_11target_archE1100ELNS1_3gpuE3ELNS1_3repE0EEENS1_30default_config_static_selectorELNS0_4arch9wavefront6targetE0EEEvS14_
                                        ; -- End function
	.set _ZN7rocprim17ROCPRIM_400000_NS6detail17trampoline_kernelINS0_14default_configENS1_22reduce_config_selectorIN6thrust23THRUST_200600_302600_NS5tupleIblNS6_9null_typeES8_S8_S8_S8_S8_S8_S8_EEEEZNS1_11reduce_implILb1ES3_NS6_12zip_iteratorINS7_INS6_11hip_rocprim26transform_input_iterator_tIbNSD_35transform_pair_of_input_iterators_tIbNS6_6detail15normal_iteratorINS6_10device_ptrIKtEEEESL_NS6_8equal_toItEEEENSG_9not_fun_tINSD_8identityEEEEENSD_19counting_iterator_tIlEES8_S8_S8_S8_S8_S8_S8_S8_EEEEPS9_S9_NSD_9__find_if7functorIS9_EEEE10hipError_tPvRmT1_T2_T3_mT4_P12ihipStream_tbEUlT_E1_NS1_11comp_targetILNS1_3genE9ELNS1_11target_archE1100ELNS1_3gpuE3ELNS1_3repE0EEENS1_30default_config_static_selectorELNS0_4arch9wavefront6targetE0EEEvS14_.num_vgpr, 0
	.set _ZN7rocprim17ROCPRIM_400000_NS6detail17trampoline_kernelINS0_14default_configENS1_22reduce_config_selectorIN6thrust23THRUST_200600_302600_NS5tupleIblNS6_9null_typeES8_S8_S8_S8_S8_S8_S8_EEEEZNS1_11reduce_implILb1ES3_NS6_12zip_iteratorINS7_INS6_11hip_rocprim26transform_input_iterator_tIbNSD_35transform_pair_of_input_iterators_tIbNS6_6detail15normal_iteratorINS6_10device_ptrIKtEEEESL_NS6_8equal_toItEEEENSG_9not_fun_tINSD_8identityEEEEENSD_19counting_iterator_tIlEES8_S8_S8_S8_S8_S8_S8_S8_EEEEPS9_S9_NSD_9__find_if7functorIS9_EEEE10hipError_tPvRmT1_T2_T3_mT4_P12ihipStream_tbEUlT_E1_NS1_11comp_targetILNS1_3genE9ELNS1_11target_archE1100ELNS1_3gpuE3ELNS1_3repE0EEENS1_30default_config_static_selectorELNS0_4arch9wavefront6targetE0EEEvS14_.num_agpr, 0
	.set _ZN7rocprim17ROCPRIM_400000_NS6detail17trampoline_kernelINS0_14default_configENS1_22reduce_config_selectorIN6thrust23THRUST_200600_302600_NS5tupleIblNS6_9null_typeES8_S8_S8_S8_S8_S8_S8_EEEEZNS1_11reduce_implILb1ES3_NS6_12zip_iteratorINS7_INS6_11hip_rocprim26transform_input_iterator_tIbNSD_35transform_pair_of_input_iterators_tIbNS6_6detail15normal_iteratorINS6_10device_ptrIKtEEEESL_NS6_8equal_toItEEEENSG_9not_fun_tINSD_8identityEEEEENSD_19counting_iterator_tIlEES8_S8_S8_S8_S8_S8_S8_S8_EEEEPS9_S9_NSD_9__find_if7functorIS9_EEEE10hipError_tPvRmT1_T2_T3_mT4_P12ihipStream_tbEUlT_E1_NS1_11comp_targetILNS1_3genE9ELNS1_11target_archE1100ELNS1_3gpuE3ELNS1_3repE0EEENS1_30default_config_static_selectorELNS0_4arch9wavefront6targetE0EEEvS14_.numbered_sgpr, 0
	.set _ZN7rocprim17ROCPRIM_400000_NS6detail17trampoline_kernelINS0_14default_configENS1_22reduce_config_selectorIN6thrust23THRUST_200600_302600_NS5tupleIblNS6_9null_typeES8_S8_S8_S8_S8_S8_S8_EEEEZNS1_11reduce_implILb1ES3_NS6_12zip_iteratorINS7_INS6_11hip_rocprim26transform_input_iterator_tIbNSD_35transform_pair_of_input_iterators_tIbNS6_6detail15normal_iteratorINS6_10device_ptrIKtEEEESL_NS6_8equal_toItEEEENSG_9not_fun_tINSD_8identityEEEEENSD_19counting_iterator_tIlEES8_S8_S8_S8_S8_S8_S8_S8_EEEEPS9_S9_NSD_9__find_if7functorIS9_EEEE10hipError_tPvRmT1_T2_T3_mT4_P12ihipStream_tbEUlT_E1_NS1_11comp_targetILNS1_3genE9ELNS1_11target_archE1100ELNS1_3gpuE3ELNS1_3repE0EEENS1_30default_config_static_selectorELNS0_4arch9wavefront6targetE0EEEvS14_.num_named_barrier, 0
	.set _ZN7rocprim17ROCPRIM_400000_NS6detail17trampoline_kernelINS0_14default_configENS1_22reduce_config_selectorIN6thrust23THRUST_200600_302600_NS5tupleIblNS6_9null_typeES8_S8_S8_S8_S8_S8_S8_EEEEZNS1_11reduce_implILb1ES3_NS6_12zip_iteratorINS7_INS6_11hip_rocprim26transform_input_iterator_tIbNSD_35transform_pair_of_input_iterators_tIbNS6_6detail15normal_iteratorINS6_10device_ptrIKtEEEESL_NS6_8equal_toItEEEENSG_9not_fun_tINSD_8identityEEEEENSD_19counting_iterator_tIlEES8_S8_S8_S8_S8_S8_S8_S8_EEEEPS9_S9_NSD_9__find_if7functorIS9_EEEE10hipError_tPvRmT1_T2_T3_mT4_P12ihipStream_tbEUlT_E1_NS1_11comp_targetILNS1_3genE9ELNS1_11target_archE1100ELNS1_3gpuE3ELNS1_3repE0EEENS1_30default_config_static_selectorELNS0_4arch9wavefront6targetE0EEEvS14_.private_seg_size, 0
	.set _ZN7rocprim17ROCPRIM_400000_NS6detail17trampoline_kernelINS0_14default_configENS1_22reduce_config_selectorIN6thrust23THRUST_200600_302600_NS5tupleIblNS6_9null_typeES8_S8_S8_S8_S8_S8_S8_EEEEZNS1_11reduce_implILb1ES3_NS6_12zip_iteratorINS7_INS6_11hip_rocprim26transform_input_iterator_tIbNSD_35transform_pair_of_input_iterators_tIbNS6_6detail15normal_iteratorINS6_10device_ptrIKtEEEESL_NS6_8equal_toItEEEENSG_9not_fun_tINSD_8identityEEEEENSD_19counting_iterator_tIlEES8_S8_S8_S8_S8_S8_S8_S8_EEEEPS9_S9_NSD_9__find_if7functorIS9_EEEE10hipError_tPvRmT1_T2_T3_mT4_P12ihipStream_tbEUlT_E1_NS1_11comp_targetILNS1_3genE9ELNS1_11target_archE1100ELNS1_3gpuE3ELNS1_3repE0EEENS1_30default_config_static_selectorELNS0_4arch9wavefront6targetE0EEEvS14_.uses_vcc, 0
	.set _ZN7rocprim17ROCPRIM_400000_NS6detail17trampoline_kernelINS0_14default_configENS1_22reduce_config_selectorIN6thrust23THRUST_200600_302600_NS5tupleIblNS6_9null_typeES8_S8_S8_S8_S8_S8_S8_EEEEZNS1_11reduce_implILb1ES3_NS6_12zip_iteratorINS7_INS6_11hip_rocprim26transform_input_iterator_tIbNSD_35transform_pair_of_input_iterators_tIbNS6_6detail15normal_iteratorINS6_10device_ptrIKtEEEESL_NS6_8equal_toItEEEENSG_9not_fun_tINSD_8identityEEEEENSD_19counting_iterator_tIlEES8_S8_S8_S8_S8_S8_S8_S8_EEEEPS9_S9_NSD_9__find_if7functorIS9_EEEE10hipError_tPvRmT1_T2_T3_mT4_P12ihipStream_tbEUlT_E1_NS1_11comp_targetILNS1_3genE9ELNS1_11target_archE1100ELNS1_3gpuE3ELNS1_3repE0EEENS1_30default_config_static_selectorELNS0_4arch9wavefront6targetE0EEEvS14_.uses_flat_scratch, 0
	.set _ZN7rocprim17ROCPRIM_400000_NS6detail17trampoline_kernelINS0_14default_configENS1_22reduce_config_selectorIN6thrust23THRUST_200600_302600_NS5tupleIblNS6_9null_typeES8_S8_S8_S8_S8_S8_S8_EEEEZNS1_11reduce_implILb1ES3_NS6_12zip_iteratorINS7_INS6_11hip_rocprim26transform_input_iterator_tIbNSD_35transform_pair_of_input_iterators_tIbNS6_6detail15normal_iteratorINS6_10device_ptrIKtEEEESL_NS6_8equal_toItEEEENSG_9not_fun_tINSD_8identityEEEEENSD_19counting_iterator_tIlEES8_S8_S8_S8_S8_S8_S8_S8_EEEEPS9_S9_NSD_9__find_if7functorIS9_EEEE10hipError_tPvRmT1_T2_T3_mT4_P12ihipStream_tbEUlT_E1_NS1_11comp_targetILNS1_3genE9ELNS1_11target_archE1100ELNS1_3gpuE3ELNS1_3repE0EEENS1_30default_config_static_selectorELNS0_4arch9wavefront6targetE0EEEvS14_.has_dyn_sized_stack, 0
	.set _ZN7rocprim17ROCPRIM_400000_NS6detail17trampoline_kernelINS0_14default_configENS1_22reduce_config_selectorIN6thrust23THRUST_200600_302600_NS5tupleIblNS6_9null_typeES8_S8_S8_S8_S8_S8_S8_EEEEZNS1_11reduce_implILb1ES3_NS6_12zip_iteratorINS7_INS6_11hip_rocprim26transform_input_iterator_tIbNSD_35transform_pair_of_input_iterators_tIbNS6_6detail15normal_iteratorINS6_10device_ptrIKtEEEESL_NS6_8equal_toItEEEENSG_9not_fun_tINSD_8identityEEEEENSD_19counting_iterator_tIlEES8_S8_S8_S8_S8_S8_S8_S8_EEEEPS9_S9_NSD_9__find_if7functorIS9_EEEE10hipError_tPvRmT1_T2_T3_mT4_P12ihipStream_tbEUlT_E1_NS1_11comp_targetILNS1_3genE9ELNS1_11target_archE1100ELNS1_3gpuE3ELNS1_3repE0EEENS1_30default_config_static_selectorELNS0_4arch9wavefront6targetE0EEEvS14_.has_recursion, 0
	.set _ZN7rocprim17ROCPRIM_400000_NS6detail17trampoline_kernelINS0_14default_configENS1_22reduce_config_selectorIN6thrust23THRUST_200600_302600_NS5tupleIblNS6_9null_typeES8_S8_S8_S8_S8_S8_S8_EEEEZNS1_11reduce_implILb1ES3_NS6_12zip_iteratorINS7_INS6_11hip_rocprim26transform_input_iterator_tIbNSD_35transform_pair_of_input_iterators_tIbNS6_6detail15normal_iteratorINS6_10device_ptrIKtEEEESL_NS6_8equal_toItEEEENSG_9not_fun_tINSD_8identityEEEEENSD_19counting_iterator_tIlEES8_S8_S8_S8_S8_S8_S8_S8_EEEEPS9_S9_NSD_9__find_if7functorIS9_EEEE10hipError_tPvRmT1_T2_T3_mT4_P12ihipStream_tbEUlT_E1_NS1_11comp_targetILNS1_3genE9ELNS1_11target_archE1100ELNS1_3gpuE3ELNS1_3repE0EEENS1_30default_config_static_selectorELNS0_4arch9wavefront6targetE0EEEvS14_.has_indirect_call, 0
	.section	.AMDGPU.csdata,"",@progbits
; Kernel info:
; codeLenInByte = 0
; TotalNumSgprs: 0
; NumVgprs: 0
; ScratchSize: 0
; MemoryBound: 0
; FloatMode: 240
; IeeeMode: 1
; LDSByteSize: 0 bytes/workgroup (compile time only)
; SGPRBlocks: 0
; VGPRBlocks: 0
; NumSGPRsForWavesPerEU: 1
; NumVGPRsForWavesPerEU: 1
; Occupancy: 16
; WaveLimiterHint : 0
; COMPUTE_PGM_RSRC2:SCRATCH_EN: 0
; COMPUTE_PGM_RSRC2:USER_SGPR: 6
; COMPUTE_PGM_RSRC2:TRAP_HANDLER: 0
; COMPUTE_PGM_RSRC2:TGID_X_EN: 1
; COMPUTE_PGM_RSRC2:TGID_Y_EN: 0
; COMPUTE_PGM_RSRC2:TGID_Z_EN: 0
; COMPUTE_PGM_RSRC2:TIDIG_COMP_CNT: 0
	.section	.text._ZN7rocprim17ROCPRIM_400000_NS6detail17trampoline_kernelINS0_14default_configENS1_22reduce_config_selectorIN6thrust23THRUST_200600_302600_NS5tupleIblNS6_9null_typeES8_S8_S8_S8_S8_S8_S8_EEEEZNS1_11reduce_implILb1ES3_NS6_12zip_iteratorINS7_INS6_11hip_rocprim26transform_input_iterator_tIbNSD_35transform_pair_of_input_iterators_tIbNS6_6detail15normal_iteratorINS6_10device_ptrIKtEEEESL_NS6_8equal_toItEEEENSG_9not_fun_tINSD_8identityEEEEENSD_19counting_iterator_tIlEES8_S8_S8_S8_S8_S8_S8_S8_EEEEPS9_S9_NSD_9__find_if7functorIS9_EEEE10hipError_tPvRmT1_T2_T3_mT4_P12ihipStream_tbEUlT_E1_NS1_11comp_targetILNS1_3genE8ELNS1_11target_archE1030ELNS1_3gpuE2ELNS1_3repE0EEENS1_30default_config_static_selectorELNS0_4arch9wavefront6targetE0EEEvS14_,"axG",@progbits,_ZN7rocprim17ROCPRIM_400000_NS6detail17trampoline_kernelINS0_14default_configENS1_22reduce_config_selectorIN6thrust23THRUST_200600_302600_NS5tupleIblNS6_9null_typeES8_S8_S8_S8_S8_S8_S8_EEEEZNS1_11reduce_implILb1ES3_NS6_12zip_iteratorINS7_INS6_11hip_rocprim26transform_input_iterator_tIbNSD_35transform_pair_of_input_iterators_tIbNS6_6detail15normal_iteratorINS6_10device_ptrIKtEEEESL_NS6_8equal_toItEEEENSG_9not_fun_tINSD_8identityEEEEENSD_19counting_iterator_tIlEES8_S8_S8_S8_S8_S8_S8_S8_EEEEPS9_S9_NSD_9__find_if7functorIS9_EEEE10hipError_tPvRmT1_T2_T3_mT4_P12ihipStream_tbEUlT_E1_NS1_11comp_targetILNS1_3genE8ELNS1_11target_archE1030ELNS1_3gpuE2ELNS1_3repE0EEENS1_30default_config_static_selectorELNS0_4arch9wavefront6targetE0EEEvS14_,comdat
	.protected	_ZN7rocprim17ROCPRIM_400000_NS6detail17trampoline_kernelINS0_14default_configENS1_22reduce_config_selectorIN6thrust23THRUST_200600_302600_NS5tupleIblNS6_9null_typeES8_S8_S8_S8_S8_S8_S8_EEEEZNS1_11reduce_implILb1ES3_NS6_12zip_iteratorINS7_INS6_11hip_rocprim26transform_input_iterator_tIbNSD_35transform_pair_of_input_iterators_tIbNS6_6detail15normal_iteratorINS6_10device_ptrIKtEEEESL_NS6_8equal_toItEEEENSG_9not_fun_tINSD_8identityEEEEENSD_19counting_iterator_tIlEES8_S8_S8_S8_S8_S8_S8_S8_EEEEPS9_S9_NSD_9__find_if7functorIS9_EEEE10hipError_tPvRmT1_T2_T3_mT4_P12ihipStream_tbEUlT_E1_NS1_11comp_targetILNS1_3genE8ELNS1_11target_archE1030ELNS1_3gpuE2ELNS1_3repE0EEENS1_30default_config_static_selectorELNS0_4arch9wavefront6targetE0EEEvS14_ ; -- Begin function _ZN7rocprim17ROCPRIM_400000_NS6detail17trampoline_kernelINS0_14default_configENS1_22reduce_config_selectorIN6thrust23THRUST_200600_302600_NS5tupleIblNS6_9null_typeES8_S8_S8_S8_S8_S8_S8_EEEEZNS1_11reduce_implILb1ES3_NS6_12zip_iteratorINS7_INS6_11hip_rocprim26transform_input_iterator_tIbNSD_35transform_pair_of_input_iterators_tIbNS6_6detail15normal_iteratorINS6_10device_ptrIKtEEEESL_NS6_8equal_toItEEEENSG_9not_fun_tINSD_8identityEEEEENSD_19counting_iterator_tIlEES8_S8_S8_S8_S8_S8_S8_S8_EEEEPS9_S9_NSD_9__find_if7functorIS9_EEEE10hipError_tPvRmT1_T2_T3_mT4_P12ihipStream_tbEUlT_E1_NS1_11comp_targetILNS1_3genE8ELNS1_11target_archE1030ELNS1_3gpuE2ELNS1_3repE0EEENS1_30default_config_static_selectorELNS0_4arch9wavefront6targetE0EEEvS14_
	.globl	_ZN7rocprim17ROCPRIM_400000_NS6detail17trampoline_kernelINS0_14default_configENS1_22reduce_config_selectorIN6thrust23THRUST_200600_302600_NS5tupleIblNS6_9null_typeES8_S8_S8_S8_S8_S8_S8_EEEEZNS1_11reduce_implILb1ES3_NS6_12zip_iteratorINS7_INS6_11hip_rocprim26transform_input_iterator_tIbNSD_35transform_pair_of_input_iterators_tIbNS6_6detail15normal_iteratorINS6_10device_ptrIKtEEEESL_NS6_8equal_toItEEEENSG_9not_fun_tINSD_8identityEEEEENSD_19counting_iterator_tIlEES8_S8_S8_S8_S8_S8_S8_S8_EEEEPS9_S9_NSD_9__find_if7functorIS9_EEEE10hipError_tPvRmT1_T2_T3_mT4_P12ihipStream_tbEUlT_E1_NS1_11comp_targetILNS1_3genE8ELNS1_11target_archE1030ELNS1_3gpuE2ELNS1_3repE0EEENS1_30default_config_static_selectorELNS0_4arch9wavefront6targetE0EEEvS14_
	.p2align	8
	.type	_ZN7rocprim17ROCPRIM_400000_NS6detail17trampoline_kernelINS0_14default_configENS1_22reduce_config_selectorIN6thrust23THRUST_200600_302600_NS5tupleIblNS6_9null_typeES8_S8_S8_S8_S8_S8_S8_EEEEZNS1_11reduce_implILb1ES3_NS6_12zip_iteratorINS7_INS6_11hip_rocprim26transform_input_iterator_tIbNSD_35transform_pair_of_input_iterators_tIbNS6_6detail15normal_iteratorINS6_10device_ptrIKtEEEESL_NS6_8equal_toItEEEENSG_9not_fun_tINSD_8identityEEEEENSD_19counting_iterator_tIlEES8_S8_S8_S8_S8_S8_S8_S8_EEEEPS9_S9_NSD_9__find_if7functorIS9_EEEE10hipError_tPvRmT1_T2_T3_mT4_P12ihipStream_tbEUlT_E1_NS1_11comp_targetILNS1_3genE8ELNS1_11target_archE1030ELNS1_3gpuE2ELNS1_3repE0EEENS1_30default_config_static_selectorELNS0_4arch9wavefront6targetE0EEEvS14_,@function
_ZN7rocprim17ROCPRIM_400000_NS6detail17trampoline_kernelINS0_14default_configENS1_22reduce_config_selectorIN6thrust23THRUST_200600_302600_NS5tupleIblNS6_9null_typeES8_S8_S8_S8_S8_S8_S8_EEEEZNS1_11reduce_implILb1ES3_NS6_12zip_iteratorINS7_INS6_11hip_rocprim26transform_input_iterator_tIbNSD_35transform_pair_of_input_iterators_tIbNS6_6detail15normal_iteratorINS6_10device_ptrIKtEEEESL_NS6_8equal_toItEEEENSG_9not_fun_tINSD_8identityEEEEENSD_19counting_iterator_tIlEES8_S8_S8_S8_S8_S8_S8_S8_EEEEPS9_S9_NSD_9__find_if7functorIS9_EEEE10hipError_tPvRmT1_T2_T3_mT4_P12ihipStream_tbEUlT_E1_NS1_11comp_targetILNS1_3genE8ELNS1_11target_archE1030ELNS1_3gpuE2ELNS1_3repE0EEENS1_30default_config_static_selectorELNS0_4arch9wavefront6targetE0EEEvS14_: ; @_ZN7rocprim17ROCPRIM_400000_NS6detail17trampoline_kernelINS0_14default_configENS1_22reduce_config_selectorIN6thrust23THRUST_200600_302600_NS5tupleIblNS6_9null_typeES8_S8_S8_S8_S8_S8_S8_EEEEZNS1_11reduce_implILb1ES3_NS6_12zip_iteratorINS7_INS6_11hip_rocprim26transform_input_iterator_tIbNSD_35transform_pair_of_input_iterators_tIbNS6_6detail15normal_iteratorINS6_10device_ptrIKtEEEESL_NS6_8equal_toItEEEENSG_9not_fun_tINSD_8identityEEEEENSD_19counting_iterator_tIlEES8_S8_S8_S8_S8_S8_S8_S8_EEEEPS9_S9_NSD_9__find_if7functorIS9_EEEE10hipError_tPvRmT1_T2_T3_mT4_P12ihipStream_tbEUlT_E1_NS1_11comp_targetILNS1_3genE8ELNS1_11target_archE1030ELNS1_3gpuE2ELNS1_3repE0EEENS1_30default_config_static_selectorELNS0_4arch9wavefront6targetE0EEEvS14_
; %bb.0:
	s_clause 0x4
	s_load_dword s25, s[4:5], 0x4
	s_load_dwordx4 s[16:19], s[4:5], 0x8
	s_load_dwordx4 s[12:15], s[4:5], 0x28
	s_load_dword s24, s[4:5], 0x40
	s_load_dwordx2 s[20:21], s[4:5], 0x48
	s_waitcnt lgkmcnt(0)
	s_cmp_lt_i32 s25, 4
	s_cbranch_scc1 .LBB316_21
; %bb.1:
	s_cmp_gt_i32 s25, 7
	s_cbranch_scc0 .LBB316_22
; %bb.2:
	s_cmp_eq_u32 s25, 8
	s_mov_b32 s26, 0
	s_cbranch_scc0 .LBB316_23
; %bb.3:
	s_mov_b32 s7, 0
	s_lshl_b32 s8, s6, 11
	s_mov_b32 s9, s7
	s_lshr_b64 s[2:3], s[14:15], 11
	s_lshl_b64 s[0:1], s[8:9], 1
	s_add_u32 s10, s16, s0
	s_addc_u32 s11, s17, s1
	s_add_u32 s22, s18, s0
	s_addc_u32 s23, s19, s1
	;; [unrolled: 2-line block ×3, first 2 shown]
	s_cmp_lg_u64 s[2:3], s[6:7]
	s_cbranch_scc0 .LBB316_44
; %bb.4:
	v_lshlrev_b32_e32 v1, 1, v0
	s_clause 0x7
	global_load_ushort v6, v1, s[10:11]
	global_load_ushort v7, v1, s[22:23]
	global_load_ushort v8, v1, s[10:11] offset:512
	global_load_ushort v9, v1, s[22:23] offset:512
	;; [unrolled: 1-line block ×6, first 2 shown]
	v_add_co_u32 v3, s0, s10, v1
	v_add_co_ci_u32_e64 v4, null, s11, 0, s0
	v_add_co_u32 v2, s0, s22, v1
	v_add_co_ci_u32_e64 v5, null, s23, 0, s0
	v_add_co_u32 v1, vcc_lo, 0x800, v2
	v_add_co_ci_u32_e64 v2, null, 0, v5, vcc_lo
	v_add_co_u32 v3, vcc_lo, 0x800, v3
	v_add_co_ci_u32_e64 v4, null, 0, v4, vcc_lo
	global_load_ushort v5, v[1:2], off
	s_clause 0x1
	global_load_ushort v14, v[3:4], off
	global_load_ushort v15, v[3:4], off offset:512
	s_clause 0x1
	global_load_ushort v16, v[1:2], off offset:512
	global_load_ushort v17, v[1:2], off offset:1024
	s_clause 0x1
	global_load_ushort v18, v[3:4], off offset:1024
	global_load_ushort v3, v[3:4], off offset:1536
	;; [unrolled: 1-line block ×3, first 2 shown]
	v_mov_b32_e32 v2, 0x100
	v_mov_b32_e32 v4, 0x300
	s_waitcnt vmcnt(14)
	v_cmp_ne_u16_e64 s0, v6, v7
	v_mov_b32_e32 v6, 0x500
	s_waitcnt vmcnt(12)
	v_cmp_ne_u16_e32 vcc_lo, v8, v9
	s_waitcnt vmcnt(10)
	v_cmp_ne_u16_e64 s1, v10, v11
	s_waitcnt vmcnt(8)
	v_cmp_ne_u16_e64 s2, v13, v12
	v_cndmask_b32_e32 v2, 0x200, v2, vcc_lo
	v_cndmask_b32_e64 v4, 0x400, v4, s2
	v_cndmask_b32_e64 v2, v2, 0, s0
	s_or_b32 s0, s0, vcc_lo
	s_or_b32 s0, s0, s1
	s_or_b32 s2, s0, s2
	v_cndmask_b32_e64 v2, v4, v2, s0
	s_waitcnt vmcnt(6)
	v_cmp_ne_u16_e32 vcc_lo, v14, v5
	s_waitcnt vmcnt(4)
	v_cmp_ne_u16_e64 s1, v15, v16
	s_waitcnt vmcnt(2)
	v_cmp_ne_u16_e64 s0, v18, v17
	s_or_b32 vcc_lo, s2, vcc_lo
	v_cndmask_b32_e64 v4, 0x600, v6, s1
	s_or_b32 s1, vcc_lo, s1
	v_cndmask_b32_e32 v2, v4, v2, vcc_lo
	s_or_b32 vcc_lo, s1, s0
	v_add_co_u32 v4, s0, s28, v0
	v_add_co_ci_u32_e64 v5, null, s29, 0, s0
	v_cndmask_b32_e32 v2, 0x700, v2, vcc_lo
	s_waitcnt vmcnt(0)
	v_cmp_ne_u16_e64 s0, v3, v1
	v_add_co_u32 v1, s1, v4, v2
	v_add_co_ci_u32_e64 v2, null, 0, v5, s1
	s_or_b32 s0, vcc_lo, s0
	v_mov_b32_dpp v3, v1 quad_perm:[1,0,3,2] row_mask:0xf bank_mask:0xf
	v_cndmask_b32_e64 v5, 0, 1, s0
	v_mov_b32_dpp v4, v2 quad_perm:[1,0,3,2] row_mask:0xf bank_mask:0xf
	v_mov_b32_dpp v6, v5 quad_perm:[1,0,3,2] row_mask:0xf bank_mask:0xf
	v_cmp_lt_i64_e32 vcc_lo, v[1:2], v[3:4]
	v_and_b32_e32 v6, 1, v6
	s_and_b32 vcc_lo, s0, vcc_lo
	v_cndmask_b32_e32 v3, v3, v1, vcc_lo
	v_cndmask_b32_e32 v4, v4, v2, vcc_lo
	v_cmp_eq_u32_e32 vcc_lo, 1, v6
	v_cndmask_b32_e32 v2, v2, v4, vcc_lo
	v_cndmask_b32_e32 v1, v1, v3, vcc_lo
	v_cndmask_b32_e64 v5, v5, 1, vcc_lo
	v_mov_b32_dpp v4, v2 quad_perm:[2,3,0,1] row_mask:0xf bank_mask:0xf
	v_mov_b32_dpp v3, v1 quad_perm:[2,3,0,1] row_mask:0xf bank_mask:0xf
	v_and_b32_e32 v7, 1, v5
	v_mov_b32_dpp v6, v5 quad_perm:[2,3,0,1] row_mask:0xf bank_mask:0xf
	v_cmp_lt_i64_e32 vcc_lo, v[1:2], v[3:4]
	v_cmp_eq_u32_e64 s0, 1, v7
	v_and_b32_e32 v6, 1, v6
	s_and_b32 vcc_lo, s0, vcc_lo
	v_cmp_eq_u32_e64 s1, 1, v6
	v_cndmask_b32_e32 v3, v3, v1, vcc_lo
	v_cndmask_b32_e32 v4, v4, v2, vcc_lo
	v_cndmask_b32_e64 v5, v5, 1, s1
	v_cndmask_b32_e64 v1, v1, v3, s1
	;; [unrolled: 1-line block ×3, first 2 shown]
	v_and_b32_e32 v7, 1, v5
	v_mov_b32_dpp v3, v1 row_ror:4 row_mask:0xf bank_mask:0xf
	v_mov_b32_dpp v4, v2 row_ror:4 row_mask:0xf bank_mask:0xf
	;; [unrolled: 1-line block ×3, first 2 shown]
	v_cmp_eq_u32_e64 s0, 1, v7
	v_cmp_lt_i64_e32 vcc_lo, v[1:2], v[3:4]
	v_and_b32_e32 v6, 1, v6
	s_and_b32 vcc_lo, s0, vcc_lo
	v_cmp_eq_u32_e64 s1, 1, v6
	v_cndmask_b32_e32 v3, v3, v1, vcc_lo
	v_cndmask_b32_e32 v4, v4, v2, vcc_lo
	v_cndmask_b32_e64 v5, v5, 1, s1
	v_cndmask_b32_e64 v1, v1, v3, s1
	;; [unrolled: 1-line block ×3, first 2 shown]
	v_and_b32_e32 v7, 1, v5
	v_mov_b32_dpp v3, v1 row_ror:8 row_mask:0xf bank_mask:0xf
	v_mov_b32_dpp v4, v2 row_ror:8 row_mask:0xf bank_mask:0xf
	;; [unrolled: 1-line block ×3, first 2 shown]
	v_cmp_eq_u32_e64 s0, 1, v7
	v_cmp_lt_i64_e32 vcc_lo, v[1:2], v[3:4]
	v_and_b32_e32 v6, 1, v6
	s_and_b32 vcc_lo, s0, vcc_lo
	v_cmp_eq_u32_e64 s1, 1, v6
	v_cndmask_b32_e32 v3, v3, v1, vcc_lo
	v_cndmask_b32_e32 v4, v4, v2, vcc_lo
	v_cndmask_b32_e64 v5, v5, 1, s1
	v_cndmask_b32_e64 v1, v1, v3, s1
	;; [unrolled: 1-line block ×3, first 2 shown]
	ds_swizzle_b32 v6, v5 offset:swizzle(BROADCAST,32,15)
	ds_swizzle_b32 v3, v1 offset:swizzle(BROADCAST,32,15)
	;; [unrolled: 1-line block ×3, first 2 shown]
	v_and_b32_e32 v7, 1, v5
	v_cmp_eq_u32_e64 s0, 1, v7
	v_mbcnt_lo_u32_b32 v7, -1, 0
	s_waitcnt lgkmcnt(2)
	v_and_b32_e32 v6, 1, v6
	s_waitcnt lgkmcnt(0)
	v_cmp_lt_i64_e32 vcc_lo, v[1:2], v[3:4]
	v_cmp_eq_u32_e64 s1, 1, v6
	v_mov_b32_e32 v6, 0
	s_and_b32 vcc_lo, s0, vcc_lo
	s_mov_b32 s0, exec_lo
	v_cndmask_b32_e32 v3, v3, v1, vcc_lo
	v_cndmask_b32_e32 v4, v4, v2, vcc_lo
	v_cndmask_b32_e64 v5, v5, 1, s1
	v_cndmask_b32_e64 v1, v1, v3, s1
	;; [unrolled: 1-line block ×3, first 2 shown]
	ds_bpermute_b32 v17, v6, v5 offset:124
	ds_bpermute_b32 v1, v6, v1 offset:124
	;; [unrolled: 1-line block ×3, first 2 shown]
	v_cmpx_eq_u32_e32 0, v7
	s_cbranch_execz .LBB316_6
; %bb.5:
	v_lshrrev_b32_e32 v3, 1, v0
	v_and_b32_e32 v3, 0x70, v3
	s_waitcnt lgkmcnt(2)
	ds_write_b8 v3, v17 offset:384
	s_waitcnt lgkmcnt(1)
	ds_write_b64 v3, v[1:2] offset:392
.LBB316_6:
	s_or_b32 exec_lo, exec_lo, s0
	s_mov_b32 s0, exec_lo
	s_waitcnt lgkmcnt(0)
	s_barrier
	buffer_gl0_inv
	v_cmpx_gt_u32_e32 32, v0
	s_cbranch_execz .LBB316_20
; %bb.7:
	v_and_b32_e32 v8, 7, v7
	v_lshlrev_b32_e32 v1, 4, v8
	v_cmp_ne_u32_e32 vcc_lo, 7, v8
	ds_read_u8 v10, v1 offset:384
	ds_read_b64 v[3:4], v1 offset:392
	v_add_co_ci_u32_e64 v2, null, 0, v7, vcc_lo
	v_lshlrev_b32_e32 v2, 2, v2
	s_waitcnt lgkmcnt(1)
	v_and_b32_e32 v1, 0xff, v10
	s_waitcnt lgkmcnt(0)
	ds_bpermute_b32 v5, v2, v3
	ds_bpermute_b32 v6, v2, v4
	;; [unrolled: 1-line block ×3, first 2 shown]
	s_waitcnt lgkmcnt(0)
	v_and_b32_e32 v1, v10, v11
	v_and_b32_e32 v1, 1, v1
	v_cmp_eq_u32_e32 vcc_lo, 1, v1
                                        ; implicit-def: $vgpr1_vgpr2
	s_and_saveexec_b32 s1, vcc_lo
	s_xor_b32 s1, exec_lo, s1
; %bb.8:
	v_cmp_lt_i64_e32 vcc_lo, v[5:6], v[3:4]
                                        ; implicit-def: $vgpr10
                                        ; implicit-def: $vgpr11
	v_cndmask_b32_e32 v2, v4, v6, vcc_lo
	v_cndmask_b32_e32 v1, v3, v5, vcc_lo
                                        ; implicit-def: $vgpr5_vgpr6
                                        ; implicit-def: $vgpr3_vgpr4
; %bb.9:
	s_or_saveexec_b32 s1, s1
	v_mov_b32_e32 v9, 1
	s_xor_b32 exec_lo, exec_lo, s1
; %bb.10:
	v_and_b32_e32 v1, 1, v10
	v_and_b32_e32 v9, 0xff, v11
	v_cmp_eq_u32_e32 vcc_lo, 1, v1
	v_cndmask_b32_e32 v2, v6, v4, vcc_lo
	v_cndmask_b32_e32 v1, v5, v3, vcc_lo
	v_cndmask_b32_e64 v9, v9, 1, vcc_lo
; %bb.11:
	s_or_b32 exec_lo, exec_lo, s1
	v_cmp_gt_u32_e32 vcc_lo, 6, v8
	v_cndmask_b32_e64 v3, 0, 2, vcc_lo
	v_add_lshl_u32 v3, v3, v7, 2
	ds_bpermute_b32 v8, v3, v9
	ds_bpermute_b32 v5, v3, v1
	ds_bpermute_b32 v6, v3, v2
	s_waitcnt lgkmcnt(2)
	v_and_b32_e32 v3, v9, v8
	v_and_b32_e32 v3, 1, v3
	v_cmp_eq_u32_e32 vcc_lo, 1, v3
                                        ; implicit-def: $vgpr3_vgpr4
	s_and_saveexec_b32 s1, vcc_lo
	s_xor_b32 s1, exec_lo, s1
	s_cbranch_execz .LBB316_13
; %bb.12:
	s_waitcnt lgkmcnt(0)
	v_cmp_lt_i64_e32 vcc_lo, v[5:6], v[1:2]
                                        ; implicit-def: $vgpr9
                                        ; implicit-def: $vgpr8
	v_cndmask_b32_e32 v4, v2, v6, vcc_lo
	v_cndmask_b32_e32 v3, v1, v5, vcc_lo
                                        ; implicit-def: $vgpr5_vgpr6
                                        ; implicit-def: $vgpr1_vgpr2
.LBB316_13:
	s_or_saveexec_b32 s1, s1
	v_lshlrev_b32_e32 v10, 2, v7
	v_mov_b32_e32 v7, 1
	s_xor_b32 exec_lo, exec_lo, s1
	s_cbranch_execz .LBB316_15
; %bb.14:
	v_and_b32_e32 v3, 1, v9
	v_and_b32_e32 v7, 0xff, v8
	v_cmp_eq_u32_e32 vcc_lo, 1, v3
	s_waitcnt lgkmcnt(0)
	v_cndmask_b32_e32 v4, v6, v2, vcc_lo
	v_cndmask_b32_e32 v3, v5, v1, vcc_lo
	v_cndmask_b32_e64 v7, v7, 1, vcc_lo
.LBB316_15:
	s_or_b32 exec_lo, exec_lo, s1
	v_or_b32_e32 v1, 16, v10
	ds_bpermute_b32 v8, v1, v7
	s_waitcnt lgkmcnt(2)
	ds_bpermute_b32 v5, v1, v3
	s_waitcnt lgkmcnt(2)
	ds_bpermute_b32 v6, v1, v4
	s_waitcnt lgkmcnt(2)
	v_and_b32_e32 v1, v7, v8
	v_and_b32_e32 v1, 1, v1
	v_cmp_eq_u32_e32 vcc_lo, 1, v1
                                        ; implicit-def: $vgpr1_vgpr2
	s_and_saveexec_b32 s1, vcc_lo
	s_xor_b32 s1, exec_lo, s1
	s_cbranch_execz .LBB316_17
; %bb.16:
	s_waitcnt lgkmcnt(0)
	v_cmp_lt_i64_e32 vcc_lo, v[5:6], v[3:4]
                                        ; implicit-def: $vgpr7
                                        ; implicit-def: $vgpr8
	v_cndmask_b32_e32 v2, v4, v6, vcc_lo
	v_cndmask_b32_e32 v1, v3, v5, vcc_lo
                                        ; implicit-def: $vgpr5_vgpr6
                                        ; implicit-def: $vgpr3_vgpr4
.LBB316_17:
	s_or_saveexec_b32 s1, s1
	v_mov_b32_e32 v17, 1
	s_xor_b32 exec_lo, exec_lo, s1
	s_cbranch_execz .LBB316_19
; %bb.18:
	v_and_b32_e32 v1, 1, v7
	v_cmp_eq_u32_e32 vcc_lo, 1, v1
	s_waitcnt lgkmcnt(0)
	v_cndmask_b32_e32 v2, v6, v4, vcc_lo
	v_cndmask_b32_e32 v1, v5, v3, vcc_lo
	v_cndmask_b32_e64 v17, v8, 1, vcc_lo
.LBB316_19:
	s_or_b32 exec_lo, exec_lo, s1
.LBB316_20:
	s_or_b32 exec_lo, exec_lo, s0
	s_branch .LBB316_167
.LBB316_21:
	s_mov_b32 s22, 0
                                        ; implicit-def: $vgpr3_vgpr4
                                        ; implicit-def: $vgpr5
                                        ; implicit-def: $vgpr1_vgpr2
	s_cbranch_execnz .LBB316_247
	s_branch .LBB316_356
.LBB316_22:
	s_mov_b32 s26, -1
.LBB316_23:
	s_mov_b32 s22, 0
                                        ; implicit-def: $vgpr3_vgpr4
                                        ; implicit-def: $vgpr5
                                        ; implicit-def: $vgpr1_vgpr2
	s_and_b32 vcc_lo, exec_lo, s26
	s_cbranch_vccz .LBB316_172
.LBB316_24:
	s_cmp_eq_u32 s25, 4
	s_cbranch_scc0 .LBB316_43
; %bb.25:
	s_mov_b32 s7, 0
	s_lshl_b32 s10, s6, 10
	s_mov_b32 s11, s7
	s_lshr_b64 s[26:27], s[14:15], 10
	s_lshl_b64 s[0:1], s[10:11], 1
	s_add_u32 s2, s16, s0
	s_addc_u32 s3, s17, s1
	s_add_u32 s8, s18, s0
	s_addc_u32 s9, s19, s1
	;; [unrolled: 2-line block ×3, first 2 shown]
	s_cmp_lg_u64 s[26:27], s[6:7]
	s_cbranch_scc0 .LBB316_67
; %bb.26:
	v_lshlrev_b32_e32 v1, 1, v0
	v_mov_b32_e32 v9, 0x100
	global_load_ushort v2, v1, s[2:3] offset:512
	s_waitcnt lgkmcnt(1)
	global_load_ushort v3, v1, s[8:9] offset:512
	s_waitcnt lgkmcnt(0)
	s_clause 0x5
	global_load_ushort v4, v1, s[2:3]
	global_load_ushort v5, v1, s[8:9]
	global_load_ushort v6, v1, s[2:3] offset:1024
	global_load_ushort v7, v1, s[8:9] offset:1024
	global_load_ushort v8, v1, s[8:9] offset:1536
	global_load_ushort v1, v1, s[2:3] offset:1536
	s_waitcnt vmcnt(6)
	v_cmp_ne_u16_e32 vcc_lo, v2, v3
	s_waitcnt vmcnt(4)
	v_cmp_ne_u16_e64 s0, v4, v5
	s_waitcnt vmcnt(2)
	v_cmp_ne_u16_e64 s1, v6, v7
	v_cndmask_b32_e32 v2, 0x200, v9, vcc_lo
	v_cndmask_b32_e64 v2, v2, 0, s0
	s_or_b32 s0, s0, vcc_lo
	s_or_b32 vcc_lo, s0, s1
	v_add_co_u32 v3, s0, s11, v0
	v_cndmask_b32_e32 v2, 0x300, v2, vcc_lo
	v_add_co_ci_u32_e64 v4, null, s23, 0, s0
	s_waitcnt vmcnt(0)
	v_cmp_ne_u16_e64 s0, v1, v8
	v_add_co_u32 v1, s1, v3, v2
	v_add_co_ci_u32_e64 v2, null, 0, v4, s1
	s_or_b32 s0, vcc_lo, s0
	v_mov_b32_dpp v3, v1 quad_perm:[1,0,3,2] row_mask:0xf bank_mask:0xf
	v_cndmask_b32_e64 v5, 0, 1, s0
	v_mov_b32_dpp v4, v2 quad_perm:[1,0,3,2] row_mask:0xf bank_mask:0xf
	v_mov_b32_dpp v6, v5 quad_perm:[1,0,3,2] row_mask:0xf bank_mask:0xf
	v_cmp_lt_i64_e32 vcc_lo, v[1:2], v[3:4]
	v_and_b32_e32 v6, 1, v6
	s_and_b32 vcc_lo, s0, vcc_lo
	v_cndmask_b32_e32 v3, v3, v1, vcc_lo
	v_cndmask_b32_e32 v4, v4, v2, vcc_lo
	v_cmp_eq_u32_e32 vcc_lo, 1, v6
	v_cndmask_b32_e32 v2, v2, v4, vcc_lo
	v_cndmask_b32_e32 v1, v1, v3, vcc_lo
	v_cndmask_b32_e64 v5, v5, 1, vcc_lo
	v_mov_b32_dpp v4, v2 quad_perm:[2,3,0,1] row_mask:0xf bank_mask:0xf
	v_mov_b32_dpp v3, v1 quad_perm:[2,3,0,1] row_mask:0xf bank_mask:0xf
	v_and_b32_e32 v7, 1, v5
	v_mov_b32_dpp v6, v5 quad_perm:[2,3,0,1] row_mask:0xf bank_mask:0xf
	v_cmp_lt_i64_e32 vcc_lo, v[1:2], v[3:4]
	v_cmp_eq_u32_e64 s0, 1, v7
	v_and_b32_e32 v6, 1, v6
	s_and_b32 vcc_lo, s0, vcc_lo
	v_cmp_eq_u32_e64 s1, 1, v6
	v_cndmask_b32_e32 v3, v3, v1, vcc_lo
	v_cndmask_b32_e32 v4, v4, v2, vcc_lo
	v_cndmask_b32_e64 v5, v5, 1, s1
	v_cndmask_b32_e64 v1, v1, v3, s1
	;; [unrolled: 1-line block ×3, first 2 shown]
	v_and_b32_e32 v7, 1, v5
	v_mov_b32_dpp v3, v1 row_ror:4 row_mask:0xf bank_mask:0xf
	v_mov_b32_dpp v4, v2 row_ror:4 row_mask:0xf bank_mask:0xf
	;; [unrolled: 1-line block ×3, first 2 shown]
	v_cmp_eq_u32_e64 s0, 1, v7
	v_cmp_lt_i64_e32 vcc_lo, v[1:2], v[3:4]
	v_and_b32_e32 v6, 1, v6
	s_and_b32 vcc_lo, s0, vcc_lo
	v_cmp_eq_u32_e64 s1, 1, v6
	v_cndmask_b32_e32 v3, v3, v1, vcc_lo
	v_cndmask_b32_e32 v4, v4, v2, vcc_lo
	v_cndmask_b32_e64 v5, v5, 1, s1
	v_cndmask_b32_e64 v1, v1, v3, s1
	;; [unrolled: 1-line block ×3, first 2 shown]
	v_and_b32_e32 v7, 1, v5
	v_mov_b32_dpp v3, v1 row_ror:8 row_mask:0xf bank_mask:0xf
	v_mov_b32_dpp v4, v2 row_ror:8 row_mask:0xf bank_mask:0xf
	;; [unrolled: 1-line block ×3, first 2 shown]
	v_cmp_eq_u32_e64 s0, 1, v7
	v_cmp_lt_i64_e32 vcc_lo, v[1:2], v[3:4]
	v_and_b32_e32 v6, 1, v6
	s_and_b32 vcc_lo, s0, vcc_lo
	v_cmp_eq_u32_e64 s1, 1, v6
	v_cndmask_b32_e32 v3, v3, v1, vcc_lo
	v_cndmask_b32_e32 v4, v4, v2, vcc_lo
	v_cndmask_b32_e64 v5, v5, 1, s1
	v_cndmask_b32_e64 v1, v1, v3, s1
	;; [unrolled: 1-line block ×3, first 2 shown]
	ds_swizzle_b32 v6, v5 offset:swizzle(BROADCAST,32,15)
	ds_swizzle_b32 v3, v1 offset:swizzle(BROADCAST,32,15)
	;; [unrolled: 1-line block ×3, first 2 shown]
	v_and_b32_e32 v7, 1, v5
	v_cmp_eq_u32_e64 s0, 1, v7
	v_mbcnt_lo_u32_b32 v7, -1, 0
	s_waitcnt lgkmcnt(2)
	v_and_b32_e32 v6, 1, v6
	s_waitcnt lgkmcnt(0)
	v_cmp_lt_i64_e32 vcc_lo, v[1:2], v[3:4]
	v_cmp_eq_u32_e64 s1, 1, v6
	v_mov_b32_e32 v6, 0
	s_and_b32 vcc_lo, s0, vcc_lo
	s_mov_b32 s0, exec_lo
	v_cndmask_b32_e32 v3, v3, v1, vcc_lo
	v_cndmask_b32_e32 v4, v4, v2, vcc_lo
	v_cndmask_b32_e64 v5, v5, 1, s1
	v_cndmask_b32_e64 v1, v1, v3, s1
	;; [unrolled: 1-line block ×3, first 2 shown]
	ds_bpermute_b32 v9, v6, v5 offset:124
	ds_bpermute_b32 v1, v6, v1 offset:124
	;; [unrolled: 1-line block ×3, first 2 shown]
	v_cmpx_eq_u32_e32 0, v7
	s_cbranch_execz .LBB316_28
; %bb.27:
	v_lshrrev_b32_e32 v3, 1, v0
	v_and_b32_e32 v3, 0x70, v3
	s_waitcnt lgkmcnt(2)
	ds_write_b8 v3, v9 offset:256
	s_waitcnt lgkmcnt(1)
	ds_write_b64 v3, v[1:2] offset:264
.LBB316_28:
	s_or_b32 exec_lo, exec_lo, s0
	s_mov_b32 s0, exec_lo
	s_waitcnt lgkmcnt(0)
	s_barrier
	buffer_gl0_inv
	v_cmpx_gt_u32_e32 32, v0
	s_cbranch_execz .LBB316_42
; %bb.29:
	v_and_b32_e32 v8, 7, v7
	v_lshlrev_b32_e32 v1, 4, v8
	v_cmp_ne_u32_e32 vcc_lo, 7, v8
	ds_read_u8 v10, v1 offset:256
	ds_read_b64 v[3:4], v1 offset:264
	v_add_co_ci_u32_e64 v2, null, 0, v7, vcc_lo
	v_lshlrev_b32_e32 v2, 2, v2
	s_waitcnt lgkmcnt(1)
	v_and_b32_e32 v1, 0xff, v10
	s_waitcnt lgkmcnt(0)
	ds_bpermute_b32 v5, v2, v3
	ds_bpermute_b32 v6, v2, v4
	;; [unrolled: 1-line block ×3, first 2 shown]
	s_waitcnt lgkmcnt(0)
	v_and_b32_e32 v1, v10, v11
	v_and_b32_e32 v1, 1, v1
	v_cmp_eq_u32_e32 vcc_lo, 1, v1
                                        ; implicit-def: $vgpr1_vgpr2
	s_and_saveexec_b32 s1, vcc_lo
	s_xor_b32 s1, exec_lo, s1
; %bb.30:
	v_cmp_lt_i64_e32 vcc_lo, v[5:6], v[3:4]
                                        ; implicit-def: $vgpr10
                                        ; implicit-def: $vgpr11
	v_cndmask_b32_e32 v2, v4, v6, vcc_lo
	v_cndmask_b32_e32 v1, v3, v5, vcc_lo
                                        ; implicit-def: $vgpr5_vgpr6
                                        ; implicit-def: $vgpr3_vgpr4
; %bb.31:
	s_or_saveexec_b32 s1, s1
	v_mov_b32_e32 v9, 1
	s_xor_b32 exec_lo, exec_lo, s1
; %bb.32:
	v_and_b32_e32 v1, 1, v10
	v_and_b32_e32 v9, 0xff, v11
	v_cmp_eq_u32_e32 vcc_lo, 1, v1
	v_cndmask_b32_e32 v2, v6, v4, vcc_lo
	v_cndmask_b32_e32 v1, v5, v3, vcc_lo
	v_cndmask_b32_e64 v9, v9, 1, vcc_lo
; %bb.33:
	s_or_b32 exec_lo, exec_lo, s1
	v_cmp_gt_u32_e32 vcc_lo, 6, v8
	v_cndmask_b32_e64 v3, 0, 2, vcc_lo
	v_add_lshl_u32 v3, v3, v7, 2
	ds_bpermute_b32 v8, v3, v9
	ds_bpermute_b32 v5, v3, v1
	;; [unrolled: 1-line block ×3, first 2 shown]
	s_waitcnt lgkmcnt(2)
	v_and_b32_e32 v3, v9, v8
	v_and_b32_e32 v3, 1, v3
	v_cmp_eq_u32_e32 vcc_lo, 1, v3
                                        ; implicit-def: $vgpr3_vgpr4
	s_and_saveexec_b32 s1, vcc_lo
	s_xor_b32 s1, exec_lo, s1
	s_cbranch_execz .LBB316_35
; %bb.34:
	s_waitcnt lgkmcnt(0)
	v_cmp_lt_i64_e32 vcc_lo, v[5:6], v[1:2]
                                        ; implicit-def: $vgpr9
                                        ; implicit-def: $vgpr8
	v_cndmask_b32_e32 v4, v2, v6, vcc_lo
	v_cndmask_b32_e32 v3, v1, v5, vcc_lo
                                        ; implicit-def: $vgpr5_vgpr6
                                        ; implicit-def: $vgpr1_vgpr2
.LBB316_35:
	s_or_saveexec_b32 s1, s1
	v_lshlrev_b32_e32 v10, 2, v7
	v_mov_b32_e32 v7, 1
	s_xor_b32 exec_lo, exec_lo, s1
	s_cbranch_execz .LBB316_37
; %bb.36:
	v_and_b32_e32 v3, 1, v9
	v_and_b32_e32 v7, 0xff, v8
	v_cmp_eq_u32_e32 vcc_lo, 1, v3
	s_waitcnt lgkmcnt(0)
	v_cndmask_b32_e32 v4, v6, v2, vcc_lo
	v_cndmask_b32_e32 v3, v5, v1, vcc_lo
	v_cndmask_b32_e64 v7, v7, 1, vcc_lo
.LBB316_37:
	s_or_b32 exec_lo, exec_lo, s1
	v_or_b32_e32 v1, 16, v10
	ds_bpermute_b32 v8, v1, v7
	s_waitcnt lgkmcnt(2)
	ds_bpermute_b32 v5, v1, v3
	s_waitcnt lgkmcnt(2)
	;; [unrolled: 2-line block ×3, first 2 shown]
	v_and_b32_e32 v1, v7, v8
	v_and_b32_e32 v1, 1, v1
	v_cmp_eq_u32_e32 vcc_lo, 1, v1
                                        ; implicit-def: $vgpr1_vgpr2
	s_and_saveexec_b32 s1, vcc_lo
	s_xor_b32 s1, exec_lo, s1
	s_cbranch_execz .LBB316_39
; %bb.38:
	s_waitcnt lgkmcnt(0)
	v_cmp_lt_i64_e32 vcc_lo, v[5:6], v[3:4]
                                        ; implicit-def: $vgpr7
                                        ; implicit-def: $vgpr8
	v_cndmask_b32_e32 v2, v4, v6, vcc_lo
	v_cndmask_b32_e32 v1, v3, v5, vcc_lo
                                        ; implicit-def: $vgpr5_vgpr6
                                        ; implicit-def: $vgpr3_vgpr4
.LBB316_39:
	s_or_saveexec_b32 s1, s1
	v_mov_b32_e32 v9, 1
	s_xor_b32 exec_lo, exec_lo, s1
	s_cbranch_execz .LBB316_41
; %bb.40:
	v_and_b32_e32 v1, 1, v7
	v_cmp_eq_u32_e32 vcc_lo, 1, v1
	s_waitcnt lgkmcnt(0)
	v_cndmask_b32_e32 v2, v6, v4, vcc_lo
	v_cndmask_b32_e32 v1, v5, v3, vcc_lo
	v_cndmask_b32_e64 v9, v8, 1, vcc_lo
.LBB316_41:
	s_or_b32 exec_lo, exec_lo, s1
.LBB316_42:
	s_or_b32 exec_lo, exec_lo, s0
	s_branch .LBB316_242
.LBB316_43:
                                        ; implicit-def: $vgpr3_vgpr4
                                        ; implicit-def: $vgpr5
                                        ; implicit-def: $vgpr1_vgpr2
	s_branch .LBB316_356
.LBB316_44:
                                        ; implicit-def: $vgpr1_vgpr2
                                        ; implicit-def: $vgpr17
	s_cbranch_execz .LBB316_167
; %bb.45:
	v_mov_b32_e32 v15, 0
	v_mov_b32_e32 v1, 0
	;; [unrolled: 1-line block ×6, first 2 shown]
	s_sub_i32 s27, s14, s8
	s_mov_b32 s0, exec_lo
	v_cmpx_gt_u32_e64 s27, v0
	s_cbranch_execz .LBB316_47
; %bb.46:
	v_lshlrev_b32_e32 v1, 1, v0
	s_clause 0x1
	global_load_ushort v3, v1, s[10:11]
	global_load_ushort v4, v1, s[22:23]
	v_add_co_u32 v1, s1, s28, v0
	v_add_co_ci_u32_e64 v2, null, s29, 0, s1
	s_waitcnt vmcnt(0)
	v_cmp_ne_u16_e32 vcc_lo, v3, v4
	v_cndmask_b32_e64 v17, 0, 1, vcc_lo
.LBB316_47:
	s_or_b32 exec_lo, exec_lo, s0
	v_or_b32_e32 v3, 0x100, v0
	v_cmp_gt_u32_e64 s9, s27, v3
	s_and_saveexec_b32 s0, s9
	s_cbranch_execz .LBB316_49
; %bb.48:
	v_lshlrev_b32_e32 v4, 1, v0
	v_add_co_u32 v15, s1, s28, v3
	v_add_co_ci_u32_e64 v16, null, s29, 0, s1
	s_waitcnt lgkmcnt(1)
	s_clause 0x1
	global_load_ushort v5, v4, s[10:11] offset:512
	global_load_ushort v4, v4, s[22:23] offset:512
	s_waitcnt vmcnt(0)
	v_cmp_ne_u16_e32 vcc_lo, v5, v4
	v_cndmask_b32_e64 v24, 0, 1, vcc_lo
.LBB316_49:
	s_or_b32 exec_lo, exec_lo, s0
	v_or_b32_e32 v3, 0x200, v0
	v_mov_b32_e32 v11, 0
	v_mov_b32_e32 v13, 0
	;; [unrolled: 1-line block ×5, first 2 shown]
	v_cmp_gt_u32_e64 s8, s27, v3
	v_mov_b32_e32 v23, 0
	s_and_saveexec_b32 s0, s8
	s_cbranch_execz .LBB316_51
; %bb.50:
	v_lshlrev_b32_e32 v4, 1, v0
	v_add_co_u32 v13, s1, s28, v3
	v_add_co_ci_u32_e64 v14, null, s29, 0, s1
	s_waitcnt lgkmcnt(1)
	s_clause 0x1
	global_load_ushort v5, v4, s[10:11] offset:1024
	global_load_ushort v4, v4, s[22:23] offset:1024
	s_waitcnt vmcnt(0)
	v_cmp_ne_u16_e32 vcc_lo, v5, v4
	v_cndmask_b32_e64 v23, 0, 1, vcc_lo
.LBB316_51:
	s_or_b32 exec_lo, exec_lo, s0
	v_or_b32_e32 v3, 0x300, v0
	v_cmp_gt_u32_e64 s3, s27, v3
	s_and_saveexec_b32 s0, s3
	s_cbranch_execz .LBB316_53
; %bb.52:
	v_lshlrev_b32_e32 v4, 1, v0
	v_add_co_u32 v11, s1, s28, v3
	v_add_co_ci_u32_e64 v12, null, s29, 0, s1
	s_waitcnt lgkmcnt(1)
	s_clause 0x1
	global_load_ushort v5, v4, s[10:11] offset:1536
	global_load_ushort v4, v4, s[22:23] offset:1536
	s_waitcnt vmcnt(0)
	v_cmp_ne_u16_e32 vcc_lo, v5, v4
	v_cndmask_b32_e64 v22, 0, 1, vcc_lo
.LBB316_53:
	s_or_b32 exec_lo, exec_lo, s0
	v_or_b32_e32 v3, 0x400, v0
	v_mov_b32_e32 v7, 0
	v_mov_b32_e32 v9, 0
	;; [unrolled: 1-line block ×5, first 2 shown]
	v_cmp_gt_u32_e64 s2, s27, v3
	v_mov_b32_e32 v21, 0
	s_and_saveexec_b32 s0, s2
	s_cbranch_execz .LBB316_55
; %bb.54:
	v_lshlrev_b32_e32 v4, 1, v3
	v_add_co_u32 v9, s1, s28, v3
	v_add_co_ci_u32_e64 v10, null, s29, 0, s1
	s_waitcnt lgkmcnt(1)
	s_clause 0x1
	global_load_ushort v5, v4, s[10:11]
	global_load_ushort v4, v4, s[22:23]
	s_waitcnt vmcnt(0)
	v_cmp_ne_u16_e32 vcc_lo, v5, v4
	v_cndmask_b32_e64 v21, 0, 1, vcc_lo
.LBB316_55:
	s_or_b32 exec_lo, exec_lo, s0
	v_or_b32_e32 v3, 0x500, v0
	v_cmp_gt_u32_e64 s1, s27, v3
	s_and_saveexec_b32 s0, s1
	s_cbranch_execz .LBB316_57
; %bb.56:
	v_lshlrev_b32_e32 v4, 1, v3
	v_add_co_u32 v7, s30, s28, v3
	v_add_co_ci_u32_e64 v8, null, s29, 0, s30
	s_waitcnt lgkmcnt(1)
	s_clause 0x1
	global_load_ushort v5, v4, s[10:11]
	global_load_ushort v4, v4, s[22:23]
	s_waitcnt vmcnt(0)
	v_cmp_ne_u16_e32 vcc_lo, v5, v4
	v_cndmask_b32_e64 v20, 0, 1, vcc_lo
.LBB316_57:
	s_or_b32 exec_lo, exec_lo, s0
	v_or_b32_e32 v25, 0x600, v0
	v_mov_b32_e32 v3, 0
	s_waitcnt lgkmcnt(0)
	v_mov_b32_e32 v5, 0
	v_mov_b32_e32 v4, 0
	;; [unrolled: 1-line block ×4, first 2 shown]
	v_cmp_gt_u32_e64 s0, s27, v25
	v_mov_b32_e32 v19, 0
	s_and_saveexec_b32 s30, s0
	s_cbranch_execz .LBB316_59
; %bb.58:
	v_lshlrev_b32_e32 v5, 1, v25
	s_clause 0x1
	global_load_ushort v19, v5, s[10:11]
	global_load_ushort v26, v5, s[22:23]
	v_add_co_u32 v5, s31, s28, v25
	v_add_co_ci_u32_e64 v6, null, s29, 0, s31
	s_waitcnt vmcnt(0)
	v_cmp_ne_u16_e32 vcc_lo, v19, v26
	v_cndmask_b32_e64 v19, 0, 1, vcc_lo
.LBB316_59:
	s_or_b32 exec_lo, exec_lo, s30
	v_or_b32_e32 v25, 0x700, v0
	v_cmp_gt_u32_e32 vcc_lo, s27, v25
	s_and_saveexec_b32 s30, vcc_lo
	s_cbranch_execnz .LBB316_78
; %bb.60:
	s_or_b32 exec_lo, exec_lo, s30
	s_and_saveexec_b32 s11, s9
	s_cbranch_execnz .LBB316_79
.LBB316_61:
	s_or_b32 exec_lo, exec_lo, s11
	s_and_saveexec_b32 s10, s8
	s_cbranch_execnz .LBB316_84
.LBB316_62:
	s_or_b32 exec_lo, exec_lo, s10
	s_and_saveexec_b32 s9, s3
	s_cbranch_execnz .LBB316_89
.LBB316_63:
	s_or_b32 exec_lo, exec_lo, s9
	s_and_saveexec_b32 s8, s2
	s_cbranch_execnz .LBB316_94
.LBB316_64:
	s_or_b32 exec_lo, exec_lo, s8
	s_and_saveexec_b32 s3, s1
	s_cbranch_execnz .LBB316_99
.LBB316_65:
	s_or_b32 exec_lo, exec_lo, s3
	s_and_saveexec_b32 s2, s0
	s_cbranch_execnz .LBB316_104
.LBB316_66:
	s_or_b32 exec_lo, exec_lo, s2
	s_and_saveexec_b32 s1, vcc_lo
	s_cbranch_execnz .LBB316_109
	s_branch .LBB316_114
.LBB316_67:
                                        ; implicit-def: $vgpr1_vgpr2
                                        ; implicit-def: $vgpr9
	s_cbranch_execz .LBB316_242
; %bb.68:
	v_mov_b32_e32 v7, 0
	v_mov_b32_e32 v1, 0
	;; [unrolled: 1-line block ×6, first 2 shown]
	s_sub_i32 s10, s14, s10
	s_mov_b32 s0, exec_lo
	v_cmpx_gt_u32_e64 s10, v0
	s_cbranch_execz .LBB316_70
; %bb.69:
	v_lshlrev_b32_e32 v1, 1, v0
	s_waitcnt lgkmcnt(1)
	global_load_ushort v3, v1, s[2:3]
	s_waitcnt lgkmcnt(0)
	global_load_ushort v4, v1, s[8:9]
	v_add_co_u32 v1, s1, s11, v0
	v_add_co_ci_u32_e64 v2, null, s23, 0, s1
	s_waitcnt vmcnt(0)
	v_cmp_ne_u16_e32 vcc_lo, v3, v4
	v_cndmask_b32_e64 v9, 0, 1, vcc_lo
.LBB316_70:
	s_or_b32 exec_lo, exec_lo, s0
	s_waitcnt lgkmcnt(1)
	v_or_b32_e32 v3, 0x100, v0
	v_cmp_gt_u32_e64 s1, s10, v3
	s_and_saveexec_b32 s0, s1
	s_cbranch_execz .LBB316_72
; %bb.71:
	s_waitcnt lgkmcnt(0)
	v_lshlrev_b32_e32 v4, 1, v0
	v_add_co_u32 v7, s26, s11, v3
	v_add_co_ci_u32_e64 v8, null, s23, 0, s26
	s_clause 0x1
	global_load_ushort v5, v4, s[2:3] offset:512
	global_load_ushort v4, v4, s[8:9] offset:512
	s_waitcnt vmcnt(0)
	v_cmp_ne_u16_e32 vcc_lo, v5, v4
	v_cndmask_b32_e64 v12, 0, 1, vcc_lo
.LBB316_72:
	s_or_b32 exec_lo, exec_lo, s0
	v_or_b32_e32 v13, 0x200, v0
	s_waitcnt lgkmcnt(0)
	v_mov_b32_e32 v3, 0
	v_mov_b32_e32 v5, 0
	;; [unrolled: 1-line block ×5, first 2 shown]
	v_cmp_gt_u32_e64 s0, s10, v13
	v_mov_b32_e32 v11, 0
	s_and_saveexec_b32 s26, s0
	s_cbranch_execz .LBB316_74
; %bb.73:
	v_lshlrev_b32_e32 v5, 1, v0
	s_clause 0x1
	global_load_ushort v11, v5, s[2:3] offset:1024
	global_load_ushort v14, v5, s[8:9] offset:1024
	v_add_co_u32 v5, s27, s11, v13
	v_add_co_ci_u32_e64 v6, null, s23, 0, s27
	s_waitcnt vmcnt(0)
	v_cmp_ne_u16_e32 vcc_lo, v11, v14
	v_cndmask_b32_e64 v11, 0, 1, vcc_lo
.LBB316_74:
	s_or_b32 exec_lo, exec_lo, s26
	v_or_b32_e32 v13, 0x300, v0
	v_cmp_gt_u32_e32 vcc_lo, s10, v13
	s_and_saveexec_b32 s26, vcc_lo
	s_cbranch_execnz .LBB316_173
; %bb.75:
	s_or_b32 exec_lo, exec_lo, s26
	s_and_saveexec_b32 s3, s1
	s_cbranch_execnz .LBB316_174
.LBB316_76:
	s_or_b32 exec_lo, exec_lo, s3
	s_and_saveexec_b32 s2, s0
	s_cbranch_execnz .LBB316_179
.LBB316_77:
	s_or_b32 exec_lo, exec_lo, s2
	s_and_saveexec_b32 s1, vcc_lo
	s_cbranch_execnz .LBB316_184
	s_branch .LBB316_189
.LBB316_78:
	v_lshlrev_b32_e32 v3, 1, v25
	s_clause 0x1
	global_load_ushort v18, v3, s[10:11]
	global_load_ushort v26, v3, s[22:23]
	v_add_co_u32 v3, s10, s28, v25
	v_add_co_ci_u32_e64 v4, null, s29, 0, s10
	s_waitcnt vmcnt(0)
	v_cmp_ne_u16_e64 s10, v18, v26
	v_cndmask_b32_e64 v18, 0, 1, s10
	s_or_b32 exec_lo, exec_lo, s30
	s_and_saveexec_b32 s11, s9
	s_cbranch_execz .LBB316_61
.LBB316_79:
	v_and_b32_e32 v17, 1, v17
	v_and_b32_e32 v25, 1, v24
	v_cmp_eq_u32_e64 s9, 1, v17
	v_cmp_eq_u32_e64 s10, 1, v25
                                        ; implicit-def: $vgpr17
	s_and_b32 s10, s9, s10
	s_xor_b32 s10, s10, -1
	s_and_saveexec_b32 s22, s10
	s_xor_b32 s10, exec_lo, s22
; %bb.80:
	v_and_b32_e32 v17, 0xffff, v24
	v_cndmask_b32_e64 v2, v16, v2, s9
	v_cndmask_b32_e64 v1, v15, v1, s9
                                        ; implicit-def: $vgpr15_vgpr16
	v_cndmask_b32_e64 v17, v17, 1, s9
; %bb.81:
	s_andn2_saveexec_b32 s10, s10
; %bb.82:
	v_cmp_lt_i64_e64 s9, v[15:16], v[1:2]
	v_mov_b32_e32 v17, 1
	v_cndmask_b32_e64 v2, v2, v16, s9
	v_cndmask_b32_e64 v1, v1, v15, s9
; %bb.83:
	s_or_b32 exec_lo, exec_lo, s10
	s_or_b32 exec_lo, exec_lo, s11
	s_and_saveexec_b32 s10, s8
	s_cbranch_execz .LBB316_62
.LBB316_84:
	v_and_b32_e32 v15, 1, v17
	v_and_b32_e32 v16, 1, v23
                                        ; implicit-def: $vgpr17
	v_cmp_eq_u32_e64 s8, 1, v15
	v_cmp_eq_u32_e64 s9, 1, v16
	s_and_b32 s9, s8, s9
	s_xor_b32 s9, s9, -1
	s_and_saveexec_b32 s11, s9
	s_xor_b32 s9, exec_lo, s11
; %bb.85:
	v_and_b32_e32 v15, 0xffff, v23
	v_cndmask_b32_e64 v2, v14, v2, s8
	v_cndmask_b32_e64 v1, v13, v1, s8
                                        ; implicit-def: $vgpr13_vgpr14
	v_cndmask_b32_e64 v17, v15, 1, s8
; %bb.86:
	s_andn2_saveexec_b32 s9, s9
; %bb.87:
	v_cmp_lt_i64_e64 s8, v[13:14], v[1:2]
	v_mov_b32_e32 v17, 1
	v_cndmask_b32_e64 v2, v2, v14, s8
	v_cndmask_b32_e64 v1, v1, v13, s8
; %bb.88:
	s_or_b32 exec_lo, exec_lo, s9
	s_or_b32 exec_lo, exec_lo, s10
	s_and_saveexec_b32 s9, s3
	s_cbranch_execz .LBB316_63
.LBB316_89:
	v_and_b32_e32 v13, 1, v17
	v_and_b32_e32 v14, 1, v22
                                        ; implicit-def: $vgpr17
	v_cmp_eq_u32_e64 s3, 1, v13
	v_cmp_eq_u32_e64 s8, 1, v14
	s_and_b32 s8, s3, s8
	s_xor_b32 s8, s8, -1
	s_and_saveexec_b32 s10, s8
	s_xor_b32 s8, exec_lo, s10
; %bb.90:
	v_and_b32_e32 v13, 0xffff, v22
	v_cndmask_b32_e64 v2, v12, v2, s3
	v_cndmask_b32_e64 v1, v11, v1, s3
                                        ; implicit-def: $vgpr11_vgpr12
	v_cndmask_b32_e64 v17, v13, 1, s3
; %bb.91:
	s_andn2_saveexec_b32 s8, s8
; %bb.92:
	v_cmp_lt_i64_e64 s3, v[11:12], v[1:2]
	v_mov_b32_e32 v17, 1
	v_cndmask_b32_e64 v2, v2, v12, s3
	v_cndmask_b32_e64 v1, v1, v11, s3
; %bb.93:
	s_or_b32 exec_lo, exec_lo, s8
	s_or_b32 exec_lo, exec_lo, s9
	s_and_saveexec_b32 s8, s2
	s_cbranch_execz .LBB316_64
.LBB316_94:
	v_and_b32_e32 v11, 1, v17
	v_and_b32_e32 v12, 1, v21
                                        ; implicit-def: $vgpr17
	v_cmp_eq_u32_e64 s2, 1, v11
	v_cmp_eq_u32_e64 s3, 1, v12
	s_and_b32 s3, s2, s3
	s_xor_b32 s3, s3, -1
	s_and_saveexec_b32 s9, s3
	s_xor_b32 s3, exec_lo, s9
; %bb.95:
	v_and_b32_e32 v11, 0xffff, v21
	v_cndmask_b32_e64 v2, v10, v2, s2
	v_cndmask_b32_e64 v1, v9, v1, s2
                                        ; implicit-def: $vgpr9_vgpr10
	v_cndmask_b32_e64 v17, v11, 1, s2
; %bb.96:
	s_andn2_saveexec_b32 s3, s3
; %bb.97:
	v_cmp_lt_i64_e64 s2, v[9:10], v[1:2]
	v_mov_b32_e32 v17, 1
	v_cndmask_b32_e64 v2, v2, v10, s2
	v_cndmask_b32_e64 v1, v1, v9, s2
; %bb.98:
	s_or_b32 exec_lo, exec_lo, s3
	s_or_b32 exec_lo, exec_lo, s8
	s_and_saveexec_b32 s3, s1
	s_cbranch_execz .LBB316_65
.LBB316_99:
	v_and_b32_e32 v9, 1, v17
	v_and_b32_e32 v10, 1, v20
                                        ; implicit-def: $vgpr17
	v_cmp_eq_u32_e64 s1, 1, v9
	v_cmp_eq_u32_e64 s2, 1, v10
	s_and_b32 s2, s1, s2
	s_xor_b32 s2, s2, -1
	s_and_saveexec_b32 s8, s2
	s_xor_b32 s2, exec_lo, s8
; %bb.100:
	v_and_b32_e32 v9, 0xffff, v20
	v_cndmask_b32_e64 v2, v8, v2, s1
	v_cndmask_b32_e64 v1, v7, v1, s1
                                        ; implicit-def: $vgpr7_vgpr8
	v_cndmask_b32_e64 v17, v9, 1, s1
; %bb.101:
	s_andn2_saveexec_b32 s2, s2
; %bb.102:
	v_cmp_lt_i64_e64 s1, v[7:8], v[1:2]
	v_mov_b32_e32 v17, 1
	v_cndmask_b32_e64 v2, v2, v8, s1
	v_cndmask_b32_e64 v1, v1, v7, s1
; %bb.103:
	s_or_b32 exec_lo, exec_lo, s2
	s_or_b32 exec_lo, exec_lo, s3
	s_and_saveexec_b32 s2, s0
	s_cbranch_execz .LBB316_66
.LBB316_104:
	v_and_b32_e32 v7, 1, v17
	v_and_b32_e32 v8, 1, v19
                                        ; implicit-def: $vgpr17
	v_cmp_eq_u32_e64 s0, 1, v7
	v_cmp_eq_u32_e64 s1, 1, v8
	s_and_b32 s1, s0, s1
	s_xor_b32 s1, s1, -1
	s_and_saveexec_b32 s3, s1
	s_xor_b32 s1, exec_lo, s3
; %bb.105:
	v_and_b32_e32 v7, 0xffff, v19
	v_cndmask_b32_e64 v2, v6, v2, s0
	v_cndmask_b32_e64 v1, v5, v1, s0
                                        ; implicit-def: $vgpr5_vgpr6
	v_cndmask_b32_e64 v17, v7, 1, s0
; %bb.106:
	s_andn2_saveexec_b32 s1, s1
; %bb.107:
	v_cmp_lt_i64_e64 s0, v[5:6], v[1:2]
	v_mov_b32_e32 v17, 1
	v_cndmask_b32_e64 v2, v2, v6, s0
	v_cndmask_b32_e64 v1, v1, v5, s0
; %bb.108:
	s_or_b32 exec_lo, exec_lo, s1
	s_or_b32 exec_lo, exec_lo, s2
	s_and_saveexec_b32 s1, vcc_lo
	s_cbranch_execz .LBB316_114
.LBB316_109:
	v_and_b32_e32 v5, 1, v17
	v_and_b32_e32 v6, 1, v18
                                        ; implicit-def: $vgpr17
	v_cmp_eq_u32_e32 vcc_lo, 1, v5
	v_cmp_eq_u32_e64 s0, 1, v6
	s_and_b32 s0, vcc_lo, s0
	s_xor_b32 s0, s0, -1
	s_and_saveexec_b32 s2, s0
	s_xor_b32 s0, exec_lo, s2
; %bb.110:
	v_and_b32_e32 v5, 0xffff, v18
	v_cndmask_b32_e32 v2, v4, v2, vcc_lo
	v_cndmask_b32_e32 v1, v3, v1, vcc_lo
                                        ; implicit-def: $vgpr3_vgpr4
	v_cndmask_b32_e64 v17, v5, 1, vcc_lo
; %bb.111:
	s_andn2_saveexec_b32 s0, s0
; %bb.112:
	v_cmp_lt_i64_e32 vcc_lo, v[3:4], v[1:2]
	v_mov_b32_e32 v17, 1
	v_cndmask_b32_e32 v2, v2, v4, vcc_lo
	v_cndmask_b32_e32 v1, v1, v3, vcc_lo
; %bb.113:
	s_or_b32 exec_lo, exec_lo, s0
.LBB316_114:
	s_or_b32 exec_lo, exec_lo, s1
	v_mbcnt_lo_u32_b32 v5, -1, 0
	v_and_b32_e32 v6, 0xe0, v0
	s_min_u32 s0, s27, 0x100
	s_mov_b32 s1, exec_lo
	v_cmp_ne_u32_e32 vcc_lo, 31, v5
	v_sub_nc_u32_e64 v6, s0, v6 clamp
	v_add_nc_u32_e32 v8, 1, v5
	v_add_co_ci_u32_e64 v3, null, 0, v5, vcc_lo
	v_lshlrev_b32_e32 v4, 2, v3
	ds_bpermute_b32 v7, v4, v17
	ds_bpermute_b32 v3, v4, v1
	;; [unrolled: 1-line block ×3, first 2 shown]
	v_cmpx_lt_u32_e64 v8, v6
	s_xor_b32 s1, exec_lo, s1
	s_cbranch_execz .LBB316_120
; %bb.115:
	s_waitcnt lgkmcnt(2)
	v_and_b32_e32 v8, v7, v17
	s_mov_b32 s2, exec_lo
	v_cmpx_ne_u32_e32 0, v8
	s_xor_b32 s2, exec_lo, s2
	s_cbranch_execz .LBB316_117
; %bb.116:
	s_waitcnt lgkmcnt(0)
	v_cmp_lt_i64_e32 vcc_lo, v[3:4], v[1:2]
                                        ; implicit-def: $vgpr17
                                        ; implicit-def: $vgpr7
	v_cndmask_b32_e32 v2, v2, v4, vcc_lo
	v_cndmask_b32_e32 v1, v1, v3, vcc_lo
                                        ; implicit-def: $vgpr3_vgpr4
.LBB316_117:
	s_or_saveexec_b32 s2, s2
	v_mov_b32_e32 v8, 1
	s_xor_b32 exec_lo, exec_lo, s2
	s_cbranch_execz .LBB316_119
; %bb.118:
	v_and_b32_e32 v8, 1, v17
	v_and_b32_e32 v7, 0xff, v7
	v_cmp_eq_u32_e32 vcc_lo, 1, v8
	s_waitcnt lgkmcnt(0)
	v_cndmask_b32_e32 v2, v4, v2, vcc_lo
	v_cndmask_b32_e32 v1, v3, v1, vcc_lo
	v_cndmask_b32_e64 v8, v7, 1, vcc_lo
.LBB316_119:
	s_or_b32 exec_lo, exec_lo, s2
	v_mov_b32_e32 v17, v8
.LBB316_120:
	s_or_b32 exec_lo, exec_lo, s1
	v_cmp_gt_u32_e32 vcc_lo, 30, v5
	v_add_nc_u32_e32 v8, 2, v5
	s_mov_b32 s1, exec_lo
	s_waitcnt lgkmcnt(1)
	v_cndmask_b32_e64 v3, 0, 2, vcc_lo
	s_waitcnt lgkmcnt(0)
	v_add_lshl_u32 v4, v3, v5, 2
	ds_bpermute_b32 v7, v4, v17
	ds_bpermute_b32 v3, v4, v1
	ds_bpermute_b32 v4, v4, v2
	v_cmpx_lt_u32_e64 v8, v6
	s_cbranch_execz .LBB316_126
; %bb.121:
	s_waitcnt lgkmcnt(2)
	v_and_b32_e32 v8, v17, v7
	s_mov_b32 s2, exec_lo
	v_and_b32_e32 v8, 1, v8
	v_cmpx_eq_u32_e32 1, v8
	s_xor_b32 s2, exec_lo, s2
	s_cbranch_execz .LBB316_123
; %bb.122:
	s_waitcnt lgkmcnt(0)
	v_cmp_lt_i64_e32 vcc_lo, v[3:4], v[1:2]
                                        ; implicit-def: $vgpr17
                                        ; implicit-def: $vgpr7
	v_cndmask_b32_e32 v2, v2, v4, vcc_lo
	v_cndmask_b32_e32 v1, v1, v3, vcc_lo
                                        ; implicit-def: $vgpr3_vgpr4
.LBB316_123:
	s_or_saveexec_b32 s2, s2
	v_mov_b32_e32 v8, 1
	s_xor_b32 exec_lo, exec_lo, s2
	s_cbranch_execz .LBB316_125
; %bb.124:
	v_and_b32_e32 v8, 1, v17
	v_and_b32_e32 v7, 0xff, v7
	v_cmp_eq_u32_e32 vcc_lo, 1, v8
	s_waitcnt lgkmcnt(0)
	v_cndmask_b32_e32 v2, v4, v2, vcc_lo
	v_cndmask_b32_e32 v1, v3, v1, vcc_lo
	v_cndmask_b32_e64 v8, v7, 1, vcc_lo
.LBB316_125:
	s_or_b32 exec_lo, exec_lo, s2
	v_mov_b32_e32 v17, v8
.LBB316_126:
	s_or_b32 exec_lo, exec_lo, s1
	v_cmp_gt_u32_e32 vcc_lo, 28, v5
	v_add_nc_u32_e32 v8, 4, v5
	s_mov_b32 s1, exec_lo
	s_waitcnt lgkmcnt(1)
	v_cndmask_b32_e64 v3, 0, 4, vcc_lo
	s_waitcnt lgkmcnt(0)
	v_add_lshl_u32 v4, v3, v5, 2
	ds_bpermute_b32 v7, v4, v17
	ds_bpermute_b32 v3, v4, v1
	ds_bpermute_b32 v4, v4, v2
	v_cmpx_lt_u32_e64 v8, v6
	s_cbranch_execz .LBB316_132
; %bb.127:
	s_waitcnt lgkmcnt(2)
	v_and_b32_e32 v8, v17, v7
	s_mov_b32 s2, exec_lo
	v_and_b32_e32 v8, 1, v8
	v_cmpx_eq_u32_e32 1, v8
	s_xor_b32 s2, exec_lo, s2
	s_cbranch_execz .LBB316_129
; %bb.128:
	s_waitcnt lgkmcnt(0)
	v_cmp_lt_i64_e32 vcc_lo, v[3:4], v[1:2]
                                        ; implicit-def: $vgpr17
                                        ; implicit-def: $vgpr7
	v_cndmask_b32_e32 v2, v2, v4, vcc_lo
	v_cndmask_b32_e32 v1, v1, v3, vcc_lo
                                        ; implicit-def: $vgpr3_vgpr4
.LBB316_129:
	s_or_saveexec_b32 s2, s2
	v_mov_b32_e32 v8, 1
	s_xor_b32 exec_lo, exec_lo, s2
	s_cbranch_execz .LBB316_131
; %bb.130:
	v_and_b32_e32 v8, 1, v17
	v_and_b32_e32 v7, 0xff, v7
	v_cmp_eq_u32_e32 vcc_lo, 1, v8
	s_waitcnt lgkmcnt(0)
	v_cndmask_b32_e32 v2, v4, v2, vcc_lo
	v_cndmask_b32_e32 v1, v3, v1, vcc_lo
	v_cndmask_b32_e64 v8, v7, 1, vcc_lo
.LBB316_131:
	s_or_b32 exec_lo, exec_lo, s2
	v_mov_b32_e32 v17, v8
.LBB316_132:
	;; [unrolled: 46-line block ×3, first 2 shown]
	s_or_b32 exec_lo, exec_lo, s1
	s_waitcnt lgkmcnt(2)
	v_lshlrev_b32_e32 v7, 2, v5
	v_add_nc_u32_e32 v9, 16, v5
	s_waitcnt lgkmcnt(0)
	v_or_b32_e32 v4, 64, v7
	v_cmp_lt_u32_e32 vcc_lo, v9, v6
	v_mov_b32_e32 v6, v17
	ds_bpermute_b32 v8, v4, v17
	ds_bpermute_b32 v3, v4, v1
	;; [unrolled: 1-line block ×3, first 2 shown]
	s_and_saveexec_b32 s1, vcc_lo
	s_cbranch_execz .LBB316_144
; %bb.139:
	s_waitcnt lgkmcnt(2)
	v_and_b32_e32 v6, v17, v8
	s_mov_b32 s2, exec_lo
	v_and_b32_e32 v6, 1, v6
	v_cmpx_eq_u32_e32 1, v6
	s_xor_b32 s2, exec_lo, s2
	s_cbranch_execz .LBB316_141
; %bb.140:
	s_waitcnt lgkmcnt(0)
	v_cmp_lt_i64_e32 vcc_lo, v[3:4], v[1:2]
                                        ; implicit-def: $vgpr17
                                        ; implicit-def: $vgpr8
	v_cndmask_b32_e32 v2, v2, v4, vcc_lo
	v_cndmask_b32_e32 v1, v1, v3, vcc_lo
                                        ; implicit-def: $vgpr3_vgpr4
.LBB316_141:
	s_or_saveexec_b32 s2, s2
	v_mov_b32_e32 v6, 1
	s_xor_b32 exec_lo, exec_lo, s2
	s_cbranch_execz .LBB316_143
; %bb.142:
	v_and_b32_e32 v6, 1, v17
	v_cmp_eq_u32_e32 vcc_lo, 1, v6
	v_cndmask_b32_e64 v6, v8, 1, vcc_lo
	s_waitcnt lgkmcnt(0)
	v_cndmask_b32_e32 v2, v4, v2, vcc_lo
	v_cndmask_b32_e32 v1, v3, v1, vcc_lo
.LBB316_143:
	s_or_b32 exec_lo, exec_lo, s2
	v_and_b32_e32 v17, 0xff, v6
.LBB316_144:
	s_or_b32 exec_lo, exec_lo, s1
	s_mov_b32 s1, exec_lo
	v_cmpx_eq_u32_e32 0, v5
	s_cbranch_execz .LBB316_146
; %bb.145:
	s_waitcnt lgkmcnt(1)
	v_lshrrev_b32_e32 v3, 1, v0
	v_and_b32_e32 v3, 0x70, v3
	ds_write_b8 v3, v6 offset:512
	ds_write_b64 v3, v[1:2] offset:520
.LBB316_146:
	s_or_b32 exec_lo, exec_lo, s1
	s_mov_b32 s1, exec_lo
	s_waitcnt lgkmcnt(0)
	s_barrier
	buffer_gl0_inv
	v_cmpx_gt_u32_e32 8, v0
	s_cbranch_execz .LBB316_166
; %bb.147:
	v_lshlrev_b32_e32 v1, 4, v5
	v_and_b32_e32 v6, 7, v5
	s_add_i32 s0, s0, 31
	s_mov_b32 s2, exec_lo
	s_lshr_b32 s0, s0, 5
	ds_read_u8 v8, v1 offset:512
	ds_read_b64 v[1:2], v1 offset:520
	v_cmp_ne_u32_e32 vcc_lo, 7, v6
	v_add_nc_u32_e32 v10, 1, v6
	v_add_co_ci_u32_e64 v3, null, 0, v5, vcc_lo
	v_lshlrev_b32_e32 v4, 2, v3
	s_waitcnt lgkmcnt(1)
	v_and_b32_e32 v17, 0xff, v8
	s_waitcnt lgkmcnt(0)
	ds_bpermute_b32 v3, v4, v1
	ds_bpermute_b32 v9, v4, v17
	;; [unrolled: 1-line block ×3, first 2 shown]
	v_cmpx_gt_u32_e64 s0, v10
	s_cbranch_execz .LBB316_153
; %bb.148:
	s_waitcnt lgkmcnt(1)
	v_and_b32_e32 v10, v17, v9
	s_mov_b32 s3, exec_lo
	v_and_b32_e32 v10, 1, v10
	v_cmpx_eq_u32_e32 1, v10
	s_xor_b32 s3, exec_lo, s3
	s_cbranch_execz .LBB316_150
; %bb.149:
	s_waitcnt lgkmcnt(0)
	v_cmp_lt_i64_e32 vcc_lo, v[3:4], v[1:2]
                                        ; implicit-def: $vgpr8
                                        ; implicit-def: $vgpr9
	v_cndmask_b32_e32 v2, v2, v4, vcc_lo
	v_cndmask_b32_e32 v1, v1, v3, vcc_lo
                                        ; implicit-def: $vgpr3_vgpr4
.LBB316_150:
	s_or_saveexec_b32 s3, s3
	v_mov_b32_e32 v17, 1
	s_xor_b32 exec_lo, exec_lo, s3
	s_cbranch_execz .LBB316_152
; %bb.151:
	v_and_b32_e32 v8, 1, v8
	v_cmp_eq_u32_e32 vcc_lo, 1, v8
	v_and_b32_e32 v8, 0xff, v9
	s_waitcnt lgkmcnt(0)
	v_cndmask_b32_e32 v2, v4, v2, vcc_lo
	v_cndmask_b32_e32 v1, v3, v1, vcc_lo
	v_cndmask_b32_e64 v17, v8, 1, vcc_lo
.LBB316_152:
	s_or_b32 exec_lo, exec_lo, s3
.LBB316_153:
	s_or_b32 exec_lo, exec_lo, s2
	v_cmp_gt_u32_e32 vcc_lo, 6, v6
	v_add_nc_u32_e32 v8, 2, v6
	s_mov_b32 s2, exec_lo
	s_waitcnt lgkmcnt(2)
	v_cndmask_b32_e64 v3, 0, 2, vcc_lo
	s_waitcnt lgkmcnt(0)
	v_add_lshl_u32 v4, v3, v5, 2
	ds_bpermute_b32 v5, v4, v17
	ds_bpermute_b32 v3, v4, v1
	;; [unrolled: 1-line block ×3, first 2 shown]
	v_cmpx_gt_u32_e64 s0, v8
	s_cbranch_execz .LBB316_159
; %bb.154:
	s_waitcnt lgkmcnt(2)
	v_and_b32_e32 v8, v17, v5
	s_mov_b32 s3, exec_lo
	v_and_b32_e32 v8, 1, v8
	v_cmpx_eq_u32_e32 1, v8
	s_xor_b32 s3, exec_lo, s3
	s_cbranch_execz .LBB316_156
; %bb.155:
	s_waitcnt lgkmcnt(0)
	v_cmp_lt_i64_e32 vcc_lo, v[3:4], v[1:2]
                                        ; implicit-def: $vgpr17
                                        ; implicit-def: $vgpr5
	v_cndmask_b32_e32 v2, v2, v4, vcc_lo
	v_cndmask_b32_e32 v1, v1, v3, vcc_lo
                                        ; implicit-def: $vgpr3_vgpr4
.LBB316_156:
	s_or_saveexec_b32 s3, s3
	v_mov_b32_e32 v8, 1
	s_xor_b32 exec_lo, exec_lo, s3
	s_cbranch_execz .LBB316_158
; %bb.157:
	v_and_b32_e32 v8, 1, v17
	v_and_b32_e32 v5, 0xff, v5
	v_cmp_eq_u32_e32 vcc_lo, 1, v8
	s_waitcnt lgkmcnt(0)
	v_cndmask_b32_e32 v2, v4, v2, vcc_lo
	v_cndmask_b32_e32 v1, v3, v1, vcc_lo
	v_cndmask_b32_e64 v8, v5, 1, vcc_lo
.LBB316_158:
	s_or_b32 exec_lo, exec_lo, s3
	v_mov_b32_e32 v17, v8
.LBB316_159:
	s_or_b32 exec_lo, exec_lo, s2
	s_waitcnt lgkmcnt(0)
	v_or_b32_e32 v4, 16, v7
	v_add_nc_u32_e32 v6, 4, v6
	ds_bpermute_b32 v5, v4, v17
	ds_bpermute_b32 v3, v4, v1
	;; [unrolled: 1-line block ×3, first 2 shown]
	v_cmp_gt_u32_e32 vcc_lo, s0, v6
	s_and_saveexec_b32 s0, vcc_lo
	s_cbranch_execz .LBB316_165
; %bb.160:
	s_waitcnt lgkmcnt(2)
	v_and_b32_e32 v6, v17, v5
	s_mov_b32 s2, exec_lo
	v_and_b32_e32 v6, 1, v6
	v_cmpx_eq_u32_e32 1, v6
	s_xor_b32 s2, exec_lo, s2
	s_cbranch_execz .LBB316_162
; %bb.161:
	s_waitcnt lgkmcnt(0)
	v_cmp_lt_i64_e32 vcc_lo, v[3:4], v[1:2]
                                        ; implicit-def: $vgpr17
                                        ; implicit-def: $vgpr5
	v_cndmask_b32_e32 v2, v2, v4, vcc_lo
	v_cndmask_b32_e32 v1, v1, v3, vcc_lo
                                        ; implicit-def: $vgpr3_vgpr4
.LBB316_162:
	s_or_saveexec_b32 s2, s2
	v_mov_b32_e32 v6, 1
	s_xor_b32 exec_lo, exec_lo, s2
	s_cbranch_execz .LBB316_164
; %bb.163:
	v_and_b32_e32 v6, 1, v17
	v_cmp_eq_u32_e32 vcc_lo, 1, v6
	s_waitcnt lgkmcnt(0)
	v_cndmask_b32_e32 v2, v4, v2, vcc_lo
	v_cndmask_b32_e32 v1, v3, v1, vcc_lo
	v_cndmask_b32_e64 v6, v5, 1, vcc_lo
.LBB316_164:
	s_or_b32 exec_lo, exec_lo, s2
	v_mov_b32_e32 v17, v6
.LBB316_165:
	s_or_b32 exec_lo, exec_lo, s0
.LBB316_166:
	s_or_b32 exec_lo, exec_lo, s1
.LBB316_167:
	s_mov_b32 s22, 0
                                        ; implicit-def: $vgpr3_vgpr4
                                        ; implicit-def: $vgpr5
	s_mov_b32 s0, exec_lo
	v_cmpx_eq_u32_e32 0, v0
	s_xor_b32 s2, exec_lo, s0
	s_cbranch_execz .LBB316_171
; %bb.168:
	s_waitcnt lgkmcnt(0)
	v_mov_b32_e32 v3, s20
	v_mov_b32_e32 v4, s21
	;; [unrolled: 1-line block ×3, first 2 shown]
	s_cmp_eq_u64 s[14:15], 0
	s_cbranch_scc1 .LBB316_170
; %bb.169:
	v_and_b32_e32 v3, 1, v17
	v_cmp_gt_i64_e32 vcc_lo, s[20:21], v[1:2]
	s_bitcmp1_b32 s24, 0
	s_cselect_b32 s1, -1, 0
	v_cmp_eq_u32_e64 s0, 1, v3
	v_cndmask_b32_e64 v5, v17, 1, s1
	s_and_b32 vcc_lo, s0, vcc_lo
	v_cndmask_b32_e32 v3, s20, v1, vcc_lo
	v_cndmask_b32_e32 v4, s21, v2, vcc_lo
	v_cndmask_b32_e64 v3, v1, v3, s1
	v_cndmask_b32_e64 v4, v2, v4, s1
.LBB316_170:
	s_mov_b32 s22, exec_lo
.LBB316_171:
	s_or_b32 exec_lo, exec_lo, s2
	v_mov_b32_e32 v1, s6
	v_mov_b32_e32 v2, s7
	s_and_b32 vcc_lo, exec_lo, s26
	s_cbranch_vccnz .LBB316_24
.LBB316_172:
	s_branch .LBB316_356
.LBB316_173:
	v_lshlrev_b32_e32 v3, 1, v0
	s_clause 0x1
	global_load_ushort v10, v3, s[2:3] offset:1536
	global_load_ushort v14, v3, s[8:9] offset:1536
	v_add_co_u32 v3, s2, s11, v13
	v_add_co_ci_u32_e64 v4, null, s23, 0, s2
	s_waitcnt vmcnt(0)
	v_cmp_ne_u16_e64 s2, v10, v14
	v_cndmask_b32_e64 v10, 0, 1, s2
	s_or_b32 exec_lo, exec_lo, s26
	s_and_saveexec_b32 s3, s1
	s_cbranch_execz .LBB316_76
.LBB316_174:
	v_and_b32_e32 v9, 1, v9
	v_and_b32_e32 v13, 1, v12
	v_cmp_eq_u32_e64 s1, 1, v9
	v_cmp_eq_u32_e64 s2, 1, v13
                                        ; implicit-def: $vgpr9
	s_and_b32 s2, s1, s2
	s_xor_b32 s2, s2, -1
	s_and_saveexec_b32 s8, s2
	s_xor_b32 s2, exec_lo, s8
; %bb.175:
	v_and_b32_e32 v9, 0xffff, v12
	v_cndmask_b32_e64 v2, v8, v2, s1
	v_cndmask_b32_e64 v1, v7, v1, s1
                                        ; implicit-def: $vgpr7_vgpr8
	v_cndmask_b32_e64 v9, v9, 1, s1
; %bb.176:
	s_andn2_saveexec_b32 s2, s2
; %bb.177:
	v_cmp_lt_i64_e64 s1, v[7:8], v[1:2]
	v_mov_b32_e32 v9, 1
	v_cndmask_b32_e64 v2, v2, v8, s1
	v_cndmask_b32_e64 v1, v1, v7, s1
; %bb.178:
	s_or_b32 exec_lo, exec_lo, s2
	s_or_b32 exec_lo, exec_lo, s3
	s_and_saveexec_b32 s2, s0
	s_cbranch_execz .LBB316_77
.LBB316_179:
	v_and_b32_e32 v7, 1, v9
	v_and_b32_e32 v8, 1, v11
                                        ; implicit-def: $vgpr9
	v_cmp_eq_u32_e64 s0, 1, v7
	v_cmp_eq_u32_e64 s1, 1, v8
	s_and_b32 s1, s0, s1
	s_xor_b32 s1, s1, -1
	s_and_saveexec_b32 s3, s1
	s_xor_b32 s1, exec_lo, s3
; %bb.180:
	v_and_b32_e32 v7, 0xffff, v11
	v_cndmask_b32_e64 v2, v6, v2, s0
	v_cndmask_b32_e64 v1, v5, v1, s0
                                        ; implicit-def: $vgpr5_vgpr6
	v_cndmask_b32_e64 v9, v7, 1, s0
; %bb.181:
	s_andn2_saveexec_b32 s1, s1
; %bb.182:
	v_cmp_lt_i64_e64 s0, v[5:6], v[1:2]
	v_mov_b32_e32 v9, 1
	v_cndmask_b32_e64 v2, v2, v6, s0
	v_cndmask_b32_e64 v1, v1, v5, s0
; %bb.183:
	s_or_b32 exec_lo, exec_lo, s1
	s_or_b32 exec_lo, exec_lo, s2
	s_and_saveexec_b32 s1, vcc_lo
	s_cbranch_execz .LBB316_189
.LBB316_184:
	v_and_b32_e32 v5, 1, v9
	v_and_b32_e32 v6, 1, v10
                                        ; implicit-def: $vgpr9
	v_cmp_eq_u32_e32 vcc_lo, 1, v5
	v_cmp_eq_u32_e64 s0, 1, v6
	s_and_b32 s0, vcc_lo, s0
	s_xor_b32 s0, s0, -1
	s_and_saveexec_b32 s2, s0
	s_xor_b32 s0, exec_lo, s2
; %bb.185:
	v_and_b32_e32 v5, 0xffff, v10
	v_cndmask_b32_e32 v2, v4, v2, vcc_lo
	v_cndmask_b32_e32 v1, v3, v1, vcc_lo
                                        ; implicit-def: $vgpr3_vgpr4
	v_cndmask_b32_e64 v9, v5, 1, vcc_lo
; %bb.186:
	s_andn2_saveexec_b32 s0, s0
; %bb.187:
	v_cmp_lt_i64_e32 vcc_lo, v[3:4], v[1:2]
	v_mov_b32_e32 v9, 1
	v_cndmask_b32_e32 v2, v2, v4, vcc_lo
	v_cndmask_b32_e32 v1, v1, v3, vcc_lo
; %bb.188:
	s_or_b32 exec_lo, exec_lo, s0
.LBB316_189:
	s_or_b32 exec_lo, exec_lo, s1
	v_mbcnt_lo_u32_b32 v5, -1, 0
	v_and_b32_e32 v6, 0xe0, v0
	s_min_u32 s0, s10, 0x100
	s_mov_b32 s1, exec_lo
	v_cmp_ne_u32_e32 vcc_lo, 31, v5
	v_sub_nc_u32_e64 v6, s0, v6 clamp
	v_add_nc_u32_e32 v8, 1, v5
	v_add_co_ci_u32_e64 v3, null, 0, v5, vcc_lo
	v_lshlrev_b32_e32 v4, 2, v3
	ds_bpermute_b32 v7, v4, v9
	ds_bpermute_b32 v3, v4, v1
	;; [unrolled: 1-line block ×3, first 2 shown]
	v_cmpx_lt_u32_e64 v8, v6
	s_xor_b32 s1, exec_lo, s1
	s_cbranch_execz .LBB316_195
; %bb.190:
	s_waitcnt lgkmcnt(2)
	v_and_b32_e32 v8, v7, v9
	s_mov_b32 s2, exec_lo
	v_cmpx_ne_u32_e32 0, v8
	s_xor_b32 s2, exec_lo, s2
	s_cbranch_execz .LBB316_192
; %bb.191:
	s_waitcnt lgkmcnt(0)
	v_cmp_lt_i64_e32 vcc_lo, v[3:4], v[1:2]
                                        ; implicit-def: $vgpr9
                                        ; implicit-def: $vgpr7
	v_cndmask_b32_e32 v2, v2, v4, vcc_lo
	v_cndmask_b32_e32 v1, v1, v3, vcc_lo
                                        ; implicit-def: $vgpr3_vgpr4
.LBB316_192:
	s_or_saveexec_b32 s2, s2
	v_mov_b32_e32 v8, 1
	s_xor_b32 exec_lo, exec_lo, s2
	s_cbranch_execz .LBB316_194
; %bb.193:
	v_and_b32_e32 v8, 1, v9
	v_and_b32_e32 v7, 0xff, v7
	v_cmp_eq_u32_e32 vcc_lo, 1, v8
	s_waitcnt lgkmcnt(0)
	v_cndmask_b32_e32 v2, v4, v2, vcc_lo
	v_cndmask_b32_e32 v1, v3, v1, vcc_lo
	v_cndmask_b32_e64 v8, v7, 1, vcc_lo
.LBB316_194:
	s_or_b32 exec_lo, exec_lo, s2
	v_mov_b32_e32 v9, v8
.LBB316_195:
	s_or_b32 exec_lo, exec_lo, s1
	v_cmp_gt_u32_e32 vcc_lo, 30, v5
	v_add_nc_u32_e32 v8, 2, v5
	s_mov_b32 s1, exec_lo
	s_waitcnt lgkmcnt(1)
	v_cndmask_b32_e64 v3, 0, 2, vcc_lo
	s_waitcnt lgkmcnt(0)
	v_add_lshl_u32 v4, v3, v5, 2
	ds_bpermute_b32 v7, v4, v9
	ds_bpermute_b32 v3, v4, v1
	ds_bpermute_b32 v4, v4, v2
	v_cmpx_lt_u32_e64 v8, v6
	s_cbranch_execz .LBB316_201
; %bb.196:
	s_waitcnt lgkmcnt(2)
	v_and_b32_e32 v8, v9, v7
	s_mov_b32 s2, exec_lo
	v_and_b32_e32 v8, 1, v8
	v_cmpx_eq_u32_e32 1, v8
	s_xor_b32 s2, exec_lo, s2
	s_cbranch_execz .LBB316_198
; %bb.197:
	s_waitcnt lgkmcnt(0)
	v_cmp_lt_i64_e32 vcc_lo, v[3:4], v[1:2]
                                        ; implicit-def: $vgpr9
                                        ; implicit-def: $vgpr7
	v_cndmask_b32_e32 v2, v2, v4, vcc_lo
	v_cndmask_b32_e32 v1, v1, v3, vcc_lo
                                        ; implicit-def: $vgpr3_vgpr4
.LBB316_198:
	s_or_saveexec_b32 s2, s2
	v_mov_b32_e32 v8, 1
	s_xor_b32 exec_lo, exec_lo, s2
	s_cbranch_execz .LBB316_200
; %bb.199:
	v_and_b32_e32 v8, 1, v9
	v_and_b32_e32 v7, 0xff, v7
	v_cmp_eq_u32_e32 vcc_lo, 1, v8
	s_waitcnt lgkmcnt(0)
	v_cndmask_b32_e32 v2, v4, v2, vcc_lo
	v_cndmask_b32_e32 v1, v3, v1, vcc_lo
	v_cndmask_b32_e64 v8, v7, 1, vcc_lo
.LBB316_200:
	s_or_b32 exec_lo, exec_lo, s2
	v_mov_b32_e32 v9, v8
.LBB316_201:
	s_or_b32 exec_lo, exec_lo, s1
	v_cmp_gt_u32_e32 vcc_lo, 28, v5
	v_add_nc_u32_e32 v8, 4, v5
	s_mov_b32 s1, exec_lo
	s_waitcnt lgkmcnt(1)
	v_cndmask_b32_e64 v3, 0, 4, vcc_lo
	s_waitcnt lgkmcnt(0)
	v_add_lshl_u32 v4, v3, v5, 2
	ds_bpermute_b32 v7, v4, v9
	ds_bpermute_b32 v3, v4, v1
	ds_bpermute_b32 v4, v4, v2
	v_cmpx_lt_u32_e64 v8, v6
	s_cbranch_execz .LBB316_207
; %bb.202:
	s_waitcnt lgkmcnt(2)
	v_and_b32_e32 v8, v9, v7
	s_mov_b32 s2, exec_lo
	v_and_b32_e32 v8, 1, v8
	v_cmpx_eq_u32_e32 1, v8
	s_xor_b32 s2, exec_lo, s2
	s_cbranch_execz .LBB316_204
; %bb.203:
	s_waitcnt lgkmcnt(0)
	v_cmp_lt_i64_e32 vcc_lo, v[3:4], v[1:2]
                                        ; implicit-def: $vgpr9
                                        ; implicit-def: $vgpr7
	v_cndmask_b32_e32 v2, v2, v4, vcc_lo
	v_cndmask_b32_e32 v1, v1, v3, vcc_lo
                                        ; implicit-def: $vgpr3_vgpr4
.LBB316_204:
	s_or_saveexec_b32 s2, s2
	v_mov_b32_e32 v8, 1
	s_xor_b32 exec_lo, exec_lo, s2
	s_cbranch_execz .LBB316_206
; %bb.205:
	v_and_b32_e32 v8, 1, v9
	v_and_b32_e32 v7, 0xff, v7
	v_cmp_eq_u32_e32 vcc_lo, 1, v8
	s_waitcnt lgkmcnt(0)
	v_cndmask_b32_e32 v2, v4, v2, vcc_lo
	v_cndmask_b32_e32 v1, v3, v1, vcc_lo
	v_cndmask_b32_e64 v8, v7, 1, vcc_lo
.LBB316_206:
	s_or_b32 exec_lo, exec_lo, s2
	v_mov_b32_e32 v9, v8
.LBB316_207:
	;; [unrolled: 46-line block ×3, first 2 shown]
	s_or_b32 exec_lo, exec_lo, s1
	s_waitcnt lgkmcnt(2)
	v_lshlrev_b32_e32 v7, 2, v5
	v_add_nc_u32_e32 v10, 16, v5
	s_waitcnt lgkmcnt(0)
	v_or_b32_e32 v4, 64, v7
	v_cmp_lt_u32_e32 vcc_lo, v10, v6
	v_mov_b32_e32 v6, v9
	ds_bpermute_b32 v8, v4, v9
	ds_bpermute_b32 v3, v4, v1
	;; [unrolled: 1-line block ×3, first 2 shown]
	s_and_saveexec_b32 s1, vcc_lo
	s_cbranch_execz .LBB316_219
; %bb.214:
	s_waitcnt lgkmcnt(2)
	v_and_b32_e32 v6, v9, v8
	s_mov_b32 s2, exec_lo
	v_and_b32_e32 v6, 1, v6
	v_cmpx_eq_u32_e32 1, v6
	s_xor_b32 s2, exec_lo, s2
	s_cbranch_execz .LBB316_216
; %bb.215:
	s_waitcnt lgkmcnt(0)
	v_cmp_lt_i64_e32 vcc_lo, v[3:4], v[1:2]
                                        ; implicit-def: $vgpr9
                                        ; implicit-def: $vgpr8
	v_cndmask_b32_e32 v2, v2, v4, vcc_lo
	v_cndmask_b32_e32 v1, v1, v3, vcc_lo
                                        ; implicit-def: $vgpr3_vgpr4
.LBB316_216:
	s_or_saveexec_b32 s2, s2
	v_mov_b32_e32 v6, 1
	s_xor_b32 exec_lo, exec_lo, s2
	s_cbranch_execz .LBB316_218
; %bb.217:
	v_and_b32_e32 v6, 1, v9
	v_cmp_eq_u32_e32 vcc_lo, 1, v6
	v_cndmask_b32_e64 v6, v8, 1, vcc_lo
	s_waitcnt lgkmcnt(0)
	v_cndmask_b32_e32 v2, v4, v2, vcc_lo
	v_cndmask_b32_e32 v1, v3, v1, vcc_lo
.LBB316_218:
	s_or_b32 exec_lo, exec_lo, s2
	v_and_b32_e32 v9, 0xff, v6
.LBB316_219:
	s_or_b32 exec_lo, exec_lo, s1
	s_mov_b32 s1, exec_lo
	v_cmpx_eq_u32_e32 0, v5
	s_cbranch_execz .LBB316_221
; %bb.220:
	s_waitcnt lgkmcnt(1)
	v_lshrrev_b32_e32 v3, 1, v0
	v_and_b32_e32 v3, 0x70, v3
	ds_write_b8 v3, v6 offset:512
	ds_write_b64 v3, v[1:2] offset:520
.LBB316_221:
	s_or_b32 exec_lo, exec_lo, s1
	s_mov_b32 s1, exec_lo
	s_waitcnt lgkmcnt(0)
	s_barrier
	buffer_gl0_inv
	v_cmpx_gt_u32_e32 8, v0
	s_cbranch_execz .LBB316_241
; %bb.222:
	v_lshlrev_b32_e32 v1, 4, v5
	v_and_b32_e32 v6, 7, v5
	s_add_i32 s0, s0, 31
	s_mov_b32 s2, exec_lo
	s_lshr_b32 s0, s0, 5
	ds_read_u8 v8, v1 offset:512
	ds_read_b64 v[1:2], v1 offset:520
	v_cmp_ne_u32_e32 vcc_lo, 7, v6
	v_add_nc_u32_e32 v11, 1, v6
	v_add_co_ci_u32_e64 v3, null, 0, v5, vcc_lo
	v_lshlrev_b32_e32 v4, 2, v3
	s_waitcnt lgkmcnt(1)
	v_and_b32_e32 v9, 0xff, v8
	s_waitcnt lgkmcnt(0)
	ds_bpermute_b32 v3, v4, v1
	ds_bpermute_b32 v10, v4, v9
	;; [unrolled: 1-line block ×3, first 2 shown]
	v_cmpx_gt_u32_e64 s0, v11
	s_cbranch_execz .LBB316_228
; %bb.223:
	s_waitcnt lgkmcnt(1)
	v_and_b32_e32 v9, v9, v10
	s_mov_b32 s3, exec_lo
	v_and_b32_e32 v9, 1, v9
	v_cmpx_eq_u32_e32 1, v9
	s_xor_b32 s3, exec_lo, s3
	s_cbranch_execz .LBB316_225
; %bb.224:
	s_waitcnt lgkmcnt(0)
	v_cmp_lt_i64_e32 vcc_lo, v[3:4], v[1:2]
                                        ; implicit-def: $vgpr8
                                        ; implicit-def: $vgpr10
	v_cndmask_b32_e32 v2, v2, v4, vcc_lo
	v_cndmask_b32_e32 v1, v1, v3, vcc_lo
                                        ; implicit-def: $vgpr3_vgpr4
.LBB316_225:
	s_or_saveexec_b32 s3, s3
	v_mov_b32_e32 v9, 1
	s_xor_b32 exec_lo, exec_lo, s3
	s_cbranch_execz .LBB316_227
; %bb.226:
	v_and_b32_e32 v8, 1, v8
	v_cmp_eq_u32_e32 vcc_lo, 1, v8
	v_and_b32_e32 v8, 0xff, v10
	s_waitcnt lgkmcnt(0)
	v_cndmask_b32_e32 v2, v4, v2, vcc_lo
	v_cndmask_b32_e32 v1, v3, v1, vcc_lo
	v_cndmask_b32_e64 v9, v8, 1, vcc_lo
.LBB316_227:
	s_or_b32 exec_lo, exec_lo, s3
.LBB316_228:
	s_or_b32 exec_lo, exec_lo, s2
	v_cmp_gt_u32_e32 vcc_lo, 6, v6
	v_add_nc_u32_e32 v8, 2, v6
	s_mov_b32 s2, exec_lo
	s_waitcnt lgkmcnt(2)
	v_cndmask_b32_e64 v3, 0, 2, vcc_lo
	s_waitcnt lgkmcnt(0)
	v_add_lshl_u32 v4, v3, v5, 2
	ds_bpermute_b32 v5, v4, v9
	ds_bpermute_b32 v3, v4, v1
	;; [unrolled: 1-line block ×3, first 2 shown]
	v_cmpx_gt_u32_e64 s0, v8
	s_cbranch_execz .LBB316_234
; %bb.229:
	s_waitcnt lgkmcnt(2)
	v_and_b32_e32 v8, v9, v5
	s_mov_b32 s3, exec_lo
	v_and_b32_e32 v8, 1, v8
	v_cmpx_eq_u32_e32 1, v8
	s_xor_b32 s3, exec_lo, s3
	s_cbranch_execz .LBB316_231
; %bb.230:
	s_waitcnt lgkmcnt(0)
	v_cmp_lt_i64_e32 vcc_lo, v[3:4], v[1:2]
                                        ; implicit-def: $vgpr9
                                        ; implicit-def: $vgpr5
	v_cndmask_b32_e32 v2, v2, v4, vcc_lo
	v_cndmask_b32_e32 v1, v1, v3, vcc_lo
                                        ; implicit-def: $vgpr3_vgpr4
.LBB316_231:
	s_or_saveexec_b32 s3, s3
	v_mov_b32_e32 v8, 1
	s_xor_b32 exec_lo, exec_lo, s3
	s_cbranch_execz .LBB316_233
; %bb.232:
	v_and_b32_e32 v8, 1, v9
	v_and_b32_e32 v5, 0xff, v5
	v_cmp_eq_u32_e32 vcc_lo, 1, v8
	s_waitcnt lgkmcnt(0)
	v_cndmask_b32_e32 v2, v4, v2, vcc_lo
	v_cndmask_b32_e32 v1, v3, v1, vcc_lo
	v_cndmask_b32_e64 v8, v5, 1, vcc_lo
.LBB316_233:
	s_or_b32 exec_lo, exec_lo, s3
	v_mov_b32_e32 v9, v8
.LBB316_234:
	s_or_b32 exec_lo, exec_lo, s2
	s_waitcnt lgkmcnt(0)
	v_or_b32_e32 v4, 16, v7
	v_add_nc_u32_e32 v6, 4, v6
	ds_bpermute_b32 v5, v4, v9
	ds_bpermute_b32 v3, v4, v1
	ds_bpermute_b32 v4, v4, v2
	v_cmp_gt_u32_e32 vcc_lo, s0, v6
	s_and_saveexec_b32 s0, vcc_lo
	s_cbranch_execz .LBB316_240
; %bb.235:
	s_waitcnt lgkmcnt(2)
	v_and_b32_e32 v6, v9, v5
	s_mov_b32 s2, exec_lo
	v_and_b32_e32 v6, 1, v6
	v_cmpx_eq_u32_e32 1, v6
	s_xor_b32 s2, exec_lo, s2
	s_cbranch_execz .LBB316_237
; %bb.236:
	s_waitcnt lgkmcnt(0)
	v_cmp_lt_i64_e32 vcc_lo, v[3:4], v[1:2]
                                        ; implicit-def: $vgpr9
                                        ; implicit-def: $vgpr5
	v_cndmask_b32_e32 v2, v2, v4, vcc_lo
	v_cndmask_b32_e32 v1, v1, v3, vcc_lo
                                        ; implicit-def: $vgpr3_vgpr4
.LBB316_237:
	s_or_saveexec_b32 s2, s2
	v_mov_b32_e32 v6, 1
	s_xor_b32 exec_lo, exec_lo, s2
	s_cbranch_execz .LBB316_239
; %bb.238:
	v_and_b32_e32 v6, 1, v9
	v_cmp_eq_u32_e32 vcc_lo, 1, v6
	s_waitcnt lgkmcnt(0)
	v_cndmask_b32_e32 v2, v4, v2, vcc_lo
	v_cndmask_b32_e32 v1, v3, v1, vcc_lo
	v_cndmask_b32_e64 v6, v5, 1, vcc_lo
.LBB316_239:
	s_or_b32 exec_lo, exec_lo, s2
	v_mov_b32_e32 v9, v6
.LBB316_240:
	s_or_b32 exec_lo, exec_lo, s0
.LBB316_241:
	s_or_b32 exec_lo, exec_lo, s1
.LBB316_242:
                                        ; implicit-def: $vgpr3_vgpr4
                                        ; implicit-def: $vgpr5
	s_mov_b32 s0, exec_lo
	v_cmpx_eq_u32_e32 0, v0
	s_xor_b32 s2, exec_lo, s0
	s_cbranch_execz .LBB316_246
; %bb.243:
	s_waitcnt lgkmcnt(0)
	v_mov_b32_e32 v3, s20
	v_mov_b32_e32 v4, s21
	;; [unrolled: 1-line block ×3, first 2 shown]
	s_cmp_eq_u64 s[14:15], 0
	s_cbranch_scc1 .LBB316_245
; %bb.244:
	v_and_b32_e32 v3, 1, v9
	v_cmp_gt_i64_e32 vcc_lo, s[20:21], v[1:2]
	s_bitcmp1_b32 s24, 0
	s_cselect_b32 s1, -1, 0
	v_cmp_eq_u32_e64 s0, 1, v3
	v_cndmask_b32_e64 v5, v9, 1, s1
	s_and_b32 vcc_lo, s0, vcc_lo
	v_cndmask_b32_e32 v3, s20, v1, vcc_lo
	v_cndmask_b32_e32 v4, s21, v2, vcc_lo
	v_cndmask_b32_e64 v3, v1, v3, s1
	v_cndmask_b32_e64 v4, v2, v4, s1
.LBB316_245:
	s_or_b32 s22, s22, exec_lo
.LBB316_246:
	s_or_b32 exec_lo, exec_lo, s2
	v_mov_b32_e32 v1, s6
	v_mov_b32_e32 v2, s7
	s_branch .LBB316_356
.LBB316_247:
	s_cmp_gt_i32 s25, 1
	s_cbranch_scc0 .LBB316_267
; %bb.248:
	s_cmp_eq_u32 s25, 2
	s_cbranch_scc0 .LBB316_268
; %bb.249:
	s_mov_b32 s7, 0
	s_lshl_b32 s10, s6, 9
	s_mov_b32 s11, s7
	s_lshr_b64 s[26:27], s[14:15], 9
	s_lshl_b64 s[0:1], s[10:11], 1
	s_add_u32 s2, s16, s0
	s_addc_u32 s3, s17, s1
	s_add_u32 s8, s18, s0
	s_addc_u32 s9, s19, s1
	;; [unrolled: 2-line block ×3, first 2 shown]
	s_cmp_lg_u64 s[26:27], s[6:7]
	s_cbranch_scc0 .LBB316_269
; %bb.250:
	v_lshlrev_b32_e32 v1, 1, v0
	s_waitcnt lgkmcnt(1)
	v_add_co_u32 v5, s0, s11, v0
	s_waitcnt lgkmcnt(0)
	v_add_co_ci_u32_e64 v6, null, s23, 0, s0
	s_clause 0x3
	global_load_ushort v2, v1, s[2:3]
	global_load_ushort v3, v1, s[8:9]
	global_load_ushort v4, v1, s[8:9] offset:512
	global_load_ushort v1, v1, s[2:3] offset:512
	v_add_co_u32 v7, vcc_lo, 0x100, v5
	v_add_co_ci_u32_e64 v8, null, 0, v6, vcc_lo
	s_waitcnt vmcnt(2)
	v_cmp_ne_u16_e32 vcc_lo, v2, v3
	s_waitcnt vmcnt(0)
	v_cmp_ne_u16_e64 s0, v1, v4
	v_cndmask_b32_e32 v2, v8, v6, vcc_lo
	v_cndmask_b32_e32 v1, v7, v5, vcc_lo
	s_or_b32 s0, vcc_lo, s0
	v_mbcnt_lo_u32_b32 v8, -1, 0
	v_cndmask_b32_e64 v5, 0, 1, s0
	v_mov_b32_dpp v4, v2 quad_perm:[1,0,3,2] row_mask:0xf bank_mask:0xf
	v_mov_b32_dpp v3, v1 quad_perm:[1,0,3,2] row_mask:0xf bank_mask:0xf
	;; [unrolled: 1-line block ×3, first 2 shown]
	v_cmp_lt_i64_e32 vcc_lo, v[1:2], v[3:4]
	v_and_b32_e32 v6, 1, v6
	s_and_b32 vcc_lo, s0, vcc_lo
	v_cndmask_b32_e32 v3, v3, v1, vcc_lo
	v_cndmask_b32_e32 v4, v4, v2, vcc_lo
	v_cmp_eq_u32_e32 vcc_lo, 1, v6
	v_cndmask_b32_e32 v2, v2, v4, vcc_lo
	v_cndmask_b32_e32 v1, v1, v3, vcc_lo
	v_cndmask_b32_e64 v5, v5, 1, vcc_lo
	v_mov_b32_dpp v4, v2 quad_perm:[2,3,0,1] row_mask:0xf bank_mask:0xf
	v_mov_b32_dpp v3, v1 quad_perm:[2,3,0,1] row_mask:0xf bank_mask:0xf
	v_and_b32_e32 v7, 1, v5
	v_mov_b32_dpp v6, v5 quad_perm:[2,3,0,1] row_mask:0xf bank_mask:0xf
	v_cmp_lt_i64_e32 vcc_lo, v[1:2], v[3:4]
	v_cmp_eq_u32_e64 s0, 1, v7
	v_and_b32_e32 v6, 1, v6
	s_and_b32 vcc_lo, s0, vcc_lo
	v_cmp_eq_u32_e64 s1, 1, v6
	v_cndmask_b32_e32 v3, v3, v1, vcc_lo
	v_cndmask_b32_e32 v4, v4, v2, vcc_lo
	v_cndmask_b32_e64 v5, v5, 1, s1
	v_cndmask_b32_e64 v1, v1, v3, s1
	v_cndmask_b32_e64 v2, v2, v4, s1
	v_and_b32_e32 v7, 1, v5
	v_mov_b32_dpp v3, v1 row_ror:4 row_mask:0xf bank_mask:0xf
	v_mov_b32_dpp v4, v2 row_ror:4 row_mask:0xf bank_mask:0xf
	;; [unrolled: 1-line block ×3, first 2 shown]
	v_cmp_eq_u32_e64 s0, 1, v7
	v_cmp_lt_i64_e32 vcc_lo, v[1:2], v[3:4]
	v_and_b32_e32 v6, 1, v6
	s_and_b32 vcc_lo, s0, vcc_lo
	v_cmp_eq_u32_e64 s1, 1, v6
	v_cndmask_b32_e32 v3, v3, v1, vcc_lo
	v_cndmask_b32_e32 v4, v4, v2, vcc_lo
	v_cndmask_b32_e64 v5, v5, 1, s1
	v_cndmask_b32_e64 v1, v1, v3, s1
	;; [unrolled: 1-line block ×3, first 2 shown]
	v_and_b32_e32 v7, 1, v5
	v_mov_b32_dpp v3, v1 row_ror:8 row_mask:0xf bank_mask:0xf
	v_mov_b32_dpp v4, v2 row_ror:8 row_mask:0xf bank_mask:0xf
	;; [unrolled: 1-line block ×3, first 2 shown]
	v_cmp_eq_u32_e64 s0, 1, v7
	v_cmp_lt_i64_e32 vcc_lo, v[1:2], v[3:4]
	v_and_b32_e32 v6, 1, v6
	s_and_b32 vcc_lo, s0, vcc_lo
	v_cmp_eq_u32_e64 s1, 1, v6
	v_cndmask_b32_e32 v3, v3, v1, vcc_lo
	v_cndmask_b32_e32 v4, v4, v2, vcc_lo
	v_cndmask_b32_e64 v5, v5, 1, s1
	v_cndmask_b32_e64 v1, v1, v3, s1
	;; [unrolled: 1-line block ×3, first 2 shown]
	ds_swizzle_b32 v6, v5 offset:swizzle(BROADCAST,32,15)
	ds_swizzle_b32 v3, v1 offset:swizzle(BROADCAST,32,15)
	;; [unrolled: 1-line block ×3, first 2 shown]
	v_and_b32_e32 v7, 1, v5
	v_cmp_eq_u32_e64 s0, 1, v7
	s_waitcnt lgkmcnt(2)
	v_and_b32_e32 v6, 1, v6
	s_waitcnt lgkmcnt(0)
	v_cmp_lt_i64_e32 vcc_lo, v[1:2], v[3:4]
	v_cmp_eq_u32_e64 s1, 1, v6
	v_mov_b32_e32 v6, 0
	s_and_b32 vcc_lo, s0, vcc_lo
	s_mov_b32 s0, exec_lo
	v_cndmask_b32_e32 v3, v3, v1, vcc_lo
	v_cndmask_b32_e32 v4, v4, v2, vcc_lo
	v_cndmask_b32_e64 v5, v5, 1, s1
	v_cndmask_b32_e64 v1, v1, v3, s1
	;; [unrolled: 1-line block ×3, first 2 shown]
	ds_bpermute_b32 v7, v6, v5 offset:124
	ds_bpermute_b32 v1, v6, v1 offset:124
	;; [unrolled: 1-line block ×3, first 2 shown]
	v_cmpx_eq_u32_e32 0, v8
	s_cbranch_execz .LBB316_252
; %bb.251:
	v_lshrrev_b32_e32 v3, 1, v0
	v_and_b32_e32 v3, 0x70, v3
	s_waitcnt lgkmcnt(2)
	ds_write_b8 v3, v7 offset:128
	s_waitcnt lgkmcnt(1)
	ds_write_b64 v3, v[1:2] offset:136
.LBB316_252:
	s_or_b32 exec_lo, exec_lo, s0
	s_mov_b32 s0, exec_lo
	s_waitcnt lgkmcnt(0)
	s_barrier
	buffer_gl0_inv
	v_cmpx_gt_u32_e32 32, v0
	s_cbranch_execz .LBB316_266
; %bb.253:
	v_and_b32_e32 v7, 7, v8
	v_lshlrev_b32_e32 v1, 4, v7
	v_cmp_ne_u32_e32 vcc_lo, 7, v7
	ds_read_u8 v10, v1 offset:128
	ds_read_b64 v[3:4], v1 offset:136
	v_add_co_ci_u32_e64 v2, null, 0, v8, vcc_lo
	v_lshlrev_b32_e32 v2, 2, v2
	s_waitcnt lgkmcnt(1)
	v_and_b32_e32 v1, 0xff, v10
	s_waitcnt lgkmcnt(0)
	ds_bpermute_b32 v5, v2, v3
	ds_bpermute_b32 v6, v2, v4
	;; [unrolled: 1-line block ×3, first 2 shown]
	s_waitcnt lgkmcnt(0)
	v_and_b32_e32 v1, v10, v11
	v_and_b32_e32 v1, 1, v1
	v_cmp_eq_u32_e32 vcc_lo, 1, v1
                                        ; implicit-def: $vgpr1_vgpr2
	s_and_saveexec_b32 s1, vcc_lo
	s_xor_b32 s1, exec_lo, s1
; %bb.254:
	v_cmp_lt_i64_e32 vcc_lo, v[5:6], v[3:4]
                                        ; implicit-def: $vgpr10
                                        ; implicit-def: $vgpr11
	v_cndmask_b32_e32 v2, v4, v6, vcc_lo
	v_cndmask_b32_e32 v1, v3, v5, vcc_lo
                                        ; implicit-def: $vgpr5_vgpr6
                                        ; implicit-def: $vgpr3_vgpr4
; %bb.255:
	s_or_saveexec_b32 s1, s1
	v_mov_b32_e32 v9, 1
	s_xor_b32 exec_lo, exec_lo, s1
; %bb.256:
	v_and_b32_e32 v1, 1, v10
	v_and_b32_e32 v9, 0xff, v11
	v_cmp_eq_u32_e32 vcc_lo, 1, v1
	v_cndmask_b32_e32 v2, v6, v4, vcc_lo
	v_cndmask_b32_e32 v1, v5, v3, vcc_lo
	v_cndmask_b32_e64 v9, v9, 1, vcc_lo
; %bb.257:
	s_or_b32 exec_lo, exec_lo, s1
	v_cmp_gt_u32_e32 vcc_lo, 6, v7
	v_cndmask_b32_e64 v3, 0, 2, vcc_lo
	v_add_lshl_u32 v3, v3, v8, 2
	ds_bpermute_b32 v7, v3, v9
	ds_bpermute_b32 v5, v3, v1
	;; [unrolled: 1-line block ×3, first 2 shown]
	s_waitcnt lgkmcnt(2)
	v_and_b32_e32 v3, v9, v7
	v_and_b32_e32 v3, 1, v3
	v_cmp_eq_u32_e32 vcc_lo, 1, v3
                                        ; implicit-def: $vgpr3_vgpr4
	s_and_saveexec_b32 s1, vcc_lo
	s_xor_b32 s1, exec_lo, s1
	s_cbranch_execz .LBB316_259
; %bb.258:
	s_waitcnt lgkmcnt(0)
	v_cmp_lt_i64_e32 vcc_lo, v[5:6], v[1:2]
                                        ; implicit-def: $vgpr9
                                        ; implicit-def: $vgpr7
	v_cndmask_b32_e32 v4, v2, v6, vcc_lo
	v_cndmask_b32_e32 v3, v1, v5, vcc_lo
                                        ; implicit-def: $vgpr5_vgpr6
                                        ; implicit-def: $vgpr1_vgpr2
.LBB316_259:
	s_or_saveexec_b32 s1, s1
	v_lshlrev_b32_e32 v10, 2, v8
	v_mov_b32_e32 v8, 1
	s_xor_b32 exec_lo, exec_lo, s1
	s_cbranch_execz .LBB316_261
; %bb.260:
	v_and_b32_e32 v3, 1, v9
	v_and_b32_e32 v7, 0xff, v7
	v_cmp_eq_u32_e32 vcc_lo, 1, v3
	s_waitcnt lgkmcnt(0)
	v_cndmask_b32_e32 v4, v6, v2, vcc_lo
	v_cndmask_b32_e32 v3, v5, v1, vcc_lo
	v_cndmask_b32_e64 v8, v7, 1, vcc_lo
.LBB316_261:
	s_or_b32 exec_lo, exec_lo, s1
	v_or_b32_e32 v1, 16, v10
	ds_bpermute_b32 v9, v1, v8
	s_waitcnt lgkmcnt(2)
	ds_bpermute_b32 v5, v1, v3
	s_waitcnt lgkmcnt(2)
	;; [unrolled: 2-line block ×3, first 2 shown]
	v_and_b32_e32 v1, v8, v9
	v_and_b32_e32 v1, 1, v1
	v_cmp_eq_u32_e32 vcc_lo, 1, v1
                                        ; implicit-def: $vgpr1_vgpr2
	s_and_saveexec_b32 s1, vcc_lo
	s_xor_b32 s1, exec_lo, s1
	s_cbranch_execz .LBB316_263
; %bb.262:
	s_waitcnt lgkmcnt(0)
	v_cmp_lt_i64_e32 vcc_lo, v[5:6], v[3:4]
                                        ; implicit-def: $vgpr8
                                        ; implicit-def: $vgpr9
	v_cndmask_b32_e32 v2, v4, v6, vcc_lo
	v_cndmask_b32_e32 v1, v3, v5, vcc_lo
                                        ; implicit-def: $vgpr5_vgpr6
                                        ; implicit-def: $vgpr3_vgpr4
.LBB316_263:
	s_or_saveexec_b32 s1, s1
	v_mov_b32_e32 v7, 1
	s_xor_b32 exec_lo, exec_lo, s1
	s_cbranch_execz .LBB316_265
; %bb.264:
	v_and_b32_e32 v1, 1, v8
	v_cmp_eq_u32_e32 vcc_lo, 1, v1
	s_waitcnt lgkmcnt(0)
	v_cndmask_b32_e32 v2, v6, v4, vcc_lo
	v_cndmask_b32_e32 v1, v5, v3, vcc_lo
	v_cndmask_b32_e64 v7, v9, 1, vcc_lo
.LBB316_265:
	s_or_b32 exec_lo, exec_lo, s1
.LBB316_266:
	s_or_b32 exec_lo, exec_lo, s0
	s_branch .LBB316_327
.LBB316_267:
                                        ; implicit-def: $vgpr3_vgpr4
                                        ; implicit-def: $vgpr5
                                        ; implicit-def: $vgpr1_vgpr2
	s_cbranch_execnz .LBB316_332
	s_branch .LBB316_356
.LBB316_268:
                                        ; implicit-def: $vgpr3_vgpr4
                                        ; implicit-def: $vgpr5
                                        ; implicit-def: $vgpr1_vgpr2
	s_branch .LBB316_356
.LBB316_269:
                                        ; implicit-def: $vgpr1_vgpr2
                                        ; implicit-def: $vgpr7
	s_cbranch_execz .LBB316_327
; %bb.270:
	s_waitcnt lgkmcnt(0)
	v_mov_b32_e32 v3, 0
	v_mov_b32_e32 v1, 0
	;; [unrolled: 1-line block ×6, first 2 shown]
	s_sub_i32 s10, s14, s10
	s_mov_b32 s0, exec_lo
	v_cmpx_gt_u32_e64 s10, v0
	s_cbranch_execz .LBB316_272
; %bb.271:
	v_lshlrev_b32_e32 v1, 1, v0
	s_clause 0x1
	global_load_ushort v6, v1, s[2:3]
	global_load_ushort v7, v1, s[8:9]
	v_add_co_u32 v1, s1, s11, v0
	v_add_co_ci_u32_e64 v2, null, s23, 0, s1
	s_waitcnt vmcnt(0)
	v_cmp_ne_u16_e32 vcc_lo, v6, v7
	v_cndmask_b32_e64 v6, 0, 1, vcc_lo
.LBB316_272:
	s_or_b32 exec_lo, exec_lo, s0
	v_or_b32_e32 v7, 0x100, v0
	v_cmp_gt_u32_e32 vcc_lo, s10, v7
	s_and_saveexec_b32 s1, vcc_lo
	s_cbranch_execz .LBB316_274
; %bb.273:
	v_lshlrev_b32_e32 v3, 1, v0
	s_clause 0x1
	global_load_ushort v5, v3, s[2:3] offset:512
	global_load_ushort v8, v3, s[8:9] offset:512
	v_add_co_u32 v3, s0, s11, v7
	v_add_co_ci_u32_e64 v4, null, s23, 0, s0
	s_waitcnt vmcnt(0)
	v_cmp_ne_u16_e64 s0, v5, v8
	v_cndmask_b32_e64 v5, 0, 1, s0
.LBB316_274:
	s_or_b32 exec_lo, exec_lo, s1
	v_and_b32_e32 v7, 1, v5
	v_cmp_lt_i64_e64 s0, v[3:4], v[1:2]
	v_and_b32_e32 v8, 0xffff, v5
	v_mbcnt_lo_u32_b32 v5, -1, 0
	v_cmp_eq_u32_e64 s1, 1, v7
	v_and_b32_e32 v7, 0xffff, v6
	v_and_b32_e32 v6, 1, v6
	s_and_b32 s0, s1, s0
	v_cmp_ne_u32_e64 s1, 31, v5
	v_cndmask_b32_e64 v9, v2, v4, s0
	v_cndmask_b32_e64 v10, v1, v3, s0
	v_cmp_eq_u32_e64 s0, 1, v6
	v_cndmask_b32_e64 v6, v8, 1, s0
	v_add_co_ci_u32_e64 v8, null, 0, v5, s1
	v_cndmask_b32_e64 v3, v3, v10, s0
	v_cndmask_b32_e64 v4, v4, v9, s0
	v_cndmask_b32_e32 v7, v7, v6, vcc_lo
	v_lshlrev_b32_e32 v6, 2, v8
	s_min_u32 s0, s10, 0x100
	v_cndmask_b32_e32 v1, v1, v3, vcc_lo
	v_cndmask_b32_e32 v2, v2, v4, vcc_lo
	v_add_nc_u32_e32 v9, 1, v5
	ds_bpermute_b32 v8, v6, v7
	s_mov_b32 s1, exec_lo
	ds_bpermute_b32 v3, v6, v1
	ds_bpermute_b32 v4, v6, v2
	v_and_b32_e32 v6, 0xe0, v0
	v_sub_nc_u32_e64 v6, s0, v6 clamp
	v_cmpx_lt_u32_e64 v9, v6
	s_cbranch_execz .LBB316_280
; %bb.275:
	s_waitcnt lgkmcnt(2)
	v_and_b32_e32 v9, v7, v8
	s_mov_b32 s2, exec_lo
	v_cmpx_ne_u32_e32 0, v9
	s_xor_b32 s2, exec_lo, s2
	s_cbranch_execz .LBB316_277
; %bb.276:
	s_waitcnt lgkmcnt(0)
	v_cmp_lt_i64_e32 vcc_lo, v[3:4], v[1:2]
                                        ; implicit-def: $vgpr7
                                        ; implicit-def: $vgpr8
	v_cndmask_b32_e32 v2, v2, v4, vcc_lo
	v_cndmask_b32_e32 v1, v1, v3, vcc_lo
                                        ; implicit-def: $vgpr3_vgpr4
.LBB316_277:
	s_or_saveexec_b32 s2, s2
	v_mov_b32_e32 v9, 1
	s_xor_b32 exec_lo, exec_lo, s2
	s_cbranch_execz .LBB316_279
; %bb.278:
	v_and_b32_e32 v7, 1, v7
	v_cmp_eq_u32_e32 vcc_lo, 1, v7
	v_and_b32_e32 v7, 0xff, v8
	s_waitcnt lgkmcnt(0)
	v_cndmask_b32_e32 v2, v4, v2, vcc_lo
	v_cndmask_b32_e32 v1, v3, v1, vcc_lo
	v_cndmask_b32_e64 v9, v7, 1, vcc_lo
.LBB316_279:
	s_or_b32 exec_lo, exec_lo, s2
	v_mov_b32_e32 v7, v9
.LBB316_280:
	s_or_b32 exec_lo, exec_lo, s1
	v_cmp_gt_u32_e32 vcc_lo, 30, v5
	v_add_nc_u32_e32 v9, 2, v5
	s_mov_b32 s1, exec_lo
	s_waitcnt lgkmcnt(1)
	v_cndmask_b32_e64 v3, 0, 2, vcc_lo
	s_waitcnt lgkmcnt(0)
	v_add_lshl_u32 v4, v3, v5, 2
	ds_bpermute_b32 v8, v4, v7
	ds_bpermute_b32 v3, v4, v1
	ds_bpermute_b32 v4, v4, v2
	v_cmpx_lt_u32_e64 v9, v6
	s_cbranch_execz .LBB316_286
; %bb.281:
	s_waitcnt lgkmcnt(2)
	v_and_b32_e32 v9, v7, v8
	s_mov_b32 s2, exec_lo
	v_and_b32_e32 v9, 1, v9
	v_cmpx_eq_u32_e32 1, v9
	s_xor_b32 s2, exec_lo, s2
	s_cbranch_execz .LBB316_283
; %bb.282:
	s_waitcnt lgkmcnt(0)
	v_cmp_lt_i64_e32 vcc_lo, v[3:4], v[1:2]
                                        ; implicit-def: $vgpr7
                                        ; implicit-def: $vgpr8
	v_cndmask_b32_e32 v2, v2, v4, vcc_lo
	v_cndmask_b32_e32 v1, v1, v3, vcc_lo
                                        ; implicit-def: $vgpr3_vgpr4
.LBB316_283:
	s_or_saveexec_b32 s2, s2
	v_mov_b32_e32 v9, 1
	s_xor_b32 exec_lo, exec_lo, s2
	s_cbranch_execz .LBB316_285
; %bb.284:
	v_and_b32_e32 v7, 1, v7
	v_cmp_eq_u32_e32 vcc_lo, 1, v7
	v_and_b32_e32 v7, 0xff, v8
	s_waitcnt lgkmcnt(0)
	v_cndmask_b32_e32 v2, v4, v2, vcc_lo
	v_cndmask_b32_e32 v1, v3, v1, vcc_lo
	v_cndmask_b32_e64 v9, v7, 1, vcc_lo
.LBB316_285:
	s_or_b32 exec_lo, exec_lo, s2
	v_mov_b32_e32 v7, v9
.LBB316_286:
	s_or_b32 exec_lo, exec_lo, s1
	v_cmp_gt_u32_e32 vcc_lo, 28, v5
	v_add_nc_u32_e32 v9, 4, v5
	s_mov_b32 s1, exec_lo
	s_waitcnt lgkmcnt(1)
	v_cndmask_b32_e64 v3, 0, 4, vcc_lo
	s_waitcnt lgkmcnt(0)
	v_add_lshl_u32 v4, v3, v5, 2
	ds_bpermute_b32 v8, v4, v7
	ds_bpermute_b32 v3, v4, v1
	ds_bpermute_b32 v4, v4, v2
	v_cmpx_lt_u32_e64 v9, v6
	s_cbranch_execz .LBB316_292
; %bb.287:
	s_waitcnt lgkmcnt(2)
	v_and_b32_e32 v9, v7, v8
	s_mov_b32 s2, exec_lo
	v_and_b32_e32 v9, 1, v9
	v_cmpx_eq_u32_e32 1, v9
	s_xor_b32 s2, exec_lo, s2
	s_cbranch_execz .LBB316_289
; %bb.288:
	s_waitcnt lgkmcnt(0)
	v_cmp_lt_i64_e32 vcc_lo, v[3:4], v[1:2]
                                        ; implicit-def: $vgpr7
                                        ; implicit-def: $vgpr8
	v_cndmask_b32_e32 v2, v2, v4, vcc_lo
	v_cndmask_b32_e32 v1, v1, v3, vcc_lo
                                        ; implicit-def: $vgpr3_vgpr4
.LBB316_289:
	s_or_saveexec_b32 s2, s2
	v_mov_b32_e32 v9, 1
	s_xor_b32 exec_lo, exec_lo, s2
	s_cbranch_execz .LBB316_291
; %bb.290:
	v_and_b32_e32 v7, 1, v7
	v_cmp_eq_u32_e32 vcc_lo, 1, v7
	v_and_b32_e32 v7, 0xff, v8
	s_waitcnt lgkmcnt(0)
	v_cndmask_b32_e32 v2, v4, v2, vcc_lo
	v_cndmask_b32_e32 v1, v3, v1, vcc_lo
	v_cndmask_b32_e64 v9, v7, 1, vcc_lo
.LBB316_291:
	s_or_b32 exec_lo, exec_lo, s2
	v_mov_b32_e32 v7, v9
.LBB316_292:
	;; [unrolled: 46-line block ×3, first 2 shown]
	s_or_b32 exec_lo, exec_lo, s1
	s_waitcnt lgkmcnt(2)
	v_lshlrev_b32_e32 v8, 2, v5
	v_add_nc_u32_e32 v10, 16, v5
	s_waitcnt lgkmcnt(0)
	v_or_b32_e32 v4, 64, v8
	v_cmp_lt_u32_e32 vcc_lo, v10, v6
	v_mov_b32_e32 v6, v7
	ds_bpermute_b32 v9, v4, v7
	ds_bpermute_b32 v3, v4, v1
	;; [unrolled: 1-line block ×3, first 2 shown]
	s_and_saveexec_b32 s1, vcc_lo
	s_cbranch_execz .LBB316_304
; %bb.299:
	s_waitcnt lgkmcnt(2)
	v_and_b32_e32 v6, v7, v9
	s_mov_b32 s2, exec_lo
	v_and_b32_e32 v6, 1, v6
	v_cmpx_eq_u32_e32 1, v6
	s_xor_b32 s2, exec_lo, s2
	s_cbranch_execz .LBB316_301
; %bb.300:
	s_waitcnt lgkmcnt(0)
	v_cmp_lt_i64_e32 vcc_lo, v[3:4], v[1:2]
                                        ; implicit-def: $vgpr7
                                        ; implicit-def: $vgpr9
	v_cndmask_b32_e32 v2, v2, v4, vcc_lo
	v_cndmask_b32_e32 v1, v1, v3, vcc_lo
                                        ; implicit-def: $vgpr3_vgpr4
.LBB316_301:
	s_or_saveexec_b32 s2, s2
	v_mov_b32_e32 v6, 1
	s_xor_b32 exec_lo, exec_lo, s2
	s_cbranch_execz .LBB316_303
; %bb.302:
	v_and_b32_e32 v6, 1, v7
	v_cmp_eq_u32_e32 vcc_lo, 1, v6
	v_cndmask_b32_e64 v6, v9, 1, vcc_lo
	s_waitcnt lgkmcnt(0)
	v_cndmask_b32_e32 v2, v4, v2, vcc_lo
	v_cndmask_b32_e32 v1, v3, v1, vcc_lo
.LBB316_303:
	s_or_b32 exec_lo, exec_lo, s2
	v_and_b32_e32 v7, 0xff, v6
.LBB316_304:
	s_or_b32 exec_lo, exec_lo, s1
	s_mov_b32 s1, exec_lo
	v_cmpx_eq_u32_e32 0, v5
	s_cbranch_execz .LBB316_306
; %bb.305:
	s_waitcnt lgkmcnt(1)
	v_lshrrev_b32_e32 v3, 1, v0
	v_and_b32_e32 v3, 0x70, v3
	ds_write_b8 v3, v6 offset:512
	ds_write_b64 v3, v[1:2] offset:520
.LBB316_306:
	s_or_b32 exec_lo, exec_lo, s1
	s_mov_b32 s1, exec_lo
	s_waitcnt lgkmcnt(0)
	s_barrier
	buffer_gl0_inv
	v_cmpx_gt_u32_e32 8, v0
	s_cbranch_execz .LBB316_326
; %bb.307:
	v_lshlrev_b32_e32 v1, 4, v5
	v_and_b32_e32 v6, 7, v5
	s_add_i32 s0, s0, 31
	s_mov_b32 s2, exec_lo
	s_lshr_b32 s0, s0, 5
	ds_read_u8 v9, v1 offset:512
	ds_read_b64 v[1:2], v1 offset:520
	v_cmp_ne_u32_e32 vcc_lo, 7, v6
	v_add_nc_u32_e32 v11, 1, v6
	v_add_co_ci_u32_e64 v3, null, 0, v5, vcc_lo
	v_lshlrev_b32_e32 v4, 2, v3
	s_waitcnt lgkmcnt(1)
	v_and_b32_e32 v7, 0xff, v9
	s_waitcnt lgkmcnt(0)
	ds_bpermute_b32 v3, v4, v1
	ds_bpermute_b32 v10, v4, v7
	;; [unrolled: 1-line block ×3, first 2 shown]
	v_cmpx_gt_u32_e64 s0, v11
	s_cbranch_execz .LBB316_313
; %bb.308:
	s_waitcnt lgkmcnt(1)
	v_and_b32_e32 v7, v7, v10
	s_mov_b32 s3, exec_lo
	v_and_b32_e32 v7, 1, v7
	v_cmpx_eq_u32_e32 1, v7
	s_xor_b32 s3, exec_lo, s3
	s_cbranch_execz .LBB316_310
; %bb.309:
	s_waitcnt lgkmcnt(0)
	v_cmp_lt_i64_e32 vcc_lo, v[3:4], v[1:2]
                                        ; implicit-def: $vgpr9
                                        ; implicit-def: $vgpr10
	v_cndmask_b32_e32 v2, v2, v4, vcc_lo
	v_cndmask_b32_e32 v1, v1, v3, vcc_lo
                                        ; implicit-def: $vgpr3_vgpr4
.LBB316_310:
	s_or_saveexec_b32 s3, s3
	v_mov_b32_e32 v7, 1
	s_xor_b32 exec_lo, exec_lo, s3
	s_cbranch_execz .LBB316_312
; %bb.311:
	v_and_b32_e32 v7, 1, v9
	v_cmp_eq_u32_e32 vcc_lo, 1, v7
	v_and_b32_e32 v7, 0xff, v10
	s_waitcnt lgkmcnt(0)
	v_cndmask_b32_e32 v2, v4, v2, vcc_lo
	v_cndmask_b32_e32 v1, v3, v1, vcc_lo
	v_cndmask_b32_e64 v7, v7, 1, vcc_lo
.LBB316_312:
	s_or_b32 exec_lo, exec_lo, s3
.LBB316_313:
	s_or_b32 exec_lo, exec_lo, s2
	v_cmp_gt_u32_e32 vcc_lo, 6, v6
	v_add_nc_u32_e32 v9, 2, v6
	s_mov_b32 s2, exec_lo
	s_waitcnt lgkmcnt(2)
	v_cndmask_b32_e64 v3, 0, 2, vcc_lo
	s_waitcnt lgkmcnt(0)
	v_add_lshl_u32 v4, v3, v5, 2
	ds_bpermute_b32 v5, v4, v7
	ds_bpermute_b32 v3, v4, v1
	;; [unrolled: 1-line block ×3, first 2 shown]
	v_cmpx_gt_u32_e64 s0, v9
	s_cbranch_execz .LBB316_319
; %bb.314:
	s_waitcnt lgkmcnt(2)
	v_and_b32_e32 v9, v7, v5
	s_mov_b32 s3, exec_lo
	v_and_b32_e32 v9, 1, v9
	v_cmpx_eq_u32_e32 1, v9
	s_xor_b32 s3, exec_lo, s3
	s_cbranch_execz .LBB316_316
; %bb.315:
	s_waitcnt lgkmcnt(0)
	v_cmp_lt_i64_e32 vcc_lo, v[3:4], v[1:2]
                                        ; implicit-def: $vgpr7
                                        ; implicit-def: $vgpr5
	v_cndmask_b32_e32 v2, v2, v4, vcc_lo
	v_cndmask_b32_e32 v1, v1, v3, vcc_lo
                                        ; implicit-def: $vgpr3_vgpr4
.LBB316_316:
	s_or_saveexec_b32 s3, s3
	v_mov_b32_e32 v9, 1
	s_xor_b32 exec_lo, exec_lo, s3
	s_cbranch_execz .LBB316_318
; %bb.317:
	v_and_b32_e32 v7, 1, v7
	v_and_b32_e32 v5, 0xff, v5
	v_cmp_eq_u32_e32 vcc_lo, 1, v7
	s_waitcnt lgkmcnt(0)
	v_cndmask_b32_e32 v2, v4, v2, vcc_lo
	v_cndmask_b32_e32 v1, v3, v1, vcc_lo
	v_cndmask_b32_e64 v9, v5, 1, vcc_lo
.LBB316_318:
	s_or_b32 exec_lo, exec_lo, s3
	v_mov_b32_e32 v7, v9
.LBB316_319:
	s_or_b32 exec_lo, exec_lo, s2
	s_waitcnt lgkmcnt(0)
	v_or_b32_e32 v4, 16, v8
	v_add_nc_u32_e32 v6, 4, v6
	ds_bpermute_b32 v5, v4, v7
	ds_bpermute_b32 v3, v4, v1
	;; [unrolled: 1-line block ×3, first 2 shown]
	v_cmp_gt_u32_e32 vcc_lo, s0, v6
	s_and_saveexec_b32 s0, vcc_lo
	s_cbranch_execz .LBB316_325
; %bb.320:
	s_waitcnt lgkmcnt(2)
	v_and_b32_e32 v6, v7, v5
	s_mov_b32 s2, exec_lo
	v_and_b32_e32 v6, 1, v6
	v_cmpx_eq_u32_e32 1, v6
	s_xor_b32 s2, exec_lo, s2
	s_cbranch_execz .LBB316_322
; %bb.321:
	s_waitcnt lgkmcnt(0)
	v_cmp_lt_i64_e32 vcc_lo, v[3:4], v[1:2]
                                        ; implicit-def: $vgpr7
                                        ; implicit-def: $vgpr5
	v_cndmask_b32_e32 v2, v2, v4, vcc_lo
	v_cndmask_b32_e32 v1, v1, v3, vcc_lo
                                        ; implicit-def: $vgpr3_vgpr4
.LBB316_322:
	s_or_saveexec_b32 s2, s2
	v_mov_b32_e32 v6, 1
	s_xor_b32 exec_lo, exec_lo, s2
	s_cbranch_execz .LBB316_324
; %bb.323:
	v_and_b32_e32 v6, 1, v7
	v_cmp_eq_u32_e32 vcc_lo, 1, v6
	s_waitcnt lgkmcnt(0)
	v_cndmask_b32_e32 v2, v4, v2, vcc_lo
	v_cndmask_b32_e32 v1, v3, v1, vcc_lo
	v_cndmask_b32_e64 v6, v5, 1, vcc_lo
.LBB316_324:
	s_or_b32 exec_lo, exec_lo, s2
	v_mov_b32_e32 v7, v6
.LBB316_325:
	s_or_b32 exec_lo, exec_lo, s0
.LBB316_326:
	s_or_b32 exec_lo, exec_lo, s1
.LBB316_327:
                                        ; implicit-def: $vgpr3_vgpr4
                                        ; implicit-def: $vgpr5
	s_mov_b32 s0, exec_lo
	v_cmpx_eq_u32_e32 0, v0
	s_xor_b32 s2, exec_lo, s0
	s_cbranch_execz .LBB316_331
; %bb.328:
	s_waitcnt lgkmcnt(0)
	v_mov_b32_e32 v3, s20
	v_mov_b32_e32 v4, s21
	;; [unrolled: 1-line block ×3, first 2 shown]
	s_cmp_eq_u64 s[14:15], 0
	s_cbranch_scc1 .LBB316_330
; %bb.329:
	v_and_b32_e32 v3, 1, v7
	v_cmp_gt_i64_e32 vcc_lo, s[20:21], v[1:2]
	s_bitcmp1_b32 s24, 0
	s_cselect_b32 s1, -1, 0
	v_cmp_eq_u32_e64 s0, 1, v3
	v_cndmask_b32_e64 v5, v7, 1, s1
	s_and_b32 vcc_lo, s0, vcc_lo
	v_cndmask_b32_e32 v3, s20, v1, vcc_lo
	v_cndmask_b32_e32 v4, s21, v2, vcc_lo
	v_cndmask_b32_e64 v3, v1, v3, s1
	v_cndmask_b32_e64 v4, v2, v4, s1
.LBB316_330:
	s_or_b32 s22, s22, exec_lo
.LBB316_331:
	s_or_b32 exec_lo, exec_lo, s2
	v_mov_b32_e32 v1, s6
	v_mov_b32_e32 v2, s7
	s_branch .LBB316_356
.LBB316_332:
	s_cmp_eq_u32 s25, 1
	s_cbranch_scc0 .LBB316_355
; %bb.333:
	s_mov_b32 s3, 0
	s_lshr_b64 s[0:1], s[14:15], 8
	s_mov_b32 s7, s3
	s_lshl_b32 s2, s6, 8
	s_cmp_lg_u64 s[0:1], s[6:7]
	s_cbranch_scc0 .LBB316_359
; %bb.334:
	s_lshl_b64 s[0:1], s[2:3], 1
	v_lshlrev_b32_e32 v1, 1, v0
	s_add_u32 s8, s16, s0
	s_addc_u32 s9, s17, s1
	s_add_u32 s0, s18, s0
	s_addc_u32 s1, s19, s1
	s_waitcnt lgkmcnt(0)
	s_clause 0x1
	global_load_ushort v4, v1, s[8:9]
	global_load_ushort v5, v1, s[0:1]
	s_add_u32 s0, s12, s2
	s_addc_u32 s1, s13, 0
	v_add_co_u32 v1, s0, s0, v0
	v_add_co_ci_u32_e64 v2, null, s1, 0, s0
                                        ; implicit-def: $vgpr7
	v_mov_b32_dpp v3, v1 quad_perm:[1,0,3,2] row_mask:0xf bank_mask:0xf
	s_waitcnt vmcnt(0)
	v_cmp_ne_u16_e32 vcc_lo, v4, v5
	v_mov_b32_dpp v4, v2 quad_perm:[1,0,3,2] row_mask:0xf bank_mask:0xf
	v_cndmask_b32_e64 v5, 0, 1, vcc_lo
	v_cmp_lt_i64_e64 s0, v[1:2], v[3:4]
	v_mov_b32_dpp v5, v5 quad_perm:[1,0,3,2] row_mask:0xf bank_mask:0xf
	s_and_b32 s0, vcc_lo, s0
	v_cndmask_b32_e64 v3, v3, v1, s0
	v_and_b32_e32 v5, 1, v5
	v_cndmask_b32_e64 v4, v4, v2, s0
	v_cmp_eq_u32_e64 s0, 1, v5
	s_or_b32 s1, s0, vcc_lo
	v_cndmask_b32_e64 v4, v2, v4, s0
	v_cndmask_b32_e64 v2, 0, 1, s1
	;; [unrolled: 1-line block ×3, first 2 shown]
	v_mov_b32_dpp v6, v4 quad_perm:[2,3,0,1] row_mask:0xf bank_mask:0xf
	v_mov_b32_dpp v2, v2 quad_perm:[2,3,0,1] row_mask:0xf bank_mask:0xf
	v_mov_b32_dpp v5, v3 quad_perm:[2,3,0,1] row_mask:0xf bank_mask:0xf
	v_and_b32_e32 v2, 1, v2
	v_cmp_eq_u32_e32 vcc_lo, 1, v2
                                        ; implicit-def: $vgpr1_vgpr2
	s_and_b32 s0, vcc_lo, s1
	s_xor_b32 s0, s0, -1
	s_and_saveexec_b32 s8, s0
	s_xor_b32 s0, exec_lo, s8
; %bb.335:
	s_or_b32 s1, vcc_lo, s1
	v_cndmask_b32_e32 v2, v4, v6, vcc_lo
	v_cndmask_b32_e32 v1, v3, v5, vcc_lo
	v_cndmask_b32_e64 v7, 0, 1, s1
                                        ; implicit-def: $vgpr3_vgpr4
                                        ; implicit-def: $vgpr5_vgpr6
; %bb.336:
	s_andn2_saveexec_b32 s0, s0
; %bb.337:
	v_cmp_lt_i64_e32 vcc_lo, v[3:4], v[5:6]
	v_mov_b32_e32 v7, 1
	v_cndmask_b32_e32 v2, v6, v4, vcc_lo
	v_cndmask_b32_e32 v1, v5, v3, vcc_lo
; %bb.338:
	s_or_b32 exec_lo, exec_lo, s0
	v_mov_b32_dpp v3, v1 row_ror:4 row_mask:0xf bank_mask:0xf
	v_mov_b32_dpp v4, v2 row_ror:4 row_mask:0xf bank_mask:0xf
	v_and_b32_e32 v6, 1, v7
	v_mov_b32_dpp v5, v7 row_ror:4 row_mask:0xf bank_mask:0xf
	v_mbcnt_lo_u32_b32 v8, -1, 0
	v_cmp_lt_i64_e32 vcc_lo, v[1:2], v[3:4]
	v_cmp_eq_u32_e64 s0, 1, v6
	v_and_b32_e32 v5, 1, v5
	s_and_b32 vcc_lo, s0, vcc_lo
	v_cmp_eq_u32_e64 s1, 1, v5
	v_cndmask_b32_e32 v3, v3, v1, vcc_lo
	v_cndmask_b32_e32 v4, v4, v2, vcc_lo
	v_cndmask_b32_e64 v5, v7, 1, s1
	v_cndmask_b32_e64 v1, v1, v3, s1
	v_cndmask_b32_e64 v2, v2, v4, s1
	v_and_b32_e32 v7, 1, v5
	v_mov_b32_dpp v3, v1 row_ror:8 row_mask:0xf bank_mask:0xf
	v_mov_b32_dpp v4, v2 row_ror:8 row_mask:0xf bank_mask:0xf
	;; [unrolled: 1-line block ×3, first 2 shown]
	v_cmp_eq_u32_e64 s0, 1, v7
	v_cmp_lt_i64_e32 vcc_lo, v[1:2], v[3:4]
	v_and_b32_e32 v6, 1, v6
	v_cmp_eq_u32_e64 s1, 1, v6
	s_and_b32 vcc_lo, s0, vcc_lo
	v_cndmask_b32_e32 v3, v3, v1, vcc_lo
	v_cndmask_b32_e32 v4, v4, v2, vcc_lo
	v_cndmask_b32_e64 v5, v5, 1, s1
	v_cndmask_b32_e64 v1, v1, v3, s1
	;; [unrolled: 1-line block ×3, first 2 shown]
	ds_swizzle_b32 v6, v5 offset:swizzle(BROADCAST,32,15)
	v_and_b32_e32 v7, 1, v5
	ds_swizzle_b32 v3, v1 offset:swizzle(BROADCAST,32,15)
	ds_swizzle_b32 v4, v2 offset:swizzle(BROADCAST,32,15)
	v_cmp_eq_u32_e64 s0, 1, v7
	s_waitcnt lgkmcnt(2)
	v_and_b32_e32 v6, 1, v6
	s_waitcnt lgkmcnt(0)
	v_cmp_lt_i64_e32 vcc_lo, v[1:2], v[3:4]
	v_cmp_eq_u32_e64 s1, 1, v6
	v_mov_b32_e32 v6, 0
	s_and_b32 vcc_lo, s0, vcc_lo
	v_cndmask_b32_e64 v5, v5, 1, s1
	v_cndmask_b32_e32 v3, v3, v1, vcc_lo
	v_cndmask_b32_e32 v4, v4, v2, vcc_lo
	s_mov_b32 s0, exec_lo
	ds_bpermute_b32 v7, v6, v5 offset:124
	v_cndmask_b32_e64 v1, v1, v3, s1
	v_cndmask_b32_e64 v2, v2, v4, s1
	ds_bpermute_b32 v1, v6, v1 offset:124
	ds_bpermute_b32 v2, v6, v2 offset:124
	v_cmpx_eq_u32_e32 0, v8
	s_cbranch_execz .LBB316_340
; %bb.339:
	v_lshrrev_b32_e32 v3, 1, v0
	v_and_b32_e32 v3, 0x70, v3
	s_waitcnt lgkmcnt(2)
	ds_write_b8 v3, v7
	s_waitcnt lgkmcnt(1)
	ds_write_b64 v3, v[1:2] offset:8
.LBB316_340:
	s_or_b32 exec_lo, exec_lo, s0
	s_mov_b32 s0, exec_lo
	s_waitcnt lgkmcnt(0)
	s_barrier
	buffer_gl0_inv
	v_cmpx_gt_u32_e32 32, v0
	s_cbranch_execz .LBB316_354
; %bb.341:
	v_and_b32_e32 v7, 7, v8
	v_lshlrev_b32_e32 v1, 4, v7
	v_cmp_ne_u32_e32 vcc_lo, 7, v7
	ds_read_u8 v10, v1
	ds_read_b64 v[3:4], v1 offset:8
	v_add_co_ci_u32_e64 v2, null, 0, v8, vcc_lo
	v_lshlrev_b32_e32 v2, 2, v2
	s_waitcnt lgkmcnt(1)
	v_and_b32_e32 v1, 0xff, v10
	s_waitcnt lgkmcnt(0)
	ds_bpermute_b32 v5, v2, v3
	ds_bpermute_b32 v6, v2, v4
	;; [unrolled: 1-line block ×3, first 2 shown]
	s_waitcnt lgkmcnt(0)
	v_and_b32_e32 v1, v10, v11
	v_and_b32_e32 v1, 1, v1
	v_cmp_eq_u32_e32 vcc_lo, 1, v1
                                        ; implicit-def: $vgpr1_vgpr2
	s_and_saveexec_b32 s1, vcc_lo
	s_xor_b32 s1, exec_lo, s1
; %bb.342:
	v_cmp_lt_i64_e32 vcc_lo, v[5:6], v[3:4]
                                        ; implicit-def: $vgpr10
                                        ; implicit-def: $vgpr11
	v_cndmask_b32_e32 v2, v4, v6, vcc_lo
	v_cndmask_b32_e32 v1, v3, v5, vcc_lo
                                        ; implicit-def: $vgpr5_vgpr6
                                        ; implicit-def: $vgpr3_vgpr4
; %bb.343:
	s_or_saveexec_b32 s1, s1
	v_mov_b32_e32 v9, 1
	s_xor_b32 exec_lo, exec_lo, s1
; %bb.344:
	v_and_b32_e32 v1, 1, v10
	v_and_b32_e32 v9, 0xff, v11
	v_cmp_eq_u32_e32 vcc_lo, 1, v1
	v_cndmask_b32_e32 v2, v6, v4, vcc_lo
	v_cndmask_b32_e32 v1, v5, v3, vcc_lo
	v_cndmask_b32_e64 v9, v9, 1, vcc_lo
; %bb.345:
	s_or_b32 exec_lo, exec_lo, s1
	v_cmp_gt_u32_e32 vcc_lo, 6, v7
	v_cndmask_b32_e64 v3, 0, 2, vcc_lo
	v_add_lshl_u32 v3, v3, v8, 2
	ds_bpermute_b32 v7, v3, v9
	ds_bpermute_b32 v5, v3, v1
	ds_bpermute_b32 v6, v3, v2
	s_waitcnt lgkmcnt(2)
	v_and_b32_e32 v3, v9, v7
	v_and_b32_e32 v3, 1, v3
	v_cmp_eq_u32_e32 vcc_lo, 1, v3
                                        ; implicit-def: $vgpr3_vgpr4
	s_and_saveexec_b32 s1, vcc_lo
	s_xor_b32 s1, exec_lo, s1
	s_cbranch_execz .LBB316_347
; %bb.346:
	s_waitcnt lgkmcnt(0)
	v_cmp_lt_i64_e32 vcc_lo, v[5:6], v[1:2]
                                        ; implicit-def: $vgpr9
                                        ; implicit-def: $vgpr7
	v_cndmask_b32_e32 v4, v2, v6, vcc_lo
	v_cndmask_b32_e32 v3, v1, v5, vcc_lo
                                        ; implicit-def: $vgpr5_vgpr6
                                        ; implicit-def: $vgpr1_vgpr2
.LBB316_347:
	s_or_saveexec_b32 s1, s1
	v_lshlrev_b32_e32 v10, 2, v8
	v_mov_b32_e32 v8, 1
	s_xor_b32 exec_lo, exec_lo, s1
	s_cbranch_execz .LBB316_349
; %bb.348:
	v_and_b32_e32 v3, 1, v9
	v_and_b32_e32 v7, 0xff, v7
	v_cmp_eq_u32_e32 vcc_lo, 1, v3
	s_waitcnt lgkmcnt(0)
	v_cndmask_b32_e32 v4, v6, v2, vcc_lo
	v_cndmask_b32_e32 v3, v5, v1, vcc_lo
	v_cndmask_b32_e64 v8, v7, 1, vcc_lo
.LBB316_349:
	s_or_b32 exec_lo, exec_lo, s1
	v_or_b32_e32 v1, 16, v10
	ds_bpermute_b32 v9, v1, v8
	s_waitcnt lgkmcnt(2)
	ds_bpermute_b32 v5, v1, v3
	s_waitcnt lgkmcnt(2)
	;; [unrolled: 2-line block ×3, first 2 shown]
	v_and_b32_e32 v1, v8, v9
	v_and_b32_e32 v1, 1, v1
	v_cmp_eq_u32_e32 vcc_lo, 1, v1
                                        ; implicit-def: $vgpr1_vgpr2
	s_and_saveexec_b32 s1, vcc_lo
	s_xor_b32 s1, exec_lo, s1
	s_cbranch_execz .LBB316_351
; %bb.350:
	s_waitcnt lgkmcnt(0)
	v_cmp_lt_i64_e32 vcc_lo, v[5:6], v[3:4]
                                        ; implicit-def: $vgpr8
                                        ; implicit-def: $vgpr9
	v_cndmask_b32_e32 v2, v4, v6, vcc_lo
	v_cndmask_b32_e32 v1, v3, v5, vcc_lo
                                        ; implicit-def: $vgpr5_vgpr6
                                        ; implicit-def: $vgpr3_vgpr4
.LBB316_351:
	s_or_saveexec_b32 s1, s1
	v_mov_b32_e32 v7, 1
	s_xor_b32 exec_lo, exec_lo, s1
	s_cbranch_execz .LBB316_353
; %bb.352:
	v_and_b32_e32 v1, 1, v8
	v_cmp_eq_u32_e32 vcc_lo, 1, v1
	s_waitcnt lgkmcnt(0)
	v_cndmask_b32_e32 v2, v6, v4, vcc_lo
	v_cndmask_b32_e32 v1, v5, v3, vcc_lo
	v_cndmask_b32_e64 v7, v9, 1, vcc_lo
.LBB316_353:
	s_or_b32 exec_lo, exec_lo, s1
.LBB316_354:
	s_or_b32 exec_lo, exec_lo, s0
	s_branch .LBB316_415
.LBB316_355:
                                        ; implicit-def: $vgpr3_vgpr4
                                        ; implicit-def: $vgpr5
                                        ; implicit-def: $vgpr1_vgpr2
.LBB316_356:
	s_and_saveexec_b32 s0, s22
	s_cbranch_execz .LBB316_358
.LBB316_357:
	s_load_dwordx2 s[0:1], s[4:5], 0x38
	v_lshlrev_b64 v[0:1], 4, v[1:2]
	s_waitcnt lgkmcnt(0)
	v_add_co_u32 v0, vcc_lo, s0, v0
	v_add_co_ci_u32_e64 v1, null, s1, v1, vcc_lo
	global_store_byte v[0:1], v5, off
	global_store_dwordx2 v[0:1], v[3:4], off offset:8
.LBB316_358:
	s_endpgm
.LBB316_359:
                                        ; implicit-def: $vgpr1_vgpr2
                                        ; implicit-def: $vgpr7
	s_cbranch_execz .LBB316_415
; %bb.360:
	v_mov_b32_e32 v1, 0
	v_mov_b32_e32 v2, 0
	;; [unrolled: 1-line block ×3, first 2 shown]
	s_sub_i32 s0, s14, s2
	s_mov_b32 s1, exec_lo
	v_cmpx_gt_u32_e64 s0, v0
	s_cbranch_execz .LBB316_362
; %bb.361:
	s_lshl_b64 s[8:9], s[2:3], 1
	v_lshlrev_b32_e32 v1, 1, v0
	s_add_u32 s10, s18, s8
	s_addc_u32 s11, s19, s9
	s_add_u32 s8, s16, s8
	s_addc_u32 s9, s17, s9
	s_add_u32 s2, s12, s2
	s_waitcnt lgkmcnt(1)
	global_load_ushort v3, v1, s[8:9]
	s_waitcnt lgkmcnt(0)
	global_load_ushort v4, v1, s[10:11]
	s_addc_u32 s3, s13, 0
	v_add_co_u32 v1, s2, s2, v0
	v_add_co_ci_u32_e64 v2, null, s3, 0, s2
	s_waitcnt vmcnt(0)
	v_cmp_ne_u16_e32 vcc_lo, v3, v4
	v_cndmask_b32_e64 v8, 0, 1, vcc_lo
.LBB316_362:
	s_or_b32 exec_lo, exec_lo, s1
	s_waitcnt lgkmcnt(1)
	v_mbcnt_lo_u32_b32 v5, -1, 0
	v_and_b32_e32 v7, 0xffff, v8
	s_waitcnt lgkmcnt(0)
	v_and_b32_e32 v6, 0xe0, v0
	s_min_u32 s0, s0, 0x100
	s_mov_b32 s1, exec_lo
	v_cmp_ne_u32_e32 vcc_lo, 31, v5
	v_add_nc_u32_e32 v10, 1, v5
	v_sub_nc_u32_e64 v6, s0, v6 clamp
	v_add_co_ci_u32_e64 v3, null, 0, v5, vcc_lo
	v_lshlrev_b32_e32 v4, 2, v3
	ds_bpermute_b32 v9, v4, v7
	ds_bpermute_b32 v3, v4, v1
	;; [unrolled: 1-line block ×3, first 2 shown]
	v_cmpx_lt_u32_e64 v10, v6
	s_cbranch_execz .LBB316_368
; %bb.363:
	s_waitcnt lgkmcnt(2)
	v_and_b32_e32 v7, v9, v7
	s_mov_b32 s2, exec_lo
	v_and_b32_e32 v7, 1, v7
	v_cmpx_eq_u32_e32 1, v7
	s_xor_b32 s2, exec_lo, s2
	s_cbranch_execz .LBB316_365
; %bb.364:
	s_waitcnt lgkmcnt(0)
	v_cmp_lt_i64_e32 vcc_lo, v[3:4], v[1:2]
                                        ; implicit-def: $vgpr8
                                        ; implicit-def: $vgpr9
	v_cndmask_b32_e32 v2, v2, v4, vcc_lo
	v_cndmask_b32_e32 v1, v1, v3, vcc_lo
                                        ; implicit-def: $vgpr3_vgpr4
.LBB316_365:
	s_or_saveexec_b32 s2, s2
	v_mov_b32_e32 v7, 1
	s_xor_b32 exec_lo, exec_lo, s2
	s_cbranch_execz .LBB316_367
; %bb.366:
	v_and_b32_e32 v7, 1, v8
	v_cmp_eq_u32_e32 vcc_lo, 1, v7
	v_and_b32_e32 v7, 0xff, v9
	s_waitcnt lgkmcnt(0)
	v_cndmask_b32_e32 v2, v4, v2, vcc_lo
	v_cndmask_b32_e32 v1, v3, v1, vcc_lo
	v_cndmask_b32_e64 v7, v7, 1, vcc_lo
.LBB316_367:
	s_or_b32 exec_lo, exec_lo, s2
.LBB316_368:
	s_or_b32 exec_lo, exec_lo, s1
	v_cmp_gt_u32_e32 vcc_lo, 30, v5
	s_waitcnt lgkmcnt(2)
	v_add_nc_u32_e32 v9, 2, v5
	s_mov_b32 s1, exec_lo
	s_waitcnt lgkmcnt(1)
	v_cndmask_b32_e64 v3, 0, 2, vcc_lo
	s_waitcnt lgkmcnt(0)
	v_add_lshl_u32 v4, v3, v5, 2
	ds_bpermute_b32 v8, v4, v7
	ds_bpermute_b32 v3, v4, v1
	ds_bpermute_b32 v4, v4, v2
	v_cmpx_lt_u32_e64 v9, v6
	s_cbranch_execz .LBB316_374
; %bb.369:
	s_waitcnt lgkmcnt(2)
	v_and_b32_e32 v9, v7, v8
	s_mov_b32 s2, exec_lo
	v_and_b32_e32 v9, 1, v9
	v_cmpx_eq_u32_e32 1, v9
	s_xor_b32 s2, exec_lo, s2
	s_cbranch_execz .LBB316_371
; %bb.370:
	s_waitcnt lgkmcnt(0)
	v_cmp_lt_i64_e32 vcc_lo, v[3:4], v[1:2]
                                        ; implicit-def: $vgpr7
                                        ; implicit-def: $vgpr8
	v_cndmask_b32_e32 v2, v2, v4, vcc_lo
	v_cndmask_b32_e32 v1, v1, v3, vcc_lo
                                        ; implicit-def: $vgpr3_vgpr4
.LBB316_371:
	s_or_saveexec_b32 s2, s2
	v_mov_b32_e32 v9, 1
	s_xor_b32 exec_lo, exec_lo, s2
	s_cbranch_execz .LBB316_373
; %bb.372:
	v_and_b32_e32 v7, 1, v7
	v_cmp_eq_u32_e32 vcc_lo, 1, v7
	v_and_b32_e32 v7, 0xff, v8
	s_waitcnt lgkmcnt(0)
	v_cndmask_b32_e32 v2, v4, v2, vcc_lo
	v_cndmask_b32_e32 v1, v3, v1, vcc_lo
	v_cndmask_b32_e64 v9, v7, 1, vcc_lo
.LBB316_373:
	s_or_b32 exec_lo, exec_lo, s2
	v_mov_b32_e32 v7, v9
.LBB316_374:
	s_or_b32 exec_lo, exec_lo, s1
	v_cmp_gt_u32_e32 vcc_lo, 28, v5
	v_add_nc_u32_e32 v9, 4, v5
	s_mov_b32 s1, exec_lo
	s_waitcnt lgkmcnt(1)
	v_cndmask_b32_e64 v3, 0, 4, vcc_lo
	s_waitcnt lgkmcnt(0)
	v_add_lshl_u32 v4, v3, v5, 2
	ds_bpermute_b32 v8, v4, v7
	ds_bpermute_b32 v3, v4, v1
	ds_bpermute_b32 v4, v4, v2
	v_cmpx_lt_u32_e64 v9, v6
	s_cbranch_execz .LBB316_380
; %bb.375:
	s_waitcnt lgkmcnt(2)
	v_and_b32_e32 v9, v7, v8
	s_mov_b32 s2, exec_lo
	v_and_b32_e32 v9, 1, v9
	v_cmpx_eq_u32_e32 1, v9
	s_xor_b32 s2, exec_lo, s2
	s_cbranch_execz .LBB316_377
; %bb.376:
	s_waitcnt lgkmcnt(0)
	v_cmp_lt_i64_e32 vcc_lo, v[3:4], v[1:2]
                                        ; implicit-def: $vgpr7
                                        ; implicit-def: $vgpr8
	v_cndmask_b32_e32 v2, v2, v4, vcc_lo
	v_cndmask_b32_e32 v1, v1, v3, vcc_lo
                                        ; implicit-def: $vgpr3_vgpr4
.LBB316_377:
	s_or_saveexec_b32 s2, s2
	v_mov_b32_e32 v9, 1
	s_xor_b32 exec_lo, exec_lo, s2
	s_cbranch_execz .LBB316_379
; %bb.378:
	v_and_b32_e32 v7, 1, v7
	v_cmp_eq_u32_e32 vcc_lo, 1, v7
	v_and_b32_e32 v7, 0xff, v8
	s_waitcnt lgkmcnt(0)
	v_cndmask_b32_e32 v2, v4, v2, vcc_lo
	v_cndmask_b32_e32 v1, v3, v1, vcc_lo
	v_cndmask_b32_e64 v9, v7, 1, vcc_lo
.LBB316_379:
	s_or_b32 exec_lo, exec_lo, s2
	v_mov_b32_e32 v7, v9
.LBB316_380:
	s_or_b32 exec_lo, exec_lo, s1
	v_cmp_gt_u32_e32 vcc_lo, 24, v5
	v_add_nc_u32_e32 v9, 8, v5
	s_mov_b32 s1, exec_lo
	s_waitcnt lgkmcnt(1)
	v_cndmask_b32_e64 v3, 0, 8, vcc_lo
	s_waitcnt lgkmcnt(0)
	v_add_lshl_u32 v4, v3, v5, 2
	ds_bpermute_b32 v8, v4, v7
	ds_bpermute_b32 v3, v4, v1
	;; [unrolled: 1-line block ×3, first 2 shown]
	v_cmpx_lt_u32_e64 v9, v6
	s_cbranch_execz .LBB316_386
; %bb.381:
	s_waitcnt lgkmcnt(2)
	v_and_b32_e32 v9, v7, v8
	s_mov_b32 s2, exec_lo
	v_and_b32_e32 v9, 1, v9
	v_cmpx_eq_u32_e32 1, v9
	s_xor_b32 s2, exec_lo, s2
	s_cbranch_execz .LBB316_383
; %bb.382:
	s_waitcnt lgkmcnt(0)
	v_cmp_lt_i64_e32 vcc_lo, v[3:4], v[1:2]
                                        ; implicit-def: $vgpr7
                                        ; implicit-def: $vgpr8
	v_cndmask_b32_e32 v2, v2, v4, vcc_lo
	v_cndmask_b32_e32 v1, v1, v3, vcc_lo
                                        ; implicit-def: $vgpr3_vgpr4
.LBB316_383:
	s_or_saveexec_b32 s2, s2
	v_mov_b32_e32 v9, 1
	s_xor_b32 exec_lo, exec_lo, s2
	s_cbranch_execz .LBB316_385
; %bb.384:
	v_and_b32_e32 v7, 1, v7
	v_cmp_eq_u32_e32 vcc_lo, 1, v7
	v_and_b32_e32 v7, 0xff, v8
	s_waitcnt lgkmcnt(0)
	v_cndmask_b32_e32 v2, v4, v2, vcc_lo
	v_cndmask_b32_e32 v1, v3, v1, vcc_lo
	v_cndmask_b32_e64 v9, v7, 1, vcc_lo
.LBB316_385:
	s_or_b32 exec_lo, exec_lo, s2
	v_mov_b32_e32 v7, v9
.LBB316_386:
	s_or_b32 exec_lo, exec_lo, s1
	s_waitcnt lgkmcnt(2)
	v_lshlrev_b32_e32 v8, 2, v5
	v_add_nc_u32_e32 v10, 16, v5
	s_waitcnt lgkmcnt(0)
	v_or_b32_e32 v4, 64, v8
	v_cmp_lt_u32_e32 vcc_lo, v10, v6
	v_mov_b32_e32 v6, v7
	ds_bpermute_b32 v9, v4, v7
	ds_bpermute_b32 v3, v4, v1
	;; [unrolled: 1-line block ×3, first 2 shown]
	s_and_saveexec_b32 s1, vcc_lo
	s_cbranch_execz .LBB316_392
; %bb.387:
	s_waitcnt lgkmcnt(2)
	v_and_b32_e32 v6, v7, v9
	s_mov_b32 s2, exec_lo
	v_and_b32_e32 v6, 1, v6
	v_cmpx_eq_u32_e32 1, v6
	s_xor_b32 s2, exec_lo, s2
	s_cbranch_execz .LBB316_389
; %bb.388:
	s_waitcnt lgkmcnt(0)
	v_cmp_lt_i64_e32 vcc_lo, v[3:4], v[1:2]
                                        ; implicit-def: $vgpr7
                                        ; implicit-def: $vgpr9
	v_cndmask_b32_e32 v2, v2, v4, vcc_lo
	v_cndmask_b32_e32 v1, v1, v3, vcc_lo
                                        ; implicit-def: $vgpr3_vgpr4
.LBB316_389:
	s_or_saveexec_b32 s2, s2
	v_mov_b32_e32 v6, 1
	s_xor_b32 exec_lo, exec_lo, s2
	s_cbranch_execz .LBB316_391
; %bb.390:
	v_and_b32_e32 v6, 1, v7
	v_cmp_eq_u32_e32 vcc_lo, 1, v6
	v_cndmask_b32_e64 v6, v9, 1, vcc_lo
	s_waitcnt lgkmcnt(0)
	v_cndmask_b32_e32 v2, v4, v2, vcc_lo
	v_cndmask_b32_e32 v1, v3, v1, vcc_lo
.LBB316_391:
	s_or_b32 exec_lo, exec_lo, s2
	v_and_b32_e32 v7, 0xff, v6
.LBB316_392:
	s_or_b32 exec_lo, exec_lo, s1
	s_mov_b32 s1, exec_lo
	v_cmpx_eq_u32_e32 0, v5
	s_cbranch_execz .LBB316_394
; %bb.393:
	s_waitcnt lgkmcnt(1)
	v_lshrrev_b32_e32 v3, 1, v0
	v_and_b32_e32 v3, 0x70, v3
	ds_write_b8 v3, v6 offset:512
	ds_write_b64 v3, v[1:2] offset:520
.LBB316_394:
	s_or_b32 exec_lo, exec_lo, s1
	s_mov_b32 s1, exec_lo
	s_waitcnt lgkmcnt(0)
	s_barrier
	buffer_gl0_inv
	v_cmpx_gt_u32_e32 8, v0
	s_cbranch_execz .LBB316_414
; %bb.395:
	v_lshlrev_b32_e32 v1, 4, v5
	v_and_b32_e32 v6, 7, v5
	s_add_i32 s0, s0, 31
	s_mov_b32 s2, exec_lo
	s_lshr_b32 s0, s0, 5
	ds_read_u8 v9, v1 offset:512
	ds_read_b64 v[1:2], v1 offset:520
	v_cmp_ne_u32_e32 vcc_lo, 7, v6
	v_add_nc_u32_e32 v11, 1, v6
	v_add_co_ci_u32_e64 v3, null, 0, v5, vcc_lo
	v_lshlrev_b32_e32 v4, 2, v3
	s_waitcnt lgkmcnt(1)
	v_and_b32_e32 v7, 0xff, v9
	s_waitcnt lgkmcnt(0)
	ds_bpermute_b32 v3, v4, v1
	ds_bpermute_b32 v10, v4, v7
	;; [unrolled: 1-line block ×3, first 2 shown]
	v_cmpx_gt_u32_e64 s0, v11
	s_cbranch_execz .LBB316_401
; %bb.396:
	s_waitcnt lgkmcnt(1)
	v_and_b32_e32 v7, v7, v10
	s_mov_b32 s3, exec_lo
	v_and_b32_e32 v7, 1, v7
	v_cmpx_eq_u32_e32 1, v7
	s_xor_b32 s3, exec_lo, s3
	s_cbranch_execz .LBB316_398
; %bb.397:
	s_waitcnt lgkmcnt(0)
	v_cmp_lt_i64_e32 vcc_lo, v[3:4], v[1:2]
                                        ; implicit-def: $vgpr9
                                        ; implicit-def: $vgpr10
	v_cndmask_b32_e32 v2, v2, v4, vcc_lo
	v_cndmask_b32_e32 v1, v1, v3, vcc_lo
                                        ; implicit-def: $vgpr3_vgpr4
.LBB316_398:
	s_or_saveexec_b32 s3, s3
	v_mov_b32_e32 v7, 1
	s_xor_b32 exec_lo, exec_lo, s3
	s_cbranch_execz .LBB316_400
; %bb.399:
	v_and_b32_e32 v7, 1, v9
	v_cmp_eq_u32_e32 vcc_lo, 1, v7
	v_and_b32_e32 v7, 0xff, v10
	s_waitcnt lgkmcnt(0)
	v_cndmask_b32_e32 v2, v4, v2, vcc_lo
	v_cndmask_b32_e32 v1, v3, v1, vcc_lo
	v_cndmask_b32_e64 v7, v7, 1, vcc_lo
.LBB316_400:
	s_or_b32 exec_lo, exec_lo, s3
.LBB316_401:
	s_or_b32 exec_lo, exec_lo, s2
	v_cmp_gt_u32_e32 vcc_lo, 6, v6
	v_add_nc_u32_e32 v9, 2, v6
	s_mov_b32 s2, exec_lo
	s_waitcnt lgkmcnt(2)
	v_cndmask_b32_e64 v3, 0, 2, vcc_lo
	s_waitcnt lgkmcnt(0)
	v_add_lshl_u32 v4, v3, v5, 2
	ds_bpermute_b32 v5, v4, v7
	ds_bpermute_b32 v3, v4, v1
	;; [unrolled: 1-line block ×3, first 2 shown]
	v_cmpx_gt_u32_e64 s0, v9
	s_cbranch_execz .LBB316_407
; %bb.402:
	s_waitcnt lgkmcnt(2)
	v_and_b32_e32 v9, v7, v5
	s_mov_b32 s3, exec_lo
	v_and_b32_e32 v9, 1, v9
	v_cmpx_eq_u32_e32 1, v9
	s_xor_b32 s3, exec_lo, s3
	s_cbranch_execz .LBB316_404
; %bb.403:
	s_waitcnt lgkmcnt(0)
	v_cmp_lt_i64_e32 vcc_lo, v[3:4], v[1:2]
                                        ; implicit-def: $vgpr7
                                        ; implicit-def: $vgpr5
	v_cndmask_b32_e32 v2, v2, v4, vcc_lo
	v_cndmask_b32_e32 v1, v1, v3, vcc_lo
                                        ; implicit-def: $vgpr3_vgpr4
.LBB316_404:
	s_or_saveexec_b32 s3, s3
	v_mov_b32_e32 v9, 1
	s_xor_b32 exec_lo, exec_lo, s3
	s_cbranch_execz .LBB316_406
; %bb.405:
	v_and_b32_e32 v7, 1, v7
	v_and_b32_e32 v5, 0xff, v5
	v_cmp_eq_u32_e32 vcc_lo, 1, v7
	s_waitcnt lgkmcnt(0)
	v_cndmask_b32_e32 v2, v4, v2, vcc_lo
	v_cndmask_b32_e32 v1, v3, v1, vcc_lo
	v_cndmask_b32_e64 v9, v5, 1, vcc_lo
.LBB316_406:
	s_or_b32 exec_lo, exec_lo, s3
	v_mov_b32_e32 v7, v9
.LBB316_407:
	s_or_b32 exec_lo, exec_lo, s2
	s_waitcnt lgkmcnt(0)
	v_or_b32_e32 v4, 16, v8
	v_add_nc_u32_e32 v6, 4, v6
	ds_bpermute_b32 v5, v4, v7
	ds_bpermute_b32 v3, v4, v1
	;; [unrolled: 1-line block ×3, first 2 shown]
	v_cmp_gt_u32_e32 vcc_lo, s0, v6
	s_and_saveexec_b32 s0, vcc_lo
	s_cbranch_execz .LBB316_413
; %bb.408:
	s_waitcnt lgkmcnt(2)
	v_and_b32_e32 v6, v7, v5
	s_mov_b32 s2, exec_lo
	v_and_b32_e32 v6, 1, v6
	v_cmpx_eq_u32_e32 1, v6
	s_xor_b32 s2, exec_lo, s2
	s_cbranch_execz .LBB316_410
; %bb.409:
	s_waitcnt lgkmcnt(0)
	v_cmp_lt_i64_e32 vcc_lo, v[3:4], v[1:2]
                                        ; implicit-def: $vgpr7
                                        ; implicit-def: $vgpr5
	v_cndmask_b32_e32 v2, v2, v4, vcc_lo
	v_cndmask_b32_e32 v1, v1, v3, vcc_lo
                                        ; implicit-def: $vgpr3_vgpr4
.LBB316_410:
	s_or_saveexec_b32 s2, s2
	v_mov_b32_e32 v6, 1
	s_xor_b32 exec_lo, exec_lo, s2
	s_cbranch_execz .LBB316_412
; %bb.411:
	v_and_b32_e32 v6, 1, v7
	v_cmp_eq_u32_e32 vcc_lo, 1, v6
	s_waitcnt lgkmcnt(0)
	v_cndmask_b32_e32 v2, v4, v2, vcc_lo
	v_cndmask_b32_e32 v1, v3, v1, vcc_lo
	v_cndmask_b32_e64 v6, v5, 1, vcc_lo
.LBB316_412:
	s_or_b32 exec_lo, exec_lo, s2
	v_mov_b32_e32 v7, v6
.LBB316_413:
	s_or_b32 exec_lo, exec_lo, s0
.LBB316_414:
	s_or_b32 exec_lo, exec_lo, s1
.LBB316_415:
	s_mov_b32 s2, exec_lo
                                        ; implicit-def: $vgpr3_vgpr4
                                        ; implicit-def: $vgpr5
	v_cmpx_eq_u32_e32 0, v0
	s_cbranch_execz .LBB316_419
; %bb.416:
	s_waitcnt lgkmcnt(0)
	v_mov_b32_e32 v3, s20
	v_mov_b32_e32 v4, s21
	v_mov_b32_e32 v5, s24
	s_cmp_eq_u64 s[14:15], 0
	s_cbranch_scc1 .LBB316_418
; %bb.417:
	v_and_b32_e32 v0, 1, v7
	v_cmp_gt_i64_e32 vcc_lo, s[20:21], v[1:2]
	s_bitcmp1_b32 s24, 0
	s_cselect_b32 s1, -1, 0
	v_cmp_eq_u32_e64 s0, 1, v0
	v_cndmask_b32_e64 v5, v7, 1, s1
	s_and_b32 vcc_lo, s0, vcc_lo
	v_cndmask_b32_e32 v0, s20, v1, vcc_lo
	v_cndmask_b32_e32 v3, s21, v2, vcc_lo
	v_cndmask_b32_e64 v4, v2, v3, s1
	v_cndmask_b32_e64 v3, v1, v0, s1
.LBB316_418:
	s_or_b32 s22, s22, exec_lo
.LBB316_419:
	s_or_b32 exec_lo, exec_lo, s2
	v_mov_b32_e32 v1, s6
	v_mov_b32_e32 v2, s7
	s_and_saveexec_b32 s0, s22
	s_cbranch_execnz .LBB316_357
	s_branch .LBB316_358
	.section	.rodata,"a",@progbits
	.p2align	6, 0x0
	.amdhsa_kernel _ZN7rocprim17ROCPRIM_400000_NS6detail17trampoline_kernelINS0_14default_configENS1_22reduce_config_selectorIN6thrust23THRUST_200600_302600_NS5tupleIblNS6_9null_typeES8_S8_S8_S8_S8_S8_S8_EEEEZNS1_11reduce_implILb1ES3_NS6_12zip_iteratorINS7_INS6_11hip_rocprim26transform_input_iterator_tIbNSD_35transform_pair_of_input_iterators_tIbNS6_6detail15normal_iteratorINS6_10device_ptrIKtEEEESL_NS6_8equal_toItEEEENSG_9not_fun_tINSD_8identityEEEEENSD_19counting_iterator_tIlEES8_S8_S8_S8_S8_S8_S8_S8_EEEEPS9_S9_NSD_9__find_if7functorIS9_EEEE10hipError_tPvRmT1_T2_T3_mT4_P12ihipStream_tbEUlT_E1_NS1_11comp_targetILNS1_3genE8ELNS1_11target_archE1030ELNS1_3gpuE2ELNS1_3repE0EEENS1_30default_config_static_selectorELNS0_4arch9wavefront6targetE0EEEvS14_
		.amdhsa_group_segment_fixed_size 640
		.amdhsa_private_segment_fixed_size 0
		.amdhsa_kernarg_size 88
		.amdhsa_user_sgpr_count 6
		.amdhsa_user_sgpr_private_segment_buffer 1
		.amdhsa_user_sgpr_dispatch_ptr 0
		.amdhsa_user_sgpr_queue_ptr 0
		.amdhsa_user_sgpr_kernarg_segment_ptr 1
		.amdhsa_user_sgpr_dispatch_id 0
		.amdhsa_user_sgpr_flat_scratch_init 0
		.amdhsa_user_sgpr_private_segment_size 0
		.amdhsa_wavefront_size32 1
		.amdhsa_uses_dynamic_stack 0
		.amdhsa_system_sgpr_private_segment_wavefront_offset 0
		.amdhsa_system_sgpr_workgroup_id_x 1
		.amdhsa_system_sgpr_workgroup_id_y 0
		.amdhsa_system_sgpr_workgroup_id_z 0
		.amdhsa_system_sgpr_workgroup_info 0
		.amdhsa_system_vgpr_workitem_id 0
		.amdhsa_next_free_vgpr 27
		.amdhsa_next_free_sgpr 32
		.amdhsa_reserve_vcc 1
		.amdhsa_reserve_flat_scratch 0
		.amdhsa_float_round_mode_32 0
		.amdhsa_float_round_mode_16_64 0
		.amdhsa_float_denorm_mode_32 3
		.amdhsa_float_denorm_mode_16_64 3
		.amdhsa_dx10_clamp 1
		.amdhsa_ieee_mode 1
		.amdhsa_fp16_overflow 0
		.amdhsa_workgroup_processor_mode 1
		.amdhsa_memory_ordered 1
		.amdhsa_forward_progress 1
		.amdhsa_shared_vgpr_count 0
		.amdhsa_exception_fp_ieee_invalid_op 0
		.amdhsa_exception_fp_denorm_src 0
		.amdhsa_exception_fp_ieee_div_zero 0
		.amdhsa_exception_fp_ieee_overflow 0
		.amdhsa_exception_fp_ieee_underflow 0
		.amdhsa_exception_fp_ieee_inexact 0
		.amdhsa_exception_int_div_zero 0
	.end_amdhsa_kernel
	.section	.text._ZN7rocprim17ROCPRIM_400000_NS6detail17trampoline_kernelINS0_14default_configENS1_22reduce_config_selectorIN6thrust23THRUST_200600_302600_NS5tupleIblNS6_9null_typeES8_S8_S8_S8_S8_S8_S8_EEEEZNS1_11reduce_implILb1ES3_NS6_12zip_iteratorINS7_INS6_11hip_rocprim26transform_input_iterator_tIbNSD_35transform_pair_of_input_iterators_tIbNS6_6detail15normal_iteratorINS6_10device_ptrIKtEEEESL_NS6_8equal_toItEEEENSG_9not_fun_tINSD_8identityEEEEENSD_19counting_iterator_tIlEES8_S8_S8_S8_S8_S8_S8_S8_EEEEPS9_S9_NSD_9__find_if7functorIS9_EEEE10hipError_tPvRmT1_T2_T3_mT4_P12ihipStream_tbEUlT_E1_NS1_11comp_targetILNS1_3genE8ELNS1_11target_archE1030ELNS1_3gpuE2ELNS1_3repE0EEENS1_30default_config_static_selectorELNS0_4arch9wavefront6targetE0EEEvS14_,"axG",@progbits,_ZN7rocprim17ROCPRIM_400000_NS6detail17trampoline_kernelINS0_14default_configENS1_22reduce_config_selectorIN6thrust23THRUST_200600_302600_NS5tupleIblNS6_9null_typeES8_S8_S8_S8_S8_S8_S8_EEEEZNS1_11reduce_implILb1ES3_NS6_12zip_iteratorINS7_INS6_11hip_rocprim26transform_input_iterator_tIbNSD_35transform_pair_of_input_iterators_tIbNS6_6detail15normal_iteratorINS6_10device_ptrIKtEEEESL_NS6_8equal_toItEEEENSG_9not_fun_tINSD_8identityEEEEENSD_19counting_iterator_tIlEES8_S8_S8_S8_S8_S8_S8_S8_EEEEPS9_S9_NSD_9__find_if7functorIS9_EEEE10hipError_tPvRmT1_T2_T3_mT4_P12ihipStream_tbEUlT_E1_NS1_11comp_targetILNS1_3genE8ELNS1_11target_archE1030ELNS1_3gpuE2ELNS1_3repE0EEENS1_30default_config_static_selectorELNS0_4arch9wavefront6targetE0EEEvS14_,comdat
.Lfunc_end316:
	.size	_ZN7rocprim17ROCPRIM_400000_NS6detail17trampoline_kernelINS0_14default_configENS1_22reduce_config_selectorIN6thrust23THRUST_200600_302600_NS5tupleIblNS6_9null_typeES8_S8_S8_S8_S8_S8_S8_EEEEZNS1_11reduce_implILb1ES3_NS6_12zip_iteratorINS7_INS6_11hip_rocprim26transform_input_iterator_tIbNSD_35transform_pair_of_input_iterators_tIbNS6_6detail15normal_iteratorINS6_10device_ptrIKtEEEESL_NS6_8equal_toItEEEENSG_9not_fun_tINSD_8identityEEEEENSD_19counting_iterator_tIlEES8_S8_S8_S8_S8_S8_S8_S8_EEEEPS9_S9_NSD_9__find_if7functorIS9_EEEE10hipError_tPvRmT1_T2_T3_mT4_P12ihipStream_tbEUlT_E1_NS1_11comp_targetILNS1_3genE8ELNS1_11target_archE1030ELNS1_3gpuE2ELNS1_3repE0EEENS1_30default_config_static_selectorELNS0_4arch9wavefront6targetE0EEEvS14_, .Lfunc_end316-_ZN7rocprim17ROCPRIM_400000_NS6detail17trampoline_kernelINS0_14default_configENS1_22reduce_config_selectorIN6thrust23THRUST_200600_302600_NS5tupleIblNS6_9null_typeES8_S8_S8_S8_S8_S8_S8_EEEEZNS1_11reduce_implILb1ES3_NS6_12zip_iteratorINS7_INS6_11hip_rocprim26transform_input_iterator_tIbNSD_35transform_pair_of_input_iterators_tIbNS6_6detail15normal_iteratorINS6_10device_ptrIKtEEEESL_NS6_8equal_toItEEEENSG_9not_fun_tINSD_8identityEEEEENSD_19counting_iterator_tIlEES8_S8_S8_S8_S8_S8_S8_S8_EEEEPS9_S9_NSD_9__find_if7functorIS9_EEEE10hipError_tPvRmT1_T2_T3_mT4_P12ihipStream_tbEUlT_E1_NS1_11comp_targetILNS1_3genE8ELNS1_11target_archE1030ELNS1_3gpuE2ELNS1_3repE0EEENS1_30default_config_static_selectorELNS0_4arch9wavefront6targetE0EEEvS14_
                                        ; -- End function
	.set _ZN7rocprim17ROCPRIM_400000_NS6detail17trampoline_kernelINS0_14default_configENS1_22reduce_config_selectorIN6thrust23THRUST_200600_302600_NS5tupleIblNS6_9null_typeES8_S8_S8_S8_S8_S8_S8_EEEEZNS1_11reduce_implILb1ES3_NS6_12zip_iteratorINS7_INS6_11hip_rocprim26transform_input_iterator_tIbNSD_35transform_pair_of_input_iterators_tIbNS6_6detail15normal_iteratorINS6_10device_ptrIKtEEEESL_NS6_8equal_toItEEEENSG_9not_fun_tINSD_8identityEEEEENSD_19counting_iterator_tIlEES8_S8_S8_S8_S8_S8_S8_S8_EEEEPS9_S9_NSD_9__find_if7functorIS9_EEEE10hipError_tPvRmT1_T2_T3_mT4_P12ihipStream_tbEUlT_E1_NS1_11comp_targetILNS1_3genE8ELNS1_11target_archE1030ELNS1_3gpuE2ELNS1_3repE0EEENS1_30default_config_static_selectorELNS0_4arch9wavefront6targetE0EEEvS14_.num_vgpr, 27
	.set _ZN7rocprim17ROCPRIM_400000_NS6detail17trampoline_kernelINS0_14default_configENS1_22reduce_config_selectorIN6thrust23THRUST_200600_302600_NS5tupleIblNS6_9null_typeES8_S8_S8_S8_S8_S8_S8_EEEEZNS1_11reduce_implILb1ES3_NS6_12zip_iteratorINS7_INS6_11hip_rocprim26transform_input_iterator_tIbNSD_35transform_pair_of_input_iterators_tIbNS6_6detail15normal_iteratorINS6_10device_ptrIKtEEEESL_NS6_8equal_toItEEEENSG_9not_fun_tINSD_8identityEEEEENSD_19counting_iterator_tIlEES8_S8_S8_S8_S8_S8_S8_S8_EEEEPS9_S9_NSD_9__find_if7functorIS9_EEEE10hipError_tPvRmT1_T2_T3_mT4_P12ihipStream_tbEUlT_E1_NS1_11comp_targetILNS1_3genE8ELNS1_11target_archE1030ELNS1_3gpuE2ELNS1_3repE0EEENS1_30default_config_static_selectorELNS0_4arch9wavefront6targetE0EEEvS14_.num_agpr, 0
	.set _ZN7rocprim17ROCPRIM_400000_NS6detail17trampoline_kernelINS0_14default_configENS1_22reduce_config_selectorIN6thrust23THRUST_200600_302600_NS5tupleIblNS6_9null_typeES8_S8_S8_S8_S8_S8_S8_EEEEZNS1_11reduce_implILb1ES3_NS6_12zip_iteratorINS7_INS6_11hip_rocprim26transform_input_iterator_tIbNSD_35transform_pair_of_input_iterators_tIbNS6_6detail15normal_iteratorINS6_10device_ptrIKtEEEESL_NS6_8equal_toItEEEENSG_9not_fun_tINSD_8identityEEEEENSD_19counting_iterator_tIlEES8_S8_S8_S8_S8_S8_S8_S8_EEEEPS9_S9_NSD_9__find_if7functorIS9_EEEE10hipError_tPvRmT1_T2_T3_mT4_P12ihipStream_tbEUlT_E1_NS1_11comp_targetILNS1_3genE8ELNS1_11target_archE1030ELNS1_3gpuE2ELNS1_3repE0EEENS1_30default_config_static_selectorELNS0_4arch9wavefront6targetE0EEEvS14_.numbered_sgpr, 32
	.set _ZN7rocprim17ROCPRIM_400000_NS6detail17trampoline_kernelINS0_14default_configENS1_22reduce_config_selectorIN6thrust23THRUST_200600_302600_NS5tupleIblNS6_9null_typeES8_S8_S8_S8_S8_S8_S8_EEEEZNS1_11reduce_implILb1ES3_NS6_12zip_iteratorINS7_INS6_11hip_rocprim26transform_input_iterator_tIbNSD_35transform_pair_of_input_iterators_tIbNS6_6detail15normal_iteratorINS6_10device_ptrIKtEEEESL_NS6_8equal_toItEEEENSG_9not_fun_tINSD_8identityEEEEENSD_19counting_iterator_tIlEES8_S8_S8_S8_S8_S8_S8_S8_EEEEPS9_S9_NSD_9__find_if7functorIS9_EEEE10hipError_tPvRmT1_T2_T3_mT4_P12ihipStream_tbEUlT_E1_NS1_11comp_targetILNS1_3genE8ELNS1_11target_archE1030ELNS1_3gpuE2ELNS1_3repE0EEENS1_30default_config_static_selectorELNS0_4arch9wavefront6targetE0EEEvS14_.num_named_barrier, 0
	.set _ZN7rocprim17ROCPRIM_400000_NS6detail17trampoline_kernelINS0_14default_configENS1_22reduce_config_selectorIN6thrust23THRUST_200600_302600_NS5tupleIblNS6_9null_typeES8_S8_S8_S8_S8_S8_S8_EEEEZNS1_11reduce_implILb1ES3_NS6_12zip_iteratorINS7_INS6_11hip_rocprim26transform_input_iterator_tIbNSD_35transform_pair_of_input_iterators_tIbNS6_6detail15normal_iteratorINS6_10device_ptrIKtEEEESL_NS6_8equal_toItEEEENSG_9not_fun_tINSD_8identityEEEEENSD_19counting_iterator_tIlEES8_S8_S8_S8_S8_S8_S8_S8_EEEEPS9_S9_NSD_9__find_if7functorIS9_EEEE10hipError_tPvRmT1_T2_T3_mT4_P12ihipStream_tbEUlT_E1_NS1_11comp_targetILNS1_3genE8ELNS1_11target_archE1030ELNS1_3gpuE2ELNS1_3repE0EEENS1_30default_config_static_selectorELNS0_4arch9wavefront6targetE0EEEvS14_.private_seg_size, 0
	.set _ZN7rocprim17ROCPRIM_400000_NS6detail17trampoline_kernelINS0_14default_configENS1_22reduce_config_selectorIN6thrust23THRUST_200600_302600_NS5tupleIblNS6_9null_typeES8_S8_S8_S8_S8_S8_S8_EEEEZNS1_11reduce_implILb1ES3_NS6_12zip_iteratorINS7_INS6_11hip_rocprim26transform_input_iterator_tIbNSD_35transform_pair_of_input_iterators_tIbNS6_6detail15normal_iteratorINS6_10device_ptrIKtEEEESL_NS6_8equal_toItEEEENSG_9not_fun_tINSD_8identityEEEEENSD_19counting_iterator_tIlEES8_S8_S8_S8_S8_S8_S8_S8_EEEEPS9_S9_NSD_9__find_if7functorIS9_EEEE10hipError_tPvRmT1_T2_T3_mT4_P12ihipStream_tbEUlT_E1_NS1_11comp_targetILNS1_3genE8ELNS1_11target_archE1030ELNS1_3gpuE2ELNS1_3repE0EEENS1_30default_config_static_selectorELNS0_4arch9wavefront6targetE0EEEvS14_.uses_vcc, 1
	.set _ZN7rocprim17ROCPRIM_400000_NS6detail17trampoline_kernelINS0_14default_configENS1_22reduce_config_selectorIN6thrust23THRUST_200600_302600_NS5tupleIblNS6_9null_typeES8_S8_S8_S8_S8_S8_S8_EEEEZNS1_11reduce_implILb1ES3_NS6_12zip_iteratorINS7_INS6_11hip_rocprim26transform_input_iterator_tIbNSD_35transform_pair_of_input_iterators_tIbNS6_6detail15normal_iteratorINS6_10device_ptrIKtEEEESL_NS6_8equal_toItEEEENSG_9not_fun_tINSD_8identityEEEEENSD_19counting_iterator_tIlEES8_S8_S8_S8_S8_S8_S8_S8_EEEEPS9_S9_NSD_9__find_if7functorIS9_EEEE10hipError_tPvRmT1_T2_T3_mT4_P12ihipStream_tbEUlT_E1_NS1_11comp_targetILNS1_3genE8ELNS1_11target_archE1030ELNS1_3gpuE2ELNS1_3repE0EEENS1_30default_config_static_selectorELNS0_4arch9wavefront6targetE0EEEvS14_.uses_flat_scratch, 0
	.set _ZN7rocprim17ROCPRIM_400000_NS6detail17trampoline_kernelINS0_14default_configENS1_22reduce_config_selectorIN6thrust23THRUST_200600_302600_NS5tupleIblNS6_9null_typeES8_S8_S8_S8_S8_S8_S8_EEEEZNS1_11reduce_implILb1ES3_NS6_12zip_iteratorINS7_INS6_11hip_rocprim26transform_input_iterator_tIbNSD_35transform_pair_of_input_iterators_tIbNS6_6detail15normal_iteratorINS6_10device_ptrIKtEEEESL_NS6_8equal_toItEEEENSG_9not_fun_tINSD_8identityEEEEENSD_19counting_iterator_tIlEES8_S8_S8_S8_S8_S8_S8_S8_EEEEPS9_S9_NSD_9__find_if7functorIS9_EEEE10hipError_tPvRmT1_T2_T3_mT4_P12ihipStream_tbEUlT_E1_NS1_11comp_targetILNS1_3genE8ELNS1_11target_archE1030ELNS1_3gpuE2ELNS1_3repE0EEENS1_30default_config_static_selectorELNS0_4arch9wavefront6targetE0EEEvS14_.has_dyn_sized_stack, 0
	.set _ZN7rocprim17ROCPRIM_400000_NS6detail17trampoline_kernelINS0_14default_configENS1_22reduce_config_selectorIN6thrust23THRUST_200600_302600_NS5tupleIblNS6_9null_typeES8_S8_S8_S8_S8_S8_S8_EEEEZNS1_11reduce_implILb1ES3_NS6_12zip_iteratorINS7_INS6_11hip_rocprim26transform_input_iterator_tIbNSD_35transform_pair_of_input_iterators_tIbNS6_6detail15normal_iteratorINS6_10device_ptrIKtEEEESL_NS6_8equal_toItEEEENSG_9not_fun_tINSD_8identityEEEEENSD_19counting_iterator_tIlEES8_S8_S8_S8_S8_S8_S8_S8_EEEEPS9_S9_NSD_9__find_if7functorIS9_EEEE10hipError_tPvRmT1_T2_T3_mT4_P12ihipStream_tbEUlT_E1_NS1_11comp_targetILNS1_3genE8ELNS1_11target_archE1030ELNS1_3gpuE2ELNS1_3repE0EEENS1_30default_config_static_selectorELNS0_4arch9wavefront6targetE0EEEvS14_.has_recursion, 0
	.set _ZN7rocprim17ROCPRIM_400000_NS6detail17trampoline_kernelINS0_14default_configENS1_22reduce_config_selectorIN6thrust23THRUST_200600_302600_NS5tupleIblNS6_9null_typeES8_S8_S8_S8_S8_S8_S8_EEEEZNS1_11reduce_implILb1ES3_NS6_12zip_iteratorINS7_INS6_11hip_rocprim26transform_input_iterator_tIbNSD_35transform_pair_of_input_iterators_tIbNS6_6detail15normal_iteratorINS6_10device_ptrIKtEEEESL_NS6_8equal_toItEEEENSG_9not_fun_tINSD_8identityEEEEENSD_19counting_iterator_tIlEES8_S8_S8_S8_S8_S8_S8_S8_EEEEPS9_S9_NSD_9__find_if7functorIS9_EEEE10hipError_tPvRmT1_T2_T3_mT4_P12ihipStream_tbEUlT_E1_NS1_11comp_targetILNS1_3genE8ELNS1_11target_archE1030ELNS1_3gpuE2ELNS1_3repE0EEENS1_30default_config_static_selectorELNS0_4arch9wavefront6targetE0EEEvS14_.has_indirect_call, 0
	.section	.AMDGPU.csdata,"",@progbits
; Kernel info:
; codeLenInByte = 14768
; TotalNumSgprs: 34
; NumVgprs: 27
; ScratchSize: 0
; MemoryBound: 0
; FloatMode: 240
; IeeeMode: 1
; LDSByteSize: 640 bytes/workgroup (compile time only)
; SGPRBlocks: 0
; VGPRBlocks: 3
; NumSGPRsForWavesPerEU: 34
; NumVGPRsForWavesPerEU: 27
; Occupancy: 16
; WaveLimiterHint : 0
; COMPUTE_PGM_RSRC2:SCRATCH_EN: 0
; COMPUTE_PGM_RSRC2:USER_SGPR: 6
; COMPUTE_PGM_RSRC2:TRAP_HANDLER: 0
; COMPUTE_PGM_RSRC2:TGID_X_EN: 1
; COMPUTE_PGM_RSRC2:TGID_Y_EN: 0
; COMPUTE_PGM_RSRC2:TGID_Z_EN: 0
; COMPUTE_PGM_RSRC2:TIDIG_COMP_CNT: 0
	.section	.text._ZN6thrust23THRUST_200600_302600_NS11hip_rocprim14__parallel_for6kernelILj256ENS1_20__uninitialized_fill7functorINS0_10device_ptrIxEExEEmLj1EEEvT0_T1_SA_,"axG",@progbits,_ZN6thrust23THRUST_200600_302600_NS11hip_rocprim14__parallel_for6kernelILj256ENS1_20__uninitialized_fill7functorINS0_10device_ptrIxEExEEmLj1EEEvT0_T1_SA_,comdat
	.protected	_ZN6thrust23THRUST_200600_302600_NS11hip_rocprim14__parallel_for6kernelILj256ENS1_20__uninitialized_fill7functorINS0_10device_ptrIxEExEEmLj1EEEvT0_T1_SA_ ; -- Begin function _ZN6thrust23THRUST_200600_302600_NS11hip_rocprim14__parallel_for6kernelILj256ENS1_20__uninitialized_fill7functorINS0_10device_ptrIxEExEEmLj1EEEvT0_T1_SA_
	.globl	_ZN6thrust23THRUST_200600_302600_NS11hip_rocprim14__parallel_for6kernelILj256ENS1_20__uninitialized_fill7functorINS0_10device_ptrIxEExEEmLj1EEEvT0_T1_SA_
	.p2align	8
	.type	_ZN6thrust23THRUST_200600_302600_NS11hip_rocprim14__parallel_for6kernelILj256ENS1_20__uninitialized_fill7functorINS0_10device_ptrIxEExEEmLj1EEEvT0_T1_SA_,@function
_ZN6thrust23THRUST_200600_302600_NS11hip_rocprim14__parallel_for6kernelILj256ENS1_20__uninitialized_fill7functorINS0_10device_ptrIxEExEEmLj1EEEvT0_T1_SA_: ; @_ZN6thrust23THRUST_200600_302600_NS11hip_rocprim14__parallel_for6kernelILj256ENS1_20__uninitialized_fill7functorINS0_10device_ptrIxEExEEmLj1EEEvT0_T1_SA_
; %bb.0:
	s_load_dwordx8 s[8:15], s[4:5], 0x0
	s_lshl_b32 s0, s6, 8
	s_waitcnt lgkmcnt(0)
	s_add_u32 s0, s14, s0
	s_addc_u32 s1, s15, 0
	s_sub_u32 s2, s12, s0
	s_subb_u32 s3, s13, s1
	v_cmp_lt_u64_e64 s3, 0xff, s[2:3]
	s_and_b32 vcc_lo, exec_lo, s3
	s_mov_b32 s3, -1
	s_cbranch_vccz .LBB317_3
; %bb.1:
	s_andn2_b32 vcc_lo, exec_lo, s3
	s_cbranch_vccz .LBB317_6
.LBB317_2:
	s_endpgm
.LBB317_3:
	v_cmp_gt_u32_e32 vcc_lo, s2, v0
	s_and_saveexec_b32 s2, vcc_lo
	s_cbranch_execz .LBB317_5
; %bb.4:
	v_lshlrev_b32_e32 v1, 3, v0
	s_lshl_b64 s[4:5], s[0:1], 3
	v_mov_b32_e32 v3, s10
	s_add_u32 s3, s8, s4
	s_addc_u32 s4, s9, s5
	v_add_co_u32 v1, s3, s3, v1
	v_add_co_ci_u32_e64 v2, null, s4, 0, s3
	v_mov_b32_e32 v4, s11
	flat_store_dwordx2 v[1:2], v[3:4]
.LBB317_5:
	s_or_b32 exec_lo, exec_lo, s2
	s_cbranch_execnz .LBB317_2
.LBB317_6:
	v_lshlrev_b32_e32 v0, 3, v0
	s_lshl_b64 s[0:1], s[0:1], 3
	v_mov_b32_e32 v2, s10
	s_add_u32 s0, s8, s0
	s_addc_u32 s1, s9, s1
	v_add_co_u32 v0, s0, s0, v0
	v_add_co_ci_u32_e64 v1, null, s1, 0, s0
	v_mov_b32_e32 v3, s11
	flat_store_dwordx2 v[0:1], v[2:3]
	s_endpgm
	.section	.rodata,"a",@progbits
	.p2align	6, 0x0
	.amdhsa_kernel _ZN6thrust23THRUST_200600_302600_NS11hip_rocprim14__parallel_for6kernelILj256ENS1_20__uninitialized_fill7functorINS0_10device_ptrIxEExEEmLj1EEEvT0_T1_SA_
		.amdhsa_group_segment_fixed_size 0
		.amdhsa_private_segment_fixed_size 0
		.amdhsa_kernarg_size 32
		.amdhsa_user_sgpr_count 6
		.amdhsa_user_sgpr_private_segment_buffer 1
		.amdhsa_user_sgpr_dispatch_ptr 0
		.amdhsa_user_sgpr_queue_ptr 0
		.amdhsa_user_sgpr_kernarg_segment_ptr 1
		.amdhsa_user_sgpr_dispatch_id 0
		.amdhsa_user_sgpr_flat_scratch_init 0
		.amdhsa_user_sgpr_private_segment_size 0
		.amdhsa_wavefront_size32 1
		.amdhsa_uses_dynamic_stack 0
		.amdhsa_system_sgpr_private_segment_wavefront_offset 0
		.amdhsa_system_sgpr_workgroup_id_x 1
		.amdhsa_system_sgpr_workgroup_id_y 0
		.amdhsa_system_sgpr_workgroup_id_z 0
		.amdhsa_system_sgpr_workgroup_info 0
		.amdhsa_system_vgpr_workitem_id 0
		.amdhsa_next_free_vgpr 5
		.amdhsa_next_free_sgpr 16
		.amdhsa_reserve_vcc 1
		.amdhsa_reserve_flat_scratch 0
		.amdhsa_float_round_mode_32 0
		.amdhsa_float_round_mode_16_64 0
		.amdhsa_float_denorm_mode_32 3
		.amdhsa_float_denorm_mode_16_64 3
		.amdhsa_dx10_clamp 1
		.amdhsa_ieee_mode 1
		.amdhsa_fp16_overflow 0
		.amdhsa_workgroup_processor_mode 1
		.amdhsa_memory_ordered 1
		.amdhsa_forward_progress 1
		.amdhsa_shared_vgpr_count 0
		.amdhsa_exception_fp_ieee_invalid_op 0
		.amdhsa_exception_fp_denorm_src 0
		.amdhsa_exception_fp_ieee_div_zero 0
		.amdhsa_exception_fp_ieee_overflow 0
		.amdhsa_exception_fp_ieee_underflow 0
		.amdhsa_exception_fp_ieee_inexact 0
		.amdhsa_exception_int_div_zero 0
	.end_amdhsa_kernel
	.section	.text._ZN6thrust23THRUST_200600_302600_NS11hip_rocprim14__parallel_for6kernelILj256ENS1_20__uninitialized_fill7functorINS0_10device_ptrIxEExEEmLj1EEEvT0_T1_SA_,"axG",@progbits,_ZN6thrust23THRUST_200600_302600_NS11hip_rocprim14__parallel_for6kernelILj256ENS1_20__uninitialized_fill7functorINS0_10device_ptrIxEExEEmLj1EEEvT0_T1_SA_,comdat
.Lfunc_end317:
	.size	_ZN6thrust23THRUST_200600_302600_NS11hip_rocprim14__parallel_for6kernelILj256ENS1_20__uninitialized_fill7functorINS0_10device_ptrIxEExEEmLj1EEEvT0_T1_SA_, .Lfunc_end317-_ZN6thrust23THRUST_200600_302600_NS11hip_rocprim14__parallel_for6kernelILj256ENS1_20__uninitialized_fill7functorINS0_10device_ptrIxEExEEmLj1EEEvT0_T1_SA_
                                        ; -- End function
	.set _ZN6thrust23THRUST_200600_302600_NS11hip_rocprim14__parallel_for6kernelILj256ENS1_20__uninitialized_fill7functorINS0_10device_ptrIxEExEEmLj1EEEvT0_T1_SA_.num_vgpr, 5
	.set _ZN6thrust23THRUST_200600_302600_NS11hip_rocprim14__parallel_for6kernelILj256ENS1_20__uninitialized_fill7functorINS0_10device_ptrIxEExEEmLj1EEEvT0_T1_SA_.num_agpr, 0
	.set _ZN6thrust23THRUST_200600_302600_NS11hip_rocprim14__parallel_for6kernelILj256ENS1_20__uninitialized_fill7functorINS0_10device_ptrIxEExEEmLj1EEEvT0_T1_SA_.numbered_sgpr, 16
	.set _ZN6thrust23THRUST_200600_302600_NS11hip_rocprim14__parallel_for6kernelILj256ENS1_20__uninitialized_fill7functorINS0_10device_ptrIxEExEEmLj1EEEvT0_T1_SA_.num_named_barrier, 0
	.set _ZN6thrust23THRUST_200600_302600_NS11hip_rocprim14__parallel_for6kernelILj256ENS1_20__uninitialized_fill7functorINS0_10device_ptrIxEExEEmLj1EEEvT0_T1_SA_.private_seg_size, 0
	.set _ZN6thrust23THRUST_200600_302600_NS11hip_rocprim14__parallel_for6kernelILj256ENS1_20__uninitialized_fill7functorINS0_10device_ptrIxEExEEmLj1EEEvT0_T1_SA_.uses_vcc, 1
	.set _ZN6thrust23THRUST_200600_302600_NS11hip_rocprim14__parallel_for6kernelILj256ENS1_20__uninitialized_fill7functorINS0_10device_ptrIxEExEEmLj1EEEvT0_T1_SA_.uses_flat_scratch, 0
	.set _ZN6thrust23THRUST_200600_302600_NS11hip_rocprim14__parallel_for6kernelILj256ENS1_20__uninitialized_fill7functorINS0_10device_ptrIxEExEEmLj1EEEvT0_T1_SA_.has_dyn_sized_stack, 0
	.set _ZN6thrust23THRUST_200600_302600_NS11hip_rocprim14__parallel_for6kernelILj256ENS1_20__uninitialized_fill7functorINS0_10device_ptrIxEExEEmLj1EEEvT0_T1_SA_.has_recursion, 0
	.set _ZN6thrust23THRUST_200600_302600_NS11hip_rocprim14__parallel_for6kernelILj256ENS1_20__uninitialized_fill7functorINS0_10device_ptrIxEExEEmLj1EEEvT0_T1_SA_.has_indirect_call, 0
	.section	.AMDGPU.csdata,"",@progbits
; Kernel info:
; codeLenInByte = 188
; TotalNumSgprs: 18
; NumVgprs: 5
; ScratchSize: 0
; MemoryBound: 0
; FloatMode: 240
; IeeeMode: 1
; LDSByteSize: 0 bytes/workgroup (compile time only)
; SGPRBlocks: 0
; VGPRBlocks: 0
; NumSGPRsForWavesPerEU: 18
; NumVGPRsForWavesPerEU: 5
; Occupancy: 16
; WaveLimiterHint : 0
; COMPUTE_PGM_RSRC2:SCRATCH_EN: 0
; COMPUTE_PGM_RSRC2:USER_SGPR: 6
; COMPUTE_PGM_RSRC2:TRAP_HANDLER: 0
; COMPUTE_PGM_RSRC2:TGID_X_EN: 1
; COMPUTE_PGM_RSRC2:TGID_Y_EN: 0
; COMPUTE_PGM_RSRC2:TGID_Z_EN: 0
; COMPUTE_PGM_RSRC2:TIDIG_COMP_CNT: 0
	.section	.text._ZN7rocprim17ROCPRIM_400000_NS6detail44device_merge_sort_compile_time_verifier_archINS1_11comp_targetILNS1_3genE0ELNS1_11target_archE4294967295ELNS1_3gpuE0ELNS1_3repE0EEES8_NS0_14default_configES9_NS1_37merge_sort_block_sort_config_selectorIxNS0_10empty_typeEEENS1_38merge_sort_block_merge_config_selectorIxSB_EEEEvv,"axG",@progbits,_ZN7rocprim17ROCPRIM_400000_NS6detail44device_merge_sort_compile_time_verifier_archINS1_11comp_targetILNS1_3genE0ELNS1_11target_archE4294967295ELNS1_3gpuE0ELNS1_3repE0EEES8_NS0_14default_configES9_NS1_37merge_sort_block_sort_config_selectorIxNS0_10empty_typeEEENS1_38merge_sort_block_merge_config_selectorIxSB_EEEEvv,comdat
	.protected	_ZN7rocprim17ROCPRIM_400000_NS6detail44device_merge_sort_compile_time_verifier_archINS1_11comp_targetILNS1_3genE0ELNS1_11target_archE4294967295ELNS1_3gpuE0ELNS1_3repE0EEES8_NS0_14default_configES9_NS1_37merge_sort_block_sort_config_selectorIxNS0_10empty_typeEEENS1_38merge_sort_block_merge_config_selectorIxSB_EEEEvv ; -- Begin function _ZN7rocprim17ROCPRIM_400000_NS6detail44device_merge_sort_compile_time_verifier_archINS1_11comp_targetILNS1_3genE0ELNS1_11target_archE4294967295ELNS1_3gpuE0ELNS1_3repE0EEES8_NS0_14default_configES9_NS1_37merge_sort_block_sort_config_selectorIxNS0_10empty_typeEEENS1_38merge_sort_block_merge_config_selectorIxSB_EEEEvv
	.globl	_ZN7rocprim17ROCPRIM_400000_NS6detail44device_merge_sort_compile_time_verifier_archINS1_11comp_targetILNS1_3genE0ELNS1_11target_archE4294967295ELNS1_3gpuE0ELNS1_3repE0EEES8_NS0_14default_configES9_NS1_37merge_sort_block_sort_config_selectorIxNS0_10empty_typeEEENS1_38merge_sort_block_merge_config_selectorIxSB_EEEEvv
	.p2align	8
	.type	_ZN7rocprim17ROCPRIM_400000_NS6detail44device_merge_sort_compile_time_verifier_archINS1_11comp_targetILNS1_3genE0ELNS1_11target_archE4294967295ELNS1_3gpuE0ELNS1_3repE0EEES8_NS0_14default_configES9_NS1_37merge_sort_block_sort_config_selectorIxNS0_10empty_typeEEENS1_38merge_sort_block_merge_config_selectorIxSB_EEEEvv,@function
_ZN7rocprim17ROCPRIM_400000_NS6detail44device_merge_sort_compile_time_verifier_archINS1_11comp_targetILNS1_3genE0ELNS1_11target_archE4294967295ELNS1_3gpuE0ELNS1_3repE0EEES8_NS0_14default_configES9_NS1_37merge_sort_block_sort_config_selectorIxNS0_10empty_typeEEENS1_38merge_sort_block_merge_config_selectorIxSB_EEEEvv: ; @_ZN7rocprim17ROCPRIM_400000_NS6detail44device_merge_sort_compile_time_verifier_archINS1_11comp_targetILNS1_3genE0ELNS1_11target_archE4294967295ELNS1_3gpuE0ELNS1_3repE0EEES8_NS0_14default_configES9_NS1_37merge_sort_block_sort_config_selectorIxNS0_10empty_typeEEENS1_38merge_sort_block_merge_config_selectorIxSB_EEEEvv
; %bb.0:
	s_endpgm
	.section	.rodata,"a",@progbits
	.p2align	6, 0x0
	.amdhsa_kernel _ZN7rocprim17ROCPRIM_400000_NS6detail44device_merge_sort_compile_time_verifier_archINS1_11comp_targetILNS1_3genE0ELNS1_11target_archE4294967295ELNS1_3gpuE0ELNS1_3repE0EEES8_NS0_14default_configES9_NS1_37merge_sort_block_sort_config_selectorIxNS0_10empty_typeEEENS1_38merge_sort_block_merge_config_selectorIxSB_EEEEvv
		.amdhsa_group_segment_fixed_size 0
		.amdhsa_private_segment_fixed_size 0
		.amdhsa_kernarg_size 0
		.amdhsa_user_sgpr_count 4
		.amdhsa_user_sgpr_private_segment_buffer 1
		.amdhsa_user_sgpr_dispatch_ptr 0
		.amdhsa_user_sgpr_queue_ptr 0
		.amdhsa_user_sgpr_kernarg_segment_ptr 0
		.amdhsa_user_sgpr_dispatch_id 0
		.amdhsa_user_sgpr_flat_scratch_init 0
		.amdhsa_user_sgpr_private_segment_size 0
		.amdhsa_wavefront_size32 1
		.amdhsa_uses_dynamic_stack 0
		.amdhsa_system_sgpr_private_segment_wavefront_offset 0
		.amdhsa_system_sgpr_workgroup_id_x 1
		.amdhsa_system_sgpr_workgroup_id_y 0
		.amdhsa_system_sgpr_workgroup_id_z 0
		.amdhsa_system_sgpr_workgroup_info 0
		.amdhsa_system_vgpr_workitem_id 0
		.amdhsa_next_free_vgpr 1
		.amdhsa_next_free_sgpr 1
		.amdhsa_reserve_vcc 0
		.amdhsa_reserve_flat_scratch 0
		.amdhsa_float_round_mode_32 0
		.amdhsa_float_round_mode_16_64 0
		.amdhsa_float_denorm_mode_32 3
		.amdhsa_float_denorm_mode_16_64 3
		.amdhsa_dx10_clamp 1
		.amdhsa_ieee_mode 1
		.amdhsa_fp16_overflow 0
		.amdhsa_workgroup_processor_mode 1
		.amdhsa_memory_ordered 1
		.amdhsa_forward_progress 1
		.amdhsa_shared_vgpr_count 0
		.amdhsa_exception_fp_ieee_invalid_op 0
		.amdhsa_exception_fp_denorm_src 0
		.amdhsa_exception_fp_ieee_div_zero 0
		.amdhsa_exception_fp_ieee_overflow 0
		.amdhsa_exception_fp_ieee_underflow 0
		.amdhsa_exception_fp_ieee_inexact 0
		.amdhsa_exception_int_div_zero 0
	.end_amdhsa_kernel
	.section	.text._ZN7rocprim17ROCPRIM_400000_NS6detail44device_merge_sort_compile_time_verifier_archINS1_11comp_targetILNS1_3genE0ELNS1_11target_archE4294967295ELNS1_3gpuE0ELNS1_3repE0EEES8_NS0_14default_configES9_NS1_37merge_sort_block_sort_config_selectorIxNS0_10empty_typeEEENS1_38merge_sort_block_merge_config_selectorIxSB_EEEEvv,"axG",@progbits,_ZN7rocprim17ROCPRIM_400000_NS6detail44device_merge_sort_compile_time_verifier_archINS1_11comp_targetILNS1_3genE0ELNS1_11target_archE4294967295ELNS1_3gpuE0ELNS1_3repE0EEES8_NS0_14default_configES9_NS1_37merge_sort_block_sort_config_selectorIxNS0_10empty_typeEEENS1_38merge_sort_block_merge_config_selectorIxSB_EEEEvv,comdat
.Lfunc_end318:
	.size	_ZN7rocprim17ROCPRIM_400000_NS6detail44device_merge_sort_compile_time_verifier_archINS1_11comp_targetILNS1_3genE0ELNS1_11target_archE4294967295ELNS1_3gpuE0ELNS1_3repE0EEES8_NS0_14default_configES9_NS1_37merge_sort_block_sort_config_selectorIxNS0_10empty_typeEEENS1_38merge_sort_block_merge_config_selectorIxSB_EEEEvv, .Lfunc_end318-_ZN7rocprim17ROCPRIM_400000_NS6detail44device_merge_sort_compile_time_verifier_archINS1_11comp_targetILNS1_3genE0ELNS1_11target_archE4294967295ELNS1_3gpuE0ELNS1_3repE0EEES8_NS0_14default_configES9_NS1_37merge_sort_block_sort_config_selectorIxNS0_10empty_typeEEENS1_38merge_sort_block_merge_config_selectorIxSB_EEEEvv
                                        ; -- End function
	.set _ZN7rocprim17ROCPRIM_400000_NS6detail44device_merge_sort_compile_time_verifier_archINS1_11comp_targetILNS1_3genE0ELNS1_11target_archE4294967295ELNS1_3gpuE0ELNS1_3repE0EEES8_NS0_14default_configES9_NS1_37merge_sort_block_sort_config_selectorIxNS0_10empty_typeEEENS1_38merge_sort_block_merge_config_selectorIxSB_EEEEvv.num_vgpr, 0
	.set _ZN7rocprim17ROCPRIM_400000_NS6detail44device_merge_sort_compile_time_verifier_archINS1_11comp_targetILNS1_3genE0ELNS1_11target_archE4294967295ELNS1_3gpuE0ELNS1_3repE0EEES8_NS0_14default_configES9_NS1_37merge_sort_block_sort_config_selectorIxNS0_10empty_typeEEENS1_38merge_sort_block_merge_config_selectorIxSB_EEEEvv.num_agpr, 0
	.set _ZN7rocprim17ROCPRIM_400000_NS6detail44device_merge_sort_compile_time_verifier_archINS1_11comp_targetILNS1_3genE0ELNS1_11target_archE4294967295ELNS1_3gpuE0ELNS1_3repE0EEES8_NS0_14default_configES9_NS1_37merge_sort_block_sort_config_selectorIxNS0_10empty_typeEEENS1_38merge_sort_block_merge_config_selectorIxSB_EEEEvv.numbered_sgpr, 0
	.set _ZN7rocprim17ROCPRIM_400000_NS6detail44device_merge_sort_compile_time_verifier_archINS1_11comp_targetILNS1_3genE0ELNS1_11target_archE4294967295ELNS1_3gpuE0ELNS1_3repE0EEES8_NS0_14default_configES9_NS1_37merge_sort_block_sort_config_selectorIxNS0_10empty_typeEEENS1_38merge_sort_block_merge_config_selectorIxSB_EEEEvv.num_named_barrier, 0
	.set _ZN7rocprim17ROCPRIM_400000_NS6detail44device_merge_sort_compile_time_verifier_archINS1_11comp_targetILNS1_3genE0ELNS1_11target_archE4294967295ELNS1_3gpuE0ELNS1_3repE0EEES8_NS0_14default_configES9_NS1_37merge_sort_block_sort_config_selectorIxNS0_10empty_typeEEENS1_38merge_sort_block_merge_config_selectorIxSB_EEEEvv.private_seg_size, 0
	.set _ZN7rocprim17ROCPRIM_400000_NS6detail44device_merge_sort_compile_time_verifier_archINS1_11comp_targetILNS1_3genE0ELNS1_11target_archE4294967295ELNS1_3gpuE0ELNS1_3repE0EEES8_NS0_14default_configES9_NS1_37merge_sort_block_sort_config_selectorIxNS0_10empty_typeEEENS1_38merge_sort_block_merge_config_selectorIxSB_EEEEvv.uses_vcc, 0
	.set _ZN7rocprim17ROCPRIM_400000_NS6detail44device_merge_sort_compile_time_verifier_archINS1_11comp_targetILNS1_3genE0ELNS1_11target_archE4294967295ELNS1_3gpuE0ELNS1_3repE0EEES8_NS0_14default_configES9_NS1_37merge_sort_block_sort_config_selectorIxNS0_10empty_typeEEENS1_38merge_sort_block_merge_config_selectorIxSB_EEEEvv.uses_flat_scratch, 0
	.set _ZN7rocprim17ROCPRIM_400000_NS6detail44device_merge_sort_compile_time_verifier_archINS1_11comp_targetILNS1_3genE0ELNS1_11target_archE4294967295ELNS1_3gpuE0ELNS1_3repE0EEES8_NS0_14default_configES9_NS1_37merge_sort_block_sort_config_selectorIxNS0_10empty_typeEEENS1_38merge_sort_block_merge_config_selectorIxSB_EEEEvv.has_dyn_sized_stack, 0
	.set _ZN7rocprim17ROCPRIM_400000_NS6detail44device_merge_sort_compile_time_verifier_archINS1_11comp_targetILNS1_3genE0ELNS1_11target_archE4294967295ELNS1_3gpuE0ELNS1_3repE0EEES8_NS0_14default_configES9_NS1_37merge_sort_block_sort_config_selectorIxNS0_10empty_typeEEENS1_38merge_sort_block_merge_config_selectorIxSB_EEEEvv.has_recursion, 0
	.set _ZN7rocprim17ROCPRIM_400000_NS6detail44device_merge_sort_compile_time_verifier_archINS1_11comp_targetILNS1_3genE0ELNS1_11target_archE4294967295ELNS1_3gpuE0ELNS1_3repE0EEES8_NS0_14default_configES9_NS1_37merge_sort_block_sort_config_selectorIxNS0_10empty_typeEEENS1_38merge_sort_block_merge_config_selectorIxSB_EEEEvv.has_indirect_call, 0
	.section	.AMDGPU.csdata,"",@progbits
; Kernel info:
; codeLenInByte = 4
; TotalNumSgprs: 0
; NumVgprs: 0
; ScratchSize: 0
; MemoryBound: 0
; FloatMode: 240
; IeeeMode: 1
; LDSByteSize: 0 bytes/workgroup (compile time only)
; SGPRBlocks: 0
; VGPRBlocks: 0
; NumSGPRsForWavesPerEU: 1
; NumVGPRsForWavesPerEU: 1
; Occupancy: 16
; WaveLimiterHint : 0
; COMPUTE_PGM_RSRC2:SCRATCH_EN: 0
; COMPUTE_PGM_RSRC2:USER_SGPR: 4
; COMPUTE_PGM_RSRC2:TRAP_HANDLER: 0
; COMPUTE_PGM_RSRC2:TGID_X_EN: 1
; COMPUTE_PGM_RSRC2:TGID_Y_EN: 0
; COMPUTE_PGM_RSRC2:TGID_Z_EN: 0
; COMPUTE_PGM_RSRC2:TIDIG_COMP_CNT: 0
	.section	.text._ZN7rocprim17ROCPRIM_400000_NS6detail44device_merge_sort_compile_time_verifier_archINS1_11comp_targetILNS1_3genE5ELNS1_11target_archE942ELNS1_3gpuE9ELNS1_3repE0EEES8_NS0_14default_configES9_NS1_37merge_sort_block_sort_config_selectorIxNS0_10empty_typeEEENS1_38merge_sort_block_merge_config_selectorIxSB_EEEEvv,"axG",@progbits,_ZN7rocprim17ROCPRIM_400000_NS6detail44device_merge_sort_compile_time_verifier_archINS1_11comp_targetILNS1_3genE5ELNS1_11target_archE942ELNS1_3gpuE9ELNS1_3repE0EEES8_NS0_14default_configES9_NS1_37merge_sort_block_sort_config_selectorIxNS0_10empty_typeEEENS1_38merge_sort_block_merge_config_selectorIxSB_EEEEvv,comdat
	.protected	_ZN7rocprim17ROCPRIM_400000_NS6detail44device_merge_sort_compile_time_verifier_archINS1_11comp_targetILNS1_3genE5ELNS1_11target_archE942ELNS1_3gpuE9ELNS1_3repE0EEES8_NS0_14default_configES9_NS1_37merge_sort_block_sort_config_selectorIxNS0_10empty_typeEEENS1_38merge_sort_block_merge_config_selectorIxSB_EEEEvv ; -- Begin function _ZN7rocprim17ROCPRIM_400000_NS6detail44device_merge_sort_compile_time_verifier_archINS1_11comp_targetILNS1_3genE5ELNS1_11target_archE942ELNS1_3gpuE9ELNS1_3repE0EEES8_NS0_14default_configES9_NS1_37merge_sort_block_sort_config_selectorIxNS0_10empty_typeEEENS1_38merge_sort_block_merge_config_selectorIxSB_EEEEvv
	.globl	_ZN7rocprim17ROCPRIM_400000_NS6detail44device_merge_sort_compile_time_verifier_archINS1_11comp_targetILNS1_3genE5ELNS1_11target_archE942ELNS1_3gpuE9ELNS1_3repE0EEES8_NS0_14default_configES9_NS1_37merge_sort_block_sort_config_selectorIxNS0_10empty_typeEEENS1_38merge_sort_block_merge_config_selectorIxSB_EEEEvv
	.p2align	8
	.type	_ZN7rocprim17ROCPRIM_400000_NS6detail44device_merge_sort_compile_time_verifier_archINS1_11comp_targetILNS1_3genE5ELNS1_11target_archE942ELNS1_3gpuE9ELNS1_3repE0EEES8_NS0_14default_configES9_NS1_37merge_sort_block_sort_config_selectorIxNS0_10empty_typeEEENS1_38merge_sort_block_merge_config_selectorIxSB_EEEEvv,@function
_ZN7rocprim17ROCPRIM_400000_NS6detail44device_merge_sort_compile_time_verifier_archINS1_11comp_targetILNS1_3genE5ELNS1_11target_archE942ELNS1_3gpuE9ELNS1_3repE0EEES8_NS0_14default_configES9_NS1_37merge_sort_block_sort_config_selectorIxNS0_10empty_typeEEENS1_38merge_sort_block_merge_config_selectorIxSB_EEEEvv: ; @_ZN7rocprim17ROCPRIM_400000_NS6detail44device_merge_sort_compile_time_verifier_archINS1_11comp_targetILNS1_3genE5ELNS1_11target_archE942ELNS1_3gpuE9ELNS1_3repE0EEES8_NS0_14default_configES9_NS1_37merge_sort_block_sort_config_selectorIxNS0_10empty_typeEEENS1_38merge_sort_block_merge_config_selectorIxSB_EEEEvv
; %bb.0:
	s_endpgm
	.section	.rodata,"a",@progbits
	.p2align	6, 0x0
	.amdhsa_kernel _ZN7rocprim17ROCPRIM_400000_NS6detail44device_merge_sort_compile_time_verifier_archINS1_11comp_targetILNS1_3genE5ELNS1_11target_archE942ELNS1_3gpuE9ELNS1_3repE0EEES8_NS0_14default_configES9_NS1_37merge_sort_block_sort_config_selectorIxNS0_10empty_typeEEENS1_38merge_sort_block_merge_config_selectorIxSB_EEEEvv
		.amdhsa_group_segment_fixed_size 0
		.amdhsa_private_segment_fixed_size 0
		.amdhsa_kernarg_size 0
		.amdhsa_user_sgpr_count 4
		.amdhsa_user_sgpr_private_segment_buffer 1
		.amdhsa_user_sgpr_dispatch_ptr 0
		.amdhsa_user_sgpr_queue_ptr 0
		.amdhsa_user_sgpr_kernarg_segment_ptr 0
		.amdhsa_user_sgpr_dispatch_id 0
		.amdhsa_user_sgpr_flat_scratch_init 0
		.amdhsa_user_sgpr_private_segment_size 0
		.amdhsa_wavefront_size32 1
		.amdhsa_uses_dynamic_stack 0
		.amdhsa_system_sgpr_private_segment_wavefront_offset 0
		.amdhsa_system_sgpr_workgroup_id_x 1
		.amdhsa_system_sgpr_workgroup_id_y 0
		.amdhsa_system_sgpr_workgroup_id_z 0
		.amdhsa_system_sgpr_workgroup_info 0
		.amdhsa_system_vgpr_workitem_id 0
		.amdhsa_next_free_vgpr 1
		.amdhsa_next_free_sgpr 1
		.amdhsa_reserve_vcc 0
		.amdhsa_reserve_flat_scratch 0
		.amdhsa_float_round_mode_32 0
		.amdhsa_float_round_mode_16_64 0
		.amdhsa_float_denorm_mode_32 3
		.amdhsa_float_denorm_mode_16_64 3
		.amdhsa_dx10_clamp 1
		.amdhsa_ieee_mode 1
		.amdhsa_fp16_overflow 0
		.amdhsa_workgroup_processor_mode 1
		.amdhsa_memory_ordered 1
		.amdhsa_forward_progress 1
		.amdhsa_shared_vgpr_count 0
		.amdhsa_exception_fp_ieee_invalid_op 0
		.amdhsa_exception_fp_denorm_src 0
		.amdhsa_exception_fp_ieee_div_zero 0
		.amdhsa_exception_fp_ieee_overflow 0
		.amdhsa_exception_fp_ieee_underflow 0
		.amdhsa_exception_fp_ieee_inexact 0
		.amdhsa_exception_int_div_zero 0
	.end_amdhsa_kernel
	.section	.text._ZN7rocprim17ROCPRIM_400000_NS6detail44device_merge_sort_compile_time_verifier_archINS1_11comp_targetILNS1_3genE5ELNS1_11target_archE942ELNS1_3gpuE9ELNS1_3repE0EEES8_NS0_14default_configES9_NS1_37merge_sort_block_sort_config_selectorIxNS0_10empty_typeEEENS1_38merge_sort_block_merge_config_selectorIxSB_EEEEvv,"axG",@progbits,_ZN7rocprim17ROCPRIM_400000_NS6detail44device_merge_sort_compile_time_verifier_archINS1_11comp_targetILNS1_3genE5ELNS1_11target_archE942ELNS1_3gpuE9ELNS1_3repE0EEES8_NS0_14default_configES9_NS1_37merge_sort_block_sort_config_selectorIxNS0_10empty_typeEEENS1_38merge_sort_block_merge_config_selectorIxSB_EEEEvv,comdat
.Lfunc_end319:
	.size	_ZN7rocprim17ROCPRIM_400000_NS6detail44device_merge_sort_compile_time_verifier_archINS1_11comp_targetILNS1_3genE5ELNS1_11target_archE942ELNS1_3gpuE9ELNS1_3repE0EEES8_NS0_14default_configES9_NS1_37merge_sort_block_sort_config_selectorIxNS0_10empty_typeEEENS1_38merge_sort_block_merge_config_selectorIxSB_EEEEvv, .Lfunc_end319-_ZN7rocprim17ROCPRIM_400000_NS6detail44device_merge_sort_compile_time_verifier_archINS1_11comp_targetILNS1_3genE5ELNS1_11target_archE942ELNS1_3gpuE9ELNS1_3repE0EEES8_NS0_14default_configES9_NS1_37merge_sort_block_sort_config_selectorIxNS0_10empty_typeEEENS1_38merge_sort_block_merge_config_selectorIxSB_EEEEvv
                                        ; -- End function
	.set _ZN7rocprim17ROCPRIM_400000_NS6detail44device_merge_sort_compile_time_verifier_archINS1_11comp_targetILNS1_3genE5ELNS1_11target_archE942ELNS1_3gpuE9ELNS1_3repE0EEES8_NS0_14default_configES9_NS1_37merge_sort_block_sort_config_selectorIxNS0_10empty_typeEEENS1_38merge_sort_block_merge_config_selectorIxSB_EEEEvv.num_vgpr, 0
	.set _ZN7rocprim17ROCPRIM_400000_NS6detail44device_merge_sort_compile_time_verifier_archINS1_11comp_targetILNS1_3genE5ELNS1_11target_archE942ELNS1_3gpuE9ELNS1_3repE0EEES8_NS0_14default_configES9_NS1_37merge_sort_block_sort_config_selectorIxNS0_10empty_typeEEENS1_38merge_sort_block_merge_config_selectorIxSB_EEEEvv.num_agpr, 0
	.set _ZN7rocprim17ROCPRIM_400000_NS6detail44device_merge_sort_compile_time_verifier_archINS1_11comp_targetILNS1_3genE5ELNS1_11target_archE942ELNS1_3gpuE9ELNS1_3repE0EEES8_NS0_14default_configES9_NS1_37merge_sort_block_sort_config_selectorIxNS0_10empty_typeEEENS1_38merge_sort_block_merge_config_selectorIxSB_EEEEvv.numbered_sgpr, 0
	.set _ZN7rocprim17ROCPRIM_400000_NS6detail44device_merge_sort_compile_time_verifier_archINS1_11comp_targetILNS1_3genE5ELNS1_11target_archE942ELNS1_3gpuE9ELNS1_3repE0EEES8_NS0_14default_configES9_NS1_37merge_sort_block_sort_config_selectorIxNS0_10empty_typeEEENS1_38merge_sort_block_merge_config_selectorIxSB_EEEEvv.num_named_barrier, 0
	.set _ZN7rocprim17ROCPRIM_400000_NS6detail44device_merge_sort_compile_time_verifier_archINS1_11comp_targetILNS1_3genE5ELNS1_11target_archE942ELNS1_3gpuE9ELNS1_3repE0EEES8_NS0_14default_configES9_NS1_37merge_sort_block_sort_config_selectorIxNS0_10empty_typeEEENS1_38merge_sort_block_merge_config_selectorIxSB_EEEEvv.private_seg_size, 0
	.set _ZN7rocprim17ROCPRIM_400000_NS6detail44device_merge_sort_compile_time_verifier_archINS1_11comp_targetILNS1_3genE5ELNS1_11target_archE942ELNS1_3gpuE9ELNS1_3repE0EEES8_NS0_14default_configES9_NS1_37merge_sort_block_sort_config_selectorIxNS0_10empty_typeEEENS1_38merge_sort_block_merge_config_selectorIxSB_EEEEvv.uses_vcc, 0
	.set _ZN7rocprim17ROCPRIM_400000_NS6detail44device_merge_sort_compile_time_verifier_archINS1_11comp_targetILNS1_3genE5ELNS1_11target_archE942ELNS1_3gpuE9ELNS1_3repE0EEES8_NS0_14default_configES9_NS1_37merge_sort_block_sort_config_selectorIxNS0_10empty_typeEEENS1_38merge_sort_block_merge_config_selectorIxSB_EEEEvv.uses_flat_scratch, 0
	.set _ZN7rocprim17ROCPRIM_400000_NS6detail44device_merge_sort_compile_time_verifier_archINS1_11comp_targetILNS1_3genE5ELNS1_11target_archE942ELNS1_3gpuE9ELNS1_3repE0EEES8_NS0_14default_configES9_NS1_37merge_sort_block_sort_config_selectorIxNS0_10empty_typeEEENS1_38merge_sort_block_merge_config_selectorIxSB_EEEEvv.has_dyn_sized_stack, 0
	.set _ZN7rocprim17ROCPRIM_400000_NS6detail44device_merge_sort_compile_time_verifier_archINS1_11comp_targetILNS1_3genE5ELNS1_11target_archE942ELNS1_3gpuE9ELNS1_3repE0EEES8_NS0_14default_configES9_NS1_37merge_sort_block_sort_config_selectorIxNS0_10empty_typeEEENS1_38merge_sort_block_merge_config_selectorIxSB_EEEEvv.has_recursion, 0
	.set _ZN7rocprim17ROCPRIM_400000_NS6detail44device_merge_sort_compile_time_verifier_archINS1_11comp_targetILNS1_3genE5ELNS1_11target_archE942ELNS1_3gpuE9ELNS1_3repE0EEES8_NS0_14default_configES9_NS1_37merge_sort_block_sort_config_selectorIxNS0_10empty_typeEEENS1_38merge_sort_block_merge_config_selectorIxSB_EEEEvv.has_indirect_call, 0
	.section	.AMDGPU.csdata,"",@progbits
; Kernel info:
; codeLenInByte = 4
; TotalNumSgprs: 0
; NumVgprs: 0
; ScratchSize: 0
; MemoryBound: 0
; FloatMode: 240
; IeeeMode: 1
; LDSByteSize: 0 bytes/workgroup (compile time only)
; SGPRBlocks: 0
; VGPRBlocks: 0
; NumSGPRsForWavesPerEU: 1
; NumVGPRsForWavesPerEU: 1
; Occupancy: 16
; WaveLimiterHint : 0
; COMPUTE_PGM_RSRC2:SCRATCH_EN: 0
; COMPUTE_PGM_RSRC2:USER_SGPR: 4
; COMPUTE_PGM_RSRC2:TRAP_HANDLER: 0
; COMPUTE_PGM_RSRC2:TGID_X_EN: 1
; COMPUTE_PGM_RSRC2:TGID_Y_EN: 0
; COMPUTE_PGM_RSRC2:TGID_Z_EN: 0
; COMPUTE_PGM_RSRC2:TIDIG_COMP_CNT: 0
	.section	.text._ZN7rocprim17ROCPRIM_400000_NS6detail44device_merge_sort_compile_time_verifier_archINS1_11comp_targetILNS1_3genE4ELNS1_11target_archE910ELNS1_3gpuE8ELNS1_3repE0EEES8_NS0_14default_configES9_NS1_37merge_sort_block_sort_config_selectorIxNS0_10empty_typeEEENS1_38merge_sort_block_merge_config_selectorIxSB_EEEEvv,"axG",@progbits,_ZN7rocprim17ROCPRIM_400000_NS6detail44device_merge_sort_compile_time_verifier_archINS1_11comp_targetILNS1_3genE4ELNS1_11target_archE910ELNS1_3gpuE8ELNS1_3repE0EEES8_NS0_14default_configES9_NS1_37merge_sort_block_sort_config_selectorIxNS0_10empty_typeEEENS1_38merge_sort_block_merge_config_selectorIxSB_EEEEvv,comdat
	.protected	_ZN7rocprim17ROCPRIM_400000_NS6detail44device_merge_sort_compile_time_verifier_archINS1_11comp_targetILNS1_3genE4ELNS1_11target_archE910ELNS1_3gpuE8ELNS1_3repE0EEES8_NS0_14default_configES9_NS1_37merge_sort_block_sort_config_selectorIxNS0_10empty_typeEEENS1_38merge_sort_block_merge_config_selectorIxSB_EEEEvv ; -- Begin function _ZN7rocprim17ROCPRIM_400000_NS6detail44device_merge_sort_compile_time_verifier_archINS1_11comp_targetILNS1_3genE4ELNS1_11target_archE910ELNS1_3gpuE8ELNS1_3repE0EEES8_NS0_14default_configES9_NS1_37merge_sort_block_sort_config_selectorIxNS0_10empty_typeEEENS1_38merge_sort_block_merge_config_selectorIxSB_EEEEvv
	.globl	_ZN7rocprim17ROCPRIM_400000_NS6detail44device_merge_sort_compile_time_verifier_archINS1_11comp_targetILNS1_3genE4ELNS1_11target_archE910ELNS1_3gpuE8ELNS1_3repE0EEES8_NS0_14default_configES9_NS1_37merge_sort_block_sort_config_selectorIxNS0_10empty_typeEEENS1_38merge_sort_block_merge_config_selectorIxSB_EEEEvv
	.p2align	8
	.type	_ZN7rocprim17ROCPRIM_400000_NS6detail44device_merge_sort_compile_time_verifier_archINS1_11comp_targetILNS1_3genE4ELNS1_11target_archE910ELNS1_3gpuE8ELNS1_3repE0EEES8_NS0_14default_configES9_NS1_37merge_sort_block_sort_config_selectorIxNS0_10empty_typeEEENS1_38merge_sort_block_merge_config_selectorIxSB_EEEEvv,@function
_ZN7rocprim17ROCPRIM_400000_NS6detail44device_merge_sort_compile_time_verifier_archINS1_11comp_targetILNS1_3genE4ELNS1_11target_archE910ELNS1_3gpuE8ELNS1_3repE0EEES8_NS0_14default_configES9_NS1_37merge_sort_block_sort_config_selectorIxNS0_10empty_typeEEENS1_38merge_sort_block_merge_config_selectorIxSB_EEEEvv: ; @_ZN7rocprim17ROCPRIM_400000_NS6detail44device_merge_sort_compile_time_verifier_archINS1_11comp_targetILNS1_3genE4ELNS1_11target_archE910ELNS1_3gpuE8ELNS1_3repE0EEES8_NS0_14default_configES9_NS1_37merge_sort_block_sort_config_selectorIxNS0_10empty_typeEEENS1_38merge_sort_block_merge_config_selectorIxSB_EEEEvv
; %bb.0:
	s_endpgm
	.section	.rodata,"a",@progbits
	.p2align	6, 0x0
	.amdhsa_kernel _ZN7rocprim17ROCPRIM_400000_NS6detail44device_merge_sort_compile_time_verifier_archINS1_11comp_targetILNS1_3genE4ELNS1_11target_archE910ELNS1_3gpuE8ELNS1_3repE0EEES8_NS0_14default_configES9_NS1_37merge_sort_block_sort_config_selectorIxNS0_10empty_typeEEENS1_38merge_sort_block_merge_config_selectorIxSB_EEEEvv
		.amdhsa_group_segment_fixed_size 0
		.amdhsa_private_segment_fixed_size 0
		.amdhsa_kernarg_size 0
		.amdhsa_user_sgpr_count 4
		.amdhsa_user_sgpr_private_segment_buffer 1
		.amdhsa_user_sgpr_dispatch_ptr 0
		.amdhsa_user_sgpr_queue_ptr 0
		.amdhsa_user_sgpr_kernarg_segment_ptr 0
		.amdhsa_user_sgpr_dispatch_id 0
		.amdhsa_user_sgpr_flat_scratch_init 0
		.amdhsa_user_sgpr_private_segment_size 0
		.amdhsa_wavefront_size32 1
		.amdhsa_uses_dynamic_stack 0
		.amdhsa_system_sgpr_private_segment_wavefront_offset 0
		.amdhsa_system_sgpr_workgroup_id_x 1
		.amdhsa_system_sgpr_workgroup_id_y 0
		.amdhsa_system_sgpr_workgroup_id_z 0
		.amdhsa_system_sgpr_workgroup_info 0
		.amdhsa_system_vgpr_workitem_id 0
		.amdhsa_next_free_vgpr 1
		.amdhsa_next_free_sgpr 1
		.amdhsa_reserve_vcc 0
		.amdhsa_reserve_flat_scratch 0
		.amdhsa_float_round_mode_32 0
		.amdhsa_float_round_mode_16_64 0
		.amdhsa_float_denorm_mode_32 3
		.amdhsa_float_denorm_mode_16_64 3
		.amdhsa_dx10_clamp 1
		.amdhsa_ieee_mode 1
		.amdhsa_fp16_overflow 0
		.amdhsa_workgroup_processor_mode 1
		.amdhsa_memory_ordered 1
		.amdhsa_forward_progress 1
		.amdhsa_shared_vgpr_count 0
		.amdhsa_exception_fp_ieee_invalid_op 0
		.amdhsa_exception_fp_denorm_src 0
		.amdhsa_exception_fp_ieee_div_zero 0
		.amdhsa_exception_fp_ieee_overflow 0
		.amdhsa_exception_fp_ieee_underflow 0
		.amdhsa_exception_fp_ieee_inexact 0
		.amdhsa_exception_int_div_zero 0
	.end_amdhsa_kernel
	.section	.text._ZN7rocprim17ROCPRIM_400000_NS6detail44device_merge_sort_compile_time_verifier_archINS1_11comp_targetILNS1_3genE4ELNS1_11target_archE910ELNS1_3gpuE8ELNS1_3repE0EEES8_NS0_14default_configES9_NS1_37merge_sort_block_sort_config_selectorIxNS0_10empty_typeEEENS1_38merge_sort_block_merge_config_selectorIxSB_EEEEvv,"axG",@progbits,_ZN7rocprim17ROCPRIM_400000_NS6detail44device_merge_sort_compile_time_verifier_archINS1_11comp_targetILNS1_3genE4ELNS1_11target_archE910ELNS1_3gpuE8ELNS1_3repE0EEES8_NS0_14default_configES9_NS1_37merge_sort_block_sort_config_selectorIxNS0_10empty_typeEEENS1_38merge_sort_block_merge_config_selectorIxSB_EEEEvv,comdat
.Lfunc_end320:
	.size	_ZN7rocprim17ROCPRIM_400000_NS6detail44device_merge_sort_compile_time_verifier_archINS1_11comp_targetILNS1_3genE4ELNS1_11target_archE910ELNS1_3gpuE8ELNS1_3repE0EEES8_NS0_14default_configES9_NS1_37merge_sort_block_sort_config_selectorIxNS0_10empty_typeEEENS1_38merge_sort_block_merge_config_selectorIxSB_EEEEvv, .Lfunc_end320-_ZN7rocprim17ROCPRIM_400000_NS6detail44device_merge_sort_compile_time_verifier_archINS1_11comp_targetILNS1_3genE4ELNS1_11target_archE910ELNS1_3gpuE8ELNS1_3repE0EEES8_NS0_14default_configES9_NS1_37merge_sort_block_sort_config_selectorIxNS0_10empty_typeEEENS1_38merge_sort_block_merge_config_selectorIxSB_EEEEvv
                                        ; -- End function
	.set _ZN7rocprim17ROCPRIM_400000_NS6detail44device_merge_sort_compile_time_verifier_archINS1_11comp_targetILNS1_3genE4ELNS1_11target_archE910ELNS1_3gpuE8ELNS1_3repE0EEES8_NS0_14default_configES9_NS1_37merge_sort_block_sort_config_selectorIxNS0_10empty_typeEEENS1_38merge_sort_block_merge_config_selectorIxSB_EEEEvv.num_vgpr, 0
	.set _ZN7rocprim17ROCPRIM_400000_NS6detail44device_merge_sort_compile_time_verifier_archINS1_11comp_targetILNS1_3genE4ELNS1_11target_archE910ELNS1_3gpuE8ELNS1_3repE0EEES8_NS0_14default_configES9_NS1_37merge_sort_block_sort_config_selectorIxNS0_10empty_typeEEENS1_38merge_sort_block_merge_config_selectorIxSB_EEEEvv.num_agpr, 0
	.set _ZN7rocprim17ROCPRIM_400000_NS6detail44device_merge_sort_compile_time_verifier_archINS1_11comp_targetILNS1_3genE4ELNS1_11target_archE910ELNS1_3gpuE8ELNS1_3repE0EEES8_NS0_14default_configES9_NS1_37merge_sort_block_sort_config_selectorIxNS0_10empty_typeEEENS1_38merge_sort_block_merge_config_selectorIxSB_EEEEvv.numbered_sgpr, 0
	.set _ZN7rocprim17ROCPRIM_400000_NS6detail44device_merge_sort_compile_time_verifier_archINS1_11comp_targetILNS1_3genE4ELNS1_11target_archE910ELNS1_3gpuE8ELNS1_3repE0EEES8_NS0_14default_configES9_NS1_37merge_sort_block_sort_config_selectorIxNS0_10empty_typeEEENS1_38merge_sort_block_merge_config_selectorIxSB_EEEEvv.num_named_barrier, 0
	.set _ZN7rocprim17ROCPRIM_400000_NS6detail44device_merge_sort_compile_time_verifier_archINS1_11comp_targetILNS1_3genE4ELNS1_11target_archE910ELNS1_3gpuE8ELNS1_3repE0EEES8_NS0_14default_configES9_NS1_37merge_sort_block_sort_config_selectorIxNS0_10empty_typeEEENS1_38merge_sort_block_merge_config_selectorIxSB_EEEEvv.private_seg_size, 0
	.set _ZN7rocprim17ROCPRIM_400000_NS6detail44device_merge_sort_compile_time_verifier_archINS1_11comp_targetILNS1_3genE4ELNS1_11target_archE910ELNS1_3gpuE8ELNS1_3repE0EEES8_NS0_14default_configES9_NS1_37merge_sort_block_sort_config_selectorIxNS0_10empty_typeEEENS1_38merge_sort_block_merge_config_selectorIxSB_EEEEvv.uses_vcc, 0
	.set _ZN7rocprim17ROCPRIM_400000_NS6detail44device_merge_sort_compile_time_verifier_archINS1_11comp_targetILNS1_3genE4ELNS1_11target_archE910ELNS1_3gpuE8ELNS1_3repE0EEES8_NS0_14default_configES9_NS1_37merge_sort_block_sort_config_selectorIxNS0_10empty_typeEEENS1_38merge_sort_block_merge_config_selectorIxSB_EEEEvv.uses_flat_scratch, 0
	.set _ZN7rocprim17ROCPRIM_400000_NS6detail44device_merge_sort_compile_time_verifier_archINS1_11comp_targetILNS1_3genE4ELNS1_11target_archE910ELNS1_3gpuE8ELNS1_3repE0EEES8_NS0_14default_configES9_NS1_37merge_sort_block_sort_config_selectorIxNS0_10empty_typeEEENS1_38merge_sort_block_merge_config_selectorIxSB_EEEEvv.has_dyn_sized_stack, 0
	.set _ZN7rocprim17ROCPRIM_400000_NS6detail44device_merge_sort_compile_time_verifier_archINS1_11comp_targetILNS1_3genE4ELNS1_11target_archE910ELNS1_3gpuE8ELNS1_3repE0EEES8_NS0_14default_configES9_NS1_37merge_sort_block_sort_config_selectorIxNS0_10empty_typeEEENS1_38merge_sort_block_merge_config_selectorIxSB_EEEEvv.has_recursion, 0
	.set _ZN7rocprim17ROCPRIM_400000_NS6detail44device_merge_sort_compile_time_verifier_archINS1_11comp_targetILNS1_3genE4ELNS1_11target_archE910ELNS1_3gpuE8ELNS1_3repE0EEES8_NS0_14default_configES9_NS1_37merge_sort_block_sort_config_selectorIxNS0_10empty_typeEEENS1_38merge_sort_block_merge_config_selectorIxSB_EEEEvv.has_indirect_call, 0
	.section	.AMDGPU.csdata,"",@progbits
; Kernel info:
; codeLenInByte = 4
; TotalNumSgprs: 0
; NumVgprs: 0
; ScratchSize: 0
; MemoryBound: 0
; FloatMode: 240
; IeeeMode: 1
; LDSByteSize: 0 bytes/workgroup (compile time only)
; SGPRBlocks: 0
; VGPRBlocks: 0
; NumSGPRsForWavesPerEU: 1
; NumVGPRsForWavesPerEU: 1
; Occupancy: 16
; WaveLimiterHint : 0
; COMPUTE_PGM_RSRC2:SCRATCH_EN: 0
; COMPUTE_PGM_RSRC2:USER_SGPR: 4
; COMPUTE_PGM_RSRC2:TRAP_HANDLER: 0
; COMPUTE_PGM_RSRC2:TGID_X_EN: 1
; COMPUTE_PGM_RSRC2:TGID_Y_EN: 0
; COMPUTE_PGM_RSRC2:TGID_Z_EN: 0
; COMPUTE_PGM_RSRC2:TIDIG_COMP_CNT: 0
	.section	.text._ZN7rocprim17ROCPRIM_400000_NS6detail44device_merge_sort_compile_time_verifier_archINS1_11comp_targetILNS1_3genE3ELNS1_11target_archE908ELNS1_3gpuE7ELNS1_3repE0EEES8_NS0_14default_configES9_NS1_37merge_sort_block_sort_config_selectorIxNS0_10empty_typeEEENS1_38merge_sort_block_merge_config_selectorIxSB_EEEEvv,"axG",@progbits,_ZN7rocprim17ROCPRIM_400000_NS6detail44device_merge_sort_compile_time_verifier_archINS1_11comp_targetILNS1_3genE3ELNS1_11target_archE908ELNS1_3gpuE7ELNS1_3repE0EEES8_NS0_14default_configES9_NS1_37merge_sort_block_sort_config_selectorIxNS0_10empty_typeEEENS1_38merge_sort_block_merge_config_selectorIxSB_EEEEvv,comdat
	.protected	_ZN7rocprim17ROCPRIM_400000_NS6detail44device_merge_sort_compile_time_verifier_archINS1_11comp_targetILNS1_3genE3ELNS1_11target_archE908ELNS1_3gpuE7ELNS1_3repE0EEES8_NS0_14default_configES9_NS1_37merge_sort_block_sort_config_selectorIxNS0_10empty_typeEEENS1_38merge_sort_block_merge_config_selectorIxSB_EEEEvv ; -- Begin function _ZN7rocprim17ROCPRIM_400000_NS6detail44device_merge_sort_compile_time_verifier_archINS1_11comp_targetILNS1_3genE3ELNS1_11target_archE908ELNS1_3gpuE7ELNS1_3repE0EEES8_NS0_14default_configES9_NS1_37merge_sort_block_sort_config_selectorIxNS0_10empty_typeEEENS1_38merge_sort_block_merge_config_selectorIxSB_EEEEvv
	.globl	_ZN7rocprim17ROCPRIM_400000_NS6detail44device_merge_sort_compile_time_verifier_archINS1_11comp_targetILNS1_3genE3ELNS1_11target_archE908ELNS1_3gpuE7ELNS1_3repE0EEES8_NS0_14default_configES9_NS1_37merge_sort_block_sort_config_selectorIxNS0_10empty_typeEEENS1_38merge_sort_block_merge_config_selectorIxSB_EEEEvv
	.p2align	8
	.type	_ZN7rocprim17ROCPRIM_400000_NS6detail44device_merge_sort_compile_time_verifier_archINS1_11comp_targetILNS1_3genE3ELNS1_11target_archE908ELNS1_3gpuE7ELNS1_3repE0EEES8_NS0_14default_configES9_NS1_37merge_sort_block_sort_config_selectorIxNS0_10empty_typeEEENS1_38merge_sort_block_merge_config_selectorIxSB_EEEEvv,@function
_ZN7rocprim17ROCPRIM_400000_NS6detail44device_merge_sort_compile_time_verifier_archINS1_11comp_targetILNS1_3genE3ELNS1_11target_archE908ELNS1_3gpuE7ELNS1_3repE0EEES8_NS0_14default_configES9_NS1_37merge_sort_block_sort_config_selectorIxNS0_10empty_typeEEENS1_38merge_sort_block_merge_config_selectorIxSB_EEEEvv: ; @_ZN7rocprim17ROCPRIM_400000_NS6detail44device_merge_sort_compile_time_verifier_archINS1_11comp_targetILNS1_3genE3ELNS1_11target_archE908ELNS1_3gpuE7ELNS1_3repE0EEES8_NS0_14default_configES9_NS1_37merge_sort_block_sort_config_selectorIxNS0_10empty_typeEEENS1_38merge_sort_block_merge_config_selectorIxSB_EEEEvv
; %bb.0:
	s_endpgm
	.section	.rodata,"a",@progbits
	.p2align	6, 0x0
	.amdhsa_kernel _ZN7rocprim17ROCPRIM_400000_NS6detail44device_merge_sort_compile_time_verifier_archINS1_11comp_targetILNS1_3genE3ELNS1_11target_archE908ELNS1_3gpuE7ELNS1_3repE0EEES8_NS0_14default_configES9_NS1_37merge_sort_block_sort_config_selectorIxNS0_10empty_typeEEENS1_38merge_sort_block_merge_config_selectorIxSB_EEEEvv
		.amdhsa_group_segment_fixed_size 0
		.amdhsa_private_segment_fixed_size 0
		.amdhsa_kernarg_size 0
		.amdhsa_user_sgpr_count 4
		.amdhsa_user_sgpr_private_segment_buffer 1
		.amdhsa_user_sgpr_dispatch_ptr 0
		.amdhsa_user_sgpr_queue_ptr 0
		.amdhsa_user_sgpr_kernarg_segment_ptr 0
		.amdhsa_user_sgpr_dispatch_id 0
		.amdhsa_user_sgpr_flat_scratch_init 0
		.amdhsa_user_sgpr_private_segment_size 0
		.amdhsa_wavefront_size32 1
		.amdhsa_uses_dynamic_stack 0
		.amdhsa_system_sgpr_private_segment_wavefront_offset 0
		.amdhsa_system_sgpr_workgroup_id_x 1
		.amdhsa_system_sgpr_workgroup_id_y 0
		.amdhsa_system_sgpr_workgroup_id_z 0
		.amdhsa_system_sgpr_workgroup_info 0
		.amdhsa_system_vgpr_workitem_id 0
		.amdhsa_next_free_vgpr 1
		.amdhsa_next_free_sgpr 1
		.amdhsa_reserve_vcc 0
		.amdhsa_reserve_flat_scratch 0
		.amdhsa_float_round_mode_32 0
		.amdhsa_float_round_mode_16_64 0
		.amdhsa_float_denorm_mode_32 3
		.amdhsa_float_denorm_mode_16_64 3
		.amdhsa_dx10_clamp 1
		.amdhsa_ieee_mode 1
		.amdhsa_fp16_overflow 0
		.amdhsa_workgroup_processor_mode 1
		.amdhsa_memory_ordered 1
		.amdhsa_forward_progress 1
		.amdhsa_shared_vgpr_count 0
		.amdhsa_exception_fp_ieee_invalid_op 0
		.amdhsa_exception_fp_denorm_src 0
		.amdhsa_exception_fp_ieee_div_zero 0
		.amdhsa_exception_fp_ieee_overflow 0
		.amdhsa_exception_fp_ieee_underflow 0
		.amdhsa_exception_fp_ieee_inexact 0
		.amdhsa_exception_int_div_zero 0
	.end_amdhsa_kernel
	.section	.text._ZN7rocprim17ROCPRIM_400000_NS6detail44device_merge_sort_compile_time_verifier_archINS1_11comp_targetILNS1_3genE3ELNS1_11target_archE908ELNS1_3gpuE7ELNS1_3repE0EEES8_NS0_14default_configES9_NS1_37merge_sort_block_sort_config_selectorIxNS0_10empty_typeEEENS1_38merge_sort_block_merge_config_selectorIxSB_EEEEvv,"axG",@progbits,_ZN7rocprim17ROCPRIM_400000_NS6detail44device_merge_sort_compile_time_verifier_archINS1_11comp_targetILNS1_3genE3ELNS1_11target_archE908ELNS1_3gpuE7ELNS1_3repE0EEES8_NS0_14default_configES9_NS1_37merge_sort_block_sort_config_selectorIxNS0_10empty_typeEEENS1_38merge_sort_block_merge_config_selectorIxSB_EEEEvv,comdat
.Lfunc_end321:
	.size	_ZN7rocprim17ROCPRIM_400000_NS6detail44device_merge_sort_compile_time_verifier_archINS1_11comp_targetILNS1_3genE3ELNS1_11target_archE908ELNS1_3gpuE7ELNS1_3repE0EEES8_NS0_14default_configES9_NS1_37merge_sort_block_sort_config_selectorIxNS0_10empty_typeEEENS1_38merge_sort_block_merge_config_selectorIxSB_EEEEvv, .Lfunc_end321-_ZN7rocprim17ROCPRIM_400000_NS6detail44device_merge_sort_compile_time_verifier_archINS1_11comp_targetILNS1_3genE3ELNS1_11target_archE908ELNS1_3gpuE7ELNS1_3repE0EEES8_NS0_14default_configES9_NS1_37merge_sort_block_sort_config_selectorIxNS0_10empty_typeEEENS1_38merge_sort_block_merge_config_selectorIxSB_EEEEvv
                                        ; -- End function
	.set _ZN7rocprim17ROCPRIM_400000_NS6detail44device_merge_sort_compile_time_verifier_archINS1_11comp_targetILNS1_3genE3ELNS1_11target_archE908ELNS1_3gpuE7ELNS1_3repE0EEES8_NS0_14default_configES9_NS1_37merge_sort_block_sort_config_selectorIxNS0_10empty_typeEEENS1_38merge_sort_block_merge_config_selectorIxSB_EEEEvv.num_vgpr, 0
	.set _ZN7rocprim17ROCPRIM_400000_NS6detail44device_merge_sort_compile_time_verifier_archINS1_11comp_targetILNS1_3genE3ELNS1_11target_archE908ELNS1_3gpuE7ELNS1_3repE0EEES8_NS0_14default_configES9_NS1_37merge_sort_block_sort_config_selectorIxNS0_10empty_typeEEENS1_38merge_sort_block_merge_config_selectorIxSB_EEEEvv.num_agpr, 0
	.set _ZN7rocprim17ROCPRIM_400000_NS6detail44device_merge_sort_compile_time_verifier_archINS1_11comp_targetILNS1_3genE3ELNS1_11target_archE908ELNS1_3gpuE7ELNS1_3repE0EEES8_NS0_14default_configES9_NS1_37merge_sort_block_sort_config_selectorIxNS0_10empty_typeEEENS1_38merge_sort_block_merge_config_selectorIxSB_EEEEvv.numbered_sgpr, 0
	.set _ZN7rocprim17ROCPRIM_400000_NS6detail44device_merge_sort_compile_time_verifier_archINS1_11comp_targetILNS1_3genE3ELNS1_11target_archE908ELNS1_3gpuE7ELNS1_3repE0EEES8_NS0_14default_configES9_NS1_37merge_sort_block_sort_config_selectorIxNS0_10empty_typeEEENS1_38merge_sort_block_merge_config_selectorIxSB_EEEEvv.num_named_barrier, 0
	.set _ZN7rocprim17ROCPRIM_400000_NS6detail44device_merge_sort_compile_time_verifier_archINS1_11comp_targetILNS1_3genE3ELNS1_11target_archE908ELNS1_3gpuE7ELNS1_3repE0EEES8_NS0_14default_configES9_NS1_37merge_sort_block_sort_config_selectorIxNS0_10empty_typeEEENS1_38merge_sort_block_merge_config_selectorIxSB_EEEEvv.private_seg_size, 0
	.set _ZN7rocprim17ROCPRIM_400000_NS6detail44device_merge_sort_compile_time_verifier_archINS1_11comp_targetILNS1_3genE3ELNS1_11target_archE908ELNS1_3gpuE7ELNS1_3repE0EEES8_NS0_14default_configES9_NS1_37merge_sort_block_sort_config_selectorIxNS0_10empty_typeEEENS1_38merge_sort_block_merge_config_selectorIxSB_EEEEvv.uses_vcc, 0
	.set _ZN7rocprim17ROCPRIM_400000_NS6detail44device_merge_sort_compile_time_verifier_archINS1_11comp_targetILNS1_3genE3ELNS1_11target_archE908ELNS1_3gpuE7ELNS1_3repE0EEES8_NS0_14default_configES9_NS1_37merge_sort_block_sort_config_selectorIxNS0_10empty_typeEEENS1_38merge_sort_block_merge_config_selectorIxSB_EEEEvv.uses_flat_scratch, 0
	.set _ZN7rocprim17ROCPRIM_400000_NS6detail44device_merge_sort_compile_time_verifier_archINS1_11comp_targetILNS1_3genE3ELNS1_11target_archE908ELNS1_3gpuE7ELNS1_3repE0EEES8_NS0_14default_configES9_NS1_37merge_sort_block_sort_config_selectorIxNS0_10empty_typeEEENS1_38merge_sort_block_merge_config_selectorIxSB_EEEEvv.has_dyn_sized_stack, 0
	.set _ZN7rocprim17ROCPRIM_400000_NS6detail44device_merge_sort_compile_time_verifier_archINS1_11comp_targetILNS1_3genE3ELNS1_11target_archE908ELNS1_3gpuE7ELNS1_3repE0EEES8_NS0_14default_configES9_NS1_37merge_sort_block_sort_config_selectorIxNS0_10empty_typeEEENS1_38merge_sort_block_merge_config_selectorIxSB_EEEEvv.has_recursion, 0
	.set _ZN7rocprim17ROCPRIM_400000_NS6detail44device_merge_sort_compile_time_verifier_archINS1_11comp_targetILNS1_3genE3ELNS1_11target_archE908ELNS1_3gpuE7ELNS1_3repE0EEES8_NS0_14default_configES9_NS1_37merge_sort_block_sort_config_selectorIxNS0_10empty_typeEEENS1_38merge_sort_block_merge_config_selectorIxSB_EEEEvv.has_indirect_call, 0
	.section	.AMDGPU.csdata,"",@progbits
; Kernel info:
; codeLenInByte = 4
; TotalNumSgprs: 0
; NumVgprs: 0
; ScratchSize: 0
; MemoryBound: 0
; FloatMode: 240
; IeeeMode: 1
; LDSByteSize: 0 bytes/workgroup (compile time only)
; SGPRBlocks: 0
; VGPRBlocks: 0
; NumSGPRsForWavesPerEU: 1
; NumVGPRsForWavesPerEU: 1
; Occupancy: 16
; WaveLimiterHint : 0
; COMPUTE_PGM_RSRC2:SCRATCH_EN: 0
; COMPUTE_PGM_RSRC2:USER_SGPR: 4
; COMPUTE_PGM_RSRC2:TRAP_HANDLER: 0
; COMPUTE_PGM_RSRC2:TGID_X_EN: 1
; COMPUTE_PGM_RSRC2:TGID_Y_EN: 0
; COMPUTE_PGM_RSRC2:TGID_Z_EN: 0
; COMPUTE_PGM_RSRC2:TIDIG_COMP_CNT: 0
	.section	.text._ZN7rocprim17ROCPRIM_400000_NS6detail44device_merge_sort_compile_time_verifier_archINS1_11comp_targetILNS1_3genE2ELNS1_11target_archE906ELNS1_3gpuE6ELNS1_3repE0EEES8_NS0_14default_configES9_NS1_37merge_sort_block_sort_config_selectorIxNS0_10empty_typeEEENS1_38merge_sort_block_merge_config_selectorIxSB_EEEEvv,"axG",@progbits,_ZN7rocprim17ROCPRIM_400000_NS6detail44device_merge_sort_compile_time_verifier_archINS1_11comp_targetILNS1_3genE2ELNS1_11target_archE906ELNS1_3gpuE6ELNS1_3repE0EEES8_NS0_14default_configES9_NS1_37merge_sort_block_sort_config_selectorIxNS0_10empty_typeEEENS1_38merge_sort_block_merge_config_selectorIxSB_EEEEvv,comdat
	.protected	_ZN7rocprim17ROCPRIM_400000_NS6detail44device_merge_sort_compile_time_verifier_archINS1_11comp_targetILNS1_3genE2ELNS1_11target_archE906ELNS1_3gpuE6ELNS1_3repE0EEES8_NS0_14default_configES9_NS1_37merge_sort_block_sort_config_selectorIxNS0_10empty_typeEEENS1_38merge_sort_block_merge_config_selectorIxSB_EEEEvv ; -- Begin function _ZN7rocprim17ROCPRIM_400000_NS6detail44device_merge_sort_compile_time_verifier_archINS1_11comp_targetILNS1_3genE2ELNS1_11target_archE906ELNS1_3gpuE6ELNS1_3repE0EEES8_NS0_14default_configES9_NS1_37merge_sort_block_sort_config_selectorIxNS0_10empty_typeEEENS1_38merge_sort_block_merge_config_selectorIxSB_EEEEvv
	.globl	_ZN7rocprim17ROCPRIM_400000_NS6detail44device_merge_sort_compile_time_verifier_archINS1_11comp_targetILNS1_3genE2ELNS1_11target_archE906ELNS1_3gpuE6ELNS1_3repE0EEES8_NS0_14default_configES9_NS1_37merge_sort_block_sort_config_selectorIxNS0_10empty_typeEEENS1_38merge_sort_block_merge_config_selectorIxSB_EEEEvv
	.p2align	8
	.type	_ZN7rocprim17ROCPRIM_400000_NS6detail44device_merge_sort_compile_time_verifier_archINS1_11comp_targetILNS1_3genE2ELNS1_11target_archE906ELNS1_3gpuE6ELNS1_3repE0EEES8_NS0_14default_configES9_NS1_37merge_sort_block_sort_config_selectorIxNS0_10empty_typeEEENS1_38merge_sort_block_merge_config_selectorIxSB_EEEEvv,@function
_ZN7rocprim17ROCPRIM_400000_NS6detail44device_merge_sort_compile_time_verifier_archINS1_11comp_targetILNS1_3genE2ELNS1_11target_archE906ELNS1_3gpuE6ELNS1_3repE0EEES8_NS0_14default_configES9_NS1_37merge_sort_block_sort_config_selectorIxNS0_10empty_typeEEENS1_38merge_sort_block_merge_config_selectorIxSB_EEEEvv: ; @_ZN7rocprim17ROCPRIM_400000_NS6detail44device_merge_sort_compile_time_verifier_archINS1_11comp_targetILNS1_3genE2ELNS1_11target_archE906ELNS1_3gpuE6ELNS1_3repE0EEES8_NS0_14default_configES9_NS1_37merge_sort_block_sort_config_selectorIxNS0_10empty_typeEEENS1_38merge_sort_block_merge_config_selectorIxSB_EEEEvv
; %bb.0:
	s_endpgm
	.section	.rodata,"a",@progbits
	.p2align	6, 0x0
	.amdhsa_kernel _ZN7rocprim17ROCPRIM_400000_NS6detail44device_merge_sort_compile_time_verifier_archINS1_11comp_targetILNS1_3genE2ELNS1_11target_archE906ELNS1_3gpuE6ELNS1_3repE0EEES8_NS0_14default_configES9_NS1_37merge_sort_block_sort_config_selectorIxNS0_10empty_typeEEENS1_38merge_sort_block_merge_config_selectorIxSB_EEEEvv
		.amdhsa_group_segment_fixed_size 0
		.amdhsa_private_segment_fixed_size 0
		.amdhsa_kernarg_size 0
		.amdhsa_user_sgpr_count 4
		.amdhsa_user_sgpr_private_segment_buffer 1
		.amdhsa_user_sgpr_dispatch_ptr 0
		.amdhsa_user_sgpr_queue_ptr 0
		.amdhsa_user_sgpr_kernarg_segment_ptr 0
		.amdhsa_user_sgpr_dispatch_id 0
		.amdhsa_user_sgpr_flat_scratch_init 0
		.amdhsa_user_sgpr_private_segment_size 0
		.amdhsa_wavefront_size32 1
		.amdhsa_uses_dynamic_stack 0
		.amdhsa_system_sgpr_private_segment_wavefront_offset 0
		.amdhsa_system_sgpr_workgroup_id_x 1
		.amdhsa_system_sgpr_workgroup_id_y 0
		.amdhsa_system_sgpr_workgroup_id_z 0
		.amdhsa_system_sgpr_workgroup_info 0
		.amdhsa_system_vgpr_workitem_id 0
		.amdhsa_next_free_vgpr 1
		.amdhsa_next_free_sgpr 1
		.amdhsa_reserve_vcc 0
		.amdhsa_reserve_flat_scratch 0
		.amdhsa_float_round_mode_32 0
		.amdhsa_float_round_mode_16_64 0
		.amdhsa_float_denorm_mode_32 3
		.amdhsa_float_denorm_mode_16_64 3
		.amdhsa_dx10_clamp 1
		.amdhsa_ieee_mode 1
		.amdhsa_fp16_overflow 0
		.amdhsa_workgroup_processor_mode 1
		.amdhsa_memory_ordered 1
		.amdhsa_forward_progress 1
		.amdhsa_shared_vgpr_count 0
		.amdhsa_exception_fp_ieee_invalid_op 0
		.amdhsa_exception_fp_denorm_src 0
		.amdhsa_exception_fp_ieee_div_zero 0
		.amdhsa_exception_fp_ieee_overflow 0
		.amdhsa_exception_fp_ieee_underflow 0
		.amdhsa_exception_fp_ieee_inexact 0
		.amdhsa_exception_int_div_zero 0
	.end_amdhsa_kernel
	.section	.text._ZN7rocprim17ROCPRIM_400000_NS6detail44device_merge_sort_compile_time_verifier_archINS1_11comp_targetILNS1_3genE2ELNS1_11target_archE906ELNS1_3gpuE6ELNS1_3repE0EEES8_NS0_14default_configES9_NS1_37merge_sort_block_sort_config_selectorIxNS0_10empty_typeEEENS1_38merge_sort_block_merge_config_selectorIxSB_EEEEvv,"axG",@progbits,_ZN7rocprim17ROCPRIM_400000_NS6detail44device_merge_sort_compile_time_verifier_archINS1_11comp_targetILNS1_3genE2ELNS1_11target_archE906ELNS1_3gpuE6ELNS1_3repE0EEES8_NS0_14default_configES9_NS1_37merge_sort_block_sort_config_selectorIxNS0_10empty_typeEEENS1_38merge_sort_block_merge_config_selectorIxSB_EEEEvv,comdat
.Lfunc_end322:
	.size	_ZN7rocprim17ROCPRIM_400000_NS6detail44device_merge_sort_compile_time_verifier_archINS1_11comp_targetILNS1_3genE2ELNS1_11target_archE906ELNS1_3gpuE6ELNS1_3repE0EEES8_NS0_14default_configES9_NS1_37merge_sort_block_sort_config_selectorIxNS0_10empty_typeEEENS1_38merge_sort_block_merge_config_selectorIxSB_EEEEvv, .Lfunc_end322-_ZN7rocprim17ROCPRIM_400000_NS6detail44device_merge_sort_compile_time_verifier_archINS1_11comp_targetILNS1_3genE2ELNS1_11target_archE906ELNS1_3gpuE6ELNS1_3repE0EEES8_NS0_14default_configES9_NS1_37merge_sort_block_sort_config_selectorIxNS0_10empty_typeEEENS1_38merge_sort_block_merge_config_selectorIxSB_EEEEvv
                                        ; -- End function
	.set _ZN7rocprim17ROCPRIM_400000_NS6detail44device_merge_sort_compile_time_verifier_archINS1_11comp_targetILNS1_3genE2ELNS1_11target_archE906ELNS1_3gpuE6ELNS1_3repE0EEES8_NS0_14default_configES9_NS1_37merge_sort_block_sort_config_selectorIxNS0_10empty_typeEEENS1_38merge_sort_block_merge_config_selectorIxSB_EEEEvv.num_vgpr, 0
	.set _ZN7rocprim17ROCPRIM_400000_NS6detail44device_merge_sort_compile_time_verifier_archINS1_11comp_targetILNS1_3genE2ELNS1_11target_archE906ELNS1_3gpuE6ELNS1_3repE0EEES8_NS0_14default_configES9_NS1_37merge_sort_block_sort_config_selectorIxNS0_10empty_typeEEENS1_38merge_sort_block_merge_config_selectorIxSB_EEEEvv.num_agpr, 0
	.set _ZN7rocprim17ROCPRIM_400000_NS6detail44device_merge_sort_compile_time_verifier_archINS1_11comp_targetILNS1_3genE2ELNS1_11target_archE906ELNS1_3gpuE6ELNS1_3repE0EEES8_NS0_14default_configES9_NS1_37merge_sort_block_sort_config_selectorIxNS0_10empty_typeEEENS1_38merge_sort_block_merge_config_selectorIxSB_EEEEvv.numbered_sgpr, 0
	.set _ZN7rocprim17ROCPRIM_400000_NS6detail44device_merge_sort_compile_time_verifier_archINS1_11comp_targetILNS1_3genE2ELNS1_11target_archE906ELNS1_3gpuE6ELNS1_3repE0EEES8_NS0_14default_configES9_NS1_37merge_sort_block_sort_config_selectorIxNS0_10empty_typeEEENS1_38merge_sort_block_merge_config_selectorIxSB_EEEEvv.num_named_barrier, 0
	.set _ZN7rocprim17ROCPRIM_400000_NS6detail44device_merge_sort_compile_time_verifier_archINS1_11comp_targetILNS1_3genE2ELNS1_11target_archE906ELNS1_3gpuE6ELNS1_3repE0EEES8_NS0_14default_configES9_NS1_37merge_sort_block_sort_config_selectorIxNS0_10empty_typeEEENS1_38merge_sort_block_merge_config_selectorIxSB_EEEEvv.private_seg_size, 0
	.set _ZN7rocprim17ROCPRIM_400000_NS6detail44device_merge_sort_compile_time_verifier_archINS1_11comp_targetILNS1_3genE2ELNS1_11target_archE906ELNS1_3gpuE6ELNS1_3repE0EEES8_NS0_14default_configES9_NS1_37merge_sort_block_sort_config_selectorIxNS0_10empty_typeEEENS1_38merge_sort_block_merge_config_selectorIxSB_EEEEvv.uses_vcc, 0
	.set _ZN7rocprim17ROCPRIM_400000_NS6detail44device_merge_sort_compile_time_verifier_archINS1_11comp_targetILNS1_3genE2ELNS1_11target_archE906ELNS1_3gpuE6ELNS1_3repE0EEES8_NS0_14default_configES9_NS1_37merge_sort_block_sort_config_selectorIxNS0_10empty_typeEEENS1_38merge_sort_block_merge_config_selectorIxSB_EEEEvv.uses_flat_scratch, 0
	.set _ZN7rocprim17ROCPRIM_400000_NS6detail44device_merge_sort_compile_time_verifier_archINS1_11comp_targetILNS1_3genE2ELNS1_11target_archE906ELNS1_3gpuE6ELNS1_3repE0EEES8_NS0_14default_configES9_NS1_37merge_sort_block_sort_config_selectorIxNS0_10empty_typeEEENS1_38merge_sort_block_merge_config_selectorIxSB_EEEEvv.has_dyn_sized_stack, 0
	.set _ZN7rocprim17ROCPRIM_400000_NS6detail44device_merge_sort_compile_time_verifier_archINS1_11comp_targetILNS1_3genE2ELNS1_11target_archE906ELNS1_3gpuE6ELNS1_3repE0EEES8_NS0_14default_configES9_NS1_37merge_sort_block_sort_config_selectorIxNS0_10empty_typeEEENS1_38merge_sort_block_merge_config_selectorIxSB_EEEEvv.has_recursion, 0
	.set _ZN7rocprim17ROCPRIM_400000_NS6detail44device_merge_sort_compile_time_verifier_archINS1_11comp_targetILNS1_3genE2ELNS1_11target_archE906ELNS1_3gpuE6ELNS1_3repE0EEES8_NS0_14default_configES9_NS1_37merge_sort_block_sort_config_selectorIxNS0_10empty_typeEEENS1_38merge_sort_block_merge_config_selectorIxSB_EEEEvv.has_indirect_call, 0
	.section	.AMDGPU.csdata,"",@progbits
; Kernel info:
; codeLenInByte = 4
; TotalNumSgprs: 0
; NumVgprs: 0
; ScratchSize: 0
; MemoryBound: 0
; FloatMode: 240
; IeeeMode: 1
; LDSByteSize: 0 bytes/workgroup (compile time only)
; SGPRBlocks: 0
; VGPRBlocks: 0
; NumSGPRsForWavesPerEU: 1
; NumVGPRsForWavesPerEU: 1
; Occupancy: 16
; WaveLimiterHint : 0
; COMPUTE_PGM_RSRC2:SCRATCH_EN: 0
; COMPUTE_PGM_RSRC2:USER_SGPR: 4
; COMPUTE_PGM_RSRC2:TRAP_HANDLER: 0
; COMPUTE_PGM_RSRC2:TGID_X_EN: 1
; COMPUTE_PGM_RSRC2:TGID_Y_EN: 0
; COMPUTE_PGM_RSRC2:TGID_Z_EN: 0
; COMPUTE_PGM_RSRC2:TIDIG_COMP_CNT: 0
	.section	.text._ZN7rocprim17ROCPRIM_400000_NS6detail44device_merge_sort_compile_time_verifier_archINS1_11comp_targetILNS1_3genE10ELNS1_11target_archE1201ELNS1_3gpuE5ELNS1_3repE0EEES8_NS0_14default_configES9_NS1_37merge_sort_block_sort_config_selectorIxNS0_10empty_typeEEENS1_38merge_sort_block_merge_config_selectorIxSB_EEEEvv,"axG",@progbits,_ZN7rocprim17ROCPRIM_400000_NS6detail44device_merge_sort_compile_time_verifier_archINS1_11comp_targetILNS1_3genE10ELNS1_11target_archE1201ELNS1_3gpuE5ELNS1_3repE0EEES8_NS0_14default_configES9_NS1_37merge_sort_block_sort_config_selectorIxNS0_10empty_typeEEENS1_38merge_sort_block_merge_config_selectorIxSB_EEEEvv,comdat
	.protected	_ZN7rocprim17ROCPRIM_400000_NS6detail44device_merge_sort_compile_time_verifier_archINS1_11comp_targetILNS1_3genE10ELNS1_11target_archE1201ELNS1_3gpuE5ELNS1_3repE0EEES8_NS0_14default_configES9_NS1_37merge_sort_block_sort_config_selectorIxNS0_10empty_typeEEENS1_38merge_sort_block_merge_config_selectorIxSB_EEEEvv ; -- Begin function _ZN7rocprim17ROCPRIM_400000_NS6detail44device_merge_sort_compile_time_verifier_archINS1_11comp_targetILNS1_3genE10ELNS1_11target_archE1201ELNS1_3gpuE5ELNS1_3repE0EEES8_NS0_14default_configES9_NS1_37merge_sort_block_sort_config_selectorIxNS0_10empty_typeEEENS1_38merge_sort_block_merge_config_selectorIxSB_EEEEvv
	.globl	_ZN7rocprim17ROCPRIM_400000_NS6detail44device_merge_sort_compile_time_verifier_archINS1_11comp_targetILNS1_3genE10ELNS1_11target_archE1201ELNS1_3gpuE5ELNS1_3repE0EEES8_NS0_14default_configES9_NS1_37merge_sort_block_sort_config_selectorIxNS0_10empty_typeEEENS1_38merge_sort_block_merge_config_selectorIxSB_EEEEvv
	.p2align	8
	.type	_ZN7rocprim17ROCPRIM_400000_NS6detail44device_merge_sort_compile_time_verifier_archINS1_11comp_targetILNS1_3genE10ELNS1_11target_archE1201ELNS1_3gpuE5ELNS1_3repE0EEES8_NS0_14default_configES9_NS1_37merge_sort_block_sort_config_selectorIxNS0_10empty_typeEEENS1_38merge_sort_block_merge_config_selectorIxSB_EEEEvv,@function
_ZN7rocprim17ROCPRIM_400000_NS6detail44device_merge_sort_compile_time_verifier_archINS1_11comp_targetILNS1_3genE10ELNS1_11target_archE1201ELNS1_3gpuE5ELNS1_3repE0EEES8_NS0_14default_configES9_NS1_37merge_sort_block_sort_config_selectorIxNS0_10empty_typeEEENS1_38merge_sort_block_merge_config_selectorIxSB_EEEEvv: ; @_ZN7rocprim17ROCPRIM_400000_NS6detail44device_merge_sort_compile_time_verifier_archINS1_11comp_targetILNS1_3genE10ELNS1_11target_archE1201ELNS1_3gpuE5ELNS1_3repE0EEES8_NS0_14default_configES9_NS1_37merge_sort_block_sort_config_selectorIxNS0_10empty_typeEEENS1_38merge_sort_block_merge_config_selectorIxSB_EEEEvv
; %bb.0:
	s_endpgm
	.section	.rodata,"a",@progbits
	.p2align	6, 0x0
	.amdhsa_kernel _ZN7rocprim17ROCPRIM_400000_NS6detail44device_merge_sort_compile_time_verifier_archINS1_11comp_targetILNS1_3genE10ELNS1_11target_archE1201ELNS1_3gpuE5ELNS1_3repE0EEES8_NS0_14default_configES9_NS1_37merge_sort_block_sort_config_selectorIxNS0_10empty_typeEEENS1_38merge_sort_block_merge_config_selectorIxSB_EEEEvv
		.amdhsa_group_segment_fixed_size 0
		.amdhsa_private_segment_fixed_size 0
		.amdhsa_kernarg_size 0
		.amdhsa_user_sgpr_count 4
		.amdhsa_user_sgpr_private_segment_buffer 1
		.amdhsa_user_sgpr_dispatch_ptr 0
		.amdhsa_user_sgpr_queue_ptr 0
		.amdhsa_user_sgpr_kernarg_segment_ptr 0
		.amdhsa_user_sgpr_dispatch_id 0
		.amdhsa_user_sgpr_flat_scratch_init 0
		.amdhsa_user_sgpr_private_segment_size 0
		.amdhsa_wavefront_size32 1
		.amdhsa_uses_dynamic_stack 0
		.amdhsa_system_sgpr_private_segment_wavefront_offset 0
		.amdhsa_system_sgpr_workgroup_id_x 1
		.amdhsa_system_sgpr_workgroup_id_y 0
		.amdhsa_system_sgpr_workgroup_id_z 0
		.amdhsa_system_sgpr_workgroup_info 0
		.amdhsa_system_vgpr_workitem_id 0
		.amdhsa_next_free_vgpr 1
		.amdhsa_next_free_sgpr 1
		.amdhsa_reserve_vcc 0
		.amdhsa_reserve_flat_scratch 0
		.amdhsa_float_round_mode_32 0
		.amdhsa_float_round_mode_16_64 0
		.amdhsa_float_denorm_mode_32 3
		.amdhsa_float_denorm_mode_16_64 3
		.amdhsa_dx10_clamp 1
		.amdhsa_ieee_mode 1
		.amdhsa_fp16_overflow 0
		.amdhsa_workgroup_processor_mode 1
		.amdhsa_memory_ordered 1
		.amdhsa_forward_progress 1
		.amdhsa_shared_vgpr_count 0
		.amdhsa_exception_fp_ieee_invalid_op 0
		.amdhsa_exception_fp_denorm_src 0
		.amdhsa_exception_fp_ieee_div_zero 0
		.amdhsa_exception_fp_ieee_overflow 0
		.amdhsa_exception_fp_ieee_underflow 0
		.amdhsa_exception_fp_ieee_inexact 0
		.amdhsa_exception_int_div_zero 0
	.end_amdhsa_kernel
	.section	.text._ZN7rocprim17ROCPRIM_400000_NS6detail44device_merge_sort_compile_time_verifier_archINS1_11comp_targetILNS1_3genE10ELNS1_11target_archE1201ELNS1_3gpuE5ELNS1_3repE0EEES8_NS0_14default_configES9_NS1_37merge_sort_block_sort_config_selectorIxNS0_10empty_typeEEENS1_38merge_sort_block_merge_config_selectorIxSB_EEEEvv,"axG",@progbits,_ZN7rocprim17ROCPRIM_400000_NS6detail44device_merge_sort_compile_time_verifier_archINS1_11comp_targetILNS1_3genE10ELNS1_11target_archE1201ELNS1_3gpuE5ELNS1_3repE0EEES8_NS0_14default_configES9_NS1_37merge_sort_block_sort_config_selectorIxNS0_10empty_typeEEENS1_38merge_sort_block_merge_config_selectorIxSB_EEEEvv,comdat
.Lfunc_end323:
	.size	_ZN7rocprim17ROCPRIM_400000_NS6detail44device_merge_sort_compile_time_verifier_archINS1_11comp_targetILNS1_3genE10ELNS1_11target_archE1201ELNS1_3gpuE5ELNS1_3repE0EEES8_NS0_14default_configES9_NS1_37merge_sort_block_sort_config_selectorIxNS0_10empty_typeEEENS1_38merge_sort_block_merge_config_selectorIxSB_EEEEvv, .Lfunc_end323-_ZN7rocprim17ROCPRIM_400000_NS6detail44device_merge_sort_compile_time_verifier_archINS1_11comp_targetILNS1_3genE10ELNS1_11target_archE1201ELNS1_3gpuE5ELNS1_3repE0EEES8_NS0_14default_configES9_NS1_37merge_sort_block_sort_config_selectorIxNS0_10empty_typeEEENS1_38merge_sort_block_merge_config_selectorIxSB_EEEEvv
                                        ; -- End function
	.set _ZN7rocprim17ROCPRIM_400000_NS6detail44device_merge_sort_compile_time_verifier_archINS1_11comp_targetILNS1_3genE10ELNS1_11target_archE1201ELNS1_3gpuE5ELNS1_3repE0EEES8_NS0_14default_configES9_NS1_37merge_sort_block_sort_config_selectorIxNS0_10empty_typeEEENS1_38merge_sort_block_merge_config_selectorIxSB_EEEEvv.num_vgpr, 0
	.set _ZN7rocprim17ROCPRIM_400000_NS6detail44device_merge_sort_compile_time_verifier_archINS1_11comp_targetILNS1_3genE10ELNS1_11target_archE1201ELNS1_3gpuE5ELNS1_3repE0EEES8_NS0_14default_configES9_NS1_37merge_sort_block_sort_config_selectorIxNS0_10empty_typeEEENS1_38merge_sort_block_merge_config_selectorIxSB_EEEEvv.num_agpr, 0
	.set _ZN7rocprim17ROCPRIM_400000_NS6detail44device_merge_sort_compile_time_verifier_archINS1_11comp_targetILNS1_3genE10ELNS1_11target_archE1201ELNS1_3gpuE5ELNS1_3repE0EEES8_NS0_14default_configES9_NS1_37merge_sort_block_sort_config_selectorIxNS0_10empty_typeEEENS1_38merge_sort_block_merge_config_selectorIxSB_EEEEvv.numbered_sgpr, 0
	.set _ZN7rocprim17ROCPRIM_400000_NS6detail44device_merge_sort_compile_time_verifier_archINS1_11comp_targetILNS1_3genE10ELNS1_11target_archE1201ELNS1_3gpuE5ELNS1_3repE0EEES8_NS0_14default_configES9_NS1_37merge_sort_block_sort_config_selectorIxNS0_10empty_typeEEENS1_38merge_sort_block_merge_config_selectorIxSB_EEEEvv.num_named_barrier, 0
	.set _ZN7rocprim17ROCPRIM_400000_NS6detail44device_merge_sort_compile_time_verifier_archINS1_11comp_targetILNS1_3genE10ELNS1_11target_archE1201ELNS1_3gpuE5ELNS1_3repE0EEES8_NS0_14default_configES9_NS1_37merge_sort_block_sort_config_selectorIxNS0_10empty_typeEEENS1_38merge_sort_block_merge_config_selectorIxSB_EEEEvv.private_seg_size, 0
	.set _ZN7rocprim17ROCPRIM_400000_NS6detail44device_merge_sort_compile_time_verifier_archINS1_11comp_targetILNS1_3genE10ELNS1_11target_archE1201ELNS1_3gpuE5ELNS1_3repE0EEES8_NS0_14default_configES9_NS1_37merge_sort_block_sort_config_selectorIxNS0_10empty_typeEEENS1_38merge_sort_block_merge_config_selectorIxSB_EEEEvv.uses_vcc, 0
	.set _ZN7rocprim17ROCPRIM_400000_NS6detail44device_merge_sort_compile_time_verifier_archINS1_11comp_targetILNS1_3genE10ELNS1_11target_archE1201ELNS1_3gpuE5ELNS1_3repE0EEES8_NS0_14default_configES9_NS1_37merge_sort_block_sort_config_selectorIxNS0_10empty_typeEEENS1_38merge_sort_block_merge_config_selectorIxSB_EEEEvv.uses_flat_scratch, 0
	.set _ZN7rocprim17ROCPRIM_400000_NS6detail44device_merge_sort_compile_time_verifier_archINS1_11comp_targetILNS1_3genE10ELNS1_11target_archE1201ELNS1_3gpuE5ELNS1_3repE0EEES8_NS0_14default_configES9_NS1_37merge_sort_block_sort_config_selectorIxNS0_10empty_typeEEENS1_38merge_sort_block_merge_config_selectorIxSB_EEEEvv.has_dyn_sized_stack, 0
	.set _ZN7rocprim17ROCPRIM_400000_NS6detail44device_merge_sort_compile_time_verifier_archINS1_11comp_targetILNS1_3genE10ELNS1_11target_archE1201ELNS1_3gpuE5ELNS1_3repE0EEES8_NS0_14default_configES9_NS1_37merge_sort_block_sort_config_selectorIxNS0_10empty_typeEEENS1_38merge_sort_block_merge_config_selectorIxSB_EEEEvv.has_recursion, 0
	.set _ZN7rocprim17ROCPRIM_400000_NS6detail44device_merge_sort_compile_time_verifier_archINS1_11comp_targetILNS1_3genE10ELNS1_11target_archE1201ELNS1_3gpuE5ELNS1_3repE0EEES8_NS0_14default_configES9_NS1_37merge_sort_block_sort_config_selectorIxNS0_10empty_typeEEENS1_38merge_sort_block_merge_config_selectorIxSB_EEEEvv.has_indirect_call, 0
	.section	.AMDGPU.csdata,"",@progbits
; Kernel info:
; codeLenInByte = 4
; TotalNumSgprs: 0
; NumVgprs: 0
; ScratchSize: 0
; MemoryBound: 0
; FloatMode: 240
; IeeeMode: 1
; LDSByteSize: 0 bytes/workgroup (compile time only)
; SGPRBlocks: 0
; VGPRBlocks: 0
; NumSGPRsForWavesPerEU: 1
; NumVGPRsForWavesPerEU: 1
; Occupancy: 16
; WaveLimiterHint : 0
; COMPUTE_PGM_RSRC2:SCRATCH_EN: 0
; COMPUTE_PGM_RSRC2:USER_SGPR: 4
; COMPUTE_PGM_RSRC2:TRAP_HANDLER: 0
; COMPUTE_PGM_RSRC2:TGID_X_EN: 1
; COMPUTE_PGM_RSRC2:TGID_Y_EN: 0
; COMPUTE_PGM_RSRC2:TGID_Z_EN: 0
; COMPUTE_PGM_RSRC2:TIDIG_COMP_CNT: 0
	.section	.text._ZN7rocprim17ROCPRIM_400000_NS6detail44device_merge_sort_compile_time_verifier_archINS1_11comp_targetILNS1_3genE10ELNS1_11target_archE1200ELNS1_3gpuE4ELNS1_3repE0EEENS3_ILS4_10ELS5_1201ELS6_5ELS7_0EEENS0_14default_configESA_NS1_37merge_sort_block_sort_config_selectorIxNS0_10empty_typeEEENS1_38merge_sort_block_merge_config_selectorIxSC_EEEEvv,"axG",@progbits,_ZN7rocprim17ROCPRIM_400000_NS6detail44device_merge_sort_compile_time_verifier_archINS1_11comp_targetILNS1_3genE10ELNS1_11target_archE1200ELNS1_3gpuE4ELNS1_3repE0EEENS3_ILS4_10ELS5_1201ELS6_5ELS7_0EEENS0_14default_configESA_NS1_37merge_sort_block_sort_config_selectorIxNS0_10empty_typeEEENS1_38merge_sort_block_merge_config_selectorIxSC_EEEEvv,comdat
	.protected	_ZN7rocprim17ROCPRIM_400000_NS6detail44device_merge_sort_compile_time_verifier_archINS1_11comp_targetILNS1_3genE10ELNS1_11target_archE1200ELNS1_3gpuE4ELNS1_3repE0EEENS3_ILS4_10ELS5_1201ELS6_5ELS7_0EEENS0_14default_configESA_NS1_37merge_sort_block_sort_config_selectorIxNS0_10empty_typeEEENS1_38merge_sort_block_merge_config_selectorIxSC_EEEEvv ; -- Begin function _ZN7rocprim17ROCPRIM_400000_NS6detail44device_merge_sort_compile_time_verifier_archINS1_11comp_targetILNS1_3genE10ELNS1_11target_archE1200ELNS1_3gpuE4ELNS1_3repE0EEENS3_ILS4_10ELS5_1201ELS6_5ELS7_0EEENS0_14default_configESA_NS1_37merge_sort_block_sort_config_selectorIxNS0_10empty_typeEEENS1_38merge_sort_block_merge_config_selectorIxSC_EEEEvv
	.globl	_ZN7rocprim17ROCPRIM_400000_NS6detail44device_merge_sort_compile_time_verifier_archINS1_11comp_targetILNS1_3genE10ELNS1_11target_archE1200ELNS1_3gpuE4ELNS1_3repE0EEENS3_ILS4_10ELS5_1201ELS6_5ELS7_0EEENS0_14default_configESA_NS1_37merge_sort_block_sort_config_selectorIxNS0_10empty_typeEEENS1_38merge_sort_block_merge_config_selectorIxSC_EEEEvv
	.p2align	8
	.type	_ZN7rocprim17ROCPRIM_400000_NS6detail44device_merge_sort_compile_time_verifier_archINS1_11comp_targetILNS1_3genE10ELNS1_11target_archE1200ELNS1_3gpuE4ELNS1_3repE0EEENS3_ILS4_10ELS5_1201ELS6_5ELS7_0EEENS0_14default_configESA_NS1_37merge_sort_block_sort_config_selectorIxNS0_10empty_typeEEENS1_38merge_sort_block_merge_config_selectorIxSC_EEEEvv,@function
_ZN7rocprim17ROCPRIM_400000_NS6detail44device_merge_sort_compile_time_verifier_archINS1_11comp_targetILNS1_3genE10ELNS1_11target_archE1200ELNS1_3gpuE4ELNS1_3repE0EEENS3_ILS4_10ELS5_1201ELS6_5ELS7_0EEENS0_14default_configESA_NS1_37merge_sort_block_sort_config_selectorIxNS0_10empty_typeEEENS1_38merge_sort_block_merge_config_selectorIxSC_EEEEvv: ; @_ZN7rocprim17ROCPRIM_400000_NS6detail44device_merge_sort_compile_time_verifier_archINS1_11comp_targetILNS1_3genE10ELNS1_11target_archE1200ELNS1_3gpuE4ELNS1_3repE0EEENS3_ILS4_10ELS5_1201ELS6_5ELS7_0EEENS0_14default_configESA_NS1_37merge_sort_block_sort_config_selectorIxNS0_10empty_typeEEENS1_38merge_sort_block_merge_config_selectorIxSC_EEEEvv
; %bb.0:
	s_endpgm
	.section	.rodata,"a",@progbits
	.p2align	6, 0x0
	.amdhsa_kernel _ZN7rocprim17ROCPRIM_400000_NS6detail44device_merge_sort_compile_time_verifier_archINS1_11comp_targetILNS1_3genE10ELNS1_11target_archE1200ELNS1_3gpuE4ELNS1_3repE0EEENS3_ILS4_10ELS5_1201ELS6_5ELS7_0EEENS0_14default_configESA_NS1_37merge_sort_block_sort_config_selectorIxNS0_10empty_typeEEENS1_38merge_sort_block_merge_config_selectorIxSC_EEEEvv
		.amdhsa_group_segment_fixed_size 0
		.amdhsa_private_segment_fixed_size 0
		.amdhsa_kernarg_size 0
		.amdhsa_user_sgpr_count 4
		.amdhsa_user_sgpr_private_segment_buffer 1
		.amdhsa_user_sgpr_dispatch_ptr 0
		.amdhsa_user_sgpr_queue_ptr 0
		.amdhsa_user_sgpr_kernarg_segment_ptr 0
		.amdhsa_user_sgpr_dispatch_id 0
		.amdhsa_user_sgpr_flat_scratch_init 0
		.amdhsa_user_sgpr_private_segment_size 0
		.amdhsa_wavefront_size32 1
		.amdhsa_uses_dynamic_stack 0
		.amdhsa_system_sgpr_private_segment_wavefront_offset 0
		.amdhsa_system_sgpr_workgroup_id_x 1
		.amdhsa_system_sgpr_workgroup_id_y 0
		.amdhsa_system_sgpr_workgroup_id_z 0
		.amdhsa_system_sgpr_workgroup_info 0
		.amdhsa_system_vgpr_workitem_id 0
		.amdhsa_next_free_vgpr 1
		.amdhsa_next_free_sgpr 1
		.amdhsa_reserve_vcc 0
		.amdhsa_reserve_flat_scratch 0
		.amdhsa_float_round_mode_32 0
		.amdhsa_float_round_mode_16_64 0
		.amdhsa_float_denorm_mode_32 3
		.amdhsa_float_denorm_mode_16_64 3
		.amdhsa_dx10_clamp 1
		.amdhsa_ieee_mode 1
		.amdhsa_fp16_overflow 0
		.amdhsa_workgroup_processor_mode 1
		.amdhsa_memory_ordered 1
		.amdhsa_forward_progress 1
		.amdhsa_shared_vgpr_count 0
		.amdhsa_exception_fp_ieee_invalid_op 0
		.amdhsa_exception_fp_denorm_src 0
		.amdhsa_exception_fp_ieee_div_zero 0
		.amdhsa_exception_fp_ieee_overflow 0
		.amdhsa_exception_fp_ieee_underflow 0
		.amdhsa_exception_fp_ieee_inexact 0
		.amdhsa_exception_int_div_zero 0
	.end_amdhsa_kernel
	.section	.text._ZN7rocprim17ROCPRIM_400000_NS6detail44device_merge_sort_compile_time_verifier_archINS1_11comp_targetILNS1_3genE10ELNS1_11target_archE1200ELNS1_3gpuE4ELNS1_3repE0EEENS3_ILS4_10ELS5_1201ELS6_5ELS7_0EEENS0_14default_configESA_NS1_37merge_sort_block_sort_config_selectorIxNS0_10empty_typeEEENS1_38merge_sort_block_merge_config_selectorIxSC_EEEEvv,"axG",@progbits,_ZN7rocprim17ROCPRIM_400000_NS6detail44device_merge_sort_compile_time_verifier_archINS1_11comp_targetILNS1_3genE10ELNS1_11target_archE1200ELNS1_3gpuE4ELNS1_3repE0EEENS3_ILS4_10ELS5_1201ELS6_5ELS7_0EEENS0_14default_configESA_NS1_37merge_sort_block_sort_config_selectorIxNS0_10empty_typeEEENS1_38merge_sort_block_merge_config_selectorIxSC_EEEEvv,comdat
.Lfunc_end324:
	.size	_ZN7rocprim17ROCPRIM_400000_NS6detail44device_merge_sort_compile_time_verifier_archINS1_11comp_targetILNS1_3genE10ELNS1_11target_archE1200ELNS1_3gpuE4ELNS1_3repE0EEENS3_ILS4_10ELS5_1201ELS6_5ELS7_0EEENS0_14default_configESA_NS1_37merge_sort_block_sort_config_selectorIxNS0_10empty_typeEEENS1_38merge_sort_block_merge_config_selectorIxSC_EEEEvv, .Lfunc_end324-_ZN7rocprim17ROCPRIM_400000_NS6detail44device_merge_sort_compile_time_verifier_archINS1_11comp_targetILNS1_3genE10ELNS1_11target_archE1200ELNS1_3gpuE4ELNS1_3repE0EEENS3_ILS4_10ELS5_1201ELS6_5ELS7_0EEENS0_14default_configESA_NS1_37merge_sort_block_sort_config_selectorIxNS0_10empty_typeEEENS1_38merge_sort_block_merge_config_selectorIxSC_EEEEvv
                                        ; -- End function
	.set _ZN7rocprim17ROCPRIM_400000_NS6detail44device_merge_sort_compile_time_verifier_archINS1_11comp_targetILNS1_3genE10ELNS1_11target_archE1200ELNS1_3gpuE4ELNS1_3repE0EEENS3_ILS4_10ELS5_1201ELS6_5ELS7_0EEENS0_14default_configESA_NS1_37merge_sort_block_sort_config_selectorIxNS0_10empty_typeEEENS1_38merge_sort_block_merge_config_selectorIxSC_EEEEvv.num_vgpr, 0
	.set _ZN7rocprim17ROCPRIM_400000_NS6detail44device_merge_sort_compile_time_verifier_archINS1_11comp_targetILNS1_3genE10ELNS1_11target_archE1200ELNS1_3gpuE4ELNS1_3repE0EEENS3_ILS4_10ELS5_1201ELS6_5ELS7_0EEENS0_14default_configESA_NS1_37merge_sort_block_sort_config_selectorIxNS0_10empty_typeEEENS1_38merge_sort_block_merge_config_selectorIxSC_EEEEvv.num_agpr, 0
	.set _ZN7rocprim17ROCPRIM_400000_NS6detail44device_merge_sort_compile_time_verifier_archINS1_11comp_targetILNS1_3genE10ELNS1_11target_archE1200ELNS1_3gpuE4ELNS1_3repE0EEENS3_ILS4_10ELS5_1201ELS6_5ELS7_0EEENS0_14default_configESA_NS1_37merge_sort_block_sort_config_selectorIxNS0_10empty_typeEEENS1_38merge_sort_block_merge_config_selectorIxSC_EEEEvv.numbered_sgpr, 0
	.set _ZN7rocprim17ROCPRIM_400000_NS6detail44device_merge_sort_compile_time_verifier_archINS1_11comp_targetILNS1_3genE10ELNS1_11target_archE1200ELNS1_3gpuE4ELNS1_3repE0EEENS3_ILS4_10ELS5_1201ELS6_5ELS7_0EEENS0_14default_configESA_NS1_37merge_sort_block_sort_config_selectorIxNS0_10empty_typeEEENS1_38merge_sort_block_merge_config_selectorIxSC_EEEEvv.num_named_barrier, 0
	.set _ZN7rocprim17ROCPRIM_400000_NS6detail44device_merge_sort_compile_time_verifier_archINS1_11comp_targetILNS1_3genE10ELNS1_11target_archE1200ELNS1_3gpuE4ELNS1_3repE0EEENS3_ILS4_10ELS5_1201ELS6_5ELS7_0EEENS0_14default_configESA_NS1_37merge_sort_block_sort_config_selectorIxNS0_10empty_typeEEENS1_38merge_sort_block_merge_config_selectorIxSC_EEEEvv.private_seg_size, 0
	.set _ZN7rocprim17ROCPRIM_400000_NS6detail44device_merge_sort_compile_time_verifier_archINS1_11comp_targetILNS1_3genE10ELNS1_11target_archE1200ELNS1_3gpuE4ELNS1_3repE0EEENS3_ILS4_10ELS5_1201ELS6_5ELS7_0EEENS0_14default_configESA_NS1_37merge_sort_block_sort_config_selectorIxNS0_10empty_typeEEENS1_38merge_sort_block_merge_config_selectorIxSC_EEEEvv.uses_vcc, 0
	.set _ZN7rocprim17ROCPRIM_400000_NS6detail44device_merge_sort_compile_time_verifier_archINS1_11comp_targetILNS1_3genE10ELNS1_11target_archE1200ELNS1_3gpuE4ELNS1_3repE0EEENS3_ILS4_10ELS5_1201ELS6_5ELS7_0EEENS0_14default_configESA_NS1_37merge_sort_block_sort_config_selectorIxNS0_10empty_typeEEENS1_38merge_sort_block_merge_config_selectorIxSC_EEEEvv.uses_flat_scratch, 0
	.set _ZN7rocprim17ROCPRIM_400000_NS6detail44device_merge_sort_compile_time_verifier_archINS1_11comp_targetILNS1_3genE10ELNS1_11target_archE1200ELNS1_3gpuE4ELNS1_3repE0EEENS3_ILS4_10ELS5_1201ELS6_5ELS7_0EEENS0_14default_configESA_NS1_37merge_sort_block_sort_config_selectorIxNS0_10empty_typeEEENS1_38merge_sort_block_merge_config_selectorIxSC_EEEEvv.has_dyn_sized_stack, 0
	.set _ZN7rocprim17ROCPRIM_400000_NS6detail44device_merge_sort_compile_time_verifier_archINS1_11comp_targetILNS1_3genE10ELNS1_11target_archE1200ELNS1_3gpuE4ELNS1_3repE0EEENS3_ILS4_10ELS5_1201ELS6_5ELS7_0EEENS0_14default_configESA_NS1_37merge_sort_block_sort_config_selectorIxNS0_10empty_typeEEENS1_38merge_sort_block_merge_config_selectorIxSC_EEEEvv.has_recursion, 0
	.set _ZN7rocprim17ROCPRIM_400000_NS6detail44device_merge_sort_compile_time_verifier_archINS1_11comp_targetILNS1_3genE10ELNS1_11target_archE1200ELNS1_3gpuE4ELNS1_3repE0EEENS3_ILS4_10ELS5_1201ELS6_5ELS7_0EEENS0_14default_configESA_NS1_37merge_sort_block_sort_config_selectorIxNS0_10empty_typeEEENS1_38merge_sort_block_merge_config_selectorIxSC_EEEEvv.has_indirect_call, 0
	.section	.AMDGPU.csdata,"",@progbits
; Kernel info:
; codeLenInByte = 4
; TotalNumSgprs: 0
; NumVgprs: 0
; ScratchSize: 0
; MemoryBound: 0
; FloatMode: 240
; IeeeMode: 1
; LDSByteSize: 0 bytes/workgroup (compile time only)
; SGPRBlocks: 0
; VGPRBlocks: 0
; NumSGPRsForWavesPerEU: 1
; NumVGPRsForWavesPerEU: 1
; Occupancy: 16
; WaveLimiterHint : 0
; COMPUTE_PGM_RSRC2:SCRATCH_EN: 0
; COMPUTE_PGM_RSRC2:USER_SGPR: 4
; COMPUTE_PGM_RSRC2:TRAP_HANDLER: 0
; COMPUTE_PGM_RSRC2:TGID_X_EN: 1
; COMPUTE_PGM_RSRC2:TGID_Y_EN: 0
; COMPUTE_PGM_RSRC2:TGID_Z_EN: 0
; COMPUTE_PGM_RSRC2:TIDIG_COMP_CNT: 0
	.section	.text._ZN7rocprim17ROCPRIM_400000_NS6detail44device_merge_sort_compile_time_verifier_archINS1_11comp_targetILNS1_3genE9ELNS1_11target_archE1100ELNS1_3gpuE3ELNS1_3repE0EEES8_NS0_14default_configES9_NS1_37merge_sort_block_sort_config_selectorIxNS0_10empty_typeEEENS1_38merge_sort_block_merge_config_selectorIxSB_EEEEvv,"axG",@progbits,_ZN7rocprim17ROCPRIM_400000_NS6detail44device_merge_sort_compile_time_verifier_archINS1_11comp_targetILNS1_3genE9ELNS1_11target_archE1100ELNS1_3gpuE3ELNS1_3repE0EEES8_NS0_14default_configES9_NS1_37merge_sort_block_sort_config_selectorIxNS0_10empty_typeEEENS1_38merge_sort_block_merge_config_selectorIxSB_EEEEvv,comdat
	.protected	_ZN7rocprim17ROCPRIM_400000_NS6detail44device_merge_sort_compile_time_verifier_archINS1_11comp_targetILNS1_3genE9ELNS1_11target_archE1100ELNS1_3gpuE3ELNS1_3repE0EEES8_NS0_14default_configES9_NS1_37merge_sort_block_sort_config_selectorIxNS0_10empty_typeEEENS1_38merge_sort_block_merge_config_selectorIxSB_EEEEvv ; -- Begin function _ZN7rocprim17ROCPRIM_400000_NS6detail44device_merge_sort_compile_time_verifier_archINS1_11comp_targetILNS1_3genE9ELNS1_11target_archE1100ELNS1_3gpuE3ELNS1_3repE0EEES8_NS0_14default_configES9_NS1_37merge_sort_block_sort_config_selectorIxNS0_10empty_typeEEENS1_38merge_sort_block_merge_config_selectorIxSB_EEEEvv
	.globl	_ZN7rocprim17ROCPRIM_400000_NS6detail44device_merge_sort_compile_time_verifier_archINS1_11comp_targetILNS1_3genE9ELNS1_11target_archE1100ELNS1_3gpuE3ELNS1_3repE0EEES8_NS0_14default_configES9_NS1_37merge_sort_block_sort_config_selectorIxNS0_10empty_typeEEENS1_38merge_sort_block_merge_config_selectorIxSB_EEEEvv
	.p2align	8
	.type	_ZN7rocprim17ROCPRIM_400000_NS6detail44device_merge_sort_compile_time_verifier_archINS1_11comp_targetILNS1_3genE9ELNS1_11target_archE1100ELNS1_3gpuE3ELNS1_3repE0EEES8_NS0_14default_configES9_NS1_37merge_sort_block_sort_config_selectorIxNS0_10empty_typeEEENS1_38merge_sort_block_merge_config_selectorIxSB_EEEEvv,@function
_ZN7rocprim17ROCPRIM_400000_NS6detail44device_merge_sort_compile_time_verifier_archINS1_11comp_targetILNS1_3genE9ELNS1_11target_archE1100ELNS1_3gpuE3ELNS1_3repE0EEES8_NS0_14default_configES9_NS1_37merge_sort_block_sort_config_selectorIxNS0_10empty_typeEEENS1_38merge_sort_block_merge_config_selectorIxSB_EEEEvv: ; @_ZN7rocprim17ROCPRIM_400000_NS6detail44device_merge_sort_compile_time_verifier_archINS1_11comp_targetILNS1_3genE9ELNS1_11target_archE1100ELNS1_3gpuE3ELNS1_3repE0EEES8_NS0_14default_configES9_NS1_37merge_sort_block_sort_config_selectorIxNS0_10empty_typeEEENS1_38merge_sort_block_merge_config_selectorIxSB_EEEEvv
; %bb.0:
	s_endpgm
	.section	.rodata,"a",@progbits
	.p2align	6, 0x0
	.amdhsa_kernel _ZN7rocprim17ROCPRIM_400000_NS6detail44device_merge_sort_compile_time_verifier_archINS1_11comp_targetILNS1_3genE9ELNS1_11target_archE1100ELNS1_3gpuE3ELNS1_3repE0EEES8_NS0_14default_configES9_NS1_37merge_sort_block_sort_config_selectorIxNS0_10empty_typeEEENS1_38merge_sort_block_merge_config_selectorIxSB_EEEEvv
		.amdhsa_group_segment_fixed_size 0
		.amdhsa_private_segment_fixed_size 0
		.amdhsa_kernarg_size 0
		.amdhsa_user_sgpr_count 4
		.amdhsa_user_sgpr_private_segment_buffer 1
		.amdhsa_user_sgpr_dispatch_ptr 0
		.amdhsa_user_sgpr_queue_ptr 0
		.amdhsa_user_sgpr_kernarg_segment_ptr 0
		.amdhsa_user_sgpr_dispatch_id 0
		.amdhsa_user_sgpr_flat_scratch_init 0
		.amdhsa_user_sgpr_private_segment_size 0
		.amdhsa_wavefront_size32 1
		.amdhsa_uses_dynamic_stack 0
		.amdhsa_system_sgpr_private_segment_wavefront_offset 0
		.amdhsa_system_sgpr_workgroup_id_x 1
		.amdhsa_system_sgpr_workgroup_id_y 0
		.amdhsa_system_sgpr_workgroup_id_z 0
		.amdhsa_system_sgpr_workgroup_info 0
		.amdhsa_system_vgpr_workitem_id 0
		.amdhsa_next_free_vgpr 1
		.amdhsa_next_free_sgpr 1
		.amdhsa_reserve_vcc 0
		.amdhsa_reserve_flat_scratch 0
		.amdhsa_float_round_mode_32 0
		.amdhsa_float_round_mode_16_64 0
		.amdhsa_float_denorm_mode_32 3
		.amdhsa_float_denorm_mode_16_64 3
		.amdhsa_dx10_clamp 1
		.amdhsa_ieee_mode 1
		.amdhsa_fp16_overflow 0
		.amdhsa_workgroup_processor_mode 1
		.amdhsa_memory_ordered 1
		.amdhsa_forward_progress 1
		.amdhsa_shared_vgpr_count 0
		.amdhsa_exception_fp_ieee_invalid_op 0
		.amdhsa_exception_fp_denorm_src 0
		.amdhsa_exception_fp_ieee_div_zero 0
		.amdhsa_exception_fp_ieee_overflow 0
		.amdhsa_exception_fp_ieee_underflow 0
		.amdhsa_exception_fp_ieee_inexact 0
		.amdhsa_exception_int_div_zero 0
	.end_amdhsa_kernel
	.section	.text._ZN7rocprim17ROCPRIM_400000_NS6detail44device_merge_sort_compile_time_verifier_archINS1_11comp_targetILNS1_3genE9ELNS1_11target_archE1100ELNS1_3gpuE3ELNS1_3repE0EEES8_NS0_14default_configES9_NS1_37merge_sort_block_sort_config_selectorIxNS0_10empty_typeEEENS1_38merge_sort_block_merge_config_selectorIxSB_EEEEvv,"axG",@progbits,_ZN7rocprim17ROCPRIM_400000_NS6detail44device_merge_sort_compile_time_verifier_archINS1_11comp_targetILNS1_3genE9ELNS1_11target_archE1100ELNS1_3gpuE3ELNS1_3repE0EEES8_NS0_14default_configES9_NS1_37merge_sort_block_sort_config_selectorIxNS0_10empty_typeEEENS1_38merge_sort_block_merge_config_selectorIxSB_EEEEvv,comdat
.Lfunc_end325:
	.size	_ZN7rocprim17ROCPRIM_400000_NS6detail44device_merge_sort_compile_time_verifier_archINS1_11comp_targetILNS1_3genE9ELNS1_11target_archE1100ELNS1_3gpuE3ELNS1_3repE0EEES8_NS0_14default_configES9_NS1_37merge_sort_block_sort_config_selectorIxNS0_10empty_typeEEENS1_38merge_sort_block_merge_config_selectorIxSB_EEEEvv, .Lfunc_end325-_ZN7rocprim17ROCPRIM_400000_NS6detail44device_merge_sort_compile_time_verifier_archINS1_11comp_targetILNS1_3genE9ELNS1_11target_archE1100ELNS1_3gpuE3ELNS1_3repE0EEES8_NS0_14default_configES9_NS1_37merge_sort_block_sort_config_selectorIxNS0_10empty_typeEEENS1_38merge_sort_block_merge_config_selectorIxSB_EEEEvv
                                        ; -- End function
	.set _ZN7rocprim17ROCPRIM_400000_NS6detail44device_merge_sort_compile_time_verifier_archINS1_11comp_targetILNS1_3genE9ELNS1_11target_archE1100ELNS1_3gpuE3ELNS1_3repE0EEES8_NS0_14default_configES9_NS1_37merge_sort_block_sort_config_selectorIxNS0_10empty_typeEEENS1_38merge_sort_block_merge_config_selectorIxSB_EEEEvv.num_vgpr, 0
	.set _ZN7rocprim17ROCPRIM_400000_NS6detail44device_merge_sort_compile_time_verifier_archINS1_11comp_targetILNS1_3genE9ELNS1_11target_archE1100ELNS1_3gpuE3ELNS1_3repE0EEES8_NS0_14default_configES9_NS1_37merge_sort_block_sort_config_selectorIxNS0_10empty_typeEEENS1_38merge_sort_block_merge_config_selectorIxSB_EEEEvv.num_agpr, 0
	.set _ZN7rocprim17ROCPRIM_400000_NS6detail44device_merge_sort_compile_time_verifier_archINS1_11comp_targetILNS1_3genE9ELNS1_11target_archE1100ELNS1_3gpuE3ELNS1_3repE0EEES8_NS0_14default_configES9_NS1_37merge_sort_block_sort_config_selectorIxNS0_10empty_typeEEENS1_38merge_sort_block_merge_config_selectorIxSB_EEEEvv.numbered_sgpr, 0
	.set _ZN7rocprim17ROCPRIM_400000_NS6detail44device_merge_sort_compile_time_verifier_archINS1_11comp_targetILNS1_3genE9ELNS1_11target_archE1100ELNS1_3gpuE3ELNS1_3repE0EEES8_NS0_14default_configES9_NS1_37merge_sort_block_sort_config_selectorIxNS0_10empty_typeEEENS1_38merge_sort_block_merge_config_selectorIxSB_EEEEvv.num_named_barrier, 0
	.set _ZN7rocprim17ROCPRIM_400000_NS6detail44device_merge_sort_compile_time_verifier_archINS1_11comp_targetILNS1_3genE9ELNS1_11target_archE1100ELNS1_3gpuE3ELNS1_3repE0EEES8_NS0_14default_configES9_NS1_37merge_sort_block_sort_config_selectorIxNS0_10empty_typeEEENS1_38merge_sort_block_merge_config_selectorIxSB_EEEEvv.private_seg_size, 0
	.set _ZN7rocprim17ROCPRIM_400000_NS6detail44device_merge_sort_compile_time_verifier_archINS1_11comp_targetILNS1_3genE9ELNS1_11target_archE1100ELNS1_3gpuE3ELNS1_3repE0EEES8_NS0_14default_configES9_NS1_37merge_sort_block_sort_config_selectorIxNS0_10empty_typeEEENS1_38merge_sort_block_merge_config_selectorIxSB_EEEEvv.uses_vcc, 0
	.set _ZN7rocprim17ROCPRIM_400000_NS6detail44device_merge_sort_compile_time_verifier_archINS1_11comp_targetILNS1_3genE9ELNS1_11target_archE1100ELNS1_3gpuE3ELNS1_3repE0EEES8_NS0_14default_configES9_NS1_37merge_sort_block_sort_config_selectorIxNS0_10empty_typeEEENS1_38merge_sort_block_merge_config_selectorIxSB_EEEEvv.uses_flat_scratch, 0
	.set _ZN7rocprim17ROCPRIM_400000_NS6detail44device_merge_sort_compile_time_verifier_archINS1_11comp_targetILNS1_3genE9ELNS1_11target_archE1100ELNS1_3gpuE3ELNS1_3repE0EEES8_NS0_14default_configES9_NS1_37merge_sort_block_sort_config_selectorIxNS0_10empty_typeEEENS1_38merge_sort_block_merge_config_selectorIxSB_EEEEvv.has_dyn_sized_stack, 0
	.set _ZN7rocprim17ROCPRIM_400000_NS6detail44device_merge_sort_compile_time_verifier_archINS1_11comp_targetILNS1_3genE9ELNS1_11target_archE1100ELNS1_3gpuE3ELNS1_3repE0EEES8_NS0_14default_configES9_NS1_37merge_sort_block_sort_config_selectorIxNS0_10empty_typeEEENS1_38merge_sort_block_merge_config_selectorIxSB_EEEEvv.has_recursion, 0
	.set _ZN7rocprim17ROCPRIM_400000_NS6detail44device_merge_sort_compile_time_verifier_archINS1_11comp_targetILNS1_3genE9ELNS1_11target_archE1100ELNS1_3gpuE3ELNS1_3repE0EEES8_NS0_14default_configES9_NS1_37merge_sort_block_sort_config_selectorIxNS0_10empty_typeEEENS1_38merge_sort_block_merge_config_selectorIxSB_EEEEvv.has_indirect_call, 0
	.section	.AMDGPU.csdata,"",@progbits
; Kernel info:
; codeLenInByte = 4
; TotalNumSgprs: 0
; NumVgprs: 0
; ScratchSize: 0
; MemoryBound: 0
; FloatMode: 240
; IeeeMode: 1
; LDSByteSize: 0 bytes/workgroup (compile time only)
; SGPRBlocks: 0
; VGPRBlocks: 0
; NumSGPRsForWavesPerEU: 1
; NumVGPRsForWavesPerEU: 1
; Occupancy: 16
; WaveLimiterHint : 0
; COMPUTE_PGM_RSRC2:SCRATCH_EN: 0
; COMPUTE_PGM_RSRC2:USER_SGPR: 4
; COMPUTE_PGM_RSRC2:TRAP_HANDLER: 0
; COMPUTE_PGM_RSRC2:TGID_X_EN: 1
; COMPUTE_PGM_RSRC2:TGID_Y_EN: 0
; COMPUTE_PGM_RSRC2:TGID_Z_EN: 0
; COMPUTE_PGM_RSRC2:TIDIG_COMP_CNT: 0
	.section	.text._ZN7rocprim17ROCPRIM_400000_NS6detail44device_merge_sort_compile_time_verifier_archINS1_11comp_targetILNS1_3genE8ELNS1_11target_archE1030ELNS1_3gpuE2ELNS1_3repE0EEES8_NS0_14default_configES9_NS1_37merge_sort_block_sort_config_selectorIxNS0_10empty_typeEEENS1_38merge_sort_block_merge_config_selectorIxSB_EEEEvv,"axG",@progbits,_ZN7rocprim17ROCPRIM_400000_NS6detail44device_merge_sort_compile_time_verifier_archINS1_11comp_targetILNS1_3genE8ELNS1_11target_archE1030ELNS1_3gpuE2ELNS1_3repE0EEES8_NS0_14default_configES9_NS1_37merge_sort_block_sort_config_selectorIxNS0_10empty_typeEEENS1_38merge_sort_block_merge_config_selectorIxSB_EEEEvv,comdat
	.protected	_ZN7rocprim17ROCPRIM_400000_NS6detail44device_merge_sort_compile_time_verifier_archINS1_11comp_targetILNS1_3genE8ELNS1_11target_archE1030ELNS1_3gpuE2ELNS1_3repE0EEES8_NS0_14default_configES9_NS1_37merge_sort_block_sort_config_selectorIxNS0_10empty_typeEEENS1_38merge_sort_block_merge_config_selectorIxSB_EEEEvv ; -- Begin function _ZN7rocprim17ROCPRIM_400000_NS6detail44device_merge_sort_compile_time_verifier_archINS1_11comp_targetILNS1_3genE8ELNS1_11target_archE1030ELNS1_3gpuE2ELNS1_3repE0EEES8_NS0_14default_configES9_NS1_37merge_sort_block_sort_config_selectorIxNS0_10empty_typeEEENS1_38merge_sort_block_merge_config_selectorIxSB_EEEEvv
	.globl	_ZN7rocprim17ROCPRIM_400000_NS6detail44device_merge_sort_compile_time_verifier_archINS1_11comp_targetILNS1_3genE8ELNS1_11target_archE1030ELNS1_3gpuE2ELNS1_3repE0EEES8_NS0_14default_configES9_NS1_37merge_sort_block_sort_config_selectorIxNS0_10empty_typeEEENS1_38merge_sort_block_merge_config_selectorIxSB_EEEEvv
	.p2align	8
	.type	_ZN7rocprim17ROCPRIM_400000_NS6detail44device_merge_sort_compile_time_verifier_archINS1_11comp_targetILNS1_3genE8ELNS1_11target_archE1030ELNS1_3gpuE2ELNS1_3repE0EEES8_NS0_14default_configES9_NS1_37merge_sort_block_sort_config_selectorIxNS0_10empty_typeEEENS1_38merge_sort_block_merge_config_selectorIxSB_EEEEvv,@function
_ZN7rocprim17ROCPRIM_400000_NS6detail44device_merge_sort_compile_time_verifier_archINS1_11comp_targetILNS1_3genE8ELNS1_11target_archE1030ELNS1_3gpuE2ELNS1_3repE0EEES8_NS0_14default_configES9_NS1_37merge_sort_block_sort_config_selectorIxNS0_10empty_typeEEENS1_38merge_sort_block_merge_config_selectorIxSB_EEEEvv: ; @_ZN7rocprim17ROCPRIM_400000_NS6detail44device_merge_sort_compile_time_verifier_archINS1_11comp_targetILNS1_3genE8ELNS1_11target_archE1030ELNS1_3gpuE2ELNS1_3repE0EEES8_NS0_14default_configES9_NS1_37merge_sort_block_sort_config_selectorIxNS0_10empty_typeEEENS1_38merge_sort_block_merge_config_selectorIxSB_EEEEvv
; %bb.0:
	s_endpgm
	.section	.rodata,"a",@progbits
	.p2align	6, 0x0
	.amdhsa_kernel _ZN7rocprim17ROCPRIM_400000_NS6detail44device_merge_sort_compile_time_verifier_archINS1_11comp_targetILNS1_3genE8ELNS1_11target_archE1030ELNS1_3gpuE2ELNS1_3repE0EEES8_NS0_14default_configES9_NS1_37merge_sort_block_sort_config_selectorIxNS0_10empty_typeEEENS1_38merge_sort_block_merge_config_selectorIxSB_EEEEvv
		.amdhsa_group_segment_fixed_size 0
		.amdhsa_private_segment_fixed_size 0
		.amdhsa_kernarg_size 0
		.amdhsa_user_sgpr_count 4
		.amdhsa_user_sgpr_private_segment_buffer 1
		.amdhsa_user_sgpr_dispatch_ptr 0
		.amdhsa_user_sgpr_queue_ptr 0
		.amdhsa_user_sgpr_kernarg_segment_ptr 0
		.amdhsa_user_sgpr_dispatch_id 0
		.amdhsa_user_sgpr_flat_scratch_init 0
		.amdhsa_user_sgpr_private_segment_size 0
		.amdhsa_wavefront_size32 1
		.amdhsa_uses_dynamic_stack 0
		.amdhsa_system_sgpr_private_segment_wavefront_offset 0
		.amdhsa_system_sgpr_workgroup_id_x 1
		.amdhsa_system_sgpr_workgroup_id_y 0
		.amdhsa_system_sgpr_workgroup_id_z 0
		.amdhsa_system_sgpr_workgroup_info 0
		.amdhsa_system_vgpr_workitem_id 0
		.amdhsa_next_free_vgpr 1
		.amdhsa_next_free_sgpr 1
		.amdhsa_reserve_vcc 0
		.amdhsa_reserve_flat_scratch 0
		.amdhsa_float_round_mode_32 0
		.amdhsa_float_round_mode_16_64 0
		.amdhsa_float_denorm_mode_32 3
		.amdhsa_float_denorm_mode_16_64 3
		.amdhsa_dx10_clamp 1
		.amdhsa_ieee_mode 1
		.amdhsa_fp16_overflow 0
		.amdhsa_workgroup_processor_mode 1
		.amdhsa_memory_ordered 1
		.amdhsa_forward_progress 1
		.amdhsa_shared_vgpr_count 0
		.amdhsa_exception_fp_ieee_invalid_op 0
		.amdhsa_exception_fp_denorm_src 0
		.amdhsa_exception_fp_ieee_div_zero 0
		.amdhsa_exception_fp_ieee_overflow 0
		.amdhsa_exception_fp_ieee_underflow 0
		.amdhsa_exception_fp_ieee_inexact 0
		.amdhsa_exception_int_div_zero 0
	.end_amdhsa_kernel
	.section	.text._ZN7rocprim17ROCPRIM_400000_NS6detail44device_merge_sort_compile_time_verifier_archINS1_11comp_targetILNS1_3genE8ELNS1_11target_archE1030ELNS1_3gpuE2ELNS1_3repE0EEES8_NS0_14default_configES9_NS1_37merge_sort_block_sort_config_selectorIxNS0_10empty_typeEEENS1_38merge_sort_block_merge_config_selectorIxSB_EEEEvv,"axG",@progbits,_ZN7rocprim17ROCPRIM_400000_NS6detail44device_merge_sort_compile_time_verifier_archINS1_11comp_targetILNS1_3genE8ELNS1_11target_archE1030ELNS1_3gpuE2ELNS1_3repE0EEES8_NS0_14default_configES9_NS1_37merge_sort_block_sort_config_selectorIxNS0_10empty_typeEEENS1_38merge_sort_block_merge_config_selectorIxSB_EEEEvv,comdat
.Lfunc_end326:
	.size	_ZN7rocprim17ROCPRIM_400000_NS6detail44device_merge_sort_compile_time_verifier_archINS1_11comp_targetILNS1_3genE8ELNS1_11target_archE1030ELNS1_3gpuE2ELNS1_3repE0EEES8_NS0_14default_configES9_NS1_37merge_sort_block_sort_config_selectorIxNS0_10empty_typeEEENS1_38merge_sort_block_merge_config_selectorIxSB_EEEEvv, .Lfunc_end326-_ZN7rocprim17ROCPRIM_400000_NS6detail44device_merge_sort_compile_time_verifier_archINS1_11comp_targetILNS1_3genE8ELNS1_11target_archE1030ELNS1_3gpuE2ELNS1_3repE0EEES8_NS0_14default_configES9_NS1_37merge_sort_block_sort_config_selectorIxNS0_10empty_typeEEENS1_38merge_sort_block_merge_config_selectorIxSB_EEEEvv
                                        ; -- End function
	.set _ZN7rocprim17ROCPRIM_400000_NS6detail44device_merge_sort_compile_time_verifier_archINS1_11comp_targetILNS1_3genE8ELNS1_11target_archE1030ELNS1_3gpuE2ELNS1_3repE0EEES8_NS0_14default_configES9_NS1_37merge_sort_block_sort_config_selectorIxNS0_10empty_typeEEENS1_38merge_sort_block_merge_config_selectorIxSB_EEEEvv.num_vgpr, 0
	.set _ZN7rocprim17ROCPRIM_400000_NS6detail44device_merge_sort_compile_time_verifier_archINS1_11comp_targetILNS1_3genE8ELNS1_11target_archE1030ELNS1_3gpuE2ELNS1_3repE0EEES8_NS0_14default_configES9_NS1_37merge_sort_block_sort_config_selectorIxNS0_10empty_typeEEENS1_38merge_sort_block_merge_config_selectorIxSB_EEEEvv.num_agpr, 0
	.set _ZN7rocprim17ROCPRIM_400000_NS6detail44device_merge_sort_compile_time_verifier_archINS1_11comp_targetILNS1_3genE8ELNS1_11target_archE1030ELNS1_3gpuE2ELNS1_3repE0EEES8_NS0_14default_configES9_NS1_37merge_sort_block_sort_config_selectorIxNS0_10empty_typeEEENS1_38merge_sort_block_merge_config_selectorIxSB_EEEEvv.numbered_sgpr, 0
	.set _ZN7rocprim17ROCPRIM_400000_NS6detail44device_merge_sort_compile_time_verifier_archINS1_11comp_targetILNS1_3genE8ELNS1_11target_archE1030ELNS1_3gpuE2ELNS1_3repE0EEES8_NS0_14default_configES9_NS1_37merge_sort_block_sort_config_selectorIxNS0_10empty_typeEEENS1_38merge_sort_block_merge_config_selectorIxSB_EEEEvv.num_named_barrier, 0
	.set _ZN7rocprim17ROCPRIM_400000_NS6detail44device_merge_sort_compile_time_verifier_archINS1_11comp_targetILNS1_3genE8ELNS1_11target_archE1030ELNS1_3gpuE2ELNS1_3repE0EEES8_NS0_14default_configES9_NS1_37merge_sort_block_sort_config_selectorIxNS0_10empty_typeEEENS1_38merge_sort_block_merge_config_selectorIxSB_EEEEvv.private_seg_size, 0
	.set _ZN7rocprim17ROCPRIM_400000_NS6detail44device_merge_sort_compile_time_verifier_archINS1_11comp_targetILNS1_3genE8ELNS1_11target_archE1030ELNS1_3gpuE2ELNS1_3repE0EEES8_NS0_14default_configES9_NS1_37merge_sort_block_sort_config_selectorIxNS0_10empty_typeEEENS1_38merge_sort_block_merge_config_selectorIxSB_EEEEvv.uses_vcc, 0
	.set _ZN7rocprim17ROCPRIM_400000_NS6detail44device_merge_sort_compile_time_verifier_archINS1_11comp_targetILNS1_3genE8ELNS1_11target_archE1030ELNS1_3gpuE2ELNS1_3repE0EEES8_NS0_14default_configES9_NS1_37merge_sort_block_sort_config_selectorIxNS0_10empty_typeEEENS1_38merge_sort_block_merge_config_selectorIxSB_EEEEvv.uses_flat_scratch, 0
	.set _ZN7rocprim17ROCPRIM_400000_NS6detail44device_merge_sort_compile_time_verifier_archINS1_11comp_targetILNS1_3genE8ELNS1_11target_archE1030ELNS1_3gpuE2ELNS1_3repE0EEES8_NS0_14default_configES9_NS1_37merge_sort_block_sort_config_selectorIxNS0_10empty_typeEEENS1_38merge_sort_block_merge_config_selectorIxSB_EEEEvv.has_dyn_sized_stack, 0
	.set _ZN7rocprim17ROCPRIM_400000_NS6detail44device_merge_sort_compile_time_verifier_archINS1_11comp_targetILNS1_3genE8ELNS1_11target_archE1030ELNS1_3gpuE2ELNS1_3repE0EEES8_NS0_14default_configES9_NS1_37merge_sort_block_sort_config_selectorIxNS0_10empty_typeEEENS1_38merge_sort_block_merge_config_selectorIxSB_EEEEvv.has_recursion, 0
	.set _ZN7rocprim17ROCPRIM_400000_NS6detail44device_merge_sort_compile_time_verifier_archINS1_11comp_targetILNS1_3genE8ELNS1_11target_archE1030ELNS1_3gpuE2ELNS1_3repE0EEES8_NS0_14default_configES9_NS1_37merge_sort_block_sort_config_selectorIxNS0_10empty_typeEEENS1_38merge_sort_block_merge_config_selectorIxSB_EEEEvv.has_indirect_call, 0
	.section	.AMDGPU.csdata,"",@progbits
; Kernel info:
; codeLenInByte = 4
; TotalNumSgprs: 0
; NumVgprs: 0
; ScratchSize: 0
; MemoryBound: 0
; FloatMode: 240
; IeeeMode: 1
; LDSByteSize: 0 bytes/workgroup (compile time only)
; SGPRBlocks: 0
; VGPRBlocks: 0
; NumSGPRsForWavesPerEU: 1
; NumVGPRsForWavesPerEU: 1
; Occupancy: 16
; WaveLimiterHint : 0
; COMPUTE_PGM_RSRC2:SCRATCH_EN: 0
; COMPUTE_PGM_RSRC2:USER_SGPR: 4
; COMPUTE_PGM_RSRC2:TRAP_HANDLER: 0
; COMPUTE_PGM_RSRC2:TGID_X_EN: 1
; COMPUTE_PGM_RSRC2:TGID_Y_EN: 0
; COMPUTE_PGM_RSRC2:TGID_Z_EN: 0
; COMPUTE_PGM_RSRC2:TIDIG_COMP_CNT: 0
	.section	.text._ZN7rocprim17ROCPRIM_400000_NS6detail17trampoline_kernelINS0_14default_configENS1_37merge_sort_block_sort_config_selectorIxNS0_10empty_typeEEEZNS1_21merge_sort_block_sortIS3_N6thrust23THRUST_200600_302600_NS6detail15normal_iteratorINS9_10device_ptrIxEEEESE_PS5_SF_11less_div_10IxEEE10hipError_tT0_T1_T2_T3_mRjT4_P12ihipStream_tbNS1_7vsmem_tEEUlT_E_NS1_11comp_targetILNS1_3genE0ELNS1_11target_archE4294967295ELNS1_3gpuE0ELNS1_3repE0EEENS1_30default_config_static_selectorELNS0_4arch9wavefront6targetE0EEEvSK_,"axG",@progbits,_ZN7rocprim17ROCPRIM_400000_NS6detail17trampoline_kernelINS0_14default_configENS1_37merge_sort_block_sort_config_selectorIxNS0_10empty_typeEEEZNS1_21merge_sort_block_sortIS3_N6thrust23THRUST_200600_302600_NS6detail15normal_iteratorINS9_10device_ptrIxEEEESE_PS5_SF_11less_div_10IxEEE10hipError_tT0_T1_T2_T3_mRjT4_P12ihipStream_tbNS1_7vsmem_tEEUlT_E_NS1_11comp_targetILNS1_3genE0ELNS1_11target_archE4294967295ELNS1_3gpuE0ELNS1_3repE0EEENS1_30default_config_static_selectorELNS0_4arch9wavefront6targetE0EEEvSK_,comdat
	.protected	_ZN7rocprim17ROCPRIM_400000_NS6detail17trampoline_kernelINS0_14default_configENS1_37merge_sort_block_sort_config_selectorIxNS0_10empty_typeEEEZNS1_21merge_sort_block_sortIS3_N6thrust23THRUST_200600_302600_NS6detail15normal_iteratorINS9_10device_ptrIxEEEESE_PS5_SF_11less_div_10IxEEE10hipError_tT0_T1_T2_T3_mRjT4_P12ihipStream_tbNS1_7vsmem_tEEUlT_E_NS1_11comp_targetILNS1_3genE0ELNS1_11target_archE4294967295ELNS1_3gpuE0ELNS1_3repE0EEENS1_30default_config_static_selectorELNS0_4arch9wavefront6targetE0EEEvSK_ ; -- Begin function _ZN7rocprim17ROCPRIM_400000_NS6detail17trampoline_kernelINS0_14default_configENS1_37merge_sort_block_sort_config_selectorIxNS0_10empty_typeEEEZNS1_21merge_sort_block_sortIS3_N6thrust23THRUST_200600_302600_NS6detail15normal_iteratorINS9_10device_ptrIxEEEESE_PS5_SF_11less_div_10IxEEE10hipError_tT0_T1_T2_T3_mRjT4_P12ihipStream_tbNS1_7vsmem_tEEUlT_E_NS1_11comp_targetILNS1_3genE0ELNS1_11target_archE4294967295ELNS1_3gpuE0ELNS1_3repE0EEENS1_30default_config_static_selectorELNS0_4arch9wavefront6targetE0EEEvSK_
	.globl	_ZN7rocprim17ROCPRIM_400000_NS6detail17trampoline_kernelINS0_14default_configENS1_37merge_sort_block_sort_config_selectorIxNS0_10empty_typeEEEZNS1_21merge_sort_block_sortIS3_N6thrust23THRUST_200600_302600_NS6detail15normal_iteratorINS9_10device_ptrIxEEEESE_PS5_SF_11less_div_10IxEEE10hipError_tT0_T1_T2_T3_mRjT4_P12ihipStream_tbNS1_7vsmem_tEEUlT_E_NS1_11comp_targetILNS1_3genE0ELNS1_11target_archE4294967295ELNS1_3gpuE0ELNS1_3repE0EEENS1_30default_config_static_selectorELNS0_4arch9wavefront6targetE0EEEvSK_
	.p2align	8
	.type	_ZN7rocprim17ROCPRIM_400000_NS6detail17trampoline_kernelINS0_14default_configENS1_37merge_sort_block_sort_config_selectorIxNS0_10empty_typeEEEZNS1_21merge_sort_block_sortIS3_N6thrust23THRUST_200600_302600_NS6detail15normal_iteratorINS9_10device_ptrIxEEEESE_PS5_SF_11less_div_10IxEEE10hipError_tT0_T1_T2_T3_mRjT4_P12ihipStream_tbNS1_7vsmem_tEEUlT_E_NS1_11comp_targetILNS1_3genE0ELNS1_11target_archE4294967295ELNS1_3gpuE0ELNS1_3repE0EEENS1_30default_config_static_selectorELNS0_4arch9wavefront6targetE0EEEvSK_,@function
_ZN7rocprim17ROCPRIM_400000_NS6detail17trampoline_kernelINS0_14default_configENS1_37merge_sort_block_sort_config_selectorIxNS0_10empty_typeEEEZNS1_21merge_sort_block_sortIS3_N6thrust23THRUST_200600_302600_NS6detail15normal_iteratorINS9_10device_ptrIxEEEESE_PS5_SF_11less_div_10IxEEE10hipError_tT0_T1_T2_T3_mRjT4_P12ihipStream_tbNS1_7vsmem_tEEUlT_E_NS1_11comp_targetILNS1_3genE0ELNS1_11target_archE4294967295ELNS1_3gpuE0ELNS1_3repE0EEENS1_30default_config_static_selectorELNS0_4arch9wavefront6targetE0EEEvSK_: ; @_ZN7rocprim17ROCPRIM_400000_NS6detail17trampoline_kernelINS0_14default_configENS1_37merge_sort_block_sort_config_selectorIxNS0_10empty_typeEEEZNS1_21merge_sort_block_sortIS3_N6thrust23THRUST_200600_302600_NS6detail15normal_iteratorINS9_10device_ptrIxEEEESE_PS5_SF_11less_div_10IxEEE10hipError_tT0_T1_T2_T3_mRjT4_P12ihipStream_tbNS1_7vsmem_tEEUlT_E_NS1_11comp_targetILNS1_3genE0ELNS1_11target_archE4294967295ELNS1_3gpuE0ELNS1_3repE0EEENS1_30default_config_static_selectorELNS0_4arch9wavefront6targetE0EEEvSK_
; %bb.0:
	.section	.rodata,"a",@progbits
	.p2align	6, 0x0
	.amdhsa_kernel _ZN7rocprim17ROCPRIM_400000_NS6detail17trampoline_kernelINS0_14default_configENS1_37merge_sort_block_sort_config_selectorIxNS0_10empty_typeEEEZNS1_21merge_sort_block_sortIS3_N6thrust23THRUST_200600_302600_NS6detail15normal_iteratorINS9_10device_ptrIxEEEESE_PS5_SF_11less_div_10IxEEE10hipError_tT0_T1_T2_T3_mRjT4_P12ihipStream_tbNS1_7vsmem_tEEUlT_E_NS1_11comp_targetILNS1_3genE0ELNS1_11target_archE4294967295ELNS1_3gpuE0ELNS1_3repE0EEENS1_30default_config_static_selectorELNS0_4arch9wavefront6targetE0EEEvSK_
		.amdhsa_group_segment_fixed_size 0
		.amdhsa_private_segment_fixed_size 0
		.amdhsa_kernarg_size 64
		.amdhsa_user_sgpr_count 6
		.amdhsa_user_sgpr_private_segment_buffer 1
		.amdhsa_user_sgpr_dispatch_ptr 0
		.amdhsa_user_sgpr_queue_ptr 0
		.amdhsa_user_sgpr_kernarg_segment_ptr 1
		.amdhsa_user_sgpr_dispatch_id 0
		.amdhsa_user_sgpr_flat_scratch_init 0
		.amdhsa_user_sgpr_private_segment_size 0
		.amdhsa_wavefront_size32 1
		.amdhsa_uses_dynamic_stack 0
		.amdhsa_system_sgpr_private_segment_wavefront_offset 0
		.amdhsa_system_sgpr_workgroup_id_x 1
		.amdhsa_system_sgpr_workgroup_id_y 0
		.amdhsa_system_sgpr_workgroup_id_z 0
		.amdhsa_system_sgpr_workgroup_info 0
		.amdhsa_system_vgpr_workitem_id 0
		.amdhsa_next_free_vgpr 1
		.amdhsa_next_free_sgpr 1
		.amdhsa_reserve_vcc 0
		.amdhsa_reserve_flat_scratch 0
		.amdhsa_float_round_mode_32 0
		.amdhsa_float_round_mode_16_64 0
		.amdhsa_float_denorm_mode_32 3
		.amdhsa_float_denorm_mode_16_64 3
		.amdhsa_dx10_clamp 1
		.amdhsa_ieee_mode 1
		.amdhsa_fp16_overflow 0
		.amdhsa_workgroup_processor_mode 1
		.amdhsa_memory_ordered 1
		.amdhsa_forward_progress 1
		.amdhsa_shared_vgpr_count 0
		.amdhsa_exception_fp_ieee_invalid_op 0
		.amdhsa_exception_fp_denorm_src 0
		.amdhsa_exception_fp_ieee_div_zero 0
		.amdhsa_exception_fp_ieee_overflow 0
		.amdhsa_exception_fp_ieee_underflow 0
		.amdhsa_exception_fp_ieee_inexact 0
		.amdhsa_exception_int_div_zero 0
	.end_amdhsa_kernel
	.section	.text._ZN7rocprim17ROCPRIM_400000_NS6detail17trampoline_kernelINS0_14default_configENS1_37merge_sort_block_sort_config_selectorIxNS0_10empty_typeEEEZNS1_21merge_sort_block_sortIS3_N6thrust23THRUST_200600_302600_NS6detail15normal_iteratorINS9_10device_ptrIxEEEESE_PS5_SF_11less_div_10IxEEE10hipError_tT0_T1_T2_T3_mRjT4_P12ihipStream_tbNS1_7vsmem_tEEUlT_E_NS1_11comp_targetILNS1_3genE0ELNS1_11target_archE4294967295ELNS1_3gpuE0ELNS1_3repE0EEENS1_30default_config_static_selectorELNS0_4arch9wavefront6targetE0EEEvSK_,"axG",@progbits,_ZN7rocprim17ROCPRIM_400000_NS6detail17trampoline_kernelINS0_14default_configENS1_37merge_sort_block_sort_config_selectorIxNS0_10empty_typeEEEZNS1_21merge_sort_block_sortIS3_N6thrust23THRUST_200600_302600_NS6detail15normal_iteratorINS9_10device_ptrIxEEEESE_PS5_SF_11less_div_10IxEEE10hipError_tT0_T1_T2_T3_mRjT4_P12ihipStream_tbNS1_7vsmem_tEEUlT_E_NS1_11comp_targetILNS1_3genE0ELNS1_11target_archE4294967295ELNS1_3gpuE0ELNS1_3repE0EEENS1_30default_config_static_selectorELNS0_4arch9wavefront6targetE0EEEvSK_,comdat
.Lfunc_end327:
	.size	_ZN7rocprim17ROCPRIM_400000_NS6detail17trampoline_kernelINS0_14default_configENS1_37merge_sort_block_sort_config_selectorIxNS0_10empty_typeEEEZNS1_21merge_sort_block_sortIS3_N6thrust23THRUST_200600_302600_NS6detail15normal_iteratorINS9_10device_ptrIxEEEESE_PS5_SF_11less_div_10IxEEE10hipError_tT0_T1_T2_T3_mRjT4_P12ihipStream_tbNS1_7vsmem_tEEUlT_E_NS1_11comp_targetILNS1_3genE0ELNS1_11target_archE4294967295ELNS1_3gpuE0ELNS1_3repE0EEENS1_30default_config_static_selectorELNS0_4arch9wavefront6targetE0EEEvSK_, .Lfunc_end327-_ZN7rocprim17ROCPRIM_400000_NS6detail17trampoline_kernelINS0_14default_configENS1_37merge_sort_block_sort_config_selectorIxNS0_10empty_typeEEEZNS1_21merge_sort_block_sortIS3_N6thrust23THRUST_200600_302600_NS6detail15normal_iteratorINS9_10device_ptrIxEEEESE_PS5_SF_11less_div_10IxEEE10hipError_tT0_T1_T2_T3_mRjT4_P12ihipStream_tbNS1_7vsmem_tEEUlT_E_NS1_11comp_targetILNS1_3genE0ELNS1_11target_archE4294967295ELNS1_3gpuE0ELNS1_3repE0EEENS1_30default_config_static_selectorELNS0_4arch9wavefront6targetE0EEEvSK_
                                        ; -- End function
	.set _ZN7rocprim17ROCPRIM_400000_NS6detail17trampoline_kernelINS0_14default_configENS1_37merge_sort_block_sort_config_selectorIxNS0_10empty_typeEEEZNS1_21merge_sort_block_sortIS3_N6thrust23THRUST_200600_302600_NS6detail15normal_iteratorINS9_10device_ptrIxEEEESE_PS5_SF_11less_div_10IxEEE10hipError_tT0_T1_T2_T3_mRjT4_P12ihipStream_tbNS1_7vsmem_tEEUlT_E_NS1_11comp_targetILNS1_3genE0ELNS1_11target_archE4294967295ELNS1_3gpuE0ELNS1_3repE0EEENS1_30default_config_static_selectorELNS0_4arch9wavefront6targetE0EEEvSK_.num_vgpr, 0
	.set _ZN7rocprim17ROCPRIM_400000_NS6detail17trampoline_kernelINS0_14default_configENS1_37merge_sort_block_sort_config_selectorIxNS0_10empty_typeEEEZNS1_21merge_sort_block_sortIS3_N6thrust23THRUST_200600_302600_NS6detail15normal_iteratorINS9_10device_ptrIxEEEESE_PS5_SF_11less_div_10IxEEE10hipError_tT0_T1_T2_T3_mRjT4_P12ihipStream_tbNS1_7vsmem_tEEUlT_E_NS1_11comp_targetILNS1_3genE0ELNS1_11target_archE4294967295ELNS1_3gpuE0ELNS1_3repE0EEENS1_30default_config_static_selectorELNS0_4arch9wavefront6targetE0EEEvSK_.num_agpr, 0
	.set _ZN7rocprim17ROCPRIM_400000_NS6detail17trampoline_kernelINS0_14default_configENS1_37merge_sort_block_sort_config_selectorIxNS0_10empty_typeEEEZNS1_21merge_sort_block_sortIS3_N6thrust23THRUST_200600_302600_NS6detail15normal_iteratorINS9_10device_ptrIxEEEESE_PS5_SF_11less_div_10IxEEE10hipError_tT0_T1_T2_T3_mRjT4_P12ihipStream_tbNS1_7vsmem_tEEUlT_E_NS1_11comp_targetILNS1_3genE0ELNS1_11target_archE4294967295ELNS1_3gpuE0ELNS1_3repE0EEENS1_30default_config_static_selectorELNS0_4arch9wavefront6targetE0EEEvSK_.numbered_sgpr, 0
	.set _ZN7rocprim17ROCPRIM_400000_NS6detail17trampoline_kernelINS0_14default_configENS1_37merge_sort_block_sort_config_selectorIxNS0_10empty_typeEEEZNS1_21merge_sort_block_sortIS3_N6thrust23THRUST_200600_302600_NS6detail15normal_iteratorINS9_10device_ptrIxEEEESE_PS5_SF_11less_div_10IxEEE10hipError_tT0_T1_T2_T3_mRjT4_P12ihipStream_tbNS1_7vsmem_tEEUlT_E_NS1_11comp_targetILNS1_3genE0ELNS1_11target_archE4294967295ELNS1_3gpuE0ELNS1_3repE0EEENS1_30default_config_static_selectorELNS0_4arch9wavefront6targetE0EEEvSK_.num_named_barrier, 0
	.set _ZN7rocprim17ROCPRIM_400000_NS6detail17trampoline_kernelINS0_14default_configENS1_37merge_sort_block_sort_config_selectorIxNS0_10empty_typeEEEZNS1_21merge_sort_block_sortIS3_N6thrust23THRUST_200600_302600_NS6detail15normal_iteratorINS9_10device_ptrIxEEEESE_PS5_SF_11less_div_10IxEEE10hipError_tT0_T1_T2_T3_mRjT4_P12ihipStream_tbNS1_7vsmem_tEEUlT_E_NS1_11comp_targetILNS1_3genE0ELNS1_11target_archE4294967295ELNS1_3gpuE0ELNS1_3repE0EEENS1_30default_config_static_selectorELNS0_4arch9wavefront6targetE0EEEvSK_.private_seg_size, 0
	.set _ZN7rocprim17ROCPRIM_400000_NS6detail17trampoline_kernelINS0_14default_configENS1_37merge_sort_block_sort_config_selectorIxNS0_10empty_typeEEEZNS1_21merge_sort_block_sortIS3_N6thrust23THRUST_200600_302600_NS6detail15normal_iteratorINS9_10device_ptrIxEEEESE_PS5_SF_11less_div_10IxEEE10hipError_tT0_T1_T2_T3_mRjT4_P12ihipStream_tbNS1_7vsmem_tEEUlT_E_NS1_11comp_targetILNS1_3genE0ELNS1_11target_archE4294967295ELNS1_3gpuE0ELNS1_3repE0EEENS1_30default_config_static_selectorELNS0_4arch9wavefront6targetE0EEEvSK_.uses_vcc, 0
	.set _ZN7rocprim17ROCPRIM_400000_NS6detail17trampoline_kernelINS0_14default_configENS1_37merge_sort_block_sort_config_selectorIxNS0_10empty_typeEEEZNS1_21merge_sort_block_sortIS3_N6thrust23THRUST_200600_302600_NS6detail15normal_iteratorINS9_10device_ptrIxEEEESE_PS5_SF_11less_div_10IxEEE10hipError_tT0_T1_T2_T3_mRjT4_P12ihipStream_tbNS1_7vsmem_tEEUlT_E_NS1_11comp_targetILNS1_3genE0ELNS1_11target_archE4294967295ELNS1_3gpuE0ELNS1_3repE0EEENS1_30default_config_static_selectorELNS0_4arch9wavefront6targetE0EEEvSK_.uses_flat_scratch, 0
	.set _ZN7rocprim17ROCPRIM_400000_NS6detail17trampoline_kernelINS0_14default_configENS1_37merge_sort_block_sort_config_selectorIxNS0_10empty_typeEEEZNS1_21merge_sort_block_sortIS3_N6thrust23THRUST_200600_302600_NS6detail15normal_iteratorINS9_10device_ptrIxEEEESE_PS5_SF_11less_div_10IxEEE10hipError_tT0_T1_T2_T3_mRjT4_P12ihipStream_tbNS1_7vsmem_tEEUlT_E_NS1_11comp_targetILNS1_3genE0ELNS1_11target_archE4294967295ELNS1_3gpuE0ELNS1_3repE0EEENS1_30default_config_static_selectorELNS0_4arch9wavefront6targetE0EEEvSK_.has_dyn_sized_stack, 0
	.set _ZN7rocprim17ROCPRIM_400000_NS6detail17trampoline_kernelINS0_14default_configENS1_37merge_sort_block_sort_config_selectorIxNS0_10empty_typeEEEZNS1_21merge_sort_block_sortIS3_N6thrust23THRUST_200600_302600_NS6detail15normal_iteratorINS9_10device_ptrIxEEEESE_PS5_SF_11less_div_10IxEEE10hipError_tT0_T1_T2_T3_mRjT4_P12ihipStream_tbNS1_7vsmem_tEEUlT_E_NS1_11comp_targetILNS1_3genE0ELNS1_11target_archE4294967295ELNS1_3gpuE0ELNS1_3repE0EEENS1_30default_config_static_selectorELNS0_4arch9wavefront6targetE0EEEvSK_.has_recursion, 0
	.set _ZN7rocprim17ROCPRIM_400000_NS6detail17trampoline_kernelINS0_14default_configENS1_37merge_sort_block_sort_config_selectorIxNS0_10empty_typeEEEZNS1_21merge_sort_block_sortIS3_N6thrust23THRUST_200600_302600_NS6detail15normal_iteratorINS9_10device_ptrIxEEEESE_PS5_SF_11less_div_10IxEEE10hipError_tT0_T1_T2_T3_mRjT4_P12ihipStream_tbNS1_7vsmem_tEEUlT_E_NS1_11comp_targetILNS1_3genE0ELNS1_11target_archE4294967295ELNS1_3gpuE0ELNS1_3repE0EEENS1_30default_config_static_selectorELNS0_4arch9wavefront6targetE0EEEvSK_.has_indirect_call, 0
	.section	.AMDGPU.csdata,"",@progbits
; Kernel info:
; codeLenInByte = 0
; TotalNumSgprs: 0
; NumVgprs: 0
; ScratchSize: 0
; MemoryBound: 0
; FloatMode: 240
; IeeeMode: 1
; LDSByteSize: 0 bytes/workgroup (compile time only)
; SGPRBlocks: 0
; VGPRBlocks: 0
; NumSGPRsForWavesPerEU: 1
; NumVGPRsForWavesPerEU: 1
; Occupancy: 16
; WaveLimiterHint : 0
; COMPUTE_PGM_RSRC2:SCRATCH_EN: 0
; COMPUTE_PGM_RSRC2:USER_SGPR: 6
; COMPUTE_PGM_RSRC2:TRAP_HANDLER: 0
; COMPUTE_PGM_RSRC2:TGID_X_EN: 1
; COMPUTE_PGM_RSRC2:TGID_Y_EN: 0
; COMPUTE_PGM_RSRC2:TGID_Z_EN: 0
; COMPUTE_PGM_RSRC2:TIDIG_COMP_CNT: 0
	.section	.text._ZN7rocprim17ROCPRIM_400000_NS6detail17trampoline_kernelINS0_14default_configENS1_37merge_sort_block_sort_config_selectorIxNS0_10empty_typeEEEZNS1_21merge_sort_block_sortIS3_N6thrust23THRUST_200600_302600_NS6detail15normal_iteratorINS9_10device_ptrIxEEEESE_PS5_SF_11less_div_10IxEEE10hipError_tT0_T1_T2_T3_mRjT4_P12ihipStream_tbNS1_7vsmem_tEEUlT_E_NS1_11comp_targetILNS1_3genE5ELNS1_11target_archE942ELNS1_3gpuE9ELNS1_3repE0EEENS1_30default_config_static_selectorELNS0_4arch9wavefront6targetE0EEEvSK_,"axG",@progbits,_ZN7rocprim17ROCPRIM_400000_NS6detail17trampoline_kernelINS0_14default_configENS1_37merge_sort_block_sort_config_selectorIxNS0_10empty_typeEEEZNS1_21merge_sort_block_sortIS3_N6thrust23THRUST_200600_302600_NS6detail15normal_iteratorINS9_10device_ptrIxEEEESE_PS5_SF_11less_div_10IxEEE10hipError_tT0_T1_T2_T3_mRjT4_P12ihipStream_tbNS1_7vsmem_tEEUlT_E_NS1_11comp_targetILNS1_3genE5ELNS1_11target_archE942ELNS1_3gpuE9ELNS1_3repE0EEENS1_30default_config_static_selectorELNS0_4arch9wavefront6targetE0EEEvSK_,comdat
	.protected	_ZN7rocprim17ROCPRIM_400000_NS6detail17trampoline_kernelINS0_14default_configENS1_37merge_sort_block_sort_config_selectorIxNS0_10empty_typeEEEZNS1_21merge_sort_block_sortIS3_N6thrust23THRUST_200600_302600_NS6detail15normal_iteratorINS9_10device_ptrIxEEEESE_PS5_SF_11less_div_10IxEEE10hipError_tT0_T1_T2_T3_mRjT4_P12ihipStream_tbNS1_7vsmem_tEEUlT_E_NS1_11comp_targetILNS1_3genE5ELNS1_11target_archE942ELNS1_3gpuE9ELNS1_3repE0EEENS1_30default_config_static_selectorELNS0_4arch9wavefront6targetE0EEEvSK_ ; -- Begin function _ZN7rocprim17ROCPRIM_400000_NS6detail17trampoline_kernelINS0_14default_configENS1_37merge_sort_block_sort_config_selectorIxNS0_10empty_typeEEEZNS1_21merge_sort_block_sortIS3_N6thrust23THRUST_200600_302600_NS6detail15normal_iteratorINS9_10device_ptrIxEEEESE_PS5_SF_11less_div_10IxEEE10hipError_tT0_T1_T2_T3_mRjT4_P12ihipStream_tbNS1_7vsmem_tEEUlT_E_NS1_11comp_targetILNS1_3genE5ELNS1_11target_archE942ELNS1_3gpuE9ELNS1_3repE0EEENS1_30default_config_static_selectorELNS0_4arch9wavefront6targetE0EEEvSK_
	.globl	_ZN7rocprim17ROCPRIM_400000_NS6detail17trampoline_kernelINS0_14default_configENS1_37merge_sort_block_sort_config_selectorIxNS0_10empty_typeEEEZNS1_21merge_sort_block_sortIS3_N6thrust23THRUST_200600_302600_NS6detail15normal_iteratorINS9_10device_ptrIxEEEESE_PS5_SF_11less_div_10IxEEE10hipError_tT0_T1_T2_T3_mRjT4_P12ihipStream_tbNS1_7vsmem_tEEUlT_E_NS1_11comp_targetILNS1_3genE5ELNS1_11target_archE942ELNS1_3gpuE9ELNS1_3repE0EEENS1_30default_config_static_selectorELNS0_4arch9wavefront6targetE0EEEvSK_
	.p2align	8
	.type	_ZN7rocprim17ROCPRIM_400000_NS6detail17trampoline_kernelINS0_14default_configENS1_37merge_sort_block_sort_config_selectorIxNS0_10empty_typeEEEZNS1_21merge_sort_block_sortIS3_N6thrust23THRUST_200600_302600_NS6detail15normal_iteratorINS9_10device_ptrIxEEEESE_PS5_SF_11less_div_10IxEEE10hipError_tT0_T1_T2_T3_mRjT4_P12ihipStream_tbNS1_7vsmem_tEEUlT_E_NS1_11comp_targetILNS1_3genE5ELNS1_11target_archE942ELNS1_3gpuE9ELNS1_3repE0EEENS1_30default_config_static_selectorELNS0_4arch9wavefront6targetE0EEEvSK_,@function
_ZN7rocprim17ROCPRIM_400000_NS6detail17trampoline_kernelINS0_14default_configENS1_37merge_sort_block_sort_config_selectorIxNS0_10empty_typeEEEZNS1_21merge_sort_block_sortIS3_N6thrust23THRUST_200600_302600_NS6detail15normal_iteratorINS9_10device_ptrIxEEEESE_PS5_SF_11less_div_10IxEEE10hipError_tT0_T1_T2_T3_mRjT4_P12ihipStream_tbNS1_7vsmem_tEEUlT_E_NS1_11comp_targetILNS1_3genE5ELNS1_11target_archE942ELNS1_3gpuE9ELNS1_3repE0EEENS1_30default_config_static_selectorELNS0_4arch9wavefront6targetE0EEEvSK_: ; @_ZN7rocprim17ROCPRIM_400000_NS6detail17trampoline_kernelINS0_14default_configENS1_37merge_sort_block_sort_config_selectorIxNS0_10empty_typeEEEZNS1_21merge_sort_block_sortIS3_N6thrust23THRUST_200600_302600_NS6detail15normal_iteratorINS9_10device_ptrIxEEEESE_PS5_SF_11less_div_10IxEEE10hipError_tT0_T1_T2_T3_mRjT4_P12ihipStream_tbNS1_7vsmem_tEEUlT_E_NS1_11comp_targetILNS1_3genE5ELNS1_11target_archE942ELNS1_3gpuE9ELNS1_3repE0EEENS1_30default_config_static_selectorELNS0_4arch9wavefront6targetE0EEEvSK_
; %bb.0:
	.section	.rodata,"a",@progbits
	.p2align	6, 0x0
	.amdhsa_kernel _ZN7rocprim17ROCPRIM_400000_NS6detail17trampoline_kernelINS0_14default_configENS1_37merge_sort_block_sort_config_selectorIxNS0_10empty_typeEEEZNS1_21merge_sort_block_sortIS3_N6thrust23THRUST_200600_302600_NS6detail15normal_iteratorINS9_10device_ptrIxEEEESE_PS5_SF_11less_div_10IxEEE10hipError_tT0_T1_T2_T3_mRjT4_P12ihipStream_tbNS1_7vsmem_tEEUlT_E_NS1_11comp_targetILNS1_3genE5ELNS1_11target_archE942ELNS1_3gpuE9ELNS1_3repE0EEENS1_30default_config_static_selectorELNS0_4arch9wavefront6targetE0EEEvSK_
		.amdhsa_group_segment_fixed_size 0
		.amdhsa_private_segment_fixed_size 0
		.amdhsa_kernarg_size 64
		.amdhsa_user_sgpr_count 6
		.amdhsa_user_sgpr_private_segment_buffer 1
		.amdhsa_user_sgpr_dispatch_ptr 0
		.amdhsa_user_sgpr_queue_ptr 0
		.amdhsa_user_sgpr_kernarg_segment_ptr 1
		.amdhsa_user_sgpr_dispatch_id 0
		.amdhsa_user_sgpr_flat_scratch_init 0
		.amdhsa_user_sgpr_private_segment_size 0
		.amdhsa_wavefront_size32 1
		.amdhsa_uses_dynamic_stack 0
		.amdhsa_system_sgpr_private_segment_wavefront_offset 0
		.amdhsa_system_sgpr_workgroup_id_x 1
		.amdhsa_system_sgpr_workgroup_id_y 0
		.amdhsa_system_sgpr_workgroup_id_z 0
		.amdhsa_system_sgpr_workgroup_info 0
		.amdhsa_system_vgpr_workitem_id 0
		.amdhsa_next_free_vgpr 1
		.amdhsa_next_free_sgpr 1
		.amdhsa_reserve_vcc 0
		.amdhsa_reserve_flat_scratch 0
		.amdhsa_float_round_mode_32 0
		.amdhsa_float_round_mode_16_64 0
		.amdhsa_float_denorm_mode_32 3
		.amdhsa_float_denorm_mode_16_64 3
		.amdhsa_dx10_clamp 1
		.amdhsa_ieee_mode 1
		.amdhsa_fp16_overflow 0
		.amdhsa_workgroup_processor_mode 1
		.amdhsa_memory_ordered 1
		.amdhsa_forward_progress 1
		.amdhsa_shared_vgpr_count 0
		.amdhsa_exception_fp_ieee_invalid_op 0
		.amdhsa_exception_fp_denorm_src 0
		.amdhsa_exception_fp_ieee_div_zero 0
		.amdhsa_exception_fp_ieee_overflow 0
		.amdhsa_exception_fp_ieee_underflow 0
		.amdhsa_exception_fp_ieee_inexact 0
		.amdhsa_exception_int_div_zero 0
	.end_amdhsa_kernel
	.section	.text._ZN7rocprim17ROCPRIM_400000_NS6detail17trampoline_kernelINS0_14default_configENS1_37merge_sort_block_sort_config_selectorIxNS0_10empty_typeEEEZNS1_21merge_sort_block_sortIS3_N6thrust23THRUST_200600_302600_NS6detail15normal_iteratorINS9_10device_ptrIxEEEESE_PS5_SF_11less_div_10IxEEE10hipError_tT0_T1_T2_T3_mRjT4_P12ihipStream_tbNS1_7vsmem_tEEUlT_E_NS1_11comp_targetILNS1_3genE5ELNS1_11target_archE942ELNS1_3gpuE9ELNS1_3repE0EEENS1_30default_config_static_selectorELNS0_4arch9wavefront6targetE0EEEvSK_,"axG",@progbits,_ZN7rocprim17ROCPRIM_400000_NS6detail17trampoline_kernelINS0_14default_configENS1_37merge_sort_block_sort_config_selectorIxNS0_10empty_typeEEEZNS1_21merge_sort_block_sortIS3_N6thrust23THRUST_200600_302600_NS6detail15normal_iteratorINS9_10device_ptrIxEEEESE_PS5_SF_11less_div_10IxEEE10hipError_tT0_T1_T2_T3_mRjT4_P12ihipStream_tbNS1_7vsmem_tEEUlT_E_NS1_11comp_targetILNS1_3genE5ELNS1_11target_archE942ELNS1_3gpuE9ELNS1_3repE0EEENS1_30default_config_static_selectorELNS0_4arch9wavefront6targetE0EEEvSK_,comdat
.Lfunc_end328:
	.size	_ZN7rocprim17ROCPRIM_400000_NS6detail17trampoline_kernelINS0_14default_configENS1_37merge_sort_block_sort_config_selectorIxNS0_10empty_typeEEEZNS1_21merge_sort_block_sortIS3_N6thrust23THRUST_200600_302600_NS6detail15normal_iteratorINS9_10device_ptrIxEEEESE_PS5_SF_11less_div_10IxEEE10hipError_tT0_T1_T2_T3_mRjT4_P12ihipStream_tbNS1_7vsmem_tEEUlT_E_NS1_11comp_targetILNS1_3genE5ELNS1_11target_archE942ELNS1_3gpuE9ELNS1_3repE0EEENS1_30default_config_static_selectorELNS0_4arch9wavefront6targetE0EEEvSK_, .Lfunc_end328-_ZN7rocprim17ROCPRIM_400000_NS6detail17trampoline_kernelINS0_14default_configENS1_37merge_sort_block_sort_config_selectorIxNS0_10empty_typeEEEZNS1_21merge_sort_block_sortIS3_N6thrust23THRUST_200600_302600_NS6detail15normal_iteratorINS9_10device_ptrIxEEEESE_PS5_SF_11less_div_10IxEEE10hipError_tT0_T1_T2_T3_mRjT4_P12ihipStream_tbNS1_7vsmem_tEEUlT_E_NS1_11comp_targetILNS1_3genE5ELNS1_11target_archE942ELNS1_3gpuE9ELNS1_3repE0EEENS1_30default_config_static_selectorELNS0_4arch9wavefront6targetE0EEEvSK_
                                        ; -- End function
	.set _ZN7rocprim17ROCPRIM_400000_NS6detail17trampoline_kernelINS0_14default_configENS1_37merge_sort_block_sort_config_selectorIxNS0_10empty_typeEEEZNS1_21merge_sort_block_sortIS3_N6thrust23THRUST_200600_302600_NS6detail15normal_iteratorINS9_10device_ptrIxEEEESE_PS5_SF_11less_div_10IxEEE10hipError_tT0_T1_T2_T3_mRjT4_P12ihipStream_tbNS1_7vsmem_tEEUlT_E_NS1_11comp_targetILNS1_3genE5ELNS1_11target_archE942ELNS1_3gpuE9ELNS1_3repE0EEENS1_30default_config_static_selectorELNS0_4arch9wavefront6targetE0EEEvSK_.num_vgpr, 0
	.set _ZN7rocprim17ROCPRIM_400000_NS6detail17trampoline_kernelINS0_14default_configENS1_37merge_sort_block_sort_config_selectorIxNS0_10empty_typeEEEZNS1_21merge_sort_block_sortIS3_N6thrust23THRUST_200600_302600_NS6detail15normal_iteratorINS9_10device_ptrIxEEEESE_PS5_SF_11less_div_10IxEEE10hipError_tT0_T1_T2_T3_mRjT4_P12ihipStream_tbNS1_7vsmem_tEEUlT_E_NS1_11comp_targetILNS1_3genE5ELNS1_11target_archE942ELNS1_3gpuE9ELNS1_3repE0EEENS1_30default_config_static_selectorELNS0_4arch9wavefront6targetE0EEEvSK_.num_agpr, 0
	.set _ZN7rocprim17ROCPRIM_400000_NS6detail17trampoline_kernelINS0_14default_configENS1_37merge_sort_block_sort_config_selectorIxNS0_10empty_typeEEEZNS1_21merge_sort_block_sortIS3_N6thrust23THRUST_200600_302600_NS6detail15normal_iteratorINS9_10device_ptrIxEEEESE_PS5_SF_11less_div_10IxEEE10hipError_tT0_T1_T2_T3_mRjT4_P12ihipStream_tbNS1_7vsmem_tEEUlT_E_NS1_11comp_targetILNS1_3genE5ELNS1_11target_archE942ELNS1_3gpuE9ELNS1_3repE0EEENS1_30default_config_static_selectorELNS0_4arch9wavefront6targetE0EEEvSK_.numbered_sgpr, 0
	.set _ZN7rocprim17ROCPRIM_400000_NS6detail17trampoline_kernelINS0_14default_configENS1_37merge_sort_block_sort_config_selectorIxNS0_10empty_typeEEEZNS1_21merge_sort_block_sortIS3_N6thrust23THRUST_200600_302600_NS6detail15normal_iteratorINS9_10device_ptrIxEEEESE_PS5_SF_11less_div_10IxEEE10hipError_tT0_T1_T2_T3_mRjT4_P12ihipStream_tbNS1_7vsmem_tEEUlT_E_NS1_11comp_targetILNS1_3genE5ELNS1_11target_archE942ELNS1_3gpuE9ELNS1_3repE0EEENS1_30default_config_static_selectorELNS0_4arch9wavefront6targetE0EEEvSK_.num_named_barrier, 0
	.set _ZN7rocprim17ROCPRIM_400000_NS6detail17trampoline_kernelINS0_14default_configENS1_37merge_sort_block_sort_config_selectorIxNS0_10empty_typeEEEZNS1_21merge_sort_block_sortIS3_N6thrust23THRUST_200600_302600_NS6detail15normal_iteratorINS9_10device_ptrIxEEEESE_PS5_SF_11less_div_10IxEEE10hipError_tT0_T1_T2_T3_mRjT4_P12ihipStream_tbNS1_7vsmem_tEEUlT_E_NS1_11comp_targetILNS1_3genE5ELNS1_11target_archE942ELNS1_3gpuE9ELNS1_3repE0EEENS1_30default_config_static_selectorELNS0_4arch9wavefront6targetE0EEEvSK_.private_seg_size, 0
	.set _ZN7rocprim17ROCPRIM_400000_NS6detail17trampoline_kernelINS0_14default_configENS1_37merge_sort_block_sort_config_selectorIxNS0_10empty_typeEEEZNS1_21merge_sort_block_sortIS3_N6thrust23THRUST_200600_302600_NS6detail15normal_iteratorINS9_10device_ptrIxEEEESE_PS5_SF_11less_div_10IxEEE10hipError_tT0_T1_T2_T3_mRjT4_P12ihipStream_tbNS1_7vsmem_tEEUlT_E_NS1_11comp_targetILNS1_3genE5ELNS1_11target_archE942ELNS1_3gpuE9ELNS1_3repE0EEENS1_30default_config_static_selectorELNS0_4arch9wavefront6targetE0EEEvSK_.uses_vcc, 0
	.set _ZN7rocprim17ROCPRIM_400000_NS6detail17trampoline_kernelINS0_14default_configENS1_37merge_sort_block_sort_config_selectorIxNS0_10empty_typeEEEZNS1_21merge_sort_block_sortIS3_N6thrust23THRUST_200600_302600_NS6detail15normal_iteratorINS9_10device_ptrIxEEEESE_PS5_SF_11less_div_10IxEEE10hipError_tT0_T1_T2_T3_mRjT4_P12ihipStream_tbNS1_7vsmem_tEEUlT_E_NS1_11comp_targetILNS1_3genE5ELNS1_11target_archE942ELNS1_3gpuE9ELNS1_3repE0EEENS1_30default_config_static_selectorELNS0_4arch9wavefront6targetE0EEEvSK_.uses_flat_scratch, 0
	.set _ZN7rocprim17ROCPRIM_400000_NS6detail17trampoline_kernelINS0_14default_configENS1_37merge_sort_block_sort_config_selectorIxNS0_10empty_typeEEEZNS1_21merge_sort_block_sortIS3_N6thrust23THRUST_200600_302600_NS6detail15normal_iteratorINS9_10device_ptrIxEEEESE_PS5_SF_11less_div_10IxEEE10hipError_tT0_T1_T2_T3_mRjT4_P12ihipStream_tbNS1_7vsmem_tEEUlT_E_NS1_11comp_targetILNS1_3genE5ELNS1_11target_archE942ELNS1_3gpuE9ELNS1_3repE0EEENS1_30default_config_static_selectorELNS0_4arch9wavefront6targetE0EEEvSK_.has_dyn_sized_stack, 0
	.set _ZN7rocprim17ROCPRIM_400000_NS6detail17trampoline_kernelINS0_14default_configENS1_37merge_sort_block_sort_config_selectorIxNS0_10empty_typeEEEZNS1_21merge_sort_block_sortIS3_N6thrust23THRUST_200600_302600_NS6detail15normal_iteratorINS9_10device_ptrIxEEEESE_PS5_SF_11less_div_10IxEEE10hipError_tT0_T1_T2_T3_mRjT4_P12ihipStream_tbNS1_7vsmem_tEEUlT_E_NS1_11comp_targetILNS1_3genE5ELNS1_11target_archE942ELNS1_3gpuE9ELNS1_3repE0EEENS1_30default_config_static_selectorELNS0_4arch9wavefront6targetE0EEEvSK_.has_recursion, 0
	.set _ZN7rocprim17ROCPRIM_400000_NS6detail17trampoline_kernelINS0_14default_configENS1_37merge_sort_block_sort_config_selectorIxNS0_10empty_typeEEEZNS1_21merge_sort_block_sortIS3_N6thrust23THRUST_200600_302600_NS6detail15normal_iteratorINS9_10device_ptrIxEEEESE_PS5_SF_11less_div_10IxEEE10hipError_tT0_T1_T2_T3_mRjT4_P12ihipStream_tbNS1_7vsmem_tEEUlT_E_NS1_11comp_targetILNS1_3genE5ELNS1_11target_archE942ELNS1_3gpuE9ELNS1_3repE0EEENS1_30default_config_static_selectorELNS0_4arch9wavefront6targetE0EEEvSK_.has_indirect_call, 0
	.section	.AMDGPU.csdata,"",@progbits
; Kernel info:
; codeLenInByte = 0
; TotalNumSgprs: 0
; NumVgprs: 0
; ScratchSize: 0
; MemoryBound: 0
; FloatMode: 240
; IeeeMode: 1
; LDSByteSize: 0 bytes/workgroup (compile time only)
; SGPRBlocks: 0
; VGPRBlocks: 0
; NumSGPRsForWavesPerEU: 1
; NumVGPRsForWavesPerEU: 1
; Occupancy: 16
; WaveLimiterHint : 0
; COMPUTE_PGM_RSRC2:SCRATCH_EN: 0
; COMPUTE_PGM_RSRC2:USER_SGPR: 6
; COMPUTE_PGM_RSRC2:TRAP_HANDLER: 0
; COMPUTE_PGM_RSRC2:TGID_X_EN: 1
; COMPUTE_PGM_RSRC2:TGID_Y_EN: 0
; COMPUTE_PGM_RSRC2:TGID_Z_EN: 0
; COMPUTE_PGM_RSRC2:TIDIG_COMP_CNT: 0
	.section	.text._ZN7rocprim17ROCPRIM_400000_NS6detail17trampoline_kernelINS0_14default_configENS1_37merge_sort_block_sort_config_selectorIxNS0_10empty_typeEEEZNS1_21merge_sort_block_sortIS3_N6thrust23THRUST_200600_302600_NS6detail15normal_iteratorINS9_10device_ptrIxEEEESE_PS5_SF_11less_div_10IxEEE10hipError_tT0_T1_T2_T3_mRjT4_P12ihipStream_tbNS1_7vsmem_tEEUlT_E_NS1_11comp_targetILNS1_3genE4ELNS1_11target_archE910ELNS1_3gpuE8ELNS1_3repE0EEENS1_30default_config_static_selectorELNS0_4arch9wavefront6targetE0EEEvSK_,"axG",@progbits,_ZN7rocprim17ROCPRIM_400000_NS6detail17trampoline_kernelINS0_14default_configENS1_37merge_sort_block_sort_config_selectorIxNS0_10empty_typeEEEZNS1_21merge_sort_block_sortIS3_N6thrust23THRUST_200600_302600_NS6detail15normal_iteratorINS9_10device_ptrIxEEEESE_PS5_SF_11less_div_10IxEEE10hipError_tT0_T1_T2_T3_mRjT4_P12ihipStream_tbNS1_7vsmem_tEEUlT_E_NS1_11comp_targetILNS1_3genE4ELNS1_11target_archE910ELNS1_3gpuE8ELNS1_3repE0EEENS1_30default_config_static_selectorELNS0_4arch9wavefront6targetE0EEEvSK_,comdat
	.protected	_ZN7rocprim17ROCPRIM_400000_NS6detail17trampoline_kernelINS0_14default_configENS1_37merge_sort_block_sort_config_selectorIxNS0_10empty_typeEEEZNS1_21merge_sort_block_sortIS3_N6thrust23THRUST_200600_302600_NS6detail15normal_iteratorINS9_10device_ptrIxEEEESE_PS5_SF_11less_div_10IxEEE10hipError_tT0_T1_T2_T3_mRjT4_P12ihipStream_tbNS1_7vsmem_tEEUlT_E_NS1_11comp_targetILNS1_3genE4ELNS1_11target_archE910ELNS1_3gpuE8ELNS1_3repE0EEENS1_30default_config_static_selectorELNS0_4arch9wavefront6targetE0EEEvSK_ ; -- Begin function _ZN7rocprim17ROCPRIM_400000_NS6detail17trampoline_kernelINS0_14default_configENS1_37merge_sort_block_sort_config_selectorIxNS0_10empty_typeEEEZNS1_21merge_sort_block_sortIS3_N6thrust23THRUST_200600_302600_NS6detail15normal_iteratorINS9_10device_ptrIxEEEESE_PS5_SF_11less_div_10IxEEE10hipError_tT0_T1_T2_T3_mRjT4_P12ihipStream_tbNS1_7vsmem_tEEUlT_E_NS1_11comp_targetILNS1_3genE4ELNS1_11target_archE910ELNS1_3gpuE8ELNS1_3repE0EEENS1_30default_config_static_selectorELNS0_4arch9wavefront6targetE0EEEvSK_
	.globl	_ZN7rocprim17ROCPRIM_400000_NS6detail17trampoline_kernelINS0_14default_configENS1_37merge_sort_block_sort_config_selectorIxNS0_10empty_typeEEEZNS1_21merge_sort_block_sortIS3_N6thrust23THRUST_200600_302600_NS6detail15normal_iteratorINS9_10device_ptrIxEEEESE_PS5_SF_11less_div_10IxEEE10hipError_tT0_T1_T2_T3_mRjT4_P12ihipStream_tbNS1_7vsmem_tEEUlT_E_NS1_11comp_targetILNS1_3genE4ELNS1_11target_archE910ELNS1_3gpuE8ELNS1_3repE0EEENS1_30default_config_static_selectorELNS0_4arch9wavefront6targetE0EEEvSK_
	.p2align	8
	.type	_ZN7rocprim17ROCPRIM_400000_NS6detail17trampoline_kernelINS0_14default_configENS1_37merge_sort_block_sort_config_selectorIxNS0_10empty_typeEEEZNS1_21merge_sort_block_sortIS3_N6thrust23THRUST_200600_302600_NS6detail15normal_iteratorINS9_10device_ptrIxEEEESE_PS5_SF_11less_div_10IxEEE10hipError_tT0_T1_T2_T3_mRjT4_P12ihipStream_tbNS1_7vsmem_tEEUlT_E_NS1_11comp_targetILNS1_3genE4ELNS1_11target_archE910ELNS1_3gpuE8ELNS1_3repE0EEENS1_30default_config_static_selectorELNS0_4arch9wavefront6targetE0EEEvSK_,@function
_ZN7rocprim17ROCPRIM_400000_NS6detail17trampoline_kernelINS0_14default_configENS1_37merge_sort_block_sort_config_selectorIxNS0_10empty_typeEEEZNS1_21merge_sort_block_sortIS3_N6thrust23THRUST_200600_302600_NS6detail15normal_iteratorINS9_10device_ptrIxEEEESE_PS5_SF_11less_div_10IxEEE10hipError_tT0_T1_T2_T3_mRjT4_P12ihipStream_tbNS1_7vsmem_tEEUlT_E_NS1_11comp_targetILNS1_3genE4ELNS1_11target_archE910ELNS1_3gpuE8ELNS1_3repE0EEENS1_30default_config_static_selectorELNS0_4arch9wavefront6targetE0EEEvSK_: ; @_ZN7rocprim17ROCPRIM_400000_NS6detail17trampoline_kernelINS0_14default_configENS1_37merge_sort_block_sort_config_selectorIxNS0_10empty_typeEEEZNS1_21merge_sort_block_sortIS3_N6thrust23THRUST_200600_302600_NS6detail15normal_iteratorINS9_10device_ptrIxEEEESE_PS5_SF_11less_div_10IxEEE10hipError_tT0_T1_T2_T3_mRjT4_P12ihipStream_tbNS1_7vsmem_tEEUlT_E_NS1_11comp_targetILNS1_3genE4ELNS1_11target_archE910ELNS1_3gpuE8ELNS1_3repE0EEENS1_30default_config_static_selectorELNS0_4arch9wavefront6targetE0EEEvSK_
; %bb.0:
	.section	.rodata,"a",@progbits
	.p2align	6, 0x0
	.amdhsa_kernel _ZN7rocprim17ROCPRIM_400000_NS6detail17trampoline_kernelINS0_14default_configENS1_37merge_sort_block_sort_config_selectorIxNS0_10empty_typeEEEZNS1_21merge_sort_block_sortIS3_N6thrust23THRUST_200600_302600_NS6detail15normal_iteratorINS9_10device_ptrIxEEEESE_PS5_SF_11less_div_10IxEEE10hipError_tT0_T1_T2_T3_mRjT4_P12ihipStream_tbNS1_7vsmem_tEEUlT_E_NS1_11comp_targetILNS1_3genE4ELNS1_11target_archE910ELNS1_3gpuE8ELNS1_3repE0EEENS1_30default_config_static_selectorELNS0_4arch9wavefront6targetE0EEEvSK_
		.amdhsa_group_segment_fixed_size 0
		.amdhsa_private_segment_fixed_size 0
		.amdhsa_kernarg_size 64
		.amdhsa_user_sgpr_count 6
		.amdhsa_user_sgpr_private_segment_buffer 1
		.amdhsa_user_sgpr_dispatch_ptr 0
		.amdhsa_user_sgpr_queue_ptr 0
		.amdhsa_user_sgpr_kernarg_segment_ptr 1
		.amdhsa_user_sgpr_dispatch_id 0
		.amdhsa_user_sgpr_flat_scratch_init 0
		.amdhsa_user_sgpr_private_segment_size 0
		.amdhsa_wavefront_size32 1
		.amdhsa_uses_dynamic_stack 0
		.amdhsa_system_sgpr_private_segment_wavefront_offset 0
		.amdhsa_system_sgpr_workgroup_id_x 1
		.amdhsa_system_sgpr_workgroup_id_y 0
		.amdhsa_system_sgpr_workgroup_id_z 0
		.amdhsa_system_sgpr_workgroup_info 0
		.amdhsa_system_vgpr_workitem_id 0
		.amdhsa_next_free_vgpr 1
		.amdhsa_next_free_sgpr 1
		.amdhsa_reserve_vcc 0
		.amdhsa_reserve_flat_scratch 0
		.amdhsa_float_round_mode_32 0
		.amdhsa_float_round_mode_16_64 0
		.amdhsa_float_denorm_mode_32 3
		.amdhsa_float_denorm_mode_16_64 3
		.amdhsa_dx10_clamp 1
		.amdhsa_ieee_mode 1
		.amdhsa_fp16_overflow 0
		.amdhsa_workgroup_processor_mode 1
		.amdhsa_memory_ordered 1
		.amdhsa_forward_progress 1
		.amdhsa_shared_vgpr_count 0
		.amdhsa_exception_fp_ieee_invalid_op 0
		.amdhsa_exception_fp_denorm_src 0
		.amdhsa_exception_fp_ieee_div_zero 0
		.amdhsa_exception_fp_ieee_overflow 0
		.amdhsa_exception_fp_ieee_underflow 0
		.amdhsa_exception_fp_ieee_inexact 0
		.amdhsa_exception_int_div_zero 0
	.end_amdhsa_kernel
	.section	.text._ZN7rocprim17ROCPRIM_400000_NS6detail17trampoline_kernelINS0_14default_configENS1_37merge_sort_block_sort_config_selectorIxNS0_10empty_typeEEEZNS1_21merge_sort_block_sortIS3_N6thrust23THRUST_200600_302600_NS6detail15normal_iteratorINS9_10device_ptrIxEEEESE_PS5_SF_11less_div_10IxEEE10hipError_tT0_T1_T2_T3_mRjT4_P12ihipStream_tbNS1_7vsmem_tEEUlT_E_NS1_11comp_targetILNS1_3genE4ELNS1_11target_archE910ELNS1_3gpuE8ELNS1_3repE0EEENS1_30default_config_static_selectorELNS0_4arch9wavefront6targetE0EEEvSK_,"axG",@progbits,_ZN7rocprim17ROCPRIM_400000_NS6detail17trampoline_kernelINS0_14default_configENS1_37merge_sort_block_sort_config_selectorIxNS0_10empty_typeEEEZNS1_21merge_sort_block_sortIS3_N6thrust23THRUST_200600_302600_NS6detail15normal_iteratorINS9_10device_ptrIxEEEESE_PS5_SF_11less_div_10IxEEE10hipError_tT0_T1_T2_T3_mRjT4_P12ihipStream_tbNS1_7vsmem_tEEUlT_E_NS1_11comp_targetILNS1_3genE4ELNS1_11target_archE910ELNS1_3gpuE8ELNS1_3repE0EEENS1_30default_config_static_selectorELNS0_4arch9wavefront6targetE0EEEvSK_,comdat
.Lfunc_end329:
	.size	_ZN7rocprim17ROCPRIM_400000_NS6detail17trampoline_kernelINS0_14default_configENS1_37merge_sort_block_sort_config_selectorIxNS0_10empty_typeEEEZNS1_21merge_sort_block_sortIS3_N6thrust23THRUST_200600_302600_NS6detail15normal_iteratorINS9_10device_ptrIxEEEESE_PS5_SF_11less_div_10IxEEE10hipError_tT0_T1_T2_T3_mRjT4_P12ihipStream_tbNS1_7vsmem_tEEUlT_E_NS1_11comp_targetILNS1_3genE4ELNS1_11target_archE910ELNS1_3gpuE8ELNS1_3repE0EEENS1_30default_config_static_selectorELNS0_4arch9wavefront6targetE0EEEvSK_, .Lfunc_end329-_ZN7rocprim17ROCPRIM_400000_NS6detail17trampoline_kernelINS0_14default_configENS1_37merge_sort_block_sort_config_selectorIxNS0_10empty_typeEEEZNS1_21merge_sort_block_sortIS3_N6thrust23THRUST_200600_302600_NS6detail15normal_iteratorINS9_10device_ptrIxEEEESE_PS5_SF_11less_div_10IxEEE10hipError_tT0_T1_T2_T3_mRjT4_P12ihipStream_tbNS1_7vsmem_tEEUlT_E_NS1_11comp_targetILNS1_3genE4ELNS1_11target_archE910ELNS1_3gpuE8ELNS1_3repE0EEENS1_30default_config_static_selectorELNS0_4arch9wavefront6targetE0EEEvSK_
                                        ; -- End function
	.set _ZN7rocprim17ROCPRIM_400000_NS6detail17trampoline_kernelINS0_14default_configENS1_37merge_sort_block_sort_config_selectorIxNS0_10empty_typeEEEZNS1_21merge_sort_block_sortIS3_N6thrust23THRUST_200600_302600_NS6detail15normal_iteratorINS9_10device_ptrIxEEEESE_PS5_SF_11less_div_10IxEEE10hipError_tT0_T1_T2_T3_mRjT4_P12ihipStream_tbNS1_7vsmem_tEEUlT_E_NS1_11comp_targetILNS1_3genE4ELNS1_11target_archE910ELNS1_3gpuE8ELNS1_3repE0EEENS1_30default_config_static_selectorELNS0_4arch9wavefront6targetE0EEEvSK_.num_vgpr, 0
	.set _ZN7rocprim17ROCPRIM_400000_NS6detail17trampoline_kernelINS0_14default_configENS1_37merge_sort_block_sort_config_selectorIxNS0_10empty_typeEEEZNS1_21merge_sort_block_sortIS3_N6thrust23THRUST_200600_302600_NS6detail15normal_iteratorINS9_10device_ptrIxEEEESE_PS5_SF_11less_div_10IxEEE10hipError_tT0_T1_T2_T3_mRjT4_P12ihipStream_tbNS1_7vsmem_tEEUlT_E_NS1_11comp_targetILNS1_3genE4ELNS1_11target_archE910ELNS1_3gpuE8ELNS1_3repE0EEENS1_30default_config_static_selectorELNS0_4arch9wavefront6targetE0EEEvSK_.num_agpr, 0
	.set _ZN7rocprim17ROCPRIM_400000_NS6detail17trampoline_kernelINS0_14default_configENS1_37merge_sort_block_sort_config_selectorIxNS0_10empty_typeEEEZNS1_21merge_sort_block_sortIS3_N6thrust23THRUST_200600_302600_NS6detail15normal_iteratorINS9_10device_ptrIxEEEESE_PS5_SF_11less_div_10IxEEE10hipError_tT0_T1_T2_T3_mRjT4_P12ihipStream_tbNS1_7vsmem_tEEUlT_E_NS1_11comp_targetILNS1_3genE4ELNS1_11target_archE910ELNS1_3gpuE8ELNS1_3repE0EEENS1_30default_config_static_selectorELNS0_4arch9wavefront6targetE0EEEvSK_.numbered_sgpr, 0
	.set _ZN7rocprim17ROCPRIM_400000_NS6detail17trampoline_kernelINS0_14default_configENS1_37merge_sort_block_sort_config_selectorIxNS0_10empty_typeEEEZNS1_21merge_sort_block_sortIS3_N6thrust23THRUST_200600_302600_NS6detail15normal_iteratorINS9_10device_ptrIxEEEESE_PS5_SF_11less_div_10IxEEE10hipError_tT0_T1_T2_T3_mRjT4_P12ihipStream_tbNS1_7vsmem_tEEUlT_E_NS1_11comp_targetILNS1_3genE4ELNS1_11target_archE910ELNS1_3gpuE8ELNS1_3repE0EEENS1_30default_config_static_selectorELNS0_4arch9wavefront6targetE0EEEvSK_.num_named_barrier, 0
	.set _ZN7rocprim17ROCPRIM_400000_NS6detail17trampoline_kernelINS0_14default_configENS1_37merge_sort_block_sort_config_selectorIxNS0_10empty_typeEEEZNS1_21merge_sort_block_sortIS3_N6thrust23THRUST_200600_302600_NS6detail15normal_iteratorINS9_10device_ptrIxEEEESE_PS5_SF_11less_div_10IxEEE10hipError_tT0_T1_T2_T3_mRjT4_P12ihipStream_tbNS1_7vsmem_tEEUlT_E_NS1_11comp_targetILNS1_3genE4ELNS1_11target_archE910ELNS1_3gpuE8ELNS1_3repE0EEENS1_30default_config_static_selectorELNS0_4arch9wavefront6targetE0EEEvSK_.private_seg_size, 0
	.set _ZN7rocprim17ROCPRIM_400000_NS6detail17trampoline_kernelINS0_14default_configENS1_37merge_sort_block_sort_config_selectorIxNS0_10empty_typeEEEZNS1_21merge_sort_block_sortIS3_N6thrust23THRUST_200600_302600_NS6detail15normal_iteratorINS9_10device_ptrIxEEEESE_PS5_SF_11less_div_10IxEEE10hipError_tT0_T1_T2_T3_mRjT4_P12ihipStream_tbNS1_7vsmem_tEEUlT_E_NS1_11comp_targetILNS1_3genE4ELNS1_11target_archE910ELNS1_3gpuE8ELNS1_3repE0EEENS1_30default_config_static_selectorELNS0_4arch9wavefront6targetE0EEEvSK_.uses_vcc, 0
	.set _ZN7rocprim17ROCPRIM_400000_NS6detail17trampoline_kernelINS0_14default_configENS1_37merge_sort_block_sort_config_selectorIxNS0_10empty_typeEEEZNS1_21merge_sort_block_sortIS3_N6thrust23THRUST_200600_302600_NS6detail15normal_iteratorINS9_10device_ptrIxEEEESE_PS5_SF_11less_div_10IxEEE10hipError_tT0_T1_T2_T3_mRjT4_P12ihipStream_tbNS1_7vsmem_tEEUlT_E_NS1_11comp_targetILNS1_3genE4ELNS1_11target_archE910ELNS1_3gpuE8ELNS1_3repE0EEENS1_30default_config_static_selectorELNS0_4arch9wavefront6targetE0EEEvSK_.uses_flat_scratch, 0
	.set _ZN7rocprim17ROCPRIM_400000_NS6detail17trampoline_kernelINS0_14default_configENS1_37merge_sort_block_sort_config_selectorIxNS0_10empty_typeEEEZNS1_21merge_sort_block_sortIS3_N6thrust23THRUST_200600_302600_NS6detail15normal_iteratorINS9_10device_ptrIxEEEESE_PS5_SF_11less_div_10IxEEE10hipError_tT0_T1_T2_T3_mRjT4_P12ihipStream_tbNS1_7vsmem_tEEUlT_E_NS1_11comp_targetILNS1_3genE4ELNS1_11target_archE910ELNS1_3gpuE8ELNS1_3repE0EEENS1_30default_config_static_selectorELNS0_4arch9wavefront6targetE0EEEvSK_.has_dyn_sized_stack, 0
	.set _ZN7rocprim17ROCPRIM_400000_NS6detail17trampoline_kernelINS0_14default_configENS1_37merge_sort_block_sort_config_selectorIxNS0_10empty_typeEEEZNS1_21merge_sort_block_sortIS3_N6thrust23THRUST_200600_302600_NS6detail15normal_iteratorINS9_10device_ptrIxEEEESE_PS5_SF_11less_div_10IxEEE10hipError_tT0_T1_T2_T3_mRjT4_P12ihipStream_tbNS1_7vsmem_tEEUlT_E_NS1_11comp_targetILNS1_3genE4ELNS1_11target_archE910ELNS1_3gpuE8ELNS1_3repE0EEENS1_30default_config_static_selectorELNS0_4arch9wavefront6targetE0EEEvSK_.has_recursion, 0
	.set _ZN7rocprim17ROCPRIM_400000_NS6detail17trampoline_kernelINS0_14default_configENS1_37merge_sort_block_sort_config_selectorIxNS0_10empty_typeEEEZNS1_21merge_sort_block_sortIS3_N6thrust23THRUST_200600_302600_NS6detail15normal_iteratorINS9_10device_ptrIxEEEESE_PS5_SF_11less_div_10IxEEE10hipError_tT0_T1_T2_T3_mRjT4_P12ihipStream_tbNS1_7vsmem_tEEUlT_E_NS1_11comp_targetILNS1_3genE4ELNS1_11target_archE910ELNS1_3gpuE8ELNS1_3repE0EEENS1_30default_config_static_selectorELNS0_4arch9wavefront6targetE0EEEvSK_.has_indirect_call, 0
	.section	.AMDGPU.csdata,"",@progbits
; Kernel info:
; codeLenInByte = 0
; TotalNumSgprs: 0
; NumVgprs: 0
; ScratchSize: 0
; MemoryBound: 0
; FloatMode: 240
; IeeeMode: 1
; LDSByteSize: 0 bytes/workgroup (compile time only)
; SGPRBlocks: 0
; VGPRBlocks: 0
; NumSGPRsForWavesPerEU: 1
; NumVGPRsForWavesPerEU: 1
; Occupancy: 16
; WaveLimiterHint : 0
; COMPUTE_PGM_RSRC2:SCRATCH_EN: 0
; COMPUTE_PGM_RSRC2:USER_SGPR: 6
; COMPUTE_PGM_RSRC2:TRAP_HANDLER: 0
; COMPUTE_PGM_RSRC2:TGID_X_EN: 1
; COMPUTE_PGM_RSRC2:TGID_Y_EN: 0
; COMPUTE_PGM_RSRC2:TGID_Z_EN: 0
; COMPUTE_PGM_RSRC2:TIDIG_COMP_CNT: 0
	.section	.text._ZN7rocprim17ROCPRIM_400000_NS6detail17trampoline_kernelINS0_14default_configENS1_37merge_sort_block_sort_config_selectorIxNS0_10empty_typeEEEZNS1_21merge_sort_block_sortIS3_N6thrust23THRUST_200600_302600_NS6detail15normal_iteratorINS9_10device_ptrIxEEEESE_PS5_SF_11less_div_10IxEEE10hipError_tT0_T1_T2_T3_mRjT4_P12ihipStream_tbNS1_7vsmem_tEEUlT_E_NS1_11comp_targetILNS1_3genE3ELNS1_11target_archE908ELNS1_3gpuE7ELNS1_3repE0EEENS1_30default_config_static_selectorELNS0_4arch9wavefront6targetE0EEEvSK_,"axG",@progbits,_ZN7rocprim17ROCPRIM_400000_NS6detail17trampoline_kernelINS0_14default_configENS1_37merge_sort_block_sort_config_selectorIxNS0_10empty_typeEEEZNS1_21merge_sort_block_sortIS3_N6thrust23THRUST_200600_302600_NS6detail15normal_iteratorINS9_10device_ptrIxEEEESE_PS5_SF_11less_div_10IxEEE10hipError_tT0_T1_T2_T3_mRjT4_P12ihipStream_tbNS1_7vsmem_tEEUlT_E_NS1_11comp_targetILNS1_3genE3ELNS1_11target_archE908ELNS1_3gpuE7ELNS1_3repE0EEENS1_30default_config_static_selectorELNS0_4arch9wavefront6targetE0EEEvSK_,comdat
	.protected	_ZN7rocprim17ROCPRIM_400000_NS6detail17trampoline_kernelINS0_14default_configENS1_37merge_sort_block_sort_config_selectorIxNS0_10empty_typeEEEZNS1_21merge_sort_block_sortIS3_N6thrust23THRUST_200600_302600_NS6detail15normal_iteratorINS9_10device_ptrIxEEEESE_PS5_SF_11less_div_10IxEEE10hipError_tT0_T1_T2_T3_mRjT4_P12ihipStream_tbNS1_7vsmem_tEEUlT_E_NS1_11comp_targetILNS1_3genE3ELNS1_11target_archE908ELNS1_3gpuE7ELNS1_3repE0EEENS1_30default_config_static_selectorELNS0_4arch9wavefront6targetE0EEEvSK_ ; -- Begin function _ZN7rocprim17ROCPRIM_400000_NS6detail17trampoline_kernelINS0_14default_configENS1_37merge_sort_block_sort_config_selectorIxNS0_10empty_typeEEEZNS1_21merge_sort_block_sortIS3_N6thrust23THRUST_200600_302600_NS6detail15normal_iteratorINS9_10device_ptrIxEEEESE_PS5_SF_11less_div_10IxEEE10hipError_tT0_T1_T2_T3_mRjT4_P12ihipStream_tbNS1_7vsmem_tEEUlT_E_NS1_11comp_targetILNS1_3genE3ELNS1_11target_archE908ELNS1_3gpuE7ELNS1_3repE0EEENS1_30default_config_static_selectorELNS0_4arch9wavefront6targetE0EEEvSK_
	.globl	_ZN7rocprim17ROCPRIM_400000_NS6detail17trampoline_kernelINS0_14default_configENS1_37merge_sort_block_sort_config_selectorIxNS0_10empty_typeEEEZNS1_21merge_sort_block_sortIS3_N6thrust23THRUST_200600_302600_NS6detail15normal_iteratorINS9_10device_ptrIxEEEESE_PS5_SF_11less_div_10IxEEE10hipError_tT0_T1_T2_T3_mRjT4_P12ihipStream_tbNS1_7vsmem_tEEUlT_E_NS1_11comp_targetILNS1_3genE3ELNS1_11target_archE908ELNS1_3gpuE7ELNS1_3repE0EEENS1_30default_config_static_selectorELNS0_4arch9wavefront6targetE0EEEvSK_
	.p2align	8
	.type	_ZN7rocprim17ROCPRIM_400000_NS6detail17trampoline_kernelINS0_14default_configENS1_37merge_sort_block_sort_config_selectorIxNS0_10empty_typeEEEZNS1_21merge_sort_block_sortIS3_N6thrust23THRUST_200600_302600_NS6detail15normal_iteratorINS9_10device_ptrIxEEEESE_PS5_SF_11less_div_10IxEEE10hipError_tT0_T1_T2_T3_mRjT4_P12ihipStream_tbNS1_7vsmem_tEEUlT_E_NS1_11comp_targetILNS1_3genE3ELNS1_11target_archE908ELNS1_3gpuE7ELNS1_3repE0EEENS1_30default_config_static_selectorELNS0_4arch9wavefront6targetE0EEEvSK_,@function
_ZN7rocprim17ROCPRIM_400000_NS6detail17trampoline_kernelINS0_14default_configENS1_37merge_sort_block_sort_config_selectorIxNS0_10empty_typeEEEZNS1_21merge_sort_block_sortIS3_N6thrust23THRUST_200600_302600_NS6detail15normal_iteratorINS9_10device_ptrIxEEEESE_PS5_SF_11less_div_10IxEEE10hipError_tT0_T1_T2_T3_mRjT4_P12ihipStream_tbNS1_7vsmem_tEEUlT_E_NS1_11comp_targetILNS1_3genE3ELNS1_11target_archE908ELNS1_3gpuE7ELNS1_3repE0EEENS1_30default_config_static_selectorELNS0_4arch9wavefront6targetE0EEEvSK_: ; @_ZN7rocprim17ROCPRIM_400000_NS6detail17trampoline_kernelINS0_14default_configENS1_37merge_sort_block_sort_config_selectorIxNS0_10empty_typeEEEZNS1_21merge_sort_block_sortIS3_N6thrust23THRUST_200600_302600_NS6detail15normal_iteratorINS9_10device_ptrIxEEEESE_PS5_SF_11less_div_10IxEEE10hipError_tT0_T1_T2_T3_mRjT4_P12ihipStream_tbNS1_7vsmem_tEEUlT_E_NS1_11comp_targetILNS1_3genE3ELNS1_11target_archE908ELNS1_3gpuE7ELNS1_3repE0EEENS1_30default_config_static_selectorELNS0_4arch9wavefront6targetE0EEEvSK_
; %bb.0:
	.section	.rodata,"a",@progbits
	.p2align	6, 0x0
	.amdhsa_kernel _ZN7rocprim17ROCPRIM_400000_NS6detail17trampoline_kernelINS0_14default_configENS1_37merge_sort_block_sort_config_selectorIxNS0_10empty_typeEEEZNS1_21merge_sort_block_sortIS3_N6thrust23THRUST_200600_302600_NS6detail15normal_iteratorINS9_10device_ptrIxEEEESE_PS5_SF_11less_div_10IxEEE10hipError_tT0_T1_T2_T3_mRjT4_P12ihipStream_tbNS1_7vsmem_tEEUlT_E_NS1_11comp_targetILNS1_3genE3ELNS1_11target_archE908ELNS1_3gpuE7ELNS1_3repE0EEENS1_30default_config_static_selectorELNS0_4arch9wavefront6targetE0EEEvSK_
		.amdhsa_group_segment_fixed_size 0
		.amdhsa_private_segment_fixed_size 0
		.amdhsa_kernarg_size 64
		.amdhsa_user_sgpr_count 6
		.amdhsa_user_sgpr_private_segment_buffer 1
		.amdhsa_user_sgpr_dispatch_ptr 0
		.amdhsa_user_sgpr_queue_ptr 0
		.amdhsa_user_sgpr_kernarg_segment_ptr 1
		.amdhsa_user_sgpr_dispatch_id 0
		.amdhsa_user_sgpr_flat_scratch_init 0
		.amdhsa_user_sgpr_private_segment_size 0
		.amdhsa_wavefront_size32 1
		.amdhsa_uses_dynamic_stack 0
		.amdhsa_system_sgpr_private_segment_wavefront_offset 0
		.amdhsa_system_sgpr_workgroup_id_x 1
		.amdhsa_system_sgpr_workgroup_id_y 0
		.amdhsa_system_sgpr_workgroup_id_z 0
		.amdhsa_system_sgpr_workgroup_info 0
		.amdhsa_system_vgpr_workitem_id 0
		.amdhsa_next_free_vgpr 1
		.amdhsa_next_free_sgpr 1
		.amdhsa_reserve_vcc 0
		.amdhsa_reserve_flat_scratch 0
		.amdhsa_float_round_mode_32 0
		.amdhsa_float_round_mode_16_64 0
		.amdhsa_float_denorm_mode_32 3
		.amdhsa_float_denorm_mode_16_64 3
		.amdhsa_dx10_clamp 1
		.amdhsa_ieee_mode 1
		.amdhsa_fp16_overflow 0
		.amdhsa_workgroup_processor_mode 1
		.amdhsa_memory_ordered 1
		.amdhsa_forward_progress 1
		.amdhsa_shared_vgpr_count 0
		.amdhsa_exception_fp_ieee_invalid_op 0
		.amdhsa_exception_fp_denorm_src 0
		.amdhsa_exception_fp_ieee_div_zero 0
		.amdhsa_exception_fp_ieee_overflow 0
		.amdhsa_exception_fp_ieee_underflow 0
		.amdhsa_exception_fp_ieee_inexact 0
		.amdhsa_exception_int_div_zero 0
	.end_amdhsa_kernel
	.section	.text._ZN7rocprim17ROCPRIM_400000_NS6detail17trampoline_kernelINS0_14default_configENS1_37merge_sort_block_sort_config_selectorIxNS0_10empty_typeEEEZNS1_21merge_sort_block_sortIS3_N6thrust23THRUST_200600_302600_NS6detail15normal_iteratorINS9_10device_ptrIxEEEESE_PS5_SF_11less_div_10IxEEE10hipError_tT0_T1_T2_T3_mRjT4_P12ihipStream_tbNS1_7vsmem_tEEUlT_E_NS1_11comp_targetILNS1_3genE3ELNS1_11target_archE908ELNS1_3gpuE7ELNS1_3repE0EEENS1_30default_config_static_selectorELNS0_4arch9wavefront6targetE0EEEvSK_,"axG",@progbits,_ZN7rocprim17ROCPRIM_400000_NS6detail17trampoline_kernelINS0_14default_configENS1_37merge_sort_block_sort_config_selectorIxNS0_10empty_typeEEEZNS1_21merge_sort_block_sortIS3_N6thrust23THRUST_200600_302600_NS6detail15normal_iteratorINS9_10device_ptrIxEEEESE_PS5_SF_11less_div_10IxEEE10hipError_tT0_T1_T2_T3_mRjT4_P12ihipStream_tbNS1_7vsmem_tEEUlT_E_NS1_11comp_targetILNS1_3genE3ELNS1_11target_archE908ELNS1_3gpuE7ELNS1_3repE0EEENS1_30default_config_static_selectorELNS0_4arch9wavefront6targetE0EEEvSK_,comdat
.Lfunc_end330:
	.size	_ZN7rocprim17ROCPRIM_400000_NS6detail17trampoline_kernelINS0_14default_configENS1_37merge_sort_block_sort_config_selectorIxNS0_10empty_typeEEEZNS1_21merge_sort_block_sortIS3_N6thrust23THRUST_200600_302600_NS6detail15normal_iteratorINS9_10device_ptrIxEEEESE_PS5_SF_11less_div_10IxEEE10hipError_tT0_T1_T2_T3_mRjT4_P12ihipStream_tbNS1_7vsmem_tEEUlT_E_NS1_11comp_targetILNS1_3genE3ELNS1_11target_archE908ELNS1_3gpuE7ELNS1_3repE0EEENS1_30default_config_static_selectorELNS0_4arch9wavefront6targetE0EEEvSK_, .Lfunc_end330-_ZN7rocprim17ROCPRIM_400000_NS6detail17trampoline_kernelINS0_14default_configENS1_37merge_sort_block_sort_config_selectorIxNS0_10empty_typeEEEZNS1_21merge_sort_block_sortIS3_N6thrust23THRUST_200600_302600_NS6detail15normal_iteratorINS9_10device_ptrIxEEEESE_PS5_SF_11less_div_10IxEEE10hipError_tT0_T1_T2_T3_mRjT4_P12ihipStream_tbNS1_7vsmem_tEEUlT_E_NS1_11comp_targetILNS1_3genE3ELNS1_11target_archE908ELNS1_3gpuE7ELNS1_3repE0EEENS1_30default_config_static_selectorELNS0_4arch9wavefront6targetE0EEEvSK_
                                        ; -- End function
	.set _ZN7rocprim17ROCPRIM_400000_NS6detail17trampoline_kernelINS0_14default_configENS1_37merge_sort_block_sort_config_selectorIxNS0_10empty_typeEEEZNS1_21merge_sort_block_sortIS3_N6thrust23THRUST_200600_302600_NS6detail15normal_iteratorINS9_10device_ptrIxEEEESE_PS5_SF_11less_div_10IxEEE10hipError_tT0_T1_T2_T3_mRjT4_P12ihipStream_tbNS1_7vsmem_tEEUlT_E_NS1_11comp_targetILNS1_3genE3ELNS1_11target_archE908ELNS1_3gpuE7ELNS1_3repE0EEENS1_30default_config_static_selectorELNS0_4arch9wavefront6targetE0EEEvSK_.num_vgpr, 0
	.set _ZN7rocprim17ROCPRIM_400000_NS6detail17trampoline_kernelINS0_14default_configENS1_37merge_sort_block_sort_config_selectorIxNS0_10empty_typeEEEZNS1_21merge_sort_block_sortIS3_N6thrust23THRUST_200600_302600_NS6detail15normal_iteratorINS9_10device_ptrIxEEEESE_PS5_SF_11less_div_10IxEEE10hipError_tT0_T1_T2_T3_mRjT4_P12ihipStream_tbNS1_7vsmem_tEEUlT_E_NS1_11comp_targetILNS1_3genE3ELNS1_11target_archE908ELNS1_3gpuE7ELNS1_3repE0EEENS1_30default_config_static_selectorELNS0_4arch9wavefront6targetE0EEEvSK_.num_agpr, 0
	.set _ZN7rocprim17ROCPRIM_400000_NS6detail17trampoline_kernelINS0_14default_configENS1_37merge_sort_block_sort_config_selectorIxNS0_10empty_typeEEEZNS1_21merge_sort_block_sortIS3_N6thrust23THRUST_200600_302600_NS6detail15normal_iteratorINS9_10device_ptrIxEEEESE_PS5_SF_11less_div_10IxEEE10hipError_tT0_T1_T2_T3_mRjT4_P12ihipStream_tbNS1_7vsmem_tEEUlT_E_NS1_11comp_targetILNS1_3genE3ELNS1_11target_archE908ELNS1_3gpuE7ELNS1_3repE0EEENS1_30default_config_static_selectorELNS0_4arch9wavefront6targetE0EEEvSK_.numbered_sgpr, 0
	.set _ZN7rocprim17ROCPRIM_400000_NS6detail17trampoline_kernelINS0_14default_configENS1_37merge_sort_block_sort_config_selectorIxNS0_10empty_typeEEEZNS1_21merge_sort_block_sortIS3_N6thrust23THRUST_200600_302600_NS6detail15normal_iteratorINS9_10device_ptrIxEEEESE_PS5_SF_11less_div_10IxEEE10hipError_tT0_T1_T2_T3_mRjT4_P12ihipStream_tbNS1_7vsmem_tEEUlT_E_NS1_11comp_targetILNS1_3genE3ELNS1_11target_archE908ELNS1_3gpuE7ELNS1_3repE0EEENS1_30default_config_static_selectorELNS0_4arch9wavefront6targetE0EEEvSK_.num_named_barrier, 0
	.set _ZN7rocprim17ROCPRIM_400000_NS6detail17trampoline_kernelINS0_14default_configENS1_37merge_sort_block_sort_config_selectorIxNS0_10empty_typeEEEZNS1_21merge_sort_block_sortIS3_N6thrust23THRUST_200600_302600_NS6detail15normal_iteratorINS9_10device_ptrIxEEEESE_PS5_SF_11less_div_10IxEEE10hipError_tT0_T1_T2_T3_mRjT4_P12ihipStream_tbNS1_7vsmem_tEEUlT_E_NS1_11comp_targetILNS1_3genE3ELNS1_11target_archE908ELNS1_3gpuE7ELNS1_3repE0EEENS1_30default_config_static_selectorELNS0_4arch9wavefront6targetE0EEEvSK_.private_seg_size, 0
	.set _ZN7rocprim17ROCPRIM_400000_NS6detail17trampoline_kernelINS0_14default_configENS1_37merge_sort_block_sort_config_selectorIxNS0_10empty_typeEEEZNS1_21merge_sort_block_sortIS3_N6thrust23THRUST_200600_302600_NS6detail15normal_iteratorINS9_10device_ptrIxEEEESE_PS5_SF_11less_div_10IxEEE10hipError_tT0_T1_T2_T3_mRjT4_P12ihipStream_tbNS1_7vsmem_tEEUlT_E_NS1_11comp_targetILNS1_3genE3ELNS1_11target_archE908ELNS1_3gpuE7ELNS1_3repE0EEENS1_30default_config_static_selectorELNS0_4arch9wavefront6targetE0EEEvSK_.uses_vcc, 0
	.set _ZN7rocprim17ROCPRIM_400000_NS6detail17trampoline_kernelINS0_14default_configENS1_37merge_sort_block_sort_config_selectorIxNS0_10empty_typeEEEZNS1_21merge_sort_block_sortIS3_N6thrust23THRUST_200600_302600_NS6detail15normal_iteratorINS9_10device_ptrIxEEEESE_PS5_SF_11less_div_10IxEEE10hipError_tT0_T1_T2_T3_mRjT4_P12ihipStream_tbNS1_7vsmem_tEEUlT_E_NS1_11comp_targetILNS1_3genE3ELNS1_11target_archE908ELNS1_3gpuE7ELNS1_3repE0EEENS1_30default_config_static_selectorELNS0_4arch9wavefront6targetE0EEEvSK_.uses_flat_scratch, 0
	.set _ZN7rocprim17ROCPRIM_400000_NS6detail17trampoline_kernelINS0_14default_configENS1_37merge_sort_block_sort_config_selectorIxNS0_10empty_typeEEEZNS1_21merge_sort_block_sortIS3_N6thrust23THRUST_200600_302600_NS6detail15normal_iteratorINS9_10device_ptrIxEEEESE_PS5_SF_11less_div_10IxEEE10hipError_tT0_T1_T2_T3_mRjT4_P12ihipStream_tbNS1_7vsmem_tEEUlT_E_NS1_11comp_targetILNS1_3genE3ELNS1_11target_archE908ELNS1_3gpuE7ELNS1_3repE0EEENS1_30default_config_static_selectorELNS0_4arch9wavefront6targetE0EEEvSK_.has_dyn_sized_stack, 0
	.set _ZN7rocprim17ROCPRIM_400000_NS6detail17trampoline_kernelINS0_14default_configENS1_37merge_sort_block_sort_config_selectorIxNS0_10empty_typeEEEZNS1_21merge_sort_block_sortIS3_N6thrust23THRUST_200600_302600_NS6detail15normal_iteratorINS9_10device_ptrIxEEEESE_PS5_SF_11less_div_10IxEEE10hipError_tT0_T1_T2_T3_mRjT4_P12ihipStream_tbNS1_7vsmem_tEEUlT_E_NS1_11comp_targetILNS1_3genE3ELNS1_11target_archE908ELNS1_3gpuE7ELNS1_3repE0EEENS1_30default_config_static_selectorELNS0_4arch9wavefront6targetE0EEEvSK_.has_recursion, 0
	.set _ZN7rocprim17ROCPRIM_400000_NS6detail17trampoline_kernelINS0_14default_configENS1_37merge_sort_block_sort_config_selectorIxNS0_10empty_typeEEEZNS1_21merge_sort_block_sortIS3_N6thrust23THRUST_200600_302600_NS6detail15normal_iteratorINS9_10device_ptrIxEEEESE_PS5_SF_11less_div_10IxEEE10hipError_tT0_T1_T2_T3_mRjT4_P12ihipStream_tbNS1_7vsmem_tEEUlT_E_NS1_11comp_targetILNS1_3genE3ELNS1_11target_archE908ELNS1_3gpuE7ELNS1_3repE0EEENS1_30default_config_static_selectorELNS0_4arch9wavefront6targetE0EEEvSK_.has_indirect_call, 0
	.section	.AMDGPU.csdata,"",@progbits
; Kernel info:
; codeLenInByte = 0
; TotalNumSgprs: 0
; NumVgprs: 0
; ScratchSize: 0
; MemoryBound: 0
; FloatMode: 240
; IeeeMode: 1
; LDSByteSize: 0 bytes/workgroup (compile time only)
; SGPRBlocks: 0
; VGPRBlocks: 0
; NumSGPRsForWavesPerEU: 1
; NumVGPRsForWavesPerEU: 1
; Occupancy: 16
; WaveLimiterHint : 0
; COMPUTE_PGM_RSRC2:SCRATCH_EN: 0
; COMPUTE_PGM_RSRC2:USER_SGPR: 6
; COMPUTE_PGM_RSRC2:TRAP_HANDLER: 0
; COMPUTE_PGM_RSRC2:TGID_X_EN: 1
; COMPUTE_PGM_RSRC2:TGID_Y_EN: 0
; COMPUTE_PGM_RSRC2:TGID_Z_EN: 0
; COMPUTE_PGM_RSRC2:TIDIG_COMP_CNT: 0
	.section	.text._ZN7rocprim17ROCPRIM_400000_NS6detail17trampoline_kernelINS0_14default_configENS1_37merge_sort_block_sort_config_selectorIxNS0_10empty_typeEEEZNS1_21merge_sort_block_sortIS3_N6thrust23THRUST_200600_302600_NS6detail15normal_iteratorINS9_10device_ptrIxEEEESE_PS5_SF_11less_div_10IxEEE10hipError_tT0_T1_T2_T3_mRjT4_P12ihipStream_tbNS1_7vsmem_tEEUlT_E_NS1_11comp_targetILNS1_3genE2ELNS1_11target_archE906ELNS1_3gpuE6ELNS1_3repE0EEENS1_30default_config_static_selectorELNS0_4arch9wavefront6targetE0EEEvSK_,"axG",@progbits,_ZN7rocprim17ROCPRIM_400000_NS6detail17trampoline_kernelINS0_14default_configENS1_37merge_sort_block_sort_config_selectorIxNS0_10empty_typeEEEZNS1_21merge_sort_block_sortIS3_N6thrust23THRUST_200600_302600_NS6detail15normal_iteratorINS9_10device_ptrIxEEEESE_PS5_SF_11less_div_10IxEEE10hipError_tT0_T1_T2_T3_mRjT4_P12ihipStream_tbNS1_7vsmem_tEEUlT_E_NS1_11comp_targetILNS1_3genE2ELNS1_11target_archE906ELNS1_3gpuE6ELNS1_3repE0EEENS1_30default_config_static_selectorELNS0_4arch9wavefront6targetE0EEEvSK_,comdat
	.protected	_ZN7rocprim17ROCPRIM_400000_NS6detail17trampoline_kernelINS0_14default_configENS1_37merge_sort_block_sort_config_selectorIxNS0_10empty_typeEEEZNS1_21merge_sort_block_sortIS3_N6thrust23THRUST_200600_302600_NS6detail15normal_iteratorINS9_10device_ptrIxEEEESE_PS5_SF_11less_div_10IxEEE10hipError_tT0_T1_T2_T3_mRjT4_P12ihipStream_tbNS1_7vsmem_tEEUlT_E_NS1_11comp_targetILNS1_3genE2ELNS1_11target_archE906ELNS1_3gpuE6ELNS1_3repE0EEENS1_30default_config_static_selectorELNS0_4arch9wavefront6targetE0EEEvSK_ ; -- Begin function _ZN7rocprim17ROCPRIM_400000_NS6detail17trampoline_kernelINS0_14default_configENS1_37merge_sort_block_sort_config_selectorIxNS0_10empty_typeEEEZNS1_21merge_sort_block_sortIS3_N6thrust23THRUST_200600_302600_NS6detail15normal_iteratorINS9_10device_ptrIxEEEESE_PS5_SF_11less_div_10IxEEE10hipError_tT0_T1_T2_T3_mRjT4_P12ihipStream_tbNS1_7vsmem_tEEUlT_E_NS1_11comp_targetILNS1_3genE2ELNS1_11target_archE906ELNS1_3gpuE6ELNS1_3repE0EEENS1_30default_config_static_selectorELNS0_4arch9wavefront6targetE0EEEvSK_
	.globl	_ZN7rocprim17ROCPRIM_400000_NS6detail17trampoline_kernelINS0_14default_configENS1_37merge_sort_block_sort_config_selectorIxNS0_10empty_typeEEEZNS1_21merge_sort_block_sortIS3_N6thrust23THRUST_200600_302600_NS6detail15normal_iteratorINS9_10device_ptrIxEEEESE_PS5_SF_11less_div_10IxEEE10hipError_tT0_T1_T2_T3_mRjT4_P12ihipStream_tbNS1_7vsmem_tEEUlT_E_NS1_11comp_targetILNS1_3genE2ELNS1_11target_archE906ELNS1_3gpuE6ELNS1_3repE0EEENS1_30default_config_static_selectorELNS0_4arch9wavefront6targetE0EEEvSK_
	.p2align	8
	.type	_ZN7rocprim17ROCPRIM_400000_NS6detail17trampoline_kernelINS0_14default_configENS1_37merge_sort_block_sort_config_selectorIxNS0_10empty_typeEEEZNS1_21merge_sort_block_sortIS3_N6thrust23THRUST_200600_302600_NS6detail15normal_iteratorINS9_10device_ptrIxEEEESE_PS5_SF_11less_div_10IxEEE10hipError_tT0_T1_T2_T3_mRjT4_P12ihipStream_tbNS1_7vsmem_tEEUlT_E_NS1_11comp_targetILNS1_3genE2ELNS1_11target_archE906ELNS1_3gpuE6ELNS1_3repE0EEENS1_30default_config_static_selectorELNS0_4arch9wavefront6targetE0EEEvSK_,@function
_ZN7rocprim17ROCPRIM_400000_NS6detail17trampoline_kernelINS0_14default_configENS1_37merge_sort_block_sort_config_selectorIxNS0_10empty_typeEEEZNS1_21merge_sort_block_sortIS3_N6thrust23THRUST_200600_302600_NS6detail15normal_iteratorINS9_10device_ptrIxEEEESE_PS5_SF_11less_div_10IxEEE10hipError_tT0_T1_T2_T3_mRjT4_P12ihipStream_tbNS1_7vsmem_tEEUlT_E_NS1_11comp_targetILNS1_3genE2ELNS1_11target_archE906ELNS1_3gpuE6ELNS1_3repE0EEENS1_30default_config_static_selectorELNS0_4arch9wavefront6targetE0EEEvSK_: ; @_ZN7rocprim17ROCPRIM_400000_NS6detail17trampoline_kernelINS0_14default_configENS1_37merge_sort_block_sort_config_selectorIxNS0_10empty_typeEEEZNS1_21merge_sort_block_sortIS3_N6thrust23THRUST_200600_302600_NS6detail15normal_iteratorINS9_10device_ptrIxEEEESE_PS5_SF_11less_div_10IxEEE10hipError_tT0_T1_T2_T3_mRjT4_P12ihipStream_tbNS1_7vsmem_tEEUlT_E_NS1_11comp_targetILNS1_3genE2ELNS1_11target_archE906ELNS1_3gpuE6ELNS1_3repE0EEENS1_30default_config_static_selectorELNS0_4arch9wavefront6targetE0EEEvSK_
; %bb.0:
	.section	.rodata,"a",@progbits
	.p2align	6, 0x0
	.amdhsa_kernel _ZN7rocprim17ROCPRIM_400000_NS6detail17trampoline_kernelINS0_14default_configENS1_37merge_sort_block_sort_config_selectorIxNS0_10empty_typeEEEZNS1_21merge_sort_block_sortIS3_N6thrust23THRUST_200600_302600_NS6detail15normal_iteratorINS9_10device_ptrIxEEEESE_PS5_SF_11less_div_10IxEEE10hipError_tT0_T1_T2_T3_mRjT4_P12ihipStream_tbNS1_7vsmem_tEEUlT_E_NS1_11comp_targetILNS1_3genE2ELNS1_11target_archE906ELNS1_3gpuE6ELNS1_3repE0EEENS1_30default_config_static_selectorELNS0_4arch9wavefront6targetE0EEEvSK_
		.amdhsa_group_segment_fixed_size 0
		.amdhsa_private_segment_fixed_size 0
		.amdhsa_kernarg_size 64
		.amdhsa_user_sgpr_count 6
		.amdhsa_user_sgpr_private_segment_buffer 1
		.amdhsa_user_sgpr_dispatch_ptr 0
		.amdhsa_user_sgpr_queue_ptr 0
		.amdhsa_user_sgpr_kernarg_segment_ptr 1
		.amdhsa_user_sgpr_dispatch_id 0
		.amdhsa_user_sgpr_flat_scratch_init 0
		.amdhsa_user_sgpr_private_segment_size 0
		.amdhsa_wavefront_size32 1
		.amdhsa_uses_dynamic_stack 0
		.amdhsa_system_sgpr_private_segment_wavefront_offset 0
		.amdhsa_system_sgpr_workgroup_id_x 1
		.amdhsa_system_sgpr_workgroup_id_y 0
		.amdhsa_system_sgpr_workgroup_id_z 0
		.amdhsa_system_sgpr_workgroup_info 0
		.amdhsa_system_vgpr_workitem_id 0
		.amdhsa_next_free_vgpr 1
		.amdhsa_next_free_sgpr 1
		.amdhsa_reserve_vcc 0
		.amdhsa_reserve_flat_scratch 0
		.amdhsa_float_round_mode_32 0
		.amdhsa_float_round_mode_16_64 0
		.amdhsa_float_denorm_mode_32 3
		.amdhsa_float_denorm_mode_16_64 3
		.amdhsa_dx10_clamp 1
		.amdhsa_ieee_mode 1
		.amdhsa_fp16_overflow 0
		.amdhsa_workgroup_processor_mode 1
		.amdhsa_memory_ordered 1
		.amdhsa_forward_progress 1
		.amdhsa_shared_vgpr_count 0
		.amdhsa_exception_fp_ieee_invalid_op 0
		.amdhsa_exception_fp_denorm_src 0
		.amdhsa_exception_fp_ieee_div_zero 0
		.amdhsa_exception_fp_ieee_overflow 0
		.amdhsa_exception_fp_ieee_underflow 0
		.amdhsa_exception_fp_ieee_inexact 0
		.amdhsa_exception_int_div_zero 0
	.end_amdhsa_kernel
	.section	.text._ZN7rocprim17ROCPRIM_400000_NS6detail17trampoline_kernelINS0_14default_configENS1_37merge_sort_block_sort_config_selectorIxNS0_10empty_typeEEEZNS1_21merge_sort_block_sortIS3_N6thrust23THRUST_200600_302600_NS6detail15normal_iteratorINS9_10device_ptrIxEEEESE_PS5_SF_11less_div_10IxEEE10hipError_tT0_T1_T2_T3_mRjT4_P12ihipStream_tbNS1_7vsmem_tEEUlT_E_NS1_11comp_targetILNS1_3genE2ELNS1_11target_archE906ELNS1_3gpuE6ELNS1_3repE0EEENS1_30default_config_static_selectorELNS0_4arch9wavefront6targetE0EEEvSK_,"axG",@progbits,_ZN7rocprim17ROCPRIM_400000_NS6detail17trampoline_kernelINS0_14default_configENS1_37merge_sort_block_sort_config_selectorIxNS0_10empty_typeEEEZNS1_21merge_sort_block_sortIS3_N6thrust23THRUST_200600_302600_NS6detail15normal_iteratorINS9_10device_ptrIxEEEESE_PS5_SF_11less_div_10IxEEE10hipError_tT0_T1_T2_T3_mRjT4_P12ihipStream_tbNS1_7vsmem_tEEUlT_E_NS1_11comp_targetILNS1_3genE2ELNS1_11target_archE906ELNS1_3gpuE6ELNS1_3repE0EEENS1_30default_config_static_selectorELNS0_4arch9wavefront6targetE0EEEvSK_,comdat
.Lfunc_end331:
	.size	_ZN7rocprim17ROCPRIM_400000_NS6detail17trampoline_kernelINS0_14default_configENS1_37merge_sort_block_sort_config_selectorIxNS0_10empty_typeEEEZNS1_21merge_sort_block_sortIS3_N6thrust23THRUST_200600_302600_NS6detail15normal_iteratorINS9_10device_ptrIxEEEESE_PS5_SF_11less_div_10IxEEE10hipError_tT0_T1_T2_T3_mRjT4_P12ihipStream_tbNS1_7vsmem_tEEUlT_E_NS1_11comp_targetILNS1_3genE2ELNS1_11target_archE906ELNS1_3gpuE6ELNS1_3repE0EEENS1_30default_config_static_selectorELNS0_4arch9wavefront6targetE0EEEvSK_, .Lfunc_end331-_ZN7rocprim17ROCPRIM_400000_NS6detail17trampoline_kernelINS0_14default_configENS1_37merge_sort_block_sort_config_selectorIxNS0_10empty_typeEEEZNS1_21merge_sort_block_sortIS3_N6thrust23THRUST_200600_302600_NS6detail15normal_iteratorINS9_10device_ptrIxEEEESE_PS5_SF_11less_div_10IxEEE10hipError_tT0_T1_T2_T3_mRjT4_P12ihipStream_tbNS1_7vsmem_tEEUlT_E_NS1_11comp_targetILNS1_3genE2ELNS1_11target_archE906ELNS1_3gpuE6ELNS1_3repE0EEENS1_30default_config_static_selectorELNS0_4arch9wavefront6targetE0EEEvSK_
                                        ; -- End function
	.set _ZN7rocprim17ROCPRIM_400000_NS6detail17trampoline_kernelINS0_14default_configENS1_37merge_sort_block_sort_config_selectorIxNS0_10empty_typeEEEZNS1_21merge_sort_block_sortIS3_N6thrust23THRUST_200600_302600_NS6detail15normal_iteratorINS9_10device_ptrIxEEEESE_PS5_SF_11less_div_10IxEEE10hipError_tT0_T1_T2_T3_mRjT4_P12ihipStream_tbNS1_7vsmem_tEEUlT_E_NS1_11comp_targetILNS1_3genE2ELNS1_11target_archE906ELNS1_3gpuE6ELNS1_3repE0EEENS1_30default_config_static_selectorELNS0_4arch9wavefront6targetE0EEEvSK_.num_vgpr, 0
	.set _ZN7rocprim17ROCPRIM_400000_NS6detail17trampoline_kernelINS0_14default_configENS1_37merge_sort_block_sort_config_selectorIxNS0_10empty_typeEEEZNS1_21merge_sort_block_sortIS3_N6thrust23THRUST_200600_302600_NS6detail15normal_iteratorINS9_10device_ptrIxEEEESE_PS5_SF_11less_div_10IxEEE10hipError_tT0_T1_T2_T3_mRjT4_P12ihipStream_tbNS1_7vsmem_tEEUlT_E_NS1_11comp_targetILNS1_3genE2ELNS1_11target_archE906ELNS1_3gpuE6ELNS1_3repE0EEENS1_30default_config_static_selectorELNS0_4arch9wavefront6targetE0EEEvSK_.num_agpr, 0
	.set _ZN7rocprim17ROCPRIM_400000_NS6detail17trampoline_kernelINS0_14default_configENS1_37merge_sort_block_sort_config_selectorIxNS0_10empty_typeEEEZNS1_21merge_sort_block_sortIS3_N6thrust23THRUST_200600_302600_NS6detail15normal_iteratorINS9_10device_ptrIxEEEESE_PS5_SF_11less_div_10IxEEE10hipError_tT0_T1_T2_T3_mRjT4_P12ihipStream_tbNS1_7vsmem_tEEUlT_E_NS1_11comp_targetILNS1_3genE2ELNS1_11target_archE906ELNS1_3gpuE6ELNS1_3repE0EEENS1_30default_config_static_selectorELNS0_4arch9wavefront6targetE0EEEvSK_.numbered_sgpr, 0
	.set _ZN7rocprim17ROCPRIM_400000_NS6detail17trampoline_kernelINS0_14default_configENS1_37merge_sort_block_sort_config_selectorIxNS0_10empty_typeEEEZNS1_21merge_sort_block_sortIS3_N6thrust23THRUST_200600_302600_NS6detail15normal_iteratorINS9_10device_ptrIxEEEESE_PS5_SF_11less_div_10IxEEE10hipError_tT0_T1_T2_T3_mRjT4_P12ihipStream_tbNS1_7vsmem_tEEUlT_E_NS1_11comp_targetILNS1_3genE2ELNS1_11target_archE906ELNS1_3gpuE6ELNS1_3repE0EEENS1_30default_config_static_selectorELNS0_4arch9wavefront6targetE0EEEvSK_.num_named_barrier, 0
	.set _ZN7rocprim17ROCPRIM_400000_NS6detail17trampoline_kernelINS0_14default_configENS1_37merge_sort_block_sort_config_selectorIxNS0_10empty_typeEEEZNS1_21merge_sort_block_sortIS3_N6thrust23THRUST_200600_302600_NS6detail15normal_iteratorINS9_10device_ptrIxEEEESE_PS5_SF_11less_div_10IxEEE10hipError_tT0_T1_T2_T3_mRjT4_P12ihipStream_tbNS1_7vsmem_tEEUlT_E_NS1_11comp_targetILNS1_3genE2ELNS1_11target_archE906ELNS1_3gpuE6ELNS1_3repE0EEENS1_30default_config_static_selectorELNS0_4arch9wavefront6targetE0EEEvSK_.private_seg_size, 0
	.set _ZN7rocprim17ROCPRIM_400000_NS6detail17trampoline_kernelINS0_14default_configENS1_37merge_sort_block_sort_config_selectorIxNS0_10empty_typeEEEZNS1_21merge_sort_block_sortIS3_N6thrust23THRUST_200600_302600_NS6detail15normal_iteratorINS9_10device_ptrIxEEEESE_PS5_SF_11less_div_10IxEEE10hipError_tT0_T1_T2_T3_mRjT4_P12ihipStream_tbNS1_7vsmem_tEEUlT_E_NS1_11comp_targetILNS1_3genE2ELNS1_11target_archE906ELNS1_3gpuE6ELNS1_3repE0EEENS1_30default_config_static_selectorELNS0_4arch9wavefront6targetE0EEEvSK_.uses_vcc, 0
	.set _ZN7rocprim17ROCPRIM_400000_NS6detail17trampoline_kernelINS0_14default_configENS1_37merge_sort_block_sort_config_selectorIxNS0_10empty_typeEEEZNS1_21merge_sort_block_sortIS3_N6thrust23THRUST_200600_302600_NS6detail15normal_iteratorINS9_10device_ptrIxEEEESE_PS5_SF_11less_div_10IxEEE10hipError_tT0_T1_T2_T3_mRjT4_P12ihipStream_tbNS1_7vsmem_tEEUlT_E_NS1_11comp_targetILNS1_3genE2ELNS1_11target_archE906ELNS1_3gpuE6ELNS1_3repE0EEENS1_30default_config_static_selectorELNS0_4arch9wavefront6targetE0EEEvSK_.uses_flat_scratch, 0
	.set _ZN7rocprim17ROCPRIM_400000_NS6detail17trampoline_kernelINS0_14default_configENS1_37merge_sort_block_sort_config_selectorIxNS0_10empty_typeEEEZNS1_21merge_sort_block_sortIS3_N6thrust23THRUST_200600_302600_NS6detail15normal_iteratorINS9_10device_ptrIxEEEESE_PS5_SF_11less_div_10IxEEE10hipError_tT0_T1_T2_T3_mRjT4_P12ihipStream_tbNS1_7vsmem_tEEUlT_E_NS1_11comp_targetILNS1_3genE2ELNS1_11target_archE906ELNS1_3gpuE6ELNS1_3repE0EEENS1_30default_config_static_selectorELNS0_4arch9wavefront6targetE0EEEvSK_.has_dyn_sized_stack, 0
	.set _ZN7rocprim17ROCPRIM_400000_NS6detail17trampoline_kernelINS0_14default_configENS1_37merge_sort_block_sort_config_selectorIxNS0_10empty_typeEEEZNS1_21merge_sort_block_sortIS3_N6thrust23THRUST_200600_302600_NS6detail15normal_iteratorINS9_10device_ptrIxEEEESE_PS5_SF_11less_div_10IxEEE10hipError_tT0_T1_T2_T3_mRjT4_P12ihipStream_tbNS1_7vsmem_tEEUlT_E_NS1_11comp_targetILNS1_3genE2ELNS1_11target_archE906ELNS1_3gpuE6ELNS1_3repE0EEENS1_30default_config_static_selectorELNS0_4arch9wavefront6targetE0EEEvSK_.has_recursion, 0
	.set _ZN7rocprim17ROCPRIM_400000_NS6detail17trampoline_kernelINS0_14default_configENS1_37merge_sort_block_sort_config_selectorIxNS0_10empty_typeEEEZNS1_21merge_sort_block_sortIS3_N6thrust23THRUST_200600_302600_NS6detail15normal_iteratorINS9_10device_ptrIxEEEESE_PS5_SF_11less_div_10IxEEE10hipError_tT0_T1_T2_T3_mRjT4_P12ihipStream_tbNS1_7vsmem_tEEUlT_E_NS1_11comp_targetILNS1_3genE2ELNS1_11target_archE906ELNS1_3gpuE6ELNS1_3repE0EEENS1_30default_config_static_selectorELNS0_4arch9wavefront6targetE0EEEvSK_.has_indirect_call, 0
	.section	.AMDGPU.csdata,"",@progbits
; Kernel info:
; codeLenInByte = 0
; TotalNumSgprs: 0
; NumVgprs: 0
; ScratchSize: 0
; MemoryBound: 0
; FloatMode: 240
; IeeeMode: 1
; LDSByteSize: 0 bytes/workgroup (compile time only)
; SGPRBlocks: 0
; VGPRBlocks: 0
; NumSGPRsForWavesPerEU: 1
; NumVGPRsForWavesPerEU: 1
; Occupancy: 16
; WaveLimiterHint : 0
; COMPUTE_PGM_RSRC2:SCRATCH_EN: 0
; COMPUTE_PGM_RSRC2:USER_SGPR: 6
; COMPUTE_PGM_RSRC2:TRAP_HANDLER: 0
; COMPUTE_PGM_RSRC2:TGID_X_EN: 1
; COMPUTE_PGM_RSRC2:TGID_Y_EN: 0
; COMPUTE_PGM_RSRC2:TGID_Z_EN: 0
; COMPUTE_PGM_RSRC2:TIDIG_COMP_CNT: 0
	.section	.text._ZN7rocprim17ROCPRIM_400000_NS6detail17trampoline_kernelINS0_14default_configENS1_37merge_sort_block_sort_config_selectorIxNS0_10empty_typeEEEZNS1_21merge_sort_block_sortIS3_N6thrust23THRUST_200600_302600_NS6detail15normal_iteratorINS9_10device_ptrIxEEEESE_PS5_SF_11less_div_10IxEEE10hipError_tT0_T1_T2_T3_mRjT4_P12ihipStream_tbNS1_7vsmem_tEEUlT_E_NS1_11comp_targetILNS1_3genE10ELNS1_11target_archE1201ELNS1_3gpuE5ELNS1_3repE0EEENS1_30default_config_static_selectorELNS0_4arch9wavefront6targetE0EEEvSK_,"axG",@progbits,_ZN7rocprim17ROCPRIM_400000_NS6detail17trampoline_kernelINS0_14default_configENS1_37merge_sort_block_sort_config_selectorIxNS0_10empty_typeEEEZNS1_21merge_sort_block_sortIS3_N6thrust23THRUST_200600_302600_NS6detail15normal_iteratorINS9_10device_ptrIxEEEESE_PS5_SF_11less_div_10IxEEE10hipError_tT0_T1_T2_T3_mRjT4_P12ihipStream_tbNS1_7vsmem_tEEUlT_E_NS1_11comp_targetILNS1_3genE10ELNS1_11target_archE1201ELNS1_3gpuE5ELNS1_3repE0EEENS1_30default_config_static_selectorELNS0_4arch9wavefront6targetE0EEEvSK_,comdat
	.protected	_ZN7rocprim17ROCPRIM_400000_NS6detail17trampoline_kernelINS0_14default_configENS1_37merge_sort_block_sort_config_selectorIxNS0_10empty_typeEEEZNS1_21merge_sort_block_sortIS3_N6thrust23THRUST_200600_302600_NS6detail15normal_iteratorINS9_10device_ptrIxEEEESE_PS5_SF_11less_div_10IxEEE10hipError_tT0_T1_T2_T3_mRjT4_P12ihipStream_tbNS1_7vsmem_tEEUlT_E_NS1_11comp_targetILNS1_3genE10ELNS1_11target_archE1201ELNS1_3gpuE5ELNS1_3repE0EEENS1_30default_config_static_selectorELNS0_4arch9wavefront6targetE0EEEvSK_ ; -- Begin function _ZN7rocprim17ROCPRIM_400000_NS6detail17trampoline_kernelINS0_14default_configENS1_37merge_sort_block_sort_config_selectorIxNS0_10empty_typeEEEZNS1_21merge_sort_block_sortIS3_N6thrust23THRUST_200600_302600_NS6detail15normal_iteratorINS9_10device_ptrIxEEEESE_PS5_SF_11less_div_10IxEEE10hipError_tT0_T1_T2_T3_mRjT4_P12ihipStream_tbNS1_7vsmem_tEEUlT_E_NS1_11comp_targetILNS1_3genE10ELNS1_11target_archE1201ELNS1_3gpuE5ELNS1_3repE0EEENS1_30default_config_static_selectorELNS0_4arch9wavefront6targetE0EEEvSK_
	.globl	_ZN7rocprim17ROCPRIM_400000_NS6detail17trampoline_kernelINS0_14default_configENS1_37merge_sort_block_sort_config_selectorIxNS0_10empty_typeEEEZNS1_21merge_sort_block_sortIS3_N6thrust23THRUST_200600_302600_NS6detail15normal_iteratorINS9_10device_ptrIxEEEESE_PS5_SF_11less_div_10IxEEE10hipError_tT0_T1_T2_T3_mRjT4_P12ihipStream_tbNS1_7vsmem_tEEUlT_E_NS1_11comp_targetILNS1_3genE10ELNS1_11target_archE1201ELNS1_3gpuE5ELNS1_3repE0EEENS1_30default_config_static_selectorELNS0_4arch9wavefront6targetE0EEEvSK_
	.p2align	8
	.type	_ZN7rocprim17ROCPRIM_400000_NS6detail17trampoline_kernelINS0_14default_configENS1_37merge_sort_block_sort_config_selectorIxNS0_10empty_typeEEEZNS1_21merge_sort_block_sortIS3_N6thrust23THRUST_200600_302600_NS6detail15normal_iteratorINS9_10device_ptrIxEEEESE_PS5_SF_11less_div_10IxEEE10hipError_tT0_T1_T2_T3_mRjT4_P12ihipStream_tbNS1_7vsmem_tEEUlT_E_NS1_11comp_targetILNS1_3genE10ELNS1_11target_archE1201ELNS1_3gpuE5ELNS1_3repE0EEENS1_30default_config_static_selectorELNS0_4arch9wavefront6targetE0EEEvSK_,@function
_ZN7rocprim17ROCPRIM_400000_NS6detail17trampoline_kernelINS0_14default_configENS1_37merge_sort_block_sort_config_selectorIxNS0_10empty_typeEEEZNS1_21merge_sort_block_sortIS3_N6thrust23THRUST_200600_302600_NS6detail15normal_iteratorINS9_10device_ptrIxEEEESE_PS5_SF_11less_div_10IxEEE10hipError_tT0_T1_T2_T3_mRjT4_P12ihipStream_tbNS1_7vsmem_tEEUlT_E_NS1_11comp_targetILNS1_3genE10ELNS1_11target_archE1201ELNS1_3gpuE5ELNS1_3repE0EEENS1_30default_config_static_selectorELNS0_4arch9wavefront6targetE0EEEvSK_: ; @_ZN7rocprim17ROCPRIM_400000_NS6detail17trampoline_kernelINS0_14default_configENS1_37merge_sort_block_sort_config_selectorIxNS0_10empty_typeEEEZNS1_21merge_sort_block_sortIS3_N6thrust23THRUST_200600_302600_NS6detail15normal_iteratorINS9_10device_ptrIxEEEESE_PS5_SF_11less_div_10IxEEE10hipError_tT0_T1_T2_T3_mRjT4_P12ihipStream_tbNS1_7vsmem_tEEUlT_E_NS1_11comp_targetILNS1_3genE10ELNS1_11target_archE1201ELNS1_3gpuE5ELNS1_3repE0EEENS1_30default_config_static_selectorELNS0_4arch9wavefront6targetE0EEEvSK_
; %bb.0:
	.section	.rodata,"a",@progbits
	.p2align	6, 0x0
	.amdhsa_kernel _ZN7rocprim17ROCPRIM_400000_NS6detail17trampoline_kernelINS0_14default_configENS1_37merge_sort_block_sort_config_selectorIxNS0_10empty_typeEEEZNS1_21merge_sort_block_sortIS3_N6thrust23THRUST_200600_302600_NS6detail15normal_iteratorINS9_10device_ptrIxEEEESE_PS5_SF_11less_div_10IxEEE10hipError_tT0_T1_T2_T3_mRjT4_P12ihipStream_tbNS1_7vsmem_tEEUlT_E_NS1_11comp_targetILNS1_3genE10ELNS1_11target_archE1201ELNS1_3gpuE5ELNS1_3repE0EEENS1_30default_config_static_selectorELNS0_4arch9wavefront6targetE0EEEvSK_
		.amdhsa_group_segment_fixed_size 0
		.amdhsa_private_segment_fixed_size 0
		.amdhsa_kernarg_size 64
		.amdhsa_user_sgpr_count 6
		.amdhsa_user_sgpr_private_segment_buffer 1
		.amdhsa_user_sgpr_dispatch_ptr 0
		.amdhsa_user_sgpr_queue_ptr 0
		.amdhsa_user_sgpr_kernarg_segment_ptr 1
		.amdhsa_user_sgpr_dispatch_id 0
		.amdhsa_user_sgpr_flat_scratch_init 0
		.amdhsa_user_sgpr_private_segment_size 0
		.amdhsa_wavefront_size32 1
		.amdhsa_uses_dynamic_stack 0
		.amdhsa_system_sgpr_private_segment_wavefront_offset 0
		.amdhsa_system_sgpr_workgroup_id_x 1
		.amdhsa_system_sgpr_workgroup_id_y 0
		.amdhsa_system_sgpr_workgroup_id_z 0
		.amdhsa_system_sgpr_workgroup_info 0
		.amdhsa_system_vgpr_workitem_id 0
		.amdhsa_next_free_vgpr 1
		.amdhsa_next_free_sgpr 1
		.amdhsa_reserve_vcc 0
		.amdhsa_reserve_flat_scratch 0
		.amdhsa_float_round_mode_32 0
		.amdhsa_float_round_mode_16_64 0
		.amdhsa_float_denorm_mode_32 3
		.amdhsa_float_denorm_mode_16_64 3
		.amdhsa_dx10_clamp 1
		.amdhsa_ieee_mode 1
		.amdhsa_fp16_overflow 0
		.amdhsa_workgroup_processor_mode 1
		.amdhsa_memory_ordered 1
		.amdhsa_forward_progress 1
		.amdhsa_shared_vgpr_count 0
		.amdhsa_exception_fp_ieee_invalid_op 0
		.amdhsa_exception_fp_denorm_src 0
		.amdhsa_exception_fp_ieee_div_zero 0
		.amdhsa_exception_fp_ieee_overflow 0
		.amdhsa_exception_fp_ieee_underflow 0
		.amdhsa_exception_fp_ieee_inexact 0
		.amdhsa_exception_int_div_zero 0
	.end_amdhsa_kernel
	.section	.text._ZN7rocprim17ROCPRIM_400000_NS6detail17trampoline_kernelINS0_14default_configENS1_37merge_sort_block_sort_config_selectorIxNS0_10empty_typeEEEZNS1_21merge_sort_block_sortIS3_N6thrust23THRUST_200600_302600_NS6detail15normal_iteratorINS9_10device_ptrIxEEEESE_PS5_SF_11less_div_10IxEEE10hipError_tT0_T1_T2_T3_mRjT4_P12ihipStream_tbNS1_7vsmem_tEEUlT_E_NS1_11comp_targetILNS1_3genE10ELNS1_11target_archE1201ELNS1_3gpuE5ELNS1_3repE0EEENS1_30default_config_static_selectorELNS0_4arch9wavefront6targetE0EEEvSK_,"axG",@progbits,_ZN7rocprim17ROCPRIM_400000_NS6detail17trampoline_kernelINS0_14default_configENS1_37merge_sort_block_sort_config_selectorIxNS0_10empty_typeEEEZNS1_21merge_sort_block_sortIS3_N6thrust23THRUST_200600_302600_NS6detail15normal_iteratorINS9_10device_ptrIxEEEESE_PS5_SF_11less_div_10IxEEE10hipError_tT0_T1_T2_T3_mRjT4_P12ihipStream_tbNS1_7vsmem_tEEUlT_E_NS1_11comp_targetILNS1_3genE10ELNS1_11target_archE1201ELNS1_3gpuE5ELNS1_3repE0EEENS1_30default_config_static_selectorELNS0_4arch9wavefront6targetE0EEEvSK_,comdat
.Lfunc_end332:
	.size	_ZN7rocprim17ROCPRIM_400000_NS6detail17trampoline_kernelINS0_14default_configENS1_37merge_sort_block_sort_config_selectorIxNS0_10empty_typeEEEZNS1_21merge_sort_block_sortIS3_N6thrust23THRUST_200600_302600_NS6detail15normal_iteratorINS9_10device_ptrIxEEEESE_PS5_SF_11less_div_10IxEEE10hipError_tT0_T1_T2_T3_mRjT4_P12ihipStream_tbNS1_7vsmem_tEEUlT_E_NS1_11comp_targetILNS1_3genE10ELNS1_11target_archE1201ELNS1_3gpuE5ELNS1_3repE0EEENS1_30default_config_static_selectorELNS0_4arch9wavefront6targetE0EEEvSK_, .Lfunc_end332-_ZN7rocprim17ROCPRIM_400000_NS6detail17trampoline_kernelINS0_14default_configENS1_37merge_sort_block_sort_config_selectorIxNS0_10empty_typeEEEZNS1_21merge_sort_block_sortIS3_N6thrust23THRUST_200600_302600_NS6detail15normal_iteratorINS9_10device_ptrIxEEEESE_PS5_SF_11less_div_10IxEEE10hipError_tT0_T1_T2_T3_mRjT4_P12ihipStream_tbNS1_7vsmem_tEEUlT_E_NS1_11comp_targetILNS1_3genE10ELNS1_11target_archE1201ELNS1_3gpuE5ELNS1_3repE0EEENS1_30default_config_static_selectorELNS0_4arch9wavefront6targetE0EEEvSK_
                                        ; -- End function
	.set _ZN7rocprim17ROCPRIM_400000_NS6detail17trampoline_kernelINS0_14default_configENS1_37merge_sort_block_sort_config_selectorIxNS0_10empty_typeEEEZNS1_21merge_sort_block_sortIS3_N6thrust23THRUST_200600_302600_NS6detail15normal_iteratorINS9_10device_ptrIxEEEESE_PS5_SF_11less_div_10IxEEE10hipError_tT0_T1_T2_T3_mRjT4_P12ihipStream_tbNS1_7vsmem_tEEUlT_E_NS1_11comp_targetILNS1_3genE10ELNS1_11target_archE1201ELNS1_3gpuE5ELNS1_3repE0EEENS1_30default_config_static_selectorELNS0_4arch9wavefront6targetE0EEEvSK_.num_vgpr, 0
	.set _ZN7rocprim17ROCPRIM_400000_NS6detail17trampoline_kernelINS0_14default_configENS1_37merge_sort_block_sort_config_selectorIxNS0_10empty_typeEEEZNS1_21merge_sort_block_sortIS3_N6thrust23THRUST_200600_302600_NS6detail15normal_iteratorINS9_10device_ptrIxEEEESE_PS5_SF_11less_div_10IxEEE10hipError_tT0_T1_T2_T3_mRjT4_P12ihipStream_tbNS1_7vsmem_tEEUlT_E_NS1_11comp_targetILNS1_3genE10ELNS1_11target_archE1201ELNS1_3gpuE5ELNS1_3repE0EEENS1_30default_config_static_selectorELNS0_4arch9wavefront6targetE0EEEvSK_.num_agpr, 0
	.set _ZN7rocprim17ROCPRIM_400000_NS6detail17trampoline_kernelINS0_14default_configENS1_37merge_sort_block_sort_config_selectorIxNS0_10empty_typeEEEZNS1_21merge_sort_block_sortIS3_N6thrust23THRUST_200600_302600_NS6detail15normal_iteratorINS9_10device_ptrIxEEEESE_PS5_SF_11less_div_10IxEEE10hipError_tT0_T1_T2_T3_mRjT4_P12ihipStream_tbNS1_7vsmem_tEEUlT_E_NS1_11comp_targetILNS1_3genE10ELNS1_11target_archE1201ELNS1_3gpuE5ELNS1_3repE0EEENS1_30default_config_static_selectorELNS0_4arch9wavefront6targetE0EEEvSK_.numbered_sgpr, 0
	.set _ZN7rocprim17ROCPRIM_400000_NS6detail17trampoline_kernelINS0_14default_configENS1_37merge_sort_block_sort_config_selectorIxNS0_10empty_typeEEEZNS1_21merge_sort_block_sortIS3_N6thrust23THRUST_200600_302600_NS6detail15normal_iteratorINS9_10device_ptrIxEEEESE_PS5_SF_11less_div_10IxEEE10hipError_tT0_T1_T2_T3_mRjT4_P12ihipStream_tbNS1_7vsmem_tEEUlT_E_NS1_11comp_targetILNS1_3genE10ELNS1_11target_archE1201ELNS1_3gpuE5ELNS1_3repE0EEENS1_30default_config_static_selectorELNS0_4arch9wavefront6targetE0EEEvSK_.num_named_barrier, 0
	.set _ZN7rocprim17ROCPRIM_400000_NS6detail17trampoline_kernelINS0_14default_configENS1_37merge_sort_block_sort_config_selectorIxNS0_10empty_typeEEEZNS1_21merge_sort_block_sortIS3_N6thrust23THRUST_200600_302600_NS6detail15normal_iteratorINS9_10device_ptrIxEEEESE_PS5_SF_11less_div_10IxEEE10hipError_tT0_T1_T2_T3_mRjT4_P12ihipStream_tbNS1_7vsmem_tEEUlT_E_NS1_11comp_targetILNS1_3genE10ELNS1_11target_archE1201ELNS1_3gpuE5ELNS1_3repE0EEENS1_30default_config_static_selectorELNS0_4arch9wavefront6targetE0EEEvSK_.private_seg_size, 0
	.set _ZN7rocprim17ROCPRIM_400000_NS6detail17trampoline_kernelINS0_14default_configENS1_37merge_sort_block_sort_config_selectorIxNS0_10empty_typeEEEZNS1_21merge_sort_block_sortIS3_N6thrust23THRUST_200600_302600_NS6detail15normal_iteratorINS9_10device_ptrIxEEEESE_PS5_SF_11less_div_10IxEEE10hipError_tT0_T1_T2_T3_mRjT4_P12ihipStream_tbNS1_7vsmem_tEEUlT_E_NS1_11comp_targetILNS1_3genE10ELNS1_11target_archE1201ELNS1_3gpuE5ELNS1_3repE0EEENS1_30default_config_static_selectorELNS0_4arch9wavefront6targetE0EEEvSK_.uses_vcc, 0
	.set _ZN7rocprim17ROCPRIM_400000_NS6detail17trampoline_kernelINS0_14default_configENS1_37merge_sort_block_sort_config_selectorIxNS0_10empty_typeEEEZNS1_21merge_sort_block_sortIS3_N6thrust23THRUST_200600_302600_NS6detail15normal_iteratorINS9_10device_ptrIxEEEESE_PS5_SF_11less_div_10IxEEE10hipError_tT0_T1_T2_T3_mRjT4_P12ihipStream_tbNS1_7vsmem_tEEUlT_E_NS1_11comp_targetILNS1_3genE10ELNS1_11target_archE1201ELNS1_3gpuE5ELNS1_3repE0EEENS1_30default_config_static_selectorELNS0_4arch9wavefront6targetE0EEEvSK_.uses_flat_scratch, 0
	.set _ZN7rocprim17ROCPRIM_400000_NS6detail17trampoline_kernelINS0_14default_configENS1_37merge_sort_block_sort_config_selectorIxNS0_10empty_typeEEEZNS1_21merge_sort_block_sortIS3_N6thrust23THRUST_200600_302600_NS6detail15normal_iteratorINS9_10device_ptrIxEEEESE_PS5_SF_11less_div_10IxEEE10hipError_tT0_T1_T2_T3_mRjT4_P12ihipStream_tbNS1_7vsmem_tEEUlT_E_NS1_11comp_targetILNS1_3genE10ELNS1_11target_archE1201ELNS1_3gpuE5ELNS1_3repE0EEENS1_30default_config_static_selectorELNS0_4arch9wavefront6targetE0EEEvSK_.has_dyn_sized_stack, 0
	.set _ZN7rocprim17ROCPRIM_400000_NS6detail17trampoline_kernelINS0_14default_configENS1_37merge_sort_block_sort_config_selectorIxNS0_10empty_typeEEEZNS1_21merge_sort_block_sortIS3_N6thrust23THRUST_200600_302600_NS6detail15normal_iteratorINS9_10device_ptrIxEEEESE_PS5_SF_11less_div_10IxEEE10hipError_tT0_T1_T2_T3_mRjT4_P12ihipStream_tbNS1_7vsmem_tEEUlT_E_NS1_11comp_targetILNS1_3genE10ELNS1_11target_archE1201ELNS1_3gpuE5ELNS1_3repE0EEENS1_30default_config_static_selectorELNS0_4arch9wavefront6targetE0EEEvSK_.has_recursion, 0
	.set _ZN7rocprim17ROCPRIM_400000_NS6detail17trampoline_kernelINS0_14default_configENS1_37merge_sort_block_sort_config_selectorIxNS0_10empty_typeEEEZNS1_21merge_sort_block_sortIS3_N6thrust23THRUST_200600_302600_NS6detail15normal_iteratorINS9_10device_ptrIxEEEESE_PS5_SF_11less_div_10IxEEE10hipError_tT0_T1_T2_T3_mRjT4_P12ihipStream_tbNS1_7vsmem_tEEUlT_E_NS1_11comp_targetILNS1_3genE10ELNS1_11target_archE1201ELNS1_3gpuE5ELNS1_3repE0EEENS1_30default_config_static_selectorELNS0_4arch9wavefront6targetE0EEEvSK_.has_indirect_call, 0
	.section	.AMDGPU.csdata,"",@progbits
; Kernel info:
; codeLenInByte = 0
; TotalNumSgprs: 0
; NumVgprs: 0
; ScratchSize: 0
; MemoryBound: 0
; FloatMode: 240
; IeeeMode: 1
; LDSByteSize: 0 bytes/workgroup (compile time only)
; SGPRBlocks: 0
; VGPRBlocks: 0
; NumSGPRsForWavesPerEU: 1
; NumVGPRsForWavesPerEU: 1
; Occupancy: 16
; WaveLimiterHint : 0
; COMPUTE_PGM_RSRC2:SCRATCH_EN: 0
; COMPUTE_PGM_RSRC2:USER_SGPR: 6
; COMPUTE_PGM_RSRC2:TRAP_HANDLER: 0
; COMPUTE_PGM_RSRC2:TGID_X_EN: 1
; COMPUTE_PGM_RSRC2:TGID_Y_EN: 0
; COMPUTE_PGM_RSRC2:TGID_Z_EN: 0
; COMPUTE_PGM_RSRC2:TIDIG_COMP_CNT: 0
	.section	.text._ZN7rocprim17ROCPRIM_400000_NS6detail17trampoline_kernelINS0_14default_configENS1_37merge_sort_block_sort_config_selectorIxNS0_10empty_typeEEEZNS1_21merge_sort_block_sortIS3_N6thrust23THRUST_200600_302600_NS6detail15normal_iteratorINS9_10device_ptrIxEEEESE_PS5_SF_11less_div_10IxEEE10hipError_tT0_T1_T2_T3_mRjT4_P12ihipStream_tbNS1_7vsmem_tEEUlT_E_NS1_11comp_targetILNS1_3genE10ELNS1_11target_archE1200ELNS1_3gpuE4ELNS1_3repE0EEENS1_30default_config_static_selectorELNS0_4arch9wavefront6targetE0EEEvSK_,"axG",@progbits,_ZN7rocprim17ROCPRIM_400000_NS6detail17trampoline_kernelINS0_14default_configENS1_37merge_sort_block_sort_config_selectorIxNS0_10empty_typeEEEZNS1_21merge_sort_block_sortIS3_N6thrust23THRUST_200600_302600_NS6detail15normal_iteratorINS9_10device_ptrIxEEEESE_PS5_SF_11less_div_10IxEEE10hipError_tT0_T1_T2_T3_mRjT4_P12ihipStream_tbNS1_7vsmem_tEEUlT_E_NS1_11comp_targetILNS1_3genE10ELNS1_11target_archE1200ELNS1_3gpuE4ELNS1_3repE0EEENS1_30default_config_static_selectorELNS0_4arch9wavefront6targetE0EEEvSK_,comdat
	.protected	_ZN7rocprim17ROCPRIM_400000_NS6detail17trampoline_kernelINS0_14default_configENS1_37merge_sort_block_sort_config_selectorIxNS0_10empty_typeEEEZNS1_21merge_sort_block_sortIS3_N6thrust23THRUST_200600_302600_NS6detail15normal_iteratorINS9_10device_ptrIxEEEESE_PS5_SF_11less_div_10IxEEE10hipError_tT0_T1_T2_T3_mRjT4_P12ihipStream_tbNS1_7vsmem_tEEUlT_E_NS1_11comp_targetILNS1_3genE10ELNS1_11target_archE1200ELNS1_3gpuE4ELNS1_3repE0EEENS1_30default_config_static_selectorELNS0_4arch9wavefront6targetE0EEEvSK_ ; -- Begin function _ZN7rocprim17ROCPRIM_400000_NS6detail17trampoline_kernelINS0_14default_configENS1_37merge_sort_block_sort_config_selectorIxNS0_10empty_typeEEEZNS1_21merge_sort_block_sortIS3_N6thrust23THRUST_200600_302600_NS6detail15normal_iteratorINS9_10device_ptrIxEEEESE_PS5_SF_11less_div_10IxEEE10hipError_tT0_T1_T2_T3_mRjT4_P12ihipStream_tbNS1_7vsmem_tEEUlT_E_NS1_11comp_targetILNS1_3genE10ELNS1_11target_archE1200ELNS1_3gpuE4ELNS1_3repE0EEENS1_30default_config_static_selectorELNS0_4arch9wavefront6targetE0EEEvSK_
	.globl	_ZN7rocprim17ROCPRIM_400000_NS6detail17trampoline_kernelINS0_14default_configENS1_37merge_sort_block_sort_config_selectorIxNS0_10empty_typeEEEZNS1_21merge_sort_block_sortIS3_N6thrust23THRUST_200600_302600_NS6detail15normal_iteratorINS9_10device_ptrIxEEEESE_PS5_SF_11less_div_10IxEEE10hipError_tT0_T1_T2_T3_mRjT4_P12ihipStream_tbNS1_7vsmem_tEEUlT_E_NS1_11comp_targetILNS1_3genE10ELNS1_11target_archE1200ELNS1_3gpuE4ELNS1_3repE0EEENS1_30default_config_static_selectorELNS0_4arch9wavefront6targetE0EEEvSK_
	.p2align	8
	.type	_ZN7rocprim17ROCPRIM_400000_NS6detail17trampoline_kernelINS0_14default_configENS1_37merge_sort_block_sort_config_selectorIxNS0_10empty_typeEEEZNS1_21merge_sort_block_sortIS3_N6thrust23THRUST_200600_302600_NS6detail15normal_iteratorINS9_10device_ptrIxEEEESE_PS5_SF_11less_div_10IxEEE10hipError_tT0_T1_T2_T3_mRjT4_P12ihipStream_tbNS1_7vsmem_tEEUlT_E_NS1_11comp_targetILNS1_3genE10ELNS1_11target_archE1200ELNS1_3gpuE4ELNS1_3repE0EEENS1_30default_config_static_selectorELNS0_4arch9wavefront6targetE0EEEvSK_,@function
_ZN7rocprim17ROCPRIM_400000_NS6detail17trampoline_kernelINS0_14default_configENS1_37merge_sort_block_sort_config_selectorIxNS0_10empty_typeEEEZNS1_21merge_sort_block_sortIS3_N6thrust23THRUST_200600_302600_NS6detail15normal_iteratorINS9_10device_ptrIxEEEESE_PS5_SF_11less_div_10IxEEE10hipError_tT0_T1_T2_T3_mRjT4_P12ihipStream_tbNS1_7vsmem_tEEUlT_E_NS1_11comp_targetILNS1_3genE10ELNS1_11target_archE1200ELNS1_3gpuE4ELNS1_3repE0EEENS1_30default_config_static_selectorELNS0_4arch9wavefront6targetE0EEEvSK_: ; @_ZN7rocprim17ROCPRIM_400000_NS6detail17trampoline_kernelINS0_14default_configENS1_37merge_sort_block_sort_config_selectorIxNS0_10empty_typeEEEZNS1_21merge_sort_block_sortIS3_N6thrust23THRUST_200600_302600_NS6detail15normal_iteratorINS9_10device_ptrIxEEEESE_PS5_SF_11less_div_10IxEEE10hipError_tT0_T1_T2_T3_mRjT4_P12ihipStream_tbNS1_7vsmem_tEEUlT_E_NS1_11comp_targetILNS1_3genE10ELNS1_11target_archE1200ELNS1_3gpuE4ELNS1_3repE0EEENS1_30default_config_static_selectorELNS0_4arch9wavefront6targetE0EEEvSK_
; %bb.0:
	.section	.rodata,"a",@progbits
	.p2align	6, 0x0
	.amdhsa_kernel _ZN7rocprim17ROCPRIM_400000_NS6detail17trampoline_kernelINS0_14default_configENS1_37merge_sort_block_sort_config_selectorIxNS0_10empty_typeEEEZNS1_21merge_sort_block_sortIS3_N6thrust23THRUST_200600_302600_NS6detail15normal_iteratorINS9_10device_ptrIxEEEESE_PS5_SF_11less_div_10IxEEE10hipError_tT0_T1_T2_T3_mRjT4_P12ihipStream_tbNS1_7vsmem_tEEUlT_E_NS1_11comp_targetILNS1_3genE10ELNS1_11target_archE1200ELNS1_3gpuE4ELNS1_3repE0EEENS1_30default_config_static_selectorELNS0_4arch9wavefront6targetE0EEEvSK_
		.amdhsa_group_segment_fixed_size 0
		.amdhsa_private_segment_fixed_size 0
		.amdhsa_kernarg_size 64
		.amdhsa_user_sgpr_count 6
		.amdhsa_user_sgpr_private_segment_buffer 1
		.amdhsa_user_sgpr_dispatch_ptr 0
		.amdhsa_user_sgpr_queue_ptr 0
		.amdhsa_user_sgpr_kernarg_segment_ptr 1
		.amdhsa_user_sgpr_dispatch_id 0
		.amdhsa_user_sgpr_flat_scratch_init 0
		.amdhsa_user_sgpr_private_segment_size 0
		.amdhsa_wavefront_size32 1
		.amdhsa_uses_dynamic_stack 0
		.amdhsa_system_sgpr_private_segment_wavefront_offset 0
		.amdhsa_system_sgpr_workgroup_id_x 1
		.amdhsa_system_sgpr_workgroup_id_y 0
		.amdhsa_system_sgpr_workgroup_id_z 0
		.amdhsa_system_sgpr_workgroup_info 0
		.amdhsa_system_vgpr_workitem_id 0
		.amdhsa_next_free_vgpr 1
		.amdhsa_next_free_sgpr 1
		.amdhsa_reserve_vcc 0
		.amdhsa_reserve_flat_scratch 0
		.amdhsa_float_round_mode_32 0
		.amdhsa_float_round_mode_16_64 0
		.amdhsa_float_denorm_mode_32 3
		.amdhsa_float_denorm_mode_16_64 3
		.amdhsa_dx10_clamp 1
		.amdhsa_ieee_mode 1
		.amdhsa_fp16_overflow 0
		.amdhsa_workgroup_processor_mode 1
		.amdhsa_memory_ordered 1
		.amdhsa_forward_progress 1
		.amdhsa_shared_vgpr_count 0
		.amdhsa_exception_fp_ieee_invalid_op 0
		.amdhsa_exception_fp_denorm_src 0
		.amdhsa_exception_fp_ieee_div_zero 0
		.amdhsa_exception_fp_ieee_overflow 0
		.amdhsa_exception_fp_ieee_underflow 0
		.amdhsa_exception_fp_ieee_inexact 0
		.amdhsa_exception_int_div_zero 0
	.end_amdhsa_kernel
	.section	.text._ZN7rocprim17ROCPRIM_400000_NS6detail17trampoline_kernelINS0_14default_configENS1_37merge_sort_block_sort_config_selectorIxNS0_10empty_typeEEEZNS1_21merge_sort_block_sortIS3_N6thrust23THRUST_200600_302600_NS6detail15normal_iteratorINS9_10device_ptrIxEEEESE_PS5_SF_11less_div_10IxEEE10hipError_tT0_T1_T2_T3_mRjT4_P12ihipStream_tbNS1_7vsmem_tEEUlT_E_NS1_11comp_targetILNS1_3genE10ELNS1_11target_archE1200ELNS1_3gpuE4ELNS1_3repE0EEENS1_30default_config_static_selectorELNS0_4arch9wavefront6targetE0EEEvSK_,"axG",@progbits,_ZN7rocprim17ROCPRIM_400000_NS6detail17trampoline_kernelINS0_14default_configENS1_37merge_sort_block_sort_config_selectorIxNS0_10empty_typeEEEZNS1_21merge_sort_block_sortIS3_N6thrust23THRUST_200600_302600_NS6detail15normal_iteratorINS9_10device_ptrIxEEEESE_PS5_SF_11less_div_10IxEEE10hipError_tT0_T1_T2_T3_mRjT4_P12ihipStream_tbNS1_7vsmem_tEEUlT_E_NS1_11comp_targetILNS1_3genE10ELNS1_11target_archE1200ELNS1_3gpuE4ELNS1_3repE0EEENS1_30default_config_static_selectorELNS0_4arch9wavefront6targetE0EEEvSK_,comdat
.Lfunc_end333:
	.size	_ZN7rocprim17ROCPRIM_400000_NS6detail17trampoline_kernelINS0_14default_configENS1_37merge_sort_block_sort_config_selectorIxNS0_10empty_typeEEEZNS1_21merge_sort_block_sortIS3_N6thrust23THRUST_200600_302600_NS6detail15normal_iteratorINS9_10device_ptrIxEEEESE_PS5_SF_11less_div_10IxEEE10hipError_tT0_T1_T2_T3_mRjT4_P12ihipStream_tbNS1_7vsmem_tEEUlT_E_NS1_11comp_targetILNS1_3genE10ELNS1_11target_archE1200ELNS1_3gpuE4ELNS1_3repE0EEENS1_30default_config_static_selectorELNS0_4arch9wavefront6targetE0EEEvSK_, .Lfunc_end333-_ZN7rocprim17ROCPRIM_400000_NS6detail17trampoline_kernelINS0_14default_configENS1_37merge_sort_block_sort_config_selectorIxNS0_10empty_typeEEEZNS1_21merge_sort_block_sortIS3_N6thrust23THRUST_200600_302600_NS6detail15normal_iteratorINS9_10device_ptrIxEEEESE_PS5_SF_11less_div_10IxEEE10hipError_tT0_T1_T2_T3_mRjT4_P12ihipStream_tbNS1_7vsmem_tEEUlT_E_NS1_11comp_targetILNS1_3genE10ELNS1_11target_archE1200ELNS1_3gpuE4ELNS1_3repE0EEENS1_30default_config_static_selectorELNS0_4arch9wavefront6targetE0EEEvSK_
                                        ; -- End function
	.set _ZN7rocprim17ROCPRIM_400000_NS6detail17trampoline_kernelINS0_14default_configENS1_37merge_sort_block_sort_config_selectorIxNS0_10empty_typeEEEZNS1_21merge_sort_block_sortIS3_N6thrust23THRUST_200600_302600_NS6detail15normal_iteratorINS9_10device_ptrIxEEEESE_PS5_SF_11less_div_10IxEEE10hipError_tT0_T1_T2_T3_mRjT4_P12ihipStream_tbNS1_7vsmem_tEEUlT_E_NS1_11comp_targetILNS1_3genE10ELNS1_11target_archE1200ELNS1_3gpuE4ELNS1_3repE0EEENS1_30default_config_static_selectorELNS0_4arch9wavefront6targetE0EEEvSK_.num_vgpr, 0
	.set _ZN7rocprim17ROCPRIM_400000_NS6detail17trampoline_kernelINS0_14default_configENS1_37merge_sort_block_sort_config_selectorIxNS0_10empty_typeEEEZNS1_21merge_sort_block_sortIS3_N6thrust23THRUST_200600_302600_NS6detail15normal_iteratorINS9_10device_ptrIxEEEESE_PS5_SF_11less_div_10IxEEE10hipError_tT0_T1_T2_T3_mRjT4_P12ihipStream_tbNS1_7vsmem_tEEUlT_E_NS1_11comp_targetILNS1_3genE10ELNS1_11target_archE1200ELNS1_3gpuE4ELNS1_3repE0EEENS1_30default_config_static_selectorELNS0_4arch9wavefront6targetE0EEEvSK_.num_agpr, 0
	.set _ZN7rocprim17ROCPRIM_400000_NS6detail17trampoline_kernelINS0_14default_configENS1_37merge_sort_block_sort_config_selectorIxNS0_10empty_typeEEEZNS1_21merge_sort_block_sortIS3_N6thrust23THRUST_200600_302600_NS6detail15normal_iteratorINS9_10device_ptrIxEEEESE_PS5_SF_11less_div_10IxEEE10hipError_tT0_T1_T2_T3_mRjT4_P12ihipStream_tbNS1_7vsmem_tEEUlT_E_NS1_11comp_targetILNS1_3genE10ELNS1_11target_archE1200ELNS1_3gpuE4ELNS1_3repE0EEENS1_30default_config_static_selectorELNS0_4arch9wavefront6targetE0EEEvSK_.numbered_sgpr, 0
	.set _ZN7rocprim17ROCPRIM_400000_NS6detail17trampoline_kernelINS0_14default_configENS1_37merge_sort_block_sort_config_selectorIxNS0_10empty_typeEEEZNS1_21merge_sort_block_sortIS3_N6thrust23THRUST_200600_302600_NS6detail15normal_iteratorINS9_10device_ptrIxEEEESE_PS5_SF_11less_div_10IxEEE10hipError_tT0_T1_T2_T3_mRjT4_P12ihipStream_tbNS1_7vsmem_tEEUlT_E_NS1_11comp_targetILNS1_3genE10ELNS1_11target_archE1200ELNS1_3gpuE4ELNS1_3repE0EEENS1_30default_config_static_selectorELNS0_4arch9wavefront6targetE0EEEvSK_.num_named_barrier, 0
	.set _ZN7rocprim17ROCPRIM_400000_NS6detail17trampoline_kernelINS0_14default_configENS1_37merge_sort_block_sort_config_selectorIxNS0_10empty_typeEEEZNS1_21merge_sort_block_sortIS3_N6thrust23THRUST_200600_302600_NS6detail15normal_iteratorINS9_10device_ptrIxEEEESE_PS5_SF_11less_div_10IxEEE10hipError_tT0_T1_T2_T3_mRjT4_P12ihipStream_tbNS1_7vsmem_tEEUlT_E_NS1_11comp_targetILNS1_3genE10ELNS1_11target_archE1200ELNS1_3gpuE4ELNS1_3repE0EEENS1_30default_config_static_selectorELNS0_4arch9wavefront6targetE0EEEvSK_.private_seg_size, 0
	.set _ZN7rocprim17ROCPRIM_400000_NS6detail17trampoline_kernelINS0_14default_configENS1_37merge_sort_block_sort_config_selectorIxNS0_10empty_typeEEEZNS1_21merge_sort_block_sortIS3_N6thrust23THRUST_200600_302600_NS6detail15normal_iteratorINS9_10device_ptrIxEEEESE_PS5_SF_11less_div_10IxEEE10hipError_tT0_T1_T2_T3_mRjT4_P12ihipStream_tbNS1_7vsmem_tEEUlT_E_NS1_11comp_targetILNS1_3genE10ELNS1_11target_archE1200ELNS1_3gpuE4ELNS1_3repE0EEENS1_30default_config_static_selectorELNS0_4arch9wavefront6targetE0EEEvSK_.uses_vcc, 0
	.set _ZN7rocprim17ROCPRIM_400000_NS6detail17trampoline_kernelINS0_14default_configENS1_37merge_sort_block_sort_config_selectorIxNS0_10empty_typeEEEZNS1_21merge_sort_block_sortIS3_N6thrust23THRUST_200600_302600_NS6detail15normal_iteratorINS9_10device_ptrIxEEEESE_PS5_SF_11less_div_10IxEEE10hipError_tT0_T1_T2_T3_mRjT4_P12ihipStream_tbNS1_7vsmem_tEEUlT_E_NS1_11comp_targetILNS1_3genE10ELNS1_11target_archE1200ELNS1_3gpuE4ELNS1_3repE0EEENS1_30default_config_static_selectorELNS0_4arch9wavefront6targetE0EEEvSK_.uses_flat_scratch, 0
	.set _ZN7rocprim17ROCPRIM_400000_NS6detail17trampoline_kernelINS0_14default_configENS1_37merge_sort_block_sort_config_selectorIxNS0_10empty_typeEEEZNS1_21merge_sort_block_sortIS3_N6thrust23THRUST_200600_302600_NS6detail15normal_iteratorINS9_10device_ptrIxEEEESE_PS5_SF_11less_div_10IxEEE10hipError_tT0_T1_T2_T3_mRjT4_P12ihipStream_tbNS1_7vsmem_tEEUlT_E_NS1_11comp_targetILNS1_3genE10ELNS1_11target_archE1200ELNS1_3gpuE4ELNS1_3repE0EEENS1_30default_config_static_selectorELNS0_4arch9wavefront6targetE0EEEvSK_.has_dyn_sized_stack, 0
	.set _ZN7rocprim17ROCPRIM_400000_NS6detail17trampoline_kernelINS0_14default_configENS1_37merge_sort_block_sort_config_selectorIxNS0_10empty_typeEEEZNS1_21merge_sort_block_sortIS3_N6thrust23THRUST_200600_302600_NS6detail15normal_iteratorINS9_10device_ptrIxEEEESE_PS5_SF_11less_div_10IxEEE10hipError_tT0_T1_T2_T3_mRjT4_P12ihipStream_tbNS1_7vsmem_tEEUlT_E_NS1_11comp_targetILNS1_3genE10ELNS1_11target_archE1200ELNS1_3gpuE4ELNS1_3repE0EEENS1_30default_config_static_selectorELNS0_4arch9wavefront6targetE0EEEvSK_.has_recursion, 0
	.set _ZN7rocprim17ROCPRIM_400000_NS6detail17trampoline_kernelINS0_14default_configENS1_37merge_sort_block_sort_config_selectorIxNS0_10empty_typeEEEZNS1_21merge_sort_block_sortIS3_N6thrust23THRUST_200600_302600_NS6detail15normal_iteratorINS9_10device_ptrIxEEEESE_PS5_SF_11less_div_10IxEEE10hipError_tT0_T1_T2_T3_mRjT4_P12ihipStream_tbNS1_7vsmem_tEEUlT_E_NS1_11comp_targetILNS1_3genE10ELNS1_11target_archE1200ELNS1_3gpuE4ELNS1_3repE0EEENS1_30default_config_static_selectorELNS0_4arch9wavefront6targetE0EEEvSK_.has_indirect_call, 0
	.section	.AMDGPU.csdata,"",@progbits
; Kernel info:
; codeLenInByte = 0
; TotalNumSgprs: 0
; NumVgprs: 0
; ScratchSize: 0
; MemoryBound: 0
; FloatMode: 240
; IeeeMode: 1
; LDSByteSize: 0 bytes/workgroup (compile time only)
; SGPRBlocks: 0
; VGPRBlocks: 0
; NumSGPRsForWavesPerEU: 1
; NumVGPRsForWavesPerEU: 1
; Occupancy: 16
; WaveLimiterHint : 0
; COMPUTE_PGM_RSRC2:SCRATCH_EN: 0
; COMPUTE_PGM_RSRC2:USER_SGPR: 6
; COMPUTE_PGM_RSRC2:TRAP_HANDLER: 0
; COMPUTE_PGM_RSRC2:TGID_X_EN: 1
; COMPUTE_PGM_RSRC2:TGID_Y_EN: 0
; COMPUTE_PGM_RSRC2:TGID_Z_EN: 0
; COMPUTE_PGM_RSRC2:TIDIG_COMP_CNT: 0
	.section	.text._ZN7rocprim17ROCPRIM_400000_NS6detail17trampoline_kernelINS0_14default_configENS1_37merge_sort_block_sort_config_selectorIxNS0_10empty_typeEEEZNS1_21merge_sort_block_sortIS3_N6thrust23THRUST_200600_302600_NS6detail15normal_iteratorINS9_10device_ptrIxEEEESE_PS5_SF_11less_div_10IxEEE10hipError_tT0_T1_T2_T3_mRjT4_P12ihipStream_tbNS1_7vsmem_tEEUlT_E_NS1_11comp_targetILNS1_3genE9ELNS1_11target_archE1100ELNS1_3gpuE3ELNS1_3repE0EEENS1_30default_config_static_selectorELNS0_4arch9wavefront6targetE0EEEvSK_,"axG",@progbits,_ZN7rocprim17ROCPRIM_400000_NS6detail17trampoline_kernelINS0_14default_configENS1_37merge_sort_block_sort_config_selectorIxNS0_10empty_typeEEEZNS1_21merge_sort_block_sortIS3_N6thrust23THRUST_200600_302600_NS6detail15normal_iteratorINS9_10device_ptrIxEEEESE_PS5_SF_11less_div_10IxEEE10hipError_tT0_T1_T2_T3_mRjT4_P12ihipStream_tbNS1_7vsmem_tEEUlT_E_NS1_11comp_targetILNS1_3genE9ELNS1_11target_archE1100ELNS1_3gpuE3ELNS1_3repE0EEENS1_30default_config_static_selectorELNS0_4arch9wavefront6targetE0EEEvSK_,comdat
	.protected	_ZN7rocprim17ROCPRIM_400000_NS6detail17trampoline_kernelINS0_14default_configENS1_37merge_sort_block_sort_config_selectorIxNS0_10empty_typeEEEZNS1_21merge_sort_block_sortIS3_N6thrust23THRUST_200600_302600_NS6detail15normal_iteratorINS9_10device_ptrIxEEEESE_PS5_SF_11less_div_10IxEEE10hipError_tT0_T1_T2_T3_mRjT4_P12ihipStream_tbNS1_7vsmem_tEEUlT_E_NS1_11comp_targetILNS1_3genE9ELNS1_11target_archE1100ELNS1_3gpuE3ELNS1_3repE0EEENS1_30default_config_static_selectorELNS0_4arch9wavefront6targetE0EEEvSK_ ; -- Begin function _ZN7rocprim17ROCPRIM_400000_NS6detail17trampoline_kernelINS0_14default_configENS1_37merge_sort_block_sort_config_selectorIxNS0_10empty_typeEEEZNS1_21merge_sort_block_sortIS3_N6thrust23THRUST_200600_302600_NS6detail15normal_iteratorINS9_10device_ptrIxEEEESE_PS5_SF_11less_div_10IxEEE10hipError_tT0_T1_T2_T3_mRjT4_P12ihipStream_tbNS1_7vsmem_tEEUlT_E_NS1_11comp_targetILNS1_3genE9ELNS1_11target_archE1100ELNS1_3gpuE3ELNS1_3repE0EEENS1_30default_config_static_selectorELNS0_4arch9wavefront6targetE0EEEvSK_
	.globl	_ZN7rocprim17ROCPRIM_400000_NS6detail17trampoline_kernelINS0_14default_configENS1_37merge_sort_block_sort_config_selectorIxNS0_10empty_typeEEEZNS1_21merge_sort_block_sortIS3_N6thrust23THRUST_200600_302600_NS6detail15normal_iteratorINS9_10device_ptrIxEEEESE_PS5_SF_11less_div_10IxEEE10hipError_tT0_T1_T2_T3_mRjT4_P12ihipStream_tbNS1_7vsmem_tEEUlT_E_NS1_11comp_targetILNS1_3genE9ELNS1_11target_archE1100ELNS1_3gpuE3ELNS1_3repE0EEENS1_30default_config_static_selectorELNS0_4arch9wavefront6targetE0EEEvSK_
	.p2align	8
	.type	_ZN7rocprim17ROCPRIM_400000_NS6detail17trampoline_kernelINS0_14default_configENS1_37merge_sort_block_sort_config_selectorIxNS0_10empty_typeEEEZNS1_21merge_sort_block_sortIS3_N6thrust23THRUST_200600_302600_NS6detail15normal_iteratorINS9_10device_ptrIxEEEESE_PS5_SF_11less_div_10IxEEE10hipError_tT0_T1_T2_T3_mRjT4_P12ihipStream_tbNS1_7vsmem_tEEUlT_E_NS1_11comp_targetILNS1_3genE9ELNS1_11target_archE1100ELNS1_3gpuE3ELNS1_3repE0EEENS1_30default_config_static_selectorELNS0_4arch9wavefront6targetE0EEEvSK_,@function
_ZN7rocprim17ROCPRIM_400000_NS6detail17trampoline_kernelINS0_14default_configENS1_37merge_sort_block_sort_config_selectorIxNS0_10empty_typeEEEZNS1_21merge_sort_block_sortIS3_N6thrust23THRUST_200600_302600_NS6detail15normal_iteratorINS9_10device_ptrIxEEEESE_PS5_SF_11less_div_10IxEEE10hipError_tT0_T1_T2_T3_mRjT4_P12ihipStream_tbNS1_7vsmem_tEEUlT_E_NS1_11comp_targetILNS1_3genE9ELNS1_11target_archE1100ELNS1_3gpuE3ELNS1_3repE0EEENS1_30default_config_static_selectorELNS0_4arch9wavefront6targetE0EEEvSK_: ; @_ZN7rocprim17ROCPRIM_400000_NS6detail17trampoline_kernelINS0_14default_configENS1_37merge_sort_block_sort_config_selectorIxNS0_10empty_typeEEEZNS1_21merge_sort_block_sortIS3_N6thrust23THRUST_200600_302600_NS6detail15normal_iteratorINS9_10device_ptrIxEEEESE_PS5_SF_11less_div_10IxEEE10hipError_tT0_T1_T2_T3_mRjT4_P12ihipStream_tbNS1_7vsmem_tEEUlT_E_NS1_11comp_targetILNS1_3genE9ELNS1_11target_archE1100ELNS1_3gpuE3ELNS1_3repE0EEENS1_30default_config_static_selectorELNS0_4arch9wavefront6targetE0EEEvSK_
; %bb.0:
	.section	.rodata,"a",@progbits
	.p2align	6, 0x0
	.amdhsa_kernel _ZN7rocprim17ROCPRIM_400000_NS6detail17trampoline_kernelINS0_14default_configENS1_37merge_sort_block_sort_config_selectorIxNS0_10empty_typeEEEZNS1_21merge_sort_block_sortIS3_N6thrust23THRUST_200600_302600_NS6detail15normal_iteratorINS9_10device_ptrIxEEEESE_PS5_SF_11less_div_10IxEEE10hipError_tT0_T1_T2_T3_mRjT4_P12ihipStream_tbNS1_7vsmem_tEEUlT_E_NS1_11comp_targetILNS1_3genE9ELNS1_11target_archE1100ELNS1_3gpuE3ELNS1_3repE0EEENS1_30default_config_static_selectorELNS0_4arch9wavefront6targetE0EEEvSK_
		.amdhsa_group_segment_fixed_size 0
		.amdhsa_private_segment_fixed_size 0
		.amdhsa_kernarg_size 64
		.amdhsa_user_sgpr_count 6
		.amdhsa_user_sgpr_private_segment_buffer 1
		.amdhsa_user_sgpr_dispatch_ptr 0
		.amdhsa_user_sgpr_queue_ptr 0
		.amdhsa_user_sgpr_kernarg_segment_ptr 1
		.amdhsa_user_sgpr_dispatch_id 0
		.amdhsa_user_sgpr_flat_scratch_init 0
		.amdhsa_user_sgpr_private_segment_size 0
		.amdhsa_wavefront_size32 1
		.amdhsa_uses_dynamic_stack 0
		.amdhsa_system_sgpr_private_segment_wavefront_offset 0
		.amdhsa_system_sgpr_workgroup_id_x 1
		.amdhsa_system_sgpr_workgroup_id_y 0
		.amdhsa_system_sgpr_workgroup_id_z 0
		.amdhsa_system_sgpr_workgroup_info 0
		.amdhsa_system_vgpr_workitem_id 0
		.amdhsa_next_free_vgpr 1
		.amdhsa_next_free_sgpr 1
		.amdhsa_reserve_vcc 0
		.amdhsa_reserve_flat_scratch 0
		.amdhsa_float_round_mode_32 0
		.amdhsa_float_round_mode_16_64 0
		.amdhsa_float_denorm_mode_32 3
		.amdhsa_float_denorm_mode_16_64 3
		.amdhsa_dx10_clamp 1
		.amdhsa_ieee_mode 1
		.amdhsa_fp16_overflow 0
		.amdhsa_workgroup_processor_mode 1
		.amdhsa_memory_ordered 1
		.amdhsa_forward_progress 1
		.amdhsa_shared_vgpr_count 0
		.amdhsa_exception_fp_ieee_invalid_op 0
		.amdhsa_exception_fp_denorm_src 0
		.amdhsa_exception_fp_ieee_div_zero 0
		.amdhsa_exception_fp_ieee_overflow 0
		.amdhsa_exception_fp_ieee_underflow 0
		.amdhsa_exception_fp_ieee_inexact 0
		.amdhsa_exception_int_div_zero 0
	.end_amdhsa_kernel
	.section	.text._ZN7rocprim17ROCPRIM_400000_NS6detail17trampoline_kernelINS0_14default_configENS1_37merge_sort_block_sort_config_selectorIxNS0_10empty_typeEEEZNS1_21merge_sort_block_sortIS3_N6thrust23THRUST_200600_302600_NS6detail15normal_iteratorINS9_10device_ptrIxEEEESE_PS5_SF_11less_div_10IxEEE10hipError_tT0_T1_T2_T3_mRjT4_P12ihipStream_tbNS1_7vsmem_tEEUlT_E_NS1_11comp_targetILNS1_3genE9ELNS1_11target_archE1100ELNS1_3gpuE3ELNS1_3repE0EEENS1_30default_config_static_selectorELNS0_4arch9wavefront6targetE0EEEvSK_,"axG",@progbits,_ZN7rocprim17ROCPRIM_400000_NS6detail17trampoline_kernelINS0_14default_configENS1_37merge_sort_block_sort_config_selectorIxNS0_10empty_typeEEEZNS1_21merge_sort_block_sortIS3_N6thrust23THRUST_200600_302600_NS6detail15normal_iteratorINS9_10device_ptrIxEEEESE_PS5_SF_11less_div_10IxEEE10hipError_tT0_T1_T2_T3_mRjT4_P12ihipStream_tbNS1_7vsmem_tEEUlT_E_NS1_11comp_targetILNS1_3genE9ELNS1_11target_archE1100ELNS1_3gpuE3ELNS1_3repE0EEENS1_30default_config_static_selectorELNS0_4arch9wavefront6targetE0EEEvSK_,comdat
.Lfunc_end334:
	.size	_ZN7rocprim17ROCPRIM_400000_NS6detail17trampoline_kernelINS0_14default_configENS1_37merge_sort_block_sort_config_selectorIxNS0_10empty_typeEEEZNS1_21merge_sort_block_sortIS3_N6thrust23THRUST_200600_302600_NS6detail15normal_iteratorINS9_10device_ptrIxEEEESE_PS5_SF_11less_div_10IxEEE10hipError_tT0_T1_T2_T3_mRjT4_P12ihipStream_tbNS1_7vsmem_tEEUlT_E_NS1_11comp_targetILNS1_3genE9ELNS1_11target_archE1100ELNS1_3gpuE3ELNS1_3repE0EEENS1_30default_config_static_selectorELNS0_4arch9wavefront6targetE0EEEvSK_, .Lfunc_end334-_ZN7rocprim17ROCPRIM_400000_NS6detail17trampoline_kernelINS0_14default_configENS1_37merge_sort_block_sort_config_selectorIxNS0_10empty_typeEEEZNS1_21merge_sort_block_sortIS3_N6thrust23THRUST_200600_302600_NS6detail15normal_iteratorINS9_10device_ptrIxEEEESE_PS5_SF_11less_div_10IxEEE10hipError_tT0_T1_T2_T3_mRjT4_P12ihipStream_tbNS1_7vsmem_tEEUlT_E_NS1_11comp_targetILNS1_3genE9ELNS1_11target_archE1100ELNS1_3gpuE3ELNS1_3repE0EEENS1_30default_config_static_selectorELNS0_4arch9wavefront6targetE0EEEvSK_
                                        ; -- End function
	.set _ZN7rocprim17ROCPRIM_400000_NS6detail17trampoline_kernelINS0_14default_configENS1_37merge_sort_block_sort_config_selectorIxNS0_10empty_typeEEEZNS1_21merge_sort_block_sortIS3_N6thrust23THRUST_200600_302600_NS6detail15normal_iteratorINS9_10device_ptrIxEEEESE_PS5_SF_11less_div_10IxEEE10hipError_tT0_T1_T2_T3_mRjT4_P12ihipStream_tbNS1_7vsmem_tEEUlT_E_NS1_11comp_targetILNS1_3genE9ELNS1_11target_archE1100ELNS1_3gpuE3ELNS1_3repE0EEENS1_30default_config_static_selectorELNS0_4arch9wavefront6targetE0EEEvSK_.num_vgpr, 0
	.set _ZN7rocprim17ROCPRIM_400000_NS6detail17trampoline_kernelINS0_14default_configENS1_37merge_sort_block_sort_config_selectorIxNS0_10empty_typeEEEZNS1_21merge_sort_block_sortIS3_N6thrust23THRUST_200600_302600_NS6detail15normal_iteratorINS9_10device_ptrIxEEEESE_PS5_SF_11less_div_10IxEEE10hipError_tT0_T1_T2_T3_mRjT4_P12ihipStream_tbNS1_7vsmem_tEEUlT_E_NS1_11comp_targetILNS1_3genE9ELNS1_11target_archE1100ELNS1_3gpuE3ELNS1_3repE0EEENS1_30default_config_static_selectorELNS0_4arch9wavefront6targetE0EEEvSK_.num_agpr, 0
	.set _ZN7rocprim17ROCPRIM_400000_NS6detail17trampoline_kernelINS0_14default_configENS1_37merge_sort_block_sort_config_selectorIxNS0_10empty_typeEEEZNS1_21merge_sort_block_sortIS3_N6thrust23THRUST_200600_302600_NS6detail15normal_iteratorINS9_10device_ptrIxEEEESE_PS5_SF_11less_div_10IxEEE10hipError_tT0_T1_T2_T3_mRjT4_P12ihipStream_tbNS1_7vsmem_tEEUlT_E_NS1_11comp_targetILNS1_3genE9ELNS1_11target_archE1100ELNS1_3gpuE3ELNS1_3repE0EEENS1_30default_config_static_selectorELNS0_4arch9wavefront6targetE0EEEvSK_.numbered_sgpr, 0
	.set _ZN7rocprim17ROCPRIM_400000_NS6detail17trampoline_kernelINS0_14default_configENS1_37merge_sort_block_sort_config_selectorIxNS0_10empty_typeEEEZNS1_21merge_sort_block_sortIS3_N6thrust23THRUST_200600_302600_NS6detail15normal_iteratorINS9_10device_ptrIxEEEESE_PS5_SF_11less_div_10IxEEE10hipError_tT0_T1_T2_T3_mRjT4_P12ihipStream_tbNS1_7vsmem_tEEUlT_E_NS1_11comp_targetILNS1_3genE9ELNS1_11target_archE1100ELNS1_3gpuE3ELNS1_3repE0EEENS1_30default_config_static_selectorELNS0_4arch9wavefront6targetE0EEEvSK_.num_named_barrier, 0
	.set _ZN7rocprim17ROCPRIM_400000_NS6detail17trampoline_kernelINS0_14default_configENS1_37merge_sort_block_sort_config_selectorIxNS0_10empty_typeEEEZNS1_21merge_sort_block_sortIS3_N6thrust23THRUST_200600_302600_NS6detail15normal_iteratorINS9_10device_ptrIxEEEESE_PS5_SF_11less_div_10IxEEE10hipError_tT0_T1_T2_T3_mRjT4_P12ihipStream_tbNS1_7vsmem_tEEUlT_E_NS1_11comp_targetILNS1_3genE9ELNS1_11target_archE1100ELNS1_3gpuE3ELNS1_3repE0EEENS1_30default_config_static_selectorELNS0_4arch9wavefront6targetE0EEEvSK_.private_seg_size, 0
	.set _ZN7rocprim17ROCPRIM_400000_NS6detail17trampoline_kernelINS0_14default_configENS1_37merge_sort_block_sort_config_selectorIxNS0_10empty_typeEEEZNS1_21merge_sort_block_sortIS3_N6thrust23THRUST_200600_302600_NS6detail15normal_iteratorINS9_10device_ptrIxEEEESE_PS5_SF_11less_div_10IxEEE10hipError_tT0_T1_T2_T3_mRjT4_P12ihipStream_tbNS1_7vsmem_tEEUlT_E_NS1_11comp_targetILNS1_3genE9ELNS1_11target_archE1100ELNS1_3gpuE3ELNS1_3repE0EEENS1_30default_config_static_selectorELNS0_4arch9wavefront6targetE0EEEvSK_.uses_vcc, 0
	.set _ZN7rocprim17ROCPRIM_400000_NS6detail17trampoline_kernelINS0_14default_configENS1_37merge_sort_block_sort_config_selectorIxNS0_10empty_typeEEEZNS1_21merge_sort_block_sortIS3_N6thrust23THRUST_200600_302600_NS6detail15normal_iteratorINS9_10device_ptrIxEEEESE_PS5_SF_11less_div_10IxEEE10hipError_tT0_T1_T2_T3_mRjT4_P12ihipStream_tbNS1_7vsmem_tEEUlT_E_NS1_11comp_targetILNS1_3genE9ELNS1_11target_archE1100ELNS1_3gpuE3ELNS1_3repE0EEENS1_30default_config_static_selectorELNS0_4arch9wavefront6targetE0EEEvSK_.uses_flat_scratch, 0
	.set _ZN7rocprim17ROCPRIM_400000_NS6detail17trampoline_kernelINS0_14default_configENS1_37merge_sort_block_sort_config_selectorIxNS0_10empty_typeEEEZNS1_21merge_sort_block_sortIS3_N6thrust23THRUST_200600_302600_NS6detail15normal_iteratorINS9_10device_ptrIxEEEESE_PS5_SF_11less_div_10IxEEE10hipError_tT0_T1_T2_T3_mRjT4_P12ihipStream_tbNS1_7vsmem_tEEUlT_E_NS1_11comp_targetILNS1_3genE9ELNS1_11target_archE1100ELNS1_3gpuE3ELNS1_3repE0EEENS1_30default_config_static_selectorELNS0_4arch9wavefront6targetE0EEEvSK_.has_dyn_sized_stack, 0
	.set _ZN7rocprim17ROCPRIM_400000_NS6detail17trampoline_kernelINS0_14default_configENS1_37merge_sort_block_sort_config_selectorIxNS0_10empty_typeEEEZNS1_21merge_sort_block_sortIS3_N6thrust23THRUST_200600_302600_NS6detail15normal_iteratorINS9_10device_ptrIxEEEESE_PS5_SF_11less_div_10IxEEE10hipError_tT0_T1_T2_T3_mRjT4_P12ihipStream_tbNS1_7vsmem_tEEUlT_E_NS1_11comp_targetILNS1_3genE9ELNS1_11target_archE1100ELNS1_3gpuE3ELNS1_3repE0EEENS1_30default_config_static_selectorELNS0_4arch9wavefront6targetE0EEEvSK_.has_recursion, 0
	.set _ZN7rocprim17ROCPRIM_400000_NS6detail17trampoline_kernelINS0_14default_configENS1_37merge_sort_block_sort_config_selectorIxNS0_10empty_typeEEEZNS1_21merge_sort_block_sortIS3_N6thrust23THRUST_200600_302600_NS6detail15normal_iteratorINS9_10device_ptrIxEEEESE_PS5_SF_11less_div_10IxEEE10hipError_tT0_T1_T2_T3_mRjT4_P12ihipStream_tbNS1_7vsmem_tEEUlT_E_NS1_11comp_targetILNS1_3genE9ELNS1_11target_archE1100ELNS1_3gpuE3ELNS1_3repE0EEENS1_30default_config_static_selectorELNS0_4arch9wavefront6targetE0EEEvSK_.has_indirect_call, 0
	.section	.AMDGPU.csdata,"",@progbits
; Kernel info:
; codeLenInByte = 0
; TotalNumSgprs: 0
; NumVgprs: 0
; ScratchSize: 0
; MemoryBound: 0
; FloatMode: 240
; IeeeMode: 1
; LDSByteSize: 0 bytes/workgroup (compile time only)
; SGPRBlocks: 0
; VGPRBlocks: 0
; NumSGPRsForWavesPerEU: 1
; NumVGPRsForWavesPerEU: 1
; Occupancy: 16
; WaveLimiterHint : 0
; COMPUTE_PGM_RSRC2:SCRATCH_EN: 0
; COMPUTE_PGM_RSRC2:USER_SGPR: 6
; COMPUTE_PGM_RSRC2:TRAP_HANDLER: 0
; COMPUTE_PGM_RSRC2:TGID_X_EN: 1
; COMPUTE_PGM_RSRC2:TGID_Y_EN: 0
; COMPUTE_PGM_RSRC2:TGID_Z_EN: 0
; COMPUTE_PGM_RSRC2:TIDIG_COMP_CNT: 0
	.section	.text._ZN7rocprim17ROCPRIM_400000_NS6detail17trampoline_kernelINS0_14default_configENS1_37merge_sort_block_sort_config_selectorIxNS0_10empty_typeEEEZNS1_21merge_sort_block_sortIS3_N6thrust23THRUST_200600_302600_NS6detail15normal_iteratorINS9_10device_ptrIxEEEESE_PS5_SF_11less_div_10IxEEE10hipError_tT0_T1_T2_T3_mRjT4_P12ihipStream_tbNS1_7vsmem_tEEUlT_E_NS1_11comp_targetILNS1_3genE8ELNS1_11target_archE1030ELNS1_3gpuE2ELNS1_3repE0EEENS1_30default_config_static_selectorELNS0_4arch9wavefront6targetE0EEEvSK_,"axG",@progbits,_ZN7rocprim17ROCPRIM_400000_NS6detail17trampoline_kernelINS0_14default_configENS1_37merge_sort_block_sort_config_selectorIxNS0_10empty_typeEEEZNS1_21merge_sort_block_sortIS3_N6thrust23THRUST_200600_302600_NS6detail15normal_iteratorINS9_10device_ptrIxEEEESE_PS5_SF_11less_div_10IxEEE10hipError_tT0_T1_T2_T3_mRjT4_P12ihipStream_tbNS1_7vsmem_tEEUlT_E_NS1_11comp_targetILNS1_3genE8ELNS1_11target_archE1030ELNS1_3gpuE2ELNS1_3repE0EEENS1_30default_config_static_selectorELNS0_4arch9wavefront6targetE0EEEvSK_,comdat
	.protected	_ZN7rocprim17ROCPRIM_400000_NS6detail17trampoline_kernelINS0_14default_configENS1_37merge_sort_block_sort_config_selectorIxNS0_10empty_typeEEEZNS1_21merge_sort_block_sortIS3_N6thrust23THRUST_200600_302600_NS6detail15normal_iteratorINS9_10device_ptrIxEEEESE_PS5_SF_11less_div_10IxEEE10hipError_tT0_T1_T2_T3_mRjT4_P12ihipStream_tbNS1_7vsmem_tEEUlT_E_NS1_11comp_targetILNS1_3genE8ELNS1_11target_archE1030ELNS1_3gpuE2ELNS1_3repE0EEENS1_30default_config_static_selectorELNS0_4arch9wavefront6targetE0EEEvSK_ ; -- Begin function _ZN7rocprim17ROCPRIM_400000_NS6detail17trampoline_kernelINS0_14default_configENS1_37merge_sort_block_sort_config_selectorIxNS0_10empty_typeEEEZNS1_21merge_sort_block_sortIS3_N6thrust23THRUST_200600_302600_NS6detail15normal_iteratorINS9_10device_ptrIxEEEESE_PS5_SF_11less_div_10IxEEE10hipError_tT0_T1_T2_T3_mRjT4_P12ihipStream_tbNS1_7vsmem_tEEUlT_E_NS1_11comp_targetILNS1_3genE8ELNS1_11target_archE1030ELNS1_3gpuE2ELNS1_3repE0EEENS1_30default_config_static_selectorELNS0_4arch9wavefront6targetE0EEEvSK_
	.globl	_ZN7rocprim17ROCPRIM_400000_NS6detail17trampoline_kernelINS0_14default_configENS1_37merge_sort_block_sort_config_selectorIxNS0_10empty_typeEEEZNS1_21merge_sort_block_sortIS3_N6thrust23THRUST_200600_302600_NS6detail15normal_iteratorINS9_10device_ptrIxEEEESE_PS5_SF_11less_div_10IxEEE10hipError_tT0_T1_T2_T3_mRjT4_P12ihipStream_tbNS1_7vsmem_tEEUlT_E_NS1_11comp_targetILNS1_3genE8ELNS1_11target_archE1030ELNS1_3gpuE2ELNS1_3repE0EEENS1_30default_config_static_selectorELNS0_4arch9wavefront6targetE0EEEvSK_
	.p2align	8
	.type	_ZN7rocprim17ROCPRIM_400000_NS6detail17trampoline_kernelINS0_14default_configENS1_37merge_sort_block_sort_config_selectorIxNS0_10empty_typeEEEZNS1_21merge_sort_block_sortIS3_N6thrust23THRUST_200600_302600_NS6detail15normal_iteratorINS9_10device_ptrIxEEEESE_PS5_SF_11less_div_10IxEEE10hipError_tT0_T1_T2_T3_mRjT4_P12ihipStream_tbNS1_7vsmem_tEEUlT_E_NS1_11comp_targetILNS1_3genE8ELNS1_11target_archE1030ELNS1_3gpuE2ELNS1_3repE0EEENS1_30default_config_static_selectorELNS0_4arch9wavefront6targetE0EEEvSK_,@function
_ZN7rocprim17ROCPRIM_400000_NS6detail17trampoline_kernelINS0_14default_configENS1_37merge_sort_block_sort_config_selectorIxNS0_10empty_typeEEEZNS1_21merge_sort_block_sortIS3_N6thrust23THRUST_200600_302600_NS6detail15normal_iteratorINS9_10device_ptrIxEEEESE_PS5_SF_11less_div_10IxEEE10hipError_tT0_T1_T2_T3_mRjT4_P12ihipStream_tbNS1_7vsmem_tEEUlT_E_NS1_11comp_targetILNS1_3genE8ELNS1_11target_archE1030ELNS1_3gpuE2ELNS1_3repE0EEENS1_30default_config_static_selectorELNS0_4arch9wavefront6targetE0EEEvSK_: ; @_ZN7rocprim17ROCPRIM_400000_NS6detail17trampoline_kernelINS0_14default_configENS1_37merge_sort_block_sort_config_selectorIxNS0_10empty_typeEEEZNS1_21merge_sort_block_sortIS3_N6thrust23THRUST_200600_302600_NS6detail15normal_iteratorINS9_10device_ptrIxEEEESE_PS5_SF_11less_div_10IxEEE10hipError_tT0_T1_T2_T3_mRjT4_P12ihipStream_tbNS1_7vsmem_tEEUlT_E_NS1_11comp_targetILNS1_3genE8ELNS1_11target_archE1030ELNS1_3gpuE2ELNS1_3repE0EEENS1_30default_config_static_selectorELNS0_4arch9wavefront6targetE0EEEvSK_
; %bb.0:
	s_clause 0x1
	s_load_dwordx2 s[10:11], s[4:5], 0x40
	s_load_dword s0, s[4:5], 0x0
	s_add_u32 s2, s4, 64
	s_addc_u32 s3, s5, 0
	s_waitcnt lgkmcnt(0)
	s_mul_i32 s1, s11, s8
	s_add_i32 s1, s1, s7
	s_mul_i32 s1, s1, s10
	s_add_i32 s8, s1, s6
	s_cmp_ge_u32 s8, s0
	s_cbranch_scc1 .LBB335_345
; %bb.1:
	s_clause 0x1
	s_load_dwordx2 s[12:13], s[4:5], 0x8
	s_load_dwordx4 s[16:19], s[4:5], 0x18
	s_mov_b32 s9, 0
	v_mov_b32_e32 v3, v1
	s_lshl_b64 s[0:1], s[8:9], 13
	v_lshlrev_b32_e32 v28, 3, v0
	v_lshrrev_b32_e32 v30, 2, v0
	v_or_b32_e32 v33, 0x100, v0
	v_or_b32_e32 v32, 0x200, v0
	;; [unrolled: 1-line block ×3, first 2 shown]
	v_and_b32_e32 v29, 0xf8, v0
	s_waitcnt lgkmcnt(0)
	s_lshr_b64 s[14:15], s[12:13], 10
	s_add_u32 s4, s16, s0
	s_addc_u32 s5, s17, s1
	s_add_u32 s11, s18, s0
	s_addc_u32 s13, s19, s1
	s_cmp_lg_u64 s[14:15], s[8:9]
	s_cbranch_scc0 .LBB335_205
; %bb.2:
	v_add_co_u32 v4, s0, s4, v28
	v_add_co_ci_u32_e64 v5, null, s5, 0, s0
	v_lshrrev_b32_e32 v1, 2, v33
	v_add_co_u32 v6, vcc_lo, 0x800, v4
	v_add_co_ci_u32_e64 v7, null, 0, v5, vcc_lo
	v_add_co_u32 v8, vcc_lo, 0x1000, v4
	v_add_co_ci_u32_e64 v9, null, 0, v5, vcc_lo
	;; [unrolled: 2-line block ×3, first 2 shown]
	s_clause 0x3
	flat_load_dwordx2 v[4:5], v[4:5]
	flat_load_dwordx2 v[6:7], v[6:7]
	;; [unrolled: 1-line block ×4, first 2 shown]
	v_lshrrev_b32_e32 v12, 2, v32
	v_lshrrev_b32_e32 v13, 2, v31
	v_and_b32_e32 v14, 56, v30
	v_and_b32_e32 v1, 0x78, v1
	v_lshl_add_u32 v38, v0, 5, v29
	v_and_b32_e32 v12, 0xb8, v12
	v_and_b32_e32 v13, 0xf8, v13
	v_add_nc_u32_e32 v34, v14, v28
	v_add_nc_u32_e32 v35, v1, v28
	v_mov_b32_e32 v1, 0
	v_add_nc_u32_e32 v36, v12, v28
	v_add_nc_u32_e32 v37, v13, v28
	s_waitcnt vmcnt(3) lgkmcnt(3)
	ds_write_b64 v34, v[4:5]
	s_waitcnt vmcnt(2) lgkmcnt(3)
	ds_write_b64 v35, v[6:7] offset:2048
	s_waitcnt vmcnt(1) lgkmcnt(3)
	ds_write_b64 v36, v[8:9] offset:4096
	;; [unrolled: 2-line block ×3, first 2 shown]
	s_waitcnt lgkmcnt(0)
	s_barrier
	buffer_gl0_inv
	ds_read2_b64 v[12:15], v38 offset1:1
	ds_read2_b64 v[16:19], v38 offset0:2 offset1:3
	s_waitcnt lgkmcnt(0)
	s_barrier
	buffer_gl0_inv
	s_load_dword s0, s[2:3], 0xc
	s_waitcnt lgkmcnt(0)
	s_lshr_b32 s7, s0, 16
	s_cmp_lt_u32 s6, s10
	v_mad_u32_u24 v5, v2, s7, v3
	s_cselect_b32 s0, 12, 18
	s_mov_b32 s7, exec_lo
	s_add_u32 s0, s2, s0
	s_addc_u32 s1, s3, 0
	global_load_ushort v4, v1, s[0:1]
	s_waitcnt vmcnt(0)
	v_mul_lo_u32 v4, v5, v4
	v_add_lshl_u32 v39, v4, v0, 2
	v_mov_b32_e32 v4, v12
	v_mov_b32_e32 v5, v13
	;; [unrolled: 1-line block ×8, first 2 shown]
	v_cmpx_gt_u32_e32 0x400, v39
	s_cbranch_execz .LBB335_12
; %bb.3:
	v_mul_hi_i32 v4, 0x66666667, v14
	v_mul_hi_i32 v5, 0x66666667, v12
	;; [unrolled: 1-line block ×4, first 2 shown]
	v_mov_b32_e32 v24, v16
	v_mov_b32_e32 v25, v17
	;; [unrolled: 1-line block ×4, first 2 shown]
	v_lshrrev_b32_e32 v8, 31, v4
	v_ashrrev_i32_e32 v4, 2, v4
	v_lshrrev_b32_e32 v9, 31, v5
	v_ashrrev_i32_e32 v5, 2, v5
	;; [unrolled: 2-line block ×3, first 2 shown]
	v_add_nc_u32_e32 v4, v4, v8
	v_lshrrev_b32_e32 v8, 31, v7
	v_add_nc_u32_e32 v5, v5, v9
	v_ashrrev_i32_e32 v7, 2, v7
	v_add_nc_u32_e32 v41, v6, v10
	s_mov_b32 s0, exec_lo
	v_cmp_lt_i32_e32 vcc_lo, v4, v5
	v_add_nc_u32_e32 v40, v7, v8
	v_cndmask_b32_e32 v20, v12, v14, vcc_lo
	v_cndmask_b32_e32 v23, v15, v13, vcc_lo
	;; [unrolled: 1-line block ×4, first 2 shown]
	v_mov_b32_e32 v14, v18
	v_mov_b32_e32 v4, v20
	;; [unrolled: 1-line block ×10, first 2 shown]
	v_cmpx_lt_i32_e64 v41, v40
	s_cbranch_execz .LBB335_5
; %bb.4:
	v_mov_b32_e32 v24, v18
	v_mov_b32_e32 v25, v19
	;; [unrolled: 1-line block ×17, first 2 shown]
.LBB335_5:
	s_or_b32 exec_lo, exec_lo, s0
	v_mul_hi_i32 v12, 0x66666667, v22
	s_mov_b32 s0, exec_lo
                                        ; implicit-def: $vgpr24
	v_lshrrev_b32_e32 v13, 31, v12
	v_ashrrev_i32_e32 v12, 2, v12
	v_add_nc_u32_e32 v12, v12, v13
	v_cmpx_ge_i32_e64 v40, v12
	s_xor_b32 s0, exec_lo, s0
; %bb.6:
	v_mul_hi_i32 v13, 0x66666667, v16
                                        ; implicit-def: $vgpr40
	v_lshrrev_b32_e32 v18, 31, v13
	v_ashrrev_i32_e32 v13, 2, v13
	v_add_nc_u32_e32 v24, v13, v18
; %bb.7:
	s_or_saveexec_b32 s0, s0
	v_mov_b32_e32 v19, v17
	v_mov_b32_e32 v18, v16
	s_xor_b32 exec_lo, exec_lo, s0
	s_cbranch_execz .LBB335_9
; %bb.8:
	v_mov_b32_e32 v18, v22
	v_mov_b32_e32 v8, v22
	;; [unrolled: 1-line block ×10, first 2 shown]
.LBB335_9:
	s_or_b32 exec_lo, exec_lo, s0
	v_mul_hi_i32 v13, 0x66666667, v20
	v_mul_hi_i32 v17, 0x66666667, v14
	s_mov_b32 s14, exec_lo
	v_lshrrev_b32_e32 v16, 31, v13
	v_ashrrev_i32_e32 v13, 2, v13
	v_add_nc_u32_e32 v13, v13, v16
	v_cmp_lt_i32_e32 vcc_lo, v12, v13
	v_lshrrev_b32_e32 v12, 31, v17
	v_ashrrev_i32_e32 v13, 2, v17
	v_cndmask_b32_e32 v16, v22, v20, vcc_lo
	v_cndmask_b32_e32 v7, v7, v21, vcc_lo
	v_add_nc_u32_e32 v25, v13, v12
	v_cndmask_b32_e32 v6, v6, v20, vcc_lo
	v_cndmask_b32_e32 v5, v5, v23, vcc_lo
	v_mul_hi_i32 v17, 0x66666667, v16
	v_cndmask_b32_e32 v4, v4, v22, vcc_lo
	v_cmp_lt_i32_e64 s0, v25, v24
	v_cndmask_b32_e32 v13, v21, v23, vcc_lo
	v_cndmask_b32_e32 v12, v20, v22, vcc_lo
	v_min_i32_e32 v20, v25, v24
	v_cndmask_b32_e64 v11, v11, v19, s0
	v_lshrrev_b32_e32 v26, 31, v17
	v_ashrrev_i32_e32 v17, 2, v17
	v_cndmask_b32_e64 v10, v10, v18, s0
	v_cndmask_b32_e64 v9, v9, v15, s0
	;; [unrolled: 1-line block ×3, first 2 shown]
	v_add_nc_u32_e32 v17, v17, v26
	v_cmpx_lt_i32_e64 v20, v17
; %bb.10:
	v_cndmask_b32_e32 v9, v23, v21, vcc_lo
	v_cndmask_b32_e64 v7, v19, v15, s0
	v_cndmask_b32_e64 v6, v18, v14, s0
	v_mov_b32_e32 v8, v16
; %bb.11:
	s_or_b32 exec_lo, exec_lo, s14
.LBB335_12:
	s_or_b32 exec_lo, exec_lo, s7
	v_mbcnt_lo_u32_b32 v15, -1, 0
	v_and_b32_e32 v14, 0xffffff80, v39
	v_lshlrev_b32_e32 v16, 2, v0
	s_mov_b32 s0, 0
	s_mov_b32 s1, exec_lo
	v_lshlrev_b32_e32 v19, 2, v15
	v_sub_nc_u32_e64 v18, 0x400, v14 clamp
	v_or_b32_e32 v17, 4, v19
	v_and_b32_e32 v20, 4, v19
	v_and_b32_e32 v25, 0x78, v19
	v_min_u32_e32 v21, v18, v17
	v_min_u32_e32 v26, v18, v20
	v_add_nc_u32_e32 v17, 4, v21
	v_sub_nc_u32_e32 v24, v21, v25
	v_min_u32_e32 v22, v18, v17
	v_lshlrev_b32_e32 v17, 3, v14
	v_mov_b32_e32 v14, v6
	v_min_u32_e32 v27, v26, v24
	v_sub_nc_u32_e32 v23, v22, v21
	v_lshl_or_b32 v20, v15, 5, v17
	v_mov_b32_e32 v15, v7
	v_lshl_or_b32 v24, v25, 3, v17
	ds_write_b128 v20, v[12:15]
	ds_write_b128 v20, v[8:11] offset:16
	v_sub_nc_u32_e64 v23, v26, v23 clamp
	; wave barrier
	v_cmpx_lt_u32_e64 v23, v27
	s_cbranch_execz .LBB335_16
; %bb.13:
	v_lshlrev_b32_e32 v12, 3, v21
	v_lshlrev_b32_e32 v13, 3, v26
	v_add3_u32 v12, v17, v12, v13
	.p2align	6
.LBB335_14:                             ; =>This Inner Loop Header: Depth=1
	v_add_nc_u32_e32 v13, v27, v23
	v_lshrrev_b32_e32 v13, 1, v13
	v_not_b32_e32 v14, v13
	v_lshl_add_u32 v15, v13, 3, v24
	v_lshl_add_u32 v14, v14, 3, v12
	ds_read_b32 v15, v15
	ds_read_b32 v14, v14
	s_waitcnt lgkmcnt(1)
	v_mul_hi_i32 v15, 0x66666667, v15
	s_waitcnt lgkmcnt(0)
	v_mul_hi_i32 v14, 0x66666667, v14
	v_lshrrev_b32_e32 v39, 31, v15
	v_ashrrev_i32_e32 v15, 2, v15
	v_lshrrev_b32_e32 v40, 31, v14
	v_ashrrev_i32_e32 v14, 2, v14
	v_add_nc_u32_e32 v15, v15, v39
	v_add_nc_u32_e32 v39, 1, v13
	;; [unrolled: 1-line block ×3, first 2 shown]
	v_cmp_lt_i32_e32 vcc_lo, v14, v15
	v_cndmask_b32_e32 v27, v27, v13, vcc_lo
	v_cndmask_b32_e32 v23, v39, v23, vcc_lo
	v_cmp_ge_u32_e32 vcc_lo, v23, v27
	s_or_b32 s0, vcc_lo, s0
	s_andn2_b32 exec_lo, exec_lo, s0
	s_cbranch_execnz .LBB335_14
; %bb.15:
	s_or_b32 exec_lo, exec_lo, s0
.LBB335_16:
	s_or_b32 exec_lo, exec_lo, s1
	v_add_nc_u32_e32 v13, v21, v26
	v_add_nc_u32_e32 v12, v23, v25
	v_sub_nc_u32_e32 v13, v13, v23
	v_cmp_le_u32_e32 vcc_lo, v12, v21
	v_cmp_le_u32_e64 s0, v13, v22
	s_or_b32 s0, vcc_lo, s0
	s_and_saveexec_b32 s1, s0
	s_cbranch_execz .LBB335_36
; %bb.17:
	s_mov_b32 s7, exec_lo
	v_cmp_ge_u32_e32 vcc_lo, v12, v21
                                        ; implicit-def: $vgpr4_vgpr5
	v_cmpx_lt_u32_e64 v12, v21
; %bb.18:
	v_lshl_add_u32 v4, v23, 3, v24
	ds_read_b64 v[4:5], v4
; %bb.19:
	s_or_b32 exec_lo, exec_lo, s7
	v_cmp_ge_u32_e64 s7, v13, v22
	s_mov_b32 s14, exec_lo
                                        ; implicit-def: $vgpr6_vgpr7
	v_cmpx_lt_u32_e64 v13, v22
; %bb.20:
	v_lshl_add_u32 v6, v13, 3, v17
	ds_read_b64 v[6:7], v6
; %bb.21:
	s_or_b32 exec_lo, exec_lo, s14
	s_nor_b32 s14, vcc_lo, s7
	s_and_saveexec_b32 s0, s14
	s_cbranch_execz .LBB335_23
; %bb.22:
	s_waitcnt lgkmcnt(0)
	v_mul_hi_i32 v8, 0x66666667, v6
	v_mul_hi_i32 v9, 0x66666667, v4
	s_andn2_b32 s7, s7, exec_lo
	v_lshrrev_b32_e32 v10, 31, v8
	v_ashrrev_i32_e32 v8, 2, v8
	v_lshrrev_b32_e32 v11, 31, v9
	v_ashrrev_i32_e32 v9, 2, v9
	v_add_nc_u32_e32 v8, v8, v10
	v_add_nc_u32_e32 v9, v9, v11
	v_cmp_ge_i32_e32 vcc_lo, v8, v9
	s_and_b32 s14, vcc_lo, exec_lo
	s_or_b32 s7, s7, s14
.LBB335_23:
	s_or_b32 exec_lo, exec_lo, s0
	v_cndmask_b32_e64 v8, v13, v12, s7
	v_cndmask_b32_e64 v9, v22, v21, s7
	s_mov_b32 s0, -1
	s_mov_b32 s14, -1
	s_mov_b32 s15, exec_lo
	v_add_nc_u32_e32 v14, 1, v8
	v_add_nc_u32_e32 v8, -1, v9
	v_cndmask_b32_e64 v9, v12, v14, s7
	v_min_u32_e32 v8, v14, v8
	v_lshl_add_u32 v8, v8, 3, v17
	ds_read_b64 v[10:11], v8
	v_cndmask_b32_e64 v8, v14, v13, s7
	s_waitcnt lgkmcnt(0)
	v_cndmask_b32_e64 v12, v11, v7, s7
	v_cndmask_b32_e64 v13, v10, v6, s7
	;; [unrolled: 1-line block ×4, first 2 shown]
	v_cmpx_lt_u32_e64 v8, v22
	s_cbranch_execz .LBB335_27
; %bb.24:
	s_mov_b32 s16, 0
	s_mov_b32 s14, exec_lo
	v_cmpx_lt_u32_e64 v9, v21
	s_cbranch_execz .LBB335_26
; %bb.25:
	v_mul_hi_i32 v10, 0x66666667, v13
	v_mul_hi_i32 v11, 0x66666667, v15
	v_lshrrev_b32_e32 v23, 31, v10
	v_ashrrev_i32_e32 v10, 2, v10
	v_lshrrev_b32_e32 v24, 31, v11
	v_ashrrev_i32_e32 v11, 2, v11
	v_add_nc_u32_e32 v10, v10, v23
	v_add_nc_u32_e32 v11, v11, v24
	v_cmp_ge_i32_e32 vcc_lo, v10, v11
	s_and_b32 s16, vcc_lo, exec_lo
.LBB335_26:
	s_or_b32 exec_lo, exec_lo, s14
	s_orn2_b32 s14, s16, exec_lo
.LBB335_27:
	s_or_b32 exec_lo, exec_lo, s15
	v_cndmask_b32_e64 v10, v8, v9, s14
	v_cndmask_b32_e64 v11, v22, v21, s14
	s_mov_b32 s15, exec_lo
	v_add_nc_u32_e32 v23, 1, v10
	v_add_nc_u32_e32 v10, -1, v11
	v_cndmask_b32_e64 v27, v9, v23, s14
	v_min_u32_e32 v10, v23, v10
	v_lshl_add_u32 v10, v10, 3, v17
	ds_read_b64 v[39:40], v10
	v_cndmask_b32_e64 v10, v23, v8, s14
	s_waitcnt lgkmcnt(0)
	v_cndmask_b32_e64 v23, v40, v12, s14
	v_cndmask_b32_e64 v24, v39, v13, s14
	;; [unrolled: 1-line block ×4, first 2 shown]
	v_cmpx_lt_u32_e64 v10, v22
	s_cbranch_execz .LBB335_31
; %bb.28:
	s_mov_b32 s16, 0
	s_mov_b32 s0, exec_lo
	v_cmpx_lt_u32_e64 v27, v21
	s_cbranch_execz .LBB335_30
; %bb.29:
	v_mul_hi_i32 v8, 0x66666667, v24
	v_mul_hi_i32 v9, 0x66666667, v26
	v_lshrrev_b32_e32 v11, 31, v8
	v_ashrrev_i32_e32 v8, 2, v8
	v_lshrrev_b32_e32 v39, 31, v9
	v_ashrrev_i32_e32 v9, 2, v9
	v_add_nc_u32_e32 v8, v8, v11
	v_add_nc_u32_e32 v9, v9, v39
	v_cmp_ge_i32_e32 vcc_lo, v8, v9
	s_and_b32 s16, vcc_lo, exec_lo
.LBB335_30:
	s_or_b32 exec_lo, exec_lo, s0
	s_orn2_b32 s0, s16, exec_lo
.LBB335_31:
	s_or_b32 exec_lo, exec_lo, s15
	v_cndmask_b32_e64 v8, v10, v27, s0
	v_cndmask_b32_e64 v9, v22, v21, s0
	s_mov_b32 s15, exec_lo
	v_add_nc_u32_e32 v39, 1, v8
	v_add_nc_u32_e32 v8, -1, v9
	v_cndmask_b32_e64 v40, v39, v10, s0
	v_min_u32_e32 v8, v39, v8
	v_lshl_add_u32 v8, v8, 3, v17
	ds_read_b64 v[8:9], v8
	s_waitcnt lgkmcnt(0)
	v_cndmask_b32_e64 v11, v25, v9, s0
	v_cndmask_b32_e64 v10, v26, v8, s0
	v_cmpx_lt_u32_e64 v40, v22
	s_cbranch_execz .LBB335_35
; %bb.32:
	v_cndmask_b32_e64 v22, v27, v39, s0
	v_cndmask_b32_e64 v9, v9, v23, s0
	;; [unrolled: 1-line block ×3, first 2 shown]
	s_mov_b32 s16, exec_lo
	v_cmpx_lt_u32_e64 v22, v21
	s_cbranch_execz .LBB335_34
; %bb.33:
	v_mul_hi_i32 v21, 0x66666667, v8
	v_mul_hi_i32 v22, 0x66666667, v10
	v_lshrrev_b32_e32 v27, 31, v21
	v_ashrrev_i32_e32 v21, 2, v21
	v_lshrrev_b32_e32 v39, 31, v22
	v_ashrrev_i32_e32 v22, 2, v22
	v_add_nc_u32_e32 v21, v21, v27
	v_add_nc_u32_e32 v22, v22, v39
	v_cmp_lt_i32_e32 vcc_lo, v21, v22
	v_cndmask_b32_e32 v9, v11, v9, vcc_lo
	v_cndmask_b32_e32 v8, v10, v8, vcc_lo
.LBB335_34:
	s_or_b32 exec_lo, exec_lo, s16
	v_mov_b32_e32 v11, v9
	v_mov_b32_e32 v10, v8
.LBB335_35:
	s_or_b32 exec_lo, exec_lo, s15
	v_cndmask_b32_e64 v5, v7, v5, s7
	v_cndmask_b32_e64 v4, v6, v4, s7
	;; [unrolled: 1-line block ×6, first 2 shown]
.LBB335_36:
	s_or_b32 exec_lo, exec_lo, s1
	v_and_b32_e32 v21, 0x70, v19
	v_and_b32_e32 v13, 12, v19
	s_mov_b32 s0, exec_lo
	; wave barrier
	v_or_b32_e32 v12, 8, v21
	v_min_u32_e32 v22, v18, v13
	ds_write_b128 v20, v[4:7]
	ds_write_b128 v20, v[8:11] offset:16
	; wave barrier
	v_min_u32_e32 v14, v18, v12
	v_add_nc_u32_e32 v12, 8, v14
	v_sub_nc_u32_e32 v13, v14, v21
	v_min_u32_e32 v15, v18, v12
	v_min_u32_e32 v23, v22, v13
	v_lshl_add_u32 v13, v21, 3, v17
	v_sub_nc_u32_e32 v12, v15, v14
	v_sub_nc_u32_e64 v12, v22, v12 clamp
	v_cmpx_lt_u32_e64 v12, v23
	s_cbranch_execz .LBB335_40
; %bb.37:
	v_lshlrev_b32_e32 v24, 3, v14
	v_lshlrev_b32_e32 v25, 3, v22
	s_mov_b32 s1, 0
	v_add3_u32 v24, v17, v24, v25
	.p2align	6
.LBB335_38:                             ; =>This Inner Loop Header: Depth=1
	v_add_nc_u32_e32 v25, v23, v12
	v_lshrrev_b32_e32 v25, 1, v25
	v_not_b32_e32 v26, v25
	v_lshl_add_u32 v27, v25, 3, v13
	v_lshl_add_u32 v26, v26, 3, v24
	ds_read_b32 v27, v27
	ds_read_b32 v26, v26
	s_waitcnt lgkmcnt(1)
	v_mul_hi_i32 v27, 0x66666667, v27
	s_waitcnt lgkmcnt(0)
	v_mul_hi_i32 v26, 0x66666667, v26
	v_lshrrev_b32_e32 v39, 31, v27
	v_ashrrev_i32_e32 v27, 2, v27
	v_lshrrev_b32_e32 v40, 31, v26
	v_ashrrev_i32_e32 v26, 2, v26
	v_add_nc_u32_e32 v27, v27, v39
	v_add_nc_u32_e32 v39, 1, v25
	;; [unrolled: 1-line block ×3, first 2 shown]
	v_cmp_lt_i32_e32 vcc_lo, v26, v27
	v_cndmask_b32_e32 v23, v23, v25, vcc_lo
	v_cndmask_b32_e32 v12, v39, v12, vcc_lo
	v_cmp_ge_u32_e32 vcc_lo, v12, v23
	s_or_b32 s1, vcc_lo, s1
	s_andn2_b32 exec_lo, exec_lo, s1
	s_cbranch_execnz .LBB335_38
; %bb.39:
	s_or_b32 exec_lo, exec_lo, s1
.LBB335_40:
	s_or_b32 exec_lo, exec_lo, s0
	v_add_nc_u32_e32 v22, v14, v22
	v_add_nc_u32_e32 v21, v12, v21
	v_sub_nc_u32_e32 v22, v22, v12
	v_cmp_le_u32_e32 vcc_lo, v21, v14
	v_cmp_le_u32_e64 s0, v22, v15
	s_or_b32 s0, vcc_lo, s0
	s_and_saveexec_b32 s1, s0
	s_cbranch_execz .LBB335_60
; %bb.41:
	s_mov_b32 s7, exec_lo
	v_cmp_ge_u32_e32 vcc_lo, v21, v14
                                        ; implicit-def: $vgpr4_vgpr5
	v_cmpx_lt_u32_e64 v21, v14
; %bb.42:
	v_lshl_add_u32 v4, v12, 3, v13
	ds_read_b64 v[4:5], v4
; %bb.43:
	s_or_b32 exec_lo, exec_lo, s7
	v_cmp_ge_u32_e64 s7, v22, v15
	s_mov_b32 s14, exec_lo
                                        ; implicit-def: $vgpr8_vgpr9
	v_cmpx_lt_u32_e64 v22, v15
; %bb.44:
	v_lshl_add_u32 v6, v22, 3, v17
	ds_read_b64 v[8:9], v6
; %bb.45:
	s_or_b32 exec_lo, exec_lo, s14
	s_nor_b32 s14, vcc_lo, s7
	s_and_saveexec_b32 s0, s14
	s_cbranch_execz .LBB335_47
; %bb.46:
	s_waitcnt lgkmcnt(0)
	v_mul_hi_i32 v6, 0x66666667, v8
	v_mul_hi_i32 v7, 0x66666667, v4
	s_andn2_b32 s7, s7, exec_lo
	v_lshrrev_b32_e32 v10, 31, v6
	v_ashrrev_i32_e32 v6, 2, v6
	v_lshrrev_b32_e32 v11, 31, v7
	v_ashrrev_i32_e32 v7, 2, v7
	v_add_nc_u32_e32 v6, v6, v10
	v_add_nc_u32_e32 v7, v7, v11
	v_cmp_ge_i32_e32 vcc_lo, v6, v7
	s_and_b32 s14, vcc_lo, exec_lo
	s_or_b32 s7, s7, s14
.LBB335_47:
	s_or_b32 exec_lo, exec_lo, s0
	v_cndmask_b32_e64 v6, v22, v21, s7
	v_cndmask_b32_e64 v7, v15, v14, s7
	s_mov_b32 s0, -1
	s_mov_b32 s14, -1
	s_mov_b32 s15, exec_lo
	v_add_nc_u32_e32 v6, 1, v6
	v_add_nc_u32_e32 v7, -1, v7
	v_cndmask_b32_e64 v12, v6, v22, s7
	v_min_u32_e32 v7, v6, v7
	v_cndmask_b32_e64 v13, v21, v6, s7
	v_lshl_add_u32 v7, v7, 3, v17
	ds_read_b64 v[23:24], v7
	s_waitcnt lgkmcnt(0)
	v_cndmask_b32_e64 v6, v24, v9, s7
	v_cndmask_b32_e64 v10, v23, v8, s7
	;; [unrolled: 1-line block ×4, first 2 shown]
	v_cmpx_lt_u32_e64 v12, v15
	s_cbranch_execz .LBB335_51
; %bb.48:
	s_mov_b32 s16, 0
	s_mov_b32 s14, exec_lo
	v_cmpx_lt_u32_e64 v13, v14
	s_cbranch_execz .LBB335_50
; %bb.49:
	v_mul_hi_i32 v21, 0x66666667, v10
	v_mul_hi_i32 v22, 0x66666667, v11
	v_lshrrev_b32_e32 v23, 31, v21
	v_ashrrev_i32_e32 v21, 2, v21
	v_lshrrev_b32_e32 v24, 31, v22
	v_ashrrev_i32_e32 v22, 2, v22
	v_add_nc_u32_e32 v21, v21, v23
	v_add_nc_u32_e32 v22, v22, v24
	v_cmp_ge_i32_e32 vcc_lo, v21, v22
	s_and_b32 s16, vcc_lo, exec_lo
.LBB335_50:
	s_or_b32 exec_lo, exec_lo, s14
	s_orn2_b32 s14, s16, exec_lo
.LBB335_51:
	s_or_b32 exec_lo, exec_lo, s15
	v_cndmask_b32_e64 v21, v12, v13, s14
	v_cndmask_b32_e64 v22, v15, v14, s14
	s_mov_b32 s15, exec_lo
	v_add_nc_u32_e32 v21, 1, v21
	v_add_nc_u32_e32 v22, -1, v22
	v_cndmask_b32_e64 v24, v21, v12, s14
	v_min_u32_e32 v22, v21, v22
	v_cndmask_b32_e64 v21, v13, v21, s14
	v_lshl_add_u32 v22, v22, 3, v17
	ds_read_b64 v[26:27], v22
	s_waitcnt lgkmcnt(0)
	v_cndmask_b32_e64 v22, v27, v6, s14
	v_cndmask_b32_e64 v23, v26, v10, s14
	;; [unrolled: 1-line block ×4, first 2 shown]
	v_cmpx_lt_u32_e64 v24, v15
	s_cbranch_execz .LBB335_55
; %bb.52:
	s_mov_b32 s16, 0
	s_mov_b32 s0, exec_lo
	v_cmpx_lt_u32_e64 v21, v14
	s_cbranch_execz .LBB335_54
; %bb.53:
	v_mul_hi_i32 v12, 0x66666667, v23
	v_mul_hi_i32 v13, 0x66666667, v26
	v_lshrrev_b32_e32 v27, 31, v12
	v_ashrrev_i32_e32 v12, 2, v12
	v_lshrrev_b32_e32 v39, 31, v13
	v_ashrrev_i32_e32 v13, 2, v13
	v_add_nc_u32_e32 v12, v12, v27
	v_add_nc_u32_e32 v13, v13, v39
	v_cmp_ge_i32_e32 vcc_lo, v12, v13
	s_and_b32 s16, vcc_lo, exec_lo
.LBB335_54:
	s_or_b32 exec_lo, exec_lo, s0
	s_orn2_b32 s0, s16, exec_lo
.LBB335_55:
	s_or_b32 exec_lo, exec_lo, s15
	v_cndmask_b32_e64 v12, v24, v21, s0
	v_cndmask_b32_e64 v13, v15, v14, s0
	v_cndmask_b32_e64 v7, v6, v7, s14
	v_cndmask_b32_e64 v6, v10, v11, s14
	v_cndmask_b32_e64 v5, v9, v5, s7
	v_add_nc_u32_e32 v27, 1, v12
	v_add_nc_u32_e32 v12, -1, v13
	v_cndmask_b32_e64 v4, v8, v4, s7
	v_cndmask_b32_e64 v9, v22, v25, s0
	;; [unrolled: 1-line block ×4, first 2 shown]
	v_min_u32_e32 v12, v27, v12
	s_mov_b32 s7, exec_lo
	v_lshl_add_u32 v12, v12, 3, v17
	ds_read_b64 v[12:13], v12
	s_waitcnt lgkmcnt(0)
	v_cndmask_b32_e64 v11, v25, v13, s0
	v_cndmask_b32_e64 v10, v26, v12, s0
	v_cmpx_lt_u32_e64 v24, v15
	s_cbranch_execz .LBB335_59
; %bb.56:
	v_cndmask_b32_e64 v15, v21, v27, s0
	v_cndmask_b32_e64 v13, v13, v22, s0
	;; [unrolled: 1-line block ×3, first 2 shown]
	s_mov_b32 s0, exec_lo
	v_cmpx_lt_u32_e64 v15, v14
	s_cbranch_execz .LBB335_58
; %bb.57:
	v_mul_hi_i32 v14, 0x66666667, v12
	v_mul_hi_i32 v15, 0x66666667, v10
	v_lshrrev_b32_e32 v21, 31, v14
	v_ashrrev_i32_e32 v14, 2, v14
	v_lshrrev_b32_e32 v22, 31, v15
	v_ashrrev_i32_e32 v15, 2, v15
	v_add_nc_u32_e32 v14, v14, v21
	v_add_nc_u32_e32 v15, v15, v22
	v_cmp_lt_i32_e32 vcc_lo, v14, v15
	v_cndmask_b32_e32 v13, v11, v13, vcc_lo
	v_cndmask_b32_e32 v12, v10, v12, vcc_lo
.LBB335_58:
	s_or_b32 exec_lo, exec_lo, s0
	v_mov_b32_e32 v10, v12
	v_mov_b32_e32 v11, v13
.LBB335_59:
	s_or_b32 exec_lo, exec_lo, s7
.LBB335_60:
	s_or_b32 exec_lo, exec_lo, s1
	v_and_b32_e32 v21, 0x60, v19
	v_and_b32_e32 v13, 28, v19
	s_mov_b32 s0, exec_lo
	; wave barrier
	v_or_b32_e32 v12, 16, v21
	v_min_u32_e32 v22, v18, v13
	ds_write_b128 v20, v[4:7]
	ds_write_b128 v20, v[8:11] offset:16
	; wave barrier
	v_min_u32_e32 v14, v18, v12
	v_add_nc_u32_e32 v12, 16, v14
	v_sub_nc_u32_e32 v13, v14, v21
	v_min_u32_e32 v15, v18, v12
	v_min_u32_e32 v23, v22, v13
	v_lshl_add_u32 v13, v21, 3, v17
	v_sub_nc_u32_e32 v12, v15, v14
	v_sub_nc_u32_e64 v12, v22, v12 clamp
	v_cmpx_lt_u32_e64 v12, v23
	s_cbranch_execz .LBB335_64
; %bb.61:
	v_lshlrev_b32_e32 v24, 3, v14
	v_lshlrev_b32_e32 v25, 3, v22
	s_mov_b32 s1, 0
	v_add3_u32 v24, v17, v24, v25
	.p2align	6
.LBB335_62:                             ; =>This Inner Loop Header: Depth=1
	v_add_nc_u32_e32 v25, v23, v12
	v_lshrrev_b32_e32 v25, 1, v25
	v_not_b32_e32 v26, v25
	v_lshl_add_u32 v27, v25, 3, v13
	v_lshl_add_u32 v26, v26, 3, v24
	ds_read_b32 v27, v27
	ds_read_b32 v26, v26
	s_waitcnt lgkmcnt(1)
	v_mul_hi_i32 v27, 0x66666667, v27
	s_waitcnt lgkmcnt(0)
	v_mul_hi_i32 v26, 0x66666667, v26
	v_lshrrev_b32_e32 v39, 31, v27
	v_ashrrev_i32_e32 v27, 2, v27
	v_lshrrev_b32_e32 v40, 31, v26
	v_ashrrev_i32_e32 v26, 2, v26
	v_add_nc_u32_e32 v27, v27, v39
	v_add_nc_u32_e32 v39, 1, v25
	;; [unrolled: 1-line block ×3, first 2 shown]
	v_cmp_lt_i32_e32 vcc_lo, v26, v27
	v_cndmask_b32_e32 v23, v23, v25, vcc_lo
	v_cndmask_b32_e32 v12, v39, v12, vcc_lo
	v_cmp_ge_u32_e32 vcc_lo, v12, v23
	s_or_b32 s1, vcc_lo, s1
	s_andn2_b32 exec_lo, exec_lo, s1
	s_cbranch_execnz .LBB335_62
; %bb.63:
	s_or_b32 exec_lo, exec_lo, s1
.LBB335_64:
	s_or_b32 exec_lo, exec_lo, s0
	v_add_nc_u32_e32 v22, v14, v22
	v_add_nc_u32_e32 v21, v12, v21
	v_sub_nc_u32_e32 v22, v22, v12
	v_cmp_le_u32_e32 vcc_lo, v21, v14
	v_cmp_le_u32_e64 s0, v22, v15
	s_or_b32 s0, vcc_lo, s0
	s_and_saveexec_b32 s1, s0
	s_cbranch_execz .LBB335_84
; %bb.65:
	s_mov_b32 s7, exec_lo
	v_cmp_ge_u32_e32 vcc_lo, v21, v14
                                        ; implicit-def: $vgpr4_vgpr5
	v_cmpx_lt_u32_e64 v21, v14
; %bb.66:
	v_lshl_add_u32 v4, v12, 3, v13
	ds_read_b64 v[4:5], v4
; %bb.67:
	s_or_b32 exec_lo, exec_lo, s7
	v_cmp_ge_u32_e64 s7, v22, v15
	s_mov_b32 s14, exec_lo
                                        ; implicit-def: $vgpr8_vgpr9
	v_cmpx_lt_u32_e64 v22, v15
; %bb.68:
	v_lshl_add_u32 v6, v22, 3, v17
	ds_read_b64 v[8:9], v6
; %bb.69:
	s_or_b32 exec_lo, exec_lo, s14
	s_nor_b32 s14, vcc_lo, s7
	s_and_saveexec_b32 s0, s14
	s_cbranch_execz .LBB335_71
; %bb.70:
	s_waitcnt lgkmcnt(0)
	v_mul_hi_i32 v6, 0x66666667, v8
	v_mul_hi_i32 v7, 0x66666667, v4
	s_andn2_b32 s7, s7, exec_lo
	v_lshrrev_b32_e32 v10, 31, v6
	v_ashrrev_i32_e32 v6, 2, v6
	v_lshrrev_b32_e32 v11, 31, v7
	v_ashrrev_i32_e32 v7, 2, v7
	v_add_nc_u32_e32 v6, v6, v10
	v_add_nc_u32_e32 v7, v7, v11
	v_cmp_ge_i32_e32 vcc_lo, v6, v7
	s_and_b32 s14, vcc_lo, exec_lo
	s_or_b32 s7, s7, s14
.LBB335_71:
	s_or_b32 exec_lo, exec_lo, s0
	v_cndmask_b32_e64 v6, v22, v21, s7
	v_cndmask_b32_e64 v7, v15, v14, s7
	s_mov_b32 s0, -1
	s_mov_b32 s14, -1
	s_mov_b32 s15, exec_lo
	v_add_nc_u32_e32 v6, 1, v6
	v_add_nc_u32_e32 v7, -1, v7
	v_cndmask_b32_e64 v12, v6, v22, s7
	v_min_u32_e32 v7, v6, v7
	v_cndmask_b32_e64 v13, v21, v6, s7
	v_lshl_add_u32 v7, v7, 3, v17
	ds_read_b64 v[23:24], v7
	s_waitcnt lgkmcnt(0)
	v_cndmask_b32_e64 v6, v24, v9, s7
	v_cndmask_b32_e64 v10, v23, v8, s7
	;; [unrolled: 1-line block ×4, first 2 shown]
	v_cmpx_lt_u32_e64 v12, v15
	s_cbranch_execz .LBB335_75
; %bb.72:
	s_mov_b32 s16, 0
	s_mov_b32 s14, exec_lo
	v_cmpx_lt_u32_e64 v13, v14
	s_cbranch_execz .LBB335_74
; %bb.73:
	v_mul_hi_i32 v21, 0x66666667, v10
	v_mul_hi_i32 v22, 0x66666667, v11
	v_lshrrev_b32_e32 v23, 31, v21
	v_ashrrev_i32_e32 v21, 2, v21
	v_lshrrev_b32_e32 v24, 31, v22
	v_ashrrev_i32_e32 v22, 2, v22
	v_add_nc_u32_e32 v21, v21, v23
	v_add_nc_u32_e32 v22, v22, v24
	v_cmp_ge_i32_e32 vcc_lo, v21, v22
	s_and_b32 s16, vcc_lo, exec_lo
.LBB335_74:
	s_or_b32 exec_lo, exec_lo, s14
	s_orn2_b32 s14, s16, exec_lo
.LBB335_75:
	s_or_b32 exec_lo, exec_lo, s15
	v_cndmask_b32_e64 v21, v12, v13, s14
	v_cndmask_b32_e64 v22, v15, v14, s14
	s_mov_b32 s15, exec_lo
	v_add_nc_u32_e32 v21, 1, v21
	v_add_nc_u32_e32 v22, -1, v22
	v_cndmask_b32_e64 v24, v21, v12, s14
	v_min_u32_e32 v22, v21, v22
	v_cndmask_b32_e64 v21, v13, v21, s14
	v_lshl_add_u32 v22, v22, 3, v17
	ds_read_b64 v[26:27], v22
	s_waitcnt lgkmcnt(0)
	v_cndmask_b32_e64 v22, v27, v6, s14
	v_cndmask_b32_e64 v23, v26, v10, s14
	;; [unrolled: 1-line block ×4, first 2 shown]
	v_cmpx_lt_u32_e64 v24, v15
	s_cbranch_execz .LBB335_79
; %bb.76:
	s_mov_b32 s16, 0
	s_mov_b32 s0, exec_lo
	v_cmpx_lt_u32_e64 v21, v14
	s_cbranch_execz .LBB335_78
; %bb.77:
	v_mul_hi_i32 v12, 0x66666667, v23
	v_mul_hi_i32 v13, 0x66666667, v26
	v_lshrrev_b32_e32 v27, 31, v12
	v_ashrrev_i32_e32 v12, 2, v12
	v_lshrrev_b32_e32 v39, 31, v13
	v_ashrrev_i32_e32 v13, 2, v13
	v_add_nc_u32_e32 v12, v12, v27
	v_add_nc_u32_e32 v13, v13, v39
	v_cmp_ge_i32_e32 vcc_lo, v12, v13
	s_and_b32 s16, vcc_lo, exec_lo
.LBB335_78:
	s_or_b32 exec_lo, exec_lo, s0
	s_orn2_b32 s0, s16, exec_lo
.LBB335_79:
	s_or_b32 exec_lo, exec_lo, s15
	v_cndmask_b32_e64 v12, v24, v21, s0
	v_cndmask_b32_e64 v13, v15, v14, s0
	;; [unrolled: 1-line block ×5, first 2 shown]
	v_add_nc_u32_e32 v27, 1, v12
	v_add_nc_u32_e32 v12, -1, v13
	v_cndmask_b32_e64 v4, v8, v4, s7
	v_cndmask_b32_e64 v9, v22, v25, s0
	;; [unrolled: 1-line block ×4, first 2 shown]
	v_min_u32_e32 v12, v27, v12
	s_mov_b32 s7, exec_lo
	v_lshl_add_u32 v12, v12, 3, v17
	ds_read_b64 v[12:13], v12
	s_waitcnt lgkmcnt(0)
	v_cndmask_b32_e64 v11, v25, v13, s0
	v_cndmask_b32_e64 v10, v26, v12, s0
	v_cmpx_lt_u32_e64 v24, v15
	s_cbranch_execz .LBB335_83
; %bb.80:
	v_cndmask_b32_e64 v15, v21, v27, s0
	v_cndmask_b32_e64 v13, v13, v22, s0
	;; [unrolled: 1-line block ×3, first 2 shown]
	s_mov_b32 s0, exec_lo
	v_cmpx_lt_u32_e64 v15, v14
	s_cbranch_execz .LBB335_82
; %bb.81:
	v_mul_hi_i32 v14, 0x66666667, v12
	v_mul_hi_i32 v15, 0x66666667, v10
	v_lshrrev_b32_e32 v21, 31, v14
	v_ashrrev_i32_e32 v14, 2, v14
	v_lshrrev_b32_e32 v22, 31, v15
	v_ashrrev_i32_e32 v15, 2, v15
	v_add_nc_u32_e32 v14, v14, v21
	v_add_nc_u32_e32 v15, v15, v22
	v_cmp_lt_i32_e32 vcc_lo, v14, v15
	v_cndmask_b32_e32 v13, v11, v13, vcc_lo
	v_cndmask_b32_e32 v12, v10, v12, vcc_lo
.LBB335_82:
	s_or_b32 exec_lo, exec_lo, s0
	v_mov_b32_e32 v10, v12
	v_mov_b32_e32 v11, v13
.LBB335_83:
	s_or_b32 exec_lo, exec_lo, s7
.LBB335_84:
	s_or_b32 exec_lo, exec_lo, s1
	v_and_b32_e32 v21, 64, v19
	v_and_b32_e32 v13, 60, v19
	s_mov_b32 s0, exec_lo
	; wave barrier
	v_or_b32_e32 v12, 32, v21
	ds_write_b128 v20, v[4:7]
	ds_write_b128 v20, v[8:11] offset:16
	; wave barrier
	v_min_u32_e32 v14, v18, v12
	v_add_nc_u32_e32 v12, 32, v14
	v_min_u32_e32 v15, v18, v12
	v_min_u32_e32 v18, v18, v13
	v_sub_nc_u32_e32 v13, v14, v21
	v_sub_nc_u32_e32 v12, v15, v14
	v_min_u32_e32 v19, v18, v13
	v_lshl_add_u32 v13, v21, 3, v17
	v_sub_nc_u32_e64 v12, v18, v12 clamp
	v_cmpx_lt_u32_e64 v12, v19
	s_cbranch_execz .LBB335_88
; %bb.85:
	v_lshlrev_b32_e32 v20, 3, v14
	v_lshlrev_b32_e32 v22, 3, v18
	s_mov_b32 s1, 0
	v_add3_u32 v20, v17, v20, v22
	.p2align	6
.LBB335_86:                             ; =>This Inner Loop Header: Depth=1
	v_add_nc_u32_e32 v22, v19, v12
	v_lshrrev_b32_e32 v22, 1, v22
	v_not_b32_e32 v23, v22
	v_lshl_add_u32 v24, v22, 3, v13
	v_lshl_add_u32 v23, v23, 3, v20
	ds_read_b32 v24, v24
	ds_read_b32 v23, v23
	s_waitcnt lgkmcnt(1)
	v_mul_hi_i32 v24, 0x66666667, v24
	s_waitcnt lgkmcnt(0)
	v_mul_hi_i32 v23, 0x66666667, v23
	v_lshrrev_b32_e32 v25, 31, v24
	v_ashrrev_i32_e32 v24, 2, v24
	v_lshrrev_b32_e32 v26, 31, v23
	v_ashrrev_i32_e32 v23, 2, v23
	v_add_nc_u32_e32 v24, v24, v25
	v_add_nc_u32_e32 v25, 1, v22
	;; [unrolled: 1-line block ×3, first 2 shown]
	v_cmp_lt_i32_e32 vcc_lo, v23, v24
	v_cndmask_b32_e32 v19, v19, v22, vcc_lo
	v_cndmask_b32_e32 v12, v25, v12, vcc_lo
	v_cmp_ge_u32_e32 vcc_lo, v12, v19
	s_or_b32 s1, vcc_lo, s1
	s_andn2_b32 exec_lo, exec_lo, s1
	s_cbranch_execnz .LBB335_86
; %bb.87:
	s_or_b32 exec_lo, exec_lo, s1
.LBB335_88:
	s_or_b32 exec_lo, exec_lo, s0
	v_add_nc_u32_e32 v19, v14, v18
	v_add_nc_u32_e32 v18, v12, v21
	v_sub_nc_u32_e32 v19, v19, v12
	v_cmp_le_u32_e32 vcc_lo, v18, v14
	v_cmp_le_u32_e64 s0, v19, v15
	s_or_b32 s0, vcc_lo, s0
	s_and_saveexec_b32 s1, s0
	s_cbranch_execz .LBB335_108
; %bb.89:
	s_mov_b32 s7, exec_lo
	v_cmp_ge_u32_e32 vcc_lo, v18, v14
                                        ; implicit-def: $vgpr4_vgpr5
	v_cmpx_lt_u32_e64 v18, v14
; %bb.90:
	v_lshl_add_u32 v4, v12, 3, v13
	ds_read_b64 v[4:5], v4
; %bb.91:
	s_or_b32 exec_lo, exec_lo, s7
	v_cmp_ge_u32_e64 s7, v19, v15
	s_mov_b32 s14, exec_lo
                                        ; implicit-def: $vgpr8_vgpr9
	v_cmpx_lt_u32_e64 v19, v15
; %bb.92:
	v_lshl_add_u32 v6, v19, 3, v17
	ds_read_b64 v[8:9], v6
; %bb.93:
	s_or_b32 exec_lo, exec_lo, s14
	s_nor_b32 s14, vcc_lo, s7
	s_and_saveexec_b32 s0, s14
	s_cbranch_execz .LBB335_95
; %bb.94:
	s_waitcnt lgkmcnt(0)
	v_mul_hi_i32 v6, 0x66666667, v8
	v_mul_hi_i32 v7, 0x66666667, v4
	s_andn2_b32 s7, s7, exec_lo
	v_lshrrev_b32_e32 v10, 31, v6
	v_ashrrev_i32_e32 v6, 2, v6
	v_lshrrev_b32_e32 v11, 31, v7
	v_ashrrev_i32_e32 v7, 2, v7
	v_add_nc_u32_e32 v6, v6, v10
	v_add_nc_u32_e32 v7, v7, v11
	v_cmp_ge_i32_e32 vcc_lo, v6, v7
	s_and_b32 s14, vcc_lo, exec_lo
	s_or_b32 s7, s7, s14
.LBB335_95:
	s_or_b32 exec_lo, exec_lo, s0
	v_cndmask_b32_e64 v6, v19, v18, s7
	v_cndmask_b32_e64 v7, v15, v14, s7
	s_mov_b32 s0, -1
	s_mov_b32 s14, -1
	s_mov_b32 s15, exec_lo
	v_add_nc_u32_e32 v6, 1, v6
	v_add_nc_u32_e32 v7, -1, v7
	v_cndmask_b32_e64 v12, v6, v19, s7
	v_min_u32_e32 v7, v6, v7
	v_cndmask_b32_e64 v13, v18, v6, s7
	v_lshl_add_u32 v7, v7, 3, v17
	ds_read_b64 v[20:21], v7
	s_waitcnt lgkmcnt(0)
	v_cndmask_b32_e64 v6, v21, v9, s7
	v_cndmask_b32_e64 v10, v20, v8, s7
	;; [unrolled: 1-line block ×4, first 2 shown]
	v_cmpx_lt_u32_e64 v12, v15
	s_cbranch_execz .LBB335_99
; %bb.96:
	s_mov_b32 s16, 0
	s_mov_b32 s14, exec_lo
	v_cmpx_lt_u32_e64 v13, v14
	s_cbranch_execz .LBB335_98
; %bb.97:
	v_mul_hi_i32 v18, 0x66666667, v10
	v_mul_hi_i32 v19, 0x66666667, v11
	v_lshrrev_b32_e32 v20, 31, v18
	v_ashrrev_i32_e32 v18, 2, v18
	v_lshrrev_b32_e32 v21, 31, v19
	v_ashrrev_i32_e32 v19, 2, v19
	v_add_nc_u32_e32 v18, v18, v20
	v_add_nc_u32_e32 v19, v19, v21
	v_cmp_ge_i32_e32 vcc_lo, v18, v19
	s_and_b32 s16, vcc_lo, exec_lo
.LBB335_98:
	s_or_b32 exec_lo, exec_lo, s14
	s_orn2_b32 s14, s16, exec_lo
.LBB335_99:
	s_or_b32 exec_lo, exec_lo, s15
	v_cndmask_b32_e64 v18, v12, v13, s14
	v_cndmask_b32_e64 v19, v15, v14, s14
	s_mov_b32 s15, exec_lo
	v_add_nc_u32_e32 v18, 1, v18
	v_add_nc_u32_e32 v19, -1, v19
	v_cndmask_b32_e64 v21, v18, v12, s14
	v_min_u32_e32 v19, v18, v19
	v_cndmask_b32_e64 v18, v13, v18, s14
	v_lshl_add_u32 v19, v19, 3, v17
	ds_read_b64 v[23:24], v19
	s_waitcnt lgkmcnt(0)
	v_cndmask_b32_e64 v19, v24, v6, s14
	v_cndmask_b32_e64 v20, v23, v10, s14
	;; [unrolled: 1-line block ×4, first 2 shown]
	v_cmpx_lt_u32_e64 v21, v15
	s_cbranch_execz .LBB335_103
; %bb.100:
	s_mov_b32 s16, 0
	s_mov_b32 s0, exec_lo
	v_cmpx_lt_u32_e64 v18, v14
	s_cbranch_execz .LBB335_102
; %bb.101:
	v_mul_hi_i32 v12, 0x66666667, v20
	v_mul_hi_i32 v13, 0x66666667, v23
	v_lshrrev_b32_e32 v24, 31, v12
	v_ashrrev_i32_e32 v12, 2, v12
	v_lshrrev_b32_e32 v25, 31, v13
	v_ashrrev_i32_e32 v13, 2, v13
	v_add_nc_u32_e32 v12, v12, v24
	v_add_nc_u32_e32 v13, v13, v25
	v_cmp_ge_i32_e32 vcc_lo, v12, v13
	s_and_b32 s16, vcc_lo, exec_lo
.LBB335_102:
	s_or_b32 exec_lo, exec_lo, s0
	s_orn2_b32 s0, s16, exec_lo
.LBB335_103:
	s_or_b32 exec_lo, exec_lo, s15
	v_cndmask_b32_e64 v12, v21, v18, s0
	v_cndmask_b32_e64 v13, v15, v14, s0
	v_cndmask_b32_e64 v7, v6, v7, s14
	v_cndmask_b32_e64 v6, v10, v11, s14
	v_cndmask_b32_e64 v5, v9, v5, s7
	v_add_nc_u32_e32 v24, 1, v12
	v_add_nc_u32_e32 v12, -1, v13
	v_cndmask_b32_e64 v4, v8, v4, s7
	v_cndmask_b32_e64 v9, v19, v22, s0
	;; [unrolled: 1-line block ×3, first 2 shown]
	s_mov_b32 s7, exec_lo
	v_min_u32_e32 v12, v24, v12
	v_lshl_add_u32 v12, v12, 3, v17
	v_cndmask_b32_e64 v17, v24, v21, s0
	ds_read_b64 v[12:13], v12
	s_waitcnt lgkmcnt(0)
	v_cndmask_b32_e64 v11, v22, v13, s0
	v_cndmask_b32_e64 v10, v23, v12, s0
	v_cmpx_lt_u32_e64 v17, v15
	s_cbranch_execz .LBB335_107
; %bb.104:
	v_cndmask_b32_e64 v15, v18, v24, s0
	v_cndmask_b32_e64 v13, v13, v19, s0
	;; [unrolled: 1-line block ×3, first 2 shown]
	s_mov_b32 s0, exec_lo
	v_cmpx_lt_u32_e64 v15, v14
	s_cbranch_execz .LBB335_106
; %bb.105:
	v_mul_hi_i32 v14, 0x66666667, v12
	v_mul_hi_i32 v15, 0x66666667, v10
	v_lshrrev_b32_e32 v17, 31, v14
	v_ashrrev_i32_e32 v14, 2, v14
	v_lshrrev_b32_e32 v18, 31, v15
	v_ashrrev_i32_e32 v15, 2, v15
	v_add_nc_u32_e32 v14, v14, v17
	v_add_nc_u32_e32 v15, v15, v18
	v_cmp_lt_i32_e32 vcc_lo, v14, v15
	v_cndmask_b32_e32 v13, v11, v13, vcc_lo
	v_cndmask_b32_e32 v12, v10, v12, vcc_lo
.LBB335_106:
	s_or_b32 exec_lo, exec_lo, s0
	v_mov_b32_e32 v10, v12
	v_mov_b32_e32 v11, v13
.LBB335_107:
	s_or_b32 exec_lo, exec_lo, s7
.LBB335_108:
	s_or_b32 exec_lo, exec_lo, s1
	v_and_b32_e32 v18, 0x380, v16
	v_and_b32_e32 v19, 0x7c, v16
	v_lshlrev_b32_e32 v14, 3, v16
	s_mov_b32 s0, exec_lo
	v_or_b32_e32 v15, 64, v18
	v_add_nc_u32_e32 v17, 0x80, v18
	; wave barrier
	s_waitcnt lgkmcnt(0)
	s_barrier
	v_sub_nc_u32_e32 v13, v15, v18
	v_sub_nc_u32_e32 v12, v17, v15
	buffer_gl0_inv
	ds_write_b128 v14, v[4:7]
	ds_write_b128 v14, v[8:11] offset:16
	v_min_u32_e32 v20, v19, v13
	v_sub_nc_u32_e64 v12, v19, v12 clamp
	v_lshlrev_b32_e32 v13, 3, v18
	s_waitcnt lgkmcnt(0)
	s_barrier
	buffer_gl0_inv
	v_cmpx_lt_u32_e64 v12, v20
	s_cbranch_execz .LBB335_112
; %bb.109:
	v_lshlrev_b32_e32 v21, 3, v19
	s_mov_b32 s1, 0
	v_lshl_add_u32 v21, v15, 3, v21
	.p2align	6
.LBB335_110:                            ; =>This Inner Loop Header: Depth=1
	v_add_nc_u32_e32 v22, v20, v12
	v_lshrrev_b32_e32 v22, 1, v22
	v_not_b32_e32 v23, v22
	v_lshl_add_u32 v24, v22, 3, v13
	v_lshl_add_u32 v23, v23, 3, v21
	ds_read_b32 v24, v24
	ds_read_b32 v23, v23
	s_waitcnt lgkmcnt(1)
	v_mul_hi_i32 v24, 0x66666667, v24
	s_waitcnt lgkmcnt(0)
	v_mul_hi_i32 v23, 0x66666667, v23
	v_lshrrev_b32_e32 v25, 31, v24
	v_ashrrev_i32_e32 v24, 2, v24
	v_lshrrev_b32_e32 v26, 31, v23
	v_ashrrev_i32_e32 v23, 2, v23
	v_add_nc_u32_e32 v24, v24, v25
	v_add_nc_u32_e32 v25, 1, v22
	;; [unrolled: 1-line block ×3, first 2 shown]
	v_cmp_lt_i32_e32 vcc_lo, v23, v24
	v_cndmask_b32_e32 v20, v20, v22, vcc_lo
	v_cndmask_b32_e32 v12, v25, v12, vcc_lo
	v_cmp_ge_u32_e32 vcc_lo, v12, v20
	s_or_b32 s1, vcc_lo, s1
	s_andn2_b32 exec_lo, exec_lo, s1
	s_cbranch_execnz .LBB335_110
; %bb.111:
	s_or_b32 exec_lo, exec_lo, s1
.LBB335_112:
	s_or_b32 exec_lo, exec_lo, s0
	v_sub_nc_u32_e32 v19, v19, v12
	v_add_nc_u32_e32 v18, v12, v18
	v_add_nc_u32_e32 v19, v19, v15
	v_cmp_le_u32_e32 vcc_lo, v18, v15
	v_cmp_le_u32_e64 s0, v19, v17
	s_or_b32 s0, vcc_lo, s0
	s_and_saveexec_b32 s1, s0
	s_cbranch_execz .LBB335_132
; %bb.113:
	s_mov_b32 s7, exec_lo
	v_cmp_ge_u32_e32 vcc_lo, v18, v15
                                        ; implicit-def: $vgpr4_vgpr5
	v_cmpx_lt_u32_e64 v18, v15
; %bb.114:
	v_lshl_add_u32 v4, v12, 3, v13
	ds_read_b64 v[4:5], v4
; %bb.115:
	s_or_b32 exec_lo, exec_lo, s7
	v_cmp_ge_u32_e64 s7, v19, v17
	s_mov_b32 s14, exec_lo
                                        ; implicit-def: $vgpr8_vgpr9
	v_cmpx_lt_u32_e64 v19, v17
; %bb.116:
	v_lshlrev_b32_e32 v6, 3, v19
	ds_read_b64 v[8:9], v6
; %bb.117:
	s_or_b32 exec_lo, exec_lo, s14
	s_nor_b32 s14, vcc_lo, s7
	s_and_saveexec_b32 s0, s14
	s_cbranch_execz .LBB335_119
; %bb.118:
	s_waitcnt lgkmcnt(0)
	v_mul_hi_i32 v6, 0x66666667, v8
	v_mul_hi_i32 v7, 0x66666667, v4
	s_andn2_b32 s7, s7, exec_lo
	v_lshrrev_b32_e32 v10, 31, v6
	v_ashrrev_i32_e32 v6, 2, v6
	v_lshrrev_b32_e32 v11, 31, v7
	v_ashrrev_i32_e32 v7, 2, v7
	v_add_nc_u32_e32 v6, v6, v10
	v_add_nc_u32_e32 v7, v7, v11
	v_cmp_ge_i32_e32 vcc_lo, v6, v7
	s_and_b32 s14, vcc_lo, exec_lo
	s_or_b32 s7, s7, s14
.LBB335_119:
	s_or_b32 exec_lo, exec_lo, s0
	v_cndmask_b32_e64 v6, v19, v18, s7
	v_cndmask_b32_e64 v7, v17, v15, s7
	s_mov_b32 s0, -1
	s_mov_b32 s14, -1
	s_mov_b32 s15, exec_lo
	v_add_nc_u32_e32 v6, 1, v6
	v_add_nc_u32_e32 v7, -1, v7
	v_cndmask_b32_e64 v12, v6, v19, s7
	v_min_u32_e32 v7, v6, v7
	v_cndmask_b32_e64 v13, v18, v6, s7
	v_lshlrev_b32_e32 v7, 3, v7
	ds_read_b64 v[20:21], v7
	s_waitcnt lgkmcnt(0)
	v_cndmask_b32_e64 v6, v21, v9, s7
	v_cndmask_b32_e64 v10, v20, v8, s7
	;; [unrolled: 1-line block ×4, first 2 shown]
	v_cmpx_lt_u32_e64 v12, v17
	s_cbranch_execz .LBB335_123
; %bb.120:
	s_mov_b32 s16, 0
	s_mov_b32 s14, exec_lo
	v_cmpx_lt_u32_e64 v13, v15
	s_cbranch_execz .LBB335_122
; %bb.121:
	v_mul_hi_i32 v18, 0x66666667, v10
	v_mul_hi_i32 v19, 0x66666667, v11
	v_lshrrev_b32_e32 v20, 31, v18
	v_ashrrev_i32_e32 v18, 2, v18
	v_lshrrev_b32_e32 v21, 31, v19
	v_ashrrev_i32_e32 v19, 2, v19
	v_add_nc_u32_e32 v18, v18, v20
	v_add_nc_u32_e32 v19, v19, v21
	v_cmp_ge_i32_e32 vcc_lo, v18, v19
	s_and_b32 s16, vcc_lo, exec_lo
.LBB335_122:
	s_or_b32 exec_lo, exec_lo, s14
	s_orn2_b32 s14, s16, exec_lo
.LBB335_123:
	s_or_b32 exec_lo, exec_lo, s15
	v_cndmask_b32_e64 v18, v12, v13, s14
	v_cndmask_b32_e64 v19, v17, v15, s14
	s_mov_b32 s15, exec_lo
	v_add_nc_u32_e32 v18, 1, v18
	v_add_nc_u32_e32 v19, -1, v19
	v_cndmask_b32_e64 v21, v18, v12, s14
	v_min_u32_e32 v19, v18, v19
	v_cndmask_b32_e64 v18, v13, v18, s14
	v_lshlrev_b32_e32 v19, 3, v19
	ds_read_b64 v[23:24], v19
	s_waitcnt lgkmcnt(0)
	v_cndmask_b32_e64 v19, v24, v6, s14
	v_cndmask_b32_e64 v20, v23, v10, s14
	;; [unrolled: 1-line block ×4, first 2 shown]
	v_cmpx_lt_u32_e64 v21, v17
	s_cbranch_execz .LBB335_127
; %bb.124:
	s_mov_b32 s16, 0
	s_mov_b32 s0, exec_lo
	v_cmpx_lt_u32_e64 v18, v15
	s_cbranch_execz .LBB335_126
; %bb.125:
	v_mul_hi_i32 v12, 0x66666667, v20
	v_mul_hi_i32 v13, 0x66666667, v23
	v_lshrrev_b32_e32 v24, 31, v12
	v_ashrrev_i32_e32 v12, 2, v12
	v_lshrrev_b32_e32 v25, 31, v13
	v_ashrrev_i32_e32 v13, 2, v13
	v_add_nc_u32_e32 v12, v12, v24
	v_add_nc_u32_e32 v13, v13, v25
	v_cmp_ge_i32_e32 vcc_lo, v12, v13
	s_and_b32 s16, vcc_lo, exec_lo
.LBB335_126:
	s_or_b32 exec_lo, exec_lo, s0
	s_orn2_b32 s0, s16, exec_lo
.LBB335_127:
	s_or_b32 exec_lo, exec_lo, s15
	v_cndmask_b32_e64 v12, v21, v18, s0
	v_cndmask_b32_e64 v13, v17, v15, s0
	;; [unrolled: 1-line block ×5, first 2 shown]
	v_add_nc_u32_e32 v24, 1, v12
	v_add_nc_u32_e32 v12, -1, v13
	v_cndmask_b32_e64 v4, v8, v4, s7
	v_cndmask_b32_e64 v9, v19, v22, s0
	;; [unrolled: 1-line block ×4, first 2 shown]
	v_min_u32_e32 v12, v24, v12
	s_mov_b32 s7, exec_lo
	v_lshlrev_b32_e32 v12, 3, v12
	ds_read_b64 v[12:13], v12
	s_waitcnt lgkmcnt(0)
	v_cndmask_b32_e64 v11, v22, v13, s0
	v_cndmask_b32_e64 v10, v23, v12, s0
	v_cmpx_lt_u32_e64 v21, v17
	s_cbranch_execz .LBB335_131
; %bb.128:
	v_cndmask_b32_e64 v17, v18, v24, s0
	v_cndmask_b32_e64 v13, v13, v19, s0
	;; [unrolled: 1-line block ×3, first 2 shown]
	s_mov_b32 s0, exec_lo
	v_cmpx_lt_u32_e64 v17, v15
	s_cbranch_execz .LBB335_130
; %bb.129:
	v_mul_hi_i32 v15, 0x66666667, v12
	v_mul_hi_i32 v17, 0x66666667, v10
	v_lshrrev_b32_e32 v18, 31, v15
	v_ashrrev_i32_e32 v15, 2, v15
	v_lshrrev_b32_e32 v19, 31, v17
	v_ashrrev_i32_e32 v17, 2, v17
	v_add_nc_u32_e32 v15, v15, v18
	v_add_nc_u32_e32 v17, v17, v19
	v_cmp_lt_i32_e32 vcc_lo, v15, v17
	v_cndmask_b32_e32 v13, v11, v13, vcc_lo
	v_cndmask_b32_e32 v12, v10, v12, vcc_lo
.LBB335_130:
	s_or_b32 exec_lo, exec_lo, s0
	v_mov_b32_e32 v10, v12
	v_mov_b32_e32 v11, v13
.LBB335_131:
	s_or_b32 exec_lo, exec_lo, s7
.LBB335_132:
	s_or_b32 exec_lo, exec_lo, s1
	v_and_b32_e32 v18, 0x300, v16
	v_and_b32_e32 v19, 0xfc, v16
	s_mov_b32 s0, exec_lo
	s_barrier
	v_or_b32_e32 v15, 0x80, v18
	v_add_nc_u32_e32 v17, 0x100, v18
	buffer_gl0_inv
	ds_write_b128 v14, v[4:7]
	ds_write_b128 v14, v[8:11] offset:16
	v_sub_nc_u32_e32 v13, v15, v18
	v_sub_nc_u32_e32 v12, v17, v15
	s_waitcnt lgkmcnt(0)
	s_barrier
	buffer_gl0_inv
	v_min_u32_e32 v20, v19, v13
	v_sub_nc_u32_e64 v12, v19, v12 clamp
	v_lshlrev_b32_e32 v13, 3, v18
	v_cmpx_lt_u32_e64 v12, v20
	s_cbranch_execz .LBB335_136
; %bb.133:
	v_lshlrev_b32_e32 v21, 3, v19
	s_mov_b32 s1, 0
	v_lshl_add_u32 v21, v15, 3, v21
	.p2align	6
.LBB335_134:                            ; =>This Inner Loop Header: Depth=1
	v_add_nc_u32_e32 v22, v20, v12
	v_lshrrev_b32_e32 v22, 1, v22
	v_not_b32_e32 v23, v22
	v_lshl_add_u32 v24, v22, 3, v13
	v_lshl_add_u32 v23, v23, 3, v21
	ds_read_b32 v24, v24
	ds_read_b32 v23, v23
	s_waitcnt lgkmcnt(1)
	v_mul_hi_i32 v24, 0x66666667, v24
	s_waitcnt lgkmcnt(0)
	v_mul_hi_i32 v23, 0x66666667, v23
	v_lshrrev_b32_e32 v25, 31, v24
	v_ashrrev_i32_e32 v24, 2, v24
	v_lshrrev_b32_e32 v26, 31, v23
	v_ashrrev_i32_e32 v23, 2, v23
	v_add_nc_u32_e32 v24, v24, v25
	v_add_nc_u32_e32 v25, 1, v22
	;; [unrolled: 1-line block ×3, first 2 shown]
	v_cmp_lt_i32_e32 vcc_lo, v23, v24
	v_cndmask_b32_e32 v20, v20, v22, vcc_lo
	v_cndmask_b32_e32 v12, v25, v12, vcc_lo
	v_cmp_ge_u32_e32 vcc_lo, v12, v20
	s_or_b32 s1, vcc_lo, s1
	s_andn2_b32 exec_lo, exec_lo, s1
	s_cbranch_execnz .LBB335_134
; %bb.135:
	s_or_b32 exec_lo, exec_lo, s1
.LBB335_136:
	s_or_b32 exec_lo, exec_lo, s0
	v_sub_nc_u32_e32 v19, v19, v12
	v_add_nc_u32_e32 v18, v12, v18
	v_add_nc_u32_e32 v19, v19, v15
	v_cmp_le_u32_e32 vcc_lo, v18, v15
	v_cmp_le_u32_e64 s0, v19, v17
	s_or_b32 s0, vcc_lo, s0
	s_and_saveexec_b32 s1, s0
	s_cbranch_execz .LBB335_156
; %bb.137:
	s_mov_b32 s7, exec_lo
	v_cmp_ge_u32_e32 vcc_lo, v18, v15
                                        ; implicit-def: $vgpr4_vgpr5
	v_cmpx_lt_u32_e64 v18, v15
; %bb.138:
	v_lshl_add_u32 v4, v12, 3, v13
	ds_read_b64 v[4:5], v4
; %bb.139:
	s_or_b32 exec_lo, exec_lo, s7
	v_cmp_ge_u32_e64 s7, v19, v17
	s_mov_b32 s14, exec_lo
                                        ; implicit-def: $vgpr8_vgpr9
	v_cmpx_lt_u32_e64 v19, v17
; %bb.140:
	v_lshlrev_b32_e32 v6, 3, v19
	ds_read_b64 v[8:9], v6
; %bb.141:
	s_or_b32 exec_lo, exec_lo, s14
	s_nor_b32 s14, vcc_lo, s7
	s_and_saveexec_b32 s0, s14
	s_cbranch_execz .LBB335_143
; %bb.142:
	s_waitcnt lgkmcnt(0)
	v_mul_hi_i32 v6, 0x66666667, v8
	v_mul_hi_i32 v7, 0x66666667, v4
	s_andn2_b32 s7, s7, exec_lo
	v_lshrrev_b32_e32 v10, 31, v6
	v_ashrrev_i32_e32 v6, 2, v6
	v_lshrrev_b32_e32 v11, 31, v7
	v_ashrrev_i32_e32 v7, 2, v7
	v_add_nc_u32_e32 v6, v6, v10
	v_add_nc_u32_e32 v7, v7, v11
	v_cmp_ge_i32_e32 vcc_lo, v6, v7
	s_and_b32 s14, vcc_lo, exec_lo
	s_or_b32 s7, s7, s14
.LBB335_143:
	s_or_b32 exec_lo, exec_lo, s0
	v_cndmask_b32_e64 v6, v19, v18, s7
	v_cndmask_b32_e64 v7, v17, v15, s7
	s_mov_b32 s0, -1
	s_mov_b32 s14, -1
	s_mov_b32 s15, exec_lo
	v_add_nc_u32_e32 v6, 1, v6
	v_add_nc_u32_e32 v7, -1, v7
	v_cndmask_b32_e64 v12, v6, v19, s7
	v_min_u32_e32 v7, v6, v7
	v_cndmask_b32_e64 v13, v18, v6, s7
	v_lshlrev_b32_e32 v7, 3, v7
	ds_read_b64 v[20:21], v7
	s_waitcnt lgkmcnt(0)
	v_cndmask_b32_e64 v6, v21, v9, s7
	v_cndmask_b32_e64 v10, v20, v8, s7
	;; [unrolled: 1-line block ×4, first 2 shown]
	v_cmpx_lt_u32_e64 v12, v17
	s_cbranch_execz .LBB335_147
; %bb.144:
	s_mov_b32 s16, 0
	s_mov_b32 s14, exec_lo
	v_cmpx_lt_u32_e64 v13, v15
	s_cbranch_execz .LBB335_146
; %bb.145:
	v_mul_hi_i32 v18, 0x66666667, v10
	v_mul_hi_i32 v19, 0x66666667, v11
	v_lshrrev_b32_e32 v20, 31, v18
	v_ashrrev_i32_e32 v18, 2, v18
	v_lshrrev_b32_e32 v21, 31, v19
	v_ashrrev_i32_e32 v19, 2, v19
	v_add_nc_u32_e32 v18, v18, v20
	v_add_nc_u32_e32 v19, v19, v21
	v_cmp_ge_i32_e32 vcc_lo, v18, v19
	s_and_b32 s16, vcc_lo, exec_lo
.LBB335_146:
	s_or_b32 exec_lo, exec_lo, s14
	s_orn2_b32 s14, s16, exec_lo
.LBB335_147:
	s_or_b32 exec_lo, exec_lo, s15
	v_cndmask_b32_e64 v18, v12, v13, s14
	v_cndmask_b32_e64 v19, v17, v15, s14
	s_mov_b32 s15, exec_lo
	v_add_nc_u32_e32 v18, 1, v18
	v_add_nc_u32_e32 v19, -1, v19
	v_cndmask_b32_e64 v21, v18, v12, s14
	v_min_u32_e32 v19, v18, v19
	v_cndmask_b32_e64 v18, v13, v18, s14
	v_lshlrev_b32_e32 v19, 3, v19
	ds_read_b64 v[23:24], v19
	s_waitcnt lgkmcnt(0)
	v_cndmask_b32_e64 v19, v24, v6, s14
	v_cndmask_b32_e64 v20, v23, v10, s14
	;; [unrolled: 1-line block ×4, first 2 shown]
	v_cmpx_lt_u32_e64 v21, v17
	s_cbranch_execz .LBB335_151
; %bb.148:
	s_mov_b32 s16, 0
	s_mov_b32 s0, exec_lo
	v_cmpx_lt_u32_e64 v18, v15
	s_cbranch_execz .LBB335_150
; %bb.149:
	v_mul_hi_i32 v12, 0x66666667, v20
	v_mul_hi_i32 v13, 0x66666667, v23
	v_lshrrev_b32_e32 v24, 31, v12
	v_ashrrev_i32_e32 v12, 2, v12
	v_lshrrev_b32_e32 v25, 31, v13
	v_ashrrev_i32_e32 v13, 2, v13
	v_add_nc_u32_e32 v12, v12, v24
	v_add_nc_u32_e32 v13, v13, v25
	v_cmp_ge_i32_e32 vcc_lo, v12, v13
	s_and_b32 s16, vcc_lo, exec_lo
.LBB335_150:
	s_or_b32 exec_lo, exec_lo, s0
	s_orn2_b32 s0, s16, exec_lo
.LBB335_151:
	s_or_b32 exec_lo, exec_lo, s15
	v_cndmask_b32_e64 v12, v21, v18, s0
	v_cndmask_b32_e64 v13, v17, v15, s0
	v_cndmask_b32_e64 v7, v6, v7, s14
	v_cndmask_b32_e64 v6, v10, v11, s14
	v_cndmask_b32_e64 v5, v9, v5, s7
	v_add_nc_u32_e32 v24, 1, v12
	v_add_nc_u32_e32 v12, -1, v13
	v_cndmask_b32_e64 v4, v8, v4, s7
	v_cndmask_b32_e64 v9, v19, v22, s0
	v_cndmask_b32_e64 v8, v20, v23, s0
	v_cndmask_b32_e64 v21, v24, v21, s0
	v_min_u32_e32 v12, v24, v12
	s_mov_b32 s7, exec_lo
	v_lshlrev_b32_e32 v12, 3, v12
	ds_read_b64 v[12:13], v12
	s_waitcnt lgkmcnt(0)
	v_cndmask_b32_e64 v11, v22, v13, s0
	v_cndmask_b32_e64 v10, v23, v12, s0
	v_cmpx_lt_u32_e64 v21, v17
	s_cbranch_execz .LBB335_155
; %bb.152:
	v_cndmask_b32_e64 v17, v18, v24, s0
	v_cndmask_b32_e64 v13, v13, v19, s0
	;; [unrolled: 1-line block ×3, first 2 shown]
	s_mov_b32 s0, exec_lo
	v_cmpx_lt_u32_e64 v17, v15
	s_cbranch_execz .LBB335_154
; %bb.153:
	v_mul_hi_i32 v15, 0x66666667, v12
	v_mul_hi_i32 v17, 0x66666667, v10
	v_lshrrev_b32_e32 v18, 31, v15
	v_ashrrev_i32_e32 v15, 2, v15
	v_lshrrev_b32_e32 v19, 31, v17
	v_ashrrev_i32_e32 v17, 2, v17
	v_add_nc_u32_e32 v15, v15, v18
	v_add_nc_u32_e32 v17, v17, v19
	v_cmp_lt_i32_e32 vcc_lo, v15, v17
	v_cndmask_b32_e32 v13, v11, v13, vcc_lo
	v_cndmask_b32_e32 v12, v10, v12, vcc_lo
.LBB335_154:
	s_or_b32 exec_lo, exec_lo, s0
	v_mov_b32_e32 v10, v12
	v_mov_b32_e32 v11, v13
.LBB335_155:
	s_or_b32 exec_lo, exec_lo, s7
.LBB335_156:
	s_or_b32 exec_lo, exec_lo, s1
	v_and_b32_e32 v18, 0x200, v16
	v_and_b32_e32 v19, 0x1fc, v16
	s_mov_b32 s0, exec_lo
	s_barrier
	v_or_b32_e32 v15, 0x100, v18
	v_add_nc_u32_e32 v17, 0x200, v18
	buffer_gl0_inv
	ds_write_b128 v14, v[4:7]
	ds_write_b128 v14, v[8:11] offset:16
	v_sub_nc_u32_e32 v13, v15, v18
	v_sub_nc_u32_e32 v12, v17, v15
	s_waitcnt lgkmcnt(0)
	s_barrier
	buffer_gl0_inv
	v_min_u32_e32 v20, v19, v13
	v_sub_nc_u32_e64 v12, v19, v12 clamp
	v_lshlrev_b32_e32 v13, 3, v18
	v_cmpx_lt_u32_e64 v12, v20
	s_cbranch_execz .LBB335_160
; %bb.157:
	v_lshlrev_b32_e32 v21, 3, v19
	s_mov_b32 s1, 0
	v_lshl_add_u32 v21, v15, 3, v21
	.p2align	6
.LBB335_158:                            ; =>This Inner Loop Header: Depth=1
	v_add_nc_u32_e32 v22, v20, v12
	v_lshrrev_b32_e32 v22, 1, v22
	v_not_b32_e32 v23, v22
	v_lshl_add_u32 v24, v22, 3, v13
	v_lshl_add_u32 v23, v23, 3, v21
	ds_read_b32 v24, v24
	ds_read_b32 v23, v23
	s_waitcnt lgkmcnt(1)
	v_mul_hi_i32 v24, 0x66666667, v24
	s_waitcnt lgkmcnt(0)
	v_mul_hi_i32 v23, 0x66666667, v23
	v_lshrrev_b32_e32 v25, 31, v24
	v_ashrrev_i32_e32 v24, 2, v24
	v_lshrrev_b32_e32 v26, 31, v23
	v_ashrrev_i32_e32 v23, 2, v23
	v_add_nc_u32_e32 v24, v24, v25
	v_add_nc_u32_e32 v25, 1, v22
	;; [unrolled: 1-line block ×3, first 2 shown]
	v_cmp_lt_i32_e32 vcc_lo, v23, v24
	v_cndmask_b32_e32 v20, v20, v22, vcc_lo
	v_cndmask_b32_e32 v12, v25, v12, vcc_lo
	v_cmp_ge_u32_e32 vcc_lo, v12, v20
	s_or_b32 s1, vcc_lo, s1
	s_andn2_b32 exec_lo, exec_lo, s1
	s_cbranch_execnz .LBB335_158
; %bb.159:
	s_or_b32 exec_lo, exec_lo, s1
.LBB335_160:
	s_or_b32 exec_lo, exec_lo, s0
	v_sub_nc_u32_e32 v19, v19, v12
	v_add_nc_u32_e32 v18, v12, v18
	v_add_nc_u32_e32 v19, v19, v15
	v_cmp_le_u32_e32 vcc_lo, v18, v15
	v_cmp_le_u32_e64 s0, v19, v17
	s_or_b32 s0, vcc_lo, s0
	s_and_saveexec_b32 s1, s0
	s_cbranch_execz .LBB335_180
; %bb.161:
	s_mov_b32 s7, exec_lo
	v_cmp_ge_u32_e32 vcc_lo, v18, v15
                                        ; implicit-def: $vgpr4_vgpr5
	v_cmpx_lt_u32_e64 v18, v15
; %bb.162:
	v_lshl_add_u32 v4, v12, 3, v13
	ds_read_b64 v[4:5], v4
; %bb.163:
	s_or_b32 exec_lo, exec_lo, s7
	v_cmp_ge_u32_e64 s7, v19, v17
	s_mov_b32 s14, exec_lo
                                        ; implicit-def: $vgpr8_vgpr9
	v_cmpx_lt_u32_e64 v19, v17
; %bb.164:
	v_lshlrev_b32_e32 v6, 3, v19
	ds_read_b64 v[8:9], v6
; %bb.165:
	s_or_b32 exec_lo, exec_lo, s14
	s_nor_b32 s14, vcc_lo, s7
	s_and_saveexec_b32 s0, s14
	s_cbranch_execz .LBB335_167
; %bb.166:
	s_waitcnt lgkmcnt(0)
	v_mul_hi_i32 v6, 0x66666667, v8
	v_mul_hi_i32 v7, 0x66666667, v4
	s_andn2_b32 s7, s7, exec_lo
	v_lshrrev_b32_e32 v10, 31, v6
	v_ashrrev_i32_e32 v6, 2, v6
	v_lshrrev_b32_e32 v11, 31, v7
	v_ashrrev_i32_e32 v7, 2, v7
	v_add_nc_u32_e32 v6, v6, v10
	v_add_nc_u32_e32 v7, v7, v11
	v_cmp_ge_i32_e32 vcc_lo, v6, v7
	s_and_b32 s14, vcc_lo, exec_lo
	s_or_b32 s7, s7, s14
.LBB335_167:
	s_or_b32 exec_lo, exec_lo, s0
	v_cndmask_b32_e64 v6, v19, v18, s7
	v_cndmask_b32_e64 v7, v17, v15, s7
	s_mov_b32 s0, -1
	s_mov_b32 s14, -1
	s_mov_b32 s15, exec_lo
	v_add_nc_u32_e32 v6, 1, v6
	v_add_nc_u32_e32 v7, -1, v7
	v_cndmask_b32_e64 v12, v6, v19, s7
	v_min_u32_e32 v7, v6, v7
	v_cndmask_b32_e64 v13, v18, v6, s7
	v_lshlrev_b32_e32 v7, 3, v7
	ds_read_b64 v[20:21], v7
	s_waitcnt lgkmcnt(0)
	v_cndmask_b32_e64 v6, v21, v9, s7
	v_cndmask_b32_e64 v10, v20, v8, s7
	;; [unrolled: 1-line block ×4, first 2 shown]
	v_cmpx_lt_u32_e64 v12, v17
	s_cbranch_execz .LBB335_171
; %bb.168:
	s_mov_b32 s16, 0
	s_mov_b32 s14, exec_lo
	v_cmpx_lt_u32_e64 v13, v15
	s_cbranch_execz .LBB335_170
; %bb.169:
	v_mul_hi_i32 v18, 0x66666667, v10
	v_mul_hi_i32 v19, 0x66666667, v11
	v_lshrrev_b32_e32 v20, 31, v18
	v_ashrrev_i32_e32 v18, 2, v18
	v_lshrrev_b32_e32 v21, 31, v19
	v_ashrrev_i32_e32 v19, 2, v19
	v_add_nc_u32_e32 v18, v18, v20
	v_add_nc_u32_e32 v19, v19, v21
	v_cmp_ge_i32_e32 vcc_lo, v18, v19
	s_and_b32 s16, vcc_lo, exec_lo
.LBB335_170:
	s_or_b32 exec_lo, exec_lo, s14
	s_orn2_b32 s14, s16, exec_lo
.LBB335_171:
	s_or_b32 exec_lo, exec_lo, s15
	v_cndmask_b32_e64 v18, v12, v13, s14
	v_cndmask_b32_e64 v19, v17, v15, s14
	s_mov_b32 s15, exec_lo
	v_add_nc_u32_e32 v18, 1, v18
	v_add_nc_u32_e32 v19, -1, v19
	v_cndmask_b32_e64 v21, v18, v12, s14
	v_min_u32_e32 v19, v18, v19
	v_cndmask_b32_e64 v18, v13, v18, s14
	v_lshlrev_b32_e32 v19, 3, v19
	ds_read_b64 v[23:24], v19
	s_waitcnt lgkmcnt(0)
	v_cndmask_b32_e64 v19, v24, v6, s14
	v_cndmask_b32_e64 v20, v23, v10, s14
	;; [unrolled: 1-line block ×4, first 2 shown]
	v_cmpx_lt_u32_e64 v21, v17
	s_cbranch_execz .LBB335_175
; %bb.172:
	s_mov_b32 s16, 0
	s_mov_b32 s0, exec_lo
	v_cmpx_lt_u32_e64 v18, v15
	s_cbranch_execz .LBB335_174
; %bb.173:
	v_mul_hi_i32 v12, 0x66666667, v20
	v_mul_hi_i32 v13, 0x66666667, v23
	v_lshrrev_b32_e32 v24, 31, v12
	v_ashrrev_i32_e32 v12, 2, v12
	v_lshrrev_b32_e32 v25, 31, v13
	v_ashrrev_i32_e32 v13, 2, v13
	v_add_nc_u32_e32 v12, v12, v24
	v_add_nc_u32_e32 v13, v13, v25
	v_cmp_ge_i32_e32 vcc_lo, v12, v13
	s_and_b32 s16, vcc_lo, exec_lo
.LBB335_174:
	s_or_b32 exec_lo, exec_lo, s0
	s_orn2_b32 s0, s16, exec_lo
.LBB335_175:
	s_or_b32 exec_lo, exec_lo, s15
	v_cndmask_b32_e64 v12, v21, v18, s0
	v_cndmask_b32_e64 v13, v17, v15, s0
	;; [unrolled: 1-line block ×5, first 2 shown]
	v_add_nc_u32_e32 v24, 1, v12
	v_add_nc_u32_e32 v12, -1, v13
	v_cndmask_b32_e64 v4, v8, v4, s7
	v_cndmask_b32_e64 v9, v19, v22, s0
	;; [unrolled: 1-line block ×4, first 2 shown]
	v_min_u32_e32 v12, v24, v12
	s_mov_b32 s7, exec_lo
	v_lshlrev_b32_e32 v12, 3, v12
	ds_read_b64 v[12:13], v12
	s_waitcnt lgkmcnt(0)
	v_cndmask_b32_e64 v11, v22, v13, s0
	v_cndmask_b32_e64 v10, v23, v12, s0
	v_cmpx_lt_u32_e64 v21, v17
	s_cbranch_execz .LBB335_179
; %bb.176:
	v_cndmask_b32_e64 v17, v18, v24, s0
	v_cndmask_b32_e64 v13, v13, v19, s0
	v_cndmask_b32_e64 v12, v12, v20, s0
	s_mov_b32 s0, exec_lo
	v_cmpx_lt_u32_e64 v17, v15
	s_cbranch_execz .LBB335_178
; %bb.177:
	v_mul_hi_i32 v15, 0x66666667, v12
	v_mul_hi_i32 v17, 0x66666667, v10
	v_lshrrev_b32_e32 v18, 31, v15
	v_ashrrev_i32_e32 v15, 2, v15
	v_lshrrev_b32_e32 v19, 31, v17
	v_ashrrev_i32_e32 v17, 2, v17
	v_add_nc_u32_e32 v15, v15, v18
	v_add_nc_u32_e32 v17, v17, v19
	v_cmp_lt_i32_e32 vcc_lo, v15, v17
	v_cndmask_b32_e32 v13, v11, v13, vcc_lo
	v_cndmask_b32_e32 v12, v10, v12, vcc_lo
.LBB335_178:
	s_or_b32 exec_lo, exec_lo, s0
	v_mov_b32_e32 v10, v12
	v_mov_b32_e32 v11, v13
.LBB335_179:
	s_or_b32 exec_lo, exec_lo, s7
.LBB335_180:
	s_or_b32 exec_lo, exec_lo, s1
	v_and_b32_e32 v13, 0x3fc, v16
	s_mov_b32 s0, exec_lo
	s_barrier
	buffer_gl0_inv
	v_subrev_nc_u32_e64 v12, 0x200, v13 clamp
	v_min_u32_e32 v15, 0x200, v13
	ds_write_b128 v14, v[4:7]
	ds_write_b128 v14, v[8:11] offset:16
	s_waitcnt lgkmcnt(0)
	s_barrier
	buffer_gl0_inv
	v_cmpx_lt_u32_e64 v12, v15
	s_cbranch_execz .LBB335_184
; %bb.181:
	v_lshlrev_b32_e32 v14, 3, v13
	s_mov_b32 s1, 0
	v_lshl_add_u32 v14, 0x200, 3, v14
	.p2align	6
.LBB335_182:                            ; =>This Inner Loop Header: Depth=1
	v_add_nc_u32_e32 v16, v15, v12
	v_lshrrev_b32_e32 v16, 1, v16
	v_not_b32_e32 v17, v16
	v_lshlrev_b32_e32 v18, 3, v16
	v_lshl_add_u32 v17, v17, 3, v14
	ds_read_b32 v18, v18
	ds_read_b32 v17, v17
	s_waitcnt lgkmcnt(1)
	v_mul_hi_i32 v18, 0x66666667, v18
	s_waitcnt lgkmcnt(0)
	v_mul_hi_i32 v17, 0x66666667, v17
	v_lshrrev_b32_e32 v19, 31, v18
	v_ashrrev_i32_e32 v18, 2, v18
	v_lshrrev_b32_e32 v20, 31, v17
	v_ashrrev_i32_e32 v17, 2, v17
	v_add_nc_u32_e32 v18, v18, v19
	v_add_nc_u32_e32 v19, 1, v16
	;; [unrolled: 1-line block ×3, first 2 shown]
	v_cmp_lt_i32_e32 vcc_lo, v17, v18
	v_cndmask_b32_e32 v15, v15, v16, vcc_lo
	v_cndmask_b32_e32 v12, v19, v12, vcc_lo
	v_cmp_ge_u32_e32 vcc_lo, v12, v15
	s_or_b32 s1, vcc_lo, s1
	s_andn2_b32 exec_lo, exec_lo, s1
	s_cbranch_execnz .LBB335_182
; %bb.183:
	s_or_b32 exec_lo, exec_lo, s1
.LBB335_184:
	s_or_b32 exec_lo, exec_lo, s0
	v_sub_nc_u32_e32 v13, v13, v12
	v_cmp_ge_u32_e32 vcc_lo, 0x200, v12
	v_add_nc_u32_e32 v13, 0x200, v13
	v_cmp_gt_u32_e64 s0, 0x401, v13
	s_or_b32 s0, vcc_lo, s0
	s_and_saveexec_b32 s1, s0
	s_cbranch_execz .LBB335_204
; %bb.185:
	s_mov_b32 s7, exec_lo
	v_cmp_le_u32_e32 vcc_lo, 0x200, v12
                                        ; implicit-def: $vgpr4_vgpr5
	v_cmpx_gt_u32_e32 0x200, v12
; %bb.186:
	v_lshlrev_b32_e32 v4, 3, v12
	ds_read_b64 v[4:5], v4
; %bb.187:
	s_or_b32 exec_lo, exec_lo, s7
	v_cmp_lt_u32_e64 s7, 0x3ff, v13
	s_mov_b32 s14, exec_lo
                                        ; implicit-def: $vgpr8_vgpr9
	v_cmpx_gt_u32_e32 0x400, v13
; %bb.188:
	v_lshlrev_b32_e32 v6, 3, v13
	ds_read_b64 v[8:9], v6
; %bb.189:
	s_or_b32 exec_lo, exec_lo, s14
	s_nor_b32 s14, vcc_lo, s7
	s_and_saveexec_b32 s0, s14
	s_cbranch_execz .LBB335_191
; %bb.190:
	s_waitcnt lgkmcnt(0)
	v_mul_hi_i32 v6, 0x66666667, v8
	v_mul_hi_i32 v7, 0x66666667, v4
	s_andn2_b32 s7, s7, exec_lo
	v_lshrrev_b32_e32 v10, 31, v6
	v_ashrrev_i32_e32 v6, 2, v6
	v_lshrrev_b32_e32 v11, 31, v7
	v_ashrrev_i32_e32 v7, 2, v7
	v_add_nc_u32_e32 v6, v6, v10
	v_add_nc_u32_e32 v7, v7, v11
	v_cmp_ge_i32_e32 vcc_lo, v6, v7
	s_and_b32 s14, vcc_lo, exec_lo
	s_or_b32 s7, s7, s14
.LBB335_191:
	s_or_b32 exec_lo, exec_lo, s0
	v_cndmask_b32_e64 v7, v13, v12, s7
	v_add_nc_u32_e64 v6, 0x200, -1
	s_mov_b32 s0, -1
	s_mov_b32 s14, -1
	s_mov_b32 s15, exec_lo
	v_add_nc_u32_e32 v7, 1, v7
	v_cndmask_b32_e64 v10, 0x3ff, v6, s7
	v_cndmask_b32_e64 v13, v7, v13, s7
	v_min_u32_e32 v10, v7, v10
	v_cndmask_b32_e64 v12, v12, v7, s7
	v_lshlrev_b32_e32 v10, 3, v10
	ds_read_b64 v[14:15], v10
	s_waitcnt lgkmcnt(0)
	v_cndmask_b32_e64 v7, v15, v9, s7
	v_cndmask_b32_e64 v10, v14, v8, s7
	;; [unrolled: 1-line block ×4, first 2 shown]
	v_cmpx_gt_u32_e32 0x400, v13
	s_cbranch_execz .LBB335_195
; %bb.192:
	s_mov_b32 s16, 0
	s_mov_b32 s14, exec_lo
	v_cmpx_gt_u32_e32 0x200, v12
	s_cbranch_execz .LBB335_194
; %bb.193:
	v_mul_hi_i32 v15, 0x66666667, v10
	v_mul_hi_i32 v16, 0x66666667, v14
	v_lshrrev_b32_e32 v17, 31, v15
	v_ashrrev_i32_e32 v15, 2, v15
	v_lshrrev_b32_e32 v18, 31, v16
	v_ashrrev_i32_e32 v16, 2, v16
	v_add_nc_u32_e32 v15, v15, v17
	v_add_nc_u32_e32 v16, v16, v18
	v_cmp_ge_i32_e32 vcc_lo, v15, v16
	s_and_b32 s16, vcc_lo, exec_lo
.LBB335_194:
	s_or_b32 exec_lo, exec_lo, s14
	s_orn2_b32 s14, s16, exec_lo
.LBB335_195:
	s_or_b32 exec_lo, exec_lo, s15
	v_cndmask_b32_e64 v15, v13, v12, s14
	v_cndmask_b32_e64 v16, 0x3ff, v6, s14
	s_mov_b32 s15, exec_lo
	v_add_nc_u32_e32 v15, 1, v15
	v_min_u32_e32 v16, v15, v16
	v_cndmask_b32_e64 v18, v15, v13, s14
	v_cndmask_b32_e64 v15, v12, v15, s14
	v_lshlrev_b32_e32 v16, 3, v16
	ds_read_b64 v[20:21], v16
	s_waitcnt lgkmcnt(0)
	v_cndmask_b32_e64 v16, v21, v7, s14
	v_cndmask_b32_e64 v17, v20, v10, s14
	;; [unrolled: 1-line block ×4, first 2 shown]
	v_cmpx_gt_u32_e32 0x400, v18
	s_cbranch_execz .LBB335_199
; %bb.196:
	s_mov_b32 s16, 0
	s_mov_b32 s0, exec_lo
	v_cmpx_gt_u32_e32 0x200, v15
	s_cbranch_execz .LBB335_198
; %bb.197:
	v_mul_hi_i32 v12, 0x66666667, v17
	v_mul_hi_i32 v13, 0x66666667, v20
	v_lshrrev_b32_e32 v21, 31, v12
	v_ashrrev_i32_e32 v12, 2, v12
	v_lshrrev_b32_e32 v22, 31, v13
	v_ashrrev_i32_e32 v13, 2, v13
	v_add_nc_u32_e32 v12, v12, v21
	v_add_nc_u32_e32 v13, v13, v22
	v_cmp_ge_i32_e32 vcc_lo, v12, v13
	s_and_b32 s16, vcc_lo, exec_lo
.LBB335_198:
	s_or_b32 exec_lo, exec_lo, s0
	s_orn2_b32 s0, s16, exec_lo
.LBB335_199:
	s_or_b32 exec_lo, exec_lo, s15
	v_cndmask_b32_e64 v12, v18, v15, s0
	v_cndmask_b32_e64 v6, 0x3ff, v6, s0
	;; [unrolled: 1-line block ×5, first 2 shown]
	v_add_nc_u32_e32 v21, 1, v12
	v_cndmask_b32_e64 v9, v16, v19, s0
	v_cndmask_b32_e64 v8, v17, v20, s0
	s_mov_b32 s7, exec_lo
	v_min_u32_e32 v6, v21, v6
	v_lshlrev_b32_e32 v6, 3, v6
	ds_read_b64 v[12:13], v6
	v_cndmask_b32_e64 v6, v10, v14, s14
	v_cndmask_b32_e64 v14, v21, v18, s0
	s_waitcnt lgkmcnt(0)
	v_cndmask_b32_e64 v11, v19, v13, s0
	v_cndmask_b32_e64 v10, v20, v12, s0
	v_cmpx_gt_u32_e32 0x400, v14
	s_cbranch_execz .LBB335_203
; %bb.200:
	v_cndmask_b32_e64 v14, v15, v21, s0
	v_cndmask_b32_e64 v13, v13, v16, s0
	;; [unrolled: 1-line block ×3, first 2 shown]
	s_mov_b32 s0, exec_lo
	v_cmpx_gt_u32_e32 0x200, v14
	s_cbranch_execz .LBB335_202
; %bb.201:
	v_mul_hi_i32 v14, 0x66666667, v12
	v_mul_hi_i32 v15, 0x66666667, v10
	v_lshrrev_b32_e32 v16, 31, v14
	v_ashrrev_i32_e32 v14, 2, v14
	v_lshrrev_b32_e32 v17, 31, v15
	v_ashrrev_i32_e32 v15, 2, v15
	v_add_nc_u32_e32 v14, v14, v16
	v_add_nc_u32_e32 v15, v15, v17
	v_cmp_lt_i32_e32 vcc_lo, v14, v15
	v_cndmask_b32_e32 v13, v11, v13, vcc_lo
	v_cndmask_b32_e32 v12, v10, v12, vcc_lo
.LBB335_202:
	s_or_b32 exec_lo, exec_lo, s0
	v_mov_b32_e32 v10, v12
	v_mov_b32_e32 v11, v13
.LBB335_203:
	s_or_b32 exec_lo, exec_lo, s7
.LBB335_204:
	s_or_b32 exec_lo, exec_lo, s1
	s_barrier
	buffer_gl0_inv
	s_barrier
	buffer_gl0_inv
	ds_write2_b64 v38, v[4:5], v[6:7] offset1:1
	ds_write2_b64 v38, v[8:9], v[10:11] offset0:2 offset1:3
	s_waitcnt lgkmcnt(0)
	s_barrier
	buffer_gl0_inv
	ds_read_b64 v[6:7], v34
	ds_read_b64 v[8:9], v35 offset:2048
	ds_read_b64 v[10:11], v36 offset:4096
	ds_read_b64 v[4:5], v37 offset:6144
	v_add_co_u32 v12, s0, s11, v28
	v_add_co_ci_u32_e64 v13, null, s13, 0, s0
	v_add_co_u32 v14, vcc_lo, 0x800, v12
	v_add_co_ci_u32_e64 v15, null, 0, v13, vcc_lo
	v_add_co_u32 v16, vcc_lo, 0x1000, v12
	v_add_co_ci_u32_e64 v17, null, 0, v13, vcc_lo
	s_mov_b32 s14, -1
	s_waitcnt lgkmcnt(3)
	flat_store_dwordx2 v[12:13], v[6:7]
	s_waitcnt lgkmcnt(3)
	flat_store_dwordx2 v[14:15], v[8:9]
	;; [unrolled: 2-line block ×3, first 2 shown]
	s_branch .LBB335_343
.LBB335_205:
	s_mov_b32 s14, s9
                                        ; implicit-def: $vgpr4_vgpr5
	s_cbranch_execz .LBB335_343
; %bb.206:
	s_waitcnt lgkmcnt(3)
	v_mov_b32_e32 v4, 0
	s_lshl_b64 s[0:1], s[8:9], 10
	s_sub_i32 s8, s12, s0
	v_cmp_gt_u32_e32 vcc_lo, s8, v0
	v_mov_b32_e32 v5, v4
	v_mov_b32_e32 v6, v4
	;; [unrolled: 1-line block ×7, first 2 shown]
	s_and_saveexec_b32 s0, vcc_lo
	s_cbranch_execnz .LBB335_346
; %bb.207:
	s_or_b32 exec_lo, exec_lo, s0
	v_cmp_gt_u32_e64 s0, s8, v33
	s_and_saveexec_b32 s1, s0
	s_cbranch_execnz .LBB335_347
.LBB335_208:
	s_or_b32 exec_lo, exec_lo, s1
	v_cmp_gt_u32_e64 s1, s8, v32
	s_and_saveexec_b32 s7, s1
	s_cbranch_execnz .LBB335_348
.LBB335_209:
	s_or_b32 exec_lo, exec_lo, s7
	v_cmp_gt_u32_e64 s14, s8, v31
	s_and_saveexec_b32 s7, s14
	s_cbranch_execz .LBB335_211
.LBB335_210:
	v_lshlrev_b32_e32 v1, 3, v31
	v_add_co_u32 v10, s4, s4, v1
	v_add_co_ci_u32_e64 v11, null, s5, 0, s4
	flat_load_dwordx2 v[10:11], v[10:11]
.LBB335_211:
	s_or_b32 exec_lo, exec_lo, s7
	v_lshrrev_b32_e32 v12, 2, v32
	v_lshrrev_b32_e32 v13, 2, v31
	;; [unrolled: 1-line block ×3, first 2 shown]
	v_and_b32_e32 v14, 56, v30
	v_and_b32_e32 v15, 0xf8, v12
	;; [unrolled: 1-line block ×4, first 2 shown]
	v_add_nc_u32_e32 v12, v14, v28
	v_add_nc_u32_e32 v14, v15, v28
	;; [unrolled: 1-line block ×3, first 2 shown]
	v_lshl_add_u32 v16, v0, 5, v29
	v_add_nc_u32_e32 v13, v1, v28
	ds_write_b64 v12, v[4:5]
	s_waitcnt vmcnt(0) lgkmcnt(1)
	ds_write_b64 v13, v[6:7] offset:2048
	ds_write_b64 v14, v[8:9] offset:4096
	;; [unrolled: 1-line block ×3, first 2 shown]
	s_waitcnt lgkmcnt(0)
	s_waitcnt_vscnt null, 0x0
	s_barrier
	buffer_gl0_inv
	ds_read2_b64 v[4:7], v16 offset1:1
	ds_read2_b64 v[8:11], v16 offset0:2 offset1:3
	s_waitcnt lgkmcnt(0)
	s_barrier
	buffer_gl0_inv
	s_load_dword s4, s[2:3], 0xc
	v_mov_b32_e32 v1, 0
	s_waitcnt lgkmcnt(0)
	s_lshr_b32 s4, s4, 16
	s_cmp_lt_u32 s6, s10
	v_mad_u32_u24 v2, v2, s4, v3
	s_cselect_b32 s5, 12, 18
	s_add_u32 s2, s2, s5
	s_addc_u32 s3, s3, 0
	global_load_ushort v1, v1, s[2:3]
	s_waitcnt vmcnt(0)
	v_mul_lo_u32 v1, v2, v1
	v_add_lshl_u32 v1, v1, v0, 2
	v_sub_nc_u32_e64 v2, s8, v1 clamp
	v_cmp_lt_u32_e64 s2, 1, v2
	s_and_saveexec_b32 s4, s2
	s_cbranch_execz .LBB335_215
; %bb.212:
	v_mul_hi_i32 v3, 0x66666667, v6
	v_mul_hi_i32 v17, 0x66666667, v4
	s_mov_b32 s5, exec_lo
	v_lshrrev_b32_e32 v18, 31, v3
	v_ashrrev_i32_e32 v3, 2, v3
	v_lshrrev_b32_e32 v19, 31, v17
	v_ashrrev_i32_e32 v17, 2, v17
	v_add_nc_u32_e32 v3, v3, v18
	v_add_nc_u32_e32 v17, v17, v19
	v_cmpx_lt_i32_e64 v3, v17
	s_cbranch_execz .LBB335_214
; %bb.213:
	v_mov_b32_e32 v17, v6
	v_mov_b32_e32 v18, v7
	;; [unrolled: 1-line block ×16, first 2 shown]
.LBB335_214:
	s_or_b32 exec_lo, exec_lo, s5
.LBB335_215:
	s_or_b32 exec_lo, exec_lo, s4
	v_mul_hi_i32 v3, 0x66666667, v10
	v_mul_hi_i32 v17, 0x66666667, v8
	v_cmp_lt_u32_e64 s3, 3, v2
	v_cmp_lt_u32_e64 s5, 2, v2
	v_and_b32_e32 v1, 0xffffff80, v1
	v_lshrrev_b32_e32 v18, 31, v3
	v_ashrrev_i32_e32 v3, 2, v3
	v_lshrrev_b32_e32 v19, 31, v17
	v_ashrrev_i32_e32 v17, 2, v17
	v_add_nc_u32_e32 v3, v3, v18
	v_mul_hi_i32 v18, 0x66666667, v6
	v_add_nc_u32_e32 v17, v17, v19
	v_cmp_lt_i32_e64 s4, v3, v17
	v_lshrrev_b32_e32 v20, 31, v18
	v_ashrrev_i32_e32 v18, 2, v18
	s_and_b32 s4, s3, s4
	v_cndmask_b32_e64 v17, v8, v10, s4
	v_add_nc_u32_e32 v18, v18, v20
	v_cndmask_b32_e64 v3, v11, v9, s4
	v_cndmask_b32_e64 v2, v9, v11, s4
	;; [unrolled: 1-line block ×3, first 2 shown]
	v_mul_hi_i32 v19, 0x66666667, v17
	v_mul_hi_i32 v8, 0x66666667, v4
	v_mbcnt_lo_u32_b32 v20, -1, 0
	v_mul_hi_i32 v11, 0x66666667, v9
	v_lshrrev_b32_e32 v21, 31, v19
	v_ashrrev_i32_e32 v19, 2, v19
	v_add_nc_u32_e32 v19, v19, v21
	v_cmp_lt_i32_e64 s6, v19, v18
	v_lshrrev_b32_e32 v19, 31, v8
	v_lshrrev_b32_e32 v18, 31, v11
	v_ashrrev_i32_e32 v11, 2, v11
	v_ashrrev_i32_e32 v8, 2, v8
	s_and_b32 s4, s5, s6
	v_cndmask_b32_e64 v24, v17, v6, s4
	v_cndmask_b32_e64 v25, v6, v17, s4
	v_add_nc_u32_e32 v11, v11, v18
	v_add_nc_u32_e32 v8, v8, v19
	v_lshlrev_b32_e32 v18, 2, v20
	v_mul_hi_i32 v6, 0x66666667, v24
	v_mul_hi_i32 v17, 0x66666667, v25
	v_sub_nc_u32_e64 v19, s8, v1 clamp
	v_cndmask_b32_e64 v10, v2, v7, s4
	v_cndmask_b32_e64 v7, v7, v2, s4
	v_lshrrev_b32_e32 v21, 31, v6
	v_ashrrev_i32_e32 v6, 2, v6
	v_lshrrev_b32_e32 v22, 31, v17
	v_ashrrev_i32_e32 v17, 2, v17
	v_add_nc_u32_e32 v6, v6, v21
	v_add_nc_u32_e32 v17, v17, v22
	v_and_b32_e32 v22, 4, v18
	v_cmp_lt_i32_e64 s6, v11, v6
	v_or_b32_e32 v11, 4, v18
	v_cmp_lt_i32_e64 s7, v17, v8
	v_lshlrev_b32_e32 v17, 3, v1
	v_and_b32_e32 v1, 0x78, v18
	s_and_b32 s3, s3, s6
	v_min_u32_e32 v21, v19, v11
	s_and_b32 s2, s2, s7
	v_cndmask_b32_e64 v26, v24, v9, s3
	v_cndmask_b32_e64 v27, v25, v4, s2
	;; [unrolled: 1-line block ×3, first 2 shown]
	v_add_nc_u32_e32 v23, 4, v21
	v_cndmask_b32_e64 v32, v7, v5, s2
	v_mul_hi_i32 v2, 0x66666667, v26
	v_mul_hi_i32 v11, 0x66666667, v27
	v_cndmask_b32_e64 v3, v10, v3, s3
	v_cndmask_b32_e64 v8, v5, v7, s2
	;; [unrolled: 1-line block ×3, first 2 shown]
	v_lshl_or_b32 v20, v20, 5, v17
	v_cndmask_b32_e64 v5, v9, v24, s3
	v_lshl_or_b32 v24, v1, 3, v17
	v_lshrrev_b32_e32 v29, 31, v2
	v_ashrrev_i32_e32 v30, 2, v2
	v_lshrrev_b32_e32 v31, 31, v11
	v_ashrrev_i32_e32 v11, 2, v11
	v_min_u32_e32 v2, v19, v22
	v_min_u32_e32 v22, v19, v23
	v_add_nc_u32_e32 v29, v30, v29
	v_sub_nc_u32_e32 v23, v21, v1
	v_add_nc_u32_e32 v30, v11, v31
	s_mov_b32 s3, exec_lo
	v_sub_nc_u32_e32 v31, v22, v21
	v_min_u32_e32 v11, v2, v23
	v_cmp_lt_i32_e64 s4, v29, v30
	v_sub_nc_u32_e64 v23, v2, v31 clamp
	s_and_b32 s2, s5, s4
	v_cndmask_b32_e64 v4, v3, v32, s2
	v_cndmask_b32_e64 v10, v32, v3, s2
	;; [unrolled: 1-line block ×4, first 2 shown]
	ds_write_b128 v20, v[7:10]
	ds_write_b128 v20, v[3:6] offset:16
	; wave barrier
	v_cmpx_lt_u32_e64 v23, v11
	s_cbranch_execz .LBB335_219
; %bb.216:
	v_lshlrev_b32_e32 v25, 3, v21
	v_lshlrev_b32_e32 v26, 3, v2
	s_mov_b32 s4, 0
	v_add3_u32 v25, v17, v25, v26
	s_inst_prefetch 0x1
	.p2align	6
.LBB335_217:                            ; =>This Inner Loop Header: Depth=1
	v_add_nc_u32_e32 v26, v11, v23
	v_lshrrev_b32_e32 v26, 1, v26
	v_not_b32_e32 v27, v26
	v_lshl_add_u32 v29, v26, 3, v24
	v_lshl_add_u32 v27, v27, 3, v25
	ds_read_b32 v29, v29
	ds_read_b32 v27, v27
	s_waitcnt lgkmcnt(1)
	v_mul_hi_i32 v29, 0x66666667, v29
	s_waitcnt lgkmcnt(0)
	v_mul_hi_i32 v27, 0x66666667, v27
	v_lshrrev_b32_e32 v30, 31, v29
	v_ashrrev_i32_e32 v29, 2, v29
	v_lshrrev_b32_e32 v31, 31, v27
	v_ashrrev_i32_e32 v27, 2, v27
	v_add_nc_u32_e32 v29, v29, v30
	v_add_nc_u32_e32 v30, 1, v26
	;; [unrolled: 1-line block ×3, first 2 shown]
	v_cmp_lt_i32_e64 s2, v27, v29
	v_cndmask_b32_e64 v11, v11, v26, s2
	v_cndmask_b32_e64 v23, v30, v23, s2
	v_cmp_ge_u32_e64 s2, v23, v11
	s_or_b32 s4, s2, s4
	s_andn2_b32 exec_lo, exec_lo, s4
	s_cbranch_execnz .LBB335_217
; %bb.218:
	s_inst_prefetch 0x2
	s_or_b32 exec_lo, exec_lo, s4
.LBB335_219:
	s_or_b32 exec_lo, exec_lo, s3
	v_add_nc_u32_e32 v2, v21, v2
	v_add_nc_u32_e32 v25, v23, v1
	v_lshlrev_b32_e32 v11, 2, v0
	v_sub_nc_u32_e32 v26, v2, v23
	v_cmp_le_u32_e64 s2, v25, v21
	v_cmp_le_u32_e64 s3, v26, v22
	s_or_b32 s2, s2, s3
	s_and_saveexec_b32 s4, s2
	s_cbranch_execz .LBB335_239
; %bb.220:
	v_cmp_ge_u32_e64 s2, v25, v21
	s_mov_b32 s5, exec_lo
                                        ; implicit-def: $vgpr1_vgpr2
	v_cmpx_lt_u32_e64 v25, v21
; %bb.221:
	v_lshl_add_u32 v1, v23, 3, v24
	ds_read_b64 v[1:2], v1
; %bb.222:
	s_or_b32 exec_lo, exec_lo, s5
	v_cmp_ge_u32_e64 s5, v26, v22
	s_mov_b32 s6, exec_lo
                                        ; implicit-def: $vgpr3_vgpr4
	v_cmpx_lt_u32_e64 v26, v22
; %bb.223:
	v_lshl_add_u32 v3, v26, 3, v17
	ds_read_b64 v[3:4], v3
; %bb.224:
	s_or_b32 exec_lo, exec_lo, s6
	s_nor_b32 s2, s2, s5
	s_and_saveexec_b32 s3, s2
	s_cbranch_execz .LBB335_226
; %bb.225:
	s_waitcnt lgkmcnt(0)
	v_mul_hi_i32 v5, 0x66666667, v3
	v_mul_hi_i32 v6, 0x66666667, v1
	s_andn2_b32 s5, s5, exec_lo
	v_lshrrev_b32_e32 v7, 31, v5
	v_ashrrev_i32_e32 v5, 2, v5
	v_lshrrev_b32_e32 v8, 31, v6
	v_ashrrev_i32_e32 v6, 2, v6
	v_add_nc_u32_e32 v5, v5, v7
	v_add_nc_u32_e32 v6, v6, v8
	v_cmp_ge_i32_e64 s2, v5, v6
	s_and_b32 s2, s2, exec_lo
	s_or_b32 s5, s5, s2
.LBB335_226:
	s_or_b32 exec_lo, exec_lo, s3
	v_cndmask_b32_e64 v5, v26, v25, s5
	v_cndmask_b32_e64 v6, v22, v21, s5
	s_mov_b32 s3, -1
	s_mov_b32 s6, -1
	s_mov_b32 s7, exec_lo
	v_add_nc_u32_e32 v9, 1, v5
	v_add_nc_u32_e32 v5, -1, v6
	v_cndmask_b32_e64 v6, v25, v9, s5
	v_min_u32_e32 v5, v9, v5
	v_lshl_add_u32 v5, v5, 3, v17
	ds_read_b64 v[7:8], v5
	v_cndmask_b32_e64 v5, v9, v26, s5
	s_waitcnt lgkmcnt(0)
	v_cndmask_b32_e64 v9, v8, v4, s5
	v_cndmask_b32_e64 v23, v7, v3, s5
	;; [unrolled: 1-line block ×4, first 2 shown]
	v_cmpx_lt_u32_e64 v5, v22
	s_cbranch_execz .LBB335_230
; %bb.227:
	s_mov_b32 s9, 0
	s_mov_b32 s6, exec_lo
	v_cmpx_lt_u32_e64 v6, v21
	s_cbranch_execz .LBB335_229
; %bb.228:
	v_mul_hi_i32 v7, 0x66666667, v23
	v_mul_hi_i32 v8, 0x66666667, v24
	v_lshrrev_b32_e32 v25, 31, v7
	v_ashrrev_i32_e32 v7, 2, v7
	v_lshrrev_b32_e32 v26, 31, v8
	v_ashrrev_i32_e32 v8, 2, v8
	v_add_nc_u32_e32 v7, v7, v25
	v_add_nc_u32_e32 v8, v8, v26
	v_cmp_ge_i32_e64 s2, v7, v8
	s_and_b32 s9, s2, exec_lo
.LBB335_229:
	s_or_b32 exec_lo, exec_lo, s6
	s_orn2_b32 s6, s9, exec_lo
.LBB335_230:
	s_or_b32 exec_lo, exec_lo, s7
	v_cndmask_b32_e64 v7, v5, v6, s6
	v_cndmask_b32_e64 v8, v22, v21, s6
	s_mov_b32 s7, exec_lo
	v_add_nc_u32_e32 v25, 1, v7
	v_add_nc_u32_e32 v7, -1, v8
	v_cndmask_b32_e64 v5, v25, v5, s6
	v_min_u32_e32 v7, v25, v7
	v_cndmask_b32_e64 v30, v6, v25, s6
	v_lshl_add_u32 v7, v7, 3, v17
	ds_read_b64 v[7:8], v7
	s_waitcnt lgkmcnt(0)
	v_cndmask_b32_e64 v25, v8, v9, s6
	v_cndmask_b32_e64 v26, v7, v23, s6
	;; [unrolled: 1-line block ×4, first 2 shown]
	v_cmpx_lt_u32_e64 v5, v22
	s_cbranch_execz .LBB335_234
; %bb.231:
	s_mov_b32 s9, 0
	s_mov_b32 s3, exec_lo
	v_cmpx_lt_u32_e64 v30, v21
	s_cbranch_execz .LBB335_233
; %bb.232:
	v_mul_hi_i32 v6, 0x66666667, v26
	v_mul_hi_i32 v7, 0x66666667, v29
	v_lshrrev_b32_e32 v8, 31, v6
	v_ashrrev_i32_e32 v6, 2, v6
	v_lshrrev_b32_e32 v31, 31, v7
	v_ashrrev_i32_e32 v7, 2, v7
	v_add_nc_u32_e32 v6, v6, v8
	v_add_nc_u32_e32 v7, v7, v31
	v_cmp_ge_i32_e64 s2, v6, v7
	s_and_b32 s9, s2, exec_lo
.LBB335_233:
	s_or_b32 exec_lo, exec_lo, s3
	s_orn2_b32 s3, s9, exec_lo
.LBB335_234:
	s_or_b32 exec_lo, exec_lo, s7
	v_cndmask_b32_e64 v6, v5, v30, s3
	v_cndmask_b32_e64 v7, v22, v21, s3
	s_mov_b32 s7, exec_lo
	v_add_nc_u32_e32 v31, 1, v6
	v_add_nc_u32_e32 v6, -1, v7
	v_cndmask_b32_e64 v32, v31, v5, s3
	v_min_u32_e32 v6, v31, v6
	v_lshl_add_u32 v6, v6, 3, v17
	ds_read_b64 v[7:8], v6
	s_waitcnt lgkmcnt(0)
	v_cndmask_b32_e64 v6, v27, v8, s3
	v_cndmask_b32_e64 v5, v29, v7, s3
	v_cmpx_lt_u32_e64 v32, v22
	s_cbranch_execz .LBB335_238
; %bb.235:
	v_cndmask_b32_e64 v22, v30, v31, s3
	v_cndmask_b32_e64 v8, v8, v25, s3
	;; [unrolled: 1-line block ×3, first 2 shown]
	s_mov_b32 s9, exec_lo
	v_cmpx_lt_u32_e64 v22, v21
	s_cbranch_execz .LBB335_237
; %bb.236:
	v_mul_hi_i32 v21, 0x66666667, v7
	v_mul_hi_i32 v22, 0x66666667, v5
	v_lshrrev_b32_e32 v30, 31, v21
	v_ashrrev_i32_e32 v21, 2, v21
	v_lshrrev_b32_e32 v31, 31, v22
	v_ashrrev_i32_e32 v22, 2, v22
	v_add_nc_u32_e32 v21, v21, v30
	v_add_nc_u32_e32 v22, v22, v31
	v_cmp_lt_i32_e64 s2, v21, v22
	v_cndmask_b32_e64 v8, v6, v8, s2
	v_cndmask_b32_e64 v7, v5, v7, s2
.LBB335_237:
	s_or_b32 exec_lo, exec_lo, s9
	v_mov_b32_e32 v5, v7
	v_mov_b32_e32 v6, v8
.LBB335_238:
	s_or_b32 exec_lo, exec_lo, s7
	v_cndmask_b32_e64 v8, v4, v2, s5
	v_cndmask_b32_e64 v7, v3, v1, s5
	;; [unrolled: 1-line block ×6, first 2 shown]
.LBB335_239:
	s_or_b32 exec_lo, exec_lo, s4
	v_and_b32_e32 v1, 0x70, v18
	v_and_b32_e32 v23, 12, v18
	s_mov_b32 s3, exec_lo
	; wave barrier
	v_or_b32_e32 v2, 8, v1
	ds_write_b128 v20, v[7:10]
	ds_write_b128 v20, v[3:6] offset:16
	; wave barrier
	v_min_u32_e32 v21, v19, v2
	v_add_nc_u32_e32 v2, 8, v21
	v_sub_nc_u32_e32 v24, v21, v1
	v_min_u32_e32 v22, v19, v2
	v_min_u32_e32 v2, v19, v23
	v_sub_nc_u32_e32 v23, v22, v21
	v_min_u32_e32 v25, v2, v24
	v_lshl_add_u32 v24, v1, 3, v17
	v_sub_nc_u32_e64 v23, v2, v23 clamp
	v_cmpx_lt_u32_e64 v23, v25
	s_cbranch_execz .LBB335_243
; %bb.240:
	v_lshlrev_b32_e32 v26, 3, v21
	v_lshlrev_b32_e32 v27, 3, v2
	s_mov_b32 s4, 0
	v_add3_u32 v26, v17, v26, v27
	s_inst_prefetch 0x1
	.p2align	6
.LBB335_241:                            ; =>This Inner Loop Header: Depth=1
	v_add_nc_u32_e32 v27, v25, v23
	v_lshrrev_b32_e32 v27, 1, v27
	v_not_b32_e32 v29, v27
	v_lshl_add_u32 v30, v27, 3, v24
	v_lshl_add_u32 v29, v29, 3, v26
	ds_read_b32 v30, v30
	ds_read_b32 v29, v29
	s_waitcnt lgkmcnt(1)
	v_mul_hi_i32 v30, 0x66666667, v30
	s_waitcnt lgkmcnt(0)
	v_mul_hi_i32 v29, 0x66666667, v29
	v_lshrrev_b32_e32 v31, 31, v30
	v_ashrrev_i32_e32 v30, 2, v30
	v_lshrrev_b32_e32 v32, 31, v29
	v_ashrrev_i32_e32 v29, 2, v29
	v_add_nc_u32_e32 v30, v30, v31
	v_add_nc_u32_e32 v31, 1, v27
	;; [unrolled: 1-line block ×3, first 2 shown]
	v_cmp_lt_i32_e64 s2, v29, v30
	v_cndmask_b32_e64 v25, v25, v27, s2
	v_cndmask_b32_e64 v23, v31, v23, s2
	v_cmp_ge_u32_e64 s2, v23, v25
	s_or_b32 s4, s2, s4
	s_andn2_b32 exec_lo, exec_lo, s4
	s_cbranch_execnz .LBB335_241
; %bb.242:
	s_inst_prefetch 0x2
	s_or_b32 exec_lo, exec_lo, s4
.LBB335_243:
	s_or_b32 exec_lo, exec_lo, s3
	v_add_nc_u32_e32 v2, v21, v2
	v_add_nc_u32_e32 v25, v23, v1
	v_sub_nc_u32_e32 v26, v2, v23
	v_cmp_le_u32_e64 s2, v25, v21
	v_cmp_le_u32_e64 s3, v26, v22
	s_or_b32 s2, s2, s3
	s_and_saveexec_b32 s4, s2
	s_cbranch_execz .LBB335_263
; %bb.244:
	v_cmp_ge_u32_e64 s2, v25, v21
	s_mov_b32 s5, exec_lo
                                        ; implicit-def: $vgpr1_vgpr2
	v_cmpx_lt_u32_e64 v25, v21
; %bb.245:
	v_lshl_add_u32 v1, v23, 3, v24
	ds_read_b64 v[1:2], v1
; %bb.246:
	s_or_b32 exec_lo, exec_lo, s5
	v_cmp_ge_u32_e64 s5, v26, v22
	s_mov_b32 s6, exec_lo
                                        ; implicit-def: $vgpr3_vgpr4
	v_cmpx_lt_u32_e64 v26, v22
; %bb.247:
	v_lshl_add_u32 v3, v26, 3, v17
	ds_read_b64 v[3:4], v3
; %bb.248:
	s_or_b32 exec_lo, exec_lo, s6
	s_nor_b32 s2, s2, s5
	s_and_saveexec_b32 s3, s2
	s_cbranch_execz .LBB335_250
; %bb.249:
	s_waitcnt lgkmcnt(0)
	v_mul_hi_i32 v5, 0x66666667, v3
	v_mul_hi_i32 v6, 0x66666667, v1
	s_andn2_b32 s5, s5, exec_lo
	v_lshrrev_b32_e32 v7, 31, v5
	v_ashrrev_i32_e32 v5, 2, v5
	v_lshrrev_b32_e32 v8, 31, v6
	v_ashrrev_i32_e32 v6, 2, v6
	v_add_nc_u32_e32 v5, v5, v7
	v_add_nc_u32_e32 v6, v6, v8
	v_cmp_ge_i32_e64 s2, v5, v6
	s_and_b32 s2, s2, exec_lo
	s_or_b32 s5, s5, s2
.LBB335_250:
	s_or_b32 exec_lo, exec_lo, s3
	v_cndmask_b32_e64 v5, v26, v25, s5
	v_cndmask_b32_e64 v6, v22, v21, s5
	s_mov_b32 s3, -1
	s_mov_b32 s6, -1
	s_mov_b32 s7, exec_lo
	v_add_nc_u32_e32 v9, 1, v5
	v_add_nc_u32_e32 v5, -1, v6
	v_cndmask_b32_e64 v6, v25, v9, s5
	v_min_u32_e32 v5, v9, v5
	v_lshl_add_u32 v5, v5, 3, v17
	ds_read_b64 v[7:8], v5
	v_cndmask_b32_e64 v5, v9, v26, s5
	s_waitcnt lgkmcnt(0)
	v_cndmask_b32_e64 v9, v8, v4, s5
	v_cndmask_b32_e64 v23, v7, v3, s5
	;; [unrolled: 1-line block ×4, first 2 shown]
	v_cmpx_lt_u32_e64 v5, v22
	s_cbranch_execz .LBB335_254
; %bb.251:
	s_mov_b32 s9, 0
	s_mov_b32 s6, exec_lo
	v_cmpx_lt_u32_e64 v6, v21
	s_cbranch_execz .LBB335_253
; %bb.252:
	v_mul_hi_i32 v7, 0x66666667, v23
	v_mul_hi_i32 v8, 0x66666667, v24
	v_lshrrev_b32_e32 v25, 31, v7
	v_ashrrev_i32_e32 v7, 2, v7
	v_lshrrev_b32_e32 v26, 31, v8
	v_ashrrev_i32_e32 v8, 2, v8
	v_add_nc_u32_e32 v7, v7, v25
	v_add_nc_u32_e32 v8, v8, v26
	v_cmp_ge_i32_e64 s2, v7, v8
	s_and_b32 s9, s2, exec_lo
.LBB335_253:
	s_or_b32 exec_lo, exec_lo, s6
	s_orn2_b32 s6, s9, exec_lo
.LBB335_254:
	s_or_b32 exec_lo, exec_lo, s7
	v_cndmask_b32_e64 v7, v5, v6, s6
	v_cndmask_b32_e64 v8, v22, v21, s6
	s_mov_b32 s7, exec_lo
	v_add_nc_u32_e32 v25, 1, v7
	v_add_nc_u32_e32 v7, -1, v8
	v_cndmask_b32_e64 v5, v25, v5, s6
	v_min_u32_e32 v7, v25, v7
	v_cndmask_b32_e64 v30, v6, v25, s6
	v_lshl_add_u32 v7, v7, 3, v17
	ds_read_b64 v[7:8], v7
	s_waitcnt lgkmcnt(0)
	v_cndmask_b32_e64 v25, v8, v9, s6
	v_cndmask_b32_e64 v26, v7, v23, s6
	;; [unrolled: 1-line block ×4, first 2 shown]
	v_cmpx_lt_u32_e64 v5, v22
	s_cbranch_execz .LBB335_258
; %bb.255:
	s_mov_b32 s9, 0
	s_mov_b32 s3, exec_lo
	v_cmpx_lt_u32_e64 v30, v21
	s_cbranch_execz .LBB335_257
; %bb.256:
	v_mul_hi_i32 v6, 0x66666667, v26
	v_mul_hi_i32 v7, 0x66666667, v29
	v_lshrrev_b32_e32 v8, 31, v6
	v_ashrrev_i32_e32 v6, 2, v6
	v_lshrrev_b32_e32 v31, 31, v7
	v_ashrrev_i32_e32 v7, 2, v7
	v_add_nc_u32_e32 v6, v6, v8
	v_add_nc_u32_e32 v7, v7, v31
	v_cmp_ge_i32_e64 s2, v6, v7
	s_and_b32 s9, s2, exec_lo
.LBB335_257:
	s_or_b32 exec_lo, exec_lo, s3
	s_orn2_b32 s3, s9, exec_lo
.LBB335_258:
	s_or_b32 exec_lo, exec_lo, s7
	v_cndmask_b32_e64 v6, v5, v30, s3
	v_cndmask_b32_e64 v7, v22, v21, s3
	s_mov_b32 s7, exec_lo
	v_add_nc_u32_e32 v31, 1, v6
	v_add_nc_u32_e32 v6, -1, v7
	v_cndmask_b32_e64 v32, v31, v5, s3
	v_min_u32_e32 v6, v31, v6
	v_lshl_add_u32 v6, v6, 3, v17
	ds_read_b64 v[7:8], v6
	s_waitcnt lgkmcnt(0)
	v_cndmask_b32_e64 v6, v27, v8, s3
	v_cndmask_b32_e64 v5, v29, v7, s3
	v_cmpx_lt_u32_e64 v32, v22
	s_cbranch_execz .LBB335_262
; %bb.259:
	v_cndmask_b32_e64 v22, v30, v31, s3
	v_cndmask_b32_e64 v8, v8, v25, s3
	;; [unrolled: 1-line block ×3, first 2 shown]
	s_mov_b32 s9, exec_lo
	v_cmpx_lt_u32_e64 v22, v21
	s_cbranch_execz .LBB335_261
; %bb.260:
	v_mul_hi_i32 v21, 0x66666667, v7
	v_mul_hi_i32 v22, 0x66666667, v5
	v_lshrrev_b32_e32 v30, 31, v21
	v_ashrrev_i32_e32 v21, 2, v21
	v_lshrrev_b32_e32 v31, 31, v22
	v_ashrrev_i32_e32 v22, 2, v22
	v_add_nc_u32_e32 v21, v21, v30
	v_add_nc_u32_e32 v22, v22, v31
	v_cmp_lt_i32_e64 s2, v21, v22
	v_cndmask_b32_e64 v8, v6, v8, s2
	v_cndmask_b32_e64 v7, v5, v7, s2
.LBB335_261:
	s_or_b32 exec_lo, exec_lo, s9
	v_mov_b32_e32 v5, v7
	v_mov_b32_e32 v6, v8
.LBB335_262:
	s_or_b32 exec_lo, exec_lo, s7
	v_cndmask_b32_e64 v8, v4, v2, s5
	v_cndmask_b32_e64 v7, v3, v1, s5
	;; [unrolled: 1-line block ×6, first 2 shown]
.LBB335_263:
	s_or_b32 exec_lo, exec_lo, s4
	v_and_b32_e32 v1, 0x60, v18
	v_and_b32_e32 v23, 28, v18
	s_mov_b32 s3, exec_lo
	; wave barrier
	v_or_b32_e32 v2, 16, v1
	ds_write_b128 v20, v[7:10]
	ds_write_b128 v20, v[3:6] offset:16
	; wave barrier
	v_min_u32_e32 v21, v19, v2
	v_add_nc_u32_e32 v2, 16, v21
	v_sub_nc_u32_e32 v24, v21, v1
	v_min_u32_e32 v22, v19, v2
	v_min_u32_e32 v2, v19, v23
	v_sub_nc_u32_e32 v23, v22, v21
	v_min_u32_e32 v25, v2, v24
	v_lshl_add_u32 v24, v1, 3, v17
	v_sub_nc_u32_e64 v23, v2, v23 clamp
	v_cmpx_lt_u32_e64 v23, v25
	s_cbranch_execz .LBB335_267
; %bb.264:
	v_lshlrev_b32_e32 v26, 3, v21
	v_lshlrev_b32_e32 v27, 3, v2
	s_mov_b32 s4, 0
	v_add3_u32 v26, v17, v26, v27
	s_inst_prefetch 0x1
	.p2align	6
.LBB335_265:                            ; =>This Inner Loop Header: Depth=1
	v_add_nc_u32_e32 v27, v25, v23
	v_lshrrev_b32_e32 v27, 1, v27
	v_not_b32_e32 v29, v27
	v_lshl_add_u32 v30, v27, 3, v24
	v_lshl_add_u32 v29, v29, 3, v26
	ds_read_b32 v30, v30
	ds_read_b32 v29, v29
	s_waitcnt lgkmcnt(1)
	v_mul_hi_i32 v30, 0x66666667, v30
	s_waitcnt lgkmcnt(0)
	v_mul_hi_i32 v29, 0x66666667, v29
	v_lshrrev_b32_e32 v31, 31, v30
	v_ashrrev_i32_e32 v30, 2, v30
	v_lshrrev_b32_e32 v32, 31, v29
	v_ashrrev_i32_e32 v29, 2, v29
	v_add_nc_u32_e32 v30, v30, v31
	v_add_nc_u32_e32 v31, 1, v27
	;; [unrolled: 1-line block ×3, first 2 shown]
	v_cmp_lt_i32_e64 s2, v29, v30
	v_cndmask_b32_e64 v25, v25, v27, s2
	v_cndmask_b32_e64 v23, v31, v23, s2
	v_cmp_ge_u32_e64 s2, v23, v25
	s_or_b32 s4, s2, s4
	s_andn2_b32 exec_lo, exec_lo, s4
	s_cbranch_execnz .LBB335_265
; %bb.266:
	s_inst_prefetch 0x2
	s_or_b32 exec_lo, exec_lo, s4
.LBB335_267:
	s_or_b32 exec_lo, exec_lo, s3
	v_add_nc_u32_e32 v2, v21, v2
	v_add_nc_u32_e32 v25, v23, v1
	v_sub_nc_u32_e32 v26, v2, v23
	v_cmp_le_u32_e64 s2, v25, v21
	v_cmp_le_u32_e64 s3, v26, v22
	s_or_b32 s2, s2, s3
	s_and_saveexec_b32 s4, s2
	s_cbranch_execz .LBB335_287
; %bb.268:
	v_cmp_ge_u32_e64 s2, v25, v21
	s_mov_b32 s5, exec_lo
                                        ; implicit-def: $vgpr1_vgpr2
	v_cmpx_lt_u32_e64 v25, v21
; %bb.269:
	v_lshl_add_u32 v1, v23, 3, v24
	ds_read_b64 v[1:2], v1
; %bb.270:
	s_or_b32 exec_lo, exec_lo, s5
	v_cmp_ge_u32_e64 s5, v26, v22
	s_mov_b32 s6, exec_lo
                                        ; implicit-def: $vgpr3_vgpr4
	v_cmpx_lt_u32_e64 v26, v22
; %bb.271:
	v_lshl_add_u32 v3, v26, 3, v17
	ds_read_b64 v[3:4], v3
; %bb.272:
	s_or_b32 exec_lo, exec_lo, s6
	s_nor_b32 s2, s2, s5
	s_and_saveexec_b32 s3, s2
	s_cbranch_execz .LBB335_274
; %bb.273:
	s_waitcnt lgkmcnt(0)
	v_mul_hi_i32 v5, 0x66666667, v3
	v_mul_hi_i32 v6, 0x66666667, v1
	s_andn2_b32 s5, s5, exec_lo
	v_lshrrev_b32_e32 v7, 31, v5
	v_ashrrev_i32_e32 v5, 2, v5
	v_lshrrev_b32_e32 v8, 31, v6
	v_ashrrev_i32_e32 v6, 2, v6
	v_add_nc_u32_e32 v5, v5, v7
	v_add_nc_u32_e32 v6, v6, v8
	v_cmp_ge_i32_e64 s2, v5, v6
	s_and_b32 s2, s2, exec_lo
	s_or_b32 s5, s5, s2
.LBB335_274:
	s_or_b32 exec_lo, exec_lo, s3
	v_cndmask_b32_e64 v5, v26, v25, s5
	v_cndmask_b32_e64 v6, v22, v21, s5
	s_mov_b32 s3, -1
	s_mov_b32 s6, -1
	s_mov_b32 s7, exec_lo
	v_add_nc_u32_e32 v9, 1, v5
	v_add_nc_u32_e32 v5, -1, v6
	v_cndmask_b32_e64 v6, v25, v9, s5
	v_min_u32_e32 v5, v9, v5
	v_lshl_add_u32 v5, v5, 3, v17
	ds_read_b64 v[7:8], v5
	v_cndmask_b32_e64 v5, v9, v26, s5
	s_waitcnt lgkmcnt(0)
	v_cndmask_b32_e64 v9, v8, v4, s5
	v_cndmask_b32_e64 v23, v7, v3, s5
	;; [unrolled: 1-line block ×4, first 2 shown]
	v_cmpx_lt_u32_e64 v5, v22
	s_cbranch_execz .LBB335_278
; %bb.275:
	s_mov_b32 s9, 0
	s_mov_b32 s6, exec_lo
	v_cmpx_lt_u32_e64 v6, v21
	s_cbranch_execz .LBB335_277
; %bb.276:
	v_mul_hi_i32 v7, 0x66666667, v23
	v_mul_hi_i32 v8, 0x66666667, v24
	v_lshrrev_b32_e32 v25, 31, v7
	v_ashrrev_i32_e32 v7, 2, v7
	v_lshrrev_b32_e32 v26, 31, v8
	v_ashrrev_i32_e32 v8, 2, v8
	v_add_nc_u32_e32 v7, v7, v25
	v_add_nc_u32_e32 v8, v8, v26
	v_cmp_ge_i32_e64 s2, v7, v8
	s_and_b32 s9, s2, exec_lo
.LBB335_277:
	s_or_b32 exec_lo, exec_lo, s6
	s_orn2_b32 s6, s9, exec_lo
.LBB335_278:
	s_or_b32 exec_lo, exec_lo, s7
	v_cndmask_b32_e64 v7, v5, v6, s6
	v_cndmask_b32_e64 v8, v22, v21, s6
	s_mov_b32 s7, exec_lo
	v_add_nc_u32_e32 v25, 1, v7
	v_add_nc_u32_e32 v7, -1, v8
	v_cndmask_b32_e64 v5, v25, v5, s6
	v_min_u32_e32 v7, v25, v7
	v_cndmask_b32_e64 v30, v6, v25, s6
	v_lshl_add_u32 v7, v7, 3, v17
	ds_read_b64 v[7:8], v7
	s_waitcnt lgkmcnt(0)
	v_cndmask_b32_e64 v25, v8, v9, s6
	v_cndmask_b32_e64 v26, v7, v23, s6
	;; [unrolled: 1-line block ×4, first 2 shown]
	v_cmpx_lt_u32_e64 v5, v22
	s_cbranch_execz .LBB335_282
; %bb.279:
	s_mov_b32 s9, 0
	s_mov_b32 s3, exec_lo
	v_cmpx_lt_u32_e64 v30, v21
	s_cbranch_execz .LBB335_281
; %bb.280:
	v_mul_hi_i32 v6, 0x66666667, v26
	v_mul_hi_i32 v7, 0x66666667, v29
	v_lshrrev_b32_e32 v8, 31, v6
	v_ashrrev_i32_e32 v6, 2, v6
	v_lshrrev_b32_e32 v31, 31, v7
	v_ashrrev_i32_e32 v7, 2, v7
	v_add_nc_u32_e32 v6, v6, v8
	v_add_nc_u32_e32 v7, v7, v31
	v_cmp_ge_i32_e64 s2, v6, v7
	s_and_b32 s9, s2, exec_lo
.LBB335_281:
	s_or_b32 exec_lo, exec_lo, s3
	s_orn2_b32 s3, s9, exec_lo
.LBB335_282:
	s_or_b32 exec_lo, exec_lo, s7
	v_cndmask_b32_e64 v6, v5, v30, s3
	v_cndmask_b32_e64 v7, v22, v21, s3
	s_mov_b32 s7, exec_lo
	v_add_nc_u32_e32 v31, 1, v6
	v_add_nc_u32_e32 v6, -1, v7
	v_cndmask_b32_e64 v32, v31, v5, s3
	v_min_u32_e32 v6, v31, v6
	v_lshl_add_u32 v6, v6, 3, v17
	ds_read_b64 v[7:8], v6
	s_waitcnt lgkmcnt(0)
	v_cndmask_b32_e64 v6, v27, v8, s3
	v_cndmask_b32_e64 v5, v29, v7, s3
	v_cmpx_lt_u32_e64 v32, v22
	s_cbranch_execz .LBB335_286
; %bb.283:
	v_cndmask_b32_e64 v22, v30, v31, s3
	v_cndmask_b32_e64 v8, v8, v25, s3
	;; [unrolled: 1-line block ×3, first 2 shown]
	s_mov_b32 s9, exec_lo
	v_cmpx_lt_u32_e64 v22, v21
	s_cbranch_execz .LBB335_285
; %bb.284:
	v_mul_hi_i32 v21, 0x66666667, v7
	v_mul_hi_i32 v22, 0x66666667, v5
	v_lshrrev_b32_e32 v30, 31, v21
	v_ashrrev_i32_e32 v21, 2, v21
	v_lshrrev_b32_e32 v31, 31, v22
	v_ashrrev_i32_e32 v22, 2, v22
	v_add_nc_u32_e32 v21, v21, v30
	v_add_nc_u32_e32 v22, v22, v31
	v_cmp_lt_i32_e64 s2, v21, v22
	v_cndmask_b32_e64 v8, v6, v8, s2
	v_cndmask_b32_e64 v7, v5, v7, s2
.LBB335_285:
	s_or_b32 exec_lo, exec_lo, s9
	v_mov_b32_e32 v5, v7
	v_mov_b32_e32 v6, v8
.LBB335_286:
	s_or_b32 exec_lo, exec_lo, s7
	v_cndmask_b32_e64 v8, v4, v2, s5
	v_cndmask_b32_e64 v7, v3, v1, s5
	;; [unrolled: 1-line block ×6, first 2 shown]
.LBB335_287:
	s_or_b32 exec_lo, exec_lo, s4
	v_and_b32_e32 v1, 64, v18
	v_and_b32_e32 v22, 60, v18
	s_mov_b32 s3, exec_lo
	; wave barrier
	v_or_b32_e32 v2, 32, v1
	ds_write_b128 v20, v[7:10]
	ds_write_b128 v20, v[3:6] offset:16
	; wave barrier
	v_min_u32_e32 v21, v19, v2
	v_add_nc_u32_e32 v2, 32, v21
	v_min_u32_e32 v18, v19, v2
	v_min_u32_e32 v2, v19, v22
	v_sub_nc_u32_e32 v22, v21, v1
	v_sub_nc_u32_e32 v19, v18, v21
	v_min_u32_e32 v23, v2, v22
	v_lshl_add_u32 v22, v1, 3, v17
	v_sub_nc_u32_e64 v19, v2, v19 clamp
	v_cmpx_lt_u32_e64 v19, v23
	s_cbranch_execz .LBB335_291
; %bb.288:
	v_lshlrev_b32_e32 v20, 3, v21
	v_lshlrev_b32_e32 v24, 3, v2
	s_mov_b32 s4, 0
	v_add3_u32 v20, v17, v20, v24
	s_inst_prefetch 0x1
	.p2align	6
.LBB335_289:                            ; =>This Inner Loop Header: Depth=1
	v_add_nc_u32_e32 v24, v23, v19
	v_lshrrev_b32_e32 v24, 1, v24
	v_not_b32_e32 v25, v24
	v_lshl_add_u32 v26, v24, 3, v22
	v_lshl_add_u32 v25, v25, 3, v20
	ds_read_b32 v26, v26
	ds_read_b32 v25, v25
	s_waitcnt lgkmcnt(1)
	v_mul_hi_i32 v26, 0x66666667, v26
	s_waitcnt lgkmcnt(0)
	v_mul_hi_i32 v25, 0x66666667, v25
	v_lshrrev_b32_e32 v27, 31, v26
	v_ashrrev_i32_e32 v26, 2, v26
	v_lshrrev_b32_e32 v29, 31, v25
	v_ashrrev_i32_e32 v25, 2, v25
	v_add_nc_u32_e32 v26, v26, v27
	v_add_nc_u32_e32 v27, 1, v24
	;; [unrolled: 1-line block ×3, first 2 shown]
	v_cmp_lt_i32_e64 s2, v25, v26
	v_cndmask_b32_e64 v23, v23, v24, s2
	v_cndmask_b32_e64 v19, v27, v19, s2
	v_cmp_ge_u32_e64 s2, v19, v23
	s_or_b32 s4, s2, s4
	s_andn2_b32 exec_lo, exec_lo, s4
	s_cbranch_execnz .LBB335_289
; %bb.290:
	s_inst_prefetch 0x2
	s_or_b32 exec_lo, exec_lo, s4
.LBB335_291:
	s_or_b32 exec_lo, exec_lo, s3
	v_add_nc_u32_e32 v2, v21, v2
	v_add_nc_u32_e32 v20, v19, v1
	v_sub_nc_u32_e32 v23, v2, v19
	v_cmp_le_u32_e64 s2, v20, v21
	v_cmp_le_u32_e64 s3, v23, v18
	s_or_b32 s2, s2, s3
	s_and_saveexec_b32 s4, s2
	s_cbranch_execz .LBB335_311
; %bb.292:
	v_cmp_ge_u32_e64 s2, v20, v21
	s_mov_b32 s5, exec_lo
                                        ; implicit-def: $vgpr1_vgpr2
	v_cmpx_lt_u32_e64 v20, v21
; %bb.293:
	v_lshl_add_u32 v1, v19, 3, v22
	ds_read_b64 v[1:2], v1
; %bb.294:
	s_or_b32 exec_lo, exec_lo, s5
	v_cmp_ge_u32_e64 s5, v23, v18
	s_mov_b32 s6, exec_lo
                                        ; implicit-def: $vgpr3_vgpr4
	v_cmpx_lt_u32_e64 v23, v18
; %bb.295:
	v_lshl_add_u32 v3, v23, 3, v17
	ds_read_b64 v[3:4], v3
; %bb.296:
	s_or_b32 exec_lo, exec_lo, s6
	s_nor_b32 s2, s2, s5
	s_and_saveexec_b32 s3, s2
	s_cbranch_execz .LBB335_298
; %bb.297:
	s_waitcnt lgkmcnt(0)
	v_mul_hi_i32 v5, 0x66666667, v3
	v_mul_hi_i32 v6, 0x66666667, v1
	s_andn2_b32 s5, s5, exec_lo
	v_lshrrev_b32_e32 v7, 31, v5
	v_ashrrev_i32_e32 v5, 2, v5
	v_lshrrev_b32_e32 v8, 31, v6
	v_ashrrev_i32_e32 v6, 2, v6
	v_add_nc_u32_e32 v5, v5, v7
	v_add_nc_u32_e32 v6, v6, v8
	v_cmp_ge_i32_e64 s2, v5, v6
	s_and_b32 s2, s2, exec_lo
	s_or_b32 s5, s5, s2
.LBB335_298:
	s_or_b32 exec_lo, exec_lo, s3
	v_cndmask_b32_e64 v5, v23, v20, s5
	v_cndmask_b32_e64 v6, v18, v21, s5
	s_mov_b32 s3, -1
	s_mov_b32 s6, -1
	s_mov_b32 s7, exec_lo
	v_add_nc_u32_e32 v9, 1, v5
	v_add_nc_u32_e32 v5, -1, v6
	v_cndmask_b32_e64 v6, v20, v9, s5
	v_min_u32_e32 v5, v9, v5
	v_lshl_add_u32 v5, v5, 3, v17
	ds_read_b64 v[7:8], v5
	v_cndmask_b32_e64 v5, v9, v23, s5
	s_waitcnt lgkmcnt(0)
	v_cndmask_b32_e64 v9, v8, v4, s5
	v_cndmask_b32_e64 v19, v7, v3, s5
	;; [unrolled: 1-line block ×4, first 2 shown]
	v_cmpx_lt_u32_e64 v5, v18
	s_cbranch_execz .LBB335_302
; %bb.299:
	s_mov_b32 s9, 0
	s_mov_b32 s6, exec_lo
	v_cmpx_lt_u32_e64 v6, v21
	s_cbranch_execz .LBB335_301
; %bb.300:
	v_mul_hi_i32 v7, 0x66666667, v19
	v_mul_hi_i32 v8, 0x66666667, v20
	v_lshrrev_b32_e32 v22, 31, v7
	v_ashrrev_i32_e32 v7, 2, v7
	v_lshrrev_b32_e32 v23, 31, v8
	v_ashrrev_i32_e32 v8, 2, v8
	v_add_nc_u32_e32 v7, v7, v22
	v_add_nc_u32_e32 v8, v8, v23
	v_cmp_ge_i32_e64 s2, v7, v8
	s_and_b32 s9, s2, exec_lo
.LBB335_301:
	s_or_b32 exec_lo, exec_lo, s6
	s_orn2_b32 s6, s9, exec_lo
.LBB335_302:
	s_or_b32 exec_lo, exec_lo, s7
	v_cndmask_b32_e64 v7, v5, v6, s6
	v_cndmask_b32_e64 v8, v18, v21, s6
	s_mov_b32 s7, exec_lo
	v_add_nc_u32_e32 v22, 1, v7
	v_add_nc_u32_e32 v7, -1, v8
	v_cndmask_b32_e64 v5, v22, v5, s6
	v_min_u32_e32 v7, v22, v7
	v_cndmask_b32_e64 v26, v6, v22, s6
	v_lshl_add_u32 v7, v7, 3, v17
	ds_read_b64 v[7:8], v7
	s_waitcnt lgkmcnt(0)
	v_cndmask_b32_e64 v22, v8, v9, s6
	v_cndmask_b32_e64 v23, v7, v19, s6
	;; [unrolled: 1-line block ×4, first 2 shown]
	v_cmpx_lt_u32_e64 v5, v18
	s_cbranch_execz .LBB335_306
; %bb.303:
	s_mov_b32 s9, 0
	s_mov_b32 s3, exec_lo
	v_cmpx_lt_u32_e64 v26, v21
	s_cbranch_execz .LBB335_305
; %bb.304:
	v_mul_hi_i32 v6, 0x66666667, v23
	v_mul_hi_i32 v7, 0x66666667, v25
	v_lshrrev_b32_e32 v8, 31, v6
	v_ashrrev_i32_e32 v6, 2, v6
	v_lshrrev_b32_e32 v27, 31, v7
	v_ashrrev_i32_e32 v7, 2, v7
	v_add_nc_u32_e32 v6, v6, v8
	v_add_nc_u32_e32 v7, v7, v27
	v_cmp_ge_i32_e64 s2, v6, v7
	s_and_b32 s9, s2, exec_lo
.LBB335_305:
	s_or_b32 exec_lo, exec_lo, s3
	s_orn2_b32 s3, s9, exec_lo
.LBB335_306:
	s_or_b32 exec_lo, exec_lo, s7
	v_cndmask_b32_e64 v6, v5, v26, s3
	v_cndmask_b32_e64 v7, v18, v21, s3
	s_mov_b32 s7, exec_lo
	v_add_nc_u32_e32 v27, 1, v6
	v_add_nc_u32_e32 v6, -1, v7
	v_min_u32_e32 v6, v27, v6
	v_lshl_add_u32 v6, v6, 3, v17
	v_cndmask_b32_e64 v17, v27, v5, s3
	ds_read_b64 v[7:8], v6
	s_waitcnt lgkmcnt(0)
	v_cndmask_b32_e64 v6, v24, v8, s3
	v_cndmask_b32_e64 v5, v25, v7, s3
	v_cmpx_lt_u32_e64 v17, v18
	s_cbranch_execz .LBB335_310
; %bb.307:
	v_cndmask_b32_e64 v17, v26, v27, s3
	v_cndmask_b32_e64 v8, v8, v22, s3
	;; [unrolled: 1-line block ×3, first 2 shown]
	s_mov_b32 s9, exec_lo
	v_cmpx_lt_u32_e64 v17, v21
	s_cbranch_execz .LBB335_309
; %bb.308:
	v_mul_hi_i32 v17, 0x66666667, v7
	v_mul_hi_i32 v18, 0x66666667, v5
	v_lshrrev_b32_e32 v21, 31, v17
	v_ashrrev_i32_e32 v17, 2, v17
	v_lshrrev_b32_e32 v26, 31, v18
	v_ashrrev_i32_e32 v18, 2, v18
	v_add_nc_u32_e32 v17, v17, v21
	v_add_nc_u32_e32 v18, v18, v26
	v_cmp_lt_i32_e64 s2, v17, v18
	v_cndmask_b32_e64 v8, v6, v8, s2
	v_cndmask_b32_e64 v7, v5, v7, s2
.LBB335_309:
	s_or_b32 exec_lo, exec_lo, s9
	v_mov_b32_e32 v5, v7
	v_mov_b32_e32 v6, v8
.LBB335_310:
	s_or_b32 exec_lo, exec_lo, s7
	v_cndmask_b32_e64 v8, v4, v2, s5
	v_cndmask_b32_e64 v7, v3, v1, s5
	v_cndmask_b32_e64 v10, v9, v10, s6
	v_cndmask_b32_e64 v9, v19, v20, s6
	v_cndmask_b32_e64 v4, v22, v24, s3
	v_cndmask_b32_e64 v3, v23, v25, s3
.LBB335_311:
	s_or_b32 exec_lo, exec_lo, s4
	s_cmpk_lt_u32 s8, 0x41
	; wave barrier
	s_waitcnt lgkmcnt(0)
	s_barrier
	buffer_gl0_inv
	s_cbranch_scc1 .LBB335_338
; %bb.312:
	v_lshlrev_b32_e32 v17, 3, v11
	s_mov_b32 s4, 64
	s_branch .LBB335_316
.LBB335_313:                            ;   in Loop: Header=BB335_316 Depth=1
	s_or_b32 exec_lo, exec_lo, s10
	v_mov_b32_e32 v5, v7
	v_mov_b32_e32 v6, v8
.LBB335_314:                            ;   in Loop: Header=BB335_316 Depth=1
	s_or_b32 exec_lo, exec_lo, s9
	v_cndmask_b32_e64 v8, v4, v2, s6
	v_cndmask_b32_e64 v7, v3, v1, s6
	;; [unrolled: 1-line block ×6, first 2 shown]
.LBB335_315:                            ;   in Loop: Header=BB335_316 Depth=1
	s_or_b32 exec_lo, exec_lo, s5
	s_cmp_lt_u32 s4, s8
	s_barrier
	buffer_gl0_inv
	s_cbranch_scc0 .LBB335_338
.LBB335_316:                            ; =>This Loop Header: Depth=1
                                        ;     Child Loop BB335_318 Depth 2
	s_mov_b32 s2, s4
	s_lshl_b32 s4, s4, 1
	ds_write_b128 v17, v[7:10]
	s_sub_i32 s3, 0, s4
	ds_write_b128 v17, v[3:6] offset:16
	v_and_b32_e32 v1, s3, v11
	s_mov_b32 s3, exec_lo
	s_waitcnt lgkmcnt(0)
	s_barrier
	buffer_gl0_inv
	v_add_nc_u32_e32 v2, s2, v1
	v_min_u32_e32 v18, s8, v2
	v_add_nc_u32_e32 v2, s2, v18
	s_add_i32 s2, s4, -1
	v_sub_nc_u32_e32 v21, v18, v1
	v_and_b32_e32 v20, s2, v11
	v_min_u32_e32 v19, s8, v2
	v_min_u32_e32 v2, s8, v20
	v_sub_nc_u32_e32 v20, v19, v18
	v_min_u32_e32 v22, v2, v21
	v_lshlrev_b32_e32 v21, 3, v1
	v_sub_nc_u32_e64 v20, v2, v20 clamp
	v_cmpx_lt_u32_e64 v20, v22
	s_cbranch_execz .LBB335_320
; %bb.317:                              ;   in Loop: Header=BB335_316 Depth=1
	v_lshlrev_b32_e32 v23, 3, v2
	s_mov_b32 s5, 0
	v_lshl_add_u32 v23, v18, 3, v23
	s_inst_prefetch 0x1
	.p2align	6
.LBB335_318:                            ;   Parent Loop BB335_316 Depth=1
                                        ; =>  This Inner Loop Header: Depth=2
	v_add_nc_u32_e32 v24, v22, v20
	v_lshrrev_b32_e32 v24, 1, v24
	v_not_b32_e32 v25, v24
	v_lshl_add_u32 v26, v24, 3, v21
	v_lshl_add_u32 v25, v25, 3, v23
	ds_read_b32 v26, v26
	ds_read_b32 v25, v25
	s_waitcnt lgkmcnt(1)
	v_mul_hi_i32 v26, 0x66666667, v26
	s_waitcnt lgkmcnt(0)
	v_mul_hi_i32 v25, 0x66666667, v25
	v_lshrrev_b32_e32 v27, 31, v26
	v_ashrrev_i32_e32 v26, 2, v26
	v_lshrrev_b32_e32 v29, 31, v25
	v_ashrrev_i32_e32 v25, 2, v25
	v_add_nc_u32_e32 v26, v26, v27
	v_add_nc_u32_e32 v27, 1, v24
	;; [unrolled: 1-line block ×3, first 2 shown]
	v_cmp_lt_i32_e64 s2, v25, v26
	v_cndmask_b32_e64 v22, v22, v24, s2
	v_cndmask_b32_e64 v20, v27, v20, s2
	v_cmp_ge_u32_e64 s2, v20, v22
	s_or_b32 s5, s2, s5
	s_andn2_b32 exec_lo, exec_lo, s5
	s_cbranch_execnz .LBB335_318
; %bb.319:                              ;   in Loop: Header=BB335_316 Depth=1
	s_inst_prefetch 0x2
	s_or_b32 exec_lo, exec_lo, s5
.LBB335_320:                            ;   in Loop: Header=BB335_316 Depth=1
	s_or_b32 exec_lo, exec_lo, s3
	v_sub_nc_u32_e32 v2, v2, v20
	v_add_nc_u32_e32 v22, v20, v1
	v_add_nc_u32_e32 v23, v2, v18
	v_cmp_le_u32_e64 s2, v22, v18
	v_cmp_le_u32_e64 s3, v23, v19
	s_or_b32 s2, s2, s3
	s_and_saveexec_b32 s5, s2
	s_cbranch_execz .LBB335_315
; %bb.321:                              ;   in Loop: Header=BB335_316 Depth=1
	v_cmp_ge_u32_e64 s2, v22, v18
	s_mov_b32 s6, exec_lo
                                        ; implicit-def: $vgpr1_vgpr2
	v_cmpx_lt_u32_e64 v22, v18
; %bb.322:                              ;   in Loop: Header=BB335_316 Depth=1
	v_lshl_add_u32 v1, v20, 3, v21
	ds_read_b64 v[1:2], v1
; %bb.323:                              ;   in Loop: Header=BB335_316 Depth=1
	s_or_b32 exec_lo, exec_lo, s6
	v_cmp_ge_u32_e64 s6, v23, v19
	s_mov_b32 s7, exec_lo
                                        ; implicit-def: $vgpr3_vgpr4
	v_cmpx_lt_u32_e64 v23, v19
; %bb.324:                              ;   in Loop: Header=BB335_316 Depth=1
	v_lshlrev_b32_e32 v3, 3, v23
	ds_read_b64 v[3:4], v3
; %bb.325:                              ;   in Loop: Header=BB335_316 Depth=1
	s_or_b32 exec_lo, exec_lo, s7
	s_nor_b32 s2, s2, s6
	s_and_saveexec_b32 s3, s2
	s_cbranch_execz .LBB335_327
; %bb.326:                              ;   in Loop: Header=BB335_316 Depth=1
	s_waitcnt lgkmcnt(0)
	v_mul_hi_i32 v5, 0x66666667, v3
	v_mul_hi_i32 v6, 0x66666667, v1
	s_andn2_b32 s6, s6, exec_lo
	v_lshrrev_b32_e32 v7, 31, v5
	v_ashrrev_i32_e32 v5, 2, v5
	v_lshrrev_b32_e32 v8, 31, v6
	v_ashrrev_i32_e32 v6, 2, v6
	v_add_nc_u32_e32 v5, v5, v7
	v_add_nc_u32_e32 v6, v6, v8
	v_cmp_ge_i32_e64 s2, v5, v6
	s_and_b32 s2, s2, exec_lo
	s_or_b32 s6, s6, s2
.LBB335_327:                            ;   in Loop: Header=BB335_316 Depth=1
	s_or_b32 exec_lo, exec_lo, s3
	v_cndmask_b32_e64 v5, v23, v22, s6
	v_cndmask_b32_e64 v6, v19, v18, s6
	s_mov_b32 s3, -1
	s_mov_b32 s7, -1
	s_mov_b32 s9, exec_lo
	v_add_nc_u32_e32 v9, 1, v5
	v_add_nc_u32_e32 v5, -1, v6
	v_cndmask_b32_e64 v6, v22, v9, s6
	v_min_u32_e32 v5, v9, v5
	v_lshlrev_b32_e32 v5, 3, v5
	ds_read_b64 v[7:8], v5
	v_cndmask_b32_e64 v5, v9, v23, s6
	s_waitcnt lgkmcnt(0)
	v_cndmask_b32_e64 v9, v8, v4, s6
	v_cndmask_b32_e64 v20, v7, v3, s6
	;; [unrolled: 1-line block ×4, first 2 shown]
	v_cmpx_lt_u32_e64 v5, v19
	s_cbranch_execz .LBB335_331
; %bb.328:                              ;   in Loop: Header=BB335_316 Depth=1
	s_mov_b32 s10, 0
	s_mov_b32 s7, exec_lo
	v_cmpx_lt_u32_e64 v6, v18
	s_cbranch_execz .LBB335_330
; %bb.329:                              ;   in Loop: Header=BB335_316 Depth=1
	v_mul_hi_i32 v7, 0x66666667, v20
	v_mul_hi_i32 v8, 0x66666667, v21
	v_lshrrev_b32_e32 v22, 31, v7
	v_ashrrev_i32_e32 v7, 2, v7
	v_lshrrev_b32_e32 v23, 31, v8
	v_ashrrev_i32_e32 v8, 2, v8
	v_add_nc_u32_e32 v7, v7, v22
	v_add_nc_u32_e32 v8, v8, v23
	v_cmp_ge_i32_e64 s2, v7, v8
	s_and_b32 s10, s2, exec_lo
.LBB335_330:                            ;   in Loop: Header=BB335_316 Depth=1
	s_or_b32 exec_lo, exec_lo, s7
	s_orn2_b32 s7, s10, exec_lo
.LBB335_331:                            ;   in Loop: Header=BB335_316 Depth=1
	s_or_b32 exec_lo, exec_lo, s9
	v_cndmask_b32_e64 v7, v5, v6, s7
	v_cndmask_b32_e64 v8, v19, v18, s7
	s_mov_b32 s9, exec_lo
	v_add_nc_u32_e32 v22, 1, v7
	v_add_nc_u32_e32 v7, -1, v8
	v_cndmask_b32_e64 v5, v22, v5, s7
	v_min_u32_e32 v7, v22, v7
	v_cndmask_b32_e64 v26, v6, v22, s7
	v_lshlrev_b32_e32 v7, 3, v7
	ds_read_b64 v[7:8], v7
	s_waitcnt lgkmcnt(0)
	v_cndmask_b32_e64 v22, v8, v9, s7
	v_cndmask_b32_e64 v23, v7, v20, s7
	;; [unrolled: 1-line block ×4, first 2 shown]
	v_cmpx_lt_u32_e64 v5, v19
	s_cbranch_execz .LBB335_335
; %bb.332:                              ;   in Loop: Header=BB335_316 Depth=1
	s_mov_b32 s10, 0
	s_mov_b32 s3, exec_lo
	v_cmpx_lt_u32_e64 v26, v18
	s_cbranch_execz .LBB335_334
; %bb.333:                              ;   in Loop: Header=BB335_316 Depth=1
	v_mul_hi_i32 v6, 0x66666667, v23
	v_mul_hi_i32 v7, 0x66666667, v25
	v_lshrrev_b32_e32 v8, 31, v6
	v_ashrrev_i32_e32 v6, 2, v6
	v_lshrrev_b32_e32 v27, 31, v7
	v_ashrrev_i32_e32 v7, 2, v7
	v_add_nc_u32_e32 v6, v6, v8
	v_add_nc_u32_e32 v7, v7, v27
	v_cmp_ge_i32_e64 s2, v6, v7
	s_and_b32 s10, s2, exec_lo
.LBB335_334:                            ;   in Loop: Header=BB335_316 Depth=1
	s_or_b32 exec_lo, exec_lo, s3
	s_orn2_b32 s3, s10, exec_lo
.LBB335_335:                            ;   in Loop: Header=BB335_316 Depth=1
	s_or_b32 exec_lo, exec_lo, s9
	v_cndmask_b32_e64 v6, v5, v26, s3
	v_cndmask_b32_e64 v7, v19, v18, s3
	s_mov_b32 s9, exec_lo
	v_add_nc_u32_e32 v27, 1, v6
	v_add_nc_u32_e32 v6, -1, v7
	v_cndmask_b32_e64 v29, v27, v5, s3
	v_min_u32_e32 v6, v27, v6
	v_lshlrev_b32_e32 v6, 3, v6
	ds_read_b64 v[7:8], v6
	s_waitcnt lgkmcnt(0)
	v_cndmask_b32_e64 v6, v24, v8, s3
	v_cndmask_b32_e64 v5, v25, v7, s3
	v_cmpx_lt_u32_e64 v29, v19
	s_cbranch_execz .LBB335_314
; %bb.336:                              ;   in Loop: Header=BB335_316 Depth=1
	v_cndmask_b32_e64 v19, v26, v27, s3
	v_cndmask_b32_e64 v8, v8, v22, s3
	;; [unrolled: 1-line block ×3, first 2 shown]
	s_mov_b32 s10, exec_lo
	v_cmpx_lt_u32_e64 v19, v18
	s_cbranch_execz .LBB335_313
; %bb.337:                              ;   in Loop: Header=BB335_316 Depth=1
	v_mul_hi_i32 v18, 0x66666667, v7
	v_mul_hi_i32 v19, 0x66666667, v5
	v_lshrrev_b32_e32 v26, 31, v18
	v_ashrrev_i32_e32 v18, 2, v18
	v_lshrrev_b32_e32 v27, 31, v19
	v_ashrrev_i32_e32 v19, 2, v19
	v_add_nc_u32_e32 v18, v18, v26
	v_add_nc_u32_e32 v19, v19, v27
	v_cmp_lt_i32_e64 s2, v18, v19
	v_cndmask_b32_e64 v8, v6, v8, s2
	v_cndmask_b32_e64 v7, v5, v7, s2
	s_branch .LBB335_313
.LBB335_338:
	s_barrier
	buffer_gl0_inv
	ds_write2_b64 v16, v[7:8], v[9:10] offset1:1
	ds_write2_b64 v16, v[3:4], v[5:6] offset0:2 offset1:3
	s_waitcnt lgkmcnt(0)
	s_barrier
	buffer_gl0_inv
	ds_read_b64 v[8:9], v13 offset:2048
	ds_read_b64 v[2:3], v14 offset:4096
	;; [unrolled: 1-line block ×3, first 2 shown]
	v_add_co_u32 v6, s2, s11, v28
	v_mov_b32_e32 v1, 0
	v_add_co_ci_u32_e64 v7, null, s13, 0, s2
	s_and_saveexec_b32 s2, vcc_lo
	s_cbranch_execnz .LBB335_349
; %bb.339:
	s_or_b32 exec_lo, exec_lo, s2
	s_and_saveexec_b32 s2, s0
	s_cbranch_execnz .LBB335_350
.LBB335_340:
	s_or_b32 exec_lo, exec_lo, s2
	s_and_saveexec_b32 s0, s1
	s_cbranch_execz .LBB335_342
.LBB335_341:
	v_add_co_u32 v6, vcc_lo, 0x1000, v6
	v_add_co_ci_u32_e64 v7, null, 0, v7, vcc_lo
	s_waitcnt lgkmcnt(1)
	flat_store_dwordx2 v[6:7], v[2:3]
.LBB335_342:
	s_or_b32 exec_lo, exec_lo, s0
.LBB335_343:
	s_and_saveexec_b32 s0, s14
	s_cbranch_execz .LBB335_345
; %bb.344:
	v_lshlrev_b64 v[0:1], 3, v[0:1]
	v_add_co_u32 v0, vcc_lo, s11, v0
	v_add_co_ci_u32_e64 v1, null, s13, v1, vcc_lo
	v_add_co_u32 v0, vcc_lo, 0x1800, v0
	v_add_co_ci_u32_e64 v1, null, 0, v1, vcc_lo
	s_waitcnt lgkmcnt(0)
	flat_store_dwordx2 v[0:1], v[4:5]
.LBB335_345:
	s_endpgm
.LBB335_346:
	v_add_co_u32 v5, s1, s4, v28
	v_add_co_ci_u32_e64 v6, null, s5, 0, s1
	v_mov_b32_e32 v12, v4
	v_mov_b32_e32 v7, v4
	;; [unrolled: 1-line block ×3, first 2 shown]
	flat_load_dwordx2 v[5:6], v[5:6]
	v_mov_b32_e32 v9, v4
	v_mov_b32_e32 v10, v4
	;; [unrolled: 1-line block ×3, first 2 shown]
	s_waitcnt vmcnt(0) lgkmcnt(0)
	v_mov_b32_e32 v4, v5
	v_mov_b32_e32 v5, v6
	;; [unrolled: 1-line block ×8, first 2 shown]
	s_or_b32 exec_lo, exec_lo, s0
	v_cmp_gt_u32_e64 s0, s8, v33
	s_and_saveexec_b32 s1, s0
	s_cbranch_execz .LBB335_208
.LBB335_347:
	v_lshlrev_b32_e32 v1, 3, v33
	v_add_co_u32 v6, s7, s4, v1
	v_add_co_ci_u32_e64 v7, null, s5, 0, s7
	flat_load_dwordx2 v[6:7], v[6:7]
	s_or_b32 exec_lo, exec_lo, s1
	v_cmp_gt_u32_e64 s1, s8, v32
	s_and_saveexec_b32 s7, s1
	s_cbranch_execz .LBB335_209
.LBB335_348:
	v_lshlrev_b32_e32 v1, 3, v32
	v_add_co_u32 v8, s9, s4, v1
	v_add_co_ci_u32_e64 v9, null, s5, 0, s9
	flat_load_dwordx2 v[8:9], v[8:9]
	s_or_b32 exec_lo, exec_lo, s7
	v_cmp_gt_u32_e64 s14, s8, v31
	s_and_saveexec_b32 s7, s14
	s_cbranch_execnz .LBB335_210
	s_branch .LBB335_211
.LBB335_349:
	ds_read_b64 v[10:11], v12
	s_waitcnt lgkmcnt(0)
	flat_store_dwordx2 v[6:7], v[10:11]
	s_or_b32 exec_lo, exec_lo, s2
	s_and_saveexec_b32 s2, s0
	s_cbranch_execz .LBB335_340
.LBB335_350:
	v_add_co_u32 v10, vcc_lo, 0x800, v6
	v_add_co_ci_u32_e64 v11, null, 0, v7, vcc_lo
	s_waitcnt lgkmcnt(2)
	flat_store_dwordx2 v[10:11], v[8:9]
	s_or_b32 exec_lo, exec_lo, s2
	s_and_saveexec_b32 s0, s1
	s_cbranch_execnz .LBB335_341
	s_branch .LBB335_342
	.section	.rodata,"a",@progbits
	.p2align	6, 0x0
	.amdhsa_kernel _ZN7rocprim17ROCPRIM_400000_NS6detail17trampoline_kernelINS0_14default_configENS1_37merge_sort_block_sort_config_selectorIxNS0_10empty_typeEEEZNS1_21merge_sort_block_sortIS3_N6thrust23THRUST_200600_302600_NS6detail15normal_iteratorINS9_10device_ptrIxEEEESE_PS5_SF_11less_div_10IxEEE10hipError_tT0_T1_T2_T3_mRjT4_P12ihipStream_tbNS1_7vsmem_tEEUlT_E_NS1_11comp_targetILNS1_3genE8ELNS1_11target_archE1030ELNS1_3gpuE2ELNS1_3repE0EEENS1_30default_config_static_selectorELNS0_4arch9wavefront6targetE0EEEvSK_
		.amdhsa_group_segment_fixed_size 8448
		.amdhsa_private_segment_fixed_size 0
		.amdhsa_kernarg_size 320
		.amdhsa_user_sgpr_count 6
		.amdhsa_user_sgpr_private_segment_buffer 1
		.amdhsa_user_sgpr_dispatch_ptr 0
		.amdhsa_user_sgpr_queue_ptr 0
		.amdhsa_user_sgpr_kernarg_segment_ptr 1
		.amdhsa_user_sgpr_dispatch_id 0
		.amdhsa_user_sgpr_flat_scratch_init 0
		.amdhsa_user_sgpr_private_segment_size 0
		.amdhsa_wavefront_size32 1
		.amdhsa_uses_dynamic_stack 0
		.amdhsa_system_sgpr_private_segment_wavefront_offset 0
		.amdhsa_system_sgpr_workgroup_id_x 1
		.amdhsa_system_sgpr_workgroup_id_y 1
		.amdhsa_system_sgpr_workgroup_id_z 1
		.amdhsa_system_sgpr_workgroup_info 0
		.amdhsa_system_vgpr_workitem_id 2
		.amdhsa_next_free_vgpr 42
		.amdhsa_next_free_sgpr 20
		.amdhsa_reserve_vcc 1
		.amdhsa_reserve_flat_scratch 1
		.amdhsa_float_round_mode_32 0
		.amdhsa_float_round_mode_16_64 0
		.amdhsa_float_denorm_mode_32 3
		.amdhsa_float_denorm_mode_16_64 3
		.amdhsa_dx10_clamp 1
		.amdhsa_ieee_mode 1
		.amdhsa_fp16_overflow 0
		.amdhsa_workgroup_processor_mode 1
		.amdhsa_memory_ordered 1
		.amdhsa_forward_progress 1
		.amdhsa_shared_vgpr_count 0
		.amdhsa_exception_fp_ieee_invalid_op 0
		.amdhsa_exception_fp_denorm_src 0
		.amdhsa_exception_fp_ieee_div_zero 0
		.amdhsa_exception_fp_ieee_overflow 0
		.amdhsa_exception_fp_ieee_underflow 0
		.amdhsa_exception_fp_ieee_inexact 0
		.amdhsa_exception_int_div_zero 0
	.end_amdhsa_kernel
	.section	.text._ZN7rocprim17ROCPRIM_400000_NS6detail17trampoline_kernelINS0_14default_configENS1_37merge_sort_block_sort_config_selectorIxNS0_10empty_typeEEEZNS1_21merge_sort_block_sortIS3_N6thrust23THRUST_200600_302600_NS6detail15normal_iteratorINS9_10device_ptrIxEEEESE_PS5_SF_11less_div_10IxEEE10hipError_tT0_T1_T2_T3_mRjT4_P12ihipStream_tbNS1_7vsmem_tEEUlT_E_NS1_11comp_targetILNS1_3genE8ELNS1_11target_archE1030ELNS1_3gpuE2ELNS1_3repE0EEENS1_30default_config_static_selectorELNS0_4arch9wavefront6targetE0EEEvSK_,"axG",@progbits,_ZN7rocprim17ROCPRIM_400000_NS6detail17trampoline_kernelINS0_14default_configENS1_37merge_sort_block_sort_config_selectorIxNS0_10empty_typeEEEZNS1_21merge_sort_block_sortIS3_N6thrust23THRUST_200600_302600_NS6detail15normal_iteratorINS9_10device_ptrIxEEEESE_PS5_SF_11less_div_10IxEEE10hipError_tT0_T1_T2_T3_mRjT4_P12ihipStream_tbNS1_7vsmem_tEEUlT_E_NS1_11comp_targetILNS1_3genE8ELNS1_11target_archE1030ELNS1_3gpuE2ELNS1_3repE0EEENS1_30default_config_static_selectorELNS0_4arch9wavefront6targetE0EEEvSK_,comdat
.Lfunc_end335:
	.size	_ZN7rocprim17ROCPRIM_400000_NS6detail17trampoline_kernelINS0_14default_configENS1_37merge_sort_block_sort_config_selectorIxNS0_10empty_typeEEEZNS1_21merge_sort_block_sortIS3_N6thrust23THRUST_200600_302600_NS6detail15normal_iteratorINS9_10device_ptrIxEEEESE_PS5_SF_11less_div_10IxEEE10hipError_tT0_T1_T2_T3_mRjT4_P12ihipStream_tbNS1_7vsmem_tEEUlT_E_NS1_11comp_targetILNS1_3genE8ELNS1_11target_archE1030ELNS1_3gpuE2ELNS1_3repE0EEENS1_30default_config_static_selectorELNS0_4arch9wavefront6targetE0EEEvSK_, .Lfunc_end335-_ZN7rocprim17ROCPRIM_400000_NS6detail17trampoline_kernelINS0_14default_configENS1_37merge_sort_block_sort_config_selectorIxNS0_10empty_typeEEEZNS1_21merge_sort_block_sortIS3_N6thrust23THRUST_200600_302600_NS6detail15normal_iteratorINS9_10device_ptrIxEEEESE_PS5_SF_11less_div_10IxEEE10hipError_tT0_T1_T2_T3_mRjT4_P12ihipStream_tbNS1_7vsmem_tEEUlT_E_NS1_11comp_targetILNS1_3genE8ELNS1_11target_archE1030ELNS1_3gpuE2ELNS1_3repE0EEENS1_30default_config_static_selectorELNS0_4arch9wavefront6targetE0EEEvSK_
                                        ; -- End function
	.set _ZN7rocprim17ROCPRIM_400000_NS6detail17trampoline_kernelINS0_14default_configENS1_37merge_sort_block_sort_config_selectorIxNS0_10empty_typeEEEZNS1_21merge_sort_block_sortIS3_N6thrust23THRUST_200600_302600_NS6detail15normal_iteratorINS9_10device_ptrIxEEEESE_PS5_SF_11less_div_10IxEEE10hipError_tT0_T1_T2_T3_mRjT4_P12ihipStream_tbNS1_7vsmem_tEEUlT_E_NS1_11comp_targetILNS1_3genE8ELNS1_11target_archE1030ELNS1_3gpuE2ELNS1_3repE0EEENS1_30default_config_static_selectorELNS0_4arch9wavefront6targetE0EEEvSK_.num_vgpr, 42
	.set _ZN7rocprim17ROCPRIM_400000_NS6detail17trampoline_kernelINS0_14default_configENS1_37merge_sort_block_sort_config_selectorIxNS0_10empty_typeEEEZNS1_21merge_sort_block_sortIS3_N6thrust23THRUST_200600_302600_NS6detail15normal_iteratorINS9_10device_ptrIxEEEESE_PS5_SF_11less_div_10IxEEE10hipError_tT0_T1_T2_T3_mRjT4_P12ihipStream_tbNS1_7vsmem_tEEUlT_E_NS1_11comp_targetILNS1_3genE8ELNS1_11target_archE1030ELNS1_3gpuE2ELNS1_3repE0EEENS1_30default_config_static_selectorELNS0_4arch9wavefront6targetE0EEEvSK_.num_agpr, 0
	.set _ZN7rocprim17ROCPRIM_400000_NS6detail17trampoline_kernelINS0_14default_configENS1_37merge_sort_block_sort_config_selectorIxNS0_10empty_typeEEEZNS1_21merge_sort_block_sortIS3_N6thrust23THRUST_200600_302600_NS6detail15normal_iteratorINS9_10device_ptrIxEEEESE_PS5_SF_11less_div_10IxEEE10hipError_tT0_T1_T2_T3_mRjT4_P12ihipStream_tbNS1_7vsmem_tEEUlT_E_NS1_11comp_targetILNS1_3genE8ELNS1_11target_archE1030ELNS1_3gpuE2ELNS1_3repE0EEENS1_30default_config_static_selectorELNS0_4arch9wavefront6targetE0EEEvSK_.numbered_sgpr, 20
	.set _ZN7rocprim17ROCPRIM_400000_NS6detail17trampoline_kernelINS0_14default_configENS1_37merge_sort_block_sort_config_selectorIxNS0_10empty_typeEEEZNS1_21merge_sort_block_sortIS3_N6thrust23THRUST_200600_302600_NS6detail15normal_iteratorINS9_10device_ptrIxEEEESE_PS5_SF_11less_div_10IxEEE10hipError_tT0_T1_T2_T3_mRjT4_P12ihipStream_tbNS1_7vsmem_tEEUlT_E_NS1_11comp_targetILNS1_3genE8ELNS1_11target_archE1030ELNS1_3gpuE2ELNS1_3repE0EEENS1_30default_config_static_selectorELNS0_4arch9wavefront6targetE0EEEvSK_.num_named_barrier, 0
	.set _ZN7rocprim17ROCPRIM_400000_NS6detail17trampoline_kernelINS0_14default_configENS1_37merge_sort_block_sort_config_selectorIxNS0_10empty_typeEEEZNS1_21merge_sort_block_sortIS3_N6thrust23THRUST_200600_302600_NS6detail15normal_iteratorINS9_10device_ptrIxEEEESE_PS5_SF_11less_div_10IxEEE10hipError_tT0_T1_T2_T3_mRjT4_P12ihipStream_tbNS1_7vsmem_tEEUlT_E_NS1_11comp_targetILNS1_3genE8ELNS1_11target_archE1030ELNS1_3gpuE2ELNS1_3repE0EEENS1_30default_config_static_selectorELNS0_4arch9wavefront6targetE0EEEvSK_.private_seg_size, 0
	.set _ZN7rocprim17ROCPRIM_400000_NS6detail17trampoline_kernelINS0_14default_configENS1_37merge_sort_block_sort_config_selectorIxNS0_10empty_typeEEEZNS1_21merge_sort_block_sortIS3_N6thrust23THRUST_200600_302600_NS6detail15normal_iteratorINS9_10device_ptrIxEEEESE_PS5_SF_11less_div_10IxEEE10hipError_tT0_T1_T2_T3_mRjT4_P12ihipStream_tbNS1_7vsmem_tEEUlT_E_NS1_11comp_targetILNS1_3genE8ELNS1_11target_archE1030ELNS1_3gpuE2ELNS1_3repE0EEENS1_30default_config_static_selectorELNS0_4arch9wavefront6targetE0EEEvSK_.uses_vcc, 1
	.set _ZN7rocprim17ROCPRIM_400000_NS6detail17trampoline_kernelINS0_14default_configENS1_37merge_sort_block_sort_config_selectorIxNS0_10empty_typeEEEZNS1_21merge_sort_block_sortIS3_N6thrust23THRUST_200600_302600_NS6detail15normal_iteratorINS9_10device_ptrIxEEEESE_PS5_SF_11less_div_10IxEEE10hipError_tT0_T1_T2_T3_mRjT4_P12ihipStream_tbNS1_7vsmem_tEEUlT_E_NS1_11comp_targetILNS1_3genE8ELNS1_11target_archE1030ELNS1_3gpuE2ELNS1_3repE0EEENS1_30default_config_static_selectorELNS0_4arch9wavefront6targetE0EEEvSK_.uses_flat_scratch, 1
	.set _ZN7rocprim17ROCPRIM_400000_NS6detail17trampoline_kernelINS0_14default_configENS1_37merge_sort_block_sort_config_selectorIxNS0_10empty_typeEEEZNS1_21merge_sort_block_sortIS3_N6thrust23THRUST_200600_302600_NS6detail15normal_iteratorINS9_10device_ptrIxEEEESE_PS5_SF_11less_div_10IxEEE10hipError_tT0_T1_T2_T3_mRjT4_P12ihipStream_tbNS1_7vsmem_tEEUlT_E_NS1_11comp_targetILNS1_3genE8ELNS1_11target_archE1030ELNS1_3gpuE2ELNS1_3repE0EEENS1_30default_config_static_selectorELNS0_4arch9wavefront6targetE0EEEvSK_.has_dyn_sized_stack, 0
	.set _ZN7rocprim17ROCPRIM_400000_NS6detail17trampoline_kernelINS0_14default_configENS1_37merge_sort_block_sort_config_selectorIxNS0_10empty_typeEEEZNS1_21merge_sort_block_sortIS3_N6thrust23THRUST_200600_302600_NS6detail15normal_iteratorINS9_10device_ptrIxEEEESE_PS5_SF_11less_div_10IxEEE10hipError_tT0_T1_T2_T3_mRjT4_P12ihipStream_tbNS1_7vsmem_tEEUlT_E_NS1_11comp_targetILNS1_3genE8ELNS1_11target_archE1030ELNS1_3gpuE2ELNS1_3repE0EEENS1_30default_config_static_selectorELNS0_4arch9wavefront6targetE0EEEvSK_.has_recursion, 0
	.set _ZN7rocprim17ROCPRIM_400000_NS6detail17trampoline_kernelINS0_14default_configENS1_37merge_sort_block_sort_config_selectorIxNS0_10empty_typeEEEZNS1_21merge_sort_block_sortIS3_N6thrust23THRUST_200600_302600_NS6detail15normal_iteratorINS9_10device_ptrIxEEEESE_PS5_SF_11less_div_10IxEEE10hipError_tT0_T1_T2_T3_mRjT4_P12ihipStream_tbNS1_7vsmem_tEEUlT_E_NS1_11comp_targetILNS1_3genE8ELNS1_11target_archE1030ELNS1_3gpuE2ELNS1_3repE0EEENS1_30default_config_static_selectorELNS0_4arch9wavefront6targetE0EEEvSK_.has_indirect_call, 0
	.section	.AMDGPU.csdata,"",@progbits
; Kernel info:
; codeLenInByte = 18248
; TotalNumSgprs: 22
; NumVgprs: 42
; ScratchSize: 0
; MemoryBound: 0
; FloatMode: 240
; IeeeMode: 1
; LDSByteSize: 8448 bytes/workgroup (compile time only)
; SGPRBlocks: 0
; VGPRBlocks: 5
; NumSGPRsForWavesPerEU: 22
; NumVGPRsForWavesPerEU: 42
; Occupancy: 16
; WaveLimiterHint : 1
; COMPUTE_PGM_RSRC2:SCRATCH_EN: 0
; COMPUTE_PGM_RSRC2:USER_SGPR: 6
; COMPUTE_PGM_RSRC2:TRAP_HANDLER: 0
; COMPUTE_PGM_RSRC2:TGID_X_EN: 1
; COMPUTE_PGM_RSRC2:TGID_Y_EN: 1
; COMPUTE_PGM_RSRC2:TGID_Z_EN: 1
; COMPUTE_PGM_RSRC2:TIDIG_COMP_CNT: 2
	.section	.text._ZN7rocprim17ROCPRIM_400000_NS6detail17trampoline_kernelINS0_14default_configENS1_38merge_sort_block_merge_config_selectorIxNS0_10empty_typeEEEZZNS1_27merge_sort_block_merge_implIS3_N6thrust23THRUST_200600_302600_NS6detail15normal_iteratorINS9_10device_ptrIxEEEEPS5_m11less_div_10IxEEE10hipError_tT0_T1_T2_jT3_P12ihipStream_tbPNSt15iterator_traitsISJ_E10value_typeEPNSP_ISK_E10value_typeEPSL_NS1_7vsmem_tEENKUlT_SJ_SK_SL_E_clIPxSE_SF_SF_EESI_SY_SJ_SK_SL_EUlSY_E_NS1_11comp_targetILNS1_3genE0ELNS1_11target_archE4294967295ELNS1_3gpuE0ELNS1_3repE0EEENS1_48merge_mergepath_partition_config_static_selectorELNS0_4arch9wavefront6targetE0EEEvSK_,"axG",@progbits,_ZN7rocprim17ROCPRIM_400000_NS6detail17trampoline_kernelINS0_14default_configENS1_38merge_sort_block_merge_config_selectorIxNS0_10empty_typeEEEZZNS1_27merge_sort_block_merge_implIS3_N6thrust23THRUST_200600_302600_NS6detail15normal_iteratorINS9_10device_ptrIxEEEEPS5_m11less_div_10IxEEE10hipError_tT0_T1_T2_jT3_P12ihipStream_tbPNSt15iterator_traitsISJ_E10value_typeEPNSP_ISK_E10value_typeEPSL_NS1_7vsmem_tEENKUlT_SJ_SK_SL_E_clIPxSE_SF_SF_EESI_SY_SJ_SK_SL_EUlSY_E_NS1_11comp_targetILNS1_3genE0ELNS1_11target_archE4294967295ELNS1_3gpuE0ELNS1_3repE0EEENS1_48merge_mergepath_partition_config_static_selectorELNS0_4arch9wavefront6targetE0EEEvSK_,comdat
	.protected	_ZN7rocprim17ROCPRIM_400000_NS6detail17trampoline_kernelINS0_14default_configENS1_38merge_sort_block_merge_config_selectorIxNS0_10empty_typeEEEZZNS1_27merge_sort_block_merge_implIS3_N6thrust23THRUST_200600_302600_NS6detail15normal_iteratorINS9_10device_ptrIxEEEEPS5_m11less_div_10IxEEE10hipError_tT0_T1_T2_jT3_P12ihipStream_tbPNSt15iterator_traitsISJ_E10value_typeEPNSP_ISK_E10value_typeEPSL_NS1_7vsmem_tEENKUlT_SJ_SK_SL_E_clIPxSE_SF_SF_EESI_SY_SJ_SK_SL_EUlSY_E_NS1_11comp_targetILNS1_3genE0ELNS1_11target_archE4294967295ELNS1_3gpuE0ELNS1_3repE0EEENS1_48merge_mergepath_partition_config_static_selectorELNS0_4arch9wavefront6targetE0EEEvSK_ ; -- Begin function _ZN7rocprim17ROCPRIM_400000_NS6detail17trampoline_kernelINS0_14default_configENS1_38merge_sort_block_merge_config_selectorIxNS0_10empty_typeEEEZZNS1_27merge_sort_block_merge_implIS3_N6thrust23THRUST_200600_302600_NS6detail15normal_iteratorINS9_10device_ptrIxEEEEPS5_m11less_div_10IxEEE10hipError_tT0_T1_T2_jT3_P12ihipStream_tbPNSt15iterator_traitsISJ_E10value_typeEPNSP_ISK_E10value_typeEPSL_NS1_7vsmem_tEENKUlT_SJ_SK_SL_E_clIPxSE_SF_SF_EESI_SY_SJ_SK_SL_EUlSY_E_NS1_11comp_targetILNS1_3genE0ELNS1_11target_archE4294967295ELNS1_3gpuE0ELNS1_3repE0EEENS1_48merge_mergepath_partition_config_static_selectorELNS0_4arch9wavefront6targetE0EEEvSK_
	.globl	_ZN7rocprim17ROCPRIM_400000_NS6detail17trampoline_kernelINS0_14default_configENS1_38merge_sort_block_merge_config_selectorIxNS0_10empty_typeEEEZZNS1_27merge_sort_block_merge_implIS3_N6thrust23THRUST_200600_302600_NS6detail15normal_iteratorINS9_10device_ptrIxEEEEPS5_m11less_div_10IxEEE10hipError_tT0_T1_T2_jT3_P12ihipStream_tbPNSt15iterator_traitsISJ_E10value_typeEPNSP_ISK_E10value_typeEPSL_NS1_7vsmem_tEENKUlT_SJ_SK_SL_E_clIPxSE_SF_SF_EESI_SY_SJ_SK_SL_EUlSY_E_NS1_11comp_targetILNS1_3genE0ELNS1_11target_archE4294967295ELNS1_3gpuE0ELNS1_3repE0EEENS1_48merge_mergepath_partition_config_static_selectorELNS0_4arch9wavefront6targetE0EEEvSK_
	.p2align	8
	.type	_ZN7rocprim17ROCPRIM_400000_NS6detail17trampoline_kernelINS0_14default_configENS1_38merge_sort_block_merge_config_selectorIxNS0_10empty_typeEEEZZNS1_27merge_sort_block_merge_implIS3_N6thrust23THRUST_200600_302600_NS6detail15normal_iteratorINS9_10device_ptrIxEEEEPS5_m11less_div_10IxEEE10hipError_tT0_T1_T2_jT3_P12ihipStream_tbPNSt15iterator_traitsISJ_E10value_typeEPNSP_ISK_E10value_typeEPSL_NS1_7vsmem_tEENKUlT_SJ_SK_SL_E_clIPxSE_SF_SF_EESI_SY_SJ_SK_SL_EUlSY_E_NS1_11comp_targetILNS1_3genE0ELNS1_11target_archE4294967295ELNS1_3gpuE0ELNS1_3repE0EEENS1_48merge_mergepath_partition_config_static_selectorELNS0_4arch9wavefront6targetE0EEEvSK_,@function
_ZN7rocprim17ROCPRIM_400000_NS6detail17trampoline_kernelINS0_14default_configENS1_38merge_sort_block_merge_config_selectorIxNS0_10empty_typeEEEZZNS1_27merge_sort_block_merge_implIS3_N6thrust23THRUST_200600_302600_NS6detail15normal_iteratorINS9_10device_ptrIxEEEEPS5_m11less_div_10IxEEE10hipError_tT0_T1_T2_jT3_P12ihipStream_tbPNSt15iterator_traitsISJ_E10value_typeEPNSP_ISK_E10value_typeEPSL_NS1_7vsmem_tEENKUlT_SJ_SK_SL_E_clIPxSE_SF_SF_EESI_SY_SJ_SK_SL_EUlSY_E_NS1_11comp_targetILNS1_3genE0ELNS1_11target_archE4294967295ELNS1_3gpuE0ELNS1_3repE0EEENS1_48merge_mergepath_partition_config_static_selectorELNS0_4arch9wavefront6targetE0EEEvSK_: ; @_ZN7rocprim17ROCPRIM_400000_NS6detail17trampoline_kernelINS0_14default_configENS1_38merge_sort_block_merge_config_selectorIxNS0_10empty_typeEEEZZNS1_27merge_sort_block_merge_implIS3_N6thrust23THRUST_200600_302600_NS6detail15normal_iteratorINS9_10device_ptrIxEEEEPS5_m11less_div_10IxEEE10hipError_tT0_T1_T2_jT3_P12ihipStream_tbPNSt15iterator_traitsISJ_E10value_typeEPNSP_ISK_E10value_typeEPSL_NS1_7vsmem_tEENKUlT_SJ_SK_SL_E_clIPxSE_SF_SF_EESI_SY_SJ_SK_SL_EUlSY_E_NS1_11comp_targetILNS1_3genE0ELNS1_11target_archE4294967295ELNS1_3gpuE0ELNS1_3repE0EEENS1_48merge_mergepath_partition_config_static_selectorELNS0_4arch9wavefront6targetE0EEEvSK_
; %bb.0:
	.section	.rodata,"a",@progbits
	.p2align	6, 0x0
	.amdhsa_kernel _ZN7rocprim17ROCPRIM_400000_NS6detail17trampoline_kernelINS0_14default_configENS1_38merge_sort_block_merge_config_selectorIxNS0_10empty_typeEEEZZNS1_27merge_sort_block_merge_implIS3_N6thrust23THRUST_200600_302600_NS6detail15normal_iteratorINS9_10device_ptrIxEEEEPS5_m11less_div_10IxEEE10hipError_tT0_T1_T2_jT3_P12ihipStream_tbPNSt15iterator_traitsISJ_E10value_typeEPNSP_ISK_E10value_typeEPSL_NS1_7vsmem_tEENKUlT_SJ_SK_SL_E_clIPxSE_SF_SF_EESI_SY_SJ_SK_SL_EUlSY_E_NS1_11comp_targetILNS1_3genE0ELNS1_11target_archE4294967295ELNS1_3gpuE0ELNS1_3repE0EEENS1_48merge_mergepath_partition_config_static_selectorELNS0_4arch9wavefront6targetE0EEEvSK_
		.amdhsa_group_segment_fixed_size 0
		.amdhsa_private_segment_fixed_size 0
		.amdhsa_kernarg_size 48
		.amdhsa_user_sgpr_count 6
		.amdhsa_user_sgpr_private_segment_buffer 1
		.amdhsa_user_sgpr_dispatch_ptr 0
		.amdhsa_user_sgpr_queue_ptr 0
		.amdhsa_user_sgpr_kernarg_segment_ptr 1
		.amdhsa_user_sgpr_dispatch_id 0
		.amdhsa_user_sgpr_flat_scratch_init 0
		.amdhsa_user_sgpr_private_segment_size 0
		.amdhsa_wavefront_size32 1
		.amdhsa_uses_dynamic_stack 0
		.amdhsa_system_sgpr_private_segment_wavefront_offset 0
		.amdhsa_system_sgpr_workgroup_id_x 1
		.amdhsa_system_sgpr_workgroup_id_y 0
		.amdhsa_system_sgpr_workgroup_id_z 0
		.amdhsa_system_sgpr_workgroup_info 0
		.amdhsa_system_vgpr_workitem_id 0
		.amdhsa_next_free_vgpr 1
		.amdhsa_next_free_sgpr 1
		.amdhsa_reserve_vcc 0
		.amdhsa_reserve_flat_scratch 0
		.amdhsa_float_round_mode_32 0
		.amdhsa_float_round_mode_16_64 0
		.amdhsa_float_denorm_mode_32 3
		.amdhsa_float_denorm_mode_16_64 3
		.amdhsa_dx10_clamp 1
		.amdhsa_ieee_mode 1
		.amdhsa_fp16_overflow 0
		.amdhsa_workgroup_processor_mode 1
		.amdhsa_memory_ordered 1
		.amdhsa_forward_progress 1
		.amdhsa_shared_vgpr_count 0
		.amdhsa_exception_fp_ieee_invalid_op 0
		.amdhsa_exception_fp_denorm_src 0
		.amdhsa_exception_fp_ieee_div_zero 0
		.amdhsa_exception_fp_ieee_overflow 0
		.amdhsa_exception_fp_ieee_underflow 0
		.amdhsa_exception_fp_ieee_inexact 0
		.amdhsa_exception_int_div_zero 0
	.end_amdhsa_kernel
	.section	.text._ZN7rocprim17ROCPRIM_400000_NS6detail17trampoline_kernelINS0_14default_configENS1_38merge_sort_block_merge_config_selectorIxNS0_10empty_typeEEEZZNS1_27merge_sort_block_merge_implIS3_N6thrust23THRUST_200600_302600_NS6detail15normal_iteratorINS9_10device_ptrIxEEEEPS5_m11less_div_10IxEEE10hipError_tT0_T1_T2_jT3_P12ihipStream_tbPNSt15iterator_traitsISJ_E10value_typeEPNSP_ISK_E10value_typeEPSL_NS1_7vsmem_tEENKUlT_SJ_SK_SL_E_clIPxSE_SF_SF_EESI_SY_SJ_SK_SL_EUlSY_E_NS1_11comp_targetILNS1_3genE0ELNS1_11target_archE4294967295ELNS1_3gpuE0ELNS1_3repE0EEENS1_48merge_mergepath_partition_config_static_selectorELNS0_4arch9wavefront6targetE0EEEvSK_,"axG",@progbits,_ZN7rocprim17ROCPRIM_400000_NS6detail17trampoline_kernelINS0_14default_configENS1_38merge_sort_block_merge_config_selectorIxNS0_10empty_typeEEEZZNS1_27merge_sort_block_merge_implIS3_N6thrust23THRUST_200600_302600_NS6detail15normal_iteratorINS9_10device_ptrIxEEEEPS5_m11less_div_10IxEEE10hipError_tT0_T1_T2_jT3_P12ihipStream_tbPNSt15iterator_traitsISJ_E10value_typeEPNSP_ISK_E10value_typeEPSL_NS1_7vsmem_tEENKUlT_SJ_SK_SL_E_clIPxSE_SF_SF_EESI_SY_SJ_SK_SL_EUlSY_E_NS1_11comp_targetILNS1_3genE0ELNS1_11target_archE4294967295ELNS1_3gpuE0ELNS1_3repE0EEENS1_48merge_mergepath_partition_config_static_selectorELNS0_4arch9wavefront6targetE0EEEvSK_,comdat
.Lfunc_end336:
	.size	_ZN7rocprim17ROCPRIM_400000_NS6detail17trampoline_kernelINS0_14default_configENS1_38merge_sort_block_merge_config_selectorIxNS0_10empty_typeEEEZZNS1_27merge_sort_block_merge_implIS3_N6thrust23THRUST_200600_302600_NS6detail15normal_iteratorINS9_10device_ptrIxEEEEPS5_m11less_div_10IxEEE10hipError_tT0_T1_T2_jT3_P12ihipStream_tbPNSt15iterator_traitsISJ_E10value_typeEPNSP_ISK_E10value_typeEPSL_NS1_7vsmem_tEENKUlT_SJ_SK_SL_E_clIPxSE_SF_SF_EESI_SY_SJ_SK_SL_EUlSY_E_NS1_11comp_targetILNS1_3genE0ELNS1_11target_archE4294967295ELNS1_3gpuE0ELNS1_3repE0EEENS1_48merge_mergepath_partition_config_static_selectorELNS0_4arch9wavefront6targetE0EEEvSK_, .Lfunc_end336-_ZN7rocprim17ROCPRIM_400000_NS6detail17trampoline_kernelINS0_14default_configENS1_38merge_sort_block_merge_config_selectorIxNS0_10empty_typeEEEZZNS1_27merge_sort_block_merge_implIS3_N6thrust23THRUST_200600_302600_NS6detail15normal_iteratorINS9_10device_ptrIxEEEEPS5_m11less_div_10IxEEE10hipError_tT0_T1_T2_jT3_P12ihipStream_tbPNSt15iterator_traitsISJ_E10value_typeEPNSP_ISK_E10value_typeEPSL_NS1_7vsmem_tEENKUlT_SJ_SK_SL_E_clIPxSE_SF_SF_EESI_SY_SJ_SK_SL_EUlSY_E_NS1_11comp_targetILNS1_3genE0ELNS1_11target_archE4294967295ELNS1_3gpuE0ELNS1_3repE0EEENS1_48merge_mergepath_partition_config_static_selectorELNS0_4arch9wavefront6targetE0EEEvSK_
                                        ; -- End function
	.set _ZN7rocprim17ROCPRIM_400000_NS6detail17trampoline_kernelINS0_14default_configENS1_38merge_sort_block_merge_config_selectorIxNS0_10empty_typeEEEZZNS1_27merge_sort_block_merge_implIS3_N6thrust23THRUST_200600_302600_NS6detail15normal_iteratorINS9_10device_ptrIxEEEEPS5_m11less_div_10IxEEE10hipError_tT0_T1_T2_jT3_P12ihipStream_tbPNSt15iterator_traitsISJ_E10value_typeEPNSP_ISK_E10value_typeEPSL_NS1_7vsmem_tEENKUlT_SJ_SK_SL_E_clIPxSE_SF_SF_EESI_SY_SJ_SK_SL_EUlSY_E_NS1_11comp_targetILNS1_3genE0ELNS1_11target_archE4294967295ELNS1_3gpuE0ELNS1_3repE0EEENS1_48merge_mergepath_partition_config_static_selectorELNS0_4arch9wavefront6targetE0EEEvSK_.num_vgpr, 0
	.set _ZN7rocprim17ROCPRIM_400000_NS6detail17trampoline_kernelINS0_14default_configENS1_38merge_sort_block_merge_config_selectorIxNS0_10empty_typeEEEZZNS1_27merge_sort_block_merge_implIS3_N6thrust23THRUST_200600_302600_NS6detail15normal_iteratorINS9_10device_ptrIxEEEEPS5_m11less_div_10IxEEE10hipError_tT0_T1_T2_jT3_P12ihipStream_tbPNSt15iterator_traitsISJ_E10value_typeEPNSP_ISK_E10value_typeEPSL_NS1_7vsmem_tEENKUlT_SJ_SK_SL_E_clIPxSE_SF_SF_EESI_SY_SJ_SK_SL_EUlSY_E_NS1_11comp_targetILNS1_3genE0ELNS1_11target_archE4294967295ELNS1_3gpuE0ELNS1_3repE0EEENS1_48merge_mergepath_partition_config_static_selectorELNS0_4arch9wavefront6targetE0EEEvSK_.num_agpr, 0
	.set _ZN7rocprim17ROCPRIM_400000_NS6detail17trampoline_kernelINS0_14default_configENS1_38merge_sort_block_merge_config_selectorIxNS0_10empty_typeEEEZZNS1_27merge_sort_block_merge_implIS3_N6thrust23THRUST_200600_302600_NS6detail15normal_iteratorINS9_10device_ptrIxEEEEPS5_m11less_div_10IxEEE10hipError_tT0_T1_T2_jT3_P12ihipStream_tbPNSt15iterator_traitsISJ_E10value_typeEPNSP_ISK_E10value_typeEPSL_NS1_7vsmem_tEENKUlT_SJ_SK_SL_E_clIPxSE_SF_SF_EESI_SY_SJ_SK_SL_EUlSY_E_NS1_11comp_targetILNS1_3genE0ELNS1_11target_archE4294967295ELNS1_3gpuE0ELNS1_3repE0EEENS1_48merge_mergepath_partition_config_static_selectorELNS0_4arch9wavefront6targetE0EEEvSK_.numbered_sgpr, 0
	.set _ZN7rocprim17ROCPRIM_400000_NS6detail17trampoline_kernelINS0_14default_configENS1_38merge_sort_block_merge_config_selectorIxNS0_10empty_typeEEEZZNS1_27merge_sort_block_merge_implIS3_N6thrust23THRUST_200600_302600_NS6detail15normal_iteratorINS9_10device_ptrIxEEEEPS5_m11less_div_10IxEEE10hipError_tT0_T1_T2_jT3_P12ihipStream_tbPNSt15iterator_traitsISJ_E10value_typeEPNSP_ISK_E10value_typeEPSL_NS1_7vsmem_tEENKUlT_SJ_SK_SL_E_clIPxSE_SF_SF_EESI_SY_SJ_SK_SL_EUlSY_E_NS1_11comp_targetILNS1_3genE0ELNS1_11target_archE4294967295ELNS1_3gpuE0ELNS1_3repE0EEENS1_48merge_mergepath_partition_config_static_selectorELNS0_4arch9wavefront6targetE0EEEvSK_.num_named_barrier, 0
	.set _ZN7rocprim17ROCPRIM_400000_NS6detail17trampoline_kernelINS0_14default_configENS1_38merge_sort_block_merge_config_selectorIxNS0_10empty_typeEEEZZNS1_27merge_sort_block_merge_implIS3_N6thrust23THRUST_200600_302600_NS6detail15normal_iteratorINS9_10device_ptrIxEEEEPS5_m11less_div_10IxEEE10hipError_tT0_T1_T2_jT3_P12ihipStream_tbPNSt15iterator_traitsISJ_E10value_typeEPNSP_ISK_E10value_typeEPSL_NS1_7vsmem_tEENKUlT_SJ_SK_SL_E_clIPxSE_SF_SF_EESI_SY_SJ_SK_SL_EUlSY_E_NS1_11comp_targetILNS1_3genE0ELNS1_11target_archE4294967295ELNS1_3gpuE0ELNS1_3repE0EEENS1_48merge_mergepath_partition_config_static_selectorELNS0_4arch9wavefront6targetE0EEEvSK_.private_seg_size, 0
	.set _ZN7rocprim17ROCPRIM_400000_NS6detail17trampoline_kernelINS0_14default_configENS1_38merge_sort_block_merge_config_selectorIxNS0_10empty_typeEEEZZNS1_27merge_sort_block_merge_implIS3_N6thrust23THRUST_200600_302600_NS6detail15normal_iteratorINS9_10device_ptrIxEEEEPS5_m11less_div_10IxEEE10hipError_tT0_T1_T2_jT3_P12ihipStream_tbPNSt15iterator_traitsISJ_E10value_typeEPNSP_ISK_E10value_typeEPSL_NS1_7vsmem_tEENKUlT_SJ_SK_SL_E_clIPxSE_SF_SF_EESI_SY_SJ_SK_SL_EUlSY_E_NS1_11comp_targetILNS1_3genE0ELNS1_11target_archE4294967295ELNS1_3gpuE0ELNS1_3repE0EEENS1_48merge_mergepath_partition_config_static_selectorELNS0_4arch9wavefront6targetE0EEEvSK_.uses_vcc, 0
	.set _ZN7rocprim17ROCPRIM_400000_NS6detail17trampoline_kernelINS0_14default_configENS1_38merge_sort_block_merge_config_selectorIxNS0_10empty_typeEEEZZNS1_27merge_sort_block_merge_implIS3_N6thrust23THRUST_200600_302600_NS6detail15normal_iteratorINS9_10device_ptrIxEEEEPS5_m11less_div_10IxEEE10hipError_tT0_T1_T2_jT3_P12ihipStream_tbPNSt15iterator_traitsISJ_E10value_typeEPNSP_ISK_E10value_typeEPSL_NS1_7vsmem_tEENKUlT_SJ_SK_SL_E_clIPxSE_SF_SF_EESI_SY_SJ_SK_SL_EUlSY_E_NS1_11comp_targetILNS1_3genE0ELNS1_11target_archE4294967295ELNS1_3gpuE0ELNS1_3repE0EEENS1_48merge_mergepath_partition_config_static_selectorELNS0_4arch9wavefront6targetE0EEEvSK_.uses_flat_scratch, 0
	.set _ZN7rocprim17ROCPRIM_400000_NS6detail17trampoline_kernelINS0_14default_configENS1_38merge_sort_block_merge_config_selectorIxNS0_10empty_typeEEEZZNS1_27merge_sort_block_merge_implIS3_N6thrust23THRUST_200600_302600_NS6detail15normal_iteratorINS9_10device_ptrIxEEEEPS5_m11less_div_10IxEEE10hipError_tT0_T1_T2_jT3_P12ihipStream_tbPNSt15iterator_traitsISJ_E10value_typeEPNSP_ISK_E10value_typeEPSL_NS1_7vsmem_tEENKUlT_SJ_SK_SL_E_clIPxSE_SF_SF_EESI_SY_SJ_SK_SL_EUlSY_E_NS1_11comp_targetILNS1_3genE0ELNS1_11target_archE4294967295ELNS1_3gpuE0ELNS1_3repE0EEENS1_48merge_mergepath_partition_config_static_selectorELNS0_4arch9wavefront6targetE0EEEvSK_.has_dyn_sized_stack, 0
	.set _ZN7rocprim17ROCPRIM_400000_NS6detail17trampoline_kernelINS0_14default_configENS1_38merge_sort_block_merge_config_selectorIxNS0_10empty_typeEEEZZNS1_27merge_sort_block_merge_implIS3_N6thrust23THRUST_200600_302600_NS6detail15normal_iteratorINS9_10device_ptrIxEEEEPS5_m11less_div_10IxEEE10hipError_tT0_T1_T2_jT3_P12ihipStream_tbPNSt15iterator_traitsISJ_E10value_typeEPNSP_ISK_E10value_typeEPSL_NS1_7vsmem_tEENKUlT_SJ_SK_SL_E_clIPxSE_SF_SF_EESI_SY_SJ_SK_SL_EUlSY_E_NS1_11comp_targetILNS1_3genE0ELNS1_11target_archE4294967295ELNS1_3gpuE0ELNS1_3repE0EEENS1_48merge_mergepath_partition_config_static_selectorELNS0_4arch9wavefront6targetE0EEEvSK_.has_recursion, 0
	.set _ZN7rocprim17ROCPRIM_400000_NS6detail17trampoline_kernelINS0_14default_configENS1_38merge_sort_block_merge_config_selectorIxNS0_10empty_typeEEEZZNS1_27merge_sort_block_merge_implIS3_N6thrust23THRUST_200600_302600_NS6detail15normal_iteratorINS9_10device_ptrIxEEEEPS5_m11less_div_10IxEEE10hipError_tT0_T1_T2_jT3_P12ihipStream_tbPNSt15iterator_traitsISJ_E10value_typeEPNSP_ISK_E10value_typeEPSL_NS1_7vsmem_tEENKUlT_SJ_SK_SL_E_clIPxSE_SF_SF_EESI_SY_SJ_SK_SL_EUlSY_E_NS1_11comp_targetILNS1_3genE0ELNS1_11target_archE4294967295ELNS1_3gpuE0ELNS1_3repE0EEENS1_48merge_mergepath_partition_config_static_selectorELNS0_4arch9wavefront6targetE0EEEvSK_.has_indirect_call, 0
	.section	.AMDGPU.csdata,"",@progbits
; Kernel info:
; codeLenInByte = 0
; TotalNumSgprs: 0
; NumVgprs: 0
; ScratchSize: 0
; MemoryBound: 0
; FloatMode: 240
; IeeeMode: 1
; LDSByteSize: 0 bytes/workgroup (compile time only)
; SGPRBlocks: 0
; VGPRBlocks: 0
; NumSGPRsForWavesPerEU: 1
; NumVGPRsForWavesPerEU: 1
; Occupancy: 16
; WaveLimiterHint : 0
; COMPUTE_PGM_RSRC2:SCRATCH_EN: 0
; COMPUTE_PGM_RSRC2:USER_SGPR: 6
; COMPUTE_PGM_RSRC2:TRAP_HANDLER: 0
; COMPUTE_PGM_RSRC2:TGID_X_EN: 1
; COMPUTE_PGM_RSRC2:TGID_Y_EN: 0
; COMPUTE_PGM_RSRC2:TGID_Z_EN: 0
; COMPUTE_PGM_RSRC2:TIDIG_COMP_CNT: 0
	.section	.text._ZN7rocprim17ROCPRIM_400000_NS6detail17trampoline_kernelINS0_14default_configENS1_38merge_sort_block_merge_config_selectorIxNS0_10empty_typeEEEZZNS1_27merge_sort_block_merge_implIS3_N6thrust23THRUST_200600_302600_NS6detail15normal_iteratorINS9_10device_ptrIxEEEEPS5_m11less_div_10IxEEE10hipError_tT0_T1_T2_jT3_P12ihipStream_tbPNSt15iterator_traitsISJ_E10value_typeEPNSP_ISK_E10value_typeEPSL_NS1_7vsmem_tEENKUlT_SJ_SK_SL_E_clIPxSE_SF_SF_EESI_SY_SJ_SK_SL_EUlSY_E_NS1_11comp_targetILNS1_3genE10ELNS1_11target_archE1201ELNS1_3gpuE5ELNS1_3repE0EEENS1_48merge_mergepath_partition_config_static_selectorELNS0_4arch9wavefront6targetE0EEEvSK_,"axG",@progbits,_ZN7rocprim17ROCPRIM_400000_NS6detail17trampoline_kernelINS0_14default_configENS1_38merge_sort_block_merge_config_selectorIxNS0_10empty_typeEEEZZNS1_27merge_sort_block_merge_implIS3_N6thrust23THRUST_200600_302600_NS6detail15normal_iteratorINS9_10device_ptrIxEEEEPS5_m11less_div_10IxEEE10hipError_tT0_T1_T2_jT3_P12ihipStream_tbPNSt15iterator_traitsISJ_E10value_typeEPNSP_ISK_E10value_typeEPSL_NS1_7vsmem_tEENKUlT_SJ_SK_SL_E_clIPxSE_SF_SF_EESI_SY_SJ_SK_SL_EUlSY_E_NS1_11comp_targetILNS1_3genE10ELNS1_11target_archE1201ELNS1_3gpuE5ELNS1_3repE0EEENS1_48merge_mergepath_partition_config_static_selectorELNS0_4arch9wavefront6targetE0EEEvSK_,comdat
	.protected	_ZN7rocprim17ROCPRIM_400000_NS6detail17trampoline_kernelINS0_14default_configENS1_38merge_sort_block_merge_config_selectorIxNS0_10empty_typeEEEZZNS1_27merge_sort_block_merge_implIS3_N6thrust23THRUST_200600_302600_NS6detail15normal_iteratorINS9_10device_ptrIxEEEEPS5_m11less_div_10IxEEE10hipError_tT0_T1_T2_jT3_P12ihipStream_tbPNSt15iterator_traitsISJ_E10value_typeEPNSP_ISK_E10value_typeEPSL_NS1_7vsmem_tEENKUlT_SJ_SK_SL_E_clIPxSE_SF_SF_EESI_SY_SJ_SK_SL_EUlSY_E_NS1_11comp_targetILNS1_3genE10ELNS1_11target_archE1201ELNS1_3gpuE5ELNS1_3repE0EEENS1_48merge_mergepath_partition_config_static_selectorELNS0_4arch9wavefront6targetE0EEEvSK_ ; -- Begin function _ZN7rocprim17ROCPRIM_400000_NS6detail17trampoline_kernelINS0_14default_configENS1_38merge_sort_block_merge_config_selectorIxNS0_10empty_typeEEEZZNS1_27merge_sort_block_merge_implIS3_N6thrust23THRUST_200600_302600_NS6detail15normal_iteratorINS9_10device_ptrIxEEEEPS5_m11less_div_10IxEEE10hipError_tT0_T1_T2_jT3_P12ihipStream_tbPNSt15iterator_traitsISJ_E10value_typeEPNSP_ISK_E10value_typeEPSL_NS1_7vsmem_tEENKUlT_SJ_SK_SL_E_clIPxSE_SF_SF_EESI_SY_SJ_SK_SL_EUlSY_E_NS1_11comp_targetILNS1_3genE10ELNS1_11target_archE1201ELNS1_3gpuE5ELNS1_3repE0EEENS1_48merge_mergepath_partition_config_static_selectorELNS0_4arch9wavefront6targetE0EEEvSK_
	.globl	_ZN7rocprim17ROCPRIM_400000_NS6detail17trampoline_kernelINS0_14default_configENS1_38merge_sort_block_merge_config_selectorIxNS0_10empty_typeEEEZZNS1_27merge_sort_block_merge_implIS3_N6thrust23THRUST_200600_302600_NS6detail15normal_iteratorINS9_10device_ptrIxEEEEPS5_m11less_div_10IxEEE10hipError_tT0_T1_T2_jT3_P12ihipStream_tbPNSt15iterator_traitsISJ_E10value_typeEPNSP_ISK_E10value_typeEPSL_NS1_7vsmem_tEENKUlT_SJ_SK_SL_E_clIPxSE_SF_SF_EESI_SY_SJ_SK_SL_EUlSY_E_NS1_11comp_targetILNS1_3genE10ELNS1_11target_archE1201ELNS1_3gpuE5ELNS1_3repE0EEENS1_48merge_mergepath_partition_config_static_selectorELNS0_4arch9wavefront6targetE0EEEvSK_
	.p2align	8
	.type	_ZN7rocprim17ROCPRIM_400000_NS6detail17trampoline_kernelINS0_14default_configENS1_38merge_sort_block_merge_config_selectorIxNS0_10empty_typeEEEZZNS1_27merge_sort_block_merge_implIS3_N6thrust23THRUST_200600_302600_NS6detail15normal_iteratorINS9_10device_ptrIxEEEEPS5_m11less_div_10IxEEE10hipError_tT0_T1_T2_jT3_P12ihipStream_tbPNSt15iterator_traitsISJ_E10value_typeEPNSP_ISK_E10value_typeEPSL_NS1_7vsmem_tEENKUlT_SJ_SK_SL_E_clIPxSE_SF_SF_EESI_SY_SJ_SK_SL_EUlSY_E_NS1_11comp_targetILNS1_3genE10ELNS1_11target_archE1201ELNS1_3gpuE5ELNS1_3repE0EEENS1_48merge_mergepath_partition_config_static_selectorELNS0_4arch9wavefront6targetE0EEEvSK_,@function
_ZN7rocprim17ROCPRIM_400000_NS6detail17trampoline_kernelINS0_14default_configENS1_38merge_sort_block_merge_config_selectorIxNS0_10empty_typeEEEZZNS1_27merge_sort_block_merge_implIS3_N6thrust23THRUST_200600_302600_NS6detail15normal_iteratorINS9_10device_ptrIxEEEEPS5_m11less_div_10IxEEE10hipError_tT0_T1_T2_jT3_P12ihipStream_tbPNSt15iterator_traitsISJ_E10value_typeEPNSP_ISK_E10value_typeEPSL_NS1_7vsmem_tEENKUlT_SJ_SK_SL_E_clIPxSE_SF_SF_EESI_SY_SJ_SK_SL_EUlSY_E_NS1_11comp_targetILNS1_3genE10ELNS1_11target_archE1201ELNS1_3gpuE5ELNS1_3repE0EEENS1_48merge_mergepath_partition_config_static_selectorELNS0_4arch9wavefront6targetE0EEEvSK_: ; @_ZN7rocprim17ROCPRIM_400000_NS6detail17trampoline_kernelINS0_14default_configENS1_38merge_sort_block_merge_config_selectorIxNS0_10empty_typeEEEZZNS1_27merge_sort_block_merge_implIS3_N6thrust23THRUST_200600_302600_NS6detail15normal_iteratorINS9_10device_ptrIxEEEEPS5_m11less_div_10IxEEE10hipError_tT0_T1_T2_jT3_P12ihipStream_tbPNSt15iterator_traitsISJ_E10value_typeEPNSP_ISK_E10value_typeEPSL_NS1_7vsmem_tEENKUlT_SJ_SK_SL_E_clIPxSE_SF_SF_EESI_SY_SJ_SK_SL_EUlSY_E_NS1_11comp_targetILNS1_3genE10ELNS1_11target_archE1201ELNS1_3gpuE5ELNS1_3repE0EEENS1_48merge_mergepath_partition_config_static_selectorELNS0_4arch9wavefront6targetE0EEEvSK_
; %bb.0:
	.section	.rodata,"a",@progbits
	.p2align	6, 0x0
	.amdhsa_kernel _ZN7rocprim17ROCPRIM_400000_NS6detail17trampoline_kernelINS0_14default_configENS1_38merge_sort_block_merge_config_selectorIxNS0_10empty_typeEEEZZNS1_27merge_sort_block_merge_implIS3_N6thrust23THRUST_200600_302600_NS6detail15normal_iteratorINS9_10device_ptrIxEEEEPS5_m11less_div_10IxEEE10hipError_tT0_T1_T2_jT3_P12ihipStream_tbPNSt15iterator_traitsISJ_E10value_typeEPNSP_ISK_E10value_typeEPSL_NS1_7vsmem_tEENKUlT_SJ_SK_SL_E_clIPxSE_SF_SF_EESI_SY_SJ_SK_SL_EUlSY_E_NS1_11comp_targetILNS1_3genE10ELNS1_11target_archE1201ELNS1_3gpuE5ELNS1_3repE0EEENS1_48merge_mergepath_partition_config_static_selectorELNS0_4arch9wavefront6targetE0EEEvSK_
		.amdhsa_group_segment_fixed_size 0
		.amdhsa_private_segment_fixed_size 0
		.amdhsa_kernarg_size 48
		.amdhsa_user_sgpr_count 6
		.amdhsa_user_sgpr_private_segment_buffer 1
		.amdhsa_user_sgpr_dispatch_ptr 0
		.amdhsa_user_sgpr_queue_ptr 0
		.amdhsa_user_sgpr_kernarg_segment_ptr 1
		.amdhsa_user_sgpr_dispatch_id 0
		.amdhsa_user_sgpr_flat_scratch_init 0
		.amdhsa_user_sgpr_private_segment_size 0
		.amdhsa_wavefront_size32 1
		.amdhsa_uses_dynamic_stack 0
		.amdhsa_system_sgpr_private_segment_wavefront_offset 0
		.amdhsa_system_sgpr_workgroup_id_x 1
		.amdhsa_system_sgpr_workgroup_id_y 0
		.amdhsa_system_sgpr_workgroup_id_z 0
		.amdhsa_system_sgpr_workgroup_info 0
		.amdhsa_system_vgpr_workitem_id 0
		.amdhsa_next_free_vgpr 1
		.amdhsa_next_free_sgpr 1
		.amdhsa_reserve_vcc 0
		.amdhsa_reserve_flat_scratch 0
		.amdhsa_float_round_mode_32 0
		.amdhsa_float_round_mode_16_64 0
		.amdhsa_float_denorm_mode_32 3
		.amdhsa_float_denorm_mode_16_64 3
		.amdhsa_dx10_clamp 1
		.amdhsa_ieee_mode 1
		.amdhsa_fp16_overflow 0
		.amdhsa_workgroup_processor_mode 1
		.amdhsa_memory_ordered 1
		.amdhsa_forward_progress 1
		.amdhsa_shared_vgpr_count 0
		.amdhsa_exception_fp_ieee_invalid_op 0
		.amdhsa_exception_fp_denorm_src 0
		.amdhsa_exception_fp_ieee_div_zero 0
		.amdhsa_exception_fp_ieee_overflow 0
		.amdhsa_exception_fp_ieee_underflow 0
		.amdhsa_exception_fp_ieee_inexact 0
		.amdhsa_exception_int_div_zero 0
	.end_amdhsa_kernel
	.section	.text._ZN7rocprim17ROCPRIM_400000_NS6detail17trampoline_kernelINS0_14default_configENS1_38merge_sort_block_merge_config_selectorIxNS0_10empty_typeEEEZZNS1_27merge_sort_block_merge_implIS3_N6thrust23THRUST_200600_302600_NS6detail15normal_iteratorINS9_10device_ptrIxEEEEPS5_m11less_div_10IxEEE10hipError_tT0_T1_T2_jT3_P12ihipStream_tbPNSt15iterator_traitsISJ_E10value_typeEPNSP_ISK_E10value_typeEPSL_NS1_7vsmem_tEENKUlT_SJ_SK_SL_E_clIPxSE_SF_SF_EESI_SY_SJ_SK_SL_EUlSY_E_NS1_11comp_targetILNS1_3genE10ELNS1_11target_archE1201ELNS1_3gpuE5ELNS1_3repE0EEENS1_48merge_mergepath_partition_config_static_selectorELNS0_4arch9wavefront6targetE0EEEvSK_,"axG",@progbits,_ZN7rocprim17ROCPRIM_400000_NS6detail17trampoline_kernelINS0_14default_configENS1_38merge_sort_block_merge_config_selectorIxNS0_10empty_typeEEEZZNS1_27merge_sort_block_merge_implIS3_N6thrust23THRUST_200600_302600_NS6detail15normal_iteratorINS9_10device_ptrIxEEEEPS5_m11less_div_10IxEEE10hipError_tT0_T1_T2_jT3_P12ihipStream_tbPNSt15iterator_traitsISJ_E10value_typeEPNSP_ISK_E10value_typeEPSL_NS1_7vsmem_tEENKUlT_SJ_SK_SL_E_clIPxSE_SF_SF_EESI_SY_SJ_SK_SL_EUlSY_E_NS1_11comp_targetILNS1_3genE10ELNS1_11target_archE1201ELNS1_3gpuE5ELNS1_3repE0EEENS1_48merge_mergepath_partition_config_static_selectorELNS0_4arch9wavefront6targetE0EEEvSK_,comdat
.Lfunc_end337:
	.size	_ZN7rocprim17ROCPRIM_400000_NS6detail17trampoline_kernelINS0_14default_configENS1_38merge_sort_block_merge_config_selectorIxNS0_10empty_typeEEEZZNS1_27merge_sort_block_merge_implIS3_N6thrust23THRUST_200600_302600_NS6detail15normal_iteratorINS9_10device_ptrIxEEEEPS5_m11less_div_10IxEEE10hipError_tT0_T1_T2_jT3_P12ihipStream_tbPNSt15iterator_traitsISJ_E10value_typeEPNSP_ISK_E10value_typeEPSL_NS1_7vsmem_tEENKUlT_SJ_SK_SL_E_clIPxSE_SF_SF_EESI_SY_SJ_SK_SL_EUlSY_E_NS1_11comp_targetILNS1_3genE10ELNS1_11target_archE1201ELNS1_3gpuE5ELNS1_3repE0EEENS1_48merge_mergepath_partition_config_static_selectorELNS0_4arch9wavefront6targetE0EEEvSK_, .Lfunc_end337-_ZN7rocprim17ROCPRIM_400000_NS6detail17trampoline_kernelINS0_14default_configENS1_38merge_sort_block_merge_config_selectorIxNS0_10empty_typeEEEZZNS1_27merge_sort_block_merge_implIS3_N6thrust23THRUST_200600_302600_NS6detail15normal_iteratorINS9_10device_ptrIxEEEEPS5_m11less_div_10IxEEE10hipError_tT0_T1_T2_jT3_P12ihipStream_tbPNSt15iterator_traitsISJ_E10value_typeEPNSP_ISK_E10value_typeEPSL_NS1_7vsmem_tEENKUlT_SJ_SK_SL_E_clIPxSE_SF_SF_EESI_SY_SJ_SK_SL_EUlSY_E_NS1_11comp_targetILNS1_3genE10ELNS1_11target_archE1201ELNS1_3gpuE5ELNS1_3repE0EEENS1_48merge_mergepath_partition_config_static_selectorELNS0_4arch9wavefront6targetE0EEEvSK_
                                        ; -- End function
	.set _ZN7rocprim17ROCPRIM_400000_NS6detail17trampoline_kernelINS0_14default_configENS1_38merge_sort_block_merge_config_selectorIxNS0_10empty_typeEEEZZNS1_27merge_sort_block_merge_implIS3_N6thrust23THRUST_200600_302600_NS6detail15normal_iteratorINS9_10device_ptrIxEEEEPS5_m11less_div_10IxEEE10hipError_tT0_T1_T2_jT3_P12ihipStream_tbPNSt15iterator_traitsISJ_E10value_typeEPNSP_ISK_E10value_typeEPSL_NS1_7vsmem_tEENKUlT_SJ_SK_SL_E_clIPxSE_SF_SF_EESI_SY_SJ_SK_SL_EUlSY_E_NS1_11comp_targetILNS1_3genE10ELNS1_11target_archE1201ELNS1_3gpuE5ELNS1_3repE0EEENS1_48merge_mergepath_partition_config_static_selectorELNS0_4arch9wavefront6targetE0EEEvSK_.num_vgpr, 0
	.set _ZN7rocprim17ROCPRIM_400000_NS6detail17trampoline_kernelINS0_14default_configENS1_38merge_sort_block_merge_config_selectorIxNS0_10empty_typeEEEZZNS1_27merge_sort_block_merge_implIS3_N6thrust23THRUST_200600_302600_NS6detail15normal_iteratorINS9_10device_ptrIxEEEEPS5_m11less_div_10IxEEE10hipError_tT0_T1_T2_jT3_P12ihipStream_tbPNSt15iterator_traitsISJ_E10value_typeEPNSP_ISK_E10value_typeEPSL_NS1_7vsmem_tEENKUlT_SJ_SK_SL_E_clIPxSE_SF_SF_EESI_SY_SJ_SK_SL_EUlSY_E_NS1_11comp_targetILNS1_3genE10ELNS1_11target_archE1201ELNS1_3gpuE5ELNS1_3repE0EEENS1_48merge_mergepath_partition_config_static_selectorELNS0_4arch9wavefront6targetE0EEEvSK_.num_agpr, 0
	.set _ZN7rocprim17ROCPRIM_400000_NS6detail17trampoline_kernelINS0_14default_configENS1_38merge_sort_block_merge_config_selectorIxNS0_10empty_typeEEEZZNS1_27merge_sort_block_merge_implIS3_N6thrust23THRUST_200600_302600_NS6detail15normal_iteratorINS9_10device_ptrIxEEEEPS5_m11less_div_10IxEEE10hipError_tT0_T1_T2_jT3_P12ihipStream_tbPNSt15iterator_traitsISJ_E10value_typeEPNSP_ISK_E10value_typeEPSL_NS1_7vsmem_tEENKUlT_SJ_SK_SL_E_clIPxSE_SF_SF_EESI_SY_SJ_SK_SL_EUlSY_E_NS1_11comp_targetILNS1_3genE10ELNS1_11target_archE1201ELNS1_3gpuE5ELNS1_3repE0EEENS1_48merge_mergepath_partition_config_static_selectorELNS0_4arch9wavefront6targetE0EEEvSK_.numbered_sgpr, 0
	.set _ZN7rocprim17ROCPRIM_400000_NS6detail17trampoline_kernelINS0_14default_configENS1_38merge_sort_block_merge_config_selectorIxNS0_10empty_typeEEEZZNS1_27merge_sort_block_merge_implIS3_N6thrust23THRUST_200600_302600_NS6detail15normal_iteratorINS9_10device_ptrIxEEEEPS5_m11less_div_10IxEEE10hipError_tT0_T1_T2_jT3_P12ihipStream_tbPNSt15iterator_traitsISJ_E10value_typeEPNSP_ISK_E10value_typeEPSL_NS1_7vsmem_tEENKUlT_SJ_SK_SL_E_clIPxSE_SF_SF_EESI_SY_SJ_SK_SL_EUlSY_E_NS1_11comp_targetILNS1_3genE10ELNS1_11target_archE1201ELNS1_3gpuE5ELNS1_3repE0EEENS1_48merge_mergepath_partition_config_static_selectorELNS0_4arch9wavefront6targetE0EEEvSK_.num_named_barrier, 0
	.set _ZN7rocprim17ROCPRIM_400000_NS6detail17trampoline_kernelINS0_14default_configENS1_38merge_sort_block_merge_config_selectorIxNS0_10empty_typeEEEZZNS1_27merge_sort_block_merge_implIS3_N6thrust23THRUST_200600_302600_NS6detail15normal_iteratorINS9_10device_ptrIxEEEEPS5_m11less_div_10IxEEE10hipError_tT0_T1_T2_jT3_P12ihipStream_tbPNSt15iterator_traitsISJ_E10value_typeEPNSP_ISK_E10value_typeEPSL_NS1_7vsmem_tEENKUlT_SJ_SK_SL_E_clIPxSE_SF_SF_EESI_SY_SJ_SK_SL_EUlSY_E_NS1_11comp_targetILNS1_3genE10ELNS1_11target_archE1201ELNS1_3gpuE5ELNS1_3repE0EEENS1_48merge_mergepath_partition_config_static_selectorELNS0_4arch9wavefront6targetE0EEEvSK_.private_seg_size, 0
	.set _ZN7rocprim17ROCPRIM_400000_NS6detail17trampoline_kernelINS0_14default_configENS1_38merge_sort_block_merge_config_selectorIxNS0_10empty_typeEEEZZNS1_27merge_sort_block_merge_implIS3_N6thrust23THRUST_200600_302600_NS6detail15normal_iteratorINS9_10device_ptrIxEEEEPS5_m11less_div_10IxEEE10hipError_tT0_T1_T2_jT3_P12ihipStream_tbPNSt15iterator_traitsISJ_E10value_typeEPNSP_ISK_E10value_typeEPSL_NS1_7vsmem_tEENKUlT_SJ_SK_SL_E_clIPxSE_SF_SF_EESI_SY_SJ_SK_SL_EUlSY_E_NS1_11comp_targetILNS1_3genE10ELNS1_11target_archE1201ELNS1_3gpuE5ELNS1_3repE0EEENS1_48merge_mergepath_partition_config_static_selectorELNS0_4arch9wavefront6targetE0EEEvSK_.uses_vcc, 0
	.set _ZN7rocprim17ROCPRIM_400000_NS6detail17trampoline_kernelINS0_14default_configENS1_38merge_sort_block_merge_config_selectorIxNS0_10empty_typeEEEZZNS1_27merge_sort_block_merge_implIS3_N6thrust23THRUST_200600_302600_NS6detail15normal_iteratorINS9_10device_ptrIxEEEEPS5_m11less_div_10IxEEE10hipError_tT0_T1_T2_jT3_P12ihipStream_tbPNSt15iterator_traitsISJ_E10value_typeEPNSP_ISK_E10value_typeEPSL_NS1_7vsmem_tEENKUlT_SJ_SK_SL_E_clIPxSE_SF_SF_EESI_SY_SJ_SK_SL_EUlSY_E_NS1_11comp_targetILNS1_3genE10ELNS1_11target_archE1201ELNS1_3gpuE5ELNS1_3repE0EEENS1_48merge_mergepath_partition_config_static_selectorELNS0_4arch9wavefront6targetE0EEEvSK_.uses_flat_scratch, 0
	.set _ZN7rocprim17ROCPRIM_400000_NS6detail17trampoline_kernelINS0_14default_configENS1_38merge_sort_block_merge_config_selectorIxNS0_10empty_typeEEEZZNS1_27merge_sort_block_merge_implIS3_N6thrust23THRUST_200600_302600_NS6detail15normal_iteratorINS9_10device_ptrIxEEEEPS5_m11less_div_10IxEEE10hipError_tT0_T1_T2_jT3_P12ihipStream_tbPNSt15iterator_traitsISJ_E10value_typeEPNSP_ISK_E10value_typeEPSL_NS1_7vsmem_tEENKUlT_SJ_SK_SL_E_clIPxSE_SF_SF_EESI_SY_SJ_SK_SL_EUlSY_E_NS1_11comp_targetILNS1_3genE10ELNS1_11target_archE1201ELNS1_3gpuE5ELNS1_3repE0EEENS1_48merge_mergepath_partition_config_static_selectorELNS0_4arch9wavefront6targetE0EEEvSK_.has_dyn_sized_stack, 0
	.set _ZN7rocprim17ROCPRIM_400000_NS6detail17trampoline_kernelINS0_14default_configENS1_38merge_sort_block_merge_config_selectorIxNS0_10empty_typeEEEZZNS1_27merge_sort_block_merge_implIS3_N6thrust23THRUST_200600_302600_NS6detail15normal_iteratorINS9_10device_ptrIxEEEEPS5_m11less_div_10IxEEE10hipError_tT0_T1_T2_jT3_P12ihipStream_tbPNSt15iterator_traitsISJ_E10value_typeEPNSP_ISK_E10value_typeEPSL_NS1_7vsmem_tEENKUlT_SJ_SK_SL_E_clIPxSE_SF_SF_EESI_SY_SJ_SK_SL_EUlSY_E_NS1_11comp_targetILNS1_3genE10ELNS1_11target_archE1201ELNS1_3gpuE5ELNS1_3repE0EEENS1_48merge_mergepath_partition_config_static_selectorELNS0_4arch9wavefront6targetE0EEEvSK_.has_recursion, 0
	.set _ZN7rocprim17ROCPRIM_400000_NS6detail17trampoline_kernelINS0_14default_configENS1_38merge_sort_block_merge_config_selectorIxNS0_10empty_typeEEEZZNS1_27merge_sort_block_merge_implIS3_N6thrust23THRUST_200600_302600_NS6detail15normal_iteratorINS9_10device_ptrIxEEEEPS5_m11less_div_10IxEEE10hipError_tT0_T1_T2_jT3_P12ihipStream_tbPNSt15iterator_traitsISJ_E10value_typeEPNSP_ISK_E10value_typeEPSL_NS1_7vsmem_tEENKUlT_SJ_SK_SL_E_clIPxSE_SF_SF_EESI_SY_SJ_SK_SL_EUlSY_E_NS1_11comp_targetILNS1_3genE10ELNS1_11target_archE1201ELNS1_3gpuE5ELNS1_3repE0EEENS1_48merge_mergepath_partition_config_static_selectorELNS0_4arch9wavefront6targetE0EEEvSK_.has_indirect_call, 0
	.section	.AMDGPU.csdata,"",@progbits
; Kernel info:
; codeLenInByte = 0
; TotalNumSgprs: 0
; NumVgprs: 0
; ScratchSize: 0
; MemoryBound: 0
; FloatMode: 240
; IeeeMode: 1
; LDSByteSize: 0 bytes/workgroup (compile time only)
; SGPRBlocks: 0
; VGPRBlocks: 0
; NumSGPRsForWavesPerEU: 1
; NumVGPRsForWavesPerEU: 1
; Occupancy: 16
; WaveLimiterHint : 0
; COMPUTE_PGM_RSRC2:SCRATCH_EN: 0
; COMPUTE_PGM_RSRC2:USER_SGPR: 6
; COMPUTE_PGM_RSRC2:TRAP_HANDLER: 0
; COMPUTE_PGM_RSRC2:TGID_X_EN: 1
; COMPUTE_PGM_RSRC2:TGID_Y_EN: 0
; COMPUTE_PGM_RSRC2:TGID_Z_EN: 0
; COMPUTE_PGM_RSRC2:TIDIG_COMP_CNT: 0
	.section	.text._ZN7rocprim17ROCPRIM_400000_NS6detail17trampoline_kernelINS0_14default_configENS1_38merge_sort_block_merge_config_selectorIxNS0_10empty_typeEEEZZNS1_27merge_sort_block_merge_implIS3_N6thrust23THRUST_200600_302600_NS6detail15normal_iteratorINS9_10device_ptrIxEEEEPS5_m11less_div_10IxEEE10hipError_tT0_T1_T2_jT3_P12ihipStream_tbPNSt15iterator_traitsISJ_E10value_typeEPNSP_ISK_E10value_typeEPSL_NS1_7vsmem_tEENKUlT_SJ_SK_SL_E_clIPxSE_SF_SF_EESI_SY_SJ_SK_SL_EUlSY_E_NS1_11comp_targetILNS1_3genE5ELNS1_11target_archE942ELNS1_3gpuE9ELNS1_3repE0EEENS1_48merge_mergepath_partition_config_static_selectorELNS0_4arch9wavefront6targetE0EEEvSK_,"axG",@progbits,_ZN7rocprim17ROCPRIM_400000_NS6detail17trampoline_kernelINS0_14default_configENS1_38merge_sort_block_merge_config_selectorIxNS0_10empty_typeEEEZZNS1_27merge_sort_block_merge_implIS3_N6thrust23THRUST_200600_302600_NS6detail15normal_iteratorINS9_10device_ptrIxEEEEPS5_m11less_div_10IxEEE10hipError_tT0_T1_T2_jT3_P12ihipStream_tbPNSt15iterator_traitsISJ_E10value_typeEPNSP_ISK_E10value_typeEPSL_NS1_7vsmem_tEENKUlT_SJ_SK_SL_E_clIPxSE_SF_SF_EESI_SY_SJ_SK_SL_EUlSY_E_NS1_11comp_targetILNS1_3genE5ELNS1_11target_archE942ELNS1_3gpuE9ELNS1_3repE0EEENS1_48merge_mergepath_partition_config_static_selectorELNS0_4arch9wavefront6targetE0EEEvSK_,comdat
	.protected	_ZN7rocprim17ROCPRIM_400000_NS6detail17trampoline_kernelINS0_14default_configENS1_38merge_sort_block_merge_config_selectorIxNS0_10empty_typeEEEZZNS1_27merge_sort_block_merge_implIS3_N6thrust23THRUST_200600_302600_NS6detail15normal_iteratorINS9_10device_ptrIxEEEEPS5_m11less_div_10IxEEE10hipError_tT0_T1_T2_jT3_P12ihipStream_tbPNSt15iterator_traitsISJ_E10value_typeEPNSP_ISK_E10value_typeEPSL_NS1_7vsmem_tEENKUlT_SJ_SK_SL_E_clIPxSE_SF_SF_EESI_SY_SJ_SK_SL_EUlSY_E_NS1_11comp_targetILNS1_3genE5ELNS1_11target_archE942ELNS1_3gpuE9ELNS1_3repE0EEENS1_48merge_mergepath_partition_config_static_selectorELNS0_4arch9wavefront6targetE0EEEvSK_ ; -- Begin function _ZN7rocprim17ROCPRIM_400000_NS6detail17trampoline_kernelINS0_14default_configENS1_38merge_sort_block_merge_config_selectorIxNS0_10empty_typeEEEZZNS1_27merge_sort_block_merge_implIS3_N6thrust23THRUST_200600_302600_NS6detail15normal_iteratorINS9_10device_ptrIxEEEEPS5_m11less_div_10IxEEE10hipError_tT0_T1_T2_jT3_P12ihipStream_tbPNSt15iterator_traitsISJ_E10value_typeEPNSP_ISK_E10value_typeEPSL_NS1_7vsmem_tEENKUlT_SJ_SK_SL_E_clIPxSE_SF_SF_EESI_SY_SJ_SK_SL_EUlSY_E_NS1_11comp_targetILNS1_3genE5ELNS1_11target_archE942ELNS1_3gpuE9ELNS1_3repE0EEENS1_48merge_mergepath_partition_config_static_selectorELNS0_4arch9wavefront6targetE0EEEvSK_
	.globl	_ZN7rocprim17ROCPRIM_400000_NS6detail17trampoline_kernelINS0_14default_configENS1_38merge_sort_block_merge_config_selectorIxNS0_10empty_typeEEEZZNS1_27merge_sort_block_merge_implIS3_N6thrust23THRUST_200600_302600_NS6detail15normal_iteratorINS9_10device_ptrIxEEEEPS5_m11less_div_10IxEEE10hipError_tT0_T1_T2_jT3_P12ihipStream_tbPNSt15iterator_traitsISJ_E10value_typeEPNSP_ISK_E10value_typeEPSL_NS1_7vsmem_tEENKUlT_SJ_SK_SL_E_clIPxSE_SF_SF_EESI_SY_SJ_SK_SL_EUlSY_E_NS1_11comp_targetILNS1_3genE5ELNS1_11target_archE942ELNS1_3gpuE9ELNS1_3repE0EEENS1_48merge_mergepath_partition_config_static_selectorELNS0_4arch9wavefront6targetE0EEEvSK_
	.p2align	8
	.type	_ZN7rocprim17ROCPRIM_400000_NS6detail17trampoline_kernelINS0_14default_configENS1_38merge_sort_block_merge_config_selectorIxNS0_10empty_typeEEEZZNS1_27merge_sort_block_merge_implIS3_N6thrust23THRUST_200600_302600_NS6detail15normal_iteratorINS9_10device_ptrIxEEEEPS5_m11less_div_10IxEEE10hipError_tT0_T1_T2_jT3_P12ihipStream_tbPNSt15iterator_traitsISJ_E10value_typeEPNSP_ISK_E10value_typeEPSL_NS1_7vsmem_tEENKUlT_SJ_SK_SL_E_clIPxSE_SF_SF_EESI_SY_SJ_SK_SL_EUlSY_E_NS1_11comp_targetILNS1_3genE5ELNS1_11target_archE942ELNS1_3gpuE9ELNS1_3repE0EEENS1_48merge_mergepath_partition_config_static_selectorELNS0_4arch9wavefront6targetE0EEEvSK_,@function
_ZN7rocprim17ROCPRIM_400000_NS6detail17trampoline_kernelINS0_14default_configENS1_38merge_sort_block_merge_config_selectorIxNS0_10empty_typeEEEZZNS1_27merge_sort_block_merge_implIS3_N6thrust23THRUST_200600_302600_NS6detail15normal_iteratorINS9_10device_ptrIxEEEEPS5_m11less_div_10IxEEE10hipError_tT0_T1_T2_jT3_P12ihipStream_tbPNSt15iterator_traitsISJ_E10value_typeEPNSP_ISK_E10value_typeEPSL_NS1_7vsmem_tEENKUlT_SJ_SK_SL_E_clIPxSE_SF_SF_EESI_SY_SJ_SK_SL_EUlSY_E_NS1_11comp_targetILNS1_3genE5ELNS1_11target_archE942ELNS1_3gpuE9ELNS1_3repE0EEENS1_48merge_mergepath_partition_config_static_selectorELNS0_4arch9wavefront6targetE0EEEvSK_: ; @_ZN7rocprim17ROCPRIM_400000_NS6detail17trampoline_kernelINS0_14default_configENS1_38merge_sort_block_merge_config_selectorIxNS0_10empty_typeEEEZZNS1_27merge_sort_block_merge_implIS3_N6thrust23THRUST_200600_302600_NS6detail15normal_iteratorINS9_10device_ptrIxEEEEPS5_m11less_div_10IxEEE10hipError_tT0_T1_T2_jT3_P12ihipStream_tbPNSt15iterator_traitsISJ_E10value_typeEPNSP_ISK_E10value_typeEPSL_NS1_7vsmem_tEENKUlT_SJ_SK_SL_E_clIPxSE_SF_SF_EESI_SY_SJ_SK_SL_EUlSY_E_NS1_11comp_targetILNS1_3genE5ELNS1_11target_archE942ELNS1_3gpuE9ELNS1_3repE0EEENS1_48merge_mergepath_partition_config_static_selectorELNS0_4arch9wavefront6targetE0EEEvSK_
; %bb.0:
	.section	.rodata,"a",@progbits
	.p2align	6, 0x0
	.amdhsa_kernel _ZN7rocprim17ROCPRIM_400000_NS6detail17trampoline_kernelINS0_14default_configENS1_38merge_sort_block_merge_config_selectorIxNS0_10empty_typeEEEZZNS1_27merge_sort_block_merge_implIS3_N6thrust23THRUST_200600_302600_NS6detail15normal_iteratorINS9_10device_ptrIxEEEEPS5_m11less_div_10IxEEE10hipError_tT0_T1_T2_jT3_P12ihipStream_tbPNSt15iterator_traitsISJ_E10value_typeEPNSP_ISK_E10value_typeEPSL_NS1_7vsmem_tEENKUlT_SJ_SK_SL_E_clIPxSE_SF_SF_EESI_SY_SJ_SK_SL_EUlSY_E_NS1_11comp_targetILNS1_3genE5ELNS1_11target_archE942ELNS1_3gpuE9ELNS1_3repE0EEENS1_48merge_mergepath_partition_config_static_selectorELNS0_4arch9wavefront6targetE0EEEvSK_
		.amdhsa_group_segment_fixed_size 0
		.amdhsa_private_segment_fixed_size 0
		.amdhsa_kernarg_size 48
		.amdhsa_user_sgpr_count 6
		.amdhsa_user_sgpr_private_segment_buffer 1
		.amdhsa_user_sgpr_dispatch_ptr 0
		.amdhsa_user_sgpr_queue_ptr 0
		.amdhsa_user_sgpr_kernarg_segment_ptr 1
		.amdhsa_user_sgpr_dispatch_id 0
		.amdhsa_user_sgpr_flat_scratch_init 0
		.amdhsa_user_sgpr_private_segment_size 0
		.amdhsa_wavefront_size32 1
		.amdhsa_uses_dynamic_stack 0
		.amdhsa_system_sgpr_private_segment_wavefront_offset 0
		.amdhsa_system_sgpr_workgroup_id_x 1
		.amdhsa_system_sgpr_workgroup_id_y 0
		.amdhsa_system_sgpr_workgroup_id_z 0
		.amdhsa_system_sgpr_workgroup_info 0
		.amdhsa_system_vgpr_workitem_id 0
		.amdhsa_next_free_vgpr 1
		.amdhsa_next_free_sgpr 1
		.amdhsa_reserve_vcc 0
		.amdhsa_reserve_flat_scratch 0
		.amdhsa_float_round_mode_32 0
		.amdhsa_float_round_mode_16_64 0
		.amdhsa_float_denorm_mode_32 3
		.amdhsa_float_denorm_mode_16_64 3
		.amdhsa_dx10_clamp 1
		.amdhsa_ieee_mode 1
		.amdhsa_fp16_overflow 0
		.amdhsa_workgroup_processor_mode 1
		.amdhsa_memory_ordered 1
		.amdhsa_forward_progress 1
		.amdhsa_shared_vgpr_count 0
		.amdhsa_exception_fp_ieee_invalid_op 0
		.amdhsa_exception_fp_denorm_src 0
		.amdhsa_exception_fp_ieee_div_zero 0
		.amdhsa_exception_fp_ieee_overflow 0
		.amdhsa_exception_fp_ieee_underflow 0
		.amdhsa_exception_fp_ieee_inexact 0
		.amdhsa_exception_int_div_zero 0
	.end_amdhsa_kernel
	.section	.text._ZN7rocprim17ROCPRIM_400000_NS6detail17trampoline_kernelINS0_14default_configENS1_38merge_sort_block_merge_config_selectorIxNS0_10empty_typeEEEZZNS1_27merge_sort_block_merge_implIS3_N6thrust23THRUST_200600_302600_NS6detail15normal_iteratorINS9_10device_ptrIxEEEEPS5_m11less_div_10IxEEE10hipError_tT0_T1_T2_jT3_P12ihipStream_tbPNSt15iterator_traitsISJ_E10value_typeEPNSP_ISK_E10value_typeEPSL_NS1_7vsmem_tEENKUlT_SJ_SK_SL_E_clIPxSE_SF_SF_EESI_SY_SJ_SK_SL_EUlSY_E_NS1_11comp_targetILNS1_3genE5ELNS1_11target_archE942ELNS1_3gpuE9ELNS1_3repE0EEENS1_48merge_mergepath_partition_config_static_selectorELNS0_4arch9wavefront6targetE0EEEvSK_,"axG",@progbits,_ZN7rocprim17ROCPRIM_400000_NS6detail17trampoline_kernelINS0_14default_configENS1_38merge_sort_block_merge_config_selectorIxNS0_10empty_typeEEEZZNS1_27merge_sort_block_merge_implIS3_N6thrust23THRUST_200600_302600_NS6detail15normal_iteratorINS9_10device_ptrIxEEEEPS5_m11less_div_10IxEEE10hipError_tT0_T1_T2_jT3_P12ihipStream_tbPNSt15iterator_traitsISJ_E10value_typeEPNSP_ISK_E10value_typeEPSL_NS1_7vsmem_tEENKUlT_SJ_SK_SL_E_clIPxSE_SF_SF_EESI_SY_SJ_SK_SL_EUlSY_E_NS1_11comp_targetILNS1_3genE5ELNS1_11target_archE942ELNS1_3gpuE9ELNS1_3repE0EEENS1_48merge_mergepath_partition_config_static_selectorELNS0_4arch9wavefront6targetE0EEEvSK_,comdat
.Lfunc_end338:
	.size	_ZN7rocprim17ROCPRIM_400000_NS6detail17trampoline_kernelINS0_14default_configENS1_38merge_sort_block_merge_config_selectorIxNS0_10empty_typeEEEZZNS1_27merge_sort_block_merge_implIS3_N6thrust23THRUST_200600_302600_NS6detail15normal_iteratorINS9_10device_ptrIxEEEEPS5_m11less_div_10IxEEE10hipError_tT0_T1_T2_jT3_P12ihipStream_tbPNSt15iterator_traitsISJ_E10value_typeEPNSP_ISK_E10value_typeEPSL_NS1_7vsmem_tEENKUlT_SJ_SK_SL_E_clIPxSE_SF_SF_EESI_SY_SJ_SK_SL_EUlSY_E_NS1_11comp_targetILNS1_3genE5ELNS1_11target_archE942ELNS1_3gpuE9ELNS1_3repE0EEENS1_48merge_mergepath_partition_config_static_selectorELNS0_4arch9wavefront6targetE0EEEvSK_, .Lfunc_end338-_ZN7rocprim17ROCPRIM_400000_NS6detail17trampoline_kernelINS0_14default_configENS1_38merge_sort_block_merge_config_selectorIxNS0_10empty_typeEEEZZNS1_27merge_sort_block_merge_implIS3_N6thrust23THRUST_200600_302600_NS6detail15normal_iteratorINS9_10device_ptrIxEEEEPS5_m11less_div_10IxEEE10hipError_tT0_T1_T2_jT3_P12ihipStream_tbPNSt15iterator_traitsISJ_E10value_typeEPNSP_ISK_E10value_typeEPSL_NS1_7vsmem_tEENKUlT_SJ_SK_SL_E_clIPxSE_SF_SF_EESI_SY_SJ_SK_SL_EUlSY_E_NS1_11comp_targetILNS1_3genE5ELNS1_11target_archE942ELNS1_3gpuE9ELNS1_3repE0EEENS1_48merge_mergepath_partition_config_static_selectorELNS0_4arch9wavefront6targetE0EEEvSK_
                                        ; -- End function
	.set _ZN7rocprim17ROCPRIM_400000_NS6detail17trampoline_kernelINS0_14default_configENS1_38merge_sort_block_merge_config_selectorIxNS0_10empty_typeEEEZZNS1_27merge_sort_block_merge_implIS3_N6thrust23THRUST_200600_302600_NS6detail15normal_iteratorINS9_10device_ptrIxEEEEPS5_m11less_div_10IxEEE10hipError_tT0_T1_T2_jT3_P12ihipStream_tbPNSt15iterator_traitsISJ_E10value_typeEPNSP_ISK_E10value_typeEPSL_NS1_7vsmem_tEENKUlT_SJ_SK_SL_E_clIPxSE_SF_SF_EESI_SY_SJ_SK_SL_EUlSY_E_NS1_11comp_targetILNS1_3genE5ELNS1_11target_archE942ELNS1_3gpuE9ELNS1_3repE0EEENS1_48merge_mergepath_partition_config_static_selectorELNS0_4arch9wavefront6targetE0EEEvSK_.num_vgpr, 0
	.set _ZN7rocprim17ROCPRIM_400000_NS6detail17trampoline_kernelINS0_14default_configENS1_38merge_sort_block_merge_config_selectorIxNS0_10empty_typeEEEZZNS1_27merge_sort_block_merge_implIS3_N6thrust23THRUST_200600_302600_NS6detail15normal_iteratorINS9_10device_ptrIxEEEEPS5_m11less_div_10IxEEE10hipError_tT0_T1_T2_jT3_P12ihipStream_tbPNSt15iterator_traitsISJ_E10value_typeEPNSP_ISK_E10value_typeEPSL_NS1_7vsmem_tEENKUlT_SJ_SK_SL_E_clIPxSE_SF_SF_EESI_SY_SJ_SK_SL_EUlSY_E_NS1_11comp_targetILNS1_3genE5ELNS1_11target_archE942ELNS1_3gpuE9ELNS1_3repE0EEENS1_48merge_mergepath_partition_config_static_selectorELNS0_4arch9wavefront6targetE0EEEvSK_.num_agpr, 0
	.set _ZN7rocprim17ROCPRIM_400000_NS6detail17trampoline_kernelINS0_14default_configENS1_38merge_sort_block_merge_config_selectorIxNS0_10empty_typeEEEZZNS1_27merge_sort_block_merge_implIS3_N6thrust23THRUST_200600_302600_NS6detail15normal_iteratorINS9_10device_ptrIxEEEEPS5_m11less_div_10IxEEE10hipError_tT0_T1_T2_jT3_P12ihipStream_tbPNSt15iterator_traitsISJ_E10value_typeEPNSP_ISK_E10value_typeEPSL_NS1_7vsmem_tEENKUlT_SJ_SK_SL_E_clIPxSE_SF_SF_EESI_SY_SJ_SK_SL_EUlSY_E_NS1_11comp_targetILNS1_3genE5ELNS1_11target_archE942ELNS1_3gpuE9ELNS1_3repE0EEENS1_48merge_mergepath_partition_config_static_selectorELNS0_4arch9wavefront6targetE0EEEvSK_.numbered_sgpr, 0
	.set _ZN7rocprim17ROCPRIM_400000_NS6detail17trampoline_kernelINS0_14default_configENS1_38merge_sort_block_merge_config_selectorIxNS0_10empty_typeEEEZZNS1_27merge_sort_block_merge_implIS3_N6thrust23THRUST_200600_302600_NS6detail15normal_iteratorINS9_10device_ptrIxEEEEPS5_m11less_div_10IxEEE10hipError_tT0_T1_T2_jT3_P12ihipStream_tbPNSt15iterator_traitsISJ_E10value_typeEPNSP_ISK_E10value_typeEPSL_NS1_7vsmem_tEENKUlT_SJ_SK_SL_E_clIPxSE_SF_SF_EESI_SY_SJ_SK_SL_EUlSY_E_NS1_11comp_targetILNS1_3genE5ELNS1_11target_archE942ELNS1_3gpuE9ELNS1_3repE0EEENS1_48merge_mergepath_partition_config_static_selectorELNS0_4arch9wavefront6targetE0EEEvSK_.num_named_barrier, 0
	.set _ZN7rocprim17ROCPRIM_400000_NS6detail17trampoline_kernelINS0_14default_configENS1_38merge_sort_block_merge_config_selectorIxNS0_10empty_typeEEEZZNS1_27merge_sort_block_merge_implIS3_N6thrust23THRUST_200600_302600_NS6detail15normal_iteratorINS9_10device_ptrIxEEEEPS5_m11less_div_10IxEEE10hipError_tT0_T1_T2_jT3_P12ihipStream_tbPNSt15iterator_traitsISJ_E10value_typeEPNSP_ISK_E10value_typeEPSL_NS1_7vsmem_tEENKUlT_SJ_SK_SL_E_clIPxSE_SF_SF_EESI_SY_SJ_SK_SL_EUlSY_E_NS1_11comp_targetILNS1_3genE5ELNS1_11target_archE942ELNS1_3gpuE9ELNS1_3repE0EEENS1_48merge_mergepath_partition_config_static_selectorELNS0_4arch9wavefront6targetE0EEEvSK_.private_seg_size, 0
	.set _ZN7rocprim17ROCPRIM_400000_NS6detail17trampoline_kernelINS0_14default_configENS1_38merge_sort_block_merge_config_selectorIxNS0_10empty_typeEEEZZNS1_27merge_sort_block_merge_implIS3_N6thrust23THRUST_200600_302600_NS6detail15normal_iteratorINS9_10device_ptrIxEEEEPS5_m11less_div_10IxEEE10hipError_tT0_T1_T2_jT3_P12ihipStream_tbPNSt15iterator_traitsISJ_E10value_typeEPNSP_ISK_E10value_typeEPSL_NS1_7vsmem_tEENKUlT_SJ_SK_SL_E_clIPxSE_SF_SF_EESI_SY_SJ_SK_SL_EUlSY_E_NS1_11comp_targetILNS1_3genE5ELNS1_11target_archE942ELNS1_3gpuE9ELNS1_3repE0EEENS1_48merge_mergepath_partition_config_static_selectorELNS0_4arch9wavefront6targetE0EEEvSK_.uses_vcc, 0
	.set _ZN7rocprim17ROCPRIM_400000_NS6detail17trampoline_kernelINS0_14default_configENS1_38merge_sort_block_merge_config_selectorIxNS0_10empty_typeEEEZZNS1_27merge_sort_block_merge_implIS3_N6thrust23THRUST_200600_302600_NS6detail15normal_iteratorINS9_10device_ptrIxEEEEPS5_m11less_div_10IxEEE10hipError_tT0_T1_T2_jT3_P12ihipStream_tbPNSt15iterator_traitsISJ_E10value_typeEPNSP_ISK_E10value_typeEPSL_NS1_7vsmem_tEENKUlT_SJ_SK_SL_E_clIPxSE_SF_SF_EESI_SY_SJ_SK_SL_EUlSY_E_NS1_11comp_targetILNS1_3genE5ELNS1_11target_archE942ELNS1_3gpuE9ELNS1_3repE0EEENS1_48merge_mergepath_partition_config_static_selectorELNS0_4arch9wavefront6targetE0EEEvSK_.uses_flat_scratch, 0
	.set _ZN7rocprim17ROCPRIM_400000_NS6detail17trampoline_kernelINS0_14default_configENS1_38merge_sort_block_merge_config_selectorIxNS0_10empty_typeEEEZZNS1_27merge_sort_block_merge_implIS3_N6thrust23THRUST_200600_302600_NS6detail15normal_iteratorINS9_10device_ptrIxEEEEPS5_m11less_div_10IxEEE10hipError_tT0_T1_T2_jT3_P12ihipStream_tbPNSt15iterator_traitsISJ_E10value_typeEPNSP_ISK_E10value_typeEPSL_NS1_7vsmem_tEENKUlT_SJ_SK_SL_E_clIPxSE_SF_SF_EESI_SY_SJ_SK_SL_EUlSY_E_NS1_11comp_targetILNS1_3genE5ELNS1_11target_archE942ELNS1_3gpuE9ELNS1_3repE0EEENS1_48merge_mergepath_partition_config_static_selectorELNS0_4arch9wavefront6targetE0EEEvSK_.has_dyn_sized_stack, 0
	.set _ZN7rocprim17ROCPRIM_400000_NS6detail17trampoline_kernelINS0_14default_configENS1_38merge_sort_block_merge_config_selectorIxNS0_10empty_typeEEEZZNS1_27merge_sort_block_merge_implIS3_N6thrust23THRUST_200600_302600_NS6detail15normal_iteratorINS9_10device_ptrIxEEEEPS5_m11less_div_10IxEEE10hipError_tT0_T1_T2_jT3_P12ihipStream_tbPNSt15iterator_traitsISJ_E10value_typeEPNSP_ISK_E10value_typeEPSL_NS1_7vsmem_tEENKUlT_SJ_SK_SL_E_clIPxSE_SF_SF_EESI_SY_SJ_SK_SL_EUlSY_E_NS1_11comp_targetILNS1_3genE5ELNS1_11target_archE942ELNS1_3gpuE9ELNS1_3repE0EEENS1_48merge_mergepath_partition_config_static_selectorELNS0_4arch9wavefront6targetE0EEEvSK_.has_recursion, 0
	.set _ZN7rocprim17ROCPRIM_400000_NS6detail17trampoline_kernelINS0_14default_configENS1_38merge_sort_block_merge_config_selectorIxNS0_10empty_typeEEEZZNS1_27merge_sort_block_merge_implIS3_N6thrust23THRUST_200600_302600_NS6detail15normal_iteratorINS9_10device_ptrIxEEEEPS5_m11less_div_10IxEEE10hipError_tT0_T1_T2_jT3_P12ihipStream_tbPNSt15iterator_traitsISJ_E10value_typeEPNSP_ISK_E10value_typeEPSL_NS1_7vsmem_tEENKUlT_SJ_SK_SL_E_clIPxSE_SF_SF_EESI_SY_SJ_SK_SL_EUlSY_E_NS1_11comp_targetILNS1_3genE5ELNS1_11target_archE942ELNS1_3gpuE9ELNS1_3repE0EEENS1_48merge_mergepath_partition_config_static_selectorELNS0_4arch9wavefront6targetE0EEEvSK_.has_indirect_call, 0
	.section	.AMDGPU.csdata,"",@progbits
; Kernel info:
; codeLenInByte = 0
; TotalNumSgprs: 0
; NumVgprs: 0
; ScratchSize: 0
; MemoryBound: 0
; FloatMode: 240
; IeeeMode: 1
; LDSByteSize: 0 bytes/workgroup (compile time only)
; SGPRBlocks: 0
; VGPRBlocks: 0
; NumSGPRsForWavesPerEU: 1
; NumVGPRsForWavesPerEU: 1
; Occupancy: 16
; WaveLimiterHint : 0
; COMPUTE_PGM_RSRC2:SCRATCH_EN: 0
; COMPUTE_PGM_RSRC2:USER_SGPR: 6
; COMPUTE_PGM_RSRC2:TRAP_HANDLER: 0
; COMPUTE_PGM_RSRC2:TGID_X_EN: 1
; COMPUTE_PGM_RSRC2:TGID_Y_EN: 0
; COMPUTE_PGM_RSRC2:TGID_Z_EN: 0
; COMPUTE_PGM_RSRC2:TIDIG_COMP_CNT: 0
	.section	.text._ZN7rocprim17ROCPRIM_400000_NS6detail17trampoline_kernelINS0_14default_configENS1_38merge_sort_block_merge_config_selectorIxNS0_10empty_typeEEEZZNS1_27merge_sort_block_merge_implIS3_N6thrust23THRUST_200600_302600_NS6detail15normal_iteratorINS9_10device_ptrIxEEEEPS5_m11less_div_10IxEEE10hipError_tT0_T1_T2_jT3_P12ihipStream_tbPNSt15iterator_traitsISJ_E10value_typeEPNSP_ISK_E10value_typeEPSL_NS1_7vsmem_tEENKUlT_SJ_SK_SL_E_clIPxSE_SF_SF_EESI_SY_SJ_SK_SL_EUlSY_E_NS1_11comp_targetILNS1_3genE4ELNS1_11target_archE910ELNS1_3gpuE8ELNS1_3repE0EEENS1_48merge_mergepath_partition_config_static_selectorELNS0_4arch9wavefront6targetE0EEEvSK_,"axG",@progbits,_ZN7rocprim17ROCPRIM_400000_NS6detail17trampoline_kernelINS0_14default_configENS1_38merge_sort_block_merge_config_selectorIxNS0_10empty_typeEEEZZNS1_27merge_sort_block_merge_implIS3_N6thrust23THRUST_200600_302600_NS6detail15normal_iteratorINS9_10device_ptrIxEEEEPS5_m11less_div_10IxEEE10hipError_tT0_T1_T2_jT3_P12ihipStream_tbPNSt15iterator_traitsISJ_E10value_typeEPNSP_ISK_E10value_typeEPSL_NS1_7vsmem_tEENKUlT_SJ_SK_SL_E_clIPxSE_SF_SF_EESI_SY_SJ_SK_SL_EUlSY_E_NS1_11comp_targetILNS1_3genE4ELNS1_11target_archE910ELNS1_3gpuE8ELNS1_3repE0EEENS1_48merge_mergepath_partition_config_static_selectorELNS0_4arch9wavefront6targetE0EEEvSK_,comdat
	.protected	_ZN7rocprim17ROCPRIM_400000_NS6detail17trampoline_kernelINS0_14default_configENS1_38merge_sort_block_merge_config_selectorIxNS0_10empty_typeEEEZZNS1_27merge_sort_block_merge_implIS3_N6thrust23THRUST_200600_302600_NS6detail15normal_iteratorINS9_10device_ptrIxEEEEPS5_m11less_div_10IxEEE10hipError_tT0_T1_T2_jT3_P12ihipStream_tbPNSt15iterator_traitsISJ_E10value_typeEPNSP_ISK_E10value_typeEPSL_NS1_7vsmem_tEENKUlT_SJ_SK_SL_E_clIPxSE_SF_SF_EESI_SY_SJ_SK_SL_EUlSY_E_NS1_11comp_targetILNS1_3genE4ELNS1_11target_archE910ELNS1_3gpuE8ELNS1_3repE0EEENS1_48merge_mergepath_partition_config_static_selectorELNS0_4arch9wavefront6targetE0EEEvSK_ ; -- Begin function _ZN7rocprim17ROCPRIM_400000_NS6detail17trampoline_kernelINS0_14default_configENS1_38merge_sort_block_merge_config_selectorIxNS0_10empty_typeEEEZZNS1_27merge_sort_block_merge_implIS3_N6thrust23THRUST_200600_302600_NS6detail15normal_iteratorINS9_10device_ptrIxEEEEPS5_m11less_div_10IxEEE10hipError_tT0_T1_T2_jT3_P12ihipStream_tbPNSt15iterator_traitsISJ_E10value_typeEPNSP_ISK_E10value_typeEPSL_NS1_7vsmem_tEENKUlT_SJ_SK_SL_E_clIPxSE_SF_SF_EESI_SY_SJ_SK_SL_EUlSY_E_NS1_11comp_targetILNS1_3genE4ELNS1_11target_archE910ELNS1_3gpuE8ELNS1_3repE0EEENS1_48merge_mergepath_partition_config_static_selectorELNS0_4arch9wavefront6targetE0EEEvSK_
	.globl	_ZN7rocprim17ROCPRIM_400000_NS6detail17trampoline_kernelINS0_14default_configENS1_38merge_sort_block_merge_config_selectorIxNS0_10empty_typeEEEZZNS1_27merge_sort_block_merge_implIS3_N6thrust23THRUST_200600_302600_NS6detail15normal_iteratorINS9_10device_ptrIxEEEEPS5_m11less_div_10IxEEE10hipError_tT0_T1_T2_jT3_P12ihipStream_tbPNSt15iterator_traitsISJ_E10value_typeEPNSP_ISK_E10value_typeEPSL_NS1_7vsmem_tEENKUlT_SJ_SK_SL_E_clIPxSE_SF_SF_EESI_SY_SJ_SK_SL_EUlSY_E_NS1_11comp_targetILNS1_3genE4ELNS1_11target_archE910ELNS1_3gpuE8ELNS1_3repE0EEENS1_48merge_mergepath_partition_config_static_selectorELNS0_4arch9wavefront6targetE0EEEvSK_
	.p2align	8
	.type	_ZN7rocprim17ROCPRIM_400000_NS6detail17trampoline_kernelINS0_14default_configENS1_38merge_sort_block_merge_config_selectorIxNS0_10empty_typeEEEZZNS1_27merge_sort_block_merge_implIS3_N6thrust23THRUST_200600_302600_NS6detail15normal_iteratorINS9_10device_ptrIxEEEEPS5_m11less_div_10IxEEE10hipError_tT0_T1_T2_jT3_P12ihipStream_tbPNSt15iterator_traitsISJ_E10value_typeEPNSP_ISK_E10value_typeEPSL_NS1_7vsmem_tEENKUlT_SJ_SK_SL_E_clIPxSE_SF_SF_EESI_SY_SJ_SK_SL_EUlSY_E_NS1_11comp_targetILNS1_3genE4ELNS1_11target_archE910ELNS1_3gpuE8ELNS1_3repE0EEENS1_48merge_mergepath_partition_config_static_selectorELNS0_4arch9wavefront6targetE0EEEvSK_,@function
_ZN7rocprim17ROCPRIM_400000_NS6detail17trampoline_kernelINS0_14default_configENS1_38merge_sort_block_merge_config_selectorIxNS0_10empty_typeEEEZZNS1_27merge_sort_block_merge_implIS3_N6thrust23THRUST_200600_302600_NS6detail15normal_iteratorINS9_10device_ptrIxEEEEPS5_m11less_div_10IxEEE10hipError_tT0_T1_T2_jT3_P12ihipStream_tbPNSt15iterator_traitsISJ_E10value_typeEPNSP_ISK_E10value_typeEPSL_NS1_7vsmem_tEENKUlT_SJ_SK_SL_E_clIPxSE_SF_SF_EESI_SY_SJ_SK_SL_EUlSY_E_NS1_11comp_targetILNS1_3genE4ELNS1_11target_archE910ELNS1_3gpuE8ELNS1_3repE0EEENS1_48merge_mergepath_partition_config_static_selectorELNS0_4arch9wavefront6targetE0EEEvSK_: ; @_ZN7rocprim17ROCPRIM_400000_NS6detail17trampoline_kernelINS0_14default_configENS1_38merge_sort_block_merge_config_selectorIxNS0_10empty_typeEEEZZNS1_27merge_sort_block_merge_implIS3_N6thrust23THRUST_200600_302600_NS6detail15normal_iteratorINS9_10device_ptrIxEEEEPS5_m11less_div_10IxEEE10hipError_tT0_T1_T2_jT3_P12ihipStream_tbPNSt15iterator_traitsISJ_E10value_typeEPNSP_ISK_E10value_typeEPSL_NS1_7vsmem_tEENKUlT_SJ_SK_SL_E_clIPxSE_SF_SF_EESI_SY_SJ_SK_SL_EUlSY_E_NS1_11comp_targetILNS1_3genE4ELNS1_11target_archE910ELNS1_3gpuE8ELNS1_3repE0EEENS1_48merge_mergepath_partition_config_static_selectorELNS0_4arch9wavefront6targetE0EEEvSK_
; %bb.0:
	.section	.rodata,"a",@progbits
	.p2align	6, 0x0
	.amdhsa_kernel _ZN7rocprim17ROCPRIM_400000_NS6detail17trampoline_kernelINS0_14default_configENS1_38merge_sort_block_merge_config_selectorIxNS0_10empty_typeEEEZZNS1_27merge_sort_block_merge_implIS3_N6thrust23THRUST_200600_302600_NS6detail15normal_iteratorINS9_10device_ptrIxEEEEPS5_m11less_div_10IxEEE10hipError_tT0_T1_T2_jT3_P12ihipStream_tbPNSt15iterator_traitsISJ_E10value_typeEPNSP_ISK_E10value_typeEPSL_NS1_7vsmem_tEENKUlT_SJ_SK_SL_E_clIPxSE_SF_SF_EESI_SY_SJ_SK_SL_EUlSY_E_NS1_11comp_targetILNS1_3genE4ELNS1_11target_archE910ELNS1_3gpuE8ELNS1_3repE0EEENS1_48merge_mergepath_partition_config_static_selectorELNS0_4arch9wavefront6targetE0EEEvSK_
		.amdhsa_group_segment_fixed_size 0
		.amdhsa_private_segment_fixed_size 0
		.amdhsa_kernarg_size 48
		.amdhsa_user_sgpr_count 6
		.amdhsa_user_sgpr_private_segment_buffer 1
		.amdhsa_user_sgpr_dispatch_ptr 0
		.amdhsa_user_sgpr_queue_ptr 0
		.amdhsa_user_sgpr_kernarg_segment_ptr 1
		.amdhsa_user_sgpr_dispatch_id 0
		.amdhsa_user_sgpr_flat_scratch_init 0
		.amdhsa_user_sgpr_private_segment_size 0
		.amdhsa_wavefront_size32 1
		.amdhsa_uses_dynamic_stack 0
		.amdhsa_system_sgpr_private_segment_wavefront_offset 0
		.amdhsa_system_sgpr_workgroup_id_x 1
		.amdhsa_system_sgpr_workgroup_id_y 0
		.amdhsa_system_sgpr_workgroup_id_z 0
		.amdhsa_system_sgpr_workgroup_info 0
		.amdhsa_system_vgpr_workitem_id 0
		.amdhsa_next_free_vgpr 1
		.amdhsa_next_free_sgpr 1
		.amdhsa_reserve_vcc 0
		.amdhsa_reserve_flat_scratch 0
		.amdhsa_float_round_mode_32 0
		.amdhsa_float_round_mode_16_64 0
		.amdhsa_float_denorm_mode_32 3
		.amdhsa_float_denorm_mode_16_64 3
		.amdhsa_dx10_clamp 1
		.amdhsa_ieee_mode 1
		.amdhsa_fp16_overflow 0
		.amdhsa_workgroup_processor_mode 1
		.amdhsa_memory_ordered 1
		.amdhsa_forward_progress 1
		.amdhsa_shared_vgpr_count 0
		.amdhsa_exception_fp_ieee_invalid_op 0
		.amdhsa_exception_fp_denorm_src 0
		.amdhsa_exception_fp_ieee_div_zero 0
		.amdhsa_exception_fp_ieee_overflow 0
		.amdhsa_exception_fp_ieee_underflow 0
		.amdhsa_exception_fp_ieee_inexact 0
		.amdhsa_exception_int_div_zero 0
	.end_amdhsa_kernel
	.section	.text._ZN7rocprim17ROCPRIM_400000_NS6detail17trampoline_kernelINS0_14default_configENS1_38merge_sort_block_merge_config_selectorIxNS0_10empty_typeEEEZZNS1_27merge_sort_block_merge_implIS3_N6thrust23THRUST_200600_302600_NS6detail15normal_iteratorINS9_10device_ptrIxEEEEPS5_m11less_div_10IxEEE10hipError_tT0_T1_T2_jT3_P12ihipStream_tbPNSt15iterator_traitsISJ_E10value_typeEPNSP_ISK_E10value_typeEPSL_NS1_7vsmem_tEENKUlT_SJ_SK_SL_E_clIPxSE_SF_SF_EESI_SY_SJ_SK_SL_EUlSY_E_NS1_11comp_targetILNS1_3genE4ELNS1_11target_archE910ELNS1_3gpuE8ELNS1_3repE0EEENS1_48merge_mergepath_partition_config_static_selectorELNS0_4arch9wavefront6targetE0EEEvSK_,"axG",@progbits,_ZN7rocprim17ROCPRIM_400000_NS6detail17trampoline_kernelINS0_14default_configENS1_38merge_sort_block_merge_config_selectorIxNS0_10empty_typeEEEZZNS1_27merge_sort_block_merge_implIS3_N6thrust23THRUST_200600_302600_NS6detail15normal_iteratorINS9_10device_ptrIxEEEEPS5_m11less_div_10IxEEE10hipError_tT0_T1_T2_jT3_P12ihipStream_tbPNSt15iterator_traitsISJ_E10value_typeEPNSP_ISK_E10value_typeEPSL_NS1_7vsmem_tEENKUlT_SJ_SK_SL_E_clIPxSE_SF_SF_EESI_SY_SJ_SK_SL_EUlSY_E_NS1_11comp_targetILNS1_3genE4ELNS1_11target_archE910ELNS1_3gpuE8ELNS1_3repE0EEENS1_48merge_mergepath_partition_config_static_selectorELNS0_4arch9wavefront6targetE0EEEvSK_,comdat
.Lfunc_end339:
	.size	_ZN7rocprim17ROCPRIM_400000_NS6detail17trampoline_kernelINS0_14default_configENS1_38merge_sort_block_merge_config_selectorIxNS0_10empty_typeEEEZZNS1_27merge_sort_block_merge_implIS3_N6thrust23THRUST_200600_302600_NS6detail15normal_iteratorINS9_10device_ptrIxEEEEPS5_m11less_div_10IxEEE10hipError_tT0_T1_T2_jT3_P12ihipStream_tbPNSt15iterator_traitsISJ_E10value_typeEPNSP_ISK_E10value_typeEPSL_NS1_7vsmem_tEENKUlT_SJ_SK_SL_E_clIPxSE_SF_SF_EESI_SY_SJ_SK_SL_EUlSY_E_NS1_11comp_targetILNS1_3genE4ELNS1_11target_archE910ELNS1_3gpuE8ELNS1_3repE0EEENS1_48merge_mergepath_partition_config_static_selectorELNS0_4arch9wavefront6targetE0EEEvSK_, .Lfunc_end339-_ZN7rocprim17ROCPRIM_400000_NS6detail17trampoline_kernelINS0_14default_configENS1_38merge_sort_block_merge_config_selectorIxNS0_10empty_typeEEEZZNS1_27merge_sort_block_merge_implIS3_N6thrust23THRUST_200600_302600_NS6detail15normal_iteratorINS9_10device_ptrIxEEEEPS5_m11less_div_10IxEEE10hipError_tT0_T1_T2_jT3_P12ihipStream_tbPNSt15iterator_traitsISJ_E10value_typeEPNSP_ISK_E10value_typeEPSL_NS1_7vsmem_tEENKUlT_SJ_SK_SL_E_clIPxSE_SF_SF_EESI_SY_SJ_SK_SL_EUlSY_E_NS1_11comp_targetILNS1_3genE4ELNS1_11target_archE910ELNS1_3gpuE8ELNS1_3repE0EEENS1_48merge_mergepath_partition_config_static_selectorELNS0_4arch9wavefront6targetE0EEEvSK_
                                        ; -- End function
	.set _ZN7rocprim17ROCPRIM_400000_NS6detail17trampoline_kernelINS0_14default_configENS1_38merge_sort_block_merge_config_selectorIxNS0_10empty_typeEEEZZNS1_27merge_sort_block_merge_implIS3_N6thrust23THRUST_200600_302600_NS6detail15normal_iteratorINS9_10device_ptrIxEEEEPS5_m11less_div_10IxEEE10hipError_tT0_T1_T2_jT3_P12ihipStream_tbPNSt15iterator_traitsISJ_E10value_typeEPNSP_ISK_E10value_typeEPSL_NS1_7vsmem_tEENKUlT_SJ_SK_SL_E_clIPxSE_SF_SF_EESI_SY_SJ_SK_SL_EUlSY_E_NS1_11comp_targetILNS1_3genE4ELNS1_11target_archE910ELNS1_3gpuE8ELNS1_3repE0EEENS1_48merge_mergepath_partition_config_static_selectorELNS0_4arch9wavefront6targetE0EEEvSK_.num_vgpr, 0
	.set _ZN7rocprim17ROCPRIM_400000_NS6detail17trampoline_kernelINS0_14default_configENS1_38merge_sort_block_merge_config_selectorIxNS0_10empty_typeEEEZZNS1_27merge_sort_block_merge_implIS3_N6thrust23THRUST_200600_302600_NS6detail15normal_iteratorINS9_10device_ptrIxEEEEPS5_m11less_div_10IxEEE10hipError_tT0_T1_T2_jT3_P12ihipStream_tbPNSt15iterator_traitsISJ_E10value_typeEPNSP_ISK_E10value_typeEPSL_NS1_7vsmem_tEENKUlT_SJ_SK_SL_E_clIPxSE_SF_SF_EESI_SY_SJ_SK_SL_EUlSY_E_NS1_11comp_targetILNS1_3genE4ELNS1_11target_archE910ELNS1_3gpuE8ELNS1_3repE0EEENS1_48merge_mergepath_partition_config_static_selectorELNS0_4arch9wavefront6targetE0EEEvSK_.num_agpr, 0
	.set _ZN7rocprim17ROCPRIM_400000_NS6detail17trampoline_kernelINS0_14default_configENS1_38merge_sort_block_merge_config_selectorIxNS0_10empty_typeEEEZZNS1_27merge_sort_block_merge_implIS3_N6thrust23THRUST_200600_302600_NS6detail15normal_iteratorINS9_10device_ptrIxEEEEPS5_m11less_div_10IxEEE10hipError_tT0_T1_T2_jT3_P12ihipStream_tbPNSt15iterator_traitsISJ_E10value_typeEPNSP_ISK_E10value_typeEPSL_NS1_7vsmem_tEENKUlT_SJ_SK_SL_E_clIPxSE_SF_SF_EESI_SY_SJ_SK_SL_EUlSY_E_NS1_11comp_targetILNS1_3genE4ELNS1_11target_archE910ELNS1_3gpuE8ELNS1_3repE0EEENS1_48merge_mergepath_partition_config_static_selectorELNS0_4arch9wavefront6targetE0EEEvSK_.numbered_sgpr, 0
	.set _ZN7rocprim17ROCPRIM_400000_NS6detail17trampoline_kernelINS0_14default_configENS1_38merge_sort_block_merge_config_selectorIxNS0_10empty_typeEEEZZNS1_27merge_sort_block_merge_implIS3_N6thrust23THRUST_200600_302600_NS6detail15normal_iteratorINS9_10device_ptrIxEEEEPS5_m11less_div_10IxEEE10hipError_tT0_T1_T2_jT3_P12ihipStream_tbPNSt15iterator_traitsISJ_E10value_typeEPNSP_ISK_E10value_typeEPSL_NS1_7vsmem_tEENKUlT_SJ_SK_SL_E_clIPxSE_SF_SF_EESI_SY_SJ_SK_SL_EUlSY_E_NS1_11comp_targetILNS1_3genE4ELNS1_11target_archE910ELNS1_3gpuE8ELNS1_3repE0EEENS1_48merge_mergepath_partition_config_static_selectorELNS0_4arch9wavefront6targetE0EEEvSK_.num_named_barrier, 0
	.set _ZN7rocprim17ROCPRIM_400000_NS6detail17trampoline_kernelINS0_14default_configENS1_38merge_sort_block_merge_config_selectorIxNS0_10empty_typeEEEZZNS1_27merge_sort_block_merge_implIS3_N6thrust23THRUST_200600_302600_NS6detail15normal_iteratorINS9_10device_ptrIxEEEEPS5_m11less_div_10IxEEE10hipError_tT0_T1_T2_jT3_P12ihipStream_tbPNSt15iterator_traitsISJ_E10value_typeEPNSP_ISK_E10value_typeEPSL_NS1_7vsmem_tEENKUlT_SJ_SK_SL_E_clIPxSE_SF_SF_EESI_SY_SJ_SK_SL_EUlSY_E_NS1_11comp_targetILNS1_3genE4ELNS1_11target_archE910ELNS1_3gpuE8ELNS1_3repE0EEENS1_48merge_mergepath_partition_config_static_selectorELNS0_4arch9wavefront6targetE0EEEvSK_.private_seg_size, 0
	.set _ZN7rocprim17ROCPRIM_400000_NS6detail17trampoline_kernelINS0_14default_configENS1_38merge_sort_block_merge_config_selectorIxNS0_10empty_typeEEEZZNS1_27merge_sort_block_merge_implIS3_N6thrust23THRUST_200600_302600_NS6detail15normal_iteratorINS9_10device_ptrIxEEEEPS5_m11less_div_10IxEEE10hipError_tT0_T1_T2_jT3_P12ihipStream_tbPNSt15iterator_traitsISJ_E10value_typeEPNSP_ISK_E10value_typeEPSL_NS1_7vsmem_tEENKUlT_SJ_SK_SL_E_clIPxSE_SF_SF_EESI_SY_SJ_SK_SL_EUlSY_E_NS1_11comp_targetILNS1_3genE4ELNS1_11target_archE910ELNS1_3gpuE8ELNS1_3repE0EEENS1_48merge_mergepath_partition_config_static_selectorELNS0_4arch9wavefront6targetE0EEEvSK_.uses_vcc, 0
	.set _ZN7rocprim17ROCPRIM_400000_NS6detail17trampoline_kernelINS0_14default_configENS1_38merge_sort_block_merge_config_selectorIxNS0_10empty_typeEEEZZNS1_27merge_sort_block_merge_implIS3_N6thrust23THRUST_200600_302600_NS6detail15normal_iteratorINS9_10device_ptrIxEEEEPS5_m11less_div_10IxEEE10hipError_tT0_T1_T2_jT3_P12ihipStream_tbPNSt15iterator_traitsISJ_E10value_typeEPNSP_ISK_E10value_typeEPSL_NS1_7vsmem_tEENKUlT_SJ_SK_SL_E_clIPxSE_SF_SF_EESI_SY_SJ_SK_SL_EUlSY_E_NS1_11comp_targetILNS1_3genE4ELNS1_11target_archE910ELNS1_3gpuE8ELNS1_3repE0EEENS1_48merge_mergepath_partition_config_static_selectorELNS0_4arch9wavefront6targetE0EEEvSK_.uses_flat_scratch, 0
	.set _ZN7rocprim17ROCPRIM_400000_NS6detail17trampoline_kernelINS0_14default_configENS1_38merge_sort_block_merge_config_selectorIxNS0_10empty_typeEEEZZNS1_27merge_sort_block_merge_implIS3_N6thrust23THRUST_200600_302600_NS6detail15normal_iteratorINS9_10device_ptrIxEEEEPS5_m11less_div_10IxEEE10hipError_tT0_T1_T2_jT3_P12ihipStream_tbPNSt15iterator_traitsISJ_E10value_typeEPNSP_ISK_E10value_typeEPSL_NS1_7vsmem_tEENKUlT_SJ_SK_SL_E_clIPxSE_SF_SF_EESI_SY_SJ_SK_SL_EUlSY_E_NS1_11comp_targetILNS1_3genE4ELNS1_11target_archE910ELNS1_3gpuE8ELNS1_3repE0EEENS1_48merge_mergepath_partition_config_static_selectorELNS0_4arch9wavefront6targetE0EEEvSK_.has_dyn_sized_stack, 0
	.set _ZN7rocprim17ROCPRIM_400000_NS6detail17trampoline_kernelINS0_14default_configENS1_38merge_sort_block_merge_config_selectorIxNS0_10empty_typeEEEZZNS1_27merge_sort_block_merge_implIS3_N6thrust23THRUST_200600_302600_NS6detail15normal_iteratorINS9_10device_ptrIxEEEEPS5_m11less_div_10IxEEE10hipError_tT0_T1_T2_jT3_P12ihipStream_tbPNSt15iterator_traitsISJ_E10value_typeEPNSP_ISK_E10value_typeEPSL_NS1_7vsmem_tEENKUlT_SJ_SK_SL_E_clIPxSE_SF_SF_EESI_SY_SJ_SK_SL_EUlSY_E_NS1_11comp_targetILNS1_3genE4ELNS1_11target_archE910ELNS1_3gpuE8ELNS1_3repE0EEENS1_48merge_mergepath_partition_config_static_selectorELNS0_4arch9wavefront6targetE0EEEvSK_.has_recursion, 0
	.set _ZN7rocprim17ROCPRIM_400000_NS6detail17trampoline_kernelINS0_14default_configENS1_38merge_sort_block_merge_config_selectorIxNS0_10empty_typeEEEZZNS1_27merge_sort_block_merge_implIS3_N6thrust23THRUST_200600_302600_NS6detail15normal_iteratorINS9_10device_ptrIxEEEEPS5_m11less_div_10IxEEE10hipError_tT0_T1_T2_jT3_P12ihipStream_tbPNSt15iterator_traitsISJ_E10value_typeEPNSP_ISK_E10value_typeEPSL_NS1_7vsmem_tEENKUlT_SJ_SK_SL_E_clIPxSE_SF_SF_EESI_SY_SJ_SK_SL_EUlSY_E_NS1_11comp_targetILNS1_3genE4ELNS1_11target_archE910ELNS1_3gpuE8ELNS1_3repE0EEENS1_48merge_mergepath_partition_config_static_selectorELNS0_4arch9wavefront6targetE0EEEvSK_.has_indirect_call, 0
	.section	.AMDGPU.csdata,"",@progbits
; Kernel info:
; codeLenInByte = 0
; TotalNumSgprs: 0
; NumVgprs: 0
; ScratchSize: 0
; MemoryBound: 0
; FloatMode: 240
; IeeeMode: 1
; LDSByteSize: 0 bytes/workgroup (compile time only)
; SGPRBlocks: 0
; VGPRBlocks: 0
; NumSGPRsForWavesPerEU: 1
; NumVGPRsForWavesPerEU: 1
; Occupancy: 16
; WaveLimiterHint : 0
; COMPUTE_PGM_RSRC2:SCRATCH_EN: 0
; COMPUTE_PGM_RSRC2:USER_SGPR: 6
; COMPUTE_PGM_RSRC2:TRAP_HANDLER: 0
; COMPUTE_PGM_RSRC2:TGID_X_EN: 1
; COMPUTE_PGM_RSRC2:TGID_Y_EN: 0
; COMPUTE_PGM_RSRC2:TGID_Z_EN: 0
; COMPUTE_PGM_RSRC2:TIDIG_COMP_CNT: 0
	.section	.text._ZN7rocprim17ROCPRIM_400000_NS6detail17trampoline_kernelINS0_14default_configENS1_38merge_sort_block_merge_config_selectorIxNS0_10empty_typeEEEZZNS1_27merge_sort_block_merge_implIS3_N6thrust23THRUST_200600_302600_NS6detail15normal_iteratorINS9_10device_ptrIxEEEEPS5_m11less_div_10IxEEE10hipError_tT0_T1_T2_jT3_P12ihipStream_tbPNSt15iterator_traitsISJ_E10value_typeEPNSP_ISK_E10value_typeEPSL_NS1_7vsmem_tEENKUlT_SJ_SK_SL_E_clIPxSE_SF_SF_EESI_SY_SJ_SK_SL_EUlSY_E_NS1_11comp_targetILNS1_3genE3ELNS1_11target_archE908ELNS1_3gpuE7ELNS1_3repE0EEENS1_48merge_mergepath_partition_config_static_selectorELNS0_4arch9wavefront6targetE0EEEvSK_,"axG",@progbits,_ZN7rocprim17ROCPRIM_400000_NS6detail17trampoline_kernelINS0_14default_configENS1_38merge_sort_block_merge_config_selectorIxNS0_10empty_typeEEEZZNS1_27merge_sort_block_merge_implIS3_N6thrust23THRUST_200600_302600_NS6detail15normal_iteratorINS9_10device_ptrIxEEEEPS5_m11less_div_10IxEEE10hipError_tT0_T1_T2_jT3_P12ihipStream_tbPNSt15iterator_traitsISJ_E10value_typeEPNSP_ISK_E10value_typeEPSL_NS1_7vsmem_tEENKUlT_SJ_SK_SL_E_clIPxSE_SF_SF_EESI_SY_SJ_SK_SL_EUlSY_E_NS1_11comp_targetILNS1_3genE3ELNS1_11target_archE908ELNS1_3gpuE7ELNS1_3repE0EEENS1_48merge_mergepath_partition_config_static_selectorELNS0_4arch9wavefront6targetE0EEEvSK_,comdat
	.protected	_ZN7rocprim17ROCPRIM_400000_NS6detail17trampoline_kernelINS0_14default_configENS1_38merge_sort_block_merge_config_selectorIxNS0_10empty_typeEEEZZNS1_27merge_sort_block_merge_implIS3_N6thrust23THRUST_200600_302600_NS6detail15normal_iteratorINS9_10device_ptrIxEEEEPS5_m11less_div_10IxEEE10hipError_tT0_T1_T2_jT3_P12ihipStream_tbPNSt15iterator_traitsISJ_E10value_typeEPNSP_ISK_E10value_typeEPSL_NS1_7vsmem_tEENKUlT_SJ_SK_SL_E_clIPxSE_SF_SF_EESI_SY_SJ_SK_SL_EUlSY_E_NS1_11comp_targetILNS1_3genE3ELNS1_11target_archE908ELNS1_3gpuE7ELNS1_3repE0EEENS1_48merge_mergepath_partition_config_static_selectorELNS0_4arch9wavefront6targetE0EEEvSK_ ; -- Begin function _ZN7rocprim17ROCPRIM_400000_NS6detail17trampoline_kernelINS0_14default_configENS1_38merge_sort_block_merge_config_selectorIxNS0_10empty_typeEEEZZNS1_27merge_sort_block_merge_implIS3_N6thrust23THRUST_200600_302600_NS6detail15normal_iteratorINS9_10device_ptrIxEEEEPS5_m11less_div_10IxEEE10hipError_tT0_T1_T2_jT3_P12ihipStream_tbPNSt15iterator_traitsISJ_E10value_typeEPNSP_ISK_E10value_typeEPSL_NS1_7vsmem_tEENKUlT_SJ_SK_SL_E_clIPxSE_SF_SF_EESI_SY_SJ_SK_SL_EUlSY_E_NS1_11comp_targetILNS1_3genE3ELNS1_11target_archE908ELNS1_3gpuE7ELNS1_3repE0EEENS1_48merge_mergepath_partition_config_static_selectorELNS0_4arch9wavefront6targetE0EEEvSK_
	.globl	_ZN7rocprim17ROCPRIM_400000_NS6detail17trampoline_kernelINS0_14default_configENS1_38merge_sort_block_merge_config_selectorIxNS0_10empty_typeEEEZZNS1_27merge_sort_block_merge_implIS3_N6thrust23THRUST_200600_302600_NS6detail15normal_iteratorINS9_10device_ptrIxEEEEPS5_m11less_div_10IxEEE10hipError_tT0_T1_T2_jT3_P12ihipStream_tbPNSt15iterator_traitsISJ_E10value_typeEPNSP_ISK_E10value_typeEPSL_NS1_7vsmem_tEENKUlT_SJ_SK_SL_E_clIPxSE_SF_SF_EESI_SY_SJ_SK_SL_EUlSY_E_NS1_11comp_targetILNS1_3genE3ELNS1_11target_archE908ELNS1_3gpuE7ELNS1_3repE0EEENS1_48merge_mergepath_partition_config_static_selectorELNS0_4arch9wavefront6targetE0EEEvSK_
	.p2align	8
	.type	_ZN7rocprim17ROCPRIM_400000_NS6detail17trampoline_kernelINS0_14default_configENS1_38merge_sort_block_merge_config_selectorIxNS0_10empty_typeEEEZZNS1_27merge_sort_block_merge_implIS3_N6thrust23THRUST_200600_302600_NS6detail15normal_iteratorINS9_10device_ptrIxEEEEPS5_m11less_div_10IxEEE10hipError_tT0_T1_T2_jT3_P12ihipStream_tbPNSt15iterator_traitsISJ_E10value_typeEPNSP_ISK_E10value_typeEPSL_NS1_7vsmem_tEENKUlT_SJ_SK_SL_E_clIPxSE_SF_SF_EESI_SY_SJ_SK_SL_EUlSY_E_NS1_11comp_targetILNS1_3genE3ELNS1_11target_archE908ELNS1_3gpuE7ELNS1_3repE0EEENS1_48merge_mergepath_partition_config_static_selectorELNS0_4arch9wavefront6targetE0EEEvSK_,@function
_ZN7rocprim17ROCPRIM_400000_NS6detail17trampoline_kernelINS0_14default_configENS1_38merge_sort_block_merge_config_selectorIxNS0_10empty_typeEEEZZNS1_27merge_sort_block_merge_implIS3_N6thrust23THRUST_200600_302600_NS6detail15normal_iteratorINS9_10device_ptrIxEEEEPS5_m11less_div_10IxEEE10hipError_tT0_T1_T2_jT3_P12ihipStream_tbPNSt15iterator_traitsISJ_E10value_typeEPNSP_ISK_E10value_typeEPSL_NS1_7vsmem_tEENKUlT_SJ_SK_SL_E_clIPxSE_SF_SF_EESI_SY_SJ_SK_SL_EUlSY_E_NS1_11comp_targetILNS1_3genE3ELNS1_11target_archE908ELNS1_3gpuE7ELNS1_3repE0EEENS1_48merge_mergepath_partition_config_static_selectorELNS0_4arch9wavefront6targetE0EEEvSK_: ; @_ZN7rocprim17ROCPRIM_400000_NS6detail17trampoline_kernelINS0_14default_configENS1_38merge_sort_block_merge_config_selectorIxNS0_10empty_typeEEEZZNS1_27merge_sort_block_merge_implIS3_N6thrust23THRUST_200600_302600_NS6detail15normal_iteratorINS9_10device_ptrIxEEEEPS5_m11less_div_10IxEEE10hipError_tT0_T1_T2_jT3_P12ihipStream_tbPNSt15iterator_traitsISJ_E10value_typeEPNSP_ISK_E10value_typeEPSL_NS1_7vsmem_tEENKUlT_SJ_SK_SL_E_clIPxSE_SF_SF_EESI_SY_SJ_SK_SL_EUlSY_E_NS1_11comp_targetILNS1_3genE3ELNS1_11target_archE908ELNS1_3gpuE7ELNS1_3repE0EEENS1_48merge_mergepath_partition_config_static_selectorELNS0_4arch9wavefront6targetE0EEEvSK_
; %bb.0:
	.section	.rodata,"a",@progbits
	.p2align	6, 0x0
	.amdhsa_kernel _ZN7rocprim17ROCPRIM_400000_NS6detail17trampoline_kernelINS0_14default_configENS1_38merge_sort_block_merge_config_selectorIxNS0_10empty_typeEEEZZNS1_27merge_sort_block_merge_implIS3_N6thrust23THRUST_200600_302600_NS6detail15normal_iteratorINS9_10device_ptrIxEEEEPS5_m11less_div_10IxEEE10hipError_tT0_T1_T2_jT3_P12ihipStream_tbPNSt15iterator_traitsISJ_E10value_typeEPNSP_ISK_E10value_typeEPSL_NS1_7vsmem_tEENKUlT_SJ_SK_SL_E_clIPxSE_SF_SF_EESI_SY_SJ_SK_SL_EUlSY_E_NS1_11comp_targetILNS1_3genE3ELNS1_11target_archE908ELNS1_3gpuE7ELNS1_3repE0EEENS1_48merge_mergepath_partition_config_static_selectorELNS0_4arch9wavefront6targetE0EEEvSK_
		.amdhsa_group_segment_fixed_size 0
		.amdhsa_private_segment_fixed_size 0
		.amdhsa_kernarg_size 48
		.amdhsa_user_sgpr_count 6
		.amdhsa_user_sgpr_private_segment_buffer 1
		.amdhsa_user_sgpr_dispatch_ptr 0
		.amdhsa_user_sgpr_queue_ptr 0
		.amdhsa_user_sgpr_kernarg_segment_ptr 1
		.amdhsa_user_sgpr_dispatch_id 0
		.amdhsa_user_sgpr_flat_scratch_init 0
		.amdhsa_user_sgpr_private_segment_size 0
		.amdhsa_wavefront_size32 1
		.amdhsa_uses_dynamic_stack 0
		.amdhsa_system_sgpr_private_segment_wavefront_offset 0
		.amdhsa_system_sgpr_workgroup_id_x 1
		.amdhsa_system_sgpr_workgroup_id_y 0
		.amdhsa_system_sgpr_workgroup_id_z 0
		.amdhsa_system_sgpr_workgroup_info 0
		.amdhsa_system_vgpr_workitem_id 0
		.amdhsa_next_free_vgpr 1
		.amdhsa_next_free_sgpr 1
		.amdhsa_reserve_vcc 0
		.amdhsa_reserve_flat_scratch 0
		.amdhsa_float_round_mode_32 0
		.amdhsa_float_round_mode_16_64 0
		.amdhsa_float_denorm_mode_32 3
		.amdhsa_float_denorm_mode_16_64 3
		.amdhsa_dx10_clamp 1
		.amdhsa_ieee_mode 1
		.amdhsa_fp16_overflow 0
		.amdhsa_workgroup_processor_mode 1
		.amdhsa_memory_ordered 1
		.amdhsa_forward_progress 1
		.amdhsa_shared_vgpr_count 0
		.amdhsa_exception_fp_ieee_invalid_op 0
		.amdhsa_exception_fp_denorm_src 0
		.amdhsa_exception_fp_ieee_div_zero 0
		.amdhsa_exception_fp_ieee_overflow 0
		.amdhsa_exception_fp_ieee_underflow 0
		.amdhsa_exception_fp_ieee_inexact 0
		.amdhsa_exception_int_div_zero 0
	.end_amdhsa_kernel
	.section	.text._ZN7rocprim17ROCPRIM_400000_NS6detail17trampoline_kernelINS0_14default_configENS1_38merge_sort_block_merge_config_selectorIxNS0_10empty_typeEEEZZNS1_27merge_sort_block_merge_implIS3_N6thrust23THRUST_200600_302600_NS6detail15normal_iteratorINS9_10device_ptrIxEEEEPS5_m11less_div_10IxEEE10hipError_tT0_T1_T2_jT3_P12ihipStream_tbPNSt15iterator_traitsISJ_E10value_typeEPNSP_ISK_E10value_typeEPSL_NS1_7vsmem_tEENKUlT_SJ_SK_SL_E_clIPxSE_SF_SF_EESI_SY_SJ_SK_SL_EUlSY_E_NS1_11comp_targetILNS1_3genE3ELNS1_11target_archE908ELNS1_3gpuE7ELNS1_3repE0EEENS1_48merge_mergepath_partition_config_static_selectorELNS0_4arch9wavefront6targetE0EEEvSK_,"axG",@progbits,_ZN7rocprim17ROCPRIM_400000_NS6detail17trampoline_kernelINS0_14default_configENS1_38merge_sort_block_merge_config_selectorIxNS0_10empty_typeEEEZZNS1_27merge_sort_block_merge_implIS3_N6thrust23THRUST_200600_302600_NS6detail15normal_iteratorINS9_10device_ptrIxEEEEPS5_m11less_div_10IxEEE10hipError_tT0_T1_T2_jT3_P12ihipStream_tbPNSt15iterator_traitsISJ_E10value_typeEPNSP_ISK_E10value_typeEPSL_NS1_7vsmem_tEENKUlT_SJ_SK_SL_E_clIPxSE_SF_SF_EESI_SY_SJ_SK_SL_EUlSY_E_NS1_11comp_targetILNS1_3genE3ELNS1_11target_archE908ELNS1_3gpuE7ELNS1_3repE0EEENS1_48merge_mergepath_partition_config_static_selectorELNS0_4arch9wavefront6targetE0EEEvSK_,comdat
.Lfunc_end340:
	.size	_ZN7rocprim17ROCPRIM_400000_NS6detail17trampoline_kernelINS0_14default_configENS1_38merge_sort_block_merge_config_selectorIxNS0_10empty_typeEEEZZNS1_27merge_sort_block_merge_implIS3_N6thrust23THRUST_200600_302600_NS6detail15normal_iteratorINS9_10device_ptrIxEEEEPS5_m11less_div_10IxEEE10hipError_tT0_T1_T2_jT3_P12ihipStream_tbPNSt15iterator_traitsISJ_E10value_typeEPNSP_ISK_E10value_typeEPSL_NS1_7vsmem_tEENKUlT_SJ_SK_SL_E_clIPxSE_SF_SF_EESI_SY_SJ_SK_SL_EUlSY_E_NS1_11comp_targetILNS1_3genE3ELNS1_11target_archE908ELNS1_3gpuE7ELNS1_3repE0EEENS1_48merge_mergepath_partition_config_static_selectorELNS0_4arch9wavefront6targetE0EEEvSK_, .Lfunc_end340-_ZN7rocprim17ROCPRIM_400000_NS6detail17trampoline_kernelINS0_14default_configENS1_38merge_sort_block_merge_config_selectorIxNS0_10empty_typeEEEZZNS1_27merge_sort_block_merge_implIS3_N6thrust23THRUST_200600_302600_NS6detail15normal_iteratorINS9_10device_ptrIxEEEEPS5_m11less_div_10IxEEE10hipError_tT0_T1_T2_jT3_P12ihipStream_tbPNSt15iterator_traitsISJ_E10value_typeEPNSP_ISK_E10value_typeEPSL_NS1_7vsmem_tEENKUlT_SJ_SK_SL_E_clIPxSE_SF_SF_EESI_SY_SJ_SK_SL_EUlSY_E_NS1_11comp_targetILNS1_3genE3ELNS1_11target_archE908ELNS1_3gpuE7ELNS1_3repE0EEENS1_48merge_mergepath_partition_config_static_selectorELNS0_4arch9wavefront6targetE0EEEvSK_
                                        ; -- End function
	.set _ZN7rocprim17ROCPRIM_400000_NS6detail17trampoline_kernelINS0_14default_configENS1_38merge_sort_block_merge_config_selectorIxNS0_10empty_typeEEEZZNS1_27merge_sort_block_merge_implIS3_N6thrust23THRUST_200600_302600_NS6detail15normal_iteratorINS9_10device_ptrIxEEEEPS5_m11less_div_10IxEEE10hipError_tT0_T1_T2_jT3_P12ihipStream_tbPNSt15iterator_traitsISJ_E10value_typeEPNSP_ISK_E10value_typeEPSL_NS1_7vsmem_tEENKUlT_SJ_SK_SL_E_clIPxSE_SF_SF_EESI_SY_SJ_SK_SL_EUlSY_E_NS1_11comp_targetILNS1_3genE3ELNS1_11target_archE908ELNS1_3gpuE7ELNS1_3repE0EEENS1_48merge_mergepath_partition_config_static_selectorELNS0_4arch9wavefront6targetE0EEEvSK_.num_vgpr, 0
	.set _ZN7rocprim17ROCPRIM_400000_NS6detail17trampoline_kernelINS0_14default_configENS1_38merge_sort_block_merge_config_selectorIxNS0_10empty_typeEEEZZNS1_27merge_sort_block_merge_implIS3_N6thrust23THRUST_200600_302600_NS6detail15normal_iteratorINS9_10device_ptrIxEEEEPS5_m11less_div_10IxEEE10hipError_tT0_T1_T2_jT3_P12ihipStream_tbPNSt15iterator_traitsISJ_E10value_typeEPNSP_ISK_E10value_typeEPSL_NS1_7vsmem_tEENKUlT_SJ_SK_SL_E_clIPxSE_SF_SF_EESI_SY_SJ_SK_SL_EUlSY_E_NS1_11comp_targetILNS1_3genE3ELNS1_11target_archE908ELNS1_3gpuE7ELNS1_3repE0EEENS1_48merge_mergepath_partition_config_static_selectorELNS0_4arch9wavefront6targetE0EEEvSK_.num_agpr, 0
	.set _ZN7rocprim17ROCPRIM_400000_NS6detail17trampoline_kernelINS0_14default_configENS1_38merge_sort_block_merge_config_selectorIxNS0_10empty_typeEEEZZNS1_27merge_sort_block_merge_implIS3_N6thrust23THRUST_200600_302600_NS6detail15normal_iteratorINS9_10device_ptrIxEEEEPS5_m11less_div_10IxEEE10hipError_tT0_T1_T2_jT3_P12ihipStream_tbPNSt15iterator_traitsISJ_E10value_typeEPNSP_ISK_E10value_typeEPSL_NS1_7vsmem_tEENKUlT_SJ_SK_SL_E_clIPxSE_SF_SF_EESI_SY_SJ_SK_SL_EUlSY_E_NS1_11comp_targetILNS1_3genE3ELNS1_11target_archE908ELNS1_3gpuE7ELNS1_3repE0EEENS1_48merge_mergepath_partition_config_static_selectorELNS0_4arch9wavefront6targetE0EEEvSK_.numbered_sgpr, 0
	.set _ZN7rocprim17ROCPRIM_400000_NS6detail17trampoline_kernelINS0_14default_configENS1_38merge_sort_block_merge_config_selectorIxNS0_10empty_typeEEEZZNS1_27merge_sort_block_merge_implIS3_N6thrust23THRUST_200600_302600_NS6detail15normal_iteratorINS9_10device_ptrIxEEEEPS5_m11less_div_10IxEEE10hipError_tT0_T1_T2_jT3_P12ihipStream_tbPNSt15iterator_traitsISJ_E10value_typeEPNSP_ISK_E10value_typeEPSL_NS1_7vsmem_tEENKUlT_SJ_SK_SL_E_clIPxSE_SF_SF_EESI_SY_SJ_SK_SL_EUlSY_E_NS1_11comp_targetILNS1_3genE3ELNS1_11target_archE908ELNS1_3gpuE7ELNS1_3repE0EEENS1_48merge_mergepath_partition_config_static_selectorELNS0_4arch9wavefront6targetE0EEEvSK_.num_named_barrier, 0
	.set _ZN7rocprim17ROCPRIM_400000_NS6detail17trampoline_kernelINS0_14default_configENS1_38merge_sort_block_merge_config_selectorIxNS0_10empty_typeEEEZZNS1_27merge_sort_block_merge_implIS3_N6thrust23THRUST_200600_302600_NS6detail15normal_iteratorINS9_10device_ptrIxEEEEPS5_m11less_div_10IxEEE10hipError_tT0_T1_T2_jT3_P12ihipStream_tbPNSt15iterator_traitsISJ_E10value_typeEPNSP_ISK_E10value_typeEPSL_NS1_7vsmem_tEENKUlT_SJ_SK_SL_E_clIPxSE_SF_SF_EESI_SY_SJ_SK_SL_EUlSY_E_NS1_11comp_targetILNS1_3genE3ELNS1_11target_archE908ELNS1_3gpuE7ELNS1_3repE0EEENS1_48merge_mergepath_partition_config_static_selectorELNS0_4arch9wavefront6targetE0EEEvSK_.private_seg_size, 0
	.set _ZN7rocprim17ROCPRIM_400000_NS6detail17trampoline_kernelINS0_14default_configENS1_38merge_sort_block_merge_config_selectorIxNS0_10empty_typeEEEZZNS1_27merge_sort_block_merge_implIS3_N6thrust23THRUST_200600_302600_NS6detail15normal_iteratorINS9_10device_ptrIxEEEEPS5_m11less_div_10IxEEE10hipError_tT0_T1_T2_jT3_P12ihipStream_tbPNSt15iterator_traitsISJ_E10value_typeEPNSP_ISK_E10value_typeEPSL_NS1_7vsmem_tEENKUlT_SJ_SK_SL_E_clIPxSE_SF_SF_EESI_SY_SJ_SK_SL_EUlSY_E_NS1_11comp_targetILNS1_3genE3ELNS1_11target_archE908ELNS1_3gpuE7ELNS1_3repE0EEENS1_48merge_mergepath_partition_config_static_selectorELNS0_4arch9wavefront6targetE0EEEvSK_.uses_vcc, 0
	.set _ZN7rocprim17ROCPRIM_400000_NS6detail17trampoline_kernelINS0_14default_configENS1_38merge_sort_block_merge_config_selectorIxNS0_10empty_typeEEEZZNS1_27merge_sort_block_merge_implIS3_N6thrust23THRUST_200600_302600_NS6detail15normal_iteratorINS9_10device_ptrIxEEEEPS5_m11less_div_10IxEEE10hipError_tT0_T1_T2_jT3_P12ihipStream_tbPNSt15iterator_traitsISJ_E10value_typeEPNSP_ISK_E10value_typeEPSL_NS1_7vsmem_tEENKUlT_SJ_SK_SL_E_clIPxSE_SF_SF_EESI_SY_SJ_SK_SL_EUlSY_E_NS1_11comp_targetILNS1_3genE3ELNS1_11target_archE908ELNS1_3gpuE7ELNS1_3repE0EEENS1_48merge_mergepath_partition_config_static_selectorELNS0_4arch9wavefront6targetE0EEEvSK_.uses_flat_scratch, 0
	.set _ZN7rocprim17ROCPRIM_400000_NS6detail17trampoline_kernelINS0_14default_configENS1_38merge_sort_block_merge_config_selectorIxNS0_10empty_typeEEEZZNS1_27merge_sort_block_merge_implIS3_N6thrust23THRUST_200600_302600_NS6detail15normal_iteratorINS9_10device_ptrIxEEEEPS5_m11less_div_10IxEEE10hipError_tT0_T1_T2_jT3_P12ihipStream_tbPNSt15iterator_traitsISJ_E10value_typeEPNSP_ISK_E10value_typeEPSL_NS1_7vsmem_tEENKUlT_SJ_SK_SL_E_clIPxSE_SF_SF_EESI_SY_SJ_SK_SL_EUlSY_E_NS1_11comp_targetILNS1_3genE3ELNS1_11target_archE908ELNS1_3gpuE7ELNS1_3repE0EEENS1_48merge_mergepath_partition_config_static_selectorELNS0_4arch9wavefront6targetE0EEEvSK_.has_dyn_sized_stack, 0
	.set _ZN7rocprim17ROCPRIM_400000_NS6detail17trampoline_kernelINS0_14default_configENS1_38merge_sort_block_merge_config_selectorIxNS0_10empty_typeEEEZZNS1_27merge_sort_block_merge_implIS3_N6thrust23THRUST_200600_302600_NS6detail15normal_iteratorINS9_10device_ptrIxEEEEPS5_m11less_div_10IxEEE10hipError_tT0_T1_T2_jT3_P12ihipStream_tbPNSt15iterator_traitsISJ_E10value_typeEPNSP_ISK_E10value_typeEPSL_NS1_7vsmem_tEENKUlT_SJ_SK_SL_E_clIPxSE_SF_SF_EESI_SY_SJ_SK_SL_EUlSY_E_NS1_11comp_targetILNS1_3genE3ELNS1_11target_archE908ELNS1_3gpuE7ELNS1_3repE0EEENS1_48merge_mergepath_partition_config_static_selectorELNS0_4arch9wavefront6targetE0EEEvSK_.has_recursion, 0
	.set _ZN7rocprim17ROCPRIM_400000_NS6detail17trampoline_kernelINS0_14default_configENS1_38merge_sort_block_merge_config_selectorIxNS0_10empty_typeEEEZZNS1_27merge_sort_block_merge_implIS3_N6thrust23THRUST_200600_302600_NS6detail15normal_iteratorINS9_10device_ptrIxEEEEPS5_m11less_div_10IxEEE10hipError_tT0_T1_T2_jT3_P12ihipStream_tbPNSt15iterator_traitsISJ_E10value_typeEPNSP_ISK_E10value_typeEPSL_NS1_7vsmem_tEENKUlT_SJ_SK_SL_E_clIPxSE_SF_SF_EESI_SY_SJ_SK_SL_EUlSY_E_NS1_11comp_targetILNS1_3genE3ELNS1_11target_archE908ELNS1_3gpuE7ELNS1_3repE0EEENS1_48merge_mergepath_partition_config_static_selectorELNS0_4arch9wavefront6targetE0EEEvSK_.has_indirect_call, 0
	.section	.AMDGPU.csdata,"",@progbits
; Kernel info:
; codeLenInByte = 0
; TotalNumSgprs: 0
; NumVgprs: 0
; ScratchSize: 0
; MemoryBound: 0
; FloatMode: 240
; IeeeMode: 1
; LDSByteSize: 0 bytes/workgroup (compile time only)
; SGPRBlocks: 0
; VGPRBlocks: 0
; NumSGPRsForWavesPerEU: 1
; NumVGPRsForWavesPerEU: 1
; Occupancy: 16
; WaveLimiterHint : 0
; COMPUTE_PGM_RSRC2:SCRATCH_EN: 0
; COMPUTE_PGM_RSRC2:USER_SGPR: 6
; COMPUTE_PGM_RSRC2:TRAP_HANDLER: 0
; COMPUTE_PGM_RSRC2:TGID_X_EN: 1
; COMPUTE_PGM_RSRC2:TGID_Y_EN: 0
; COMPUTE_PGM_RSRC2:TGID_Z_EN: 0
; COMPUTE_PGM_RSRC2:TIDIG_COMP_CNT: 0
	.section	.text._ZN7rocprim17ROCPRIM_400000_NS6detail17trampoline_kernelINS0_14default_configENS1_38merge_sort_block_merge_config_selectorIxNS0_10empty_typeEEEZZNS1_27merge_sort_block_merge_implIS3_N6thrust23THRUST_200600_302600_NS6detail15normal_iteratorINS9_10device_ptrIxEEEEPS5_m11less_div_10IxEEE10hipError_tT0_T1_T2_jT3_P12ihipStream_tbPNSt15iterator_traitsISJ_E10value_typeEPNSP_ISK_E10value_typeEPSL_NS1_7vsmem_tEENKUlT_SJ_SK_SL_E_clIPxSE_SF_SF_EESI_SY_SJ_SK_SL_EUlSY_E_NS1_11comp_targetILNS1_3genE2ELNS1_11target_archE906ELNS1_3gpuE6ELNS1_3repE0EEENS1_48merge_mergepath_partition_config_static_selectorELNS0_4arch9wavefront6targetE0EEEvSK_,"axG",@progbits,_ZN7rocprim17ROCPRIM_400000_NS6detail17trampoline_kernelINS0_14default_configENS1_38merge_sort_block_merge_config_selectorIxNS0_10empty_typeEEEZZNS1_27merge_sort_block_merge_implIS3_N6thrust23THRUST_200600_302600_NS6detail15normal_iteratorINS9_10device_ptrIxEEEEPS5_m11less_div_10IxEEE10hipError_tT0_T1_T2_jT3_P12ihipStream_tbPNSt15iterator_traitsISJ_E10value_typeEPNSP_ISK_E10value_typeEPSL_NS1_7vsmem_tEENKUlT_SJ_SK_SL_E_clIPxSE_SF_SF_EESI_SY_SJ_SK_SL_EUlSY_E_NS1_11comp_targetILNS1_3genE2ELNS1_11target_archE906ELNS1_3gpuE6ELNS1_3repE0EEENS1_48merge_mergepath_partition_config_static_selectorELNS0_4arch9wavefront6targetE0EEEvSK_,comdat
	.protected	_ZN7rocprim17ROCPRIM_400000_NS6detail17trampoline_kernelINS0_14default_configENS1_38merge_sort_block_merge_config_selectorIxNS0_10empty_typeEEEZZNS1_27merge_sort_block_merge_implIS3_N6thrust23THRUST_200600_302600_NS6detail15normal_iteratorINS9_10device_ptrIxEEEEPS5_m11less_div_10IxEEE10hipError_tT0_T1_T2_jT3_P12ihipStream_tbPNSt15iterator_traitsISJ_E10value_typeEPNSP_ISK_E10value_typeEPSL_NS1_7vsmem_tEENKUlT_SJ_SK_SL_E_clIPxSE_SF_SF_EESI_SY_SJ_SK_SL_EUlSY_E_NS1_11comp_targetILNS1_3genE2ELNS1_11target_archE906ELNS1_3gpuE6ELNS1_3repE0EEENS1_48merge_mergepath_partition_config_static_selectorELNS0_4arch9wavefront6targetE0EEEvSK_ ; -- Begin function _ZN7rocprim17ROCPRIM_400000_NS6detail17trampoline_kernelINS0_14default_configENS1_38merge_sort_block_merge_config_selectorIxNS0_10empty_typeEEEZZNS1_27merge_sort_block_merge_implIS3_N6thrust23THRUST_200600_302600_NS6detail15normal_iteratorINS9_10device_ptrIxEEEEPS5_m11less_div_10IxEEE10hipError_tT0_T1_T2_jT3_P12ihipStream_tbPNSt15iterator_traitsISJ_E10value_typeEPNSP_ISK_E10value_typeEPSL_NS1_7vsmem_tEENKUlT_SJ_SK_SL_E_clIPxSE_SF_SF_EESI_SY_SJ_SK_SL_EUlSY_E_NS1_11comp_targetILNS1_3genE2ELNS1_11target_archE906ELNS1_3gpuE6ELNS1_3repE0EEENS1_48merge_mergepath_partition_config_static_selectorELNS0_4arch9wavefront6targetE0EEEvSK_
	.globl	_ZN7rocprim17ROCPRIM_400000_NS6detail17trampoline_kernelINS0_14default_configENS1_38merge_sort_block_merge_config_selectorIxNS0_10empty_typeEEEZZNS1_27merge_sort_block_merge_implIS3_N6thrust23THRUST_200600_302600_NS6detail15normal_iteratorINS9_10device_ptrIxEEEEPS5_m11less_div_10IxEEE10hipError_tT0_T1_T2_jT3_P12ihipStream_tbPNSt15iterator_traitsISJ_E10value_typeEPNSP_ISK_E10value_typeEPSL_NS1_7vsmem_tEENKUlT_SJ_SK_SL_E_clIPxSE_SF_SF_EESI_SY_SJ_SK_SL_EUlSY_E_NS1_11comp_targetILNS1_3genE2ELNS1_11target_archE906ELNS1_3gpuE6ELNS1_3repE0EEENS1_48merge_mergepath_partition_config_static_selectorELNS0_4arch9wavefront6targetE0EEEvSK_
	.p2align	8
	.type	_ZN7rocprim17ROCPRIM_400000_NS6detail17trampoline_kernelINS0_14default_configENS1_38merge_sort_block_merge_config_selectorIxNS0_10empty_typeEEEZZNS1_27merge_sort_block_merge_implIS3_N6thrust23THRUST_200600_302600_NS6detail15normal_iteratorINS9_10device_ptrIxEEEEPS5_m11less_div_10IxEEE10hipError_tT0_T1_T2_jT3_P12ihipStream_tbPNSt15iterator_traitsISJ_E10value_typeEPNSP_ISK_E10value_typeEPSL_NS1_7vsmem_tEENKUlT_SJ_SK_SL_E_clIPxSE_SF_SF_EESI_SY_SJ_SK_SL_EUlSY_E_NS1_11comp_targetILNS1_3genE2ELNS1_11target_archE906ELNS1_3gpuE6ELNS1_3repE0EEENS1_48merge_mergepath_partition_config_static_selectorELNS0_4arch9wavefront6targetE0EEEvSK_,@function
_ZN7rocprim17ROCPRIM_400000_NS6detail17trampoline_kernelINS0_14default_configENS1_38merge_sort_block_merge_config_selectorIxNS0_10empty_typeEEEZZNS1_27merge_sort_block_merge_implIS3_N6thrust23THRUST_200600_302600_NS6detail15normal_iteratorINS9_10device_ptrIxEEEEPS5_m11less_div_10IxEEE10hipError_tT0_T1_T2_jT3_P12ihipStream_tbPNSt15iterator_traitsISJ_E10value_typeEPNSP_ISK_E10value_typeEPSL_NS1_7vsmem_tEENKUlT_SJ_SK_SL_E_clIPxSE_SF_SF_EESI_SY_SJ_SK_SL_EUlSY_E_NS1_11comp_targetILNS1_3genE2ELNS1_11target_archE906ELNS1_3gpuE6ELNS1_3repE0EEENS1_48merge_mergepath_partition_config_static_selectorELNS0_4arch9wavefront6targetE0EEEvSK_: ; @_ZN7rocprim17ROCPRIM_400000_NS6detail17trampoline_kernelINS0_14default_configENS1_38merge_sort_block_merge_config_selectorIxNS0_10empty_typeEEEZZNS1_27merge_sort_block_merge_implIS3_N6thrust23THRUST_200600_302600_NS6detail15normal_iteratorINS9_10device_ptrIxEEEEPS5_m11less_div_10IxEEE10hipError_tT0_T1_T2_jT3_P12ihipStream_tbPNSt15iterator_traitsISJ_E10value_typeEPNSP_ISK_E10value_typeEPSL_NS1_7vsmem_tEENKUlT_SJ_SK_SL_E_clIPxSE_SF_SF_EESI_SY_SJ_SK_SL_EUlSY_E_NS1_11comp_targetILNS1_3genE2ELNS1_11target_archE906ELNS1_3gpuE6ELNS1_3repE0EEENS1_48merge_mergepath_partition_config_static_selectorELNS0_4arch9wavefront6targetE0EEEvSK_
; %bb.0:
	.section	.rodata,"a",@progbits
	.p2align	6, 0x0
	.amdhsa_kernel _ZN7rocprim17ROCPRIM_400000_NS6detail17trampoline_kernelINS0_14default_configENS1_38merge_sort_block_merge_config_selectorIxNS0_10empty_typeEEEZZNS1_27merge_sort_block_merge_implIS3_N6thrust23THRUST_200600_302600_NS6detail15normal_iteratorINS9_10device_ptrIxEEEEPS5_m11less_div_10IxEEE10hipError_tT0_T1_T2_jT3_P12ihipStream_tbPNSt15iterator_traitsISJ_E10value_typeEPNSP_ISK_E10value_typeEPSL_NS1_7vsmem_tEENKUlT_SJ_SK_SL_E_clIPxSE_SF_SF_EESI_SY_SJ_SK_SL_EUlSY_E_NS1_11comp_targetILNS1_3genE2ELNS1_11target_archE906ELNS1_3gpuE6ELNS1_3repE0EEENS1_48merge_mergepath_partition_config_static_selectorELNS0_4arch9wavefront6targetE0EEEvSK_
		.amdhsa_group_segment_fixed_size 0
		.amdhsa_private_segment_fixed_size 0
		.amdhsa_kernarg_size 48
		.amdhsa_user_sgpr_count 6
		.amdhsa_user_sgpr_private_segment_buffer 1
		.amdhsa_user_sgpr_dispatch_ptr 0
		.amdhsa_user_sgpr_queue_ptr 0
		.amdhsa_user_sgpr_kernarg_segment_ptr 1
		.amdhsa_user_sgpr_dispatch_id 0
		.amdhsa_user_sgpr_flat_scratch_init 0
		.amdhsa_user_sgpr_private_segment_size 0
		.amdhsa_wavefront_size32 1
		.amdhsa_uses_dynamic_stack 0
		.amdhsa_system_sgpr_private_segment_wavefront_offset 0
		.amdhsa_system_sgpr_workgroup_id_x 1
		.amdhsa_system_sgpr_workgroup_id_y 0
		.amdhsa_system_sgpr_workgroup_id_z 0
		.amdhsa_system_sgpr_workgroup_info 0
		.amdhsa_system_vgpr_workitem_id 0
		.amdhsa_next_free_vgpr 1
		.amdhsa_next_free_sgpr 1
		.amdhsa_reserve_vcc 0
		.amdhsa_reserve_flat_scratch 0
		.amdhsa_float_round_mode_32 0
		.amdhsa_float_round_mode_16_64 0
		.amdhsa_float_denorm_mode_32 3
		.amdhsa_float_denorm_mode_16_64 3
		.amdhsa_dx10_clamp 1
		.amdhsa_ieee_mode 1
		.amdhsa_fp16_overflow 0
		.amdhsa_workgroup_processor_mode 1
		.amdhsa_memory_ordered 1
		.amdhsa_forward_progress 1
		.amdhsa_shared_vgpr_count 0
		.amdhsa_exception_fp_ieee_invalid_op 0
		.amdhsa_exception_fp_denorm_src 0
		.amdhsa_exception_fp_ieee_div_zero 0
		.amdhsa_exception_fp_ieee_overflow 0
		.amdhsa_exception_fp_ieee_underflow 0
		.amdhsa_exception_fp_ieee_inexact 0
		.amdhsa_exception_int_div_zero 0
	.end_amdhsa_kernel
	.section	.text._ZN7rocprim17ROCPRIM_400000_NS6detail17trampoline_kernelINS0_14default_configENS1_38merge_sort_block_merge_config_selectorIxNS0_10empty_typeEEEZZNS1_27merge_sort_block_merge_implIS3_N6thrust23THRUST_200600_302600_NS6detail15normal_iteratorINS9_10device_ptrIxEEEEPS5_m11less_div_10IxEEE10hipError_tT0_T1_T2_jT3_P12ihipStream_tbPNSt15iterator_traitsISJ_E10value_typeEPNSP_ISK_E10value_typeEPSL_NS1_7vsmem_tEENKUlT_SJ_SK_SL_E_clIPxSE_SF_SF_EESI_SY_SJ_SK_SL_EUlSY_E_NS1_11comp_targetILNS1_3genE2ELNS1_11target_archE906ELNS1_3gpuE6ELNS1_3repE0EEENS1_48merge_mergepath_partition_config_static_selectorELNS0_4arch9wavefront6targetE0EEEvSK_,"axG",@progbits,_ZN7rocprim17ROCPRIM_400000_NS6detail17trampoline_kernelINS0_14default_configENS1_38merge_sort_block_merge_config_selectorIxNS0_10empty_typeEEEZZNS1_27merge_sort_block_merge_implIS3_N6thrust23THRUST_200600_302600_NS6detail15normal_iteratorINS9_10device_ptrIxEEEEPS5_m11less_div_10IxEEE10hipError_tT0_T1_T2_jT3_P12ihipStream_tbPNSt15iterator_traitsISJ_E10value_typeEPNSP_ISK_E10value_typeEPSL_NS1_7vsmem_tEENKUlT_SJ_SK_SL_E_clIPxSE_SF_SF_EESI_SY_SJ_SK_SL_EUlSY_E_NS1_11comp_targetILNS1_3genE2ELNS1_11target_archE906ELNS1_3gpuE6ELNS1_3repE0EEENS1_48merge_mergepath_partition_config_static_selectorELNS0_4arch9wavefront6targetE0EEEvSK_,comdat
.Lfunc_end341:
	.size	_ZN7rocprim17ROCPRIM_400000_NS6detail17trampoline_kernelINS0_14default_configENS1_38merge_sort_block_merge_config_selectorIxNS0_10empty_typeEEEZZNS1_27merge_sort_block_merge_implIS3_N6thrust23THRUST_200600_302600_NS6detail15normal_iteratorINS9_10device_ptrIxEEEEPS5_m11less_div_10IxEEE10hipError_tT0_T1_T2_jT3_P12ihipStream_tbPNSt15iterator_traitsISJ_E10value_typeEPNSP_ISK_E10value_typeEPSL_NS1_7vsmem_tEENKUlT_SJ_SK_SL_E_clIPxSE_SF_SF_EESI_SY_SJ_SK_SL_EUlSY_E_NS1_11comp_targetILNS1_3genE2ELNS1_11target_archE906ELNS1_3gpuE6ELNS1_3repE0EEENS1_48merge_mergepath_partition_config_static_selectorELNS0_4arch9wavefront6targetE0EEEvSK_, .Lfunc_end341-_ZN7rocprim17ROCPRIM_400000_NS6detail17trampoline_kernelINS0_14default_configENS1_38merge_sort_block_merge_config_selectorIxNS0_10empty_typeEEEZZNS1_27merge_sort_block_merge_implIS3_N6thrust23THRUST_200600_302600_NS6detail15normal_iteratorINS9_10device_ptrIxEEEEPS5_m11less_div_10IxEEE10hipError_tT0_T1_T2_jT3_P12ihipStream_tbPNSt15iterator_traitsISJ_E10value_typeEPNSP_ISK_E10value_typeEPSL_NS1_7vsmem_tEENKUlT_SJ_SK_SL_E_clIPxSE_SF_SF_EESI_SY_SJ_SK_SL_EUlSY_E_NS1_11comp_targetILNS1_3genE2ELNS1_11target_archE906ELNS1_3gpuE6ELNS1_3repE0EEENS1_48merge_mergepath_partition_config_static_selectorELNS0_4arch9wavefront6targetE0EEEvSK_
                                        ; -- End function
	.set _ZN7rocprim17ROCPRIM_400000_NS6detail17trampoline_kernelINS0_14default_configENS1_38merge_sort_block_merge_config_selectorIxNS0_10empty_typeEEEZZNS1_27merge_sort_block_merge_implIS3_N6thrust23THRUST_200600_302600_NS6detail15normal_iteratorINS9_10device_ptrIxEEEEPS5_m11less_div_10IxEEE10hipError_tT0_T1_T2_jT3_P12ihipStream_tbPNSt15iterator_traitsISJ_E10value_typeEPNSP_ISK_E10value_typeEPSL_NS1_7vsmem_tEENKUlT_SJ_SK_SL_E_clIPxSE_SF_SF_EESI_SY_SJ_SK_SL_EUlSY_E_NS1_11comp_targetILNS1_3genE2ELNS1_11target_archE906ELNS1_3gpuE6ELNS1_3repE0EEENS1_48merge_mergepath_partition_config_static_selectorELNS0_4arch9wavefront6targetE0EEEvSK_.num_vgpr, 0
	.set _ZN7rocprim17ROCPRIM_400000_NS6detail17trampoline_kernelINS0_14default_configENS1_38merge_sort_block_merge_config_selectorIxNS0_10empty_typeEEEZZNS1_27merge_sort_block_merge_implIS3_N6thrust23THRUST_200600_302600_NS6detail15normal_iteratorINS9_10device_ptrIxEEEEPS5_m11less_div_10IxEEE10hipError_tT0_T1_T2_jT3_P12ihipStream_tbPNSt15iterator_traitsISJ_E10value_typeEPNSP_ISK_E10value_typeEPSL_NS1_7vsmem_tEENKUlT_SJ_SK_SL_E_clIPxSE_SF_SF_EESI_SY_SJ_SK_SL_EUlSY_E_NS1_11comp_targetILNS1_3genE2ELNS1_11target_archE906ELNS1_3gpuE6ELNS1_3repE0EEENS1_48merge_mergepath_partition_config_static_selectorELNS0_4arch9wavefront6targetE0EEEvSK_.num_agpr, 0
	.set _ZN7rocprim17ROCPRIM_400000_NS6detail17trampoline_kernelINS0_14default_configENS1_38merge_sort_block_merge_config_selectorIxNS0_10empty_typeEEEZZNS1_27merge_sort_block_merge_implIS3_N6thrust23THRUST_200600_302600_NS6detail15normal_iteratorINS9_10device_ptrIxEEEEPS5_m11less_div_10IxEEE10hipError_tT0_T1_T2_jT3_P12ihipStream_tbPNSt15iterator_traitsISJ_E10value_typeEPNSP_ISK_E10value_typeEPSL_NS1_7vsmem_tEENKUlT_SJ_SK_SL_E_clIPxSE_SF_SF_EESI_SY_SJ_SK_SL_EUlSY_E_NS1_11comp_targetILNS1_3genE2ELNS1_11target_archE906ELNS1_3gpuE6ELNS1_3repE0EEENS1_48merge_mergepath_partition_config_static_selectorELNS0_4arch9wavefront6targetE0EEEvSK_.numbered_sgpr, 0
	.set _ZN7rocprim17ROCPRIM_400000_NS6detail17trampoline_kernelINS0_14default_configENS1_38merge_sort_block_merge_config_selectorIxNS0_10empty_typeEEEZZNS1_27merge_sort_block_merge_implIS3_N6thrust23THRUST_200600_302600_NS6detail15normal_iteratorINS9_10device_ptrIxEEEEPS5_m11less_div_10IxEEE10hipError_tT0_T1_T2_jT3_P12ihipStream_tbPNSt15iterator_traitsISJ_E10value_typeEPNSP_ISK_E10value_typeEPSL_NS1_7vsmem_tEENKUlT_SJ_SK_SL_E_clIPxSE_SF_SF_EESI_SY_SJ_SK_SL_EUlSY_E_NS1_11comp_targetILNS1_3genE2ELNS1_11target_archE906ELNS1_3gpuE6ELNS1_3repE0EEENS1_48merge_mergepath_partition_config_static_selectorELNS0_4arch9wavefront6targetE0EEEvSK_.num_named_barrier, 0
	.set _ZN7rocprim17ROCPRIM_400000_NS6detail17trampoline_kernelINS0_14default_configENS1_38merge_sort_block_merge_config_selectorIxNS0_10empty_typeEEEZZNS1_27merge_sort_block_merge_implIS3_N6thrust23THRUST_200600_302600_NS6detail15normal_iteratorINS9_10device_ptrIxEEEEPS5_m11less_div_10IxEEE10hipError_tT0_T1_T2_jT3_P12ihipStream_tbPNSt15iterator_traitsISJ_E10value_typeEPNSP_ISK_E10value_typeEPSL_NS1_7vsmem_tEENKUlT_SJ_SK_SL_E_clIPxSE_SF_SF_EESI_SY_SJ_SK_SL_EUlSY_E_NS1_11comp_targetILNS1_3genE2ELNS1_11target_archE906ELNS1_3gpuE6ELNS1_3repE0EEENS1_48merge_mergepath_partition_config_static_selectorELNS0_4arch9wavefront6targetE0EEEvSK_.private_seg_size, 0
	.set _ZN7rocprim17ROCPRIM_400000_NS6detail17trampoline_kernelINS0_14default_configENS1_38merge_sort_block_merge_config_selectorIxNS0_10empty_typeEEEZZNS1_27merge_sort_block_merge_implIS3_N6thrust23THRUST_200600_302600_NS6detail15normal_iteratorINS9_10device_ptrIxEEEEPS5_m11less_div_10IxEEE10hipError_tT0_T1_T2_jT3_P12ihipStream_tbPNSt15iterator_traitsISJ_E10value_typeEPNSP_ISK_E10value_typeEPSL_NS1_7vsmem_tEENKUlT_SJ_SK_SL_E_clIPxSE_SF_SF_EESI_SY_SJ_SK_SL_EUlSY_E_NS1_11comp_targetILNS1_3genE2ELNS1_11target_archE906ELNS1_3gpuE6ELNS1_3repE0EEENS1_48merge_mergepath_partition_config_static_selectorELNS0_4arch9wavefront6targetE0EEEvSK_.uses_vcc, 0
	.set _ZN7rocprim17ROCPRIM_400000_NS6detail17trampoline_kernelINS0_14default_configENS1_38merge_sort_block_merge_config_selectorIxNS0_10empty_typeEEEZZNS1_27merge_sort_block_merge_implIS3_N6thrust23THRUST_200600_302600_NS6detail15normal_iteratorINS9_10device_ptrIxEEEEPS5_m11less_div_10IxEEE10hipError_tT0_T1_T2_jT3_P12ihipStream_tbPNSt15iterator_traitsISJ_E10value_typeEPNSP_ISK_E10value_typeEPSL_NS1_7vsmem_tEENKUlT_SJ_SK_SL_E_clIPxSE_SF_SF_EESI_SY_SJ_SK_SL_EUlSY_E_NS1_11comp_targetILNS1_3genE2ELNS1_11target_archE906ELNS1_3gpuE6ELNS1_3repE0EEENS1_48merge_mergepath_partition_config_static_selectorELNS0_4arch9wavefront6targetE0EEEvSK_.uses_flat_scratch, 0
	.set _ZN7rocprim17ROCPRIM_400000_NS6detail17trampoline_kernelINS0_14default_configENS1_38merge_sort_block_merge_config_selectorIxNS0_10empty_typeEEEZZNS1_27merge_sort_block_merge_implIS3_N6thrust23THRUST_200600_302600_NS6detail15normal_iteratorINS9_10device_ptrIxEEEEPS5_m11less_div_10IxEEE10hipError_tT0_T1_T2_jT3_P12ihipStream_tbPNSt15iterator_traitsISJ_E10value_typeEPNSP_ISK_E10value_typeEPSL_NS1_7vsmem_tEENKUlT_SJ_SK_SL_E_clIPxSE_SF_SF_EESI_SY_SJ_SK_SL_EUlSY_E_NS1_11comp_targetILNS1_3genE2ELNS1_11target_archE906ELNS1_3gpuE6ELNS1_3repE0EEENS1_48merge_mergepath_partition_config_static_selectorELNS0_4arch9wavefront6targetE0EEEvSK_.has_dyn_sized_stack, 0
	.set _ZN7rocprim17ROCPRIM_400000_NS6detail17trampoline_kernelINS0_14default_configENS1_38merge_sort_block_merge_config_selectorIxNS0_10empty_typeEEEZZNS1_27merge_sort_block_merge_implIS3_N6thrust23THRUST_200600_302600_NS6detail15normal_iteratorINS9_10device_ptrIxEEEEPS5_m11less_div_10IxEEE10hipError_tT0_T1_T2_jT3_P12ihipStream_tbPNSt15iterator_traitsISJ_E10value_typeEPNSP_ISK_E10value_typeEPSL_NS1_7vsmem_tEENKUlT_SJ_SK_SL_E_clIPxSE_SF_SF_EESI_SY_SJ_SK_SL_EUlSY_E_NS1_11comp_targetILNS1_3genE2ELNS1_11target_archE906ELNS1_3gpuE6ELNS1_3repE0EEENS1_48merge_mergepath_partition_config_static_selectorELNS0_4arch9wavefront6targetE0EEEvSK_.has_recursion, 0
	.set _ZN7rocprim17ROCPRIM_400000_NS6detail17trampoline_kernelINS0_14default_configENS1_38merge_sort_block_merge_config_selectorIxNS0_10empty_typeEEEZZNS1_27merge_sort_block_merge_implIS3_N6thrust23THRUST_200600_302600_NS6detail15normal_iteratorINS9_10device_ptrIxEEEEPS5_m11less_div_10IxEEE10hipError_tT0_T1_T2_jT3_P12ihipStream_tbPNSt15iterator_traitsISJ_E10value_typeEPNSP_ISK_E10value_typeEPSL_NS1_7vsmem_tEENKUlT_SJ_SK_SL_E_clIPxSE_SF_SF_EESI_SY_SJ_SK_SL_EUlSY_E_NS1_11comp_targetILNS1_3genE2ELNS1_11target_archE906ELNS1_3gpuE6ELNS1_3repE0EEENS1_48merge_mergepath_partition_config_static_selectorELNS0_4arch9wavefront6targetE0EEEvSK_.has_indirect_call, 0
	.section	.AMDGPU.csdata,"",@progbits
; Kernel info:
; codeLenInByte = 0
; TotalNumSgprs: 0
; NumVgprs: 0
; ScratchSize: 0
; MemoryBound: 0
; FloatMode: 240
; IeeeMode: 1
; LDSByteSize: 0 bytes/workgroup (compile time only)
; SGPRBlocks: 0
; VGPRBlocks: 0
; NumSGPRsForWavesPerEU: 1
; NumVGPRsForWavesPerEU: 1
; Occupancy: 16
; WaveLimiterHint : 0
; COMPUTE_PGM_RSRC2:SCRATCH_EN: 0
; COMPUTE_PGM_RSRC2:USER_SGPR: 6
; COMPUTE_PGM_RSRC2:TRAP_HANDLER: 0
; COMPUTE_PGM_RSRC2:TGID_X_EN: 1
; COMPUTE_PGM_RSRC2:TGID_Y_EN: 0
; COMPUTE_PGM_RSRC2:TGID_Z_EN: 0
; COMPUTE_PGM_RSRC2:TIDIG_COMP_CNT: 0
	.section	.text._ZN7rocprim17ROCPRIM_400000_NS6detail17trampoline_kernelINS0_14default_configENS1_38merge_sort_block_merge_config_selectorIxNS0_10empty_typeEEEZZNS1_27merge_sort_block_merge_implIS3_N6thrust23THRUST_200600_302600_NS6detail15normal_iteratorINS9_10device_ptrIxEEEEPS5_m11less_div_10IxEEE10hipError_tT0_T1_T2_jT3_P12ihipStream_tbPNSt15iterator_traitsISJ_E10value_typeEPNSP_ISK_E10value_typeEPSL_NS1_7vsmem_tEENKUlT_SJ_SK_SL_E_clIPxSE_SF_SF_EESI_SY_SJ_SK_SL_EUlSY_E_NS1_11comp_targetILNS1_3genE9ELNS1_11target_archE1100ELNS1_3gpuE3ELNS1_3repE0EEENS1_48merge_mergepath_partition_config_static_selectorELNS0_4arch9wavefront6targetE0EEEvSK_,"axG",@progbits,_ZN7rocprim17ROCPRIM_400000_NS6detail17trampoline_kernelINS0_14default_configENS1_38merge_sort_block_merge_config_selectorIxNS0_10empty_typeEEEZZNS1_27merge_sort_block_merge_implIS3_N6thrust23THRUST_200600_302600_NS6detail15normal_iteratorINS9_10device_ptrIxEEEEPS5_m11less_div_10IxEEE10hipError_tT0_T1_T2_jT3_P12ihipStream_tbPNSt15iterator_traitsISJ_E10value_typeEPNSP_ISK_E10value_typeEPSL_NS1_7vsmem_tEENKUlT_SJ_SK_SL_E_clIPxSE_SF_SF_EESI_SY_SJ_SK_SL_EUlSY_E_NS1_11comp_targetILNS1_3genE9ELNS1_11target_archE1100ELNS1_3gpuE3ELNS1_3repE0EEENS1_48merge_mergepath_partition_config_static_selectorELNS0_4arch9wavefront6targetE0EEEvSK_,comdat
	.protected	_ZN7rocprim17ROCPRIM_400000_NS6detail17trampoline_kernelINS0_14default_configENS1_38merge_sort_block_merge_config_selectorIxNS0_10empty_typeEEEZZNS1_27merge_sort_block_merge_implIS3_N6thrust23THRUST_200600_302600_NS6detail15normal_iteratorINS9_10device_ptrIxEEEEPS5_m11less_div_10IxEEE10hipError_tT0_T1_T2_jT3_P12ihipStream_tbPNSt15iterator_traitsISJ_E10value_typeEPNSP_ISK_E10value_typeEPSL_NS1_7vsmem_tEENKUlT_SJ_SK_SL_E_clIPxSE_SF_SF_EESI_SY_SJ_SK_SL_EUlSY_E_NS1_11comp_targetILNS1_3genE9ELNS1_11target_archE1100ELNS1_3gpuE3ELNS1_3repE0EEENS1_48merge_mergepath_partition_config_static_selectorELNS0_4arch9wavefront6targetE0EEEvSK_ ; -- Begin function _ZN7rocprim17ROCPRIM_400000_NS6detail17trampoline_kernelINS0_14default_configENS1_38merge_sort_block_merge_config_selectorIxNS0_10empty_typeEEEZZNS1_27merge_sort_block_merge_implIS3_N6thrust23THRUST_200600_302600_NS6detail15normal_iteratorINS9_10device_ptrIxEEEEPS5_m11less_div_10IxEEE10hipError_tT0_T1_T2_jT3_P12ihipStream_tbPNSt15iterator_traitsISJ_E10value_typeEPNSP_ISK_E10value_typeEPSL_NS1_7vsmem_tEENKUlT_SJ_SK_SL_E_clIPxSE_SF_SF_EESI_SY_SJ_SK_SL_EUlSY_E_NS1_11comp_targetILNS1_3genE9ELNS1_11target_archE1100ELNS1_3gpuE3ELNS1_3repE0EEENS1_48merge_mergepath_partition_config_static_selectorELNS0_4arch9wavefront6targetE0EEEvSK_
	.globl	_ZN7rocprim17ROCPRIM_400000_NS6detail17trampoline_kernelINS0_14default_configENS1_38merge_sort_block_merge_config_selectorIxNS0_10empty_typeEEEZZNS1_27merge_sort_block_merge_implIS3_N6thrust23THRUST_200600_302600_NS6detail15normal_iteratorINS9_10device_ptrIxEEEEPS5_m11less_div_10IxEEE10hipError_tT0_T1_T2_jT3_P12ihipStream_tbPNSt15iterator_traitsISJ_E10value_typeEPNSP_ISK_E10value_typeEPSL_NS1_7vsmem_tEENKUlT_SJ_SK_SL_E_clIPxSE_SF_SF_EESI_SY_SJ_SK_SL_EUlSY_E_NS1_11comp_targetILNS1_3genE9ELNS1_11target_archE1100ELNS1_3gpuE3ELNS1_3repE0EEENS1_48merge_mergepath_partition_config_static_selectorELNS0_4arch9wavefront6targetE0EEEvSK_
	.p2align	8
	.type	_ZN7rocprim17ROCPRIM_400000_NS6detail17trampoline_kernelINS0_14default_configENS1_38merge_sort_block_merge_config_selectorIxNS0_10empty_typeEEEZZNS1_27merge_sort_block_merge_implIS3_N6thrust23THRUST_200600_302600_NS6detail15normal_iteratorINS9_10device_ptrIxEEEEPS5_m11less_div_10IxEEE10hipError_tT0_T1_T2_jT3_P12ihipStream_tbPNSt15iterator_traitsISJ_E10value_typeEPNSP_ISK_E10value_typeEPSL_NS1_7vsmem_tEENKUlT_SJ_SK_SL_E_clIPxSE_SF_SF_EESI_SY_SJ_SK_SL_EUlSY_E_NS1_11comp_targetILNS1_3genE9ELNS1_11target_archE1100ELNS1_3gpuE3ELNS1_3repE0EEENS1_48merge_mergepath_partition_config_static_selectorELNS0_4arch9wavefront6targetE0EEEvSK_,@function
_ZN7rocprim17ROCPRIM_400000_NS6detail17trampoline_kernelINS0_14default_configENS1_38merge_sort_block_merge_config_selectorIxNS0_10empty_typeEEEZZNS1_27merge_sort_block_merge_implIS3_N6thrust23THRUST_200600_302600_NS6detail15normal_iteratorINS9_10device_ptrIxEEEEPS5_m11less_div_10IxEEE10hipError_tT0_T1_T2_jT3_P12ihipStream_tbPNSt15iterator_traitsISJ_E10value_typeEPNSP_ISK_E10value_typeEPSL_NS1_7vsmem_tEENKUlT_SJ_SK_SL_E_clIPxSE_SF_SF_EESI_SY_SJ_SK_SL_EUlSY_E_NS1_11comp_targetILNS1_3genE9ELNS1_11target_archE1100ELNS1_3gpuE3ELNS1_3repE0EEENS1_48merge_mergepath_partition_config_static_selectorELNS0_4arch9wavefront6targetE0EEEvSK_: ; @_ZN7rocprim17ROCPRIM_400000_NS6detail17trampoline_kernelINS0_14default_configENS1_38merge_sort_block_merge_config_selectorIxNS0_10empty_typeEEEZZNS1_27merge_sort_block_merge_implIS3_N6thrust23THRUST_200600_302600_NS6detail15normal_iteratorINS9_10device_ptrIxEEEEPS5_m11less_div_10IxEEE10hipError_tT0_T1_T2_jT3_P12ihipStream_tbPNSt15iterator_traitsISJ_E10value_typeEPNSP_ISK_E10value_typeEPSL_NS1_7vsmem_tEENKUlT_SJ_SK_SL_E_clIPxSE_SF_SF_EESI_SY_SJ_SK_SL_EUlSY_E_NS1_11comp_targetILNS1_3genE9ELNS1_11target_archE1100ELNS1_3gpuE3ELNS1_3repE0EEENS1_48merge_mergepath_partition_config_static_selectorELNS0_4arch9wavefront6targetE0EEEvSK_
; %bb.0:
	.section	.rodata,"a",@progbits
	.p2align	6, 0x0
	.amdhsa_kernel _ZN7rocprim17ROCPRIM_400000_NS6detail17trampoline_kernelINS0_14default_configENS1_38merge_sort_block_merge_config_selectorIxNS0_10empty_typeEEEZZNS1_27merge_sort_block_merge_implIS3_N6thrust23THRUST_200600_302600_NS6detail15normal_iteratorINS9_10device_ptrIxEEEEPS5_m11less_div_10IxEEE10hipError_tT0_T1_T2_jT3_P12ihipStream_tbPNSt15iterator_traitsISJ_E10value_typeEPNSP_ISK_E10value_typeEPSL_NS1_7vsmem_tEENKUlT_SJ_SK_SL_E_clIPxSE_SF_SF_EESI_SY_SJ_SK_SL_EUlSY_E_NS1_11comp_targetILNS1_3genE9ELNS1_11target_archE1100ELNS1_3gpuE3ELNS1_3repE0EEENS1_48merge_mergepath_partition_config_static_selectorELNS0_4arch9wavefront6targetE0EEEvSK_
		.amdhsa_group_segment_fixed_size 0
		.amdhsa_private_segment_fixed_size 0
		.amdhsa_kernarg_size 48
		.amdhsa_user_sgpr_count 6
		.amdhsa_user_sgpr_private_segment_buffer 1
		.amdhsa_user_sgpr_dispatch_ptr 0
		.amdhsa_user_sgpr_queue_ptr 0
		.amdhsa_user_sgpr_kernarg_segment_ptr 1
		.amdhsa_user_sgpr_dispatch_id 0
		.amdhsa_user_sgpr_flat_scratch_init 0
		.amdhsa_user_sgpr_private_segment_size 0
		.amdhsa_wavefront_size32 1
		.amdhsa_uses_dynamic_stack 0
		.amdhsa_system_sgpr_private_segment_wavefront_offset 0
		.amdhsa_system_sgpr_workgroup_id_x 1
		.amdhsa_system_sgpr_workgroup_id_y 0
		.amdhsa_system_sgpr_workgroup_id_z 0
		.amdhsa_system_sgpr_workgroup_info 0
		.amdhsa_system_vgpr_workitem_id 0
		.amdhsa_next_free_vgpr 1
		.amdhsa_next_free_sgpr 1
		.amdhsa_reserve_vcc 0
		.amdhsa_reserve_flat_scratch 0
		.amdhsa_float_round_mode_32 0
		.amdhsa_float_round_mode_16_64 0
		.amdhsa_float_denorm_mode_32 3
		.amdhsa_float_denorm_mode_16_64 3
		.amdhsa_dx10_clamp 1
		.amdhsa_ieee_mode 1
		.amdhsa_fp16_overflow 0
		.amdhsa_workgroup_processor_mode 1
		.amdhsa_memory_ordered 1
		.amdhsa_forward_progress 1
		.amdhsa_shared_vgpr_count 0
		.amdhsa_exception_fp_ieee_invalid_op 0
		.amdhsa_exception_fp_denorm_src 0
		.amdhsa_exception_fp_ieee_div_zero 0
		.amdhsa_exception_fp_ieee_overflow 0
		.amdhsa_exception_fp_ieee_underflow 0
		.amdhsa_exception_fp_ieee_inexact 0
		.amdhsa_exception_int_div_zero 0
	.end_amdhsa_kernel
	.section	.text._ZN7rocprim17ROCPRIM_400000_NS6detail17trampoline_kernelINS0_14default_configENS1_38merge_sort_block_merge_config_selectorIxNS0_10empty_typeEEEZZNS1_27merge_sort_block_merge_implIS3_N6thrust23THRUST_200600_302600_NS6detail15normal_iteratorINS9_10device_ptrIxEEEEPS5_m11less_div_10IxEEE10hipError_tT0_T1_T2_jT3_P12ihipStream_tbPNSt15iterator_traitsISJ_E10value_typeEPNSP_ISK_E10value_typeEPSL_NS1_7vsmem_tEENKUlT_SJ_SK_SL_E_clIPxSE_SF_SF_EESI_SY_SJ_SK_SL_EUlSY_E_NS1_11comp_targetILNS1_3genE9ELNS1_11target_archE1100ELNS1_3gpuE3ELNS1_3repE0EEENS1_48merge_mergepath_partition_config_static_selectorELNS0_4arch9wavefront6targetE0EEEvSK_,"axG",@progbits,_ZN7rocprim17ROCPRIM_400000_NS6detail17trampoline_kernelINS0_14default_configENS1_38merge_sort_block_merge_config_selectorIxNS0_10empty_typeEEEZZNS1_27merge_sort_block_merge_implIS3_N6thrust23THRUST_200600_302600_NS6detail15normal_iteratorINS9_10device_ptrIxEEEEPS5_m11less_div_10IxEEE10hipError_tT0_T1_T2_jT3_P12ihipStream_tbPNSt15iterator_traitsISJ_E10value_typeEPNSP_ISK_E10value_typeEPSL_NS1_7vsmem_tEENKUlT_SJ_SK_SL_E_clIPxSE_SF_SF_EESI_SY_SJ_SK_SL_EUlSY_E_NS1_11comp_targetILNS1_3genE9ELNS1_11target_archE1100ELNS1_3gpuE3ELNS1_3repE0EEENS1_48merge_mergepath_partition_config_static_selectorELNS0_4arch9wavefront6targetE0EEEvSK_,comdat
.Lfunc_end342:
	.size	_ZN7rocprim17ROCPRIM_400000_NS6detail17trampoline_kernelINS0_14default_configENS1_38merge_sort_block_merge_config_selectorIxNS0_10empty_typeEEEZZNS1_27merge_sort_block_merge_implIS3_N6thrust23THRUST_200600_302600_NS6detail15normal_iteratorINS9_10device_ptrIxEEEEPS5_m11less_div_10IxEEE10hipError_tT0_T1_T2_jT3_P12ihipStream_tbPNSt15iterator_traitsISJ_E10value_typeEPNSP_ISK_E10value_typeEPSL_NS1_7vsmem_tEENKUlT_SJ_SK_SL_E_clIPxSE_SF_SF_EESI_SY_SJ_SK_SL_EUlSY_E_NS1_11comp_targetILNS1_3genE9ELNS1_11target_archE1100ELNS1_3gpuE3ELNS1_3repE0EEENS1_48merge_mergepath_partition_config_static_selectorELNS0_4arch9wavefront6targetE0EEEvSK_, .Lfunc_end342-_ZN7rocprim17ROCPRIM_400000_NS6detail17trampoline_kernelINS0_14default_configENS1_38merge_sort_block_merge_config_selectorIxNS0_10empty_typeEEEZZNS1_27merge_sort_block_merge_implIS3_N6thrust23THRUST_200600_302600_NS6detail15normal_iteratorINS9_10device_ptrIxEEEEPS5_m11less_div_10IxEEE10hipError_tT0_T1_T2_jT3_P12ihipStream_tbPNSt15iterator_traitsISJ_E10value_typeEPNSP_ISK_E10value_typeEPSL_NS1_7vsmem_tEENKUlT_SJ_SK_SL_E_clIPxSE_SF_SF_EESI_SY_SJ_SK_SL_EUlSY_E_NS1_11comp_targetILNS1_3genE9ELNS1_11target_archE1100ELNS1_3gpuE3ELNS1_3repE0EEENS1_48merge_mergepath_partition_config_static_selectorELNS0_4arch9wavefront6targetE0EEEvSK_
                                        ; -- End function
	.set _ZN7rocprim17ROCPRIM_400000_NS6detail17trampoline_kernelINS0_14default_configENS1_38merge_sort_block_merge_config_selectorIxNS0_10empty_typeEEEZZNS1_27merge_sort_block_merge_implIS3_N6thrust23THRUST_200600_302600_NS6detail15normal_iteratorINS9_10device_ptrIxEEEEPS5_m11less_div_10IxEEE10hipError_tT0_T1_T2_jT3_P12ihipStream_tbPNSt15iterator_traitsISJ_E10value_typeEPNSP_ISK_E10value_typeEPSL_NS1_7vsmem_tEENKUlT_SJ_SK_SL_E_clIPxSE_SF_SF_EESI_SY_SJ_SK_SL_EUlSY_E_NS1_11comp_targetILNS1_3genE9ELNS1_11target_archE1100ELNS1_3gpuE3ELNS1_3repE0EEENS1_48merge_mergepath_partition_config_static_selectorELNS0_4arch9wavefront6targetE0EEEvSK_.num_vgpr, 0
	.set _ZN7rocprim17ROCPRIM_400000_NS6detail17trampoline_kernelINS0_14default_configENS1_38merge_sort_block_merge_config_selectorIxNS0_10empty_typeEEEZZNS1_27merge_sort_block_merge_implIS3_N6thrust23THRUST_200600_302600_NS6detail15normal_iteratorINS9_10device_ptrIxEEEEPS5_m11less_div_10IxEEE10hipError_tT0_T1_T2_jT3_P12ihipStream_tbPNSt15iterator_traitsISJ_E10value_typeEPNSP_ISK_E10value_typeEPSL_NS1_7vsmem_tEENKUlT_SJ_SK_SL_E_clIPxSE_SF_SF_EESI_SY_SJ_SK_SL_EUlSY_E_NS1_11comp_targetILNS1_3genE9ELNS1_11target_archE1100ELNS1_3gpuE3ELNS1_3repE0EEENS1_48merge_mergepath_partition_config_static_selectorELNS0_4arch9wavefront6targetE0EEEvSK_.num_agpr, 0
	.set _ZN7rocprim17ROCPRIM_400000_NS6detail17trampoline_kernelINS0_14default_configENS1_38merge_sort_block_merge_config_selectorIxNS0_10empty_typeEEEZZNS1_27merge_sort_block_merge_implIS3_N6thrust23THRUST_200600_302600_NS6detail15normal_iteratorINS9_10device_ptrIxEEEEPS5_m11less_div_10IxEEE10hipError_tT0_T1_T2_jT3_P12ihipStream_tbPNSt15iterator_traitsISJ_E10value_typeEPNSP_ISK_E10value_typeEPSL_NS1_7vsmem_tEENKUlT_SJ_SK_SL_E_clIPxSE_SF_SF_EESI_SY_SJ_SK_SL_EUlSY_E_NS1_11comp_targetILNS1_3genE9ELNS1_11target_archE1100ELNS1_3gpuE3ELNS1_3repE0EEENS1_48merge_mergepath_partition_config_static_selectorELNS0_4arch9wavefront6targetE0EEEvSK_.numbered_sgpr, 0
	.set _ZN7rocprim17ROCPRIM_400000_NS6detail17trampoline_kernelINS0_14default_configENS1_38merge_sort_block_merge_config_selectorIxNS0_10empty_typeEEEZZNS1_27merge_sort_block_merge_implIS3_N6thrust23THRUST_200600_302600_NS6detail15normal_iteratorINS9_10device_ptrIxEEEEPS5_m11less_div_10IxEEE10hipError_tT0_T1_T2_jT3_P12ihipStream_tbPNSt15iterator_traitsISJ_E10value_typeEPNSP_ISK_E10value_typeEPSL_NS1_7vsmem_tEENKUlT_SJ_SK_SL_E_clIPxSE_SF_SF_EESI_SY_SJ_SK_SL_EUlSY_E_NS1_11comp_targetILNS1_3genE9ELNS1_11target_archE1100ELNS1_3gpuE3ELNS1_3repE0EEENS1_48merge_mergepath_partition_config_static_selectorELNS0_4arch9wavefront6targetE0EEEvSK_.num_named_barrier, 0
	.set _ZN7rocprim17ROCPRIM_400000_NS6detail17trampoline_kernelINS0_14default_configENS1_38merge_sort_block_merge_config_selectorIxNS0_10empty_typeEEEZZNS1_27merge_sort_block_merge_implIS3_N6thrust23THRUST_200600_302600_NS6detail15normal_iteratorINS9_10device_ptrIxEEEEPS5_m11less_div_10IxEEE10hipError_tT0_T1_T2_jT3_P12ihipStream_tbPNSt15iterator_traitsISJ_E10value_typeEPNSP_ISK_E10value_typeEPSL_NS1_7vsmem_tEENKUlT_SJ_SK_SL_E_clIPxSE_SF_SF_EESI_SY_SJ_SK_SL_EUlSY_E_NS1_11comp_targetILNS1_3genE9ELNS1_11target_archE1100ELNS1_3gpuE3ELNS1_3repE0EEENS1_48merge_mergepath_partition_config_static_selectorELNS0_4arch9wavefront6targetE0EEEvSK_.private_seg_size, 0
	.set _ZN7rocprim17ROCPRIM_400000_NS6detail17trampoline_kernelINS0_14default_configENS1_38merge_sort_block_merge_config_selectorIxNS0_10empty_typeEEEZZNS1_27merge_sort_block_merge_implIS3_N6thrust23THRUST_200600_302600_NS6detail15normal_iteratorINS9_10device_ptrIxEEEEPS5_m11less_div_10IxEEE10hipError_tT0_T1_T2_jT3_P12ihipStream_tbPNSt15iterator_traitsISJ_E10value_typeEPNSP_ISK_E10value_typeEPSL_NS1_7vsmem_tEENKUlT_SJ_SK_SL_E_clIPxSE_SF_SF_EESI_SY_SJ_SK_SL_EUlSY_E_NS1_11comp_targetILNS1_3genE9ELNS1_11target_archE1100ELNS1_3gpuE3ELNS1_3repE0EEENS1_48merge_mergepath_partition_config_static_selectorELNS0_4arch9wavefront6targetE0EEEvSK_.uses_vcc, 0
	.set _ZN7rocprim17ROCPRIM_400000_NS6detail17trampoline_kernelINS0_14default_configENS1_38merge_sort_block_merge_config_selectorIxNS0_10empty_typeEEEZZNS1_27merge_sort_block_merge_implIS3_N6thrust23THRUST_200600_302600_NS6detail15normal_iteratorINS9_10device_ptrIxEEEEPS5_m11less_div_10IxEEE10hipError_tT0_T1_T2_jT3_P12ihipStream_tbPNSt15iterator_traitsISJ_E10value_typeEPNSP_ISK_E10value_typeEPSL_NS1_7vsmem_tEENKUlT_SJ_SK_SL_E_clIPxSE_SF_SF_EESI_SY_SJ_SK_SL_EUlSY_E_NS1_11comp_targetILNS1_3genE9ELNS1_11target_archE1100ELNS1_3gpuE3ELNS1_3repE0EEENS1_48merge_mergepath_partition_config_static_selectorELNS0_4arch9wavefront6targetE0EEEvSK_.uses_flat_scratch, 0
	.set _ZN7rocprim17ROCPRIM_400000_NS6detail17trampoline_kernelINS0_14default_configENS1_38merge_sort_block_merge_config_selectorIxNS0_10empty_typeEEEZZNS1_27merge_sort_block_merge_implIS3_N6thrust23THRUST_200600_302600_NS6detail15normal_iteratorINS9_10device_ptrIxEEEEPS5_m11less_div_10IxEEE10hipError_tT0_T1_T2_jT3_P12ihipStream_tbPNSt15iterator_traitsISJ_E10value_typeEPNSP_ISK_E10value_typeEPSL_NS1_7vsmem_tEENKUlT_SJ_SK_SL_E_clIPxSE_SF_SF_EESI_SY_SJ_SK_SL_EUlSY_E_NS1_11comp_targetILNS1_3genE9ELNS1_11target_archE1100ELNS1_3gpuE3ELNS1_3repE0EEENS1_48merge_mergepath_partition_config_static_selectorELNS0_4arch9wavefront6targetE0EEEvSK_.has_dyn_sized_stack, 0
	.set _ZN7rocprim17ROCPRIM_400000_NS6detail17trampoline_kernelINS0_14default_configENS1_38merge_sort_block_merge_config_selectorIxNS0_10empty_typeEEEZZNS1_27merge_sort_block_merge_implIS3_N6thrust23THRUST_200600_302600_NS6detail15normal_iteratorINS9_10device_ptrIxEEEEPS5_m11less_div_10IxEEE10hipError_tT0_T1_T2_jT3_P12ihipStream_tbPNSt15iterator_traitsISJ_E10value_typeEPNSP_ISK_E10value_typeEPSL_NS1_7vsmem_tEENKUlT_SJ_SK_SL_E_clIPxSE_SF_SF_EESI_SY_SJ_SK_SL_EUlSY_E_NS1_11comp_targetILNS1_3genE9ELNS1_11target_archE1100ELNS1_3gpuE3ELNS1_3repE0EEENS1_48merge_mergepath_partition_config_static_selectorELNS0_4arch9wavefront6targetE0EEEvSK_.has_recursion, 0
	.set _ZN7rocprim17ROCPRIM_400000_NS6detail17trampoline_kernelINS0_14default_configENS1_38merge_sort_block_merge_config_selectorIxNS0_10empty_typeEEEZZNS1_27merge_sort_block_merge_implIS3_N6thrust23THRUST_200600_302600_NS6detail15normal_iteratorINS9_10device_ptrIxEEEEPS5_m11less_div_10IxEEE10hipError_tT0_T1_T2_jT3_P12ihipStream_tbPNSt15iterator_traitsISJ_E10value_typeEPNSP_ISK_E10value_typeEPSL_NS1_7vsmem_tEENKUlT_SJ_SK_SL_E_clIPxSE_SF_SF_EESI_SY_SJ_SK_SL_EUlSY_E_NS1_11comp_targetILNS1_3genE9ELNS1_11target_archE1100ELNS1_3gpuE3ELNS1_3repE0EEENS1_48merge_mergepath_partition_config_static_selectorELNS0_4arch9wavefront6targetE0EEEvSK_.has_indirect_call, 0
	.section	.AMDGPU.csdata,"",@progbits
; Kernel info:
; codeLenInByte = 0
; TotalNumSgprs: 0
; NumVgprs: 0
; ScratchSize: 0
; MemoryBound: 0
; FloatMode: 240
; IeeeMode: 1
; LDSByteSize: 0 bytes/workgroup (compile time only)
; SGPRBlocks: 0
; VGPRBlocks: 0
; NumSGPRsForWavesPerEU: 1
; NumVGPRsForWavesPerEU: 1
; Occupancy: 16
; WaveLimiterHint : 0
; COMPUTE_PGM_RSRC2:SCRATCH_EN: 0
; COMPUTE_PGM_RSRC2:USER_SGPR: 6
; COMPUTE_PGM_RSRC2:TRAP_HANDLER: 0
; COMPUTE_PGM_RSRC2:TGID_X_EN: 1
; COMPUTE_PGM_RSRC2:TGID_Y_EN: 0
; COMPUTE_PGM_RSRC2:TGID_Z_EN: 0
; COMPUTE_PGM_RSRC2:TIDIG_COMP_CNT: 0
	.section	.text._ZN7rocprim17ROCPRIM_400000_NS6detail17trampoline_kernelINS0_14default_configENS1_38merge_sort_block_merge_config_selectorIxNS0_10empty_typeEEEZZNS1_27merge_sort_block_merge_implIS3_N6thrust23THRUST_200600_302600_NS6detail15normal_iteratorINS9_10device_ptrIxEEEEPS5_m11less_div_10IxEEE10hipError_tT0_T1_T2_jT3_P12ihipStream_tbPNSt15iterator_traitsISJ_E10value_typeEPNSP_ISK_E10value_typeEPSL_NS1_7vsmem_tEENKUlT_SJ_SK_SL_E_clIPxSE_SF_SF_EESI_SY_SJ_SK_SL_EUlSY_E_NS1_11comp_targetILNS1_3genE8ELNS1_11target_archE1030ELNS1_3gpuE2ELNS1_3repE0EEENS1_48merge_mergepath_partition_config_static_selectorELNS0_4arch9wavefront6targetE0EEEvSK_,"axG",@progbits,_ZN7rocprim17ROCPRIM_400000_NS6detail17trampoline_kernelINS0_14default_configENS1_38merge_sort_block_merge_config_selectorIxNS0_10empty_typeEEEZZNS1_27merge_sort_block_merge_implIS3_N6thrust23THRUST_200600_302600_NS6detail15normal_iteratorINS9_10device_ptrIxEEEEPS5_m11less_div_10IxEEE10hipError_tT0_T1_T2_jT3_P12ihipStream_tbPNSt15iterator_traitsISJ_E10value_typeEPNSP_ISK_E10value_typeEPSL_NS1_7vsmem_tEENKUlT_SJ_SK_SL_E_clIPxSE_SF_SF_EESI_SY_SJ_SK_SL_EUlSY_E_NS1_11comp_targetILNS1_3genE8ELNS1_11target_archE1030ELNS1_3gpuE2ELNS1_3repE0EEENS1_48merge_mergepath_partition_config_static_selectorELNS0_4arch9wavefront6targetE0EEEvSK_,comdat
	.protected	_ZN7rocprim17ROCPRIM_400000_NS6detail17trampoline_kernelINS0_14default_configENS1_38merge_sort_block_merge_config_selectorIxNS0_10empty_typeEEEZZNS1_27merge_sort_block_merge_implIS3_N6thrust23THRUST_200600_302600_NS6detail15normal_iteratorINS9_10device_ptrIxEEEEPS5_m11less_div_10IxEEE10hipError_tT0_T1_T2_jT3_P12ihipStream_tbPNSt15iterator_traitsISJ_E10value_typeEPNSP_ISK_E10value_typeEPSL_NS1_7vsmem_tEENKUlT_SJ_SK_SL_E_clIPxSE_SF_SF_EESI_SY_SJ_SK_SL_EUlSY_E_NS1_11comp_targetILNS1_3genE8ELNS1_11target_archE1030ELNS1_3gpuE2ELNS1_3repE0EEENS1_48merge_mergepath_partition_config_static_selectorELNS0_4arch9wavefront6targetE0EEEvSK_ ; -- Begin function _ZN7rocprim17ROCPRIM_400000_NS6detail17trampoline_kernelINS0_14default_configENS1_38merge_sort_block_merge_config_selectorIxNS0_10empty_typeEEEZZNS1_27merge_sort_block_merge_implIS3_N6thrust23THRUST_200600_302600_NS6detail15normal_iteratorINS9_10device_ptrIxEEEEPS5_m11less_div_10IxEEE10hipError_tT0_T1_T2_jT3_P12ihipStream_tbPNSt15iterator_traitsISJ_E10value_typeEPNSP_ISK_E10value_typeEPSL_NS1_7vsmem_tEENKUlT_SJ_SK_SL_E_clIPxSE_SF_SF_EESI_SY_SJ_SK_SL_EUlSY_E_NS1_11comp_targetILNS1_3genE8ELNS1_11target_archE1030ELNS1_3gpuE2ELNS1_3repE0EEENS1_48merge_mergepath_partition_config_static_selectorELNS0_4arch9wavefront6targetE0EEEvSK_
	.globl	_ZN7rocprim17ROCPRIM_400000_NS6detail17trampoline_kernelINS0_14default_configENS1_38merge_sort_block_merge_config_selectorIxNS0_10empty_typeEEEZZNS1_27merge_sort_block_merge_implIS3_N6thrust23THRUST_200600_302600_NS6detail15normal_iteratorINS9_10device_ptrIxEEEEPS5_m11less_div_10IxEEE10hipError_tT0_T1_T2_jT3_P12ihipStream_tbPNSt15iterator_traitsISJ_E10value_typeEPNSP_ISK_E10value_typeEPSL_NS1_7vsmem_tEENKUlT_SJ_SK_SL_E_clIPxSE_SF_SF_EESI_SY_SJ_SK_SL_EUlSY_E_NS1_11comp_targetILNS1_3genE8ELNS1_11target_archE1030ELNS1_3gpuE2ELNS1_3repE0EEENS1_48merge_mergepath_partition_config_static_selectorELNS0_4arch9wavefront6targetE0EEEvSK_
	.p2align	8
	.type	_ZN7rocprim17ROCPRIM_400000_NS6detail17trampoline_kernelINS0_14default_configENS1_38merge_sort_block_merge_config_selectorIxNS0_10empty_typeEEEZZNS1_27merge_sort_block_merge_implIS3_N6thrust23THRUST_200600_302600_NS6detail15normal_iteratorINS9_10device_ptrIxEEEEPS5_m11less_div_10IxEEE10hipError_tT0_T1_T2_jT3_P12ihipStream_tbPNSt15iterator_traitsISJ_E10value_typeEPNSP_ISK_E10value_typeEPSL_NS1_7vsmem_tEENKUlT_SJ_SK_SL_E_clIPxSE_SF_SF_EESI_SY_SJ_SK_SL_EUlSY_E_NS1_11comp_targetILNS1_3genE8ELNS1_11target_archE1030ELNS1_3gpuE2ELNS1_3repE0EEENS1_48merge_mergepath_partition_config_static_selectorELNS0_4arch9wavefront6targetE0EEEvSK_,@function
_ZN7rocprim17ROCPRIM_400000_NS6detail17trampoline_kernelINS0_14default_configENS1_38merge_sort_block_merge_config_selectorIxNS0_10empty_typeEEEZZNS1_27merge_sort_block_merge_implIS3_N6thrust23THRUST_200600_302600_NS6detail15normal_iteratorINS9_10device_ptrIxEEEEPS5_m11less_div_10IxEEE10hipError_tT0_T1_T2_jT3_P12ihipStream_tbPNSt15iterator_traitsISJ_E10value_typeEPNSP_ISK_E10value_typeEPSL_NS1_7vsmem_tEENKUlT_SJ_SK_SL_E_clIPxSE_SF_SF_EESI_SY_SJ_SK_SL_EUlSY_E_NS1_11comp_targetILNS1_3genE8ELNS1_11target_archE1030ELNS1_3gpuE2ELNS1_3repE0EEENS1_48merge_mergepath_partition_config_static_selectorELNS0_4arch9wavefront6targetE0EEEvSK_: ; @_ZN7rocprim17ROCPRIM_400000_NS6detail17trampoline_kernelINS0_14default_configENS1_38merge_sort_block_merge_config_selectorIxNS0_10empty_typeEEEZZNS1_27merge_sort_block_merge_implIS3_N6thrust23THRUST_200600_302600_NS6detail15normal_iteratorINS9_10device_ptrIxEEEEPS5_m11less_div_10IxEEE10hipError_tT0_T1_T2_jT3_P12ihipStream_tbPNSt15iterator_traitsISJ_E10value_typeEPNSP_ISK_E10value_typeEPSL_NS1_7vsmem_tEENKUlT_SJ_SK_SL_E_clIPxSE_SF_SF_EESI_SY_SJ_SK_SL_EUlSY_E_NS1_11comp_targetILNS1_3genE8ELNS1_11target_archE1030ELNS1_3gpuE2ELNS1_3repE0EEENS1_48merge_mergepath_partition_config_static_selectorELNS0_4arch9wavefront6targetE0EEEvSK_
; %bb.0:
	s_load_dword s0, s[4:5], 0x0
	v_lshl_or_b32 v0, s6, 7, v0
	s_waitcnt lgkmcnt(0)
	v_cmp_gt_u32_e32 vcc_lo, s0, v0
	s_and_saveexec_b32 s0, vcc_lo
	s_cbranch_execz .LBB343_6
; %bb.1:
	s_load_dwordx4 s[0:3], s[4:5], 0x8
	v_mov_b32_e32 v2, 0
	v_mov_b32_e32 v11, v2
	s_waitcnt lgkmcnt(0)
	s_lshr_b64 s[6:7], s[0:1], 9
	s_and_b32 s6, s6, -2
	s_sub_i32 s7, 0, s6
	s_add_i32 s6, s6, -1
	v_and_b32_e32 v1, s7, v0
	v_and_b32_e32 v10, s6, v0
	v_lshlrev_b64 v[4:5], 10, v[1:2]
	v_add_co_u32 v6, vcc_lo, v4, s0
	v_add_co_ci_u32_e64 v7, null, s1, v5, vcc_lo
	v_cmp_lt_u64_e32 vcc_lo, s[2:3], v[6:7]
	v_cndmask_b32_e64 v8, v6, s2, vcc_lo
	v_cndmask_b32_e64 v9, v7, s3, vcc_lo
	v_add_co_u32 v6, vcc_lo, v8, s0
	v_add_co_ci_u32_e64 v7, null, s1, v9, vcc_lo
	v_cmp_lt_u64_e32 vcc_lo, s[2:3], v[4:5]
	s_mov_b32 s1, 0
	v_cmp_lt_u64_e64 s0, s[2:3], v[6:7]
	v_cndmask_b32_e64 v2, v4, s2, vcc_lo
	v_cndmask_b32_e64 v3, v5, s3, vcc_lo
	v_lshlrev_b64 v[4:5], 10, v[10:11]
	v_cndmask_b32_e64 v12, v6, s2, s0
	v_cndmask_b32_e64 v1, v7, s3, s0
	s_load_dwordx2 s[2:3], s[4:5], 0x28
	v_sub_co_u32 v6, vcc_lo, v12, v2
	v_sub_co_ci_u32_e64 v7, null, v1, v3, vcc_lo
	v_cmp_lt_u64_e32 vcc_lo, v[6:7], v[4:5]
	v_cndmask_b32_e32 v11, v5, v7, vcc_lo
	v_cndmask_b32_e32 v10, v4, v6, vcc_lo
	v_sub_co_u32 v4, vcc_lo, v8, v12
	v_sub_co_ci_u32_e64 v1, null, v9, v1, vcc_lo
	v_add_co_u32 v4, vcc_lo, v10, v4
	v_add_co_ci_u32_e64 v5, null, v11, v1, vcc_lo
	v_sub_co_u32 v6, vcc_lo, v8, v2
	v_sub_co_ci_u32_e64 v7, null, v9, v3, vcc_lo
	v_cmp_gt_u64_e32 vcc_lo, v[4:5], v[10:11]
	v_cmp_lt_u64_e64 s0, v[10:11], v[6:7]
	v_cndmask_b32_e64 v5, v5, 0, vcc_lo
	v_cndmask_b32_e64 v4, v4, 0, vcc_lo
	v_cndmask_b32_e64 v7, v7, v11, s0
	v_cndmask_b32_e64 v6, v6, v10, s0
	s_mov_b32 s0, exec_lo
	v_cmpx_lt_u64_e64 v[4:5], v[6:7]
	s_cbranch_execz .LBB343_5
; %bb.2:
	s_load_dwordx2 s[4:5], s[4:5], 0x18
	v_lshlrev_b64 v[8:9], 3, v[8:9]
	v_lshlrev_b64 v[12:13], 3, v[2:3]
	;; [unrolled: 1-line block ×3, first 2 shown]
	s_waitcnt lgkmcnt(0)
	v_add_co_u32 v14, vcc_lo, s4, v8
	v_add_co_ci_u32_e64 v15, null, s5, v9, vcc_lo
	v_add_co_u32 v1, vcc_lo, s4, v12
	v_add_co_ci_u32_e64 v8, null, s5, v13, vcc_lo
	;; [unrolled: 2-line block ×3, first 2 shown]
	s_inst_prefetch 0x1
	.p2align	6
.LBB343_3:                              ; =>This Inner Loop Header: Depth=1
	v_add_co_u32 v11, vcc_lo, v6, v4
	v_add_co_ci_u32_e64 v12, null, v7, v5, vcc_lo
	v_lshrrev_b64 v[11:12], 1, v[11:12]
	v_lshlrev_b64 v[13:14], 3, v[11:12]
	v_xor_b32_e32 v15, -8, v13
	v_xor_b32_e32 v16, -1, v14
	v_add_co_u32 v13, vcc_lo, v1, v13
	v_add_co_ci_u32_e64 v14, null, v8, v14, vcc_lo
	v_add_co_u32 v15, vcc_lo, v9, v15
	v_add_co_ci_u32_e64 v16, null, v10, v16, vcc_lo
	v_add_co_u32 v17, vcc_lo, v11, 1
	s_clause 0x1
	global_load_dword v13, v[13:14], off
	global_load_dword v14, v[15:16], off
	s_waitcnt vmcnt(1)
	v_mul_hi_i32 v13, 0x66666667, v13
	s_waitcnt vmcnt(0)
	v_mul_hi_i32 v14, 0x66666667, v14
	v_lshrrev_b32_e32 v15, 31, v13
	v_ashrrev_i32_e32 v13, 2, v13
	v_lshrrev_b32_e32 v16, 31, v14
	v_ashrrev_i32_e32 v14, 2, v14
	v_add_nc_u32_e32 v13, v13, v15
	v_add_co_ci_u32_e64 v15, null, 0, v12, vcc_lo
	v_add_nc_u32_e32 v14, v14, v16
	v_cmp_lt_i32_e32 vcc_lo, v14, v13
	v_cndmask_b32_e32 v7, v7, v12, vcc_lo
	v_cndmask_b32_e32 v6, v6, v11, vcc_lo
	;; [unrolled: 1-line block ×4, first 2 shown]
	v_cmp_ge_u64_e32 vcc_lo, v[4:5], v[6:7]
	s_or_b32 s1, vcc_lo, s1
	s_andn2_b32 exec_lo, exec_lo, s1
	s_cbranch_execnz .LBB343_3
; %bb.4:
	s_inst_prefetch 0x2
	s_or_b32 exec_lo, exec_lo, s1
.LBB343_5:
	s_or_b32 exec_lo, exec_lo, s0
	v_mov_b32_e32 v1, 0
	v_add_co_u32 v2, vcc_lo, v4, v2
	v_add_co_ci_u32_e64 v3, null, v5, v3, vcc_lo
	v_lshlrev_b64 v[0:1], 3, v[0:1]
	s_waitcnt lgkmcnt(0)
	v_add_co_u32 v0, vcc_lo, s2, v0
	v_add_co_ci_u32_e64 v1, null, s3, v1, vcc_lo
	global_store_dwordx2 v[0:1], v[2:3], off
.LBB343_6:
	s_endpgm
	.section	.rodata,"a",@progbits
	.p2align	6, 0x0
	.amdhsa_kernel _ZN7rocprim17ROCPRIM_400000_NS6detail17trampoline_kernelINS0_14default_configENS1_38merge_sort_block_merge_config_selectorIxNS0_10empty_typeEEEZZNS1_27merge_sort_block_merge_implIS3_N6thrust23THRUST_200600_302600_NS6detail15normal_iteratorINS9_10device_ptrIxEEEEPS5_m11less_div_10IxEEE10hipError_tT0_T1_T2_jT3_P12ihipStream_tbPNSt15iterator_traitsISJ_E10value_typeEPNSP_ISK_E10value_typeEPSL_NS1_7vsmem_tEENKUlT_SJ_SK_SL_E_clIPxSE_SF_SF_EESI_SY_SJ_SK_SL_EUlSY_E_NS1_11comp_targetILNS1_3genE8ELNS1_11target_archE1030ELNS1_3gpuE2ELNS1_3repE0EEENS1_48merge_mergepath_partition_config_static_selectorELNS0_4arch9wavefront6targetE0EEEvSK_
		.amdhsa_group_segment_fixed_size 0
		.amdhsa_private_segment_fixed_size 0
		.amdhsa_kernarg_size 48
		.amdhsa_user_sgpr_count 6
		.amdhsa_user_sgpr_private_segment_buffer 1
		.amdhsa_user_sgpr_dispatch_ptr 0
		.amdhsa_user_sgpr_queue_ptr 0
		.amdhsa_user_sgpr_kernarg_segment_ptr 1
		.amdhsa_user_sgpr_dispatch_id 0
		.amdhsa_user_sgpr_flat_scratch_init 0
		.amdhsa_user_sgpr_private_segment_size 0
		.amdhsa_wavefront_size32 1
		.amdhsa_uses_dynamic_stack 0
		.amdhsa_system_sgpr_private_segment_wavefront_offset 0
		.amdhsa_system_sgpr_workgroup_id_x 1
		.amdhsa_system_sgpr_workgroup_id_y 0
		.amdhsa_system_sgpr_workgroup_id_z 0
		.amdhsa_system_sgpr_workgroup_info 0
		.amdhsa_system_vgpr_workitem_id 0
		.amdhsa_next_free_vgpr 18
		.amdhsa_next_free_sgpr 8
		.amdhsa_reserve_vcc 1
		.amdhsa_reserve_flat_scratch 0
		.amdhsa_float_round_mode_32 0
		.amdhsa_float_round_mode_16_64 0
		.amdhsa_float_denorm_mode_32 3
		.amdhsa_float_denorm_mode_16_64 3
		.amdhsa_dx10_clamp 1
		.amdhsa_ieee_mode 1
		.amdhsa_fp16_overflow 0
		.amdhsa_workgroup_processor_mode 1
		.amdhsa_memory_ordered 1
		.amdhsa_forward_progress 1
		.amdhsa_shared_vgpr_count 0
		.amdhsa_exception_fp_ieee_invalid_op 0
		.amdhsa_exception_fp_denorm_src 0
		.amdhsa_exception_fp_ieee_div_zero 0
		.amdhsa_exception_fp_ieee_overflow 0
		.amdhsa_exception_fp_ieee_underflow 0
		.amdhsa_exception_fp_ieee_inexact 0
		.amdhsa_exception_int_div_zero 0
	.end_amdhsa_kernel
	.section	.text._ZN7rocprim17ROCPRIM_400000_NS6detail17trampoline_kernelINS0_14default_configENS1_38merge_sort_block_merge_config_selectorIxNS0_10empty_typeEEEZZNS1_27merge_sort_block_merge_implIS3_N6thrust23THRUST_200600_302600_NS6detail15normal_iteratorINS9_10device_ptrIxEEEEPS5_m11less_div_10IxEEE10hipError_tT0_T1_T2_jT3_P12ihipStream_tbPNSt15iterator_traitsISJ_E10value_typeEPNSP_ISK_E10value_typeEPSL_NS1_7vsmem_tEENKUlT_SJ_SK_SL_E_clIPxSE_SF_SF_EESI_SY_SJ_SK_SL_EUlSY_E_NS1_11comp_targetILNS1_3genE8ELNS1_11target_archE1030ELNS1_3gpuE2ELNS1_3repE0EEENS1_48merge_mergepath_partition_config_static_selectorELNS0_4arch9wavefront6targetE0EEEvSK_,"axG",@progbits,_ZN7rocprim17ROCPRIM_400000_NS6detail17trampoline_kernelINS0_14default_configENS1_38merge_sort_block_merge_config_selectorIxNS0_10empty_typeEEEZZNS1_27merge_sort_block_merge_implIS3_N6thrust23THRUST_200600_302600_NS6detail15normal_iteratorINS9_10device_ptrIxEEEEPS5_m11less_div_10IxEEE10hipError_tT0_T1_T2_jT3_P12ihipStream_tbPNSt15iterator_traitsISJ_E10value_typeEPNSP_ISK_E10value_typeEPSL_NS1_7vsmem_tEENKUlT_SJ_SK_SL_E_clIPxSE_SF_SF_EESI_SY_SJ_SK_SL_EUlSY_E_NS1_11comp_targetILNS1_3genE8ELNS1_11target_archE1030ELNS1_3gpuE2ELNS1_3repE0EEENS1_48merge_mergepath_partition_config_static_selectorELNS0_4arch9wavefront6targetE0EEEvSK_,comdat
.Lfunc_end343:
	.size	_ZN7rocprim17ROCPRIM_400000_NS6detail17trampoline_kernelINS0_14default_configENS1_38merge_sort_block_merge_config_selectorIxNS0_10empty_typeEEEZZNS1_27merge_sort_block_merge_implIS3_N6thrust23THRUST_200600_302600_NS6detail15normal_iteratorINS9_10device_ptrIxEEEEPS5_m11less_div_10IxEEE10hipError_tT0_T1_T2_jT3_P12ihipStream_tbPNSt15iterator_traitsISJ_E10value_typeEPNSP_ISK_E10value_typeEPSL_NS1_7vsmem_tEENKUlT_SJ_SK_SL_E_clIPxSE_SF_SF_EESI_SY_SJ_SK_SL_EUlSY_E_NS1_11comp_targetILNS1_3genE8ELNS1_11target_archE1030ELNS1_3gpuE2ELNS1_3repE0EEENS1_48merge_mergepath_partition_config_static_selectorELNS0_4arch9wavefront6targetE0EEEvSK_, .Lfunc_end343-_ZN7rocprim17ROCPRIM_400000_NS6detail17trampoline_kernelINS0_14default_configENS1_38merge_sort_block_merge_config_selectorIxNS0_10empty_typeEEEZZNS1_27merge_sort_block_merge_implIS3_N6thrust23THRUST_200600_302600_NS6detail15normal_iteratorINS9_10device_ptrIxEEEEPS5_m11less_div_10IxEEE10hipError_tT0_T1_T2_jT3_P12ihipStream_tbPNSt15iterator_traitsISJ_E10value_typeEPNSP_ISK_E10value_typeEPSL_NS1_7vsmem_tEENKUlT_SJ_SK_SL_E_clIPxSE_SF_SF_EESI_SY_SJ_SK_SL_EUlSY_E_NS1_11comp_targetILNS1_3genE8ELNS1_11target_archE1030ELNS1_3gpuE2ELNS1_3repE0EEENS1_48merge_mergepath_partition_config_static_selectorELNS0_4arch9wavefront6targetE0EEEvSK_
                                        ; -- End function
	.set _ZN7rocprim17ROCPRIM_400000_NS6detail17trampoline_kernelINS0_14default_configENS1_38merge_sort_block_merge_config_selectorIxNS0_10empty_typeEEEZZNS1_27merge_sort_block_merge_implIS3_N6thrust23THRUST_200600_302600_NS6detail15normal_iteratorINS9_10device_ptrIxEEEEPS5_m11less_div_10IxEEE10hipError_tT0_T1_T2_jT3_P12ihipStream_tbPNSt15iterator_traitsISJ_E10value_typeEPNSP_ISK_E10value_typeEPSL_NS1_7vsmem_tEENKUlT_SJ_SK_SL_E_clIPxSE_SF_SF_EESI_SY_SJ_SK_SL_EUlSY_E_NS1_11comp_targetILNS1_3genE8ELNS1_11target_archE1030ELNS1_3gpuE2ELNS1_3repE0EEENS1_48merge_mergepath_partition_config_static_selectorELNS0_4arch9wavefront6targetE0EEEvSK_.num_vgpr, 18
	.set _ZN7rocprim17ROCPRIM_400000_NS6detail17trampoline_kernelINS0_14default_configENS1_38merge_sort_block_merge_config_selectorIxNS0_10empty_typeEEEZZNS1_27merge_sort_block_merge_implIS3_N6thrust23THRUST_200600_302600_NS6detail15normal_iteratorINS9_10device_ptrIxEEEEPS5_m11less_div_10IxEEE10hipError_tT0_T1_T2_jT3_P12ihipStream_tbPNSt15iterator_traitsISJ_E10value_typeEPNSP_ISK_E10value_typeEPSL_NS1_7vsmem_tEENKUlT_SJ_SK_SL_E_clIPxSE_SF_SF_EESI_SY_SJ_SK_SL_EUlSY_E_NS1_11comp_targetILNS1_3genE8ELNS1_11target_archE1030ELNS1_3gpuE2ELNS1_3repE0EEENS1_48merge_mergepath_partition_config_static_selectorELNS0_4arch9wavefront6targetE0EEEvSK_.num_agpr, 0
	.set _ZN7rocprim17ROCPRIM_400000_NS6detail17trampoline_kernelINS0_14default_configENS1_38merge_sort_block_merge_config_selectorIxNS0_10empty_typeEEEZZNS1_27merge_sort_block_merge_implIS3_N6thrust23THRUST_200600_302600_NS6detail15normal_iteratorINS9_10device_ptrIxEEEEPS5_m11less_div_10IxEEE10hipError_tT0_T1_T2_jT3_P12ihipStream_tbPNSt15iterator_traitsISJ_E10value_typeEPNSP_ISK_E10value_typeEPSL_NS1_7vsmem_tEENKUlT_SJ_SK_SL_E_clIPxSE_SF_SF_EESI_SY_SJ_SK_SL_EUlSY_E_NS1_11comp_targetILNS1_3genE8ELNS1_11target_archE1030ELNS1_3gpuE2ELNS1_3repE0EEENS1_48merge_mergepath_partition_config_static_selectorELNS0_4arch9wavefront6targetE0EEEvSK_.numbered_sgpr, 8
	.set _ZN7rocprim17ROCPRIM_400000_NS6detail17trampoline_kernelINS0_14default_configENS1_38merge_sort_block_merge_config_selectorIxNS0_10empty_typeEEEZZNS1_27merge_sort_block_merge_implIS3_N6thrust23THRUST_200600_302600_NS6detail15normal_iteratorINS9_10device_ptrIxEEEEPS5_m11less_div_10IxEEE10hipError_tT0_T1_T2_jT3_P12ihipStream_tbPNSt15iterator_traitsISJ_E10value_typeEPNSP_ISK_E10value_typeEPSL_NS1_7vsmem_tEENKUlT_SJ_SK_SL_E_clIPxSE_SF_SF_EESI_SY_SJ_SK_SL_EUlSY_E_NS1_11comp_targetILNS1_3genE8ELNS1_11target_archE1030ELNS1_3gpuE2ELNS1_3repE0EEENS1_48merge_mergepath_partition_config_static_selectorELNS0_4arch9wavefront6targetE0EEEvSK_.num_named_barrier, 0
	.set _ZN7rocprim17ROCPRIM_400000_NS6detail17trampoline_kernelINS0_14default_configENS1_38merge_sort_block_merge_config_selectorIxNS0_10empty_typeEEEZZNS1_27merge_sort_block_merge_implIS3_N6thrust23THRUST_200600_302600_NS6detail15normal_iteratorINS9_10device_ptrIxEEEEPS5_m11less_div_10IxEEE10hipError_tT0_T1_T2_jT3_P12ihipStream_tbPNSt15iterator_traitsISJ_E10value_typeEPNSP_ISK_E10value_typeEPSL_NS1_7vsmem_tEENKUlT_SJ_SK_SL_E_clIPxSE_SF_SF_EESI_SY_SJ_SK_SL_EUlSY_E_NS1_11comp_targetILNS1_3genE8ELNS1_11target_archE1030ELNS1_3gpuE2ELNS1_3repE0EEENS1_48merge_mergepath_partition_config_static_selectorELNS0_4arch9wavefront6targetE0EEEvSK_.private_seg_size, 0
	.set _ZN7rocprim17ROCPRIM_400000_NS6detail17trampoline_kernelINS0_14default_configENS1_38merge_sort_block_merge_config_selectorIxNS0_10empty_typeEEEZZNS1_27merge_sort_block_merge_implIS3_N6thrust23THRUST_200600_302600_NS6detail15normal_iteratorINS9_10device_ptrIxEEEEPS5_m11less_div_10IxEEE10hipError_tT0_T1_T2_jT3_P12ihipStream_tbPNSt15iterator_traitsISJ_E10value_typeEPNSP_ISK_E10value_typeEPSL_NS1_7vsmem_tEENKUlT_SJ_SK_SL_E_clIPxSE_SF_SF_EESI_SY_SJ_SK_SL_EUlSY_E_NS1_11comp_targetILNS1_3genE8ELNS1_11target_archE1030ELNS1_3gpuE2ELNS1_3repE0EEENS1_48merge_mergepath_partition_config_static_selectorELNS0_4arch9wavefront6targetE0EEEvSK_.uses_vcc, 1
	.set _ZN7rocprim17ROCPRIM_400000_NS6detail17trampoline_kernelINS0_14default_configENS1_38merge_sort_block_merge_config_selectorIxNS0_10empty_typeEEEZZNS1_27merge_sort_block_merge_implIS3_N6thrust23THRUST_200600_302600_NS6detail15normal_iteratorINS9_10device_ptrIxEEEEPS5_m11less_div_10IxEEE10hipError_tT0_T1_T2_jT3_P12ihipStream_tbPNSt15iterator_traitsISJ_E10value_typeEPNSP_ISK_E10value_typeEPSL_NS1_7vsmem_tEENKUlT_SJ_SK_SL_E_clIPxSE_SF_SF_EESI_SY_SJ_SK_SL_EUlSY_E_NS1_11comp_targetILNS1_3genE8ELNS1_11target_archE1030ELNS1_3gpuE2ELNS1_3repE0EEENS1_48merge_mergepath_partition_config_static_selectorELNS0_4arch9wavefront6targetE0EEEvSK_.uses_flat_scratch, 0
	.set _ZN7rocprim17ROCPRIM_400000_NS6detail17trampoline_kernelINS0_14default_configENS1_38merge_sort_block_merge_config_selectorIxNS0_10empty_typeEEEZZNS1_27merge_sort_block_merge_implIS3_N6thrust23THRUST_200600_302600_NS6detail15normal_iteratorINS9_10device_ptrIxEEEEPS5_m11less_div_10IxEEE10hipError_tT0_T1_T2_jT3_P12ihipStream_tbPNSt15iterator_traitsISJ_E10value_typeEPNSP_ISK_E10value_typeEPSL_NS1_7vsmem_tEENKUlT_SJ_SK_SL_E_clIPxSE_SF_SF_EESI_SY_SJ_SK_SL_EUlSY_E_NS1_11comp_targetILNS1_3genE8ELNS1_11target_archE1030ELNS1_3gpuE2ELNS1_3repE0EEENS1_48merge_mergepath_partition_config_static_selectorELNS0_4arch9wavefront6targetE0EEEvSK_.has_dyn_sized_stack, 0
	.set _ZN7rocprim17ROCPRIM_400000_NS6detail17trampoline_kernelINS0_14default_configENS1_38merge_sort_block_merge_config_selectorIxNS0_10empty_typeEEEZZNS1_27merge_sort_block_merge_implIS3_N6thrust23THRUST_200600_302600_NS6detail15normal_iteratorINS9_10device_ptrIxEEEEPS5_m11less_div_10IxEEE10hipError_tT0_T1_T2_jT3_P12ihipStream_tbPNSt15iterator_traitsISJ_E10value_typeEPNSP_ISK_E10value_typeEPSL_NS1_7vsmem_tEENKUlT_SJ_SK_SL_E_clIPxSE_SF_SF_EESI_SY_SJ_SK_SL_EUlSY_E_NS1_11comp_targetILNS1_3genE8ELNS1_11target_archE1030ELNS1_3gpuE2ELNS1_3repE0EEENS1_48merge_mergepath_partition_config_static_selectorELNS0_4arch9wavefront6targetE0EEEvSK_.has_recursion, 0
	.set _ZN7rocprim17ROCPRIM_400000_NS6detail17trampoline_kernelINS0_14default_configENS1_38merge_sort_block_merge_config_selectorIxNS0_10empty_typeEEEZZNS1_27merge_sort_block_merge_implIS3_N6thrust23THRUST_200600_302600_NS6detail15normal_iteratorINS9_10device_ptrIxEEEEPS5_m11less_div_10IxEEE10hipError_tT0_T1_T2_jT3_P12ihipStream_tbPNSt15iterator_traitsISJ_E10value_typeEPNSP_ISK_E10value_typeEPSL_NS1_7vsmem_tEENKUlT_SJ_SK_SL_E_clIPxSE_SF_SF_EESI_SY_SJ_SK_SL_EUlSY_E_NS1_11comp_targetILNS1_3genE8ELNS1_11target_archE1030ELNS1_3gpuE2ELNS1_3repE0EEENS1_48merge_mergepath_partition_config_static_selectorELNS0_4arch9wavefront6targetE0EEEvSK_.has_indirect_call, 0
	.section	.AMDGPU.csdata,"",@progbits
; Kernel info:
; codeLenInByte = 720
; TotalNumSgprs: 10
; NumVgprs: 18
; ScratchSize: 0
; MemoryBound: 0
; FloatMode: 240
; IeeeMode: 1
; LDSByteSize: 0 bytes/workgroup (compile time only)
; SGPRBlocks: 0
; VGPRBlocks: 2
; NumSGPRsForWavesPerEU: 10
; NumVGPRsForWavesPerEU: 18
; Occupancy: 16
; WaveLimiterHint : 0
; COMPUTE_PGM_RSRC2:SCRATCH_EN: 0
; COMPUTE_PGM_RSRC2:USER_SGPR: 6
; COMPUTE_PGM_RSRC2:TRAP_HANDLER: 0
; COMPUTE_PGM_RSRC2:TGID_X_EN: 1
; COMPUTE_PGM_RSRC2:TGID_Y_EN: 0
; COMPUTE_PGM_RSRC2:TGID_Z_EN: 0
; COMPUTE_PGM_RSRC2:TIDIG_COMP_CNT: 0
	.section	.text._ZN7rocprim17ROCPRIM_400000_NS6detail17trampoline_kernelINS0_14default_configENS1_38merge_sort_block_merge_config_selectorIxNS0_10empty_typeEEEZZNS1_27merge_sort_block_merge_implIS3_N6thrust23THRUST_200600_302600_NS6detail15normal_iteratorINS9_10device_ptrIxEEEEPS5_m11less_div_10IxEEE10hipError_tT0_T1_T2_jT3_P12ihipStream_tbPNSt15iterator_traitsISJ_E10value_typeEPNSP_ISK_E10value_typeEPSL_NS1_7vsmem_tEENKUlT_SJ_SK_SL_E_clIPxSE_SF_SF_EESI_SY_SJ_SK_SL_EUlSY_E0_NS1_11comp_targetILNS1_3genE0ELNS1_11target_archE4294967295ELNS1_3gpuE0ELNS1_3repE0EEENS1_38merge_mergepath_config_static_selectorELNS0_4arch9wavefront6targetE0EEEvSK_,"axG",@progbits,_ZN7rocprim17ROCPRIM_400000_NS6detail17trampoline_kernelINS0_14default_configENS1_38merge_sort_block_merge_config_selectorIxNS0_10empty_typeEEEZZNS1_27merge_sort_block_merge_implIS3_N6thrust23THRUST_200600_302600_NS6detail15normal_iteratorINS9_10device_ptrIxEEEEPS5_m11less_div_10IxEEE10hipError_tT0_T1_T2_jT3_P12ihipStream_tbPNSt15iterator_traitsISJ_E10value_typeEPNSP_ISK_E10value_typeEPSL_NS1_7vsmem_tEENKUlT_SJ_SK_SL_E_clIPxSE_SF_SF_EESI_SY_SJ_SK_SL_EUlSY_E0_NS1_11comp_targetILNS1_3genE0ELNS1_11target_archE4294967295ELNS1_3gpuE0ELNS1_3repE0EEENS1_38merge_mergepath_config_static_selectorELNS0_4arch9wavefront6targetE0EEEvSK_,comdat
	.protected	_ZN7rocprim17ROCPRIM_400000_NS6detail17trampoline_kernelINS0_14default_configENS1_38merge_sort_block_merge_config_selectorIxNS0_10empty_typeEEEZZNS1_27merge_sort_block_merge_implIS3_N6thrust23THRUST_200600_302600_NS6detail15normal_iteratorINS9_10device_ptrIxEEEEPS5_m11less_div_10IxEEE10hipError_tT0_T1_T2_jT3_P12ihipStream_tbPNSt15iterator_traitsISJ_E10value_typeEPNSP_ISK_E10value_typeEPSL_NS1_7vsmem_tEENKUlT_SJ_SK_SL_E_clIPxSE_SF_SF_EESI_SY_SJ_SK_SL_EUlSY_E0_NS1_11comp_targetILNS1_3genE0ELNS1_11target_archE4294967295ELNS1_3gpuE0ELNS1_3repE0EEENS1_38merge_mergepath_config_static_selectorELNS0_4arch9wavefront6targetE0EEEvSK_ ; -- Begin function _ZN7rocprim17ROCPRIM_400000_NS6detail17trampoline_kernelINS0_14default_configENS1_38merge_sort_block_merge_config_selectorIxNS0_10empty_typeEEEZZNS1_27merge_sort_block_merge_implIS3_N6thrust23THRUST_200600_302600_NS6detail15normal_iteratorINS9_10device_ptrIxEEEEPS5_m11less_div_10IxEEE10hipError_tT0_T1_T2_jT3_P12ihipStream_tbPNSt15iterator_traitsISJ_E10value_typeEPNSP_ISK_E10value_typeEPSL_NS1_7vsmem_tEENKUlT_SJ_SK_SL_E_clIPxSE_SF_SF_EESI_SY_SJ_SK_SL_EUlSY_E0_NS1_11comp_targetILNS1_3genE0ELNS1_11target_archE4294967295ELNS1_3gpuE0ELNS1_3repE0EEENS1_38merge_mergepath_config_static_selectorELNS0_4arch9wavefront6targetE0EEEvSK_
	.globl	_ZN7rocprim17ROCPRIM_400000_NS6detail17trampoline_kernelINS0_14default_configENS1_38merge_sort_block_merge_config_selectorIxNS0_10empty_typeEEEZZNS1_27merge_sort_block_merge_implIS3_N6thrust23THRUST_200600_302600_NS6detail15normal_iteratorINS9_10device_ptrIxEEEEPS5_m11less_div_10IxEEE10hipError_tT0_T1_T2_jT3_P12ihipStream_tbPNSt15iterator_traitsISJ_E10value_typeEPNSP_ISK_E10value_typeEPSL_NS1_7vsmem_tEENKUlT_SJ_SK_SL_E_clIPxSE_SF_SF_EESI_SY_SJ_SK_SL_EUlSY_E0_NS1_11comp_targetILNS1_3genE0ELNS1_11target_archE4294967295ELNS1_3gpuE0ELNS1_3repE0EEENS1_38merge_mergepath_config_static_selectorELNS0_4arch9wavefront6targetE0EEEvSK_
	.p2align	8
	.type	_ZN7rocprim17ROCPRIM_400000_NS6detail17trampoline_kernelINS0_14default_configENS1_38merge_sort_block_merge_config_selectorIxNS0_10empty_typeEEEZZNS1_27merge_sort_block_merge_implIS3_N6thrust23THRUST_200600_302600_NS6detail15normal_iteratorINS9_10device_ptrIxEEEEPS5_m11less_div_10IxEEE10hipError_tT0_T1_T2_jT3_P12ihipStream_tbPNSt15iterator_traitsISJ_E10value_typeEPNSP_ISK_E10value_typeEPSL_NS1_7vsmem_tEENKUlT_SJ_SK_SL_E_clIPxSE_SF_SF_EESI_SY_SJ_SK_SL_EUlSY_E0_NS1_11comp_targetILNS1_3genE0ELNS1_11target_archE4294967295ELNS1_3gpuE0ELNS1_3repE0EEENS1_38merge_mergepath_config_static_selectorELNS0_4arch9wavefront6targetE0EEEvSK_,@function
_ZN7rocprim17ROCPRIM_400000_NS6detail17trampoline_kernelINS0_14default_configENS1_38merge_sort_block_merge_config_selectorIxNS0_10empty_typeEEEZZNS1_27merge_sort_block_merge_implIS3_N6thrust23THRUST_200600_302600_NS6detail15normal_iteratorINS9_10device_ptrIxEEEEPS5_m11less_div_10IxEEE10hipError_tT0_T1_T2_jT3_P12ihipStream_tbPNSt15iterator_traitsISJ_E10value_typeEPNSP_ISK_E10value_typeEPSL_NS1_7vsmem_tEENKUlT_SJ_SK_SL_E_clIPxSE_SF_SF_EESI_SY_SJ_SK_SL_EUlSY_E0_NS1_11comp_targetILNS1_3genE0ELNS1_11target_archE4294967295ELNS1_3gpuE0ELNS1_3repE0EEENS1_38merge_mergepath_config_static_selectorELNS0_4arch9wavefront6targetE0EEEvSK_: ; @_ZN7rocprim17ROCPRIM_400000_NS6detail17trampoline_kernelINS0_14default_configENS1_38merge_sort_block_merge_config_selectorIxNS0_10empty_typeEEEZZNS1_27merge_sort_block_merge_implIS3_N6thrust23THRUST_200600_302600_NS6detail15normal_iteratorINS9_10device_ptrIxEEEEPS5_m11less_div_10IxEEE10hipError_tT0_T1_T2_jT3_P12ihipStream_tbPNSt15iterator_traitsISJ_E10value_typeEPNSP_ISK_E10value_typeEPSL_NS1_7vsmem_tEENKUlT_SJ_SK_SL_E_clIPxSE_SF_SF_EESI_SY_SJ_SK_SL_EUlSY_E0_NS1_11comp_targetILNS1_3genE0ELNS1_11target_archE4294967295ELNS1_3gpuE0ELNS1_3repE0EEENS1_38merge_mergepath_config_static_selectorELNS0_4arch9wavefront6targetE0EEEvSK_
; %bb.0:
	.section	.rodata,"a",@progbits
	.p2align	6, 0x0
	.amdhsa_kernel _ZN7rocprim17ROCPRIM_400000_NS6detail17trampoline_kernelINS0_14default_configENS1_38merge_sort_block_merge_config_selectorIxNS0_10empty_typeEEEZZNS1_27merge_sort_block_merge_implIS3_N6thrust23THRUST_200600_302600_NS6detail15normal_iteratorINS9_10device_ptrIxEEEEPS5_m11less_div_10IxEEE10hipError_tT0_T1_T2_jT3_P12ihipStream_tbPNSt15iterator_traitsISJ_E10value_typeEPNSP_ISK_E10value_typeEPSL_NS1_7vsmem_tEENKUlT_SJ_SK_SL_E_clIPxSE_SF_SF_EESI_SY_SJ_SK_SL_EUlSY_E0_NS1_11comp_targetILNS1_3genE0ELNS1_11target_archE4294967295ELNS1_3gpuE0ELNS1_3repE0EEENS1_38merge_mergepath_config_static_selectorELNS0_4arch9wavefront6targetE0EEEvSK_
		.amdhsa_group_segment_fixed_size 0
		.amdhsa_private_segment_fixed_size 0
		.amdhsa_kernarg_size 72
		.amdhsa_user_sgpr_count 6
		.amdhsa_user_sgpr_private_segment_buffer 1
		.amdhsa_user_sgpr_dispatch_ptr 0
		.amdhsa_user_sgpr_queue_ptr 0
		.amdhsa_user_sgpr_kernarg_segment_ptr 1
		.amdhsa_user_sgpr_dispatch_id 0
		.amdhsa_user_sgpr_flat_scratch_init 0
		.amdhsa_user_sgpr_private_segment_size 0
		.amdhsa_wavefront_size32 1
		.amdhsa_uses_dynamic_stack 0
		.amdhsa_system_sgpr_private_segment_wavefront_offset 0
		.amdhsa_system_sgpr_workgroup_id_x 1
		.amdhsa_system_sgpr_workgroup_id_y 0
		.amdhsa_system_sgpr_workgroup_id_z 0
		.amdhsa_system_sgpr_workgroup_info 0
		.amdhsa_system_vgpr_workitem_id 0
		.amdhsa_next_free_vgpr 1
		.amdhsa_next_free_sgpr 1
		.amdhsa_reserve_vcc 0
		.amdhsa_reserve_flat_scratch 0
		.amdhsa_float_round_mode_32 0
		.amdhsa_float_round_mode_16_64 0
		.amdhsa_float_denorm_mode_32 3
		.amdhsa_float_denorm_mode_16_64 3
		.amdhsa_dx10_clamp 1
		.amdhsa_ieee_mode 1
		.amdhsa_fp16_overflow 0
		.amdhsa_workgroup_processor_mode 1
		.amdhsa_memory_ordered 1
		.amdhsa_forward_progress 1
		.amdhsa_shared_vgpr_count 0
		.amdhsa_exception_fp_ieee_invalid_op 0
		.amdhsa_exception_fp_denorm_src 0
		.amdhsa_exception_fp_ieee_div_zero 0
		.amdhsa_exception_fp_ieee_overflow 0
		.amdhsa_exception_fp_ieee_underflow 0
		.amdhsa_exception_fp_ieee_inexact 0
		.amdhsa_exception_int_div_zero 0
	.end_amdhsa_kernel
	.section	.text._ZN7rocprim17ROCPRIM_400000_NS6detail17trampoline_kernelINS0_14default_configENS1_38merge_sort_block_merge_config_selectorIxNS0_10empty_typeEEEZZNS1_27merge_sort_block_merge_implIS3_N6thrust23THRUST_200600_302600_NS6detail15normal_iteratorINS9_10device_ptrIxEEEEPS5_m11less_div_10IxEEE10hipError_tT0_T1_T2_jT3_P12ihipStream_tbPNSt15iterator_traitsISJ_E10value_typeEPNSP_ISK_E10value_typeEPSL_NS1_7vsmem_tEENKUlT_SJ_SK_SL_E_clIPxSE_SF_SF_EESI_SY_SJ_SK_SL_EUlSY_E0_NS1_11comp_targetILNS1_3genE0ELNS1_11target_archE4294967295ELNS1_3gpuE0ELNS1_3repE0EEENS1_38merge_mergepath_config_static_selectorELNS0_4arch9wavefront6targetE0EEEvSK_,"axG",@progbits,_ZN7rocprim17ROCPRIM_400000_NS6detail17trampoline_kernelINS0_14default_configENS1_38merge_sort_block_merge_config_selectorIxNS0_10empty_typeEEEZZNS1_27merge_sort_block_merge_implIS3_N6thrust23THRUST_200600_302600_NS6detail15normal_iteratorINS9_10device_ptrIxEEEEPS5_m11less_div_10IxEEE10hipError_tT0_T1_T2_jT3_P12ihipStream_tbPNSt15iterator_traitsISJ_E10value_typeEPNSP_ISK_E10value_typeEPSL_NS1_7vsmem_tEENKUlT_SJ_SK_SL_E_clIPxSE_SF_SF_EESI_SY_SJ_SK_SL_EUlSY_E0_NS1_11comp_targetILNS1_3genE0ELNS1_11target_archE4294967295ELNS1_3gpuE0ELNS1_3repE0EEENS1_38merge_mergepath_config_static_selectorELNS0_4arch9wavefront6targetE0EEEvSK_,comdat
.Lfunc_end344:
	.size	_ZN7rocprim17ROCPRIM_400000_NS6detail17trampoline_kernelINS0_14default_configENS1_38merge_sort_block_merge_config_selectorIxNS0_10empty_typeEEEZZNS1_27merge_sort_block_merge_implIS3_N6thrust23THRUST_200600_302600_NS6detail15normal_iteratorINS9_10device_ptrIxEEEEPS5_m11less_div_10IxEEE10hipError_tT0_T1_T2_jT3_P12ihipStream_tbPNSt15iterator_traitsISJ_E10value_typeEPNSP_ISK_E10value_typeEPSL_NS1_7vsmem_tEENKUlT_SJ_SK_SL_E_clIPxSE_SF_SF_EESI_SY_SJ_SK_SL_EUlSY_E0_NS1_11comp_targetILNS1_3genE0ELNS1_11target_archE4294967295ELNS1_3gpuE0ELNS1_3repE0EEENS1_38merge_mergepath_config_static_selectorELNS0_4arch9wavefront6targetE0EEEvSK_, .Lfunc_end344-_ZN7rocprim17ROCPRIM_400000_NS6detail17trampoline_kernelINS0_14default_configENS1_38merge_sort_block_merge_config_selectorIxNS0_10empty_typeEEEZZNS1_27merge_sort_block_merge_implIS3_N6thrust23THRUST_200600_302600_NS6detail15normal_iteratorINS9_10device_ptrIxEEEEPS5_m11less_div_10IxEEE10hipError_tT0_T1_T2_jT3_P12ihipStream_tbPNSt15iterator_traitsISJ_E10value_typeEPNSP_ISK_E10value_typeEPSL_NS1_7vsmem_tEENKUlT_SJ_SK_SL_E_clIPxSE_SF_SF_EESI_SY_SJ_SK_SL_EUlSY_E0_NS1_11comp_targetILNS1_3genE0ELNS1_11target_archE4294967295ELNS1_3gpuE0ELNS1_3repE0EEENS1_38merge_mergepath_config_static_selectorELNS0_4arch9wavefront6targetE0EEEvSK_
                                        ; -- End function
	.set _ZN7rocprim17ROCPRIM_400000_NS6detail17trampoline_kernelINS0_14default_configENS1_38merge_sort_block_merge_config_selectorIxNS0_10empty_typeEEEZZNS1_27merge_sort_block_merge_implIS3_N6thrust23THRUST_200600_302600_NS6detail15normal_iteratorINS9_10device_ptrIxEEEEPS5_m11less_div_10IxEEE10hipError_tT0_T1_T2_jT3_P12ihipStream_tbPNSt15iterator_traitsISJ_E10value_typeEPNSP_ISK_E10value_typeEPSL_NS1_7vsmem_tEENKUlT_SJ_SK_SL_E_clIPxSE_SF_SF_EESI_SY_SJ_SK_SL_EUlSY_E0_NS1_11comp_targetILNS1_3genE0ELNS1_11target_archE4294967295ELNS1_3gpuE0ELNS1_3repE0EEENS1_38merge_mergepath_config_static_selectorELNS0_4arch9wavefront6targetE0EEEvSK_.num_vgpr, 0
	.set _ZN7rocprim17ROCPRIM_400000_NS6detail17trampoline_kernelINS0_14default_configENS1_38merge_sort_block_merge_config_selectorIxNS0_10empty_typeEEEZZNS1_27merge_sort_block_merge_implIS3_N6thrust23THRUST_200600_302600_NS6detail15normal_iteratorINS9_10device_ptrIxEEEEPS5_m11less_div_10IxEEE10hipError_tT0_T1_T2_jT3_P12ihipStream_tbPNSt15iterator_traitsISJ_E10value_typeEPNSP_ISK_E10value_typeEPSL_NS1_7vsmem_tEENKUlT_SJ_SK_SL_E_clIPxSE_SF_SF_EESI_SY_SJ_SK_SL_EUlSY_E0_NS1_11comp_targetILNS1_3genE0ELNS1_11target_archE4294967295ELNS1_3gpuE0ELNS1_3repE0EEENS1_38merge_mergepath_config_static_selectorELNS0_4arch9wavefront6targetE0EEEvSK_.num_agpr, 0
	.set _ZN7rocprim17ROCPRIM_400000_NS6detail17trampoline_kernelINS0_14default_configENS1_38merge_sort_block_merge_config_selectorIxNS0_10empty_typeEEEZZNS1_27merge_sort_block_merge_implIS3_N6thrust23THRUST_200600_302600_NS6detail15normal_iteratorINS9_10device_ptrIxEEEEPS5_m11less_div_10IxEEE10hipError_tT0_T1_T2_jT3_P12ihipStream_tbPNSt15iterator_traitsISJ_E10value_typeEPNSP_ISK_E10value_typeEPSL_NS1_7vsmem_tEENKUlT_SJ_SK_SL_E_clIPxSE_SF_SF_EESI_SY_SJ_SK_SL_EUlSY_E0_NS1_11comp_targetILNS1_3genE0ELNS1_11target_archE4294967295ELNS1_3gpuE0ELNS1_3repE0EEENS1_38merge_mergepath_config_static_selectorELNS0_4arch9wavefront6targetE0EEEvSK_.numbered_sgpr, 0
	.set _ZN7rocprim17ROCPRIM_400000_NS6detail17trampoline_kernelINS0_14default_configENS1_38merge_sort_block_merge_config_selectorIxNS0_10empty_typeEEEZZNS1_27merge_sort_block_merge_implIS3_N6thrust23THRUST_200600_302600_NS6detail15normal_iteratorINS9_10device_ptrIxEEEEPS5_m11less_div_10IxEEE10hipError_tT0_T1_T2_jT3_P12ihipStream_tbPNSt15iterator_traitsISJ_E10value_typeEPNSP_ISK_E10value_typeEPSL_NS1_7vsmem_tEENKUlT_SJ_SK_SL_E_clIPxSE_SF_SF_EESI_SY_SJ_SK_SL_EUlSY_E0_NS1_11comp_targetILNS1_3genE0ELNS1_11target_archE4294967295ELNS1_3gpuE0ELNS1_3repE0EEENS1_38merge_mergepath_config_static_selectorELNS0_4arch9wavefront6targetE0EEEvSK_.num_named_barrier, 0
	.set _ZN7rocprim17ROCPRIM_400000_NS6detail17trampoline_kernelINS0_14default_configENS1_38merge_sort_block_merge_config_selectorIxNS0_10empty_typeEEEZZNS1_27merge_sort_block_merge_implIS3_N6thrust23THRUST_200600_302600_NS6detail15normal_iteratorINS9_10device_ptrIxEEEEPS5_m11less_div_10IxEEE10hipError_tT0_T1_T2_jT3_P12ihipStream_tbPNSt15iterator_traitsISJ_E10value_typeEPNSP_ISK_E10value_typeEPSL_NS1_7vsmem_tEENKUlT_SJ_SK_SL_E_clIPxSE_SF_SF_EESI_SY_SJ_SK_SL_EUlSY_E0_NS1_11comp_targetILNS1_3genE0ELNS1_11target_archE4294967295ELNS1_3gpuE0ELNS1_3repE0EEENS1_38merge_mergepath_config_static_selectorELNS0_4arch9wavefront6targetE0EEEvSK_.private_seg_size, 0
	.set _ZN7rocprim17ROCPRIM_400000_NS6detail17trampoline_kernelINS0_14default_configENS1_38merge_sort_block_merge_config_selectorIxNS0_10empty_typeEEEZZNS1_27merge_sort_block_merge_implIS3_N6thrust23THRUST_200600_302600_NS6detail15normal_iteratorINS9_10device_ptrIxEEEEPS5_m11less_div_10IxEEE10hipError_tT0_T1_T2_jT3_P12ihipStream_tbPNSt15iterator_traitsISJ_E10value_typeEPNSP_ISK_E10value_typeEPSL_NS1_7vsmem_tEENKUlT_SJ_SK_SL_E_clIPxSE_SF_SF_EESI_SY_SJ_SK_SL_EUlSY_E0_NS1_11comp_targetILNS1_3genE0ELNS1_11target_archE4294967295ELNS1_3gpuE0ELNS1_3repE0EEENS1_38merge_mergepath_config_static_selectorELNS0_4arch9wavefront6targetE0EEEvSK_.uses_vcc, 0
	.set _ZN7rocprim17ROCPRIM_400000_NS6detail17trampoline_kernelINS0_14default_configENS1_38merge_sort_block_merge_config_selectorIxNS0_10empty_typeEEEZZNS1_27merge_sort_block_merge_implIS3_N6thrust23THRUST_200600_302600_NS6detail15normal_iteratorINS9_10device_ptrIxEEEEPS5_m11less_div_10IxEEE10hipError_tT0_T1_T2_jT3_P12ihipStream_tbPNSt15iterator_traitsISJ_E10value_typeEPNSP_ISK_E10value_typeEPSL_NS1_7vsmem_tEENKUlT_SJ_SK_SL_E_clIPxSE_SF_SF_EESI_SY_SJ_SK_SL_EUlSY_E0_NS1_11comp_targetILNS1_3genE0ELNS1_11target_archE4294967295ELNS1_3gpuE0ELNS1_3repE0EEENS1_38merge_mergepath_config_static_selectorELNS0_4arch9wavefront6targetE0EEEvSK_.uses_flat_scratch, 0
	.set _ZN7rocprim17ROCPRIM_400000_NS6detail17trampoline_kernelINS0_14default_configENS1_38merge_sort_block_merge_config_selectorIxNS0_10empty_typeEEEZZNS1_27merge_sort_block_merge_implIS3_N6thrust23THRUST_200600_302600_NS6detail15normal_iteratorINS9_10device_ptrIxEEEEPS5_m11less_div_10IxEEE10hipError_tT0_T1_T2_jT3_P12ihipStream_tbPNSt15iterator_traitsISJ_E10value_typeEPNSP_ISK_E10value_typeEPSL_NS1_7vsmem_tEENKUlT_SJ_SK_SL_E_clIPxSE_SF_SF_EESI_SY_SJ_SK_SL_EUlSY_E0_NS1_11comp_targetILNS1_3genE0ELNS1_11target_archE4294967295ELNS1_3gpuE0ELNS1_3repE0EEENS1_38merge_mergepath_config_static_selectorELNS0_4arch9wavefront6targetE0EEEvSK_.has_dyn_sized_stack, 0
	.set _ZN7rocprim17ROCPRIM_400000_NS6detail17trampoline_kernelINS0_14default_configENS1_38merge_sort_block_merge_config_selectorIxNS0_10empty_typeEEEZZNS1_27merge_sort_block_merge_implIS3_N6thrust23THRUST_200600_302600_NS6detail15normal_iteratorINS9_10device_ptrIxEEEEPS5_m11less_div_10IxEEE10hipError_tT0_T1_T2_jT3_P12ihipStream_tbPNSt15iterator_traitsISJ_E10value_typeEPNSP_ISK_E10value_typeEPSL_NS1_7vsmem_tEENKUlT_SJ_SK_SL_E_clIPxSE_SF_SF_EESI_SY_SJ_SK_SL_EUlSY_E0_NS1_11comp_targetILNS1_3genE0ELNS1_11target_archE4294967295ELNS1_3gpuE0ELNS1_3repE0EEENS1_38merge_mergepath_config_static_selectorELNS0_4arch9wavefront6targetE0EEEvSK_.has_recursion, 0
	.set _ZN7rocprim17ROCPRIM_400000_NS6detail17trampoline_kernelINS0_14default_configENS1_38merge_sort_block_merge_config_selectorIxNS0_10empty_typeEEEZZNS1_27merge_sort_block_merge_implIS3_N6thrust23THRUST_200600_302600_NS6detail15normal_iteratorINS9_10device_ptrIxEEEEPS5_m11less_div_10IxEEE10hipError_tT0_T1_T2_jT3_P12ihipStream_tbPNSt15iterator_traitsISJ_E10value_typeEPNSP_ISK_E10value_typeEPSL_NS1_7vsmem_tEENKUlT_SJ_SK_SL_E_clIPxSE_SF_SF_EESI_SY_SJ_SK_SL_EUlSY_E0_NS1_11comp_targetILNS1_3genE0ELNS1_11target_archE4294967295ELNS1_3gpuE0ELNS1_3repE0EEENS1_38merge_mergepath_config_static_selectorELNS0_4arch9wavefront6targetE0EEEvSK_.has_indirect_call, 0
	.section	.AMDGPU.csdata,"",@progbits
; Kernel info:
; codeLenInByte = 0
; TotalNumSgprs: 0
; NumVgprs: 0
; ScratchSize: 0
; MemoryBound: 0
; FloatMode: 240
; IeeeMode: 1
; LDSByteSize: 0 bytes/workgroup (compile time only)
; SGPRBlocks: 0
; VGPRBlocks: 0
; NumSGPRsForWavesPerEU: 1
; NumVGPRsForWavesPerEU: 1
; Occupancy: 16
; WaveLimiterHint : 0
; COMPUTE_PGM_RSRC2:SCRATCH_EN: 0
; COMPUTE_PGM_RSRC2:USER_SGPR: 6
; COMPUTE_PGM_RSRC2:TRAP_HANDLER: 0
; COMPUTE_PGM_RSRC2:TGID_X_EN: 1
; COMPUTE_PGM_RSRC2:TGID_Y_EN: 0
; COMPUTE_PGM_RSRC2:TGID_Z_EN: 0
; COMPUTE_PGM_RSRC2:TIDIG_COMP_CNT: 0
	.section	.text._ZN7rocprim17ROCPRIM_400000_NS6detail17trampoline_kernelINS0_14default_configENS1_38merge_sort_block_merge_config_selectorIxNS0_10empty_typeEEEZZNS1_27merge_sort_block_merge_implIS3_N6thrust23THRUST_200600_302600_NS6detail15normal_iteratorINS9_10device_ptrIxEEEEPS5_m11less_div_10IxEEE10hipError_tT0_T1_T2_jT3_P12ihipStream_tbPNSt15iterator_traitsISJ_E10value_typeEPNSP_ISK_E10value_typeEPSL_NS1_7vsmem_tEENKUlT_SJ_SK_SL_E_clIPxSE_SF_SF_EESI_SY_SJ_SK_SL_EUlSY_E0_NS1_11comp_targetILNS1_3genE10ELNS1_11target_archE1201ELNS1_3gpuE5ELNS1_3repE0EEENS1_38merge_mergepath_config_static_selectorELNS0_4arch9wavefront6targetE0EEEvSK_,"axG",@progbits,_ZN7rocprim17ROCPRIM_400000_NS6detail17trampoline_kernelINS0_14default_configENS1_38merge_sort_block_merge_config_selectorIxNS0_10empty_typeEEEZZNS1_27merge_sort_block_merge_implIS3_N6thrust23THRUST_200600_302600_NS6detail15normal_iteratorINS9_10device_ptrIxEEEEPS5_m11less_div_10IxEEE10hipError_tT0_T1_T2_jT3_P12ihipStream_tbPNSt15iterator_traitsISJ_E10value_typeEPNSP_ISK_E10value_typeEPSL_NS1_7vsmem_tEENKUlT_SJ_SK_SL_E_clIPxSE_SF_SF_EESI_SY_SJ_SK_SL_EUlSY_E0_NS1_11comp_targetILNS1_3genE10ELNS1_11target_archE1201ELNS1_3gpuE5ELNS1_3repE0EEENS1_38merge_mergepath_config_static_selectorELNS0_4arch9wavefront6targetE0EEEvSK_,comdat
	.protected	_ZN7rocprim17ROCPRIM_400000_NS6detail17trampoline_kernelINS0_14default_configENS1_38merge_sort_block_merge_config_selectorIxNS0_10empty_typeEEEZZNS1_27merge_sort_block_merge_implIS3_N6thrust23THRUST_200600_302600_NS6detail15normal_iteratorINS9_10device_ptrIxEEEEPS5_m11less_div_10IxEEE10hipError_tT0_T1_T2_jT3_P12ihipStream_tbPNSt15iterator_traitsISJ_E10value_typeEPNSP_ISK_E10value_typeEPSL_NS1_7vsmem_tEENKUlT_SJ_SK_SL_E_clIPxSE_SF_SF_EESI_SY_SJ_SK_SL_EUlSY_E0_NS1_11comp_targetILNS1_3genE10ELNS1_11target_archE1201ELNS1_3gpuE5ELNS1_3repE0EEENS1_38merge_mergepath_config_static_selectorELNS0_4arch9wavefront6targetE0EEEvSK_ ; -- Begin function _ZN7rocprim17ROCPRIM_400000_NS6detail17trampoline_kernelINS0_14default_configENS1_38merge_sort_block_merge_config_selectorIxNS0_10empty_typeEEEZZNS1_27merge_sort_block_merge_implIS3_N6thrust23THRUST_200600_302600_NS6detail15normal_iteratorINS9_10device_ptrIxEEEEPS5_m11less_div_10IxEEE10hipError_tT0_T1_T2_jT3_P12ihipStream_tbPNSt15iterator_traitsISJ_E10value_typeEPNSP_ISK_E10value_typeEPSL_NS1_7vsmem_tEENKUlT_SJ_SK_SL_E_clIPxSE_SF_SF_EESI_SY_SJ_SK_SL_EUlSY_E0_NS1_11comp_targetILNS1_3genE10ELNS1_11target_archE1201ELNS1_3gpuE5ELNS1_3repE0EEENS1_38merge_mergepath_config_static_selectorELNS0_4arch9wavefront6targetE0EEEvSK_
	.globl	_ZN7rocprim17ROCPRIM_400000_NS6detail17trampoline_kernelINS0_14default_configENS1_38merge_sort_block_merge_config_selectorIxNS0_10empty_typeEEEZZNS1_27merge_sort_block_merge_implIS3_N6thrust23THRUST_200600_302600_NS6detail15normal_iteratorINS9_10device_ptrIxEEEEPS5_m11less_div_10IxEEE10hipError_tT0_T1_T2_jT3_P12ihipStream_tbPNSt15iterator_traitsISJ_E10value_typeEPNSP_ISK_E10value_typeEPSL_NS1_7vsmem_tEENKUlT_SJ_SK_SL_E_clIPxSE_SF_SF_EESI_SY_SJ_SK_SL_EUlSY_E0_NS1_11comp_targetILNS1_3genE10ELNS1_11target_archE1201ELNS1_3gpuE5ELNS1_3repE0EEENS1_38merge_mergepath_config_static_selectorELNS0_4arch9wavefront6targetE0EEEvSK_
	.p2align	8
	.type	_ZN7rocprim17ROCPRIM_400000_NS6detail17trampoline_kernelINS0_14default_configENS1_38merge_sort_block_merge_config_selectorIxNS0_10empty_typeEEEZZNS1_27merge_sort_block_merge_implIS3_N6thrust23THRUST_200600_302600_NS6detail15normal_iteratorINS9_10device_ptrIxEEEEPS5_m11less_div_10IxEEE10hipError_tT0_T1_T2_jT3_P12ihipStream_tbPNSt15iterator_traitsISJ_E10value_typeEPNSP_ISK_E10value_typeEPSL_NS1_7vsmem_tEENKUlT_SJ_SK_SL_E_clIPxSE_SF_SF_EESI_SY_SJ_SK_SL_EUlSY_E0_NS1_11comp_targetILNS1_3genE10ELNS1_11target_archE1201ELNS1_3gpuE5ELNS1_3repE0EEENS1_38merge_mergepath_config_static_selectorELNS0_4arch9wavefront6targetE0EEEvSK_,@function
_ZN7rocprim17ROCPRIM_400000_NS6detail17trampoline_kernelINS0_14default_configENS1_38merge_sort_block_merge_config_selectorIxNS0_10empty_typeEEEZZNS1_27merge_sort_block_merge_implIS3_N6thrust23THRUST_200600_302600_NS6detail15normal_iteratorINS9_10device_ptrIxEEEEPS5_m11less_div_10IxEEE10hipError_tT0_T1_T2_jT3_P12ihipStream_tbPNSt15iterator_traitsISJ_E10value_typeEPNSP_ISK_E10value_typeEPSL_NS1_7vsmem_tEENKUlT_SJ_SK_SL_E_clIPxSE_SF_SF_EESI_SY_SJ_SK_SL_EUlSY_E0_NS1_11comp_targetILNS1_3genE10ELNS1_11target_archE1201ELNS1_3gpuE5ELNS1_3repE0EEENS1_38merge_mergepath_config_static_selectorELNS0_4arch9wavefront6targetE0EEEvSK_: ; @_ZN7rocprim17ROCPRIM_400000_NS6detail17trampoline_kernelINS0_14default_configENS1_38merge_sort_block_merge_config_selectorIxNS0_10empty_typeEEEZZNS1_27merge_sort_block_merge_implIS3_N6thrust23THRUST_200600_302600_NS6detail15normal_iteratorINS9_10device_ptrIxEEEEPS5_m11less_div_10IxEEE10hipError_tT0_T1_T2_jT3_P12ihipStream_tbPNSt15iterator_traitsISJ_E10value_typeEPNSP_ISK_E10value_typeEPSL_NS1_7vsmem_tEENKUlT_SJ_SK_SL_E_clIPxSE_SF_SF_EESI_SY_SJ_SK_SL_EUlSY_E0_NS1_11comp_targetILNS1_3genE10ELNS1_11target_archE1201ELNS1_3gpuE5ELNS1_3repE0EEENS1_38merge_mergepath_config_static_selectorELNS0_4arch9wavefront6targetE0EEEvSK_
; %bb.0:
	.section	.rodata,"a",@progbits
	.p2align	6, 0x0
	.amdhsa_kernel _ZN7rocprim17ROCPRIM_400000_NS6detail17trampoline_kernelINS0_14default_configENS1_38merge_sort_block_merge_config_selectorIxNS0_10empty_typeEEEZZNS1_27merge_sort_block_merge_implIS3_N6thrust23THRUST_200600_302600_NS6detail15normal_iteratorINS9_10device_ptrIxEEEEPS5_m11less_div_10IxEEE10hipError_tT0_T1_T2_jT3_P12ihipStream_tbPNSt15iterator_traitsISJ_E10value_typeEPNSP_ISK_E10value_typeEPSL_NS1_7vsmem_tEENKUlT_SJ_SK_SL_E_clIPxSE_SF_SF_EESI_SY_SJ_SK_SL_EUlSY_E0_NS1_11comp_targetILNS1_3genE10ELNS1_11target_archE1201ELNS1_3gpuE5ELNS1_3repE0EEENS1_38merge_mergepath_config_static_selectorELNS0_4arch9wavefront6targetE0EEEvSK_
		.amdhsa_group_segment_fixed_size 0
		.amdhsa_private_segment_fixed_size 0
		.amdhsa_kernarg_size 72
		.amdhsa_user_sgpr_count 6
		.amdhsa_user_sgpr_private_segment_buffer 1
		.amdhsa_user_sgpr_dispatch_ptr 0
		.amdhsa_user_sgpr_queue_ptr 0
		.amdhsa_user_sgpr_kernarg_segment_ptr 1
		.amdhsa_user_sgpr_dispatch_id 0
		.amdhsa_user_sgpr_flat_scratch_init 0
		.amdhsa_user_sgpr_private_segment_size 0
		.amdhsa_wavefront_size32 1
		.amdhsa_uses_dynamic_stack 0
		.amdhsa_system_sgpr_private_segment_wavefront_offset 0
		.amdhsa_system_sgpr_workgroup_id_x 1
		.amdhsa_system_sgpr_workgroup_id_y 0
		.amdhsa_system_sgpr_workgroup_id_z 0
		.amdhsa_system_sgpr_workgroup_info 0
		.amdhsa_system_vgpr_workitem_id 0
		.amdhsa_next_free_vgpr 1
		.amdhsa_next_free_sgpr 1
		.amdhsa_reserve_vcc 0
		.amdhsa_reserve_flat_scratch 0
		.amdhsa_float_round_mode_32 0
		.amdhsa_float_round_mode_16_64 0
		.amdhsa_float_denorm_mode_32 3
		.amdhsa_float_denorm_mode_16_64 3
		.amdhsa_dx10_clamp 1
		.amdhsa_ieee_mode 1
		.amdhsa_fp16_overflow 0
		.amdhsa_workgroup_processor_mode 1
		.amdhsa_memory_ordered 1
		.amdhsa_forward_progress 1
		.amdhsa_shared_vgpr_count 0
		.amdhsa_exception_fp_ieee_invalid_op 0
		.amdhsa_exception_fp_denorm_src 0
		.amdhsa_exception_fp_ieee_div_zero 0
		.amdhsa_exception_fp_ieee_overflow 0
		.amdhsa_exception_fp_ieee_underflow 0
		.amdhsa_exception_fp_ieee_inexact 0
		.amdhsa_exception_int_div_zero 0
	.end_amdhsa_kernel
	.section	.text._ZN7rocprim17ROCPRIM_400000_NS6detail17trampoline_kernelINS0_14default_configENS1_38merge_sort_block_merge_config_selectorIxNS0_10empty_typeEEEZZNS1_27merge_sort_block_merge_implIS3_N6thrust23THRUST_200600_302600_NS6detail15normal_iteratorINS9_10device_ptrIxEEEEPS5_m11less_div_10IxEEE10hipError_tT0_T1_T2_jT3_P12ihipStream_tbPNSt15iterator_traitsISJ_E10value_typeEPNSP_ISK_E10value_typeEPSL_NS1_7vsmem_tEENKUlT_SJ_SK_SL_E_clIPxSE_SF_SF_EESI_SY_SJ_SK_SL_EUlSY_E0_NS1_11comp_targetILNS1_3genE10ELNS1_11target_archE1201ELNS1_3gpuE5ELNS1_3repE0EEENS1_38merge_mergepath_config_static_selectorELNS0_4arch9wavefront6targetE0EEEvSK_,"axG",@progbits,_ZN7rocprim17ROCPRIM_400000_NS6detail17trampoline_kernelINS0_14default_configENS1_38merge_sort_block_merge_config_selectorIxNS0_10empty_typeEEEZZNS1_27merge_sort_block_merge_implIS3_N6thrust23THRUST_200600_302600_NS6detail15normal_iteratorINS9_10device_ptrIxEEEEPS5_m11less_div_10IxEEE10hipError_tT0_T1_T2_jT3_P12ihipStream_tbPNSt15iterator_traitsISJ_E10value_typeEPNSP_ISK_E10value_typeEPSL_NS1_7vsmem_tEENKUlT_SJ_SK_SL_E_clIPxSE_SF_SF_EESI_SY_SJ_SK_SL_EUlSY_E0_NS1_11comp_targetILNS1_3genE10ELNS1_11target_archE1201ELNS1_3gpuE5ELNS1_3repE0EEENS1_38merge_mergepath_config_static_selectorELNS0_4arch9wavefront6targetE0EEEvSK_,comdat
.Lfunc_end345:
	.size	_ZN7rocprim17ROCPRIM_400000_NS6detail17trampoline_kernelINS0_14default_configENS1_38merge_sort_block_merge_config_selectorIxNS0_10empty_typeEEEZZNS1_27merge_sort_block_merge_implIS3_N6thrust23THRUST_200600_302600_NS6detail15normal_iteratorINS9_10device_ptrIxEEEEPS5_m11less_div_10IxEEE10hipError_tT0_T1_T2_jT3_P12ihipStream_tbPNSt15iterator_traitsISJ_E10value_typeEPNSP_ISK_E10value_typeEPSL_NS1_7vsmem_tEENKUlT_SJ_SK_SL_E_clIPxSE_SF_SF_EESI_SY_SJ_SK_SL_EUlSY_E0_NS1_11comp_targetILNS1_3genE10ELNS1_11target_archE1201ELNS1_3gpuE5ELNS1_3repE0EEENS1_38merge_mergepath_config_static_selectorELNS0_4arch9wavefront6targetE0EEEvSK_, .Lfunc_end345-_ZN7rocprim17ROCPRIM_400000_NS6detail17trampoline_kernelINS0_14default_configENS1_38merge_sort_block_merge_config_selectorIxNS0_10empty_typeEEEZZNS1_27merge_sort_block_merge_implIS3_N6thrust23THRUST_200600_302600_NS6detail15normal_iteratorINS9_10device_ptrIxEEEEPS5_m11less_div_10IxEEE10hipError_tT0_T1_T2_jT3_P12ihipStream_tbPNSt15iterator_traitsISJ_E10value_typeEPNSP_ISK_E10value_typeEPSL_NS1_7vsmem_tEENKUlT_SJ_SK_SL_E_clIPxSE_SF_SF_EESI_SY_SJ_SK_SL_EUlSY_E0_NS1_11comp_targetILNS1_3genE10ELNS1_11target_archE1201ELNS1_3gpuE5ELNS1_3repE0EEENS1_38merge_mergepath_config_static_selectorELNS0_4arch9wavefront6targetE0EEEvSK_
                                        ; -- End function
	.set _ZN7rocprim17ROCPRIM_400000_NS6detail17trampoline_kernelINS0_14default_configENS1_38merge_sort_block_merge_config_selectorIxNS0_10empty_typeEEEZZNS1_27merge_sort_block_merge_implIS3_N6thrust23THRUST_200600_302600_NS6detail15normal_iteratorINS9_10device_ptrIxEEEEPS5_m11less_div_10IxEEE10hipError_tT0_T1_T2_jT3_P12ihipStream_tbPNSt15iterator_traitsISJ_E10value_typeEPNSP_ISK_E10value_typeEPSL_NS1_7vsmem_tEENKUlT_SJ_SK_SL_E_clIPxSE_SF_SF_EESI_SY_SJ_SK_SL_EUlSY_E0_NS1_11comp_targetILNS1_3genE10ELNS1_11target_archE1201ELNS1_3gpuE5ELNS1_3repE0EEENS1_38merge_mergepath_config_static_selectorELNS0_4arch9wavefront6targetE0EEEvSK_.num_vgpr, 0
	.set _ZN7rocprim17ROCPRIM_400000_NS6detail17trampoline_kernelINS0_14default_configENS1_38merge_sort_block_merge_config_selectorIxNS0_10empty_typeEEEZZNS1_27merge_sort_block_merge_implIS3_N6thrust23THRUST_200600_302600_NS6detail15normal_iteratorINS9_10device_ptrIxEEEEPS5_m11less_div_10IxEEE10hipError_tT0_T1_T2_jT3_P12ihipStream_tbPNSt15iterator_traitsISJ_E10value_typeEPNSP_ISK_E10value_typeEPSL_NS1_7vsmem_tEENKUlT_SJ_SK_SL_E_clIPxSE_SF_SF_EESI_SY_SJ_SK_SL_EUlSY_E0_NS1_11comp_targetILNS1_3genE10ELNS1_11target_archE1201ELNS1_3gpuE5ELNS1_3repE0EEENS1_38merge_mergepath_config_static_selectorELNS0_4arch9wavefront6targetE0EEEvSK_.num_agpr, 0
	.set _ZN7rocprim17ROCPRIM_400000_NS6detail17trampoline_kernelINS0_14default_configENS1_38merge_sort_block_merge_config_selectorIxNS0_10empty_typeEEEZZNS1_27merge_sort_block_merge_implIS3_N6thrust23THRUST_200600_302600_NS6detail15normal_iteratorINS9_10device_ptrIxEEEEPS5_m11less_div_10IxEEE10hipError_tT0_T1_T2_jT3_P12ihipStream_tbPNSt15iterator_traitsISJ_E10value_typeEPNSP_ISK_E10value_typeEPSL_NS1_7vsmem_tEENKUlT_SJ_SK_SL_E_clIPxSE_SF_SF_EESI_SY_SJ_SK_SL_EUlSY_E0_NS1_11comp_targetILNS1_3genE10ELNS1_11target_archE1201ELNS1_3gpuE5ELNS1_3repE0EEENS1_38merge_mergepath_config_static_selectorELNS0_4arch9wavefront6targetE0EEEvSK_.numbered_sgpr, 0
	.set _ZN7rocprim17ROCPRIM_400000_NS6detail17trampoline_kernelINS0_14default_configENS1_38merge_sort_block_merge_config_selectorIxNS0_10empty_typeEEEZZNS1_27merge_sort_block_merge_implIS3_N6thrust23THRUST_200600_302600_NS6detail15normal_iteratorINS9_10device_ptrIxEEEEPS5_m11less_div_10IxEEE10hipError_tT0_T1_T2_jT3_P12ihipStream_tbPNSt15iterator_traitsISJ_E10value_typeEPNSP_ISK_E10value_typeEPSL_NS1_7vsmem_tEENKUlT_SJ_SK_SL_E_clIPxSE_SF_SF_EESI_SY_SJ_SK_SL_EUlSY_E0_NS1_11comp_targetILNS1_3genE10ELNS1_11target_archE1201ELNS1_3gpuE5ELNS1_3repE0EEENS1_38merge_mergepath_config_static_selectorELNS0_4arch9wavefront6targetE0EEEvSK_.num_named_barrier, 0
	.set _ZN7rocprim17ROCPRIM_400000_NS6detail17trampoline_kernelINS0_14default_configENS1_38merge_sort_block_merge_config_selectorIxNS0_10empty_typeEEEZZNS1_27merge_sort_block_merge_implIS3_N6thrust23THRUST_200600_302600_NS6detail15normal_iteratorINS9_10device_ptrIxEEEEPS5_m11less_div_10IxEEE10hipError_tT0_T1_T2_jT3_P12ihipStream_tbPNSt15iterator_traitsISJ_E10value_typeEPNSP_ISK_E10value_typeEPSL_NS1_7vsmem_tEENKUlT_SJ_SK_SL_E_clIPxSE_SF_SF_EESI_SY_SJ_SK_SL_EUlSY_E0_NS1_11comp_targetILNS1_3genE10ELNS1_11target_archE1201ELNS1_3gpuE5ELNS1_3repE0EEENS1_38merge_mergepath_config_static_selectorELNS0_4arch9wavefront6targetE0EEEvSK_.private_seg_size, 0
	.set _ZN7rocprim17ROCPRIM_400000_NS6detail17trampoline_kernelINS0_14default_configENS1_38merge_sort_block_merge_config_selectorIxNS0_10empty_typeEEEZZNS1_27merge_sort_block_merge_implIS3_N6thrust23THRUST_200600_302600_NS6detail15normal_iteratorINS9_10device_ptrIxEEEEPS5_m11less_div_10IxEEE10hipError_tT0_T1_T2_jT3_P12ihipStream_tbPNSt15iterator_traitsISJ_E10value_typeEPNSP_ISK_E10value_typeEPSL_NS1_7vsmem_tEENKUlT_SJ_SK_SL_E_clIPxSE_SF_SF_EESI_SY_SJ_SK_SL_EUlSY_E0_NS1_11comp_targetILNS1_3genE10ELNS1_11target_archE1201ELNS1_3gpuE5ELNS1_3repE0EEENS1_38merge_mergepath_config_static_selectorELNS0_4arch9wavefront6targetE0EEEvSK_.uses_vcc, 0
	.set _ZN7rocprim17ROCPRIM_400000_NS6detail17trampoline_kernelINS0_14default_configENS1_38merge_sort_block_merge_config_selectorIxNS0_10empty_typeEEEZZNS1_27merge_sort_block_merge_implIS3_N6thrust23THRUST_200600_302600_NS6detail15normal_iteratorINS9_10device_ptrIxEEEEPS5_m11less_div_10IxEEE10hipError_tT0_T1_T2_jT3_P12ihipStream_tbPNSt15iterator_traitsISJ_E10value_typeEPNSP_ISK_E10value_typeEPSL_NS1_7vsmem_tEENKUlT_SJ_SK_SL_E_clIPxSE_SF_SF_EESI_SY_SJ_SK_SL_EUlSY_E0_NS1_11comp_targetILNS1_3genE10ELNS1_11target_archE1201ELNS1_3gpuE5ELNS1_3repE0EEENS1_38merge_mergepath_config_static_selectorELNS0_4arch9wavefront6targetE0EEEvSK_.uses_flat_scratch, 0
	.set _ZN7rocprim17ROCPRIM_400000_NS6detail17trampoline_kernelINS0_14default_configENS1_38merge_sort_block_merge_config_selectorIxNS0_10empty_typeEEEZZNS1_27merge_sort_block_merge_implIS3_N6thrust23THRUST_200600_302600_NS6detail15normal_iteratorINS9_10device_ptrIxEEEEPS5_m11less_div_10IxEEE10hipError_tT0_T1_T2_jT3_P12ihipStream_tbPNSt15iterator_traitsISJ_E10value_typeEPNSP_ISK_E10value_typeEPSL_NS1_7vsmem_tEENKUlT_SJ_SK_SL_E_clIPxSE_SF_SF_EESI_SY_SJ_SK_SL_EUlSY_E0_NS1_11comp_targetILNS1_3genE10ELNS1_11target_archE1201ELNS1_3gpuE5ELNS1_3repE0EEENS1_38merge_mergepath_config_static_selectorELNS0_4arch9wavefront6targetE0EEEvSK_.has_dyn_sized_stack, 0
	.set _ZN7rocprim17ROCPRIM_400000_NS6detail17trampoline_kernelINS0_14default_configENS1_38merge_sort_block_merge_config_selectorIxNS0_10empty_typeEEEZZNS1_27merge_sort_block_merge_implIS3_N6thrust23THRUST_200600_302600_NS6detail15normal_iteratorINS9_10device_ptrIxEEEEPS5_m11less_div_10IxEEE10hipError_tT0_T1_T2_jT3_P12ihipStream_tbPNSt15iterator_traitsISJ_E10value_typeEPNSP_ISK_E10value_typeEPSL_NS1_7vsmem_tEENKUlT_SJ_SK_SL_E_clIPxSE_SF_SF_EESI_SY_SJ_SK_SL_EUlSY_E0_NS1_11comp_targetILNS1_3genE10ELNS1_11target_archE1201ELNS1_3gpuE5ELNS1_3repE0EEENS1_38merge_mergepath_config_static_selectorELNS0_4arch9wavefront6targetE0EEEvSK_.has_recursion, 0
	.set _ZN7rocprim17ROCPRIM_400000_NS6detail17trampoline_kernelINS0_14default_configENS1_38merge_sort_block_merge_config_selectorIxNS0_10empty_typeEEEZZNS1_27merge_sort_block_merge_implIS3_N6thrust23THRUST_200600_302600_NS6detail15normal_iteratorINS9_10device_ptrIxEEEEPS5_m11less_div_10IxEEE10hipError_tT0_T1_T2_jT3_P12ihipStream_tbPNSt15iterator_traitsISJ_E10value_typeEPNSP_ISK_E10value_typeEPSL_NS1_7vsmem_tEENKUlT_SJ_SK_SL_E_clIPxSE_SF_SF_EESI_SY_SJ_SK_SL_EUlSY_E0_NS1_11comp_targetILNS1_3genE10ELNS1_11target_archE1201ELNS1_3gpuE5ELNS1_3repE0EEENS1_38merge_mergepath_config_static_selectorELNS0_4arch9wavefront6targetE0EEEvSK_.has_indirect_call, 0
	.section	.AMDGPU.csdata,"",@progbits
; Kernel info:
; codeLenInByte = 0
; TotalNumSgprs: 0
; NumVgprs: 0
; ScratchSize: 0
; MemoryBound: 0
; FloatMode: 240
; IeeeMode: 1
; LDSByteSize: 0 bytes/workgroup (compile time only)
; SGPRBlocks: 0
; VGPRBlocks: 0
; NumSGPRsForWavesPerEU: 1
; NumVGPRsForWavesPerEU: 1
; Occupancy: 16
; WaveLimiterHint : 0
; COMPUTE_PGM_RSRC2:SCRATCH_EN: 0
; COMPUTE_PGM_RSRC2:USER_SGPR: 6
; COMPUTE_PGM_RSRC2:TRAP_HANDLER: 0
; COMPUTE_PGM_RSRC2:TGID_X_EN: 1
; COMPUTE_PGM_RSRC2:TGID_Y_EN: 0
; COMPUTE_PGM_RSRC2:TGID_Z_EN: 0
; COMPUTE_PGM_RSRC2:TIDIG_COMP_CNT: 0
	.section	.text._ZN7rocprim17ROCPRIM_400000_NS6detail17trampoline_kernelINS0_14default_configENS1_38merge_sort_block_merge_config_selectorIxNS0_10empty_typeEEEZZNS1_27merge_sort_block_merge_implIS3_N6thrust23THRUST_200600_302600_NS6detail15normal_iteratorINS9_10device_ptrIxEEEEPS5_m11less_div_10IxEEE10hipError_tT0_T1_T2_jT3_P12ihipStream_tbPNSt15iterator_traitsISJ_E10value_typeEPNSP_ISK_E10value_typeEPSL_NS1_7vsmem_tEENKUlT_SJ_SK_SL_E_clIPxSE_SF_SF_EESI_SY_SJ_SK_SL_EUlSY_E0_NS1_11comp_targetILNS1_3genE5ELNS1_11target_archE942ELNS1_3gpuE9ELNS1_3repE0EEENS1_38merge_mergepath_config_static_selectorELNS0_4arch9wavefront6targetE0EEEvSK_,"axG",@progbits,_ZN7rocprim17ROCPRIM_400000_NS6detail17trampoline_kernelINS0_14default_configENS1_38merge_sort_block_merge_config_selectorIxNS0_10empty_typeEEEZZNS1_27merge_sort_block_merge_implIS3_N6thrust23THRUST_200600_302600_NS6detail15normal_iteratorINS9_10device_ptrIxEEEEPS5_m11less_div_10IxEEE10hipError_tT0_T1_T2_jT3_P12ihipStream_tbPNSt15iterator_traitsISJ_E10value_typeEPNSP_ISK_E10value_typeEPSL_NS1_7vsmem_tEENKUlT_SJ_SK_SL_E_clIPxSE_SF_SF_EESI_SY_SJ_SK_SL_EUlSY_E0_NS1_11comp_targetILNS1_3genE5ELNS1_11target_archE942ELNS1_3gpuE9ELNS1_3repE0EEENS1_38merge_mergepath_config_static_selectorELNS0_4arch9wavefront6targetE0EEEvSK_,comdat
	.protected	_ZN7rocprim17ROCPRIM_400000_NS6detail17trampoline_kernelINS0_14default_configENS1_38merge_sort_block_merge_config_selectorIxNS0_10empty_typeEEEZZNS1_27merge_sort_block_merge_implIS3_N6thrust23THRUST_200600_302600_NS6detail15normal_iteratorINS9_10device_ptrIxEEEEPS5_m11less_div_10IxEEE10hipError_tT0_T1_T2_jT3_P12ihipStream_tbPNSt15iterator_traitsISJ_E10value_typeEPNSP_ISK_E10value_typeEPSL_NS1_7vsmem_tEENKUlT_SJ_SK_SL_E_clIPxSE_SF_SF_EESI_SY_SJ_SK_SL_EUlSY_E0_NS1_11comp_targetILNS1_3genE5ELNS1_11target_archE942ELNS1_3gpuE9ELNS1_3repE0EEENS1_38merge_mergepath_config_static_selectorELNS0_4arch9wavefront6targetE0EEEvSK_ ; -- Begin function _ZN7rocprim17ROCPRIM_400000_NS6detail17trampoline_kernelINS0_14default_configENS1_38merge_sort_block_merge_config_selectorIxNS0_10empty_typeEEEZZNS1_27merge_sort_block_merge_implIS3_N6thrust23THRUST_200600_302600_NS6detail15normal_iteratorINS9_10device_ptrIxEEEEPS5_m11less_div_10IxEEE10hipError_tT0_T1_T2_jT3_P12ihipStream_tbPNSt15iterator_traitsISJ_E10value_typeEPNSP_ISK_E10value_typeEPSL_NS1_7vsmem_tEENKUlT_SJ_SK_SL_E_clIPxSE_SF_SF_EESI_SY_SJ_SK_SL_EUlSY_E0_NS1_11comp_targetILNS1_3genE5ELNS1_11target_archE942ELNS1_3gpuE9ELNS1_3repE0EEENS1_38merge_mergepath_config_static_selectorELNS0_4arch9wavefront6targetE0EEEvSK_
	.globl	_ZN7rocprim17ROCPRIM_400000_NS6detail17trampoline_kernelINS0_14default_configENS1_38merge_sort_block_merge_config_selectorIxNS0_10empty_typeEEEZZNS1_27merge_sort_block_merge_implIS3_N6thrust23THRUST_200600_302600_NS6detail15normal_iteratorINS9_10device_ptrIxEEEEPS5_m11less_div_10IxEEE10hipError_tT0_T1_T2_jT3_P12ihipStream_tbPNSt15iterator_traitsISJ_E10value_typeEPNSP_ISK_E10value_typeEPSL_NS1_7vsmem_tEENKUlT_SJ_SK_SL_E_clIPxSE_SF_SF_EESI_SY_SJ_SK_SL_EUlSY_E0_NS1_11comp_targetILNS1_3genE5ELNS1_11target_archE942ELNS1_3gpuE9ELNS1_3repE0EEENS1_38merge_mergepath_config_static_selectorELNS0_4arch9wavefront6targetE0EEEvSK_
	.p2align	8
	.type	_ZN7rocprim17ROCPRIM_400000_NS6detail17trampoline_kernelINS0_14default_configENS1_38merge_sort_block_merge_config_selectorIxNS0_10empty_typeEEEZZNS1_27merge_sort_block_merge_implIS3_N6thrust23THRUST_200600_302600_NS6detail15normal_iteratorINS9_10device_ptrIxEEEEPS5_m11less_div_10IxEEE10hipError_tT0_T1_T2_jT3_P12ihipStream_tbPNSt15iterator_traitsISJ_E10value_typeEPNSP_ISK_E10value_typeEPSL_NS1_7vsmem_tEENKUlT_SJ_SK_SL_E_clIPxSE_SF_SF_EESI_SY_SJ_SK_SL_EUlSY_E0_NS1_11comp_targetILNS1_3genE5ELNS1_11target_archE942ELNS1_3gpuE9ELNS1_3repE0EEENS1_38merge_mergepath_config_static_selectorELNS0_4arch9wavefront6targetE0EEEvSK_,@function
_ZN7rocprim17ROCPRIM_400000_NS6detail17trampoline_kernelINS0_14default_configENS1_38merge_sort_block_merge_config_selectorIxNS0_10empty_typeEEEZZNS1_27merge_sort_block_merge_implIS3_N6thrust23THRUST_200600_302600_NS6detail15normal_iteratorINS9_10device_ptrIxEEEEPS5_m11less_div_10IxEEE10hipError_tT0_T1_T2_jT3_P12ihipStream_tbPNSt15iterator_traitsISJ_E10value_typeEPNSP_ISK_E10value_typeEPSL_NS1_7vsmem_tEENKUlT_SJ_SK_SL_E_clIPxSE_SF_SF_EESI_SY_SJ_SK_SL_EUlSY_E0_NS1_11comp_targetILNS1_3genE5ELNS1_11target_archE942ELNS1_3gpuE9ELNS1_3repE0EEENS1_38merge_mergepath_config_static_selectorELNS0_4arch9wavefront6targetE0EEEvSK_: ; @_ZN7rocprim17ROCPRIM_400000_NS6detail17trampoline_kernelINS0_14default_configENS1_38merge_sort_block_merge_config_selectorIxNS0_10empty_typeEEEZZNS1_27merge_sort_block_merge_implIS3_N6thrust23THRUST_200600_302600_NS6detail15normal_iteratorINS9_10device_ptrIxEEEEPS5_m11less_div_10IxEEE10hipError_tT0_T1_T2_jT3_P12ihipStream_tbPNSt15iterator_traitsISJ_E10value_typeEPNSP_ISK_E10value_typeEPSL_NS1_7vsmem_tEENKUlT_SJ_SK_SL_E_clIPxSE_SF_SF_EESI_SY_SJ_SK_SL_EUlSY_E0_NS1_11comp_targetILNS1_3genE5ELNS1_11target_archE942ELNS1_3gpuE9ELNS1_3repE0EEENS1_38merge_mergepath_config_static_selectorELNS0_4arch9wavefront6targetE0EEEvSK_
; %bb.0:
	.section	.rodata,"a",@progbits
	.p2align	6, 0x0
	.amdhsa_kernel _ZN7rocprim17ROCPRIM_400000_NS6detail17trampoline_kernelINS0_14default_configENS1_38merge_sort_block_merge_config_selectorIxNS0_10empty_typeEEEZZNS1_27merge_sort_block_merge_implIS3_N6thrust23THRUST_200600_302600_NS6detail15normal_iteratorINS9_10device_ptrIxEEEEPS5_m11less_div_10IxEEE10hipError_tT0_T1_T2_jT3_P12ihipStream_tbPNSt15iterator_traitsISJ_E10value_typeEPNSP_ISK_E10value_typeEPSL_NS1_7vsmem_tEENKUlT_SJ_SK_SL_E_clIPxSE_SF_SF_EESI_SY_SJ_SK_SL_EUlSY_E0_NS1_11comp_targetILNS1_3genE5ELNS1_11target_archE942ELNS1_3gpuE9ELNS1_3repE0EEENS1_38merge_mergepath_config_static_selectorELNS0_4arch9wavefront6targetE0EEEvSK_
		.amdhsa_group_segment_fixed_size 0
		.amdhsa_private_segment_fixed_size 0
		.amdhsa_kernarg_size 72
		.amdhsa_user_sgpr_count 6
		.amdhsa_user_sgpr_private_segment_buffer 1
		.amdhsa_user_sgpr_dispatch_ptr 0
		.amdhsa_user_sgpr_queue_ptr 0
		.amdhsa_user_sgpr_kernarg_segment_ptr 1
		.amdhsa_user_sgpr_dispatch_id 0
		.amdhsa_user_sgpr_flat_scratch_init 0
		.amdhsa_user_sgpr_private_segment_size 0
		.amdhsa_wavefront_size32 1
		.amdhsa_uses_dynamic_stack 0
		.amdhsa_system_sgpr_private_segment_wavefront_offset 0
		.amdhsa_system_sgpr_workgroup_id_x 1
		.amdhsa_system_sgpr_workgroup_id_y 0
		.amdhsa_system_sgpr_workgroup_id_z 0
		.amdhsa_system_sgpr_workgroup_info 0
		.amdhsa_system_vgpr_workitem_id 0
		.amdhsa_next_free_vgpr 1
		.amdhsa_next_free_sgpr 1
		.amdhsa_reserve_vcc 0
		.amdhsa_reserve_flat_scratch 0
		.amdhsa_float_round_mode_32 0
		.amdhsa_float_round_mode_16_64 0
		.amdhsa_float_denorm_mode_32 3
		.amdhsa_float_denorm_mode_16_64 3
		.amdhsa_dx10_clamp 1
		.amdhsa_ieee_mode 1
		.amdhsa_fp16_overflow 0
		.amdhsa_workgroup_processor_mode 1
		.amdhsa_memory_ordered 1
		.amdhsa_forward_progress 1
		.amdhsa_shared_vgpr_count 0
		.amdhsa_exception_fp_ieee_invalid_op 0
		.amdhsa_exception_fp_denorm_src 0
		.amdhsa_exception_fp_ieee_div_zero 0
		.amdhsa_exception_fp_ieee_overflow 0
		.amdhsa_exception_fp_ieee_underflow 0
		.amdhsa_exception_fp_ieee_inexact 0
		.amdhsa_exception_int_div_zero 0
	.end_amdhsa_kernel
	.section	.text._ZN7rocprim17ROCPRIM_400000_NS6detail17trampoline_kernelINS0_14default_configENS1_38merge_sort_block_merge_config_selectorIxNS0_10empty_typeEEEZZNS1_27merge_sort_block_merge_implIS3_N6thrust23THRUST_200600_302600_NS6detail15normal_iteratorINS9_10device_ptrIxEEEEPS5_m11less_div_10IxEEE10hipError_tT0_T1_T2_jT3_P12ihipStream_tbPNSt15iterator_traitsISJ_E10value_typeEPNSP_ISK_E10value_typeEPSL_NS1_7vsmem_tEENKUlT_SJ_SK_SL_E_clIPxSE_SF_SF_EESI_SY_SJ_SK_SL_EUlSY_E0_NS1_11comp_targetILNS1_3genE5ELNS1_11target_archE942ELNS1_3gpuE9ELNS1_3repE0EEENS1_38merge_mergepath_config_static_selectorELNS0_4arch9wavefront6targetE0EEEvSK_,"axG",@progbits,_ZN7rocprim17ROCPRIM_400000_NS6detail17trampoline_kernelINS0_14default_configENS1_38merge_sort_block_merge_config_selectorIxNS0_10empty_typeEEEZZNS1_27merge_sort_block_merge_implIS3_N6thrust23THRUST_200600_302600_NS6detail15normal_iteratorINS9_10device_ptrIxEEEEPS5_m11less_div_10IxEEE10hipError_tT0_T1_T2_jT3_P12ihipStream_tbPNSt15iterator_traitsISJ_E10value_typeEPNSP_ISK_E10value_typeEPSL_NS1_7vsmem_tEENKUlT_SJ_SK_SL_E_clIPxSE_SF_SF_EESI_SY_SJ_SK_SL_EUlSY_E0_NS1_11comp_targetILNS1_3genE5ELNS1_11target_archE942ELNS1_3gpuE9ELNS1_3repE0EEENS1_38merge_mergepath_config_static_selectorELNS0_4arch9wavefront6targetE0EEEvSK_,comdat
.Lfunc_end346:
	.size	_ZN7rocprim17ROCPRIM_400000_NS6detail17trampoline_kernelINS0_14default_configENS1_38merge_sort_block_merge_config_selectorIxNS0_10empty_typeEEEZZNS1_27merge_sort_block_merge_implIS3_N6thrust23THRUST_200600_302600_NS6detail15normal_iteratorINS9_10device_ptrIxEEEEPS5_m11less_div_10IxEEE10hipError_tT0_T1_T2_jT3_P12ihipStream_tbPNSt15iterator_traitsISJ_E10value_typeEPNSP_ISK_E10value_typeEPSL_NS1_7vsmem_tEENKUlT_SJ_SK_SL_E_clIPxSE_SF_SF_EESI_SY_SJ_SK_SL_EUlSY_E0_NS1_11comp_targetILNS1_3genE5ELNS1_11target_archE942ELNS1_3gpuE9ELNS1_3repE0EEENS1_38merge_mergepath_config_static_selectorELNS0_4arch9wavefront6targetE0EEEvSK_, .Lfunc_end346-_ZN7rocprim17ROCPRIM_400000_NS6detail17trampoline_kernelINS0_14default_configENS1_38merge_sort_block_merge_config_selectorIxNS0_10empty_typeEEEZZNS1_27merge_sort_block_merge_implIS3_N6thrust23THRUST_200600_302600_NS6detail15normal_iteratorINS9_10device_ptrIxEEEEPS5_m11less_div_10IxEEE10hipError_tT0_T1_T2_jT3_P12ihipStream_tbPNSt15iterator_traitsISJ_E10value_typeEPNSP_ISK_E10value_typeEPSL_NS1_7vsmem_tEENKUlT_SJ_SK_SL_E_clIPxSE_SF_SF_EESI_SY_SJ_SK_SL_EUlSY_E0_NS1_11comp_targetILNS1_3genE5ELNS1_11target_archE942ELNS1_3gpuE9ELNS1_3repE0EEENS1_38merge_mergepath_config_static_selectorELNS0_4arch9wavefront6targetE0EEEvSK_
                                        ; -- End function
	.set _ZN7rocprim17ROCPRIM_400000_NS6detail17trampoline_kernelINS0_14default_configENS1_38merge_sort_block_merge_config_selectorIxNS0_10empty_typeEEEZZNS1_27merge_sort_block_merge_implIS3_N6thrust23THRUST_200600_302600_NS6detail15normal_iteratorINS9_10device_ptrIxEEEEPS5_m11less_div_10IxEEE10hipError_tT0_T1_T2_jT3_P12ihipStream_tbPNSt15iterator_traitsISJ_E10value_typeEPNSP_ISK_E10value_typeEPSL_NS1_7vsmem_tEENKUlT_SJ_SK_SL_E_clIPxSE_SF_SF_EESI_SY_SJ_SK_SL_EUlSY_E0_NS1_11comp_targetILNS1_3genE5ELNS1_11target_archE942ELNS1_3gpuE9ELNS1_3repE0EEENS1_38merge_mergepath_config_static_selectorELNS0_4arch9wavefront6targetE0EEEvSK_.num_vgpr, 0
	.set _ZN7rocprim17ROCPRIM_400000_NS6detail17trampoline_kernelINS0_14default_configENS1_38merge_sort_block_merge_config_selectorIxNS0_10empty_typeEEEZZNS1_27merge_sort_block_merge_implIS3_N6thrust23THRUST_200600_302600_NS6detail15normal_iteratorINS9_10device_ptrIxEEEEPS5_m11less_div_10IxEEE10hipError_tT0_T1_T2_jT3_P12ihipStream_tbPNSt15iterator_traitsISJ_E10value_typeEPNSP_ISK_E10value_typeEPSL_NS1_7vsmem_tEENKUlT_SJ_SK_SL_E_clIPxSE_SF_SF_EESI_SY_SJ_SK_SL_EUlSY_E0_NS1_11comp_targetILNS1_3genE5ELNS1_11target_archE942ELNS1_3gpuE9ELNS1_3repE0EEENS1_38merge_mergepath_config_static_selectorELNS0_4arch9wavefront6targetE0EEEvSK_.num_agpr, 0
	.set _ZN7rocprim17ROCPRIM_400000_NS6detail17trampoline_kernelINS0_14default_configENS1_38merge_sort_block_merge_config_selectorIxNS0_10empty_typeEEEZZNS1_27merge_sort_block_merge_implIS3_N6thrust23THRUST_200600_302600_NS6detail15normal_iteratorINS9_10device_ptrIxEEEEPS5_m11less_div_10IxEEE10hipError_tT0_T1_T2_jT3_P12ihipStream_tbPNSt15iterator_traitsISJ_E10value_typeEPNSP_ISK_E10value_typeEPSL_NS1_7vsmem_tEENKUlT_SJ_SK_SL_E_clIPxSE_SF_SF_EESI_SY_SJ_SK_SL_EUlSY_E0_NS1_11comp_targetILNS1_3genE5ELNS1_11target_archE942ELNS1_3gpuE9ELNS1_3repE0EEENS1_38merge_mergepath_config_static_selectorELNS0_4arch9wavefront6targetE0EEEvSK_.numbered_sgpr, 0
	.set _ZN7rocprim17ROCPRIM_400000_NS6detail17trampoline_kernelINS0_14default_configENS1_38merge_sort_block_merge_config_selectorIxNS0_10empty_typeEEEZZNS1_27merge_sort_block_merge_implIS3_N6thrust23THRUST_200600_302600_NS6detail15normal_iteratorINS9_10device_ptrIxEEEEPS5_m11less_div_10IxEEE10hipError_tT0_T1_T2_jT3_P12ihipStream_tbPNSt15iterator_traitsISJ_E10value_typeEPNSP_ISK_E10value_typeEPSL_NS1_7vsmem_tEENKUlT_SJ_SK_SL_E_clIPxSE_SF_SF_EESI_SY_SJ_SK_SL_EUlSY_E0_NS1_11comp_targetILNS1_3genE5ELNS1_11target_archE942ELNS1_3gpuE9ELNS1_3repE0EEENS1_38merge_mergepath_config_static_selectorELNS0_4arch9wavefront6targetE0EEEvSK_.num_named_barrier, 0
	.set _ZN7rocprim17ROCPRIM_400000_NS6detail17trampoline_kernelINS0_14default_configENS1_38merge_sort_block_merge_config_selectorIxNS0_10empty_typeEEEZZNS1_27merge_sort_block_merge_implIS3_N6thrust23THRUST_200600_302600_NS6detail15normal_iteratorINS9_10device_ptrIxEEEEPS5_m11less_div_10IxEEE10hipError_tT0_T1_T2_jT3_P12ihipStream_tbPNSt15iterator_traitsISJ_E10value_typeEPNSP_ISK_E10value_typeEPSL_NS1_7vsmem_tEENKUlT_SJ_SK_SL_E_clIPxSE_SF_SF_EESI_SY_SJ_SK_SL_EUlSY_E0_NS1_11comp_targetILNS1_3genE5ELNS1_11target_archE942ELNS1_3gpuE9ELNS1_3repE0EEENS1_38merge_mergepath_config_static_selectorELNS0_4arch9wavefront6targetE0EEEvSK_.private_seg_size, 0
	.set _ZN7rocprim17ROCPRIM_400000_NS6detail17trampoline_kernelINS0_14default_configENS1_38merge_sort_block_merge_config_selectorIxNS0_10empty_typeEEEZZNS1_27merge_sort_block_merge_implIS3_N6thrust23THRUST_200600_302600_NS6detail15normal_iteratorINS9_10device_ptrIxEEEEPS5_m11less_div_10IxEEE10hipError_tT0_T1_T2_jT3_P12ihipStream_tbPNSt15iterator_traitsISJ_E10value_typeEPNSP_ISK_E10value_typeEPSL_NS1_7vsmem_tEENKUlT_SJ_SK_SL_E_clIPxSE_SF_SF_EESI_SY_SJ_SK_SL_EUlSY_E0_NS1_11comp_targetILNS1_3genE5ELNS1_11target_archE942ELNS1_3gpuE9ELNS1_3repE0EEENS1_38merge_mergepath_config_static_selectorELNS0_4arch9wavefront6targetE0EEEvSK_.uses_vcc, 0
	.set _ZN7rocprim17ROCPRIM_400000_NS6detail17trampoline_kernelINS0_14default_configENS1_38merge_sort_block_merge_config_selectorIxNS0_10empty_typeEEEZZNS1_27merge_sort_block_merge_implIS3_N6thrust23THRUST_200600_302600_NS6detail15normal_iteratorINS9_10device_ptrIxEEEEPS5_m11less_div_10IxEEE10hipError_tT0_T1_T2_jT3_P12ihipStream_tbPNSt15iterator_traitsISJ_E10value_typeEPNSP_ISK_E10value_typeEPSL_NS1_7vsmem_tEENKUlT_SJ_SK_SL_E_clIPxSE_SF_SF_EESI_SY_SJ_SK_SL_EUlSY_E0_NS1_11comp_targetILNS1_3genE5ELNS1_11target_archE942ELNS1_3gpuE9ELNS1_3repE0EEENS1_38merge_mergepath_config_static_selectorELNS0_4arch9wavefront6targetE0EEEvSK_.uses_flat_scratch, 0
	.set _ZN7rocprim17ROCPRIM_400000_NS6detail17trampoline_kernelINS0_14default_configENS1_38merge_sort_block_merge_config_selectorIxNS0_10empty_typeEEEZZNS1_27merge_sort_block_merge_implIS3_N6thrust23THRUST_200600_302600_NS6detail15normal_iteratorINS9_10device_ptrIxEEEEPS5_m11less_div_10IxEEE10hipError_tT0_T1_T2_jT3_P12ihipStream_tbPNSt15iterator_traitsISJ_E10value_typeEPNSP_ISK_E10value_typeEPSL_NS1_7vsmem_tEENKUlT_SJ_SK_SL_E_clIPxSE_SF_SF_EESI_SY_SJ_SK_SL_EUlSY_E0_NS1_11comp_targetILNS1_3genE5ELNS1_11target_archE942ELNS1_3gpuE9ELNS1_3repE0EEENS1_38merge_mergepath_config_static_selectorELNS0_4arch9wavefront6targetE0EEEvSK_.has_dyn_sized_stack, 0
	.set _ZN7rocprim17ROCPRIM_400000_NS6detail17trampoline_kernelINS0_14default_configENS1_38merge_sort_block_merge_config_selectorIxNS0_10empty_typeEEEZZNS1_27merge_sort_block_merge_implIS3_N6thrust23THRUST_200600_302600_NS6detail15normal_iteratorINS9_10device_ptrIxEEEEPS5_m11less_div_10IxEEE10hipError_tT0_T1_T2_jT3_P12ihipStream_tbPNSt15iterator_traitsISJ_E10value_typeEPNSP_ISK_E10value_typeEPSL_NS1_7vsmem_tEENKUlT_SJ_SK_SL_E_clIPxSE_SF_SF_EESI_SY_SJ_SK_SL_EUlSY_E0_NS1_11comp_targetILNS1_3genE5ELNS1_11target_archE942ELNS1_3gpuE9ELNS1_3repE0EEENS1_38merge_mergepath_config_static_selectorELNS0_4arch9wavefront6targetE0EEEvSK_.has_recursion, 0
	.set _ZN7rocprim17ROCPRIM_400000_NS6detail17trampoline_kernelINS0_14default_configENS1_38merge_sort_block_merge_config_selectorIxNS0_10empty_typeEEEZZNS1_27merge_sort_block_merge_implIS3_N6thrust23THRUST_200600_302600_NS6detail15normal_iteratorINS9_10device_ptrIxEEEEPS5_m11less_div_10IxEEE10hipError_tT0_T1_T2_jT3_P12ihipStream_tbPNSt15iterator_traitsISJ_E10value_typeEPNSP_ISK_E10value_typeEPSL_NS1_7vsmem_tEENKUlT_SJ_SK_SL_E_clIPxSE_SF_SF_EESI_SY_SJ_SK_SL_EUlSY_E0_NS1_11comp_targetILNS1_3genE5ELNS1_11target_archE942ELNS1_3gpuE9ELNS1_3repE0EEENS1_38merge_mergepath_config_static_selectorELNS0_4arch9wavefront6targetE0EEEvSK_.has_indirect_call, 0
	.section	.AMDGPU.csdata,"",@progbits
; Kernel info:
; codeLenInByte = 0
; TotalNumSgprs: 0
; NumVgprs: 0
; ScratchSize: 0
; MemoryBound: 0
; FloatMode: 240
; IeeeMode: 1
; LDSByteSize: 0 bytes/workgroup (compile time only)
; SGPRBlocks: 0
; VGPRBlocks: 0
; NumSGPRsForWavesPerEU: 1
; NumVGPRsForWavesPerEU: 1
; Occupancy: 16
; WaveLimiterHint : 0
; COMPUTE_PGM_RSRC2:SCRATCH_EN: 0
; COMPUTE_PGM_RSRC2:USER_SGPR: 6
; COMPUTE_PGM_RSRC2:TRAP_HANDLER: 0
; COMPUTE_PGM_RSRC2:TGID_X_EN: 1
; COMPUTE_PGM_RSRC2:TGID_Y_EN: 0
; COMPUTE_PGM_RSRC2:TGID_Z_EN: 0
; COMPUTE_PGM_RSRC2:TIDIG_COMP_CNT: 0
	.section	.text._ZN7rocprim17ROCPRIM_400000_NS6detail17trampoline_kernelINS0_14default_configENS1_38merge_sort_block_merge_config_selectorIxNS0_10empty_typeEEEZZNS1_27merge_sort_block_merge_implIS3_N6thrust23THRUST_200600_302600_NS6detail15normal_iteratorINS9_10device_ptrIxEEEEPS5_m11less_div_10IxEEE10hipError_tT0_T1_T2_jT3_P12ihipStream_tbPNSt15iterator_traitsISJ_E10value_typeEPNSP_ISK_E10value_typeEPSL_NS1_7vsmem_tEENKUlT_SJ_SK_SL_E_clIPxSE_SF_SF_EESI_SY_SJ_SK_SL_EUlSY_E0_NS1_11comp_targetILNS1_3genE4ELNS1_11target_archE910ELNS1_3gpuE8ELNS1_3repE0EEENS1_38merge_mergepath_config_static_selectorELNS0_4arch9wavefront6targetE0EEEvSK_,"axG",@progbits,_ZN7rocprim17ROCPRIM_400000_NS6detail17trampoline_kernelINS0_14default_configENS1_38merge_sort_block_merge_config_selectorIxNS0_10empty_typeEEEZZNS1_27merge_sort_block_merge_implIS3_N6thrust23THRUST_200600_302600_NS6detail15normal_iteratorINS9_10device_ptrIxEEEEPS5_m11less_div_10IxEEE10hipError_tT0_T1_T2_jT3_P12ihipStream_tbPNSt15iterator_traitsISJ_E10value_typeEPNSP_ISK_E10value_typeEPSL_NS1_7vsmem_tEENKUlT_SJ_SK_SL_E_clIPxSE_SF_SF_EESI_SY_SJ_SK_SL_EUlSY_E0_NS1_11comp_targetILNS1_3genE4ELNS1_11target_archE910ELNS1_3gpuE8ELNS1_3repE0EEENS1_38merge_mergepath_config_static_selectorELNS0_4arch9wavefront6targetE0EEEvSK_,comdat
	.protected	_ZN7rocprim17ROCPRIM_400000_NS6detail17trampoline_kernelINS0_14default_configENS1_38merge_sort_block_merge_config_selectorIxNS0_10empty_typeEEEZZNS1_27merge_sort_block_merge_implIS3_N6thrust23THRUST_200600_302600_NS6detail15normal_iteratorINS9_10device_ptrIxEEEEPS5_m11less_div_10IxEEE10hipError_tT0_T1_T2_jT3_P12ihipStream_tbPNSt15iterator_traitsISJ_E10value_typeEPNSP_ISK_E10value_typeEPSL_NS1_7vsmem_tEENKUlT_SJ_SK_SL_E_clIPxSE_SF_SF_EESI_SY_SJ_SK_SL_EUlSY_E0_NS1_11comp_targetILNS1_3genE4ELNS1_11target_archE910ELNS1_3gpuE8ELNS1_3repE0EEENS1_38merge_mergepath_config_static_selectorELNS0_4arch9wavefront6targetE0EEEvSK_ ; -- Begin function _ZN7rocprim17ROCPRIM_400000_NS6detail17trampoline_kernelINS0_14default_configENS1_38merge_sort_block_merge_config_selectorIxNS0_10empty_typeEEEZZNS1_27merge_sort_block_merge_implIS3_N6thrust23THRUST_200600_302600_NS6detail15normal_iteratorINS9_10device_ptrIxEEEEPS5_m11less_div_10IxEEE10hipError_tT0_T1_T2_jT3_P12ihipStream_tbPNSt15iterator_traitsISJ_E10value_typeEPNSP_ISK_E10value_typeEPSL_NS1_7vsmem_tEENKUlT_SJ_SK_SL_E_clIPxSE_SF_SF_EESI_SY_SJ_SK_SL_EUlSY_E0_NS1_11comp_targetILNS1_3genE4ELNS1_11target_archE910ELNS1_3gpuE8ELNS1_3repE0EEENS1_38merge_mergepath_config_static_selectorELNS0_4arch9wavefront6targetE0EEEvSK_
	.globl	_ZN7rocprim17ROCPRIM_400000_NS6detail17trampoline_kernelINS0_14default_configENS1_38merge_sort_block_merge_config_selectorIxNS0_10empty_typeEEEZZNS1_27merge_sort_block_merge_implIS3_N6thrust23THRUST_200600_302600_NS6detail15normal_iteratorINS9_10device_ptrIxEEEEPS5_m11less_div_10IxEEE10hipError_tT0_T1_T2_jT3_P12ihipStream_tbPNSt15iterator_traitsISJ_E10value_typeEPNSP_ISK_E10value_typeEPSL_NS1_7vsmem_tEENKUlT_SJ_SK_SL_E_clIPxSE_SF_SF_EESI_SY_SJ_SK_SL_EUlSY_E0_NS1_11comp_targetILNS1_3genE4ELNS1_11target_archE910ELNS1_3gpuE8ELNS1_3repE0EEENS1_38merge_mergepath_config_static_selectorELNS0_4arch9wavefront6targetE0EEEvSK_
	.p2align	8
	.type	_ZN7rocprim17ROCPRIM_400000_NS6detail17trampoline_kernelINS0_14default_configENS1_38merge_sort_block_merge_config_selectorIxNS0_10empty_typeEEEZZNS1_27merge_sort_block_merge_implIS3_N6thrust23THRUST_200600_302600_NS6detail15normal_iteratorINS9_10device_ptrIxEEEEPS5_m11less_div_10IxEEE10hipError_tT0_T1_T2_jT3_P12ihipStream_tbPNSt15iterator_traitsISJ_E10value_typeEPNSP_ISK_E10value_typeEPSL_NS1_7vsmem_tEENKUlT_SJ_SK_SL_E_clIPxSE_SF_SF_EESI_SY_SJ_SK_SL_EUlSY_E0_NS1_11comp_targetILNS1_3genE4ELNS1_11target_archE910ELNS1_3gpuE8ELNS1_3repE0EEENS1_38merge_mergepath_config_static_selectorELNS0_4arch9wavefront6targetE0EEEvSK_,@function
_ZN7rocprim17ROCPRIM_400000_NS6detail17trampoline_kernelINS0_14default_configENS1_38merge_sort_block_merge_config_selectorIxNS0_10empty_typeEEEZZNS1_27merge_sort_block_merge_implIS3_N6thrust23THRUST_200600_302600_NS6detail15normal_iteratorINS9_10device_ptrIxEEEEPS5_m11less_div_10IxEEE10hipError_tT0_T1_T2_jT3_P12ihipStream_tbPNSt15iterator_traitsISJ_E10value_typeEPNSP_ISK_E10value_typeEPSL_NS1_7vsmem_tEENKUlT_SJ_SK_SL_E_clIPxSE_SF_SF_EESI_SY_SJ_SK_SL_EUlSY_E0_NS1_11comp_targetILNS1_3genE4ELNS1_11target_archE910ELNS1_3gpuE8ELNS1_3repE0EEENS1_38merge_mergepath_config_static_selectorELNS0_4arch9wavefront6targetE0EEEvSK_: ; @_ZN7rocprim17ROCPRIM_400000_NS6detail17trampoline_kernelINS0_14default_configENS1_38merge_sort_block_merge_config_selectorIxNS0_10empty_typeEEEZZNS1_27merge_sort_block_merge_implIS3_N6thrust23THRUST_200600_302600_NS6detail15normal_iteratorINS9_10device_ptrIxEEEEPS5_m11less_div_10IxEEE10hipError_tT0_T1_T2_jT3_P12ihipStream_tbPNSt15iterator_traitsISJ_E10value_typeEPNSP_ISK_E10value_typeEPSL_NS1_7vsmem_tEENKUlT_SJ_SK_SL_E_clIPxSE_SF_SF_EESI_SY_SJ_SK_SL_EUlSY_E0_NS1_11comp_targetILNS1_3genE4ELNS1_11target_archE910ELNS1_3gpuE8ELNS1_3repE0EEENS1_38merge_mergepath_config_static_selectorELNS0_4arch9wavefront6targetE0EEEvSK_
; %bb.0:
	.section	.rodata,"a",@progbits
	.p2align	6, 0x0
	.amdhsa_kernel _ZN7rocprim17ROCPRIM_400000_NS6detail17trampoline_kernelINS0_14default_configENS1_38merge_sort_block_merge_config_selectorIxNS0_10empty_typeEEEZZNS1_27merge_sort_block_merge_implIS3_N6thrust23THRUST_200600_302600_NS6detail15normal_iteratorINS9_10device_ptrIxEEEEPS5_m11less_div_10IxEEE10hipError_tT0_T1_T2_jT3_P12ihipStream_tbPNSt15iterator_traitsISJ_E10value_typeEPNSP_ISK_E10value_typeEPSL_NS1_7vsmem_tEENKUlT_SJ_SK_SL_E_clIPxSE_SF_SF_EESI_SY_SJ_SK_SL_EUlSY_E0_NS1_11comp_targetILNS1_3genE4ELNS1_11target_archE910ELNS1_3gpuE8ELNS1_3repE0EEENS1_38merge_mergepath_config_static_selectorELNS0_4arch9wavefront6targetE0EEEvSK_
		.amdhsa_group_segment_fixed_size 0
		.amdhsa_private_segment_fixed_size 0
		.amdhsa_kernarg_size 72
		.amdhsa_user_sgpr_count 6
		.amdhsa_user_sgpr_private_segment_buffer 1
		.amdhsa_user_sgpr_dispatch_ptr 0
		.amdhsa_user_sgpr_queue_ptr 0
		.amdhsa_user_sgpr_kernarg_segment_ptr 1
		.amdhsa_user_sgpr_dispatch_id 0
		.amdhsa_user_sgpr_flat_scratch_init 0
		.amdhsa_user_sgpr_private_segment_size 0
		.amdhsa_wavefront_size32 1
		.amdhsa_uses_dynamic_stack 0
		.amdhsa_system_sgpr_private_segment_wavefront_offset 0
		.amdhsa_system_sgpr_workgroup_id_x 1
		.amdhsa_system_sgpr_workgroup_id_y 0
		.amdhsa_system_sgpr_workgroup_id_z 0
		.amdhsa_system_sgpr_workgroup_info 0
		.amdhsa_system_vgpr_workitem_id 0
		.amdhsa_next_free_vgpr 1
		.amdhsa_next_free_sgpr 1
		.amdhsa_reserve_vcc 0
		.amdhsa_reserve_flat_scratch 0
		.amdhsa_float_round_mode_32 0
		.amdhsa_float_round_mode_16_64 0
		.amdhsa_float_denorm_mode_32 3
		.amdhsa_float_denorm_mode_16_64 3
		.amdhsa_dx10_clamp 1
		.amdhsa_ieee_mode 1
		.amdhsa_fp16_overflow 0
		.amdhsa_workgroup_processor_mode 1
		.amdhsa_memory_ordered 1
		.amdhsa_forward_progress 1
		.amdhsa_shared_vgpr_count 0
		.amdhsa_exception_fp_ieee_invalid_op 0
		.amdhsa_exception_fp_denorm_src 0
		.amdhsa_exception_fp_ieee_div_zero 0
		.amdhsa_exception_fp_ieee_overflow 0
		.amdhsa_exception_fp_ieee_underflow 0
		.amdhsa_exception_fp_ieee_inexact 0
		.amdhsa_exception_int_div_zero 0
	.end_amdhsa_kernel
	.section	.text._ZN7rocprim17ROCPRIM_400000_NS6detail17trampoline_kernelINS0_14default_configENS1_38merge_sort_block_merge_config_selectorIxNS0_10empty_typeEEEZZNS1_27merge_sort_block_merge_implIS3_N6thrust23THRUST_200600_302600_NS6detail15normal_iteratorINS9_10device_ptrIxEEEEPS5_m11less_div_10IxEEE10hipError_tT0_T1_T2_jT3_P12ihipStream_tbPNSt15iterator_traitsISJ_E10value_typeEPNSP_ISK_E10value_typeEPSL_NS1_7vsmem_tEENKUlT_SJ_SK_SL_E_clIPxSE_SF_SF_EESI_SY_SJ_SK_SL_EUlSY_E0_NS1_11comp_targetILNS1_3genE4ELNS1_11target_archE910ELNS1_3gpuE8ELNS1_3repE0EEENS1_38merge_mergepath_config_static_selectorELNS0_4arch9wavefront6targetE0EEEvSK_,"axG",@progbits,_ZN7rocprim17ROCPRIM_400000_NS6detail17trampoline_kernelINS0_14default_configENS1_38merge_sort_block_merge_config_selectorIxNS0_10empty_typeEEEZZNS1_27merge_sort_block_merge_implIS3_N6thrust23THRUST_200600_302600_NS6detail15normal_iteratorINS9_10device_ptrIxEEEEPS5_m11less_div_10IxEEE10hipError_tT0_T1_T2_jT3_P12ihipStream_tbPNSt15iterator_traitsISJ_E10value_typeEPNSP_ISK_E10value_typeEPSL_NS1_7vsmem_tEENKUlT_SJ_SK_SL_E_clIPxSE_SF_SF_EESI_SY_SJ_SK_SL_EUlSY_E0_NS1_11comp_targetILNS1_3genE4ELNS1_11target_archE910ELNS1_3gpuE8ELNS1_3repE0EEENS1_38merge_mergepath_config_static_selectorELNS0_4arch9wavefront6targetE0EEEvSK_,comdat
.Lfunc_end347:
	.size	_ZN7rocprim17ROCPRIM_400000_NS6detail17trampoline_kernelINS0_14default_configENS1_38merge_sort_block_merge_config_selectorIxNS0_10empty_typeEEEZZNS1_27merge_sort_block_merge_implIS3_N6thrust23THRUST_200600_302600_NS6detail15normal_iteratorINS9_10device_ptrIxEEEEPS5_m11less_div_10IxEEE10hipError_tT0_T1_T2_jT3_P12ihipStream_tbPNSt15iterator_traitsISJ_E10value_typeEPNSP_ISK_E10value_typeEPSL_NS1_7vsmem_tEENKUlT_SJ_SK_SL_E_clIPxSE_SF_SF_EESI_SY_SJ_SK_SL_EUlSY_E0_NS1_11comp_targetILNS1_3genE4ELNS1_11target_archE910ELNS1_3gpuE8ELNS1_3repE0EEENS1_38merge_mergepath_config_static_selectorELNS0_4arch9wavefront6targetE0EEEvSK_, .Lfunc_end347-_ZN7rocprim17ROCPRIM_400000_NS6detail17trampoline_kernelINS0_14default_configENS1_38merge_sort_block_merge_config_selectorIxNS0_10empty_typeEEEZZNS1_27merge_sort_block_merge_implIS3_N6thrust23THRUST_200600_302600_NS6detail15normal_iteratorINS9_10device_ptrIxEEEEPS5_m11less_div_10IxEEE10hipError_tT0_T1_T2_jT3_P12ihipStream_tbPNSt15iterator_traitsISJ_E10value_typeEPNSP_ISK_E10value_typeEPSL_NS1_7vsmem_tEENKUlT_SJ_SK_SL_E_clIPxSE_SF_SF_EESI_SY_SJ_SK_SL_EUlSY_E0_NS1_11comp_targetILNS1_3genE4ELNS1_11target_archE910ELNS1_3gpuE8ELNS1_3repE0EEENS1_38merge_mergepath_config_static_selectorELNS0_4arch9wavefront6targetE0EEEvSK_
                                        ; -- End function
	.set _ZN7rocprim17ROCPRIM_400000_NS6detail17trampoline_kernelINS0_14default_configENS1_38merge_sort_block_merge_config_selectorIxNS0_10empty_typeEEEZZNS1_27merge_sort_block_merge_implIS3_N6thrust23THRUST_200600_302600_NS6detail15normal_iteratorINS9_10device_ptrIxEEEEPS5_m11less_div_10IxEEE10hipError_tT0_T1_T2_jT3_P12ihipStream_tbPNSt15iterator_traitsISJ_E10value_typeEPNSP_ISK_E10value_typeEPSL_NS1_7vsmem_tEENKUlT_SJ_SK_SL_E_clIPxSE_SF_SF_EESI_SY_SJ_SK_SL_EUlSY_E0_NS1_11comp_targetILNS1_3genE4ELNS1_11target_archE910ELNS1_3gpuE8ELNS1_3repE0EEENS1_38merge_mergepath_config_static_selectorELNS0_4arch9wavefront6targetE0EEEvSK_.num_vgpr, 0
	.set _ZN7rocprim17ROCPRIM_400000_NS6detail17trampoline_kernelINS0_14default_configENS1_38merge_sort_block_merge_config_selectorIxNS0_10empty_typeEEEZZNS1_27merge_sort_block_merge_implIS3_N6thrust23THRUST_200600_302600_NS6detail15normal_iteratorINS9_10device_ptrIxEEEEPS5_m11less_div_10IxEEE10hipError_tT0_T1_T2_jT3_P12ihipStream_tbPNSt15iterator_traitsISJ_E10value_typeEPNSP_ISK_E10value_typeEPSL_NS1_7vsmem_tEENKUlT_SJ_SK_SL_E_clIPxSE_SF_SF_EESI_SY_SJ_SK_SL_EUlSY_E0_NS1_11comp_targetILNS1_3genE4ELNS1_11target_archE910ELNS1_3gpuE8ELNS1_3repE0EEENS1_38merge_mergepath_config_static_selectorELNS0_4arch9wavefront6targetE0EEEvSK_.num_agpr, 0
	.set _ZN7rocprim17ROCPRIM_400000_NS6detail17trampoline_kernelINS0_14default_configENS1_38merge_sort_block_merge_config_selectorIxNS0_10empty_typeEEEZZNS1_27merge_sort_block_merge_implIS3_N6thrust23THRUST_200600_302600_NS6detail15normal_iteratorINS9_10device_ptrIxEEEEPS5_m11less_div_10IxEEE10hipError_tT0_T1_T2_jT3_P12ihipStream_tbPNSt15iterator_traitsISJ_E10value_typeEPNSP_ISK_E10value_typeEPSL_NS1_7vsmem_tEENKUlT_SJ_SK_SL_E_clIPxSE_SF_SF_EESI_SY_SJ_SK_SL_EUlSY_E0_NS1_11comp_targetILNS1_3genE4ELNS1_11target_archE910ELNS1_3gpuE8ELNS1_3repE0EEENS1_38merge_mergepath_config_static_selectorELNS0_4arch9wavefront6targetE0EEEvSK_.numbered_sgpr, 0
	.set _ZN7rocprim17ROCPRIM_400000_NS6detail17trampoline_kernelINS0_14default_configENS1_38merge_sort_block_merge_config_selectorIxNS0_10empty_typeEEEZZNS1_27merge_sort_block_merge_implIS3_N6thrust23THRUST_200600_302600_NS6detail15normal_iteratorINS9_10device_ptrIxEEEEPS5_m11less_div_10IxEEE10hipError_tT0_T1_T2_jT3_P12ihipStream_tbPNSt15iterator_traitsISJ_E10value_typeEPNSP_ISK_E10value_typeEPSL_NS1_7vsmem_tEENKUlT_SJ_SK_SL_E_clIPxSE_SF_SF_EESI_SY_SJ_SK_SL_EUlSY_E0_NS1_11comp_targetILNS1_3genE4ELNS1_11target_archE910ELNS1_3gpuE8ELNS1_3repE0EEENS1_38merge_mergepath_config_static_selectorELNS0_4arch9wavefront6targetE0EEEvSK_.num_named_barrier, 0
	.set _ZN7rocprim17ROCPRIM_400000_NS6detail17trampoline_kernelINS0_14default_configENS1_38merge_sort_block_merge_config_selectorIxNS0_10empty_typeEEEZZNS1_27merge_sort_block_merge_implIS3_N6thrust23THRUST_200600_302600_NS6detail15normal_iteratorINS9_10device_ptrIxEEEEPS5_m11less_div_10IxEEE10hipError_tT0_T1_T2_jT3_P12ihipStream_tbPNSt15iterator_traitsISJ_E10value_typeEPNSP_ISK_E10value_typeEPSL_NS1_7vsmem_tEENKUlT_SJ_SK_SL_E_clIPxSE_SF_SF_EESI_SY_SJ_SK_SL_EUlSY_E0_NS1_11comp_targetILNS1_3genE4ELNS1_11target_archE910ELNS1_3gpuE8ELNS1_3repE0EEENS1_38merge_mergepath_config_static_selectorELNS0_4arch9wavefront6targetE0EEEvSK_.private_seg_size, 0
	.set _ZN7rocprim17ROCPRIM_400000_NS6detail17trampoline_kernelINS0_14default_configENS1_38merge_sort_block_merge_config_selectorIxNS0_10empty_typeEEEZZNS1_27merge_sort_block_merge_implIS3_N6thrust23THRUST_200600_302600_NS6detail15normal_iteratorINS9_10device_ptrIxEEEEPS5_m11less_div_10IxEEE10hipError_tT0_T1_T2_jT3_P12ihipStream_tbPNSt15iterator_traitsISJ_E10value_typeEPNSP_ISK_E10value_typeEPSL_NS1_7vsmem_tEENKUlT_SJ_SK_SL_E_clIPxSE_SF_SF_EESI_SY_SJ_SK_SL_EUlSY_E0_NS1_11comp_targetILNS1_3genE4ELNS1_11target_archE910ELNS1_3gpuE8ELNS1_3repE0EEENS1_38merge_mergepath_config_static_selectorELNS0_4arch9wavefront6targetE0EEEvSK_.uses_vcc, 0
	.set _ZN7rocprim17ROCPRIM_400000_NS6detail17trampoline_kernelINS0_14default_configENS1_38merge_sort_block_merge_config_selectorIxNS0_10empty_typeEEEZZNS1_27merge_sort_block_merge_implIS3_N6thrust23THRUST_200600_302600_NS6detail15normal_iteratorINS9_10device_ptrIxEEEEPS5_m11less_div_10IxEEE10hipError_tT0_T1_T2_jT3_P12ihipStream_tbPNSt15iterator_traitsISJ_E10value_typeEPNSP_ISK_E10value_typeEPSL_NS1_7vsmem_tEENKUlT_SJ_SK_SL_E_clIPxSE_SF_SF_EESI_SY_SJ_SK_SL_EUlSY_E0_NS1_11comp_targetILNS1_3genE4ELNS1_11target_archE910ELNS1_3gpuE8ELNS1_3repE0EEENS1_38merge_mergepath_config_static_selectorELNS0_4arch9wavefront6targetE0EEEvSK_.uses_flat_scratch, 0
	.set _ZN7rocprim17ROCPRIM_400000_NS6detail17trampoline_kernelINS0_14default_configENS1_38merge_sort_block_merge_config_selectorIxNS0_10empty_typeEEEZZNS1_27merge_sort_block_merge_implIS3_N6thrust23THRUST_200600_302600_NS6detail15normal_iteratorINS9_10device_ptrIxEEEEPS5_m11less_div_10IxEEE10hipError_tT0_T1_T2_jT3_P12ihipStream_tbPNSt15iterator_traitsISJ_E10value_typeEPNSP_ISK_E10value_typeEPSL_NS1_7vsmem_tEENKUlT_SJ_SK_SL_E_clIPxSE_SF_SF_EESI_SY_SJ_SK_SL_EUlSY_E0_NS1_11comp_targetILNS1_3genE4ELNS1_11target_archE910ELNS1_3gpuE8ELNS1_3repE0EEENS1_38merge_mergepath_config_static_selectorELNS0_4arch9wavefront6targetE0EEEvSK_.has_dyn_sized_stack, 0
	.set _ZN7rocprim17ROCPRIM_400000_NS6detail17trampoline_kernelINS0_14default_configENS1_38merge_sort_block_merge_config_selectorIxNS0_10empty_typeEEEZZNS1_27merge_sort_block_merge_implIS3_N6thrust23THRUST_200600_302600_NS6detail15normal_iteratorINS9_10device_ptrIxEEEEPS5_m11less_div_10IxEEE10hipError_tT0_T1_T2_jT3_P12ihipStream_tbPNSt15iterator_traitsISJ_E10value_typeEPNSP_ISK_E10value_typeEPSL_NS1_7vsmem_tEENKUlT_SJ_SK_SL_E_clIPxSE_SF_SF_EESI_SY_SJ_SK_SL_EUlSY_E0_NS1_11comp_targetILNS1_3genE4ELNS1_11target_archE910ELNS1_3gpuE8ELNS1_3repE0EEENS1_38merge_mergepath_config_static_selectorELNS0_4arch9wavefront6targetE0EEEvSK_.has_recursion, 0
	.set _ZN7rocprim17ROCPRIM_400000_NS6detail17trampoline_kernelINS0_14default_configENS1_38merge_sort_block_merge_config_selectorIxNS0_10empty_typeEEEZZNS1_27merge_sort_block_merge_implIS3_N6thrust23THRUST_200600_302600_NS6detail15normal_iteratorINS9_10device_ptrIxEEEEPS5_m11less_div_10IxEEE10hipError_tT0_T1_T2_jT3_P12ihipStream_tbPNSt15iterator_traitsISJ_E10value_typeEPNSP_ISK_E10value_typeEPSL_NS1_7vsmem_tEENKUlT_SJ_SK_SL_E_clIPxSE_SF_SF_EESI_SY_SJ_SK_SL_EUlSY_E0_NS1_11comp_targetILNS1_3genE4ELNS1_11target_archE910ELNS1_3gpuE8ELNS1_3repE0EEENS1_38merge_mergepath_config_static_selectorELNS0_4arch9wavefront6targetE0EEEvSK_.has_indirect_call, 0
	.section	.AMDGPU.csdata,"",@progbits
; Kernel info:
; codeLenInByte = 0
; TotalNumSgprs: 0
; NumVgprs: 0
; ScratchSize: 0
; MemoryBound: 0
; FloatMode: 240
; IeeeMode: 1
; LDSByteSize: 0 bytes/workgroup (compile time only)
; SGPRBlocks: 0
; VGPRBlocks: 0
; NumSGPRsForWavesPerEU: 1
; NumVGPRsForWavesPerEU: 1
; Occupancy: 16
; WaveLimiterHint : 0
; COMPUTE_PGM_RSRC2:SCRATCH_EN: 0
; COMPUTE_PGM_RSRC2:USER_SGPR: 6
; COMPUTE_PGM_RSRC2:TRAP_HANDLER: 0
; COMPUTE_PGM_RSRC2:TGID_X_EN: 1
; COMPUTE_PGM_RSRC2:TGID_Y_EN: 0
; COMPUTE_PGM_RSRC2:TGID_Z_EN: 0
; COMPUTE_PGM_RSRC2:TIDIG_COMP_CNT: 0
	.section	.text._ZN7rocprim17ROCPRIM_400000_NS6detail17trampoline_kernelINS0_14default_configENS1_38merge_sort_block_merge_config_selectorIxNS0_10empty_typeEEEZZNS1_27merge_sort_block_merge_implIS3_N6thrust23THRUST_200600_302600_NS6detail15normal_iteratorINS9_10device_ptrIxEEEEPS5_m11less_div_10IxEEE10hipError_tT0_T1_T2_jT3_P12ihipStream_tbPNSt15iterator_traitsISJ_E10value_typeEPNSP_ISK_E10value_typeEPSL_NS1_7vsmem_tEENKUlT_SJ_SK_SL_E_clIPxSE_SF_SF_EESI_SY_SJ_SK_SL_EUlSY_E0_NS1_11comp_targetILNS1_3genE3ELNS1_11target_archE908ELNS1_3gpuE7ELNS1_3repE0EEENS1_38merge_mergepath_config_static_selectorELNS0_4arch9wavefront6targetE0EEEvSK_,"axG",@progbits,_ZN7rocprim17ROCPRIM_400000_NS6detail17trampoline_kernelINS0_14default_configENS1_38merge_sort_block_merge_config_selectorIxNS0_10empty_typeEEEZZNS1_27merge_sort_block_merge_implIS3_N6thrust23THRUST_200600_302600_NS6detail15normal_iteratorINS9_10device_ptrIxEEEEPS5_m11less_div_10IxEEE10hipError_tT0_T1_T2_jT3_P12ihipStream_tbPNSt15iterator_traitsISJ_E10value_typeEPNSP_ISK_E10value_typeEPSL_NS1_7vsmem_tEENKUlT_SJ_SK_SL_E_clIPxSE_SF_SF_EESI_SY_SJ_SK_SL_EUlSY_E0_NS1_11comp_targetILNS1_3genE3ELNS1_11target_archE908ELNS1_3gpuE7ELNS1_3repE0EEENS1_38merge_mergepath_config_static_selectorELNS0_4arch9wavefront6targetE0EEEvSK_,comdat
	.protected	_ZN7rocprim17ROCPRIM_400000_NS6detail17trampoline_kernelINS0_14default_configENS1_38merge_sort_block_merge_config_selectorIxNS0_10empty_typeEEEZZNS1_27merge_sort_block_merge_implIS3_N6thrust23THRUST_200600_302600_NS6detail15normal_iteratorINS9_10device_ptrIxEEEEPS5_m11less_div_10IxEEE10hipError_tT0_T1_T2_jT3_P12ihipStream_tbPNSt15iterator_traitsISJ_E10value_typeEPNSP_ISK_E10value_typeEPSL_NS1_7vsmem_tEENKUlT_SJ_SK_SL_E_clIPxSE_SF_SF_EESI_SY_SJ_SK_SL_EUlSY_E0_NS1_11comp_targetILNS1_3genE3ELNS1_11target_archE908ELNS1_3gpuE7ELNS1_3repE0EEENS1_38merge_mergepath_config_static_selectorELNS0_4arch9wavefront6targetE0EEEvSK_ ; -- Begin function _ZN7rocprim17ROCPRIM_400000_NS6detail17trampoline_kernelINS0_14default_configENS1_38merge_sort_block_merge_config_selectorIxNS0_10empty_typeEEEZZNS1_27merge_sort_block_merge_implIS3_N6thrust23THRUST_200600_302600_NS6detail15normal_iteratorINS9_10device_ptrIxEEEEPS5_m11less_div_10IxEEE10hipError_tT0_T1_T2_jT3_P12ihipStream_tbPNSt15iterator_traitsISJ_E10value_typeEPNSP_ISK_E10value_typeEPSL_NS1_7vsmem_tEENKUlT_SJ_SK_SL_E_clIPxSE_SF_SF_EESI_SY_SJ_SK_SL_EUlSY_E0_NS1_11comp_targetILNS1_3genE3ELNS1_11target_archE908ELNS1_3gpuE7ELNS1_3repE0EEENS1_38merge_mergepath_config_static_selectorELNS0_4arch9wavefront6targetE0EEEvSK_
	.globl	_ZN7rocprim17ROCPRIM_400000_NS6detail17trampoline_kernelINS0_14default_configENS1_38merge_sort_block_merge_config_selectorIxNS0_10empty_typeEEEZZNS1_27merge_sort_block_merge_implIS3_N6thrust23THRUST_200600_302600_NS6detail15normal_iteratorINS9_10device_ptrIxEEEEPS5_m11less_div_10IxEEE10hipError_tT0_T1_T2_jT3_P12ihipStream_tbPNSt15iterator_traitsISJ_E10value_typeEPNSP_ISK_E10value_typeEPSL_NS1_7vsmem_tEENKUlT_SJ_SK_SL_E_clIPxSE_SF_SF_EESI_SY_SJ_SK_SL_EUlSY_E0_NS1_11comp_targetILNS1_3genE3ELNS1_11target_archE908ELNS1_3gpuE7ELNS1_3repE0EEENS1_38merge_mergepath_config_static_selectorELNS0_4arch9wavefront6targetE0EEEvSK_
	.p2align	8
	.type	_ZN7rocprim17ROCPRIM_400000_NS6detail17trampoline_kernelINS0_14default_configENS1_38merge_sort_block_merge_config_selectorIxNS0_10empty_typeEEEZZNS1_27merge_sort_block_merge_implIS3_N6thrust23THRUST_200600_302600_NS6detail15normal_iteratorINS9_10device_ptrIxEEEEPS5_m11less_div_10IxEEE10hipError_tT0_T1_T2_jT3_P12ihipStream_tbPNSt15iterator_traitsISJ_E10value_typeEPNSP_ISK_E10value_typeEPSL_NS1_7vsmem_tEENKUlT_SJ_SK_SL_E_clIPxSE_SF_SF_EESI_SY_SJ_SK_SL_EUlSY_E0_NS1_11comp_targetILNS1_3genE3ELNS1_11target_archE908ELNS1_3gpuE7ELNS1_3repE0EEENS1_38merge_mergepath_config_static_selectorELNS0_4arch9wavefront6targetE0EEEvSK_,@function
_ZN7rocprim17ROCPRIM_400000_NS6detail17trampoline_kernelINS0_14default_configENS1_38merge_sort_block_merge_config_selectorIxNS0_10empty_typeEEEZZNS1_27merge_sort_block_merge_implIS3_N6thrust23THRUST_200600_302600_NS6detail15normal_iteratorINS9_10device_ptrIxEEEEPS5_m11less_div_10IxEEE10hipError_tT0_T1_T2_jT3_P12ihipStream_tbPNSt15iterator_traitsISJ_E10value_typeEPNSP_ISK_E10value_typeEPSL_NS1_7vsmem_tEENKUlT_SJ_SK_SL_E_clIPxSE_SF_SF_EESI_SY_SJ_SK_SL_EUlSY_E0_NS1_11comp_targetILNS1_3genE3ELNS1_11target_archE908ELNS1_3gpuE7ELNS1_3repE0EEENS1_38merge_mergepath_config_static_selectorELNS0_4arch9wavefront6targetE0EEEvSK_: ; @_ZN7rocprim17ROCPRIM_400000_NS6detail17trampoline_kernelINS0_14default_configENS1_38merge_sort_block_merge_config_selectorIxNS0_10empty_typeEEEZZNS1_27merge_sort_block_merge_implIS3_N6thrust23THRUST_200600_302600_NS6detail15normal_iteratorINS9_10device_ptrIxEEEEPS5_m11less_div_10IxEEE10hipError_tT0_T1_T2_jT3_P12ihipStream_tbPNSt15iterator_traitsISJ_E10value_typeEPNSP_ISK_E10value_typeEPSL_NS1_7vsmem_tEENKUlT_SJ_SK_SL_E_clIPxSE_SF_SF_EESI_SY_SJ_SK_SL_EUlSY_E0_NS1_11comp_targetILNS1_3genE3ELNS1_11target_archE908ELNS1_3gpuE7ELNS1_3repE0EEENS1_38merge_mergepath_config_static_selectorELNS0_4arch9wavefront6targetE0EEEvSK_
; %bb.0:
	.section	.rodata,"a",@progbits
	.p2align	6, 0x0
	.amdhsa_kernel _ZN7rocprim17ROCPRIM_400000_NS6detail17trampoline_kernelINS0_14default_configENS1_38merge_sort_block_merge_config_selectorIxNS0_10empty_typeEEEZZNS1_27merge_sort_block_merge_implIS3_N6thrust23THRUST_200600_302600_NS6detail15normal_iteratorINS9_10device_ptrIxEEEEPS5_m11less_div_10IxEEE10hipError_tT0_T1_T2_jT3_P12ihipStream_tbPNSt15iterator_traitsISJ_E10value_typeEPNSP_ISK_E10value_typeEPSL_NS1_7vsmem_tEENKUlT_SJ_SK_SL_E_clIPxSE_SF_SF_EESI_SY_SJ_SK_SL_EUlSY_E0_NS1_11comp_targetILNS1_3genE3ELNS1_11target_archE908ELNS1_3gpuE7ELNS1_3repE0EEENS1_38merge_mergepath_config_static_selectorELNS0_4arch9wavefront6targetE0EEEvSK_
		.amdhsa_group_segment_fixed_size 0
		.amdhsa_private_segment_fixed_size 0
		.amdhsa_kernarg_size 72
		.amdhsa_user_sgpr_count 6
		.amdhsa_user_sgpr_private_segment_buffer 1
		.amdhsa_user_sgpr_dispatch_ptr 0
		.amdhsa_user_sgpr_queue_ptr 0
		.amdhsa_user_sgpr_kernarg_segment_ptr 1
		.amdhsa_user_sgpr_dispatch_id 0
		.amdhsa_user_sgpr_flat_scratch_init 0
		.amdhsa_user_sgpr_private_segment_size 0
		.amdhsa_wavefront_size32 1
		.amdhsa_uses_dynamic_stack 0
		.amdhsa_system_sgpr_private_segment_wavefront_offset 0
		.amdhsa_system_sgpr_workgroup_id_x 1
		.amdhsa_system_sgpr_workgroup_id_y 0
		.amdhsa_system_sgpr_workgroup_id_z 0
		.amdhsa_system_sgpr_workgroup_info 0
		.amdhsa_system_vgpr_workitem_id 0
		.amdhsa_next_free_vgpr 1
		.amdhsa_next_free_sgpr 1
		.amdhsa_reserve_vcc 0
		.amdhsa_reserve_flat_scratch 0
		.amdhsa_float_round_mode_32 0
		.amdhsa_float_round_mode_16_64 0
		.amdhsa_float_denorm_mode_32 3
		.amdhsa_float_denorm_mode_16_64 3
		.amdhsa_dx10_clamp 1
		.amdhsa_ieee_mode 1
		.amdhsa_fp16_overflow 0
		.amdhsa_workgroup_processor_mode 1
		.amdhsa_memory_ordered 1
		.amdhsa_forward_progress 1
		.amdhsa_shared_vgpr_count 0
		.amdhsa_exception_fp_ieee_invalid_op 0
		.amdhsa_exception_fp_denorm_src 0
		.amdhsa_exception_fp_ieee_div_zero 0
		.amdhsa_exception_fp_ieee_overflow 0
		.amdhsa_exception_fp_ieee_underflow 0
		.amdhsa_exception_fp_ieee_inexact 0
		.amdhsa_exception_int_div_zero 0
	.end_amdhsa_kernel
	.section	.text._ZN7rocprim17ROCPRIM_400000_NS6detail17trampoline_kernelINS0_14default_configENS1_38merge_sort_block_merge_config_selectorIxNS0_10empty_typeEEEZZNS1_27merge_sort_block_merge_implIS3_N6thrust23THRUST_200600_302600_NS6detail15normal_iteratorINS9_10device_ptrIxEEEEPS5_m11less_div_10IxEEE10hipError_tT0_T1_T2_jT3_P12ihipStream_tbPNSt15iterator_traitsISJ_E10value_typeEPNSP_ISK_E10value_typeEPSL_NS1_7vsmem_tEENKUlT_SJ_SK_SL_E_clIPxSE_SF_SF_EESI_SY_SJ_SK_SL_EUlSY_E0_NS1_11comp_targetILNS1_3genE3ELNS1_11target_archE908ELNS1_3gpuE7ELNS1_3repE0EEENS1_38merge_mergepath_config_static_selectorELNS0_4arch9wavefront6targetE0EEEvSK_,"axG",@progbits,_ZN7rocprim17ROCPRIM_400000_NS6detail17trampoline_kernelINS0_14default_configENS1_38merge_sort_block_merge_config_selectorIxNS0_10empty_typeEEEZZNS1_27merge_sort_block_merge_implIS3_N6thrust23THRUST_200600_302600_NS6detail15normal_iteratorINS9_10device_ptrIxEEEEPS5_m11less_div_10IxEEE10hipError_tT0_T1_T2_jT3_P12ihipStream_tbPNSt15iterator_traitsISJ_E10value_typeEPNSP_ISK_E10value_typeEPSL_NS1_7vsmem_tEENKUlT_SJ_SK_SL_E_clIPxSE_SF_SF_EESI_SY_SJ_SK_SL_EUlSY_E0_NS1_11comp_targetILNS1_3genE3ELNS1_11target_archE908ELNS1_3gpuE7ELNS1_3repE0EEENS1_38merge_mergepath_config_static_selectorELNS0_4arch9wavefront6targetE0EEEvSK_,comdat
.Lfunc_end348:
	.size	_ZN7rocprim17ROCPRIM_400000_NS6detail17trampoline_kernelINS0_14default_configENS1_38merge_sort_block_merge_config_selectorIxNS0_10empty_typeEEEZZNS1_27merge_sort_block_merge_implIS3_N6thrust23THRUST_200600_302600_NS6detail15normal_iteratorINS9_10device_ptrIxEEEEPS5_m11less_div_10IxEEE10hipError_tT0_T1_T2_jT3_P12ihipStream_tbPNSt15iterator_traitsISJ_E10value_typeEPNSP_ISK_E10value_typeEPSL_NS1_7vsmem_tEENKUlT_SJ_SK_SL_E_clIPxSE_SF_SF_EESI_SY_SJ_SK_SL_EUlSY_E0_NS1_11comp_targetILNS1_3genE3ELNS1_11target_archE908ELNS1_3gpuE7ELNS1_3repE0EEENS1_38merge_mergepath_config_static_selectorELNS0_4arch9wavefront6targetE0EEEvSK_, .Lfunc_end348-_ZN7rocprim17ROCPRIM_400000_NS6detail17trampoline_kernelINS0_14default_configENS1_38merge_sort_block_merge_config_selectorIxNS0_10empty_typeEEEZZNS1_27merge_sort_block_merge_implIS3_N6thrust23THRUST_200600_302600_NS6detail15normal_iteratorINS9_10device_ptrIxEEEEPS5_m11less_div_10IxEEE10hipError_tT0_T1_T2_jT3_P12ihipStream_tbPNSt15iterator_traitsISJ_E10value_typeEPNSP_ISK_E10value_typeEPSL_NS1_7vsmem_tEENKUlT_SJ_SK_SL_E_clIPxSE_SF_SF_EESI_SY_SJ_SK_SL_EUlSY_E0_NS1_11comp_targetILNS1_3genE3ELNS1_11target_archE908ELNS1_3gpuE7ELNS1_3repE0EEENS1_38merge_mergepath_config_static_selectorELNS0_4arch9wavefront6targetE0EEEvSK_
                                        ; -- End function
	.set _ZN7rocprim17ROCPRIM_400000_NS6detail17trampoline_kernelINS0_14default_configENS1_38merge_sort_block_merge_config_selectorIxNS0_10empty_typeEEEZZNS1_27merge_sort_block_merge_implIS3_N6thrust23THRUST_200600_302600_NS6detail15normal_iteratorINS9_10device_ptrIxEEEEPS5_m11less_div_10IxEEE10hipError_tT0_T1_T2_jT3_P12ihipStream_tbPNSt15iterator_traitsISJ_E10value_typeEPNSP_ISK_E10value_typeEPSL_NS1_7vsmem_tEENKUlT_SJ_SK_SL_E_clIPxSE_SF_SF_EESI_SY_SJ_SK_SL_EUlSY_E0_NS1_11comp_targetILNS1_3genE3ELNS1_11target_archE908ELNS1_3gpuE7ELNS1_3repE0EEENS1_38merge_mergepath_config_static_selectorELNS0_4arch9wavefront6targetE0EEEvSK_.num_vgpr, 0
	.set _ZN7rocprim17ROCPRIM_400000_NS6detail17trampoline_kernelINS0_14default_configENS1_38merge_sort_block_merge_config_selectorIxNS0_10empty_typeEEEZZNS1_27merge_sort_block_merge_implIS3_N6thrust23THRUST_200600_302600_NS6detail15normal_iteratorINS9_10device_ptrIxEEEEPS5_m11less_div_10IxEEE10hipError_tT0_T1_T2_jT3_P12ihipStream_tbPNSt15iterator_traitsISJ_E10value_typeEPNSP_ISK_E10value_typeEPSL_NS1_7vsmem_tEENKUlT_SJ_SK_SL_E_clIPxSE_SF_SF_EESI_SY_SJ_SK_SL_EUlSY_E0_NS1_11comp_targetILNS1_3genE3ELNS1_11target_archE908ELNS1_3gpuE7ELNS1_3repE0EEENS1_38merge_mergepath_config_static_selectorELNS0_4arch9wavefront6targetE0EEEvSK_.num_agpr, 0
	.set _ZN7rocprim17ROCPRIM_400000_NS6detail17trampoline_kernelINS0_14default_configENS1_38merge_sort_block_merge_config_selectorIxNS0_10empty_typeEEEZZNS1_27merge_sort_block_merge_implIS3_N6thrust23THRUST_200600_302600_NS6detail15normal_iteratorINS9_10device_ptrIxEEEEPS5_m11less_div_10IxEEE10hipError_tT0_T1_T2_jT3_P12ihipStream_tbPNSt15iterator_traitsISJ_E10value_typeEPNSP_ISK_E10value_typeEPSL_NS1_7vsmem_tEENKUlT_SJ_SK_SL_E_clIPxSE_SF_SF_EESI_SY_SJ_SK_SL_EUlSY_E0_NS1_11comp_targetILNS1_3genE3ELNS1_11target_archE908ELNS1_3gpuE7ELNS1_3repE0EEENS1_38merge_mergepath_config_static_selectorELNS0_4arch9wavefront6targetE0EEEvSK_.numbered_sgpr, 0
	.set _ZN7rocprim17ROCPRIM_400000_NS6detail17trampoline_kernelINS0_14default_configENS1_38merge_sort_block_merge_config_selectorIxNS0_10empty_typeEEEZZNS1_27merge_sort_block_merge_implIS3_N6thrust23THRUST_200600_302600_NS6detail15normal_iteratorINS9_10device_ptrIxEEEEPS5_m11less_div_10IxEEE10hipError_tT0_T1_T2_jT3_P12ihipStream_tbPNSt15iterator_traitsISJ_E10value_typeEPNSP_ISK_E10value_typeEPSL_NS1_7vsmem_tEENKUlT_SJ_SK_SL_E_clIPxSE_SF_SF_EESI_SY_SJ_SK_SL_EUlSY_E0_NS1_11comp_targetILNS1_3genE3ELNS1_11target_archE908ELNS1_3gpuE7ELNS1_3repE0EEENS1_38merge_mergepath_config_static_selectorELNS0_4arch9wavefront6targetE0EEEvSK_.num_named_barrier, 0
	.set _ZN7rocprim17ROCPRIM_400000_NS6detail17trampoline_kernelINS0_14default_configENS1_38merge_sort_block_merge_config_selectorIxNS0_10empty_typeEEEZZNS1_27merge_sort_block_merge_implIS3_N6thrust23THRUST_200600_302600_NS6detail15normal_iteratorINS9_10device_ptrIxEEEEPS5_m11less_div_10IxEEE10hipError_tT0_T1_T2_jT3_P12ihipStream_tbPNSt15iterator_traitsISJ_E10value_typeEPNSP_ISK_E10value_typeEPSL_NS1_7vsmem_tEENKUlT_SJ_SK_SL_E_clIPxSE_SF_SF_EESI_SY_SJ_SK_SL_EUlSY_E0_NS1_11comp_targetILNS1_3genE3ELNS1_11target_archE908ELNS1_3gpuE7ELNS1_3repE0EEENS1_38merge_mergepath_config_static_selectorELNS0_4arch9wavefront6targetE0EEEvSK_.private_seg_size, 0
	.set _ZN7rocprim17ROCPRIM_400000_NS6detail17trampoline_kernelINS0_14default_configENS1_38merge_sort_block_merge_config_selectorIxNS0_10empty_typeEEEZZNS1_27merge_sort_block_merge_implIS3_N6thrust23THRUST_200600_302600_NS6detail15normal_iteratorINS9_10device_ptrIxEEEEPS5_m11less_div_10IxEEE10hipError_tT0_T1_T2_jT3_P12ihipStream_tbPNSt15iterator_traitsISJ_E10value_typeEPNSP_ISK_E10value_typeEPSL_NS1_7vsmem_tEENKUlT_SJ_SK_SL_E_clIPxSE_SF_SF_EESI_SY_SJ_SK_SL_EUlSY_E0_NS1_11comp_targetILNS1_3genE3ELNS1_11target_archE908ELNS1_3gpuE7ELNS1_3repE0EEENS1_38merge_mergepath_config_static_selectorELNS0_4arch9wavefront6targetE0EEEvSK_.uses_vcc, 0
	.set _ZN7rocprim17ROCPRIM_400000_NS6detail17trampoline_kernelINS0_14default_configENS1_38merge_sort_block_merge_config_selectorIxNS0_10empty_typeEEEZZNS1_27merge_sort_block_merge_implIS3_N6thrust23THRUST_200600_302600_NS6detail15normal_iteratorINS9_10device_ptrIxEEEEPS5_m11less_div_10IxEEE10hipError_tT0_T1_T2_jT3_P12ihipStream_tbPNSt15iterator_traitsISJ_E10value_typeEPNSP_ISK_E10value_typeEPSL_NS1_7vsmem_tEENKUlT_SJ_SK_SL_E_clIPxSE_SF_SF_EESI_SY_SJ_SK_SL_EUlSY_E0_NS1_11comp_targetILNS1_3genE3ELNS1_11target_archE908ELNS1_3gpuE7ELNS1_3repE0EEENS1_38merge_mergepath_config_static_selectorELNS0_4arch9wavefront6targetE0EEEvSK_.uses_flat_scratch, 0
	.set _ZN7rocprim17ROCPRIM_400000_NS6detail17trampoline_kernelINS0_14default_configENS1_38merge_sort_block_merge_config_selectorIxNS0_10empty_typeEEEZZNS1_27merge_sort_block_merge_implIS3_N6thrust23THRUST_200600_302600_NS6detail15normal_iteratorINS9_10device_ptrIxEEEEPS5_m11less_div_10IxEEE10hipError_tT0_T1_T2_jT3_P12ihipStream_tbPNSt15iterator_traitsISJ_E10value_typeEPNSP_ISK_E10value_typeEPSL_NS1_7vsmem_tEENKUlT_SJ_SK_SL_E_clIPxSE_SF_SF_EESI_SY_SJ_SK_SL_EUlSY_E0_NS1_11comp_targetILNS1_3genE3ELNS1_11target_archE908ELNS1_3gpuE7ELNS1_3repE0EEENS1_38merge_mergepath_config_static_selectorELNS0_4arch9wavefront6targetE0EEEvSK_.has_dyn_sized_stack, 0
	.set _ZN7rocprim17ROCPRIM_400000_NS6detail17trampoline_kernelINS0_14default_configENS1_38merge_sort_block_merge_config_selectorIxNS0_10empty_typeEEEZZNS1_27merge_sort_block_merge_implIS3_N6thrust23THRUST_200600_302600_NS6detail15normal_iteratorINS9_10device_ptrIxEEEEPS5_m11less_div_10IxEEE10hipError_tT0_T1_T2_jT3_P12ihipStream_tbPNSt15iterator_traitsISJ_E10value_typeEPNSP_ISK_E10value_typeEPSL_NS1_7vsmem_tEENKUlT_SJ_SK_SL_E_clIPxSE_SF_SF_EESI_SY_SJ_SK_SL_EUlSY_E0_NS1_11comp_targetILNS1_3genE3ELNS1_11target_archE908ELNS1_3gpuE7ELNS1_3repE0EEENS1_38merge_mergepath_config_static_selectorELNS0_4arch9wavefront6targetE0EEEvSK_.has_recursion, 0
	.set _ZN7rocprim17ROCPRIM_400000_NS6detail17trampoline_kernelINS0_14default_configENS1_38merge_sort_block_merge_config_selectorIxNS0_10empty_typeEEEZZNS1_27merge_sort_block_merge_implIS3_N6thrust23THRUST_200600_302600_NS6detail15normal_iteratorINS9_10device_ptrIxEEEEPS5_m11less_div_10IxEEE10hipError_tT0_T1_T2_jT3_P12ihipStream_tbPNSt15iterator_traitsISJ_E10value_typeEPNSP_ISK_E10value_typeEPSL_NS1_7vsmem_tEENKUlT_SJ_SK_SL_E_clIPxSE_SF_SF_EESI_SY_SJ_SK_SL_EUlSY_E0_NS1_11comp_targetILNS1_3genE3ELNS1_11target_archE908ELNS1_3gpuE7ELNS1_3repE0EEENS1_38merge_mergepath_config_static_selectorELNS0_4arch9wavefront6targetE0EEEvSK_.has_indirect_call, 0
	.section	.AMDGPU.csdata,"",@progbits
; Kernel info:
; codeLenInByte = 0
; TotalNumSgprs: 0
; NumVgprs: 0
; ScratchSize: 0
; MemoryBound: 0
; FloatMode: 240
; IeeeMode: 1
; LDSByteSize: 0 bytes/workgroup (compile time only)
; SGPRBlocks: 0
; VGPRBlocks: 0
; NumSGPRsForWavesPerEU: 1
; NumVGPRsForWavesPerEU: 1
; Occupancy: 16
; WaveLimiterHint : 0
; COMPUTE_PGM_RSRC2:SCRATCH_EN: 0
; COMPUTE_PGM_RSRC2:USER_SGPR: 6
; COMPUTE_PGM_RSRC2:TRAP_HANDLER: 0
; COMPUTE_PGM_RSRC2:TGID_X_EN: 1
; COMPUTE_PGM_RSRC2:TGID_Y_EN: 0
; COMPUTE_PGM_RSRC2:TGID_Z_EN: 0
; COMPUTE_PGM_RSRC2:TIDIG_COMP_CNT: 0
	.section	.text._ZN7rocprim17ROCPRIM_400000_NS6detail17trampoline_kernelINS0_14default_configENS1_38merge_sort_block_merge_config_selectorIxNS0_10empty_typeEEEZZNS1_27merge_sort_block_merge_implIS3_N6thrust23THRUST_200600_302600_NS6detail15normal_iteratorINS9_10device_ptrIxEEEEPS5_m11less_div_10IxEEE10hipError_tT0_T1_T2_jT3_P12ihipStream_tbPNSt15iterator_traitsISJ_E10value_typeEPNSP_ISK_E10value_typeEPSL_NS1_7vsmem_tEENKUlT_SJ_SK_SL_E_clIPxSE_SF_SF_EESI_SY_SJ_SK_SL_EUlSY_E0_NS1_11comp_targetILNS1_3genE2ELNS1_11target_archE906ELNS1_3gpuE6ELNS1_3repE0EEENS1_38merge_mergepath_config_static_selectorELNS0_4arch9wavefront6targetE0EEEvSK_,"axG",@progbits,_ZN7rocprim17ROCPRIM_400000_NS6detail17trampoline_kernelINS0_14default_configENS1_38merge_sort_block_merge_config_selectorIxNS0_10empty_typeEEEZZNS1_27merge_sort_block_merge_implIS3_N6thrust23THRUST_200600_302600_NS6detail15normal_iteratorINS9_10device_ptrIxEEEEPS5_m11less_div_10IxEEE10hipError_tT0_T1_T2_jT3_P12ihipStream_tbPNSt15iterator_traitsISJ_E10value_typeEPNSP_ISK_E10value_typeEPSL_NS1_7vsmem_tEENKUlT_SJ_SK_SL_E_clIPxSE_SF_SF_EESI_SY_SJ_SK_SL_EUlSY_E0_NS1_11comp_targetILNS1_3genE2ELNS1_11target_archE906ELNS1_3gpuE6ELNS1_3repE0EEENS1_38merge_mergepath_config_static_selectorELNS0_4arch9wavefront6targetE0EEEvSK_,comdat
	.protected	_ZN7rocprim17ROCPRIM_400000_NS6detail17trampoline_kernelINS0_14default_configENS1_38merge_sort_block_merge_config_selectorIxNS0_10empty_typeEEEZZNS1_27merge_sort_block_merge_implIS3_N6thrust23THRUST_200600_302600_NS6detail15normal_iteratorINS9_10device_ptrIxEEEEPS5_m11less_div_10IxEEE10hipError_tT0_T1_T2_jT3_P12ihipStream_tbPNSt15iterator_traitsISJ_E10value_typeEPNSP_ISK_E10value_typeEPSL_NS1_7vsmem_tEENKUlT_SJ_SK_SL_E_clIPxSE_SF_SF_EESI_SY_SJ_SK_SL_EUlSY_E0_NS1_11comp_targetILNS1_3genE2ELNS1_11target_archE906ELNS1_3gpuE6ELNS1_3repE0EEENS1_38merge_mergepath_config_static_selectorELNS0_4arch9wavefront6targetE0EEEvSK_ ; -- Begin function _ZN7rocprim17ROCPRIM_400000_NS6detail17trampoline_kernelINS0_14default_configENS1_38merge_sort_block_merge_config_selectorIxNS0_10empty_typeEEEZZNS1_27merge_sort_block_merge_implIS3_N6thrust23THRUST_200600_302600_NS6detail15normal_iteratorINS9_10device_ptrIxEEEEPS5_m11less_div_10IxEEE10hipError_tT0_T1_T2_jT3_P12ihipStream_tbPNSt15iterator_traitsISJ_E10value_typeEPNSP_ISK_E10value_typeEPSL_NS1_7vsmem_tEENKUlT_SJ_SK_SL_E_clIPxSE_SF_SF_EESI_SY_SJ_SK_SL_EUlSY_E0_NS1_11comp_targetILNS1_3genE2ELNS1_11target_archE906ELNS1_3gpuE6ELNS1_3repE0EEENS1_38merge_mergepath_config_static_selectorELNS0_4arch9wavefront6targetE0EEEvSK_
	.globl	_ZN7rocprim17ROCPRIM_400000_NS6detail17trampoline_kernelINS0_14default_configENS1_38merge_sort_block_merge_config_selectorIxNS0_10empty_typeEEEZZNS1_27merge_sort_block_merge_implIS3_N6thrust23THRUST_200600_302600_NS6detail15normal_iteratorINS9_10device_ptrIxEEEEPS5_m11less_div_10IxEEE10hipError_tT0_T1_T2_jT3_P12ihipStream_tbPNSt15iterator_traitsISJ_E10value_typeEPNSP_ISK_E10value_typeEPSL_NS1_7vsmem_tEENKUlT_SJ_SK_SL_E_clIPxSE_SF_SF_EESI_SY_SJ_SK_SL_EUlSY_E0_NS1_11comp_targetILNS1_3genE2ELNS1_11target_archE906ELNS1_3gpuE6ELNS1_3repE0EEENS1_38merge_mergepath_config_static_selectorELNS0_4arch9wavefront6targetE0EEEvSK_
	.p2align	8
	.type	_ZN7rocprim17ROCPRIM_400000_NS6detail17trampoline_kernelINS0_14default_configENS1_38merge_sort_block_merge_config_selectorIxNS0_10empty_typeEEEZZNS1_27merge_sort_block_merge_implIS3_N6thrust23THRUST_200600_302600_NS6detail15normal_iteratorINS9_10device_ptrIxEEEEPS5_m11less_div_10IxEEE10hipError_tT0_T1_T2_jT3_P12ihipStream_tbPNSt15iterator_traitsISJ_E10value_typeEPNSP_ISK_E10value_typeEPSL_NS1_7vsmem_tEENKUlT_SJ_SK_SL_E_clIPxSE_SF_SF_EESI_SY_SJ_SK_SL_EUlSY_E0_NS1_11comp_targetILNS1_3genE2ELNS1_11target_archE906ELNS1_3gpuE6ELNS1_3repE0EEENS1_38merge_mergepath_config_static_selectorELNS0_4arch9wavefront6targetE0EEEvSK_,@function
_ZN7rocprim17ROCPRIM_400000_NS6detail17trampoline_kernelINS0_14default_configENS1_38merge_sort_block_merge_config_selectorIxNS0_10empty_typeEEEZZNS1_27merge_sort_block_merge_implIS3_N6thrust23THRUST_200600_302600_NS6detail15normal_iteratorINS9_10device_ptrIxEEEEPS5_m11less_div_10IxEEE10hipError_tT0_T1_T2_jT3_P12ihipStream_tbPNSt15iterator_traitsISJ_E10value_typeEPNSP_ISK_E10value_typeEPSL_NS1_7vsmem_tEENKUlT_SJ_SK_SL_E_clIPxSE_SF_SF_EESI_SY_SJ_SK_SL_EUlSY_E0_NS1_11comp_targetILNS1_3genE2ELNS1_11target_archE906ELNS1_3gpuE6ELNS1_3repE0EEENS1_38merge_mergepath_config_static_selectorELNS0_4arch9wavefront6targetE0EEEvSK_: ; @_ZN7rocprim17ROCPRIM_400000_NS6detail17trampoline_kernelINS0_14default_configENS1_38merge_sort_block_merge_config_selectorIxNS0_10empty_typeEEEZZNS1_27merge_sort_block_merge_implIS3_N6thrust23THRUST_200600_302600_NS6detail15normal_iteratorINS9_10device_ptrIxEEEEPS5_m11less_div_10IxEEE10hipError_tT0_T1_T2_jT3_P12ihipStream_tbPNSt15iterator_traitsISJ_E10value_typeEPNSP_ISK_E10value_typeEPSL_NS1_7vsmem_tEENKUlT_SJ_SK_SL_E_clIPxSE_SF_SF_EESI_SY_SJ_SK_SL_EUlSY_E0_NS1_11comp_targetILNS1_3genE2ELNS1_11target_archE906ELNS1_3gpuE6ELNS1_3repE0EEENS1_38merge_mergepath_config_static_selectorELNS0_4arch9wavefront6targetE0EEEvSK_
; %bb.0:
	.section	.rodata,"a",@progbits
	.p2align	6, 0x0
	.amdhsa_kernel _ZN7rocprim17ROCPRIM_400000_NS6detail17trampoline_kernelINS0_14default_configENS1_38merge_sort_block_merge_config_selectorIxNS0_10empty_typeEEEZZNS1_27merge_sort_block_merge_implIS3_N6thrust23THRUST_200600_302600_NS6detail15normal_iteratorINS9_10device_ptrIxEEEEPS5_m11less_div_10IxEEE10hipError_tT0_T1_T2_jT3_P12ihipStream_tbPNSt15iterator_traitsISJ_E10value_typeEPNSP_ISK_E10value_typeEPSL_NS1_7vsmem_tEENKUlT_SJ_SK_SL_E_clIPxSE_SF_SF_EESI_SY_SJ_SK_SL_EUlSY_E0_NS1_11comp_targetILNS1_3genE2ELNS1_11target_archE906ELNS1_3gpuE6ELNS1_3repE0EEENS1_38merge_mergepath_config_static_selectorELNS0_4arch9wavefront6targetE0EEEvSK_
		.amdhsa_group_segment_fixed_size 0
		.amdhsa_private_segment_fixed_size 0
		.amdhsa_kernarg_size 72
		.amdhsa_user_sgpr_count 6
		.amdhsa_user_sgpr_private_segment_buffer 1
		.amdhsa_user_sgpr_dispatch_ptr 0
		.amdhsa_user_sgpr_queue_ptr 0
		.amdhsa_user_sgpr_kernarg_segment_ptr 1
		.amdhsa_user_sgpr_dispatch_id 0
		.amdhsa_user_sgpr_flat_scratch_init 0
		.amdhsa_user_sgpr_private_segment_size 0
		.amdhsa_wavefront_size32 1
		.amdhsa_uses_dynamic_stack 0
		.amdhsa_system_sgpr_private_segment_wavefront_offset 0
		.amdhsa_system_sgpr_workgroup_id_x 1
		.amdhsa_system_sgpr_workgroup_id_y 0
		.amdhsa_system_sgpr_workgroup_id_z 0
		.amdhsa_system_sgpr_workgroup_info 0
		.amdhsa_system_vgpr_workitem_id 0
		.amdhsa_next_free_vgpr 1
		.amdhsa_next_free_sgpr 1
		.amdhsa_reserve_vcc 0
		.amdhsa_reserve_flat_scratch 0
		.amdhsa_float_round_mode_32 0
		.amdhsa_float_round_mode_16_64 0
		.amdhsa_float_denorm_mode_32 3
		.amdhsa_float_denorm_mode_16_64 3
		.amdhsa_dx10_clamp 1
		.amdhsa_ieee_mode 1
		.amdhsa_fp16_overflow 0
		.amdhsa_workgroup_processor_mode 1
		.amdhsa_memory_ordered 1
		.amdhsa_forward_progress 1
		.amdhsa_shared_vgpr_count 0
		.amdhsa_exception_fp_ieee_invalid_op 0
		.amdhsa_exception_fp_denorm_src 0
		.amdhsa_exception_fp_ieee_div_zero 0
		.amdhsa_exception_fp_ieee_overflow 0
		.amdhsa_exception_fp_ieee_underflow 0
		.amdhsa_exception_fp_ieee_inexact 0
		.amdhsa_exception_int_div_zero 0
	.end_amdhsa_kernel
	.section	.text._ZN7rocprim17ROCPRIM_400000_NS6detail17trampoline_kernelINS0_14default_configENS1_38merge_sort_block_merge_config_selectorIxNS0_10empty_typeEEEZZNS1_27merge_sort_block_merge_implIS3_N6thrust23THRUST_200600_302600_NS6detail15normal_iteratorINS9_10device_ptrIxEEEEPS5_m11less_div_10IxEEE10hipError_tT0_T1_T2_jT3_P12ihipStream_tbPNSt15iterator_traitsISJ_E10value_typeEPNSP_ISK_E10value_typeEPSL_NS1_7vsmem_tEENKUlT_SJ_SK_SL_E_clIPxSE_SF_SF_EESI_SY_SJ_SK_SL_EUlSY_E0_NS1_11comp_targetILNS1_3genE2ELNS1_11target_archE906ELNS1_3gpuE6ELNS1_3repE0EEENS1_38merge_mergepath_config_static_selectorELNS0_4arch9wavefront6targetE0EEEvSK_,"axG",@progbits,_ZN7rocprim17ROCPRIM_400000_NS6detail17trampoline_kernelINS0_14default_configENS1_38merge_sort_block_merge_config_selectorIxNS0_10empty_typeEEEZZNS1_27merge_sort_block_merge_implIS3_N6thrust23THRUST_200600_302600_NS6detail15normal_iteratorINS9_10device_ptrIxEEEEPS5_m11less_div_10IxEEE10hipError_tT0_T1_T2_jT3_P12ihipStream_tbPNSt15iterator_traitsISJ_E10value_typeEPNSP_ISK_E10value_typeEPSL_NS1_7vsmem_tEENKUlT_SJ_SK_SL_E_clIPxSE_SF_SF_EESI_SY_SJ_SK_SL_EUlSY_E0_NS1_11comp_targetILNS1_3genE2ELNS1_11target_archE906ELNS1_3gpuE6ELNS1_3repE0EEENS1_38merge_mergepath_config_static_selectorELNS0_4arch9wavefront6targetE0EEEvSK_,comdat
.Lfunc_end349:
	.size	_ZN7rocprim17ROCPRIM_400000_NS6detail17trampoline_kernelINS0_14default_configENS1_38merge_sort_block_merge_config_selectorIxNS0_10empty_typeEEEZZNS1_27merge_sort_block_merge_implIS3_N6thrust23THRUST_200600_302600_NS6detail15normal_iteratorINS9_10device_ptrIxEEEEPS5_m11less_div_10IxEEE10hipError_tT0_T1_T2_jT3_P12ihipStream_tbPNSt15iterator_traitsISJ_E10value_typeEPNSP_ISK_E10value_typeEPSL_NS1_7vsmem_tEENKUlT_SJ_SK_SL_E_clIPxSE_SF_SF_EESI_SY_SJ_SK_SL_EUlSY_E0_NS1_11comp_targetILNS1_3genE2ELNS1_11target_archE906ELNS1_3gpuE6ELNS1_3repE0EEENS1_38merge_mergepath_config_static_selectorELNS0_4arch9wavefront6targetE0EEEvSK_, .Lfunc_end349-_ZN7rocprim17ROCPRIM_400000_NS6detail17trampoline_kernelINS0_14default_configENS1_38merge_sort_block_merge_config_selectorIxNS0_10empty_typeEEEZZNS1_27merge_sort_block_merge_implIS3_N6thrust23THRUST_200600_302600_NS6detail15normal_iteratorINS9_10device_ptrIxEEEEPS5_m11less_div_10IxEEE10hipError_tT0_T1_T2_jT3_P12ihipStream_tbPNSt15iterator_traitsISJ_E10value_typeEPNSP_ISK_E10value_typeEPSL_NS1_7vsmem_tEENKUlT_SJ_SK_SL_E_clIPxSE_SF_SF_EESI_SY_SJ_SK_SL_EUlSY_E0_NS1_11comp_targetILNS1_3genE2ELNS1_11target_archE906ELNS1_3gpuE6ELNS1_3repE0EEENS1_38merge_mergepath_config_static_selectorELNS0_4arch9wavefront6targetE0EEEvSK_
                                        ; -- End function
	.set _ZN7rocprim17ROCPRIM_400000_NS6detail17trampoline_kernelINS0_14default_configENS1_38merge_sort_block_merge_config_selectorIxNS0_10empty_typeEEEZZNS1_27merge_sort_block_merge_implIS3_N6thrust23THRUST_200600_302600_NS6detail15normal_iteratorINS9_10device_ptrIxEEEEPS5_m11less_div_10IxEEE10hipError_tT0_T1_T2_jT3_P12ihipStream_tbPNSt15iterator_traitsISJ_E10value_typeEPNSP_ISK_E10value_typeEPSL_NS1_7vsmem_tEENKUlT_SJ_SK_SL_E_clIPxSE_SF_SF_EESI_SY_SJ_SK_SL_EUlSY_E0_NS1_11comp_targetILNS1_3genE2ELNS1_11target_archE906ELNS1_3gpuE6ELNS1_3repE0EEENS1_38merge_mergepath_config_static_selectorELNS0_4arch9wavefront6targetE0EEEvSK_.num_vgpr, 0
	.set _ZN7rocprim17ROCPRIM_400000_NS6detail17trampoline_kernelINS0_14default_configENS1_38merge_sort_block_merge_config_selectorIxNS0_10empty_typeEEEZZNS1_27merge_sort_block_merge_implIS3_N6thrust23THRUST_200600_302600_NS6detail15normal_iteratorINS9_10device_ptrIxEEEEPS5_m11less_div_10IxEEE10hipError_tT0_T1_T2_jT3_P12ihipStream_tbPNSt15iterator_traitsISJ_E10value_typeEPNSP_ISK_E10value_typeEPSL_NS1_7vsmem_tEENKUlT_SJ_SK_SL_E_clIPxSE_SF_SF_EESI_SY_SJ_SK_SL_EUlSY_E0_NS1_11comp_targetILNS1_3genE2ELNS1_11target_archE906ELNS1_3gpuE6ELNS1_3repE0EEENS1_38merge_mergepath_config_static_selectorELNS0_4arch9wavefront6targetE0EEEvSK_.num_agpr, 0
	.set _ZN7rocprim17ROCPRIM_400000_NS6detail17trampoline_kernelINS0_14default_configENS1_38merge_sort_block_merge_config_selectorIxNS0_10empty_typeEEEZZNS1_27merge_sort_block_merge_implIS3_N6thrust23THRUST_200600_302600_NS6detail15normal_iteratorINS9_10device_ptrIxEEEEPS5_m11less_div_10IxEEE10hipError_tT0_T1_T2_jT3_P12ihipStream_tbPNSt15iterator_traitsISJ_E10value_typeEPNSP_ISK_E10value_typeEPSL_NS1_7vsmem_tEENKUlT_SJ_SK_SL_E_clIPxSE_SF_SF_EESI_SY_SJ_SK_SL_EUlSY_E0_NS1_11comp_targetILNS1_3genE2ELNS1_11target_archE906ELNS1_3gpuE6ELNS1_3repE0EEENS1_38merge_mergepath_config_static_selectorELNS0_4arch9wavefront6targetE0EEEvSK_.numbered_sgpr, 0
	.set _ZN7rocprim17ROCPRIM_400000_NS6detail17trampoline_kernelINS0_14default_configENS1_38merge_sort_block_merge_config_selectorIxNS0_10empty_typeEEEZZNS1_27merge_sort_block_merge_implIS3_N6thrust23THRUST_200600_302600_NS6detail15normal_iteratorINS9_10device_ptrIxEEEEPS5_m11less_div_10IxEEE10hipError_tT0_T1_T2_jT3_P12ihipStream_tbPNSt15iterator_traitsISJ_E10value_typeEPNSP_ISK_E10value_typeEPSL_NS1_7vsmem_tEENKUlT_SJ_SK_SL_E_clIPxSE_SF_SF_EESI_SY_SJ_SK_SL_EUlSY_E0_NS1_11comp_targetILNS1_3genE2ELNS1_11target_archE906ELNS1_3gpuE6ELNS1_3repE0EEENS1_38merge_mergepath_config_static_selectorELNS0_4arch9wavefront6targetE0EEEvSK_.num_named_barrier, 0
	.set _ZN7rocprim17ROCPRIM_400000_NS6detail17trampoline_kernelINS0_14default_configENS1_38merge_sort_block_merge_config_selectorIxNS0_10empty_typeEEEZZNS1_27merge_sort_block_merge_implIS3_N6thrust23THRUST_200600_302600_NS6detail15normal_iteratorINS9_10device_ptrIxEEEEPS5_m11less_div_10IxEEE10hipError_tT0_T1_T2_jT3_P12ihipStream_tbPNSt15iterator_traitsISJ_E10value_typeEPNSP_ISK_E10value_typeEPSL_NS1_7vsmem_tEENKUlT_SJ_SK_SL_E_clIPxSE_SF_SF_EESI_SY_SJ_SK_SL_EUlSY_E0_NS1_11comp_targetILNS1_3genE2ELNS1_11target_archE906ELNS1_3gpuE6ELNS1_3repE0EEENS1_38merge_mergepath_config_static_selectorELNS0_4arch9wavefront6targetE0EEEvSK_.private_seg_size, 0
	.set _ZN7rocprim17ROCPRIM_400000_NS6detail17trampoline_kernelINS0_14default_configENS1_38merge_sort_block_merge_config_selectorIxNS0_10empty_typeEEEZZNS1_27merge_sort_block_merge_implIS3_N6thrust23THRUST_200600_302600_NS6detail15normal_iteratorINS9_10device_ptrIxEEEEPS5_m11less_div_10IxEEE10hipError_tT0_T1_T2_jT3_P12ihipStream_tbPNSt15iterator_traitsISJ_E10value_typeEPNSP_ISK_E10value_typeEPSL_NS1_7vsmem_tEENKUlT_SJ_SK_SL_E_clIPxSE_SF_SF_EESI_SY_SJ_SK_SL_EUlSY_E0_NS1_11comp_targetILNS1_3genE2ELNS1_11target_archE906ELNS1_3gpuE6ELNS1_3repE0EEENS1_38merge_mergepath_config_static_selectorELNS0_4arch9wavefront6targetE0EEEvSK_.uses_vcc, 0
	.set _ZN7rocprim17ROCPRIM_400000_NS6detail17trampoline_kernelINS0_14default_configENS1_38merge_sort_block_merge_config_selectorIxNS0_10empty_typeEEEZZNS1_27merge_sort_block_merge_implIS3_N6thrust23THRUST_200600_302600_NS6detail15normal_iteratorINS9_10device_ptrIxEEEEPS5_m11less_div_10IxEEE10hipError_tT0_T1_T2_jT3_P12ihipStream_tbPNSt15iterator_traitsISJ_E10value_typeEPNSP_ISK_E10value_typeEPSL_NS1_7vsmem_tEENKUlT_SJ_SK_SL_E_clIPxSE_SF_SF_EESI_SY_SJ_SK_SL_EUlSY_E0_NS1_11comp_targetILNS1_3genE2ELNS1_11target_archE906ELNS1_3gpuE6ELNS1_3repE0EEENS1_38merge_mergepath_config_static_selectorELNS0_4arch9wavefront6targetE0EEEvSK_.uses_flat_scratch, 0
	.set _ZN7rocprim17ROCPRIM_400000_NS6detail17trampoline_kernelINS0_14default_configENS1_38merge_sort_block_merge_config_selectorIxNS0_10empty_typeEEEZZNS1_27merge_sort_block_merge_implIS3_N6thrust23THRUST_200600_302600_NS6detail15normal_iteratorINS9_10device_ptrIxEEEEPS5_m11less_div_10IxEEE10hipError_tT0_T1_T2_jT3_P12ihipStream_tbPNSt15iterator_traitsISJ_E10value_typeEPNSP_ISK_E10value_typeEPSL_NS1_7vsmem_tEENKUlT_SJ_SK_SL_E_clIPxSE_SF_SF_EESI_SY_SJ_SK_SL_EUlSY_E0_NS1_11comp_targetILNS1_3genE2ELNS1_11target_archE906ELNS1_3gpuE6ELNS1_3repE0EEENS1_38merge_mergepath_config_static_selectorELNS0_4arch9wavefront6targetE0EEEvSK_.has_dyn_sized_stack, 0
	.set _ZN7rocprim17ROCPRIM_400000_NS6detail17trampoline_kernelINS0_14default_configENS1_38merge_sort_block_merge_config_selectorIxNS0_10empty_typeEEEZZNS1_27merge_sort_block_merge_implIS3_N6thrust23THRUST_200600_302600_NS6detail15normal_iteratorINS9_10device_ptrIxEEEEPS5_m11less_div_10IxEEE10hipError_tT0_T1_T2_jT3_P12ihipStream_tbPNSt15iterator_traitsISJ_E10value_typeEPNSP_ISK_E10value_typeEPSL_NS1_7vsmem_tEENKUlT_SJ_SK_SL_E_clIPxSE_SF_SF_EESI_SY_SJ_SK_SL_EUlSY_E0_NS1_11comp_targetILNS1_3genE2ELNS1_11target_archE906ELNS1_3gpuE6ELNS1_3repE0EEENS1_38merge_mergepath_config_static_selectorELNS0_4arch9wavefront6targetE0EEEvSK_.has_recursion, 0
	.set _ZN7rocprim17ROCPRIM_400000_NS6detail17trampoline_kernelINS0_14default_configENS1_38merge_sort_block_merge_config_selectorIxNS0_10empty_typeEEEZZNS1_27merge_sort_block_merge_implIS3_N6thrust23THRUST_200600_302600_NS6detail15normal_iteratorINS9_10device_ptrIxEEEEPS5_m11less_div_10IxEEE10hipError_tT0_T1_T2_jT3_P12ihipStream_tbPNSt15iterator_traitsISJ_E10value_typeEPNSP_ISK_E10value_typeEPSL_NS1_7vsmem_tEENKUlT_SJ_SK_SL_E_clIPxSE_SF_SF_EESI_SY_SJ_SK_SL_EUlSY_E0_NS1_11comp_targetILNS1_3genE2ELNS1_11target_archE906ELNS1_3gpuE6ELNS1_3repE0EEENS1_38merge_mergepath_config_static_selectorELNS0_4arch9wavefront6targetE0EEEvSK_.has_indirect_call, 0
	.section	.AMDGPU.csdata,"",@progbits
; Kernel info:
; codeLenInByte = 0
; TotalNumSgprs: 0
; NumVgprs: 0
; ScratchSize: 0
; MemoryBound: 0
; FloatMode: 240
; IeeeMode: 1
; LDSByteSize: 0 bytes/workgroup (compile time only)
; SGPRBlocks: 0
; VGPRBlocks: 0
; NumSGPRsForWavesPerEU: 1
; NumVGPRsForWavesPerEU: 1
; Occupancy: 16
; WaveLimiterHint : 0
; COMPUTE_PGM_RSRC2:SCRATCH_EN: 0
; COMPUTE_PGM_RSRC2:USER_SGPR: 6
; COMPUTE_PGM_RSRC2:TRAP_HANDLER: 0
; COMPUTE_PGM_RSRC2:TGID_X_EN: 1
; COMPUTE_PGM_RSRC2:TGID_Y_EN: 0
; COMPUTE_PGM_RSRC2:TGID_Z_EN: 0
; COMPUTE_PGM_RSRC2:TIDIG_COMP_CNT: 0
	.section	.text._ZN7rocprim17ROCPRIM_400000_NS6detail17trampoline_kernelINS0_14default_configENS1_38merge_sort_block_merge_config_selectorIxNS0_10empty_typeEEEZZNS1_27merge_sort_block_merge_implIS3_N6thrust23THRUST_200600_302600_NS6detail15normal_iteratorINS9_10device_ptrIxEEEEPS5_m11less_div_10IxEEE10hipError_tT0_T1_T2_jT3_P12ihipStream_tbPNSt15iterator_traitsISJ_E10value_typeEPNSP_ISK_E10value_typeEPSL_NS1_7vsmem_tEENKUlT_SJ_SK_SL_E_clIPxSE_SF_SF_EESI_SY_SJ_SK_SL_EUlSY_E0_NS1_11comp_targetILNS1_3genE9ELNS1_11target_archE1100ELNS1_3gpuE3ELNS1_3repE0EEENS1_38merge_mergepath_config_static_selectorELNS0_4arch9wavefront6targetE0EEEvSK_,"axG",@progbits,_ZN7rocprim17ROCPRIM_400000_NS6detail17trampoline_kernelINS0_14default_configENS1_38merge_sort_block_merge_config_selectorIxNS0_10empty_typeEEEZZNS1_27merge_sort_block_merge_implIS3_N6thrust23THRUST_200600_302600_NS6detail15normal_iteratorINS9_10device_ptrIxEEEEPS5_m11less_div_10IxEEE10hipError_tT0_T1_T2_jT3_P12ihipStream_tbPNSt15iterator_traitsISJ_E10value_typeEPNSP_ISK_E10value_typeEPSL_NS1_7vsmem_tEENKUlT_SJ_SK_SL_E_clIPxSE_SF_SF_EESI_SY_SJ_SK_SL_EUlSY_E0_NS1_11comp_targetILNS1_3genE9ELNS1_11target_archE1100ELNS1_3gpuE3ELNS1_3repE0EEENS1_38merge_mergepath_config_static_selectorELNS0_4arch9wavefront6targetE0EEEvSK_,comdat
	.protected	_ZN7rocprim17ROCPRIM_400000_NS6detail17trampoline_kernelINS0_14default_configENS1_38merge_sort_block_merge_config_selectorIxNS0_10empty_typeEEEZZNS1_27merge_sort_block_merge_implIS3_N6thrust23THRUST_200600_302600_NS6detail15normal_iteratorINS9_10device_ptrIxEEEEPS5_m11less_div_10IxEEE10hipError_tT0_T1_T2_jT3_P12ihipStream_tbPNSt15iterator_traitsISJ_E10value_typeEPNSP_ISK_E10value_typeEPSL_NS1_7vsmem_tEENKUlT_SJ_SK_SL_E_clIPxSE_SF_SF_EESI_SY_SJ_SK_SL_EUlSY_E0_NS1_11comp_targetILNS1_3genE9ELNS1_11target_archE1100ELNS1_3gpuE3ELNS1_3repE0EEENS1_38merge_mergepath_config_static_selectorELNS0_4arch9wavefront6targetE0EEEvSK_ ; -- Begin function _ZN7rocprim17ROCPRIM_400000_NS6detail17trampoline_kernelINS0_14default_configENS1_38merge_sort_block_merge_config_selectorIxNS0_10empty_typeEEEZZNS1_27merge_sort_block_merge_implIS3_N6thrust23THRUST_200600_302600_NS6detail15normal_iteratorINS9_10device_ptrIxEEEEPS5_m11less_div_10IxEEE10hipError_tT0_T1_T2_jT3_P12ihipStream_tbPNSt15iterator_traitsISJ_E10value_typeEPNSP_ISK_E10value_typeEPSL_NS1_7vsmem_tEENKUlT_SJ_SK_SL_E_clIPxSE_SF_SF_EESI_SY_SJ_SK_SL_EUlSY_E0_NS1_11comp_targetILNS1_3genE9ELNS1_11target_archE1100ELNS1_3gpuE3ELNS1_3repE0EEENS1_38merge_mergepath_config_static_selectorELNS0_4arch9wavefront6targetE0EEEvSK_
	.globl	_ZN7rocprim17ROCPRIM_400000_NS6detail17trampoline_kernelINS0_14default_configENS1_38merge_sort_block_merge_config_selectorIxNS0_10empty_typeEEEZZNS1_27merge_sort_block_merge_implIS3_N6thrust23THRUST_200600_302600_NS6detail15normal_iteratorINS9_10device_ptrIxEEEEPS5_m11less_div_10IxEEE10hipError_tT0_T1_T2_jT3_P12ihipStream_tbPNSt15iterator_traitsISJ_E10value_typeEPNSP_ISK_E10value_typeEPSL_NS1_7vsmem_tEENKUlT_SJ_SK_SL_E_clIPxSE_SF_SF_EESI_SY_SJ_SK_SL_EUlSY_E0_NS1_11comp_targetILNS1_3genE9ELNS1_11target_archE1100ELNS1_3gpuE3ELNS1_3repE0EEENS1_38merge_mergepath_config_static_selectorELNS0_4arch9wavefront6targetE0EEEvSK_
	.p2align	8
	.type	_ZN7rocprim17ROCPRIM_400000_NS6detail17trampoline_kernelINS0_14default_configENS1_38merge_sort_block_merge_config_selectorIxNS0_10empty_typeEEEZZNS1_27merge_sort_block_merge_implIS3_N6thrust23THRUST_200600_302600_NS6detail15normal_iteratorINS9_10device_ptrIxEEEEPS5_m11less_div_10IxEEE10hipError_tT0_T1_T2_jT3_P12ihipStream_tbPNSt15iterator_traitsISJ_E10value_typeEPNSP_ISK_E10value_typeEPSL_NS1_7vsmem_tEENKUlT_SJ_SK_SL_E_clIPxSE_SF_SF_EESI_SY_SJ_SK_SL_EUlSY_E0_NS1_11comp_targetILNS1_3genE9ELNS1_11target_archE1100ELNS1_3gpuE3ELNS1_3repE0EEENS1_38merge_mergepath_config_static_selectorELNS0_4arch9wavefront6targetE0EEEvSK_,@function
_ZN7rocprim17ROCPRIM_400000_NS6detail17trampoline_kernelINS0_14default_configENS1_38merge_sort_block_merge_config_selectorIxNS0_10empty_typeEEEZZNS1_27merge_sort_block_merge_implIS3_N6thrust23THRUST_200600_302600_NS6detail15normal_iteratorINS9_10device_ptrIxEEEEPS5_m11less_div_10IxEEE10hipError_tT0_T1_T2_jT3_P12ihipStream_tbPNSt15iterator_traitsISJ_E10value_typeEPNSP_ISK_E10value_typeEPSL_NS1_7vsmem_tEENKUlT_SJ_SK_SL_E_clIPxSE_SF_SF_EESI_SY_SJ_SK_SL_EUlSY_E0_NS1_11comp_targetILNS1_3genE9ELNS1_11target_archE1100ELNS1_3gpuE3ELNS1_3repE0EEENS1_38merge_mergepath_config_static_selectorELNS0_4arch9wavefront6targetE0EEEvSK_: ; @_ZN7rocprim17ROCPRIM_400000_NS6detail17trampoline_kernelINS0_14default_configENS1_38merge_sort_block_merge_config_selectorIxNS0_10empty_typeEEEZZNS1_27merge_sort_block_merge_implIS3_N6thrust23THRUST_200600_302600_NS6detail15normal_iteratorINS9_10device_ptrIxEEEEPS5_m11less_div_10IxEEE10hipError_tT0_T1_T2_jT3_P12ihipStream_tbPNSt15iterator_traitsISJ_E10value_typeEPNSP_ISK_E10value_typeEPSL_NS1_7vsmem_tEENKUlT_SJ_SK_SL_E_clIPxSE_SF_SF_EESI_SY_SJ_SK_SL_EUlSY_E0_NS1_11comp_targetILNS1_3genE9ELNS1_11target_archE1100ELNS1_3gpuE3ELNS1_3repE0EEENS1_38merge_mergepath_config_static_selectorELNS0_4arch9wavefront6targetE0EEEvSK_
; %bb.0:
	.section	.rodata,"a",@progbits
	.p2align	6, 0x0
	.amdhsa_kernel _ZN7rocprim17ROCPRIM_400000_NS6detail17trampoline_kernelINS0_14default_configENS1_38merge_sort_block_merge_config_selectorIxNS0_10empty_typeEEEZZNS1_27merge_sort_block_merge_implIS3_N6thrust23THRUST_200600_302600_NS6detail15normal_iteratorINS9_10device_ptrIxEEEEPS5_m11less_div_10IxEEE10hipError_tT0_T1_T2_jT3_P12ihipStream_tbPNSt15iterator_traitsISJ_E10value_typeEPNSP_ISK_E10value_typeEPSL_NS1_7vsmem_tEENKUlT_SJ_SK_SL_E_clIPxSE_SF_SF_EESI_SY_SJ_SK_SL_EUlSY_E0_NS1_11comp_targetILNS1_3genE9ELNS1_11target_archE1100ELNS1_3gpuE3ELNS1_3repE0EEENS1_38merge_mergepath_config_static_selectorELNS0_4arch9wavefront6targetE0EEEvSK_
		.amdhsa_group_segment_fixed_size 0
		.amdhsa_private_segment_fixed_size 0
		.amdhsa_kernarg_size 72
		.amdhsa_user_sgpr_count 6
		.amdhsa_user_sgpr_private_segment_buffer 1
		.amdhsa_user_sgpr_dispatch_ptr 0
		.amdhsa_user_sgpr_queue_ptr 0
		.amdhsa_user_sgpr_kernarg_segment_ptr 1
		.amdhsa_user_sgpr_dispatch_id 0
		.amdhsa_user_sgpr_flat_scratch_init 0
		.amdhsa_user_sgpr_private_segment_size 0
		.amdhsa_wavefront_size32 1
		.amdhsa_uses_dynamic_stack 0
		.amdhsa_system_sgpr_private_segment_wavefront_offset 0
		.amdhsa_system_sgpr_workgroup_id_x 1
		.amdhsa_system_sgpr_workgroup_id_y 0
		.amdhsa_system_sgpr_workgroup_id_z 0
		.amdhsa_system_sgpr_workgroup_info 0
		.amdhsa_system_vgpr_workitem_id 0
		.amdhsa_next_free_vgpr 1
		.amdhsa_next_free_sgpr 1
		.amdhsa_reserve_vcc 0
		.amdhsa_reserve_flat_scratch 0
		.amdhsa_float_round_mode_32 0
		.amdhsa_float_round_mode_16_64 0
		.amdhsa_float_denorm_mode_32 3
		.amdhsa_float_denorm_mode_16_64 3
		.amdhsa_dx10_clamp 1
		.amdhsa_ieee_mode 1
		.amdhsa_fp16_overflow 0
		.amdhsa_workgroup_processor_mode 1
		.amdhsa_memory_ordered 1
		.amdhsa_forward_progress 1
		.amdhsa_shared_vgpr_count 0
		.amdhsa_exception_fp_ieee_invalid_op 0
		.amdhsa_exception_fp_denorm_src 0
		.amdhsa_exception_fp_ieee_div_zero 0
		.amdhsa_exception_fp_ieee_overflow 0
		.amdhsa_exception_fp_ieee_underflow 0
		.amdhsa_exception_fp_ieee_inexact 0
		.amdhsa_exception_int_div_zero 0
	.end_amdhsa_kernel
	.section	.text._ZN7rocprim17ROCPRIM_400000_NS6detail17trampoline_kernelINS0_14default_configENS1_38merge_sort_block_merge_config_selectorIxNS0_10empty_typeEEEZZNS1_27merge_sort_block_merge_implIS3_N6thrust23THRUST_200600_302600_NS6detail15normal_iteratorINS9_10device_ptrIxEEEEPS5_m11less_div_10IxEEE10hipError_tT0_T1_T2_jT3_P12ihipStream_tbPNSt15iterator_traitsISJ_E10value_typeEPNSP_ISK_E10value_typeEPSL_NS1_7vsmem_tEENKUlT_SJ_SK_SL_E_clIPxSE_SF_SF_EESI_SY_SJ_SK_SL_EUlSY_E0_NS1_11comp_targetILNS1_3genE9ELNS1_11target_archE1100ELNS1_3gpuE3ELNS1_3repE0EEENS1_38merge_mergepath_config_static_selectorELNS0_4arch9wavefront6targetE0EEEvSK_,"axG",@progbits,_ZN7rocprim17ROCPRIM_400000_NS6detail17trampoline_kernelINS0_14default_configENS1_38merge_sort_block_merge_config_selectorIxNS0_10empty_typeEEEZZNS1_27merge_sort_block_merge_implIS3_N6thrust23THRUST_200600_302600_NS6detail15normal_iteratorINS9_10device_ptrIxEEEEPS5_m11less_div_10IxEEE10hipError_tT0_T1_T2_jT3_P12ihipStream_tbPNSt15iterator_traitsISJ_E10value_typeEPNSP_ISK_E10value_typeEPSL_NS1_7vsmem_tEENKUlT_SJ_SK_SL_E_clIPxSE_SF_SF_EESI_SY_SJ_SK_SL_EUlSY_E0_NS1_11comp_targetILNS1_3genE9ELNS1_11target_archE1100ELNS1_3gpuE3ELNS1_3repE0EEENS1_38merge_mergepath_config_static_selectorELNS0_4arch9wavefront6targetE0EEEvSK_,comdat
.Lfunc_end350:
	.size	_ZN7rocprim17ROCPRIM_400000_NS6detail17trampoline_kernelINS0_14default_configENS1_38merge_sort_block_merge_config_selectorIxNS0_10empty_typeEEEZZNS1_27merge_sort_block_merge_implIS3_N6thrust23THRUST_200600_302600_NS6detail15normal_iteratorINS9_10device_ptrIxEEEEPS5_m11less_div_10IxEEE10hipError_tT0_T1_T2_jT3_P12ihipStream_tbPNSt15iterator_traitsISJ_E10value_typeEPNSP_ISK_E10value_typeEPSL_NS1_7vsmem_tEENKUlT_SJ_SK_SL_E_clIPxSE_SF_SF_EESI_SY_SJ_SK_SL_EUlSY_E0_NS1_11comp_targetILNS1_3genE9ELNS1_11target_archE1100ELNS1_3gpuE3ELNS1_3repE0EEENS1_38merge_mergepath_config_static_selectorELNS0_4arch9wavefront6targetE0EEEvSK_, .Lfunc_end350-_ZN7rocprim17ROCPRIM_400000_NS6detail17trampoline_kernelINS0_14default_configENS1_38merge_sort_block_merge_config_selectorIxNS0_10empty_typeEEEZZNS1_27merge_sort_block_merge_implIS3_N6thrust23THRUST_200600_302600_NS6detail15normal_iteratorINS9_10device_ptrIxEEEEPS5_m11less_div_10IxEEE10hipError_tT0_T1_T2_jT3_P12ihipStream_tbPNSt15iterator_traitsISJ_E10value_typeEPNSP_ISK_E10value_typeEPSL_NS1_7vsmem_tEENKUlT_SJ_SK_SL_E_clIPxSE_SF_SF_EESI_SY_SJ_SK_SL_EUlSY_E0_NS1_11comp_targetILNS1_3genE9ELNS1_11target_archE1100ELNS1_3gpuE3ELNS1_3repE0EEENS1_38merge_mergepath_config_static_selectorELNS0_4arch9wavefront6targetE0EEEvSK_
                                        ; -- End function
	.set _ZN7rocprim17ROCPRIM_400000_NS6detail17trampoline_kernelINS0_14default_configENS1_38merge_sort_block_merge_config_selectorIxNS0_10empty_typeEEEZZNS1_27merge_sort_block_merge_implIS3_N6thrust23THRUST_200600_302600_NS6detail15normal_iteratorINS9_10device_ptrIxEEEEPS5_m11less_div_10IxEEE10hipError_tT0_T1_T2_jT3_P12ihipStream_tbPNSt15iterator_traitsISJ_E10value_typeEPNSP_ISK_E10value_typeEPSL_NS1_7vsmem_tEENKUlT_SJ_SK_SL_E_clIPxSE_SF_SF_EESI_SY_SJ_SK_SL_EUlSY_E0_NS1_11comp_targetILNS1_3genE9ELNS1_11target_archE1100ELNS1_3gpuE3ELNS1_3repE0EEENS1_38merge_mergepath_config_static_selectorELNS0_4arch9wavefront6targetE0EEEvSK_.num_vgpr, 0
	.set _ZN7rocprim17ROCPRIM_400000_NS6detail17trampoline_kernelINS0_14default_configENS1_38merge_sort_block_merge_config_selectorIxNS0_10empty_typeEEEZZNS1_27merge_sort_block_merge_implIS3_N6thrust23THRUST_200600_302600_NS6detail15normal_iteratorINS9_10device_ptrIxEEEEPS5_m11less_div_10IxEEE10hipError_tT0_T1_T2_jT3_P12ihipStream_tbPNSt15iterator_traitsISJ_E10value_typeEPNSP_ISK_E10value_typeEPSL_NS1_7vsmem_tEENKUlT_SJ_SK_SL_E_clIPxSE_SF_SF_EESI_SY_SJ_SK_SL_EUlSY_E0_NS1_11comp_targetILNS1_3genE9ELNS1_11target_archE1100ELNS1_3gpuE3ELNS1_3repE0EEENS1_38merge_mergepath_config_static_selectorELNS0_4arch9wavefront6targetE0EEEvSK_.num_agpr, 0
	.set _ZN7rocprim17ROCPRIM_400000_NS6detail17trampoline_kernelINS0_14default_configENS1_38merge_sort_block_merge_config_selectorIxNS0_10empty_typeEEEZZNS1_27merge_sort_block_merge_implIS3_N6thrust23THRUST_200600_302600_NS6detail15normal_iteratorINS9_10device_ptrIxEEEEPS5_m11less_div_10IxEEE10hipError_tT0_T1_T2_jT3_P12ihipStream_tbPNSt15iterator_traitsISJ_E10value_typeEPNSP_ISK_E10value_typeEPSL_NS1_7vsmem_tEENKUlT_SJ_SK_SL_E_clIPxSE_SF_SF_EESI_SY_SJ_SK_SL_EUlSY_E0_NS1_11comp_targetILNS1_3genE9ELNS1_11target_archE1100ELNS1_3gpuE3ELNS1_3repE0EEENS1_38merge_mergepath_config_static_selectorELNS0_4arch9wavefront6targetE0EEEvSK_.numbered_sgpr, 0
	.set _ZN7rocprim17ROCPRIM_400000_NS6detail17trampoline_kernelINS0_14default_configENS1_38merge_sort_block_merge_config_selectorIxNS0_10empty_typeEEEZZNS1_27merge_sort_block_merge_implIS3_N6thrust23THRUST_200600_302600_NS6detail15normal_iteratorINS9_10device_ptrIxEEEEPS5_m11less_div_10IxEEE10hipError_tT0_T1_T2_jT3_P12ihipStream_tbPNSt15iterator_traitsISJ_E10value_typeEPNSP_ISK_E10value_typeEPSL_NS1_7vsmem_tEENKUlT_SJ_SK_SL_E_clIPxSE_SF_SF_EESI_SY_SJ_SK_SL_EUlSY_E0_NS1_11comp_targetILNS1_3genE9ELNS1_11target_archE1100ELNS1_3gpuE3ELNS1_3repE0EEENS1_38merge_mergepath_config_static_selectorELNS0_4arch9wavefront6targetE0EEEvSK_.num_named_barrier, 0
	.set _ZN7rocprim17ROCPRIM_400000_NS6detail17trampoline_kernelINS0_14default_configENS1_38merge_sort_block_merge_config_selectorIxNS0_10empty_typeEEEZZNS1_27merge_sort_block_merge_implIS3_N6thrust23THRUST_200600_302600_NS6detail15normal_iteratorINS9_10device_ptrIxEEEEPS5_m11less_div_10IxEEE10hipError_tT0_T1_T2_jT3_P12ihipStream_tbPNSt15iterator_traitsISJ_E10value_typeEPNSP_ISK_E10value_typeEPSL_NS1_7vsmem_tEENKUlT_SJ_SK_SL_E_clIPxSE_SF_SF_EESI_SY_SJ_SK_SL_EUlSY_E0_NS1_11comp_targetILNS1_3genE9ELNS1_11target_archE1100ELNS1_3gpuE3ELNS1_3repE0EEENS1_38merge_mergepath_config_static_selectorELNS0_4arch9wavefront6targetE0EEEvSK_.private_seg_size, 0
	.set _ZN7rocprim17ROCPRIM_400000_NS6detail17trampoline_kernelINS0_14default_configENS1_38merge_sort_block_merge_config_selectorIxNS0_10empty_typeEEEZZNS1_27merge_sort_block_merge_implIS3_N6thrust23THRUST_200600_302600_NS6detail15normal_iteratorINS9_10device_ptrIxEEEEPS5_m11less_div_10IxEEE10hipError_tT0_T1_T2_jT3_P12ihipStream_tbPNSt15iterator_traitsISJ_E10value_typeEPNSP_ISK_E10value_typeEPSL_NS1_7vsmem_tEENKUlT_SJ_SK_SL_E_clIPxSE_SF_SF_EESI_SY_SJ_SK_SL_EUlSY_E0_NS1_11comp_targetILNS1_3genE9ELNS1_11target_archE1100ELNS1_3gpuE3ELNS1_3repE0EEENS1_38merge_mergepath_config_static_selectorELNS0_4arch9wavefront6targetE0EEEvSK_.uses_vcc, 0
	.set _ZN7rocprim17ROCPRIM_400000_NS6detail17trampoline_kernelINS0_14default_configENS1_38merge_sort_block_merge_config_selectorIxNS0_10empty_typeEEEZZNS1_27merge_sort_block_merge_implIS3_N6thrust23THRUST_200600_302600_NS6detail15normal_iteratorINS9_10device_ptrIxEEEEPS5_m11less_div_10IxEEE10hipError_tT0_T1_T2_jT3_P12ihipStream_tbPNSt15iterator_traitsISJ_E10value_typeEPNSP_ISK_E10value_typeEPSL_NS1_7vsmem_tEENKUlT_SJ_SK_SL_E_clIPxSE_SF_SF_EESI_SY_SJ_SK_SL_EUlSY_E0_NS1_11comp_targetILNS1_3genE9ELNS1_11target_archE1100ELNS1_3gpuE3ELNS1_3repE0EEENS1_38merge_mergepath_config_static_selectorELNS0_4arch9wavefront6targetE0EEEvSK_.uses_flat_scratch, 0
	.set _ZN7rocprim17ROCPRIM_400000_NS6detail17trampoline_kernelINS0_14default_configENS1_38merge_sort_block_merge_config_selectorIxNS0_10empty_typeEEEZZNS1_27merge_sort_block_merge_implIS3_N6thrust23THRUST_200600_302600_NS6detail15normal_iteratorINS9_10device_ptrIxEEEEPS5_m11less_div_10IxEEE10hipError_tT0_T1_T2_jT3_P12ihipStream_tbPNSt15iterator_traitsISJ_E10value_typeEPNSP_ISK_E10value_typeEPSL_NS1_7vsmem_tEENKUlT_SJ_SK_SL_E_clIPxSE_SF_SF_EESI_SY_SJ_SK_SL_EUlSY_E0_NS1_11comp_targetILNS1_3genE9ELNS1_11target_archE1100ELNS1_3gpuE3ELNS1_3repE0EEENS1_38merge_mergepath_config_static_selectorELNS0_4arch9wavefront6targetE0EEEvSK_.has_dyn_sized_stack, 0
	.set _ZN7rocprim17ROCPRIM_400000_NS6detail17trampoline_kernelINS0_14default_configENS1_38merge_sort_block_merge_config_selectorIxNS0_10empty_typeEEEZZNS1_27merge_sort_block_merge_implIS3_N6thrust23THRUST_200600_302600_NS6detail15normal_iteratorINS9_10device_ptrIxEEEEPS5_m11less_div_10IxEEE10hipError_tT0_T1_T2_jT3_P12ihipStream_tbPNSt15iterator_traitsISJ_E10value_typeEPNSP_ISK_E10value_typeEPSL_NS1_7vsmem_tEENKUlT_SJ_SK_SL_E_clIPxSE_SF_SF_EESI_SY_SJ_SK_SL_EUlSY_E0_NS1_11comp_targetILNS1_3genE9ELNS1_11target_archE1100ELNS1_3gpuE3ELNS1_3repE0EEENS1_38merge_mergepath_config_static_selectorELNS0_4arch9wavefront6targetE0EEEvSK_.has_recursion, 0
	.set _ZN7rocprim17ROCPRIM_400000_NS6detail17trampoline_kernelINS0_14default_configENS1_38merge_sort_block_merge_config_selectorIxNS0_10empty_typeEEEZZNS1_27merge_sort_block_merge_implIS3_N6thrust23THRUST_200600_302600_NS6detail15normal_iteratorINS9_10device_ptrIxEEEEPS5_m11less_div_10IxEEE10hipError_tT0_T1_T2_jT3_P12ihipStream_tbPNSt15iterator_traitsISJ_E10value_typeEPNSP_ISK_E10value_typeEPSL_NS1_7vsmem_tEENKUlT_SJ_SK_SL_E_clIPxSE_SF_SF_EESI_SY_SJ_SK_SL_EUlSY_E0_NS1_11comp_targetILNS1_3genE9ELNS1_11target_archE1100ELNS1_3gpuE3ELNS1_3repE0EEENS1_38merge_mergepath_config_static_selectorELNS0_4arch9wavefront6targetE0EEEvSK_.has_indirect_call, 0
	.section	.AMDGPU.csdata,"",@progbits
; Kernel info:
; codeLenInByte = 0
; TotalNumSgprs: 0
; NumVgprs: 0
; ScratchSize: 0
; MemoryBound: 0
; FloatMode: 240
; IeeeMode: 1
; LDSByteSize: 0 bytes/workgroup (compile time only)
; SGPRBlocks: 0
; VGPRBlocks: 0
; NumSGPRsForWavesPerEU: 1
; NumVGPRsForWavesPerEU: 1
; Occupancy: 16
; WaveLimiterHint : 0
; COMPUTE_PGM_RSRC2:SCRATCH_EN: 0
; COMPUTE_PGM_RSRC2:USER_SGPR: 6
; COMPUTE_PGM_RSRC2:TRAP_HANDLER: 0
; COMPUTE_PGM_RSRC2:TGID_X_EN: 1
; COMPUTE_PGM_RSRC2:TGID_Y_EN: 0
; COMPUTE_PGM_RSRC2:TGID_Z_EN: 0
; COMPUTE_PGM_RSRC2:TIDIG_COMP_CNT: 0
	.section	.text._ZN7rocprim17ROCPRIM_400000_NS6detail17trampoline_kernelINS0_14default_configENS1_38merge_sort_block_merge_config_selectorIxNS0_10empty_typeEEEZZNS1_27merge_sort_block_merge_implIS3_N6thrust23THRUST_200600_302600_NS6detail15normal_iteratorINS9_10device_ptrIxEEEEPS5_m11less_div_10IxEEE10hipError_tT0_T1_T2_jT3_P12ihipStream_tbPNSt15iterator_traitsISJ_E10value_typeEPNSP_ISK_E10value_typeEPSL_NS1_7vsmem_tEENKUlT_SJ_SK_SL_E_clIPxSE_SF_SF_EESI_SY_SJ_SK_SL_EUlSY_E0_NS1_11comp_targetILNS1_3genE8ELNS1_11target_archE1030ELNS1_3gpuE2ELNS1_3repE0EEENS1_38merge_mergepath_config_static_selectorELNS0_4arch9wavefront6targetE0EEEvSK_,"axG",@progbits,_ZN7rocprim17ROCPRIM_400000_NS6detail17trampoline_kernelINS0_14default_configENS1_38merge_sort_block_merge_config_selectorIxNS0_10empty_typeEEEZZNS1_27merge_sort_block_merge_implIS3_N6thrust23THRUST_200600_302600_NS6detail15normal_iteratorINS9_10device_ptrIxEEEEPS5_m11less_div_10IxEEE10hipError_tT0_T1_T2_jT3_P12ihipStream_tbPNSt15iterator_traitsISJ_E10value_typeEPNSP_ISK_E10value_typeEPSL_NS1_7vsmem_tEENKUlT_SJ_SK_SL_E_clIPxSE_SF_SF_EESI_SY_SJ_SK_SL_EUlSY_E0_NS1_11comp_targetILNS1_3genE8ELNS1_11target_archE1030ELNS1_3gpuE2ELNS1_3repE0EEENS1_38merge_mergepath_config_static_selectorELNS0_4arch9wavefront6targetE0EEEvSK_,comdat
	.protected	_ZN7rocprim17ROCPRIM_400000_NS6detail17trampoline_kernelINS0_14default_configENS1_38merge_sort_block_merge_config_selectorIxNS0_10empty_typeEEEZZNS1_27merge_sort_block_merge_implIS3_N6thrust23THRUST_200600_302600_NS6detail15normal_iteratorINS9_10device_ptrIxEEEEPS5_m11less_div_10IxEEE10hipError_tT0_T1_T2_jT3_P12ihipStream_tbPNSt15iterator_traitsISJ_E10value_typeEPNSP_ISK_E10value_typeEPSL_NS1_7vsmem_tEENKUlT_SJ_SK_SL_E_clIPxSE_SF_SF_EESI_SY_SJ_SK_SL_EUlSY_E0_NS1_11comp_targetILNS1_3genE8ELNS1_11target_archE1030ELNS1_3gpuE2ELNS1_3repE0EEENS1_38merge_mergepath_config_static_selectorELNS0_4arch9wavefront6targetE0EEEvSK_ ; -- Begin function _ZN7rocprim17ROCPRIM_400000_NS6detail17trampoline_kernelINS0_14default_configENS1_38merge_sort_block_merge_config_selectorIxNS0_10empty_typeEEEZZNS1_27merge_sort_block_merge_implIS3_N6thrust23THRUST_200600_302600_NS6detail15normal_iteratorINS9_10device_ptrIxEEEEPS5_m11less_div_10IxEEE10hipError_tT0_T1_T2_jT3_P12ihipStream_tbPNSt15iterator_traitsISJ_E10value_typeEPNSP_ISK_E10value_typeEPSL_NS1_7vsmem_tEENKUlT_SJ_SK_SL_E_clIPxSE_SF_SF_EESI_SY_SJ_SK_SL_EUlSY_E0_NS1_11comp_targetILNS1_3genE8ELNS1_11target_archE1030ELNS1_3gpuE2ELNS1_3repE0EEENS1_38merge_mergepath_config_static_selectorELNS0_4arch9wavefront6targetE0EEEvSK_
	.globl	_ZN7rocprim17ROCPRIM_400000_NS6detail17trampoline_kernelINS0_14default_configENS1_38merge_sort_block_merge_config_selectorIxNS0_10empty_typeEEEZZNS1_27merge_sort_block_merge_implIS3_N6thrust23THRUST_200600_302600_NS6detail15normal_iteratorINS9_10device_ptrIxEEEEPS5_m11less_div_10IxEEE10hipError_tT0_T1_T2_jT3_P12ihipStream_tbPNSt15iterator_traitsISJ_E10value_typeEPNSP_ISK_E10value_typeEPSL_NS1_7vsmem_tEENKUlT_SJ_SK_SL_E_clIPxSE_SF_SF_EESI_SY_SJ_SK_SL_EUlSY_E0_NS1_11comp_targetILNS1_3genE8ELNS1_11target_archE1030ELNS1_3gpuE2ELNS1_3repE0EEENS1_38merge_mergepath_config_static_selectorELNS0_4arch9wavefront6targetE0EEEvSK_
	.p2align	8
	.type	_ZN7rocprim17ROCPRIM_400000_NS6detail17trampoline_kernelINS0_14default_configENS1_38merge_sort_block_merge_config_selectorIxNS0_10empty_typeEEEZZNS1_27merge_sort_block_merge_implIS3_N6thrust23THRUST_200600_302600_NS6detail15normal_iteratorINS9_10device_ptrIxEEEEPS5_m11less_div_10IxEEE10hipError_tT0_T1_T2_jT3_P12ihipStream_tbPNSt15iterator_traitsISJ_E10value_typeEPNSP_ISK_E10value_typeEPSL_NS1_7vsmem_tEENKUlT_SJ_SK_SL_E_clIPxSE_SF_SF_EESI_SY_SJ_SK_SL_EUlSY_E0_NS1_11comp_targetILNS1_3genE8ELNS1_11target_archE1030ELNS1_3gpuE2ELNS1_3repE0EEENS1_38merge_mergepath_config_static_selectorELNS0_4arch9wavefront6targetE0EEEvSK_,@function
_ZN7rocprim17ROCPRIM_400000_NS6detail17trampoline_kernelINS0_14default_configENS1_38merge_sort_block_merge_config_selectorIxNS0_10empty_typeEEEZZNS1_27merge_sort_block_merge_implIS3_N6thrust23THRUST_200600_302600_NS6detail15normal_iteratorINS9_10device_ptrIxEEEEPS5_m11less_div_10IxEEE10hipError_tT0_T1_T2_jT3_P12ihipStream_tbPNSt15iterator_traitsISJ_E10value_typeEPNSP_ISK_E10value_typeEPSL_NS1_7vsmem_tEENKUlT_SJ_SK_SL_E_clIPxSE_SF_SF_EESI_SY_SJ_SK_SL_EUlSY_E0_NS1_11comp_targetILNS1_3genE8ELNS1_11target_archE1030ELNS1_3gpuE2ELNS1_3repE0EEENS1_38merge_mergepath_config_static_selectorELNS0_4arch9wavefront6targetE0EEEvSK_: ; @_ZN7rocprim17ROCPRIM_400000_NS6detail17trampoline_kernelINS0_14default_configENS1_38merge_sort_block_merge_config_selectorIxNS0_10empty_typeEEEZZNS1_27merge_sort_block_merge_implIS3_N6thrust23THRUST_200600_302600_NS6detail15normal_iteratorINS9_10device_ptrIxEEEEPS5_m11less_div_10IxEEE10hipError_tT0_T1_T2_jT3_P12ihipStream_tbPNSt15iterator_traitsISJ_E10value_typeEPNSP_ISK_E10value_typeEPSL_NS1_7vsmem_tEENKUlT_SJ_SK_SL_E_clIPxSE_SF_SF_EESI_SY_SJ_SK_SL_EUlSY_E0_NS1_11comp_targetILNS1_3genE8ELNS1_11target_archE1030ELNS1_3gpuE2ELNS1_3repE0EEENS1_38merge_mergepath_config_static_selectorELNS0_4arch9wavefront6targetE0EEEvSK_
; %bb.0:
	s_clause 0x1
	s_load_dwordx2 s[0:1], s[4:5], 0x48
	s_load_dword s2, s[4:5], 0x38
	s_waitcnt lgkmcnt(0)
	s_mul_i32 s1, s1, s8
	s_add_i32 s1, s1, s7
	s_mul_i32 s0, s1, s0
	s_add_i32 s0, s0, s6
	s_cmp_ge_u32 s0, s2
	s_cbranch_scc1 .LBB351_24
; %bb.1:
	s_clause 0x1
	s_load_dwordx2 s[2:3], s[4:5], 0x40
	s_load_dwordx4 s[8:11], s[4:5], 0x28
	s_mov_b32 s1, 0
	s_lshl_b64 s[6:7], s[0:1], 3
	s_mov_b32 s17, s1
	s_waitcnt lgkmcnt(0)
	s_add_u32 s2, s2, s6
	s_addc_u32 s3, s3, s7
	s_lshl_b64 s[6:7], s[0:1], 10
	s_load_dwordx4 s[12:15], s[2:3], 0x0
	s_lshr_b64 s[2:3], s[10:11], 9
	s_and_b32 s2, s2, -2
	s_sub_i32 s22, 0, s2
	s_and_b32 s16, s0, s22
	s_lshl_b64 s[2:3], s[16:17], 10
	s_sub_u32 s20, s6, s2
	s_subb_u32 s21, s7, s3
	s_lshl_b64 s[16:17], s[16:17], 11
	s_add_u32 s18, s16, s10
	s_addc_u32 s19, s17, s11
	s_add_u32 s16, s18, s20
	s_addc_u32 s17, s19, s21
	s_waitcnt lgkmcnt(0)
	s_sub_u32 s20, s16, s14
	s_subb_u32 s15, s17, s15
	s_add_u32 s20, s20, 0x400
	s_addc_u32 s21, s15, 0
	v_cmp_lt_u64_e64 s15, s[8:9], s[20:21]
	s_and_b32 s15, s15, exec_lo
	s_cselect_b32 s15, s8, s20
	s_or_b32 s20, s0, s22
	s_cmp_lg_u32 s20, -1
	s_cbranch_scc1 .LBB351_3
; %bb.2:
	s_sub_u32 s2, s18, s2
	s_subb_u32 s3, s19, s3
	v_cmp_lt_u64_e64 s14, s[8:9], s[2:3]
	s_and_b32 s14, s14, exec_lo
	s_cselect_b32 s14, s8, s2
	s_add_u32 s2, s2, s10
	s_addc_u32 s3, s3, s11
	v_cmp_lt_u64_e64 s3, s[8:9], s[2:3]
	s_and_b32 s3, s3, exec_lo
	s_cselect_b32 s15, s8, s2
.LBB351_3:
	s_lshr_b64 s[2:3], s[8:9], 10
	v_mov_b32_e32 v3, 0
	s_cmp_lg_u64 s[2:3], s[0:1]
	s_load_dwordx4 s[0:3], s[4:5], 0x8
	s_cselect_b32 s10, -1, 0
	s_sub_u32 s16, s16, s12
	s_subb_u32 s17, s17, s13
                                        ; implicit-def: $vgpr1_vgpr2
	v_cmp_lt_u64_e64 s11, s[8:9], s[16:17]
	s_and_b32 s4, s11, exec_lo
	s_cselect_b32 s4, s8, s16
	s_cselect_b32 s5, s9, s17
	s_sub_i32 s11, s14, s12
	s_sub_i32 s14, s15, s4
	s_add_i32 s9, s11, s14
	v_cmp_gt_u32_e32 vcc_lo, s9, v0
	s_or_b32 s15, s10, vcc_lo
	s_and_saveexec_b32 s16, s15
	s_xor_b32 s15, exec_lo, s16
	s_cbranch_execz .LBB351_5
; %bb.4:
	v_lshlrev_b32_e32 v1, 3, v0
	v_sub_co_u32 v2, vcc_lo, v0, s11
	s_lshl_b64 s[12:13], s[12:13], 3
	s_waitcnt lgkmcnt(0)
	s_add_u32 s12, s0, s12
	s_addc_u32 s13, s1, s13
	v_add_co_u32 v4, s12, s12, v1
	v_lshlrev_b64 v[1:2], 3, v[2:3]
	s_lshl_b64 s[4:5], s[4:5], 3
	v_add_co_ci_u32_e64 v5, null, s13, 0, s12
	s_add_u32 s0, s0, s4
	s_addc_u32 s1, s1, s5
	v_add_co_u32 v1, s0, s0, v1
	v_add_co_ci_u32_e64 v2, null, s1, v2, s0
	v_cndmask_b32_e32 v1, v1, v4, vcc_lo
	v_cndmask_b32_e32 v2, v2, v5, vcc_lo
	global_load_dwordx2 v[1:2], v[1:2], off
.LBB351_5:
	s_waitcnt lgkmcnt(0)
	s_andn2_saveexec_b32 s0, s15
; %bb.6:
                                        ; implicit-def: $vgpr1_vgpr2
; %bb.7:
	s_or_b32 exec_lo, exec_lo, s0
	v_min_u32_e32 v4, s9, v0
	v_lshlrev_b32_e32 v5, 3, v0
	s_mov_b32 s0, exec_lo
	v_sub_nc_u32_e64 v3, v4, s14 clamp
	v_min_u32_e32 v6, s11, v4
	s_waitcnt vmcnt(0)
	ds_write_b64 v5, v[1:2]
	s_waitcnt lgkmcnt(0)
	s_barrier
	buffer_gl0_inv
	v_cmpx_lt_u32_e64 v3, v6
	s_cbranch_execz .LBB351_11
; %bb.8:
	v_lshlrev_b32_e32 v7, 3, v4
	s_mov_b32 s1, 0
	v_lshl_add_u32 v7, s11, 3, v7
	.p2align	6
.LBB351_9:                              ; =>This Inner Loop Header: Depth=1
	v_add_nc_u32_e32 v8, v6, v3
	v_lshrrev_b32_e32 v8, 1, v8
	v_not_b32_e32 v9, v8
	v_lshlrev_b32_e32 v10, 3, v8
	v_lshl_add_u32 v9, v9, 3, v7
	ds_read_b32 v10, v10
	ds_read_b32 v9, v9
	s_waitcnt lgkmcnt(1)
	v_mul_hi_i32 v10, 0x66666667, v10
	s_waitcnt lgkmcnt(0)
	v_mul_hi_i32 v9, 0x66666667, v9
	v_lshrrev_b32_e32 v11, 31, v10
	v_ashrrev_i32_e32 v10, 2, v10
	v_lshrrev_b32_e32 v12, 31, v9
	v_ashrrev_i32_e32 v9, 2, v9
	v_add_nc_u32_e32 v10, v10, v11
	v_add_nc_u32_e32 v11, 1, v8
	;; [unrolled: 1-line block ×3, first 2 shown]
	v_cmp_lt_i32_e32 vcc_lo, v9, v10
	v_cndmask_b32_e32 v6, v6, v8, vcc_lo
	v_cndmask_b32_e32 v3, v11, v3, vcc_lo
	v_cmp_ge_u32_e32 vcc_lo, v3, v6
	s_or_b32 s1, vcc_lo, s1
	s_andn2_b32 exec_lo, exec_lo, s1
	s_cbranch_execnz .LBB351_9
; %bb.10:
	s_or_b32 exec_lo, exec_lo, s1
.LBB351_11:
	s_or_b32 exec_lo, exec_lo, s0
	v_sub_nc_u32_e32 v4, v4, v3
	v_cmp_ge_u32_e32 vcc_lo, s11, v3
	v_add_nc_u32_e32 v6, s11, v4
	v_cmp_ge_u32_e64 s0, s9, v6
	s_or_b32 s0, vcc_lo, s0
	s_and_saveexec_b32 s1, s0
	s_cbranch_execz .LBB351_19
; %bb.12:
	s_mov_b32 s4, exec_lo
	v_cmp_le_u32_e32 vcc_lo, s11, v3
                                        ; implicit-def: $vgpr1_vgpr2
	v_cmpx_gt_u32_e64 s11, v3
; %bb.13:
	v_lshlrev_b32_e32 v1, 3, v3
	ds_read_b64 v[1:2], v1
; %bb.14:
	s_or_b32 exec_lo, exec_lo, s4
	v_cmp_le_u32_e64 s4, s9, v6
	s_mov_b32 s5, exec_lo
                                        ; implicit-def: $vgpr3_vgpr4
	v_cmpx_gt_u32_e64 s9, v6
; %bb.15:
	v_lshlrev_b32_e32 v3, 3, v6
	ds_read_b64 v[3:4], v3
; %bb.16:
	s_or_b32 exec_lo, exec_lo, s5
	s_nor_b32 s5, vcc_lo, s4
	s_and_saveexec_b32 s0, s5
	s_cbranch_execz .LBB351_18
; %bb.17:
	s_waitcnt lgkmcnt(0)
	v_mul_hi_i32 v6, 0x66666667, v3
	v_mul_hi_i32 v7, 0x66666667, v1
	s_andn2_b32 s4, s4, exec_lo
	v_lshrrev_b32_e32 v8, 31, v6
	v_ashrrev_i32_e32 v6, 2, v6
	v_lshrrev_b32_e32 v9, 31, v7
	v_ashrrev_i32_e32 v7, 2, v7
	v_add_nc_u32_e32 v6, v6, v8
	v_add_nc_u32_e32 v7, v7, v9
	v_cmp_ge_i32_e32 vcc_lo, v6, v7
	s_and_b32 s5, vcc_lo, exec_lo
	s_or_b32 s4, s4, s5
.LBB351_18:
	s_or_b32 exec_lo, exec_lo, s0
	s_waitcnt lgkmcnt(0)
	v_cndmask_b32_e64 v2, v4, v2, s4
	v_cndmask_b32_e64 v1, v3, v1, s4
.LBB351_19:
	s_or_b32 exec_lo, exec_lo, s1
	s_and_b32 vcc_lo, exec_lo, s10
	s_mov_b32 s0, -1
	s_barrier
	buffer_gl0_inv
	s_barrier
	buffer_gl0_inv
	s_cbranch_vccz .LBB351_21
; %bb.20:
	ds_write_b64 v5, v[1:2]
	s_waitcnt lgkmcnt(0)
	s_barrier
	buffer_gl0_inv
	ds_read_b64 v[3:4], v5
	s_lshl_b64 s[0:1], s[6:7], 3
	s_add_u32 s4, s2, s0
	s_addc_u32 s5, s3, s1
	s_mov_b32 s0, 0
	s_waitcnt lgkmcnt(0)
	global_store_dwordx2 v5, v[3:4], s[4:5]
.LBB351_21:
	s_andn2_b32 vcc_lo, exec_lo, s0
	s_cbranch_vccnz .LBB351_24
; %bb.22:
	s_sub_i32 s0, s8, s6
	ds_write_b64 v5, v[1:2]
	v_cmp_gt_u32_e32 vcc_lo, s0, v0
	s_waitcnt lgkmcnt(0)
	s_waitcnt_vscnt null, 0x0
	s_barrier
	buffer_gl0_inv
	s_and_saveexec_b32 s0, vcc_lo
	s_cbranch_execz .LBB351_24
; %bb.23:
	ds_read_b64 v[0:1], v5
	s_lshl_b64 s[0:1], s[6:7], 3
	s_add_u32 s0, s2, s0
	s_addc_u32 s1, s3, s1
	s_waitcnt lgkmcnt(0)
	global_store_dwordx2 v5, v[0:1], s[0:1]
.LBB351_24:
	s_endpgm
	.section	.rodata,"a",@progbits
	.p2align	6, 0x0
	.amdhsa_kernel _ZN7rocprim17ROCPRIM_400000_NS6detail17trampoline_kernelINS0_14default_configENS1_38merge_sort_block_merge_config_selectorIxNS0_10empty_typeEEEZZNS1_27merge_sort_block_merge_implIS3_N6thrust23THRUST_200600_302600_NS6detail15normal_iteratorINS9_10device_ptrIxEEEEPS5_m11less_div_10IxEEE10hipError_tT0_T1_T2_jT3_P12ihipStream_tbPNSt15iterator_traitsISJ_E10value_typeEPNSP_ISK_E10value_typeEPSL_NS1_7vsmem_tEENKUlT_SJ_SK_SL_E_clIPxSE_SF_SF_EESI_SY_SJ_SK_SL_EUlSY_E0_NS1_11comp_targetILNS1_3genE8ELNS1_11target_archE1030ELNS1_3gpuE2ELNS1_3repE0EEENS1_38merge_mergepath_config_static_selectorELNS0_4arch9wavefront6targetE0EEEvSK_
		.amdhsa_group_segment_fixed_size 8208
		.amdhsa_private_segment_fixed_size 0
		.amdhsa_kernarg_size 328
		.amdhsa_user_sgpr_count 6
		.amdhsa_user_sgpr_private_segment_buffer 1
		.amdhsa_user_sgpr_dispatch_ptr 0
		.amdhsa_user_sgpr_queue_ptr 0
		.amdhsa_user_sgpr_kernarg_segment_ptr 1
		.amdhsa_user_sgpr_dispatch_id 0
		.amdhsa_user_sgpr_flat_scratch_init 0
		.amdhsa_user_sgpr_private_segment_size 0
		.amdhsa_wavefront_size32 1
		.amdhsa_uses_dynamic_stack 0
		.amdhsa_system_sgpr_private_segment_wavefront_offset 0
		.amdhsa_system_sgpr_workgroup_id_x 1
		.amdhsa_system_sgpr_workgroup_id_y 1
		.amdhsa_system_sgpr_workgroup_id_z 1
		.amdhsa_system_sgpr_workgroup_info 0
		.amdhsa_system_vgpr_workitem_id 0
		.amdhsa_next_free_vgpr 13
		.amdhsa_next_free_sgpr 23
		.amdhsa_reserve_vcc 1
		.amdhsa_reserve_flat_scratch 0
		.amdhsa_float_round_mode_32 0
		.amdhsa_float_round_mode_16_64 0
		.amdhsa_float_denorm_mode_32 3
		.amdhsa_float_denorm_mode_16_64 3
		.amdhsa_dx10_clamp 1
		.amdhsa_ieee_mode 1
		.amdhsa_fp16_overflow 0
		.amdhsa_workgroup_processor_mode 1
		.amdhsa_memory_ordered 1
		.amdhsa_forward_progress 1
		.amdhsa_shared_vgpr_count 0
		.amdhsa_exception_fp_ieee_invalid_op 0
		.amdhsa_exception_fp_denorm_src 0
		.amdhsa_exception_fp_ieee_div_zero 0
		.amdhsa_exception_fp_ieee_overflow 0
		.amdhsa_exception_fp_ieee_underflow 0
		.amdhsa_exception_fp_ieee_inexact 0
		.amdhsa_exception_int_div_zero 0
	.end_amdhsa_kernel
	.section	.text._ZN7rocprim17ROCPRIM_400000_NS6detail17trampoline_kernelINS0_14default_configENS1_38merge_sort_block_merge_config_selectorIxNS0_10empty_typeEEEZZNS1_27merge_sort_block_merge_implIS3_N6thrust23THRUST_200600_302600_NS6detail15normal_iteratorINS9_10device_ptrIxEEEEPS5_m11less_div_10IxEEE10hipError_tT0_T1_T2_jT3_P12ihipStream_tbPNSt15iterator_traitsISJ_E10value_typeEPNSP_ISK_E10value_typeEPSL_NS1_7vsmem_tEENKUlT_SJ_SK_SL_E_clIPxSE_SF_SF_EESI_SY_SJ_SK_SL_EUlSY_E0_NS1_11comp_targetILNS1_3genE8ELNS1_11target_archE1030ELNS1_3gpuE2ELNS1_3repE0EEENS1_38merge_mergepath_config_static_selectorELNS0_4arch9wavefront6targetE0EEEvSK_,"axG",@progbits,_ZN7rocprim17ROCPRIM_400000_NS6detail17trampoline_kernelINS0_14default_configENS1_38merge_sort_block_merge_config_selectorIxNS0_10empty_typeEEEZZNS1_27merge_sort_block_merge_implIS3_N6thrust23THRUST_200600_302600_NS6detail15normal_iteratorINS9_10device_ptrIxEEEEPS5_m11less_div_10IxEEE10hipError_tT0_T1_T2_jT3_P12ihipStream_tbPNSt15iterator_traitsISJ_E10value_typeEPNSP_ISK_E10value_typeEPSL_NS1_7vsmem_tEENKUlT_SJ_SK_SL_E_clIPxSE_SF_SF_EESI_SY_SJ_SK_SL_EUlSY_E0_NS1_11comp_targetILNS1_3genE8ELNS1_11target_archE1030ELNS1_3gpuE2ELNS1_3repE0EEENS1_38merge_mergepath_config_static_selectorELNS0_4arch9wavefront6targetE0EEEvSK_,comdat
.Lfunc_end351:
	.size	_ZN7rocprim17ROCPRIM_400000_NS6detail17trampoline_kernelINS0_14default_configENS1_38merge_sort_block_merge_config_selectorIxNS0_10empty_typeEEEZZNS1_27merge_sort_block_merge_implIS3_N6thrust23THRUST_200600_302600_NS6detail15normal_iteratorINS9_10device_ptrIxEEEEPS5_m11less_div_10IxEEE10hipError_tT0_T1_T2_jT3_P12ihipStream_tbPNSt15iterator_traitsISJ_E10value_typeEPNSP_ISK_E10value_typeEPSL_NS1_7vsmem_tEENKUlT_SJ_SK_SL_E_clIPxSE_SF_SF_EESI_SY_SJ_SK_SL_EUlSY_E0_NS1_11comp_targetILNS1_3genE8ELNS1_11target_archE1030ELNS1_3gpuE2ELNS1_3repE0EEENS1_38merge_mergepath_config_static_selectorELNS0_4arch9wavefront6targetE0EEEvSK_, .Lfunc_end351-_ZN7rocprim17ROCPRIM_400000_NS6detail17trampoline_kernelINS0_14default_configENS1_38merge_sort_block_merge_config_selectorIxNS0_10empty_typeEEEZZNS1_27merge_sort_block_merge_implIS3_N6thrust23THRUST_200600_302600_NS6detail15normal_iteratorINS9_10device_ptrIxEEEEPS5_m11less_div_10IxEEE10hipError_tT0_T1_T2_jT3_P12ihipStream_tbPNSt15iterator_traitsISJ_E10value_typeEPNSP_ISK_E10value_typeEPSL_NS1_7vsmem_tEENKUlT_SJ_SK_SL_E_clIPxSE_SF_SF_EESI_SY_SJ_SK_SL_EUlSY_E0_NS1_11comp_targetILNS1_3genE8ELNS1_11target_archE1030ELNS1_3gpuE2ELNS1_3repE0EEENS1_38merge_mergepath_config_static_selectorELNS0_4arch9wavefront6targetE0EEEvSK_
                                        ; -- End function
	.set _ZN7rocprim17ROCPRIM_400000_NS6detail17trampoline_kernelINS0_14default_configENS1_38merge_sort_block_merge_config_selectorIxNS0_10empty_typeEEEZZNS1_27merge_sort_block_merge_implIS3_N6thrust23THRUST_200600_302600_NS6detail15normal_iteratorINS9_10device_ptrIxEEEEPS5_m11less_div_10IxEEE10hipError_tT0_T1_T2_jT3_P12ihipStream_tbPNSt15iterator_traitsISJ_E10value_typeEPNSP_ISK_E10value_typeEPSL_NS1_7vsmem_tEENKUlT_SJ_SK_SL_E_clIPxSE_SF_SF_EESI_SY_SJ_SK_SL_EUlSY_E0_NS1_11comp_targetILNS1_3genE8ELNS1_11target_archE1030ELNS1_3gpuE2ELNS1_3repE0EEENS1_38merge_mergepath_config_static_selectorELNS0_4arch9wavefront6targetE0EEEvSK_.num_vgpr, 13
	.set _ZN7rocprim17ROCPRIM_400000_NS6detail17trampoline_kernelINS0_14default_configENS1_38merge_sort_block_merge_config_selectorIxNS0_10empty_typeEEEZZNS1_27merge_sort_block_merge_implIS3_N6thrust23THRUST_200600_302600_NS6detail15normal_iteratorINS9_10device_ptrIxEEEEPS5_m11less_div_10IxEEE10hipError_tT0_T1_T2_jT3_P12ihipStream_tbPNSt15iterator_traitsISJ_E10value_typeEPNSP_ISK_E10value_typeEPSL_NS1_7vsmem_tEENKUlT_SJ_SK_SL_E_clIPxSE_SF_SF_EESI_SY_SJ_SK_SL_EUlSY_E0_NS1_11comp_targetILNS1_3genE8ELNS1_11target_archE1030ELNS1_3gpuE2ELNS1_3repE0EEENS1_38merge_mergepath_config_static_selectorELNS0_4arch9wavefront6targetE0EEEvSK_.num_agpr, 0
	.set _ZN7rocprim17ROCPRIM_400000_NS6detail17trampoline_kernelINS0_14default_configENS1_38merge_sort_block_merge_config_selectorIxNS0_10empty_typeEEEZZNS1_27merge_sort_block_merge_implIS3_N6thrust23THRUST_200600_302600_NS6detail15normal_iteratorINS9_10device_ptrIxEEEEPS5_m11less_div_10IxEEE10hipError_tT0_T1_T2_jT3_P12ihipStream_tbPNSt15iterator_traitsISJ_E10value_typeEPNSP_ISK_E10value_typeEPSL_NS1_7vsmem_tEENKUlT_SJ_SK_SL_E_clIPxSE_SF_SF_EESI_SY_SJ_SK_SL_EUlSY_E0_NS1_11comp_targetILNS1_3genE8ELNS1_11target_archE1030ELNS1_3gpuE2ELNS1_3repE0EEENS1_38merge_mergepath_config_static_selectorELNS0_4arch9wavefront6targetE0EEEvSK_.numbered_sgpr, 23
	.set _ZN7rocprim17ROCPRIM_400000_NS6detail17trampoline_kernelINS0_14default_configENS1_38merge_sort_block_merge_config_selectorIxNS0_10empty_typeEEEZZNS1_27merge_sort_block_merge_implIS3_N6thrust23THRUST_200600_302600_NS6detail15normal_iteratorINS9_10device_ptrIxEEEEPS5_m11less_div_10IxEEE10hipError_tT0_T1_T2_jT3_P12ihipStream_tbPNSt15iterator_traitsISJ_E10value_typeEPNSP_ISK_E10value_typeEPSL_NS1_7vsmem_tEENKUlT_SJ_SK_SL_E_clIPxSE_SF_SF_EESI_SY_SJ_SK_SL_EUlSY_E0_NS1_11comp_targetILNS1_3genE8ELNS1_11target_archE1030ELNS1_3gpuE2ELNS1_3repE0EEENS1_38merge_mergepath_config_static_selectorELNS0_4arch9wavefront6targetE0EEEvSK_.num_named_barrier, 0
	.set _ZN7rocprim17ROCPRIM_400000_NS6detail17trampoline_kernelINS0_14default_configENS1_38merge_sort_block_merge_config_selectorIxNS0_10empty_typeEEEZZNS1_27merge_sort_block_merge_implIS3_N6thrust23THRUST_200600_302600_NS6detail15normal_iteratorINS9_10device_ptrIxEEEEPS5_m11less_div_10IxEEE10hipError_tT0_T1_T2_jT3_P12ihipStream_tbPNSt15iterator_traitsISJ_E10value_typeEPNSP_ISK_E10value_typeEPSL_NS1_7vsmem_tEENKUlT_SJ_SK_SL_E_clIPxSE_SF_SF_EESI_SY_SJ_SK_SL_EUlSY_E0_NS1_11comp_targetILNS1_3genE8ELNS1_11target_archE1030ELNS1_3gpuE2ELNS1_3repE0EEENS1_38merge_mergepath_config_static_selectorELNS0_4arch9wavefront6targetE0EEEvSK_.private_seg_size, 0
	.set _ZN7rocprim17ROCPRIM_400000_NS6detail17trampoline_kernelINS0_14default_configENS1_38merge_sort_block_merge_config_selectorIxNS0_10empty_typeEEEZZNS1_27merge_sort_block_merge_implIS3_N6thrust23THRUST_200600_302600_NS6detail15normal_iteratorINS9_10device_ptrIxEEEEPS5_m11less_div_10IxEEE10hipError_tT0_T1_T2_jT3_P12ihipStream_tbPNSt15iterator_traitsISJ_E10value_typeEPNSP_ISK_E10value_typeEPSL_NS1_7vsmem_tEENKUlT_SJ_SK_SL_E_clIPxSE_SF_SF_EESI_SY_SJ_SK_SL_EUlSY_E0_NS1_11comp_targetILNS1_3genE8ELNS1_11target_archE1030ELNS1_3gpuE2ELNS1_3repE0EEENS1_38merge_mergepath_config_static_selectorELNS0_4arch9wavefront6targetE0EEEvSK_.uses_vcc, 1
	.set _ZN7rocprim17ROCPRIM_400000_NS6detail17trampoline_kernelINS0_14default_configENS1_38merge_sort_block_merge_config_selectorIxNS0_10empty_typeEEEZZNS1_27merge_sort_block_merge_implIS3_N6thrust23THRUST_200600_302600_NS6detail15normal_iteratorINS9_10device_ptrIxEEEEPS5_m11less_div_10IxEEE10hipError_tT0_T1_T2_jT3_P12ihipStream_tbPNSt15iterator_traitsISJ_E10value_typeEPNSP_ISK_E10value_typeEPSL_NS1_7vsmem_tEENKUlT_SJ_SK_SL_E_clIPxSE_SF_SF_EESI_SY_SJ_SK_SL_EUlSY_E0_NS1_11comp_targetILNS1_3genE8ELNS1_11target_archE1030ELNS1_3gpuE2ELNS1_3repE0EEENS1_38merge_mergepath_config_static_selectorELNS0_4arch9wavefront6targetE0EEEvSK_.uses_flat_scratch, 0
	.set _ZN7rocprim17ROCPRIM_400000_NS6detail17trampoline_kernelINS0_14default_configENS1_38merge_sort_block_merge_config_selectorIxNS0_10empty_typeEEEZZNS1_27merge_sort_block_merge_implIS3_N6thrust23THRUST_200600_302600_NS6detail15normal_iteratorINS9_10device_ptrIxEEEEPS5_m11less_div_10IxEEE10hipError_tT0_T1_T2_jT3_P12ihipStream_tbPNSt15iterator_traitsISJ_E10value_typeEPNSP_ISK_E10value_typeEPSL_NS1_7vsmem_tEENKUlT_SJ_SK_SL_E_clIPxSE_SF_SF_EESI_SY_SJ_SK_SL_EUlSY_E0_NS1_11comp_targetILNS1_3genE8ELNS1_11target_archE1030ELNS1_3gpuE2ELNS1_3repE0EEENS1_38merge_mergepath_config_static_selectorELNS0_4arch9wavefront6targetE0EEEvSK_.has_dyn_sized_stack, 0
	.set _ZN7rocprim17ROCPRIM_400000_NS6detail17trampoline_kernelINS0_14default_configENS1_38merge_sort_block_merge_config_selectorIxNS0_10empty_typeEEEZZNS1_27merge_sort_block_merge_implIS3_N6thrust23THRUST_200600_302600_NS6detail15normal_iteratorINS9_10device_ptrIxEEEEPS5_m11less_div_10IxEEE10hipError_tT0_T1_T2_jT3_P12ihipStream_tbPNSt15iterator_traitsISJ_E10value_typeEPNSP_ISK_E10value_typeEPSL_NS1_7vsmem_tEENKUlT_SJ_SK_SL_E_clIPxSE_SF_SF_EESI_SY_SJ_SK_SL_EUlSY_E0_NS1_11comp_targetILNS1_3genE8ELNS1_11target_archE1030ELNS1_3gpuE2ELNS1_3repE0EEENS1_38merge_mergepath_config_static_selectorELNS0_4arch9wavefront6targetE0EEEvSK_.has_recursion, 0
	.set _ZN7rocprim17ROCPRIM_400000_NS6detail17trampoline_kernelINS0_14default_configENS1_38merge_sort_block_merge_config_selectorIxNS0_10empty_typeEEEZZNS1_27merge_sort_block_merge_implIS3_N6thrust23THRUST_200600_302600_NS6detail15normal_iteratorINS9_10device_ptrIxEEEEPS5_m11less_div_10IxEEE10hipError_tT0_T1_T2_jT3_P12ihipStream_tbPNSt15iterator_traitsISJ_E10value_typeEPNSP_ISK_E10value_typeEPSL_NS1_7vsmem_tEENKUlT_SJ_SK_SL_E_clIPxSE_SF_SF_EESI_SY_SJ_SK_SL_EUlSY_E0_NS1_11comp_targetILNS1_3genE8ELNS1_11target_archE1030ELNS1_3gpuE2ELNS1_3repE0EEENS1_38merge_mergepath_config_static_selectorELNS0_4arch9wavefront6targetE0EEEvSK_.has_indirect_call, 0
	.section	.AMDGPU.csdata,"",@progbits
; Kernel info:
; codeLenInByte = 1104
; TotalNumSgprs: 25
; NumVgprs: 13
; ScratchSize: 0
; MemoryBound: 0
; FloatMode: 240
; IeeeMode: 1
; LDSByteSize: 8208 bytes/workgroup (compile time only)
; SGPRBlocks: 0
; VGPRBlocks: 1
; NumSGPRsForWavesPerEU: 25
; NumVGPRsForWavesPerEU: 13
; Occupancy: 16
; WaveLimiterHint : 1
; COMPUTE_PGM_RSRC2:SCRATCH_EN: 0
; COMPUTE_PGM_RSRC2:USER_SGPR: 6
; COMPUTE_PGM_RSRC2:TRAP_HANDLER: 0
; COMPUTE_PGM_RSRC2:TGID_X_EN: 1
; COMPUTE_PGM_RSRC2:TGID_Y_EN: 1
; COMPUTE_PGM_RSRC2:TGID_Z_EN: 1
; COMPUTE_PGM_RSRC2:TIDIG_COMP_CNT: 0
	.section	.text._ZN7rocprim17ROCPRIM_400000_NS6detail17trampoline_kernelINS0_14default_configENS1_38merge_sort_block_merge_config_selectorIxNS0_10empty_typeEEEZZNS1_27merge_sort_block_merge_implIS3_N6thrust23THRUST_200600_302600_NS6detail15normal_iteratorINS9_10device_ptrIxEEEEPS5_m11less_div_10IxEEE10hipError_tT0_T1_T2_jT3_P12ihipStream_tbPNSt15iterator_traitsISJ_E10value_typeEPNSP_ISK_E10value_typeEPSL_NS1_7vsmem_tEENKUlT_SJ_SK_SL_E_clIPxSE_SF_SF_EESI_SY_SJ_SK_SL_EUlSY_E1_NS1_11comp_targetILNS1_3genE0ELNS1_11target_archE4294967295ELNS1_3gpuE0ELNS1_3repE0EEENS1_36merge_oddeven_config_static_selectorELNS0_4arch9wavefront6targetE0EEEvSK_,"axG",@progbits,_ZN7rocprim17ROCPRIM_400000_NS6detail17trampoline_kernelINS0_14default_configENS1_38merge_sort_block_merge_config_selectorIxNS0_10empty_typeEEEZZNS1_27merge_sort_block_merge_implIS3_N6thrust23THRUST_200600_302600_NS6detail15normal_iteratorINS9_10device_ptrIxEEEEPS5_m11less_div_10IxEEE10hipError_tT0_T1_T2_jT3_P12ihipStream_tbPNSt15iterator_traitsISJ_E10value_typeEPNSP_ISK_E10value_typeEPSL_NS1_7vsmem_tEENKUlT_SJ_SK_SL_E_clIPxSE_SF_SF_EESI_SY_SJ_SK_SL_EUlSY_E1_NS1_11comp_targetILNS1_3genE0ELNS1_11target_archE4294967295ELNS1_3gpuE0ELNS1_3repE0EEENS1_36merge_oddeven_config_static_selectorELNS0_4arch9wavefront6targetE0EEEvSK_,comdat
	.protected	_ZN7rocprim17ROCPRIM_400000_NS6detail17trampoline_kernelINS0_14default_configENS1_38merge_sort_block_merge_config_selectorIxNS0_10empty_typeEEEZZNS1_27merge_sort_block_merge_implIS3_N6thrust23THRUST_200600_302600_NS6detail15normal_iteratorINS9_10device_ptrIxEEEEPS5_m11less_div_10IxEEE10hipError_tT0_T1_T2_jT3_P12ihipStream_tbPNSt15iterator_traitsISJ_E10value_typeEPNSP_ISK_E10value_typeEPSL_NS1_7vsmem_tEENKUlT_SJ_SK_SL_E_clIPxSE_SF_SF_EESI_SY_SJ_SK_SL_EUlSY_E1_NS1_11comp_targetILNS1_3genE0ELNS1_11target_archE4294967295ELNS1_3gpuE0ELNS1_3repE0EEENS1_36merge_oddeven_config_static_selectorELNS0_4arch9wavefront6targetE0EEEvSK_ ; -- Begin function _ZN7rocprim17ROCPRIM_400000_NS6detail17trampoline_kernelINS0_14default_configENS1_38merge_sort_block_merge_config_selectorIxNS0_10empty_typeEEEZZNS1_27merge_sort_block_merge_implIS3_N6thrust23THRUST_200600_302600_NS6detail15normal_iteratorINS9_10device_ptrIxEEEEPS5_m11less_div_10IxEEE10hipError_tT0_T1_T2_jT3_P12ihipStream_tbPNSt15iterator_traitsISJ_E10value_typeEPNSP_ISK_E10value_typeEPSL_NS1_7vsmem_tEENKUlT_SJ_SK_SL_E_clIPxSE_SF_SF_EESI_SY_SJ_SK_SL_EUlSY_E1_NS1_11comp_targetILNS1_3genE0ELNS1_11target_archE4294967295ELNS1_3gpuE0ELNS1_3repE0EEENS1_36merge_oddeven_config_static_selectorELNS0_4arch9wavefront6targetE0EEEvSK_
	.globl	_ZN7rocprim17ROCPRIM_400000_NS6detail17trampoline_kernelINS0_14default_configENS1_38merge_sort_block_merge_config_selectorIxNS0_10empty_typeEEEZZNS1_27merge_sort_block_merge_implIS3_N6thrust23THRUST_200600_302600_NS6detail15normal_iteratorINS9_10device_ptrIxEEEEPS5_m11less_div_10IxEEE10hipError_tT0_T1_T2_jT3_P12ihipStream_tbPNSt15iterator_traitsISJ_E10value_typeEPNSP_ISK_E10value_typeEPSL_NS1_7vsmem_tEENKUlT_SJ_SK_SL_E_clIPxSE_SF_SF_EESI_SY_SJ_SK_SL_EUlSY_E1_NS1_11comp_targetILNS1_3genE0ELNS1_11target_archE4294967295ELNS1_3gpuE0ELNS1_3repE0EEENS1_36merge_oddeven_config_static_selectorELNS0_4arch9wavefront6targetE0EEEvSK_
	.p2align	8
	.type	_ZN7rocprim17ROCPRIM_400000_NS6detail17trampoline_kernelINS0_14default_configENS1_38merge_sort_block_merge_config_selectorIxNS0_10empty_typeEEEZZNS1_27merge_sort_block_merge_implIS3_N6thrust23THRUST_200600_302600_NS6detail15normal_iteratorINS9_10device_ptrIxEEEEPS5_m11less_div_10IxEEE10hipError_tT0_T1_T2_jT3_P12ihipStream_tbPNSt15iterator_traitsISJ_E10value_typeEPNSP_ISK_E10value_typeEPSL_NS1_7vsmem_tEENKUlT_SJ_SK_SL_E_clIPxSE_SF_SF_EESI_SY_SJ_SK_SL_EUlSY_E1_NS1_11comp_targetILNS1_3genE0ELNS1_11target_archE4294967295ELNS1_3gpuE0ELNS1_3repE0EEENS1_36merge_oddeven_config_static_selectorELNS0_4arch9wavefront6targetE0EEEvSK_,@function
_ZN7rocprim17ROCPRIM_400000_NS6detail17trampoline_kernelINS0_14default_configENS1_38merge_sort_block_merge_config_selectorIxNS0_10empty_typeEEEZZNS1_27merge_sort_block_merge_implIS3_N6thrust23THRUST_200600_302600_NS6detail15normal_iteratorINS9_10device_ptrIxEEEEPS5_m11less_div_10IxEEE10hipError_tT0_T1_T2_jT3_P12ihipStream_tbPNSt15iterator_traitsISJ_E10value_typeEPNSP_ISK_E10value_typeEPSL_NS1_7vsmem_tEENKUlT_SJ_SK_SL_E_clIPxSE_SF_SF_EESI_SY_SJ_SK_SL_EUlSY_E1_NS1_11comp_targetILNS1_3genE0ELNS1_11target_archE4294967295ELNS1_3gpuE0ELNS1_3repE0EEENS1_36merge_oddeven_config_static_selectorELNS0_4arch9wavefront6targetE0EEEvSK_: ; @_ZN7rocprim17ROCPRIM_400000_NS6detail17trampoline_kernelINS0_14default_configENS1_38merge_sort_block_merge_config_selectorIxNS0_10empty_typeEEEZZNS1_27merge_sort_block_merge_implIS3_N6thrust23THRUST_200600_302600_NS6detail15normal_iteratorINS9_10device_ptrIxEEEEPS5_m11less_div_10IxEEE10hipError_tT0_T1_T2_jT3_P12ihipStream_tbPNSt15iterator_traitsISJ_E10value_typeEPNSP_ISK_E10value_typeEPSL_NS1_7vsmem_tEENKUlT_SJ_SK_SL_E_clIPxSE_SF_SF_EESI_SY_SJ_SK_SL_EUlSY_E1_NS1_11comp_targetILNS1_3genE0ELNS1_11target_archE4294967295ELNS1_3gpuE0ELNS1_3repE0EEENS1_36merge_oddeven_config_static_selectorELNS0_4arch9wavefront6targetE0EEEvSK_
; %bb.0:
	.section	.rodata,"a",@progbits
	.p2align	6, 0x0
	.amdhsa_kernel _ZN7rocprim17ROCPRIM_400000_NS6detail17trampoline_kernelINS0_14default_configENS1_38merge_sort_block_merge_config_selectorIxNS0_10empty_typeEEEZZNS1_27merge_sort_block_merge_implIS3_N6thrust23THRUST_200600_302600_NS6detail15normal_iteratorINS9_10device_ptrIxEEEEPS5_m11less_div_10IxEEE10hipError_tT0_T1_T2_jT3_P12ihipStream_tbPNSt15iterator_traitsISJ_E10value_typeEPNSP_ISK_E10value_typeEPSL_NS1_7vsmem_tEENKUlT_SJ_SK_SL_E_clIPxSE_SF_SF_EESI_SY_SJ_SK_SL_EUlSY_E1_NS1_11comp_targetILNS1_3genE0ELNS1_11target_archE4294967295ELNS1_3gpuE0ELNS1_3repE0EEENS1_36merge_oddeven_config_static_selectorELNS0_4arch9wavefront6targetE0EEEvSK_
		.amdhsa_group_segment_fixed_size 0
		.amdhsa_private_segment_fixed_size 0
		.amdhsa_kernarg_size 56
		.amdhsa_user_sgpr_count 6
		.amdhsa_user_sgpr_private_segment_buffer 1
		.amdhsa_user_sgpr_dispatch_ptr 0
		.amdhsa_user_sgpr_queue_ptr 0
		.amdhsa_user_sgpr_kernarg_segment_ptr 1
		.amdhsa_user_sgpr_dispatch_id 0
		.amdhsa_user_sgpr_flat_scratch_init 0
		.amdhsa_user_sgpr_private_segment_size 0
		.amdhsa_wavefront_size32 1
		.amdhsa_uses_dynamic_stack 0
		.amdhsa_system_sgpr_private_segment_wavefront_offset 0
		.amdhsa_system_sgpr_workgroup_id_x 1
		.amdhsa_system_sgpr_workgroup_id_y 0
		.amdhsa_system_sgpr_workgroup_id_z 0
		.amdhsa_system_sgpr_workgroup_info 0
		.amdhsa_system_vgpr_workitem_id 0
		.amdhsa_next_free_vgpr 1
		.amdhsa_next_free_sgpr 1
		.amdhsa_reserve_vcc 0
		.amdhsa_reserve_flat_scratch 0
		.amdhsa_float_round_mode_32 0
		.amdhsa_float_round_mode_16_64 0
		.amdhsa_float_denorm_mode_32 3
		.amdhsa_float_denorm_mode_16_64 3
		.amdhsa_dx10_clamp 1
		.amdhsa_ieee_mode 1
		.amdhsa_fp16_overflow 0
		.amdhsa_workgroup_processor_mode 1
		.amdhsa_memory_ordered 1
		.amdhsa_forward_progress 1
		.amdhsa_shared_vgpr_count 0
		.amdhsa_exception_fp_ieee_invalid_op 0
		.amdhsa_exception_fp_denorm_src 0
		.amdhsa_exception_fp_ieee_div_zero 0
		.amdhsa_exception_fp_ieee_overflow 0
		.amdhsa_exception_fp_ieee_underflow 0
		.amdhsa_exception_fp_ieee_inexact 0
		.amdhsa_exception_int_div_zero 0
	.end_amdhsa_kernel
	.section	.text._ZN7rocprim17ROCPRIM_400000_NS6detail17trampoline_kernelINS0_14default_configENS1_38merge_sort_block_merge_config_selectorIxNS0_10empty_typeEEEZZNS1_27merge_sort_block_merge_implIS3_N6thrust23THRUST_200600_302600_NS6detail15normal_iteratorINS9_10device_ptrIxEEEEPS5_m11less_div_10IxEEE10hipError_tT0_T1_T2_jT3_P12ihipStream_tbPNSt15iterator_traitsISJ_E10value_typeEPNSP_ISK_E10value_typeEPSL_NS1_7vsmem_tEENKUlT_SJ_SK_SL_E_clIPxSE_SF_SF_EESI_SY_SJ_SK_SL_EUlSY_E1_NS1_11comp_targetILNS1_3genE0ELNS1_11target_archE4294967295ELNS1_3gpuE0ELNS1_3repE0EEENS1_36merge_oddeven_config_static_selectorELNS0_4arch9wavefront6targetE0EEEvSK_,"axG",@progbits,_ZN7rocprim17ROCPRIM_400000_NS6detail17trampoline_kernelINS0_14default_configENS1_38merge_sort_block_merge_config_selectorIxNS0_10empty_typeEEEZZNS1_27merge_sort_block_merge_implIS3_N6thrust23THRUST_200600_302600_NS6detail15normal_iteratorINS9_10device_ptrIxEEEEPS5_m11less_div_10IxEEE10hipError_tT0_T1_T2_jT3_P12ihipStream_tbPNSt15iterator_traitsISJ_E10value_typeEPNSP_ISK_E10value_typeEPSL_NS1_7vsmem_tEENKUlT_SJ_SK_SL_E_clIPxSE_SF_SF_EESI_SY_SJ_SK_SL_EUlSY_E1_NS1_11comp_targetILNS1_3genE0ELNS1_11target_archE4294967295ELNS1_3gpuE0ELNS1_3repE0EEENS1_36merge_oddeven_config_static_selectorELNS0_4arch9wavefront6targetE0EEEvSK_,comdat
.Lfunc_end352:
	.size	_ZN7rocprim17ROCPRIM_400000_NS6detail17trampoline_kernelINS0_14default_configENS1_38merge_sort_block_merge_config_selectorIxNS0_10empty_typeEEEZZNS1_27merge_sort_block_merge_implIS3_N6thrust23THRUST_200600_302600_NS6detail15normal_iteratorINS9_10device_ptrIxEEEEPS5_m11less_div_10IxEEE10hipError_tT0_T1_T2_jT3_P12ihipStream_tbPNSt15iterator_traitsISJ_E10value_typeEPNSP_ISK_E10value_typeEPSL_NS1_7vsmem_tEENKUlT_SJ_SK_SL_E_clIPxSE_SF_SF_EESI_SY_SJ_SK_SL_EUlSY_E1_NS1_11comp_targetILNS1_3genE0ELNS1_11target_archE4294967295ELNS1_3gpuE0ELNS1_3repE0EEENS1_36merge_oddeven_config_static_selectorELNS0_4arch9wavefront6targetE0EEEvSK_, .Lfunc_end352-_ZN7rocprim17ROCPRIM_400000_NS6detail17trampoline_kernelINS0_14default_configENS1_38merge_sort_block_merge_config_selectorIxNS0_10empty_typeEEEZZNS1_27merge_sort_block_merge_implIS3_N6thrust23THRUST_200600_302600_NS6detail15normal_iteratorINS9_10device_ptrIxEEEEPS5_m11less_div_10IxEEE10hipError_tT0_T1_T2_jT3_P12ihipStream_tbPNSt15iterator_traitsISJ_E10value_typeEPNSP_ISK_E10value_typeEPSL_NS1_7vsmem_tEENKUlT_SJ_SK_SL_E_clIPxSE_SF_SF_EESI_SY_SJ_SK_SL_EUlSY_E1_NS1_11comp_targetILNS1_3genE0ELNS1_11target_archE4294967295ELNS1_3gpuE0ELNS1_3repE0EEENS1_36merge_oddeven_config_static_selectorELNS0_4arch9wavefront6targetE0EEEvSK_
                                        ; -- End function
	.set _ZN7rocprim17ROCPRIM_400000_NS6detail17trampoline_kernelINS0_14default_configENS1_38merge_sort_block_merge_config_selectorIxNS0_10empty_typeEEEZZNS1_27merge_sort_block_merge_implIS3_N6thrust23THRUST_200600_302600_NS6detail15normal_iteratorINS9_10device_ptrIxEEEEPS5_m11less_div_10IxEEE10hipError_tT0_T1_T2_jT3_P12ihipStream_tbPNSt15iterator_traitsISJ_E10value_typeEPNSP_ISK_E10value_typeEPSL_NS1_7vsmem_tEENKUlT_SJ_SK_SL_E_clIPxSE_SF_SF_EESI_SY_SJ_SK_SL_EUlSY_E1_NS1_11comp_targetILNS1_3genE0ELNS1_11target_archE4294967295ELNS1_3gpuE0ELNS1_3repE0EEENS1_36merge_oddeven_config_static_selectorELNS0_4arch9wavefront6targetE0EEEvSK_.num_vgpr, 0
	.set _ZN7rocprim17ROCPRIM_400000_NS6detail17trampoline_kernelINS0_14default_configENS1_38merge_sort_block_merge_config_selectorIxNS0_10empty_typeEEEZZNS1_27merge_sort_block_merge_implIS3_N6thrust23THRUST_200600_302600_NS6detail15normal_iteratorINS9_10device_ptrIxEEEEPS5_m11less_div_10IxEEE10hipError_tT0_T1_T2_jT3_P12ihipStream_tbPNSt15iterator_traitsISJ_E10value_typeEPNSP_ISK_E10value_typeEPSL_NS1_7vsmem_tEENKUlT_SJ_SK_SL_E_clIPxSE_SF_SF_EESI_SY_SJ_SK_SL_EUlSY_E1_NS1_11comp_targetILNS1_3genE0ELNS1_11target_archE4294967295ELNS1_3gpuE0ELNS1_3repE0EEENS1_36merge_oddeven_config_static_selectorELNS0_4arch9wavefront6targetE0EEEvSK_.num_agpr, 0
	.set _ZN7rocprim17ROCPRIM_400000_NS6detail17trampoline_kernelINS0_14default_configENS1_38merge_sort_block_merge_config_selectorIxNS0_10empty_typeEEEZZNS1_27merge_sort_block_merge_implIS3_N6thrust23THRUST_200600_302600_NS6detail15normal_iteratorINS9_10device_ptrIxEEEEPS5_m11less_div_10IxEEE10hipError_tT0_T1_T2_jT3_P12ihipStream_tbPNSt15iterator_traitsISJ_E10value_typeEPNSP_ISK_E10value_typeEPSL_NS1_7vsmem_tEENKUlT_SJ_SK_SL_E_clIPxSE_SF_SF_EESI_SY_SJ_SK_SL_EUlSY_E1_NS1_11comp_targetILNS1_3genE0ELNS1_11target_archE4294967295ELNS1_3gpuE0ELNS1_3repE0EEENS1_36merge_oddeven_config_static_selectorELNS0_4arch9wavefront6targetE0EEEvSK_.numbered_sgpr, 0
	.set _ZN7rocprim17ROCPRIM_400000_NS6detail17trampoline_kernelINS0_14default_configENS1_38merge_sort_block_merge_config_selectorIxNS0_10empty_typeEEEZZNS1_27merge_sort_block_merge_implIS3_N6thrust23THRUST_200600_302600_NS6detail15normal_iteratorINS9_10device_ptrIxEEEEPS5_m11less_div_10IxEEE10hipError_tT0_T1_T2_jT3_P12ihipStream_tbPNSt15iterator_traitsISJ_E10value_typeEPNSP_ISK_E10value_typeEPSL_NS1_7vsmem_tEENKUlT_SJ_SK_SL_E_clIPxSE_SF_SF_EESI_SY_SJ_SK_SL_EUlSY_E1_NS1_11comp_targetILNS1_3genE0ELNS1_11target_archE4294967295ELNS1_3gpuE0ELNS1_3repE0EEENS1_36merge_oddeven_config_static_selectorELNS0_4arch9wavefront6targetE0EEEvSK_.num_named_barrier, 0
	.set _ZN7rocprim17ROCPRIM_400000_NS6detail17trampoline_kernelINS0_14default_configENS1_38merge_sort_block_merge_config_selectorIxNS0_10empty_typeEEEZZNS1_27merge_sort_block_merge_implIS3_N6thrust23THRUST_200600_302600_NS6detail15normal_iteratorINS9_10device_ptrIxEEEEPS5_m11less_div_10IxEEE10hipError_tT0_T1_T2_jT3_P12ihipStream_tbPNSt15iterator_traitsISJ_E10value_typeEPNSP_ISK_E10value_typeEPSL_NS1_7vsmem_tEENKUlT_SJ_SK_SL_E_clIPxSE_SF_SF_EESI_SY_SJ_SK_SL_EUlSY_E1_NS1_11comp_targetILNS1_3genE0ELNS1_11target_archE4294967295ELNS1_3gpuE0ELNS1_3repE0EEENS1_36merge_oddeven_config_static_selectorELNS0_4arch9wavefront6targetE0EEEvSK_.private_seg_size, 0
	.set _ZN7rocprim17ROCPRIM_400000_NS6detail17trampoline_kernelINS0_14default_configENS1_38merge_sort_block_merge_config_selectorIxNS0_10empty_typeEEEZZNS1_27merge_sort_block_merge_implIS3_N6thrust23THRUST_200600_302600_NS6detail15normal_iteratorINS9_10device_ptrIxEEEEPS5_m11less_div_10IxEEE10hipError_tT0_T1_T2_jT3_P12ihipStream_tbPNSt15iterator_traitsISJ_E10value_typeEPNSP_ISK_E10value_typeEPSL_NS1_7vsmem_tEENKUlT_SJ_SK_SL_E_clIPxSE_SF_SF_EESI_SY_SJ_SK_SL_EUlSY_E1_NS1_11comp_targetILNS1_3genE0ELNS1_11target_archE4294967295ELNS1_3gpuE0ELNS1_3repE0EEENS1_36merge_oddeven_config_static_selectorELNS0_4arch9wavefront6targetE0EEEvSK_.uses_vcc, 0
	.set _ZN7rocprim17ROCPRIM_400000_NS6detail17trampoline_kernelINS0_14default_configENS1_38merge_sort_block_merge_config_selectorIxNS0_10empty_typeEEEZZNS1_27merge_sort_block_merge_implIS3_N6thrust23THRUST_200600_302600_NS6detail15normal_iteratorINS9_10device_ptrIxEEEEPS5_m11less_div_10IxEEE10hipError_tT0_T1_T2_jT3_P12ihipStream_tbPNSt15iterator_traitsISJ_E10value_typeEPNSP_ISK_E10value_typeEPSL_NS1_7vsmem_tEENKUlT_SJ_SK_SL_E_clIPxSE_SF_SF_EESI_SY_SJ_SK_SL_EUlSY_E1_NS1_11comp_targetILNS1_3genE0ELNS1_11target_archE4294967295ELNS1_3gpuE0ELNS1_3repE0EEENS1_36merge_oddeven_config_static_selectorELNS0_4arch9wavefront6targetE0EEEvSK_.uses_flat_scratch, 0
	.set _ZN7rocprim17ROCPRIM_400000_NS6detail17trampoline_kernelINS0_14default_configENS1_38merge_sort_block_merge_config_selectorIxNS0_10empty_typeEEEZZNS1_27merge_sort_block_merge_implIS3_N6thrust23THRUST_200600_302600_NS6detail15normal_iteratorINS9_10device_ptrIxEEEEPS5_m11less_div_10IxEEE10hipError_tT0_T1_T2_jT3_P12ihipStream_tbPNSt15iterator_traitsISJ_E10value_typeEPNSP_ISK_E10value_typeEPSL_NS1_7vsmem_tEENKUlT_SJ_SK_SL_E_clIPxSE_SF_SF_EESI_SY_SJ_SK_SL_EUlSY_E1_NS1_11comp_targetILNS1_3genE0ELNS1_11target_archE4294967295ELNS1_3gpuE0ELNS1_3repE0EEENS1_36merge_oddeven_config_static_selectorELNS0_4arch9wavefront6targetE0EEEvSK_.has_dyn_sized_stack, 0
	.set _ZN7rocprim17ROCPRIM_400000_NS6detail17trampoline_kernelINS0_14default_configENS1_38merge_sort_block_merge_config_selectorIxNS0_10empty_typeEEEZZNS1_27merge_sort_block_merge_implIS3_N6thrust23THRUST_200600_302600_NS6detail15normal_iteratorINS9_10device_ptrIxEEEEPS5_m11less_div_10IxEEE10hipError_tT0_T1_T2_jT3_P12ihipStream_tbPNSt15iterator_traitsISJ_E10value_typeEPNSP_ISK_E10value_typeEPSL_NS1_7vsmem_tEENKUlT_SJ_SK_SL_E_clIPxSE_SF_SF_EESI_SY_SJ_SK_SL_EUlSY_E1_NS1_11comp_targetILNS1_3genE0ELNS1_11target_archE4294967295ELNS1_3gpuE0ELNS1_3repE0EEENS1_36merge_oddeven_config_static_selectorELNS0_4arch9wavefront6targetE0EEEvSK_.has_recursion, 0
	.set _ZN7rocprim17ROCPRIM_400000_NS6detail17trampoline_kernelINS0_14default_configENS1_38merge_sort_block_merge_config_selectorIxNS0_10empty_typeEEEZZNS1_27merge_sort_block_merge_implIS3_N6thrust23THRUST_200600_302600_NS6detail15normal_iteratorINS9_10device_ptrIxEEEEPS5_m11less_div_10IxEEE10hipError_tT0_T1_T2_jT3_P12ihipStream_tbPNSt15iterator_traitsISJ_E10value_typeEPNSP_ISK_E10value_typeEPSL_NS1_7vsmem_tEENKUlT_SJ_SK_SL_E_clIPxSE_SF_SF_EESI_SY_SJ_SK_SL_EUlSY_E1_NS1_11comp_targetILNS1_3genE0ELNS1_11target_archE4294967295ELNS1_3gpuE0ELNS1_3repE0EEENS1_36merge_oddeven_config_static_selectorELNS0_4arch9wavefront6targetE0EEEvSK_.has_indirect_call, 0
	.section	.AMDGPU.csdata,"",@progbits
; Kernel info:
; codeLenInByte = 0
; TotalNumSgprs: 0
; NumVgprs: 0
; ScratchSize: 0
; MemoryBound: 0
; FloatMode: 240
; IeeeMode: 1
; LDSByteSize: 0 bytes/workgroup (compile time only)
; SGPRBlocks: 0
; VGPRBlocks: 0
; NumSGPRsForWavesPerEU: 1
; NumVGPRsForWavesPerEU: 1
; Occupancy: 16
; WaveLimiterHint : 0
; COMPUTE_PGM_RSRC2:SCRATCH_EN: 0
; COMPUTE_PGM_RSRC2:USER_SGPR: 6
; COMPUTE_PGM_RSRC2:TRAP_HANDLER: 0
; COMPUTE_PGM_RSRC2:TGID_X_EN: 1
; COMPUTE_PGM_RSRC2:TGID_Y_EN: 0
; COMPUTE_PGM_RSRC2:TGID_Z_EN: 0
; COMPUTE_PGM_RSRC2:TIDIG_COMP_CNT: 0
	.section	.text._ZN7rocprim17ROCPRIM_400000_NS6detail17trampoline_kernelINS0_14default_configENS1_38merge_sort_block_merge_config_selectorIxNS0_10empty_typeEEEZZNS1_27merge_sort_block_merge_implIS3_N6thrust23THRUST_200600_302600_NS6detail15normal_iteratorINS9_10device_ptrIxEEEEPS5_m11less_div_10IxEEE10hipError_tT0_T1_T2_jT3_P12ihipStream_tbPNSt15iterator_traitsISJ_E10value_typeEPNSP_ISK_E10value_typeEPSL_NS1_7vsmem_tEENKUlT_SJ_SK_SL_E_clIPxSE_SF_SF_EESI_SY_SJ_SK_SL_EUlSY_E1_NS1_11comp_targetILNS1_3genE10ELNS1_11target_archE1201ELNS1_3gpuE5ELNS1_3repE0EEENS1_36merge_oddeven_config_static_selectorELNS0_4arch9wavefront6targetE0EEEvSK_,"axG",@progbits,_ZN7rocprim17ROCPRIM_400000_NS6detail17trampoline_kernelINS0_14default_configENS1_38merge_sort_block_merge_config_selectorIxNS0_10empty_typeEEEZZNS1_27merge_sort_block_merge_implIS3_N6thrust23THRUST_200600_302600_NS6detail15normal_iteratorINS9_10device_ptrIxEEEEPS5_m11less_div_10IxEEE10hipError_tT0_T1_T2_jT3_P12ihipStream_tbPNSt15iterator_traitsISJ_E10value_typeEPNSP_ISK_E10value_typeEPSL_NS1_7vsmem_tEENKUlT_SJ_SK_SL_E_clIPxSE_SF_SF_EESI_SY_SJ_SK_SL_EUlSY_E1_NS1_11comp_targetILNS1_3genE10ELNS1_11target_archE1201ELNS1_3gpuE5ELNS1_3repE0EEENS1_36merge_oddeven_config_static_selectorELNS0_4arch9wavefront6targetE0EEEvSK_,comdat
	.protected	_ZN7rocprim17ROCPRIM_400000_NS6detail17trampoline_kernelINS0_14default_configENS1_38merge_sort_block_merge_config_selectorIxNS0_10empty_typeEEEZZNS1_27merge_sort_block_merge_implIS3_N6thrust23THRUST_200600_302600_NS6detail15normal_iteratorINS9_10device_ptrIxEEEEPS5_m11less_div_10IxEEE10hipError_tT0_T1_T2_jT3_P12ihipStream_tbPNSt15iterator_traitsISJ_E10value_typeEPNSP_ISK_E10value_typeEPSL_NS1_7vsmem_tEENKUlT_SJ_SK_SL_E_clIPxSE_SF_SF_EESI_SY_SJ_SK_SL_EUlSY_E1_NS1_11comp_targetILNS1_3genE10ELNS1_11target_archE1201ELNS1_3gpuE5ELNS1_3repE0EEENS1_36merge_oddeven_config_static_selectorELNS0_4arch9wavefront6targetE0EEEvSK_ ; -- Begin function _ZN7rocprim17ROCPRIM_400000_NS6detail17trampoline_kernelINS0_14default_configENS1_38merge_sort_block_merge_config_selectorIxNS0_10empty_typeEEEZZNS1_27merge_sort_block_merge_implIS3_N6thrust23THRUST_200600_302600_NS6detail15normal_iteratorINS9_10device_ptrIxEEEEPS5_m11less_div_10IxEEE10hipError_tT0_T1_T2_jT3_P12ihipStream_tbPNSt15iterator_traitsISJ_E10value_typeEPNSP_ISK_E10value_typeEPSL_NS1_7vsmem_tEENKUlT_SJ_SK_SL_E_clIPxSE_SF_SF_EESI_SY_SJ_SK_SL_EUlSY_E1_NS1_11comp_targetILNS1_3genE10ELNS1_11target_archE1201ELNS1_3gpuE5ELNS1_3repE0EEENS1_36merge_oddeven_config_static_selectorELNS0_4arch9wavefront6targetE0EEEvSK_
	.globl	_ZN7rocprim17ROCPRIM_400000_NS6detail17trampoline_kernelINS0_14default_configENS1_38merge_sort_block_merge_config_selectorIxNS0_10empty_typeEEEZZNS1_27merge_sort_block_merge_implIS3_N6thrust23THRUST_200600_302600_NS6detail15normal_iteratorINS9_10device_ptrIxEEEEPS5_m11less_div_10IxEEE10hipError_tT0_T1_T2_jT3_P12ihipStream_tbPNSt15iterator_traitsISJ_E10value_typeEPNSP_ISK_E10value_typeEPSL_NS1_7vsmem_tEENKUlT_SJ_SK_SL_E_clIPxSE_SF_SF_EESI_SY_SJ_SK_SL_EUlSY_E1_NS1_11comp_targetILNS1_3genE10ELNS1_11target_archE1201ELNS1_3gpuE5ELNS1_3repE0EEENS1_36merge_oddeven_config_static_selectorELNS0_4arch9wavefront6targetE0EEEvSK_
	.p2align	8
	.type	_ZN7rocprim17ROCPRIM_400000_NS6detail17trampoline_kernelINS0_14default_configENS1_38merge_sort_block_merge_config_selectorIxNS0_10empty_typeEEEZZNS1_27merge_sort_block_merge_implIS3_N6thrust23THRUST_200600_302600_NS6detail15normal_iteratorINS9_10device_ptrIxEEEEPS5_m11less_div_10IxEEE10hipError_tT0_T1_T2_jT3_P12ihipStream_tbPNSt15iterator_traitsISJ_E10value_typeEPNSP_ISK_E10value_typeEPSL_NS1_7vsmem_tEENKUlT_SJ_SK_SL_E_clIPxSE_SF_SF_EESI_SY_SJ_SK_SL_EUlSY_E1_NS1_11comp_targetILNS1_3genE10ELNS1_11target_archE1201ELNS1_3gpuE5ELNS1_3repE0EEENS1_36merge_oddeven_config_static_selectorELNS0_4arch9wavefront6targetE0EEEvSK_,@function
_ZN7rocprim17ROCPRIM_400000_NS6detail17trampoline_kernelINS0_14default_configENS1_38merge_sort_block_merge_config_selectorIxNS0_10empty_typeEEEZZNS1_27merge_sort_block_merge_implIS3_N6thrust23THRUST_200600_302600_NS6detail15normal_iteratorINS9_10device_ptrIxEEEEPS5_m11less_div_10IxEEE10hipError_tT0_T1_T2_jT3_P12ihipStream_tbPNSt15iterator_traitsISJ_E10value_typeEPNSP_ISK_E10value_typeEPSL_NS1_7vsmem_tEENKUlT_SJ_SK_SL_E_clIPxSE_SF_SF_EESI_SY_SJ_SK_SL_EUlSY_E1_NS1_11comp_targetILNS1_3genE10ELNS1_11target_archE1201ELNS1_3gpuE5ELNS1_3repE0EEENS1_36merge_oddeven_config_static_selectorELNS0_4arch9wavefront6targetE0EEEvSK_: ; @_ZN7rocprim17ROCPRIM_400000_NS6detail17trampoline_kernelINS0_14default_configENS1_38merge_sort_block_merge_config_selectorIxNS0_10empty_typeEEEZZNS1_27merge_sort_block_merge_implIS3_N6thrust23THRUST_200600_302600_NS6detail15normal_iteratorINS9_10device_ptrIxEEEEPS5_m11less_div_10IxEEE10hipError_tT0_T1_T2_jT3_P12ihipStream_tbPNSt15iterator_traitsISJ_E10value_typeEPNSP_ISK_E10value_typeEPSL_NS1_7vsmem_tEENKUlT_SJ_SK_SL_E_clIPxSE_SF_SF_EESI_SY_SJ_SK_SL_EUlSY_E1_NS1_11comp_targetILNS1_3genE10ELNS1_11target_archE1201ELNS1_3gpuE5ELNS1_3repE0EEENS1_36merge_oddeven_config_static_selectorELNS0_4arch9wavefront6targetE0EEEvSK_
; %bb.0:
	.section	.rodata,"a",@progbits
	.p2align	6, 0x0
	.amdhsa_kernel _ZN7rocprim17ROCPRIM_400000_NS6detail17trampoline_kernelINS0_14default_configENS1_38merge_sort_block_merge_config_selectorIxNS0_10empty_typeEEEZZNS1_27merge_sort_block_merge_implIS3_N6thrust23THRUST_200600_302600_NS6detail15normal_iteratorINS9_10device_ptrIxEEEEPS5_m11less_div_10IxEEE10hipError_tT0_T1_T2_jT3_P12ihipStream_tbPNSt15iterator_traitsISJ_E10value_typeEPNSP_ISK_E10value_typeEPSL_NS1_7vsmem_tEENKUlT_SJ_SK_SL_E_clIPxSE_SF_SF_EESI_SY_SJ_SK_SL_EUlSY_E1_NS1_11comp_targetILNS1_3genE10ELNS1_11target_archE1201ELNS1_3gpuE5ELNS1_3repE0EEENS1_36merge_oddeven_config_static_selectorELNS0_4arch9wavefront6targetE0EEEvSK_
		.amdhsa_group_segment_fixed_size 0
		.amdhsa_private_segment_fixed_size 0
		.amdhsa_kernarg_size 56
		.amdhsa_user_sgpr_count 6
		.amdhsa_user_sgpr_private_segment_buffer 1
		.amdhsa_user_sgpr_dispatch_ptr 0
		.amdhsa_user_sgpr_queue_ptr 0
		.amdhsa_user_sgpr_kernarg_segment_ptr 1
		.amdhsa_user_sgpr_dispatch_id 0
		.amdhsa_user_sgpr_flat_scratch_init 0
		.amdhsa_user_sgpr_private_segment_size 0
		.amdhsa_wavefront_size32 1
		.amdhsa_uses_dynamic_stack 0
		.amdhsa_system_sgpr_private_segment_wavefront_offset 0
		.amdhsa_system_sgpr_workgroup_id_x 1
		.amdhsa_system_sgpr_workgroup_id_y 0
		.amdhsa_system_sgpr_workgroup_id_z 0
		.amdhsa_system_sgpr_workgroup_info 0
		.amdhsa_system_vgpr_workitem_id 0
		.amdhsa_next_free_vgpr 1
		.amdhsa_next_free_sgpr 1
		.amdhsa_reserve_vcc 0
		.amdhsa_reserve_flat_scratch 0
		.amdhsa_float_round_mode_32 0
		.amdhsa_float_round_mode_16_64 0
		.amdhsa_float_denorm_mode_32 3
		.amdhsa_float_denorm_mode_16_64 3
		.amdhsa_dx10_clamp 1
		.amdhsa_ieee_mode 1
		.amdhsa_fp16_overflow 0
		.amdhsa_workgroup_processor_mode 1
		.amdhsa_memory_ordered 1
		.amdhsa_forward_progress 1
		.amdhsa_shared_vgpr_count 0
		.amdhsa_exception_fp_ieee_invalid_op 0
		.amdhsa_exception_fp_denorm_src 0
		.amdhsa_exception_fp_ieee_div_zero 0
		.amdhsa_exception_fp_ieee_overflow 0
		.amdhsa_exception_fp_ieee_underflow 0
		.amdhsa_exception_fp_ieee_inexact 0
		.amdhsa_exception_int_div_zero 0
	.end_amdhsa_kernel
	.section	.text._ZN7rocprim17ROCPRIM_400000_NS6detail17trampoline_kernelINS0_14default_configENS1_38merge_sort_block_merge_config_selectorIxNS0_10empty_typeEEEZZNS1_27merge_sort_block_merge_implIS3_N6thrust23THRUST_200600_302600_NS6detail15normal_iteratorINS9_10device_ptrIxEEEEPS5_m11less_div_10IxEEE10hipError_tT0_T1_T2_jT3_P12ihipStream_tbPNSt15iterator_traitsISJ_E10value_typeEPNSP_ISK_E10value_typeEPSL_NS1_7vsmem_tEENKUlT_SJ_SK_SL_E_clIPxSE_SF_SF_EESI_SY_SJ_SK_SL_EUlSY_E1_NS1_11comp_targetILNS1_3genE10ELNS1_11target_archE1201ELNS1_3gpuE5ELNS1_3repE0EEENS1_36merge_oddeven_config_static_selectorELNS0_4arch9wavefront6targetE0EEEvSK_,"axG",@progbits,_ZN7rocprim17ROCPRIM_400000_NS6detail17trampoline_kernelINS0_14default_configENS1_38merge_sort_block_merge_config_selectorIxNS0_10empty_typeEEEZZNS1_27merge_sort_block_merge_implIS3_N6thrust23THRUST_200600_302600_NS6detail15normal_iteratorINS9_10device_ptrIxEEEEPS5_m11less_div_10IxEEE10hipError_tT0_T1_T2_jT3_P12ihipStream_tbPNSt15iterator_traitsISJ_E10value_typeEPNSP_ISK_E10value_typeEPSL_NS1_7vsmem_tEENKUlT_SJ_SK_SL_E_clIPxSE_SF_SF_EESI_SY_SJ_SK_SL_EUlSY_E1_NS1_11comp_targetILNS1_3genE10ELNS1_11target_archE1201ELNS1_3gpuE5ELNS1_3repE0EEENS1_36merge_oddeven_config_static_selectorELNS0_4arch9wavefront6targetE0EEEvSK_,comdat
.Lfunc_end353:
	.size	_ZN7rocprim17ROCPRIM_400000_NS6detail17trampoline_kernelINS0_14default_configENS1_38merge_sort_block_merge_config_selectorIxNS0_10empty_typeEEEZZNS1_27merge_sort_block_merge_implIS3_N6thrust23THRUST_200600_302600_NS6detail15normal_iteratorINS9_10device_ptrIxEEEEPS5_m11less_div_10IxEEE10hipError_tT0_T1_T2_jT3_P12ihipStream_tbPNSt15iterator_traitsISJ_E10value_typeEPNSP_ISK_E10value_typeEPSL_NS1_7vsmem_tEENKUlT_SJ_SK_SL_E_clIPxSE_SF_SF_EESI_SY_SJ_SK_SL_EUlSY_E1_NS1_11comp_targetILNS1_3genE10ELNS1_11target_archE1201ELNS1_3gpuE5ELNS1_3repE0EEENS1_36merge_oddeven_config_static_selectorELNS0_4arch9wavefront6targetE0EEEvSK_, .Lfunc_end353-_ZN7rocprim17ROCPRIM_400000_NS6detail17trampoline_kernelINS0_14default_configENS1_38merge_sort_block_merge_config_selectorIxNS0_10empty_typeEEEZZNS1_27merge_sort_block_merge_implIS3_N6thrust23THRUST_200600_302600_NS6detail15normal_iteratorINS9_10device_ptrIxEEEEPS5_m11less_div_10IxEEE10hipError_tT0_T1_T2_jT3_P12ihipStream_tbPNSt15iterator_traitsISJ_E10value_typeEPNSP_ISK_E10value_typeEPSL_NS1_7vsmem_tEENKUlT_SJ_SK_SL_E_clIPxSE_SF_SF_EESI_SY_SJ_SK_SL_EUlSY_E1_NS1_11comp_targetILNS1_3genE10ELNS1_11target_archE1201ELNS1_3gpuE5ELNS1_3repE0EEENS1_36merge_oddeven_config_static_selectorELNS0_4arch9wavefront6targetE0EEEvSK_
                                        ; -- End function
	.set _ZN7rocprim17ROCPRIM_400000_NS6detail17trampoline_kernelINS0_14default_configENS1_38merge_sort_block_merge_config_selectorIxNS0_10empty_typeEEEZZNS1_27merge_sort_block_merge_implIS3_N6thrust23THRUST_200600_302600_NS6detail15normal_iteratorINS9_10device_ptrIxEEEEPS5_m11less_div_10IxEEE10hipError_tT0_T1_T2_jT3_P12ihipStream_tbPNSt15iterator_traitsISJ_E10value_typeEPNSP_ISK_E10value_typeEPSL_NS1_7vsmem_tEENKUlT_SJ_SK_SL_E_clIPxSE_SF_SF_EESI_SY_SJ_SK_SL_EUlSY_E1_NS1_11comp_targetILNS1_3genE10ELNS1_11target_archE1201ELNS1_3gpuE5ELNS1_3repE0EEENS1_36merge_oddeven_config_static_selectorELNS0_4arch9wavefront6targetE0EEEvSK_.num_vgpr, 0
	.set _ZN7rocprim17ROCPRIM_400000_NS6detail17trampoline_kernelINS0_14default_configENS1_38merge_sort_block_merge_config_selectorIxNS0_10empty_typeEEEZZNS1_27merge_sort_block_merge_implIS3_N6thrust23THRUST_200600_302600_NS6detail15normal_iteratorINS9_10device_ptrIxEEEEPS5_m11less_div_10IxEEE10hipError_tT0_T1_T2_jT3_P12ihipStream_tbPNSt15iterator_traitsISJ_E10value_typeEPNSP_ISK_E10value_typeEPSL_NS1_7vsmem_tEENKUlT_SJ_SK_SL_E_clIPxSE_SF_SF_EESI_SY_SJ_SK_SL_EUlSY_E1_NS1_11comp_targetILNS1_3genE10ELNS1_11target_archE1201ELNS1_3gpuE5ELNS1_3repE0EEENS1_36merge_oddeven_config_static_selectorELNS0_4arch9wavefront6targetE0EEEvSK_.num_agpr, 0
	.set _ZN7rocprim17ROCPRIM_400000_NS6detail17trampoline_kernelINS0_14default_configENS1_38merge_sort_block_merge_config_selectorIxNS0_10empty_typeEEEZZNS1_27merge_sort_block_merge_implIS3_N6thrust23THRUST_200600_302600_NS6detail15normal_iteratorINS9_10device_ptrIxEEEEPS5_m11less_div_10IxEEE10hipError_tT0_T1_T2_jT3_P12ihipStream_tbPNSt15iterator_traitsISJ_E10value_typeEPNSP_ISK_E10value_typeEPSL_NS1_7vsmem_tEENKUlT_SJ_SK_SL_E_clIPxSE_SF_SF_EESI_SY_SJ_SK_SL_EUlSY_E1_NS1_11comp_targetILNS1_3genE10ELNS1_11target_archE1201ELNS1_3gpuE5ELNS1_3repE0EEENS1_36merge_oddeven_config_static_selectorELNS0_4arch9wavefront6targetE0EEEvSK_.numbered_sgpr, 0
	.set _ZN7rocprim17ROCPRIM_400000_NS6detail17trampoline_kernelINS0_14default_configENS1_38merge_sort_block_merge_config_selectorIxNS0_10empty_typeEEEZZNS1_27merge_sort_block_merge_implIS3_N6thrust23THRUST_200600_302600_NS6detail15normal_iteratorINS9_10device_ptrIxEEEEPS5_m11less_div_10IxEEE10hipError_tT0_T1_T2_jT3_P12ihipStream_tbPNSt15iterator_traitsISJ_E10value_typeEPNSP_ISK_E10value_typeEPSL_NS1_7vsmem_tEENKUlT_SJ_SK_SL_E_clIPxSE_SF_SF_EESI_SY_SJ_SK_SL_EUlSY_E1_NS1_11comp_targetILNS1_3genE10ELNS1_11target_archE1201ELNS1_3gpuE5ELNS1_3repE0EEENS1_36merge_oddeven_config_static_selectorELNS0_4arch9wavefront6targetE0EEEvSK_.num_named_barrier, 0
	.set _ZN7rocprim17ROCPRIM_400000_NS6detail17trampoline_kernelINS0_14default_configENS1_38merge_sort_block_merge_config_selectorIxNS0_10empty_typeEEEZZNS1_27merge_sort_block_merge_implIS3_N6thrust23THRUST_200600_302600_NS6detail15normal_iteratorINS9_10device_ptrIxEEEEPS5_m11less_div_10IxEEE10hipError_tT0_T1_T2_jT3_P12ihipStream_tbPNSt15iterator_traitsISJ_E10value_typeEPNSP_ISK_E10value_typeEPSL_NS1_7vsmem_tEENKUlT_SJ_SK_SL_E_clIPxSE_SF_SF_EESI_SY_SJ_SK_SL_EUlSY_E1_NS1_11comp_targetILNS1_3genE10ELNS1_11target_archE1201ELNS1_3gpuE5ELNS1_3repE0EEENS1_36merge_oddeven_config_static_selectorELNS0_4arch9wavefront6targetE0EEEvSK_.private_seg_size, 0
	.set _ZN7rocprim17ROCPRIM_400000_NS6detail17trampoline_kernelINS0_14default_configENS1_38merge_sort_block_merge_config_selectorIxNS0_10empty_typeEEEZZNS1_27merge_sort_block_merge_implIS3_N6thrust23THRUST_200600_302600_NS6detail15normal_iteratorINS9_10device_ptrIxEEEEPS5_m11less_div_10IxEEE10hipError_tT0_T1_T2_jT3_P12ihipStream_tbPNSt15iterator_traitsISJ_E10value_typeEPNSP_ISK_E10value_typeEPSL_NS1_7vsmem_tEENKUlT_SJ_SK_SL_E_clIPxSE_SF_SF_EESI_SY_SJ_SK_SL_EUlSY_E1_NS1_11comp_targetILNS1_3genE10ELNS1_11target_archE1201ELNS1_3gpuE5ELNS1_3repE0EEENS1_36merge_oddeven_config_static_selectorELNS0_4arch9wavefront6targetE0EEEvSK_.uses_vcc, 0
	.set _ZN7rocprim17ROCPRIM_400000_NS6detail17trampoline_kernelINS0_14default_configENS1_38merge_sort_block_merge_config_selectorIxNS0_10empty_typeEEEZZNS1_27merge_sort_block_merge_implIS3_N6thrust23THRUST_200600_302600_NS6detail15normal_iteratorINS9_10device_ptrIxEEEEPS5_m11less_div_10IxEEE10hipError_tT0_T1_T2_jT3_P12ihipStream_tbPNSt15iterator_traitsISJ_E10value_typeEPNSP_ISK_E10value_typeEPSL_NS1_7vsmem_tEENKUlT_SJ_SK_SL_E_clIPxSE_SF_SF_EESI_SY_SJ_SK_SL_EUlSY_E1_NS1_11comp_targetILNS1_3genE10ELNS1_11target_archE1201ELNS1_3gpuE5ELNS1_3repE0EEENS1_36merge_oddeven_config_static_selectorELNS0_4arch9wavefront6targetE0EEEvSK_.uses_flat_scratch, 0
	.set _ZN7rocprim17ROCPRIM_400000_NS6detail17trampoline_kernelINS0_14default_configENS1_38merge_sort_block_merge_config_selectorIxNS0_10empty_typeEEEZZNS1_27merge_sort_block_merge_implIS3_N6thrust23THRUST_200600_302600_NS6detail15normal_iteratorINS9_10device_ptrIxEEEEPS5_m11less_div_10IxEEE10hipError_tT0_T1_T2_jT3_P12ihipStream_tbPNSt15iterator_traitsISJ_E10value_typeEPNSP_ISK_E10value_typeEPSL_NS1_7vsmem_tEENKUlT_SJ_SK_SL_E_clIPxSE_SF_SF_EESI_SY_SJ_SK_SL_EUlSY_E1_NS1_11comp_targetILNS1_3genE10ELNS1_11target_archE1201ELNS1_3gpuE5ELNS1_3repE0EEENS1_36merge_oddeven_config_static_selectorELNS0_4arch9wavefront6targetE0EEEvSK_.has_dyn_sized_stack, 0
	.set _ZN7rocprim17ROCPRIM_400000_NS6detail17trampoline_kernelINS0_14default_configENS1_38merge_sort_block_merge_config_selectorIxNS0_10empty_typeEEEZZNS1_27merge_sort_block_merge_implIS3_N6thrust23THRUST_200600_302600_NS6detail15normal_iteratorINS9_10device_ptrIxEEEEPS5_m11less_div_10IxEEE10hipError_tT0_T1_T2_jT3_P12ihipStream_tbPNSt15iterator_traitsISJ_E10value_typeEPNSP_ISK_E10value_typeEPSL_NS1_7vsmem_tEENKUlT_SJ_SK_SL_E_clIPxSE_SF_SF_EESI_SY_SJ_SK_SL_EUlSY_E1_NS1_11comp_targetILNS1_3genE10ELNS1_11target_archE1201ELNS1_3gpuE5ELNS1_3repE0EEENS1_36merge_oddeven_config_static_selectorELNS0_4arch9wavefront6targetE0EEEvSK_.has_recursion, 0
	.set _ZN7rocprim17ROCPRIM_400000_NS6detail17trampoline_kernelINS0_14default_configENS1_38merge_sort_block_merge_config_selectorIxNS0_10empty_typeEEEZZNS1_27merge_sort_block_merge_implIS3_N6thrust23THRUST_200600_302600_NS6detail15normal_iteratorINS9_10device_ptrIxEEEEPS5_m11less_div_10IxEEE10hipError_tT0_T1_T2_jT3_P12ihipStream_tbPNSt15iterator_traitsISJ_E10value_typeEPNSP_ISK_E10value_typeEPSL_NS1_7vsmem_tEENKUlT_SJ_SK_SL_E_clIPxSE_SF_SF_EESI_SY_SJ_SK_SL_EUlSY_E1_NS1_11comp_targetILNS1_3genE10ELNS1_11target_archE1201ELNS1_3gpuE5ELNS1_3repE0EEENS1_36merge_oddeven_config_static_selectorELNS0_4arch9wavefront6targetE0EEEvSK_.has_indirect_call, 0
	.section	.AMDGPU.csdata,"",@progbits
; Kernel info:
; codeLenInByte = 0
; TotalNumSgprs: 0
; NumVgprs: 0
; ScratchSize: 0
; MemoryBound: 0
; FloatMode: 240
; IeeeMode: 1
; LDSByteSize: 0 bytes/workgroup (compile time only)
; SGPRBlocks: 0
; VGPRBlocks: 0
; NumSGPRsForWavesPerEU: 1
; NumVGPRsForWavesPerEU: 1
; Occupancy: 16
; WaveLimiterHint : 0
; COMPUTE_PGM_RSRC2:SCRATCH_EN: 0
; COMPUTE_PGM_RSRC2:USER_SGPR: 6
; COMPUTE_PGM_RSRC2:TRAP_HANDLER: 0
; COMPUTE_PGM_RSRC2:TGID_X_EN: 1
; COMPUTE_PGM_RSRC2:TGID_Y_EN: 0
; COMPUTE_PGM_RSRC2:TGID_Z_EN: 0
; COMPUTE_PGM_RSRC2:TIDIG_COMP_CNT: 0
	.section	.text._ZN7rocprim17ROCPRIM_400000_NS6detail17trampoline_kernelINS0_14default_configENS1_38merge_sort_block_merge_config_selectorIxNS0_10empty_typeEEEZZNS1_27merge_sort_block_merge_implIS3_N6thrust23THRUST_200600_302600_NS6detail15normal_iteratorINS9_10device_ptrIxEEEEPS5_m11less_div_10IxEEE10hipError_tT0_T1_T2_jT3_P12ihipStream_tbPNSt15iterator_traitsISJ_E10value_typeEPNSP_ISK_E10value_typeEPSL_NS1_7vsmem_tEENKUlT_SJ_SK_SL_E_clIPxSE_SF_SF_EESI_SY_SJ_SK_SL_EUlSY_E1_NS1_11comp_targetILNS1_3genE5ELNS1_11target_archE942ELNS1_3gpuE9ELNS1_3repE0EEENS1_36merge_oddeven_config_static_selectorELNS0_4arch9wavefront6targetE0EEEvSK_,"axG",@progbits,_ZN7rocprim17ROCPRIM_400000_NS6detail17trampoline_kernelINS0_14default_configENS1_38merge_sort_block_merge_config_selectorIxNS0_10empty_typeEEEZZNS1_27merge_sort_block_merge_implIS3_N6thrust23THRUST_200600_302600_NS6detail15normal_iteratorINS9_10device_ptrIxEEEEPS5_m11less_div_10IxEEE10hipError_tT0_T1_T2_jT3_P12ihipStream_tbPNSt15iterator_traitsISJ_E10value_typeEPNSP_ISK_E10value_typeEPSL_NS1_7vsmem_tEENKUlT_SJ_SK_SL_E_clIPxSE_SF_SF_EESI_SY_SJ_SK_SL_EUlSY_E1_NS1_11comp_targetILNS1_3genE5ELNS1_11target_archE942ELNS1_3gpuE9ELNS1_3repE0EEENS1_36merge_oddeven_config_static_selectorELNS0_4arch9wavefront6targetE0EEEvSK_,comdat
	.protected	_ZN7rocprim17ROCPRIM_400000_NS6detail17trampoline_kernelINS0_14default_configENS1_38merge_sort_block_merge_config_selectorIxNS0_10empty_typeEEEZZNS1_27merge_sort_block_merge_implIS3_N6thrust23THRUST_200600_302600_NS6detail15normal_iteratorINS9_10device_ptrIxEEEEPS5_m11less_div_10IxEEE10hipError_tT0_T1_T2_jT3_P12ihipStream_tbPNSt15iterator_traitsISJ_E10value_typeEPNSP_ISK_E10value_typeEPSL_NS1_7vsmem_tEENKUlT_SJ_SK_SL_E_clIPxSE_SF_SF_EESI_SY_SJ_SK_SL_EUlSY_E1_NS1_11comp_targetILNS1_3genE5ELNS1_11target_archE942ELNS1_3gpuE9ELNS1_3repE0EEENS1_36merge_oddeven_config_static_selectorELNS0_4arch9wavefront6targetE0EEEvSK_ ; -- Begin function _ZN7rocprim17ROCPRIM_400000_NS6detail17trampoline_kernelINS0_14default_configENS1_38merge_sort_block_merge_config_selectorIxNS0_10empty_typeEEEZZNS1_27merge_sort_block_merge_implIS3_N6thrust23THRUST_200600_302600_NS6detail15normal_iteratorINS9_10device_ptrIxEEEEPS5_m11less_div_10IxEEE10hipError_tT0_T1_T2_jT3_P12ihipStream_tbPNSt15iterator_traitsISJ_E10value_typeEPNSP_ISK_E10value_typeEPSL_NS1_7vsmem_tEENKUlT_SJ_SK_SL_E_clIPxSE_SF_SF_EESI_SY_SJ_SK_SL_EUlSY_E1_NS1_11comp_targetILNS1_3genE5ELNS1_11target_archE942ELNS1_3gpuE9ELNS1_3repE0EEENS1_36merge_oddeven_config_static_selectorELNS0_4arch9wavefront6targetE0EEEvSK_
	.globl	_ZN7rocprim17ROCPRIM_400000_NS6detail17trampoline_kernelINS0_14default_configENS1_38merge_sort_block_merge_config_selectorIxNS0_10empty_typeEEEZZNS1_27merge_sort_block_merge_implIS3_N6thrust23THRUST_200600_302600_NS6detail15normal_iteratorINS9_10device_ptrIxEEEEPS5_m11less_div_10IxEEE10hipError_tT0_T1_T2_jT3_P12ihipStream_tbPNSt15iterator_traitsISJ_E10value_typeEPNSP_ISK_E10value_typeEPSL_NS1_7vsmem_tEENKUlT_SJ_SK_SL_E_clIPxSE_SF_SF_EESI_SY_SJ_SK_SL_EUlSY_E1_NS1_11comp_targetILNS1_3genE5ELNS1_11target_archE942ELNS1_3gpuE9ELNS1_3repE0EEENS1_36merge_oddeven_config_static_selectorELNS0_4arch9wavefront6targetE0EEEvSK_
	.p2align	8
	.type	_ZN7rocprim17ROCPRIM_400000_NS6detail17trampoline_kernelINS0_14default_configENS1_38merge_sort_block_merge_config_selectorIxNS0_10empty_typeEEEZZNS1_27merge_sort_block_merge_implIS3_N6thrust23THRUST_200600_302600_NS6detail15normal_iteratorINS9_10device_ptrIxEEEEPS5_m11less_div_10IxEEE10hipError_tT0_T1_T2_jT3_P12ihipStream_tbPNSt15iterator_traitsISJ_E10value_typeEPNSP_ISK_E10value_typeEPSL_NS1_7vsmem_tEENKUlT_SJ_SK_SL_E_clIPxSE_SF_SF_EESI_SY_SJ_SK_SL_EUlSY_E1_NS1_11comp_targetILNS1_3genE5ELNS1_11target_archE942ELNS1_3gpuE9ELNS1_3repE0EEENS1_36merge_oddeven_config_static_selectorELNS0_4arch9wavefront6targetE0EEEvSK_,@function
_ZN7rocprim17ROCPRIM_400000_NS6detail17trampoline_kernelINS0_14default_configENS1_38merge_sort_block_merge_config_selectorIxNS0_10empty_typeEEEZZNS1_27merge_sort_block_merge_implIS3_N6thrust23THRUST_200600_302600_NS6detail15normal_iteratorINS9_10device_ptrIxEEEEPS5_m11less_div_10IxEEE10hipError_tT0_T1_T2_jT3_P12ihipStream_tbPNSt15iterator_traitsISJ_E10value_typeEPNSP_ISK_E10value_typeEPSL_NS1_7vsmem_tEENKUlT_SJ_SK_SL_E_clIPxSE_SF_SF_EESI_SY_SJ_SK_SL_EUlSY_E1_NS1_11comp_targetILNS1_3genE5ELNS1_11target_archE942ELNS1_3gpuE9ELNS1_3repE0EEENS1_36merge_oddeven_config_static_selectorELNS0_4arch9wavefront6targetE0EEEvSK_: ; @_ZN7rocprim17ROCPRIM_400000_NS6detail17trampoline_kernelINS0_14default_configENS1_38merge_sort_block_merge_config_selectorIxNS0_10empty_typeEEEZZNS1_27merge_sort_block_merge_implIS3_N6thrust23THRUST_200600_302600_NS6detail15normal_iteratorINS9_10device_ptrIxEEEEPS5_m11less_div_10IxEEE10hipError_tT0_T1_T2_jT3_P12ihipStream_tbPNSt15iterator_traitsISJ_E10value_typeEPNSP_ISK_E10value_typeEPSL_NS1_7vsmem_tEENKUlT_SJ_SK_SL_E_clIPxSE_SF_SF_EESI_SY_SJ_SK_SL_EUlSY_E1_NS1_11comp_targetILNS1_3genE5ELNS1_11target_archE942ELNS1_3gpuE9ELNS1_3repE0EEENS1_36merge_oddeven_config_static_selectorELNS0_4arch9wavefront6targetE0EEEvSK_
; %bb.0:
	.section	.rodata,"a",@progbits
	.p2align	6, 0x0
	.amdhsa_kernel _ZN7rocprim17ROCPRIM_400000_NS6detail17trampoline_kernelINS0_14default_configENS1_38merge_sort_block_merge_config_selectorIxNS0_10empty_typeEEEZZNS1_27merge_sort_block_merge_implIS3_N6thrust23THRUST_200600_302600_NS6detail15normal_iteratorINS9_10device_ptrIxEEEEPS5_m11less_div_10IxEEE10hipError_tT0_T1_T2_jT3_P12ihipStream_tbPNSt15iterator_traitsISJ_E10value_typeEPNSP_ISK_E10value_typeEPSL_NS1_7vsmem_tEENKUlT_SJ_SK_SL_E_clIPxSE_SF_SF_EESI_SY_SJ_SK_SL_EUlSY_E1_NS1_11comp_targetILNS1_3genE5ELNS1_11target_archE942ELNS1_3gpuE9ELNS1_3repE0EEENS1_36merge_oddeven_config_static_selectorELNS0_4arch9wavefront6targetE0EEEvSK_
		.amdhsa_group_segment_fixed_size 0
		.amdhsa_private_segment_fixed_size 0
		.amdhsa_kernarg_size 56
		.amdhsa_user_sgpr_count 6
		.amdhsa_user_sgpr_private_segment_buffer 1
		.amdhsa_user_sgpr_dispatch_ptr 0
		.amdhsa_user_sgpr_queue_ptr 0
		.amdhsa_user_sgpr_kernarg_segment_ptr 1
		.amdhsa_user_sgpr_dispatch_id 0
		.amdhsa_user_sgpr_flat_scratch_init 0
		.amdhsa_user_sgpr_private_segment_size 0
		.amdhsa_wavefront_size32 1
		.amdhsa_uses_dynamic_stack 0
		.amdhsa_system_sgpr_private_segment_wavefront_offset 0
		.amdhsa_system_sgpr_workgroup_id_x 1
		.amdhsa_system_sgpr_workgroup_id_y 0
		.amdhsa_system_sgpr_workgroup_id_z 0
		.amdhsa_system_sgpr_workgroup_info 0
		.amdhsa_system_vgpr_workitem_id 0
		.amdhsa_next_free_vgpr 1
		.amdhsa_next_free_sgpr 1
		.amdhsa_reserve_vcc 0
		.amdhsa_reserve_flat_scratch 0
		.amdhsa_float_round_mode_32 0
		.amdhsa_float_round_mode_16_64 0
		.amdhsa_float_denorm_mode_32 3
		.amdhsa_float_denorm_mode_16_64 3
		.amdhsa_dx10_clamp 1
		.amdhsa_ieee_mode 1
		.amdhsa_fp16_overflow 0
		.amdhsa_workgroup_processor_mode 1
		.amdhsa_memory_ordered 1
		.amdhsa_forward_progress 1
		.amdhsa_shared_vgpr_count 0
		.amdhsa_exception_fp_ieee_invalid_op 0
		.amdhsa_exception_fp_denorm_src 0
		.amdhsa_exception_fp_ieee_div_zero 0
		.amdhsa_exception_fp_ieee_overflow 0
		.amdhsa_exception_fp_ieee_underflow 0
		.amdhsa_exception_fp_ieee_inexact 0
		.amdhsa_exception_int_div_zero 0
	.end_amdhsa_kernel
	.section	.text._ZN7rocprim17ROCPRIM_400000_NS6detail17trampoline_kernelINS0_14default_configENS1_38merge_sort_block_merge_config_selectorIxNS0_10empty_typeEEEZZNS1_27merge_sort_block_merge_implIS3_N6thrust23THRUST_200600_302600_NS6detail15normal_iteratorINS9_10device_ptrIxEEEEPS5_m11less_div_10IxEEE10hipError_tT0_T1_T2_jT3_P12ihipStream_tbPNSt15iterator_traitsISJ_E10value_typeEPNSP_ISK_E10value_typeEPSL_NS1_7vsmem_tEENKUlT_SJ_SK_SL_E_clIPxSE_SF_SF_EESI_SY_SJ_SK_SL_EUlSY_E1_NS1_11comp_targetILNS1_3genE5ELNS1_11target_archE942ELNS1_3gpuE9ELNS1_3repE0EEENS1_36merge_oddeven_config_static_selectorELNS0_4arch9wavefront6targetE0EEEvSK_,"axG",@progbits,_ZN7rocprim17ROCPRIM_400000_NS6detail17trampoline_kernelINS0_14default_configENS1_38merge_sort_block_merge_config_selectorIxNS0_10empty_typeEEEZZNS1_27merge_sort_block_merge_implIS3_N6thrust23THRUST_200600_302600_NS6detail15normal_iteratorINS9_10device_ptrIxEEEEPS5_m11less_div_10IxEEE10hipError_tT0_T1_T2_jT3_P12ihipStream_tbPNSt15iterator_traitsISJ_E10value_typeEPNSP_ISK_E10value_typeEPSL_NS1_7vsmem_tEENKUlT_SJ_SK_SL_E_clIPxSE_SF_SF_EESI_SY_SJ_SK_SL_EUlSY_E1_NS1_11comp_targetILNS1_3genE5ELNS1_11target_archE942ELNS1_3gpuE9ELNS1_3repE0EEENS1_36merge_oddeven_config_static_selectorELNS0_4arch9wavefront6targetE0EEEvSK_,comdat
.Lfunc_end354:
	.size	_ZN7rocprim17ROCPRIM_400000_NS6detail17trampoline_kernelINS0_14default_configENS1_38merge_sort_block_merge_config_selectorIxNS0_10empty_typeEEEZZNS1_27merge_sort_block_merge_implIS3_N6thrust23THRUST_200600_302600_NS6detail15normal_iteratorINS9_10device_ptrIxEEEEPS5_m11less_div_10IxEEE10hipError_tT0_T1_T2_jT3_P12ihipStream_tbPNSt15iterator_traitsISJ_E10value_typeEPNSP_ISK_E10value_typeEPSL_NS1_7vsmem_tEENKUlT_SJ_SK_SL_E_clIPxSE_SF_SF_EESI_SY_SJ_SK_SL_EUlSY_E1_NS1_11comp_targetILNS1_3genE5ELNS1_11target_archE942ELNS1_3gpuE9ELNS1_3repE0EEENS1_36merge_oddeven_config_static_selectorELNS0_4arch9wavefront6targetE0EEEvSK_, .Lfunc_end354-_ZN7rocprim17ROCPRIM_400000_NS6detail17trampoline_kernelINS0_14default_configENS1_38merge_sort_block_merge_config_selectorIxNS0_10empty_typeEEEZZNS1_27merge_sort_block_merge_implIS3_N6thrust23THRUST_200600_302600_NS6detail15normal_iteratorINS9_10device_ptrIxEEEEPS5_m11less_div_10IxEEE10hipError_tT0_T1_T2_jT3_P12ihipStream_tbPNSt15iterator_traitsISJ_E10value_typeEPNSP_ISK_E10value_typeEPSL_NS1_7vsmem_tEENKUlT_SJ_SK_SL_E_clIPxSE_SF_SF_EESI_SY_SJ_SK_SL_EUlSY_E1_NS1_11comp_targetILNS1_3genE5ELNS1_11target_archE942ELNS1_3gpuE9ELNS1_3repE0EEENS1_36merge_oddeven_config_static_selectorELNS0_4arch9wavefront6targetE0EEEvSK_
                                        ; -- End function
	.set _ZN7rocprim17ROCPRIM_400000_NS6detail17trampoline_kernelINS0_14default_configENS1_38merge_sort_block_merge_config_selectorIxNS0_10empty_typeEEEZZNS1_27merge_sort_block_merge_implIS3_N6thrust23THRUST_200600_302600_NS6detail15normal_iteratorINS9_10device_ptrIxEEEEPS5_m11less_div_10IxEEE10hipError_tT0_T1_T2_jT3_P12ihipStream_tbPNSt15iterator_traitsISJ_E10value_typeEPNSP_ISK_E10value_typeEPSL_NS1_7vsmem_tEENKUlT_SJ_SK_SL_E_clIPxSE_SF_SF_EESI_SY_SJ_SK_SL_EUlSY_E1_NS1_11comp_targetILNS1_3genE5ELNS1_11target_archE942ELNS1_3gpuE9ELNS1_3repE0EEENS1_36merge_oddeven_config_static_selectorELNS0_4arch9wavefront6targetE0EEEvSK_.num_vgpr, 0
	.set _ZN7rocprim17ROCPRIM_400000_NS6detail17trampoline_kernelINS0_14default_configENS1_38merge_sort_block_merge_config_selectorIxNS0_10empty_typeEEEZZNS1_27merge_sort_block_merge_implIS3_N6thrust23THRUST_200600_302600_NS6detail15normal_iteratorINS9_10device_ptrIxEEEEPS5_m11less_div_10IxEEE10hipError_tT0_T1_T2_jT3_P12ihipStream_tbPNSt15iterator_traitsISJ_E10value_typeEPNSP_ISK_E10value_typeEPSL_NS1_7vsmem_tEENKUlT_SJ_SK_SL_E_clIPxSE_SF_SF_EESI_SY_SJ_SK_SL_EUlSY_E1_NS1_11comp_targetILNS1_3genE5ELNS1_11target_archE942ELNS1_3gpuE9ELNS1_3repE0EEENS1_36merge_oddeven_config_static_selectorELNS0_4arch9wavefront6targetE0EEEvSK_.num_agpr, 0
	.set _ZN7rocprim17ROCPRIM_400000_NS6detail17trampoline_kernelINS0_14default_configENS1_38merge_sort_block_merge_config_selectorIxNS0_10empty_typeEEEZZNS1_27merge_sort_block_merge_implIS3_N6thrust23THRUST_200600_302600_NS6detail15normal_iteratorINS9_10device_ptrIxEEEEPS5_m11less_div_10IxEEE10hipError_tT0_T1_T2_jT3_P12ihipStream_tbPNSt15iterator_traitsISJ_E10value_typeEPNSP_ISK_E10value_typeEPSL_NS1_7vsmem_tEENKUlT_SJ_SK_SL_E_clIPxSE_SF_SF_EESI_SY_SJ_SK_SL_EUlSY_E1_NS1_11comp_targetILNS1_3genE5ELNS1_11target_archE942ELNS1_3gpuE9ELNS1_3repE0EEENS1_36merge_oddeven_config_static_selectorELNS0_4arch9wavefront6targetE0EEEvSK_.numbered_sgpr, 0
	.set _ZN7rocprim17ROCPRIM_400000_NS6detail17trampoline_kernelINS0_14default_configENS1_38merge_sort_block_merge_config_selectorIxNS0_10empty_typeEEEZZNS1_27merge_sort_block_merge_implIS3_N6thrust23THRUST_200600_302600_NS6detail15normal_iteratorINS9_10device_ptrIxEEEEPS5_m11less_div_10IxEEE10hipError_tT0_T1_T2_jT3_P12ihipStream_tbPNSt15iterator_traitsISJ_E10value_typeEPNSP_ISK_E10value_typeEPSL_NS1_7vsmem_tEENKUlT_SJ_SK_SL_E_clIPxSE_SF_SF_EESI_SY_SJ_SK_SL_EUlSY_E1_NS1_11comp_targetILNS1_3genE5ELNS1_11target_archE942ELNS1_3gpuE9ELNS1_3repE0EEENS1_36merge_oddeven_config_static_selectorELNS0_4arch9wavefront6targetE0EEEvSK_.num_named_barrier, 0
	.set _ZN7rocprim17ROCPRIM_400000_NS6detail17trampoline_kernelINS0_14default_configENS1_38merge_sort_block_merge_config_selectorIxNS0_10empty_typeEEEZZNS1_27merge_sort_block_merge_implIS3_N6thrust23THRUST_200600_302600_NS6detail15normal_iteratorINS9_10device_ptrIxEEEEPS5_m11less_div_10IxEEE10hipError_tT0_T1_T2_jT3_P12ihipStream_tbPNSt15iterator_traitsISJ_E10value_typeEPNSP_ISK_E10value_typeEPSL_NS1_7vsmem_tEENKUlT_SJ_SK_SL_E_clIPxSE_SF_SF_EESI_SY_SJ_SK_SL_EUlSY_E1_NS1_11comp_targetILNS1_3genE5ELNS1_11target_archE942ELNS1_3gpuE9ELNS1_3repE0EEENS1_36merge_oddeven_config_static_selectorELNS0_4arch9wavefront6targetE0EEEvSK_.private_seg_size, 0
	.set _ZN7rocprim17ROCPRIM_400000_NS6detail17trampoline_kernelINS0_14default_configENS1_38merge_sort_block_merge_config_selectorIxNS0_10empty_typeEEEZZNS1_27merge_sort_block_merge_implIS3_N6thrust23THRUST_200600_302600_NS6detail15normal_iteratorINS9_10device_ptrIxEEEEPS5_m11less_div_10IxEEE10hipError_tT0_T1_T2_jT3_P12ihipStream_tbPNSt15iterator_traitsISJ_E10value_typeEPNSP_ISK_E10value_typeEPSL_NS1_7vsmem_tEENKUlT_SJ_SK_SL_E_clIPxSE_SF_SF_EESI_SY_SJ_SK_SL_EUlSY_E1_NS1_11comp_targetILNS1_3genE5ELNS1_11target_archE942ELNS1_3gpuE9ELNS1_3repE0EEENS1_36merge_oddeven_config_static_selectorELNS0_4arch9wavefront6targetE0EEEvSK_.uses_vcc, 0
	.set _ZN7rocprim17ROCPRIM_400000_NS6detail17trampoline_kernelINS0_14default_configENS1_38merge_sort_block_merge_config_selectorIxNS0_10empty_typeEEEZZNS1_27merge_sort_block_merge_implIS3_N6thrust23THRUST_200600_302600_NS6detail15normal_iteratorINS9_10device_ptrIxEEEEPS5_m11less_div_10IxEEE10hipError_tT0_T1_T2_jT3_P12ihipStream_tbPNSt15iterator_traitsISJ_E10value_typeEPNSP_ISK_E10value_typeEPSL_NS1_7vsmem_tEENKUlT_SJ_SK_SL_E_clIPxSE_SF_SF_EESI_SY_SJ_SK_SL_EUlSY_E1_NS1_11comp_targetILNS1_3genE5ELNS1_11target_archE942ELNS1_3gpuE9ELNS1_3repE0EEENS1_36merge_oddeven_config_static_selectorELNS0_4arch9wavefront6targetE0EEEvSK_.uses_flat_scratch, 0
	.set _ZN7rocprim17ROCPRIM_400000_NS6detail17trampoline_kernelINS0_14default_configENS1_38merge_sort_block_merge_config_selectorIxNS0_10empty_typeEEEZZNS1_27merge_sort_block_merge_implIS3_N6thrust23THRUST_200600_302600_NS6detail15normal_iteratorINS9_10device_ptrIxEEEEPS5_m11less_div_10IxEEE10hipError_tT0_T1_T2_jT3_P12ihipStream_tbPNSt15iterator_traitsISJ_E10value_typeEPNSP_ISK_E10value_typeEPSL_NS1_7vsmem_tEENKUlT_SJ_SK_SL_E_clIPxSE_SF_SF_EESI_SY_SJ_SK_SL_EUlSY_E1_NS1_11comp_targetILNS1_3genE5ELNS1_11target_archE942ELNS1_3gpuE9ELNS1_3repE0EEENS1_36merge_oddeven_config_static_selectorELNS0_4arch9wavefront6targetE0EEEvSK_.has_dyn_sized_stack, 0
	.set _ZN7rocprim17ROCPRIM_400000_NS6detail17trampoline_kernelINS0_14default_configENS1_38merge_sort_block_merge_config_selectorIxNS0_10empty_typeEEEZZNS1_27merge_sort_block_merge_implIS3_N6thrust23THRUST_200600_302600_NS6detail15normal_iteratorINS9_10device_ptrIxEEEEPS5_m11less_div_10IxEEE10hipError_tT0_T1_T2_jT3_P12ihipStream_tbPNSt15iterator_traitsISJ_E10value_typeEPNSP_ISK_E10value_typeEPSL_NS1_7vsmem_tEENKUlT_SJ_SK_SL_E_clIPxSE_SF_SF_EESI_SY_SJ_SK_SL_EUlSY_E1_NS1_11comp_targetILNS1_3genE5ELNS1_11target_archE942ELNS1_3gpuE9ELNS1_3repE0EEENS1_36merge_oddeven_config_static_selectorELNS0_4arch9wavefront6targetE0EEEvSK_.has_recursion, 0
	.set _ZN7rocprim17ROCPRIM_400000_NS6detail17trampoline_kernelINS0_14default_configENS1_38merge_sort_block_merge_config_selectorIxNS0_10empty_typeEEEZZNS1_27merge_sort_block_merge_implIS3_N6thrust23THRUST_200600_302600_NS6detail15normal_iteratorINS9_10device_ptrIxEEEEPS5_m11less_div_10IxEEE10hipError_tT0_T1_T2_jT3_P12ihipStream_tbPNSt15iterator_traitsISJ_E10value_typeEPNSP_ISK_E10value_typeEPSL_NS1_7vsmem_tEENKUlT_SJ_SK_SL_E_clIPxSE_SF_SF_EESI_SY_SJ_SK_SL_EUlSY_E1_NS1_11comp_targetILNS1_3genE5ELNS1_11target_archE942ELNS1_3gpuE9ELNS1_3repE0EEENS1_36merge_oddeven_config_static_selectorELNS0_4arch9wavefront6targetE0EEEvSK_.has_indirect_call, 0
	.section	.AMDGPU.csdata,"",@progbits
; Kernel info:
; codeLenInByte = 0
; TotalNumSgprs: 0
; NumVgprs: 0
; ScratchSize: 0
; MemoryBound: 0
; FloatMode: 240
; IeeeMode: 1
; LDSByteSize: 0 bytes/workgroup (compile time only)
; SGPRBlocks: 0
; VGPRBlocks: 0
; NumSGPRsForWavesPerEU: 1
; NumVGPRsForWavesPerEU: 1
; Occupancy: 16
; WaveLimiterHint : 0
; COMPUTE_PGM_RSRC2:SCRATCH_EN: 0
; COMPUTE_PGM_RSRC2:USER_SGPR: 6
; COMPUTE_PGM_RSRC2:TRAP_HANDLER: 0
; COMPUTE_PGM_RSRC2:TGID_X_EN: 1
; COMPUTE_PGM_RSRC2:TGID_Y_EN: 0
; COMPUTE_PGM_RSRC2:TGID_Z_EN: 0
; COMPUTE_PGM_RSRC2:TIDIG_COMP_CNT: 0
	.section	.text._ZN7rocprim17ROCPRIM_400000_NS6detail17trampoline_kernelINS0_14default_configENS1_38merge_sort_block_merge_config_selectorIxNS0_10empty_typeEEEZZNS1_27merge_sort_block_merge_implIS3_N6thrust23THRUST_200600_302600_NS6detail15normal_iteratorINS9_10device_ptrIxEEEEPS5_m11less_div_10IxEEE10hipError_tT0_T1_T2_jT3_P12ihipStream_tbPNSt15iterator_traitsISJ_E10value_typeEPNSP_ISK_E10value_typeEPSL_NS1_7vsmem_tEENKUlT_SJ_SK_SL_E_clIPxSE_SF_SF_EESI_SY_SJ_SK_SL_EUlSY_E1_NS1_11comp_targetILNS1_3genE4ELNS1_11target_archE910ELNS1_3gpuE8ELNS1_3repE0EEENS1_36merge_oddeven_config_static_selectorELNS0_4arch9wavefront6targetE0EEEvSK_,"axG",@progbits,_ZN7rocprim17ROCPRIM_400000_NS6detail17trampoline_kernelINS0_14default_configENS1_38merge_sort_block_merge_config_selectorIxNS0_10empty_typeEEEZZNS1_27merge_sort_block_merge_implIS3_N6thrust23THRUST_200600_302600_NS6detail15normal_iteratorINS9_10device_ptrIxEEEEPS5_m11less_div_10IxEEE10hipError_tT0_T1_T2_jT3_P12ihipStream_tbPNSt15iterator_traitsISJ_E10value_typeEPNSP_ISK_E10value_typeEPSL_NS1_7vsmem_tEENKUlT_SJ_SK_SL_E_clIPxSE_SF_SF_EESI_SY_SJ_SK_SL_EUlSY_E1_NS1_11comp_targetILNS1_3genE4ELNS1_11target_archE910ELNS1_3gpuE8ELNS1_3repE0EEENS1_36merge_oddeven_config_static_selectorELNS0_4arch9wavefront6targetE0EEEvSK_,comdat
	.protected	_ZN7rocprim17ROCPRIM_400000_NS6detail17trampoline_kernelINS0_14default_configENS1_38merge_sort_block_merge_config_selectorIxNS0_10empty_typeEEEZZNS1_27merge_sort_block_merge_implIS3_N6thrust23THRUST_200600_302600_NS6detail15normal_iteratorINS9_10device_ptrIxEEEEPS5_m11less_div_10IxEEE10hipError_tT0_T1_T2_jT3_P12ihipStream_tbPNSt15iterator_traitsISJ_E10value_typeEPNSP_ISK_E10value_typeEPSL_NS1_7vsmem_tEENKUlT_SJ_SK_SL_E_clIPxSE_SF_SF_EESI_SY_SJ_SK_SL_EUlSY_E1_NS1_11comp_targetILNS1_3genE4ELNS1_11target_archE910ELNS1_3gpuE8ELNS1_3repE0EEENS1_36merge_oddeven_config_static_selectorELNS0_4arch9wavefront6targetE0EEEvSK_ ; -- Begin function _ZN7rocprim17ROCPRIM_400000_NS6detail17trampoline_kernelINS0_14default_configENS1_38merge_sort_block_merge_config_selectorIxNS0_10empty_typeEEEZZNS1_27merge_sort_block_merge_implIS3_N6thrust23THRUST_200600_302600_NS6detail15normal_iteratorINS9_10device_ptrIxEEEEPS5_m11less_div_10IxEEE10hipError_tT0_T1_T2_jT3_P12ihipStream_tbPNSt15iterator_traitsISJ_E10value_typeEPNSP_ISK_E10value_typeEPSL_NS1_7vsmem_tEENKUlT_SJ_SK_SL_E_clIPxSE_SF_SF_EESI_SY_SJ_SK_SL_EUlSY_E1_NS1_11comp_targetILNS1_3genE4ELNS1_11target_archE910ELNS1_3gpuE8ELNS1_3repE0EEENS1_36merge_oddeven_config_static_selectorELNS0_4arch9wavefront6targetE0EEEvSK_
	.globl	_ZN7rocprim17ROCPRIM_400000_NS6detail17trampoline_kernelINS0_14default_configENS1_38merge_sort_block_merge_config_selectorIxNS0_10empty_typeEEEZZNS1_27merge_sort_block_merge_implIS3_N6thrust23THRUST_200600_302600_NS6detail15normal_iteratorINS9_10device_ptrIxEEEEPS5_m11less_div_10IxEEE10hipError_tT0_T1_T2_jT3_P12ihipStream_tbPNSt15iterator_traitsISJ_E10value_typeEPNSP_ISK_E10value_typeEPSL_NS1_7vsmem_tEENKUlT_SJ_SK_SL_E_clIPxSE_SF_SF_EESI_SY_SJ_SK_SL_EUlSY_E1_NS1_11comp_targetILNS1_3genE4ELNS1_11target_archE910ELNS1_3gpuE8ELNS1_3repE0EEENS1_36merge_oddeven_config_static_selectorELNS0_4arch9wavefront6targetE0EEEvSK_
	.p2align	8
	.type	_ZN7rocprim17ROCPRIM_400000_NS6detail17trampoline_kernelINS0_14default_configENS1_38merge_sort_block_merge_config_selectorIxNS0_10empty_typeEEEZZNS1_27merge_sort_block_merge_implIS3_N6thrust23THRUST_200600_302600_NS6detail15normal_iteratorINS9_10device_ptrIxEEEEPS5_m11less_div_10IxEEE10hipError_tT0_T1_T2_jT3_P12ihipStream_tbPNSt15iterator_traitsISJ_E10value_typeEPNSP_ISK_E10value_typeEPSL_NS1_7vsmem_tEENKUlT_SJ_SK_SL_E_clIPxSE_SF_SF_EESI_SY_SJ_SK_SL_EUlSY_E1_NS1_11comp_targetILNS1_3genE4ELNS1_11target_archE910ELNS1_3gpuE8ELNS1_3repE0EEENS1_36merge_oddeven_config_static_selectorELNS0_4arch9wavefront6targetE0EEEvSK_,@function
_ZN7rocprim17ROCPRIM_400000_NS6detail17trampoline_kernelINS0_14default_configENS1_38merge_sort_block_merge_config_selectorIxNS0_10empty_typeEEEZZNS1_27merge_sort_block_merge_implIS3_N6thrust23THRUST_200600_302600_NS6detail15normal_iteratorINS9_10device_ptrIxEEEEPS5_m11less_div_10IxEEE10hipError_tT0_T1_T2_jT3_P12ihipStream_tbPNSt15iterator_traitsISJ_E10value_typeEPNSP_ISK_E10value_typeEPSL_NS1_7vsmem_tEENKUlT_SJ_SK_SL_E_clIPxSE_SF_SF_EESI_SY_SJ_SK_SL_EUlSY_E1_NS1_11comp_targetILNS1_3genE4ELNS1_11target_archE910ELNS1_3gpuE8ELNS1_3repE0EEENS1_36merge_oddeven_config_static_selectorELNS0_4arch9wavefront6targetE0EEEvSK_: ; @_ZN7rocprim17ROCPRIM_400000_NS6detail17trampoline_kernelINS0_14default_configENS1_38merge_sort_block_merge_config_selectorIxNS0_10empty_typeEEEZZNS1_27merge_sort_block_merge_implIS3_N6thrust23THRUST_200600_302600_NS6detail15normal_iteratorINS9_10device_ptrIxEEEEPS5_m11less_div_10IxEEE10hipError_tT0_T1_T2_jT3_P12ihipStream_tbPNSt15iterator_traitsISJ_E10value_typeEPNSP_ISK_E10value_typeEPSL_NS1_7vsmem_tEENKUlT_SJ_SK_SL_E_clIPxSE_SF_SF_EESI_SY_SJ_SK_SL_EUlSY_E1_NS1_11comp_targetILNS1_3genE4ELNS1_11target_archE910ELNS1_3gpuE8ELNS1_3repE0EEENS1_36merge_oddeven_config_static_selectorELNS0_4arch9wavefront6targetE0EEEvSK_
; %bb.0:
	.section	.rodata,"a",@progbits
	.p2align	6, 0x0
	.amdhsa_kernel _ZN7rocprim17ROCPRIM_400000_NS6detail17trampoline_kernelINS0_14default_configENS1_38merge_sort_block_merge_config_selectorIxNS0_10empty_typeEEEZZNS1_27merge_sort_block_merge_implIS3_N6thrust23THRUST_200600_302600_NS6detail15normal_iteratorINS9_10device_ptrIxEEEEPS5_m11less_div_10IxEEE10hipError_tT0_T1_T2_jT3_P12ihipStream_tbPNSt15iterator_traitsISJ_E10value_typeEPNSP_ISK_E10value_typeEPSL_NS1_7vsmem_tEENKUlT_SJ_SK_SL_E_clIPxSE_SF_SF_EESI_SY_SJ_SK_SL_EUlSY_E1_NS1_11comp_targetILNS1_3genE4ELNS1_11target_archE910ELNS1_3gpuE8ELNS1_3repE0EEENS1_36merge_oddeven_config_static_selectorELNS0_4arch9wavefront6targetE0EEEvSK_
		.amdhsa_group_segment_fixed_size 0
		.amdhsa_private_segment_fixed_size 0
		.amdhsa_kernarg_size 56
		.amdhsa_user_sgpr_count 6
		.amdhsa_user_sgpr_private_segment_buffer 1
		.amdhsa_user_sgpr_dispatch_ptr 0
		.amdhsa_user_sgpr_queue_ptr 0
		.amdhsa_user_sgpr_kernarg_segment_ptr 1
		.amdhsa_user_sgpr_dispatch_id 0
		.amdhsa_user_sgpr_flat_scratch_init 0
		.amdhsa_user_sgpr_private_segment_size 0
		.amdhsa_wavefront_size32 1
		.amdhsa_uses_dynamic_stack 0
		.amdhsa_system_sgpr_private_segment_wavefront_offset 0
		.amdhsa_system_sgpr_workgroup_id_x 1
		.amdhsa_system_sgpr_workgroup_id_y 0
		.amdhsa_system_sgpr_workgroup_id_z 0
		.amdhsa_system_sgpr_workgroup_info 0
		.amdhsa_system_vgpr_workitem_id 0
		.amdhsa_next_free_vgpr 1
		.amdhsa_next_free_sgpr 1
		.amdhsa_reserve_vcc 0
		.amdhsa_reserve_flat_scratch 0
		.amdhsa_float_round_mode_32 0
		.amdhsa_float_round_mode_16_64 0
		.amdhsa_float_denorm_mode_32 3
		.amdhsa_float_denorm_mode_16_64 3
		.amdhsa_dx10_clamp 1
		.amdhsa_ieee_mode 1
		.amdhsa_fp16_overflow 0
		.amdhsa_workgroup_processor_mode 1
		.amdhsa_memory_ordered 1
		.amdhsa_forward_progress 1
		.amdhsa_shared_vgpr_count 0
		.amdhsa_exception_fp_ieee_invalid_op 0
		.amdhsa_exception_fp_denorm_src 0
		.amdhsa_exception_fp_ieee_div_zero 0
		.amdhsa_exception_fp_ieee_overflow 0
		.amdhsa_exception_fp_ieee_underflow 0
		.amdhsa_exception_fp_ieee_inexact 0
		.amdhsa_exception_int_div_zero 0
	.end_amdhsa_kernel
	.section	.text._ZN7rocprim17ROCPRIM_400000_NS6detail17trampoline_kernelINS0_14default_configENS1_38merge_sort_block_merge_config_selectorIxNS0_10empty_typeEEEZZNS1_27merge_sort_block_merge_implIS3_N6thrust23THRUST_200600_302600_NS6detail15normal_iteratorINS9_10device_ptrIxEEEEPS5_m11less_div_10IxEEE10hipError_tT0_T1_T2_jT3_P12ihipStream_tbPNSt15iterator_traitsISJ_E10value_typeEPNSP_ISK_E10value_typeEPSL_NS1_7vsmem_tEENKUlT_SJ_SK_SL_E_clIPxSE_SF_SF_EESI_SY_SJ_SK_SL_EUlSY_E1_NS1_11comp_targetILNS1_3genE4ELNS1_11target_archE910ELNS1_3gpuE8ELNS1_3repE0EEENS1_36merge_oddeven_config_static_selectorELNS0_4arch9wavefront6targetE0EEEvSK_,"axG",@progbits,_ZN7rocprim17ROCPRIM_400000_NS6detail17trampoline_kernelINS0_14default_configENS1_38merge_sort_block_merge_config_selectorIxNS0_10empty_typeEEEZZNS1_27merge_sort_block_merge_implIS3_N6thrust23THRUST_200600_302600_NS6detail15normal_iteratorINS9_10device_ptrIxEEEEPS5_m11less_div_10IxEEE10hipError_tT0_T1_T2_jT3_P12ihipStream_tbPNSt15iterator_traitsISJ_E10value_typeEPNSP_ISK_E10value_typeEPSL_NS1_7vsmem_tEENKUlT_SJ_SK_SL_E_clIPxSE_SF_SF_EESI_SY_SJ_SK_SL_EUlSY_E1_NS1_11comp_targetILNS1_3genE4ELNS1_11target_archE910ELNS1_3gpuE8ELNS1_3repE0EEENS1_36merge_oddeven_config_static_selectorELNS0_4arch9wavefront6targetE0EEEvSK_,comdat
.Lfunc_end355:
	.size	_ZN7rocprim17ROCPRIM_400000_NS6detail17trampoline_kernelINS0_14default_configENS1_38merge_sort_block_merge_config_selectorIxNS0_10empty_typeEEEZZNS1_27merge_sort_block_merge_implIS3_N6thrust23THRUST_200600_302600_NS6detail15normal_iteratorINS9_10device_ptrIxEEEEPS5_m11less_div_10IxEEE10hipError_tT0_T1_T2_jT3_P12ihipStream_tbPNSt15iterator_traitsISJ_E10value_typeEPNSP_ISK_E10value_typeEPSL_NS1_7vsmem_tEENKUlT_SJ_SK_SL_E_clIPxSE_SF_SF_EESI_SY_SJ_SK_SL_EUlSY_E1_NS1_11comp_targetILNS1_3genE4ELNS1_11target_archE910ELNS1_3gpuE8ELNS1_3repE0EEENS1_36merge_oddeven_config_static_selectorELNS0_4arch9wavefront6targetE0EEEvSK_, .Lfunc_end355-_ZN7rocprim17ROCPRIM_400000_NS6detail17trampoline_kernelINS0_14default_configENS1_38merge_sort_block_merge_config_selectorIxNS0_10empty_typeEEEZZNS1_27merge_sort_block_merge_implIS3_N6thrust23THRUST_200600_302600_NS6detail15normal_iteratorINS9_10device_ptrIxEEEEPS5_m11less_div_10IxEEE10hipError_tT0_T1_T2_jT3_P12ihipStream_tbPNSt15iterator_traitsISJ_E10value_typeEPNSP_ISK_E10value_typeEPSL_NS1_7vsmem_tEENKUlT_SJ_SK_SL_E_clIPxSE_SF_SF_EESI_SY_SJ_SK_SL_EUlSY_E1_NS1_11comp_targetILNS1_3genE4ELNS1_11target_archE910ELNS1_3gpuE8ELNS1_3repE0EEENS1_36merge_oddeven_config_static_selectorELNS0_4arch9wavefront6targetE0EEEvSK_
                                        ; -- End function
	.set _ZN7rocprim17ROCPRIM_400000_NS6detail17trampoline_kernelINS0_14default_configENS1_38merge_sort_block_merge_config_selectorIxNS0_10empty_typeEEEZZNS1_27merge_sort_block_merge_implIS3_N6thrust23THRUST_200600_302600_NS6detail15normal_iteratorINS9_10device_ptrIxEEEEPS5_m11less_div_10IxEEE10hipError_tT0_T1_T2_jT3_P12ihipStream_tbPNSt15iterator_traitsISJ_E10value_typeEPNSP_ISK_E10value_typeEPSL_NS1_7vsmem_tEENKUlT_SJ_SK_SL_E_clIPxSE_SF_SF_EESI_SY_SJ_SK_SL_EUlSY_E1_NS1_11comp_targetILNS1_3genE4ELNS1_11target_archE910ELNS1_3gpuE8ELNS1_3repE0EEENS1_36merge_oddeven_config_static_selectorELNS0_4arch9wavefront6targetE0EEEvSK_.num_vgpr, 0
	.set _ZN7rocprim17ROCPRIM_400000_NS6detail17trampoline_kernelINS0_14default_configENS1_38merge_sort_block_merge_config_selectorIxNS0_10empty_typeEEEZZNS1_27merge_sort_block_merge_implIS3_N6thrust23THRUST_200600_302600_NS6detail15normal_iteratorINS9_10device_ptrIxEEEEPS5_m11less_div_10IxEEE10hipError_tT0_T1_T2_jT3_P12ihipStream_tbPNSt15iterator_traitsISJ_E10value_typeEPNSP_ISK_E10value_typeEPSL_NS1_7vsmem_tEENKUlT_SJ_SK_SL_E_clIPxSE_SF_SF_EESI_SY_SJ_SK_SL_EUlSY_E1_NS1_11comp_targetILNS1_3genE4ELNS1_11target_archE910ELNS1_3gpuE8ELNS1_3repE0EEENS1_36merge_oddeven_config_static_selectorELNS0_4arch9wavefront6targetE0EEEvSK_.num_agpr, 0
	.set _ZN7rocprim17ROCPRIM_400000_NS6detail17trampoline_kernelINS0_14default_configENS1_38merge_sort_block_merge_config_selectorIxNS0_10empty_typeEEEZZNS1_27merge_sort_block_merge_implIS3_N6thrust23THRUST_200600_302600_NS6detail15normal_iteratorINS9_10device_ptrIxEEEEPS5_m11less_div_10IxEEE10hipError_tT0_T1_T2_jT3_P12ihipStream_tbPNSt15iterator_traitsISJ_E10value_typeEPNSP_ISK_E10value_typeEPSL_NS1_7vsmem_tEENKUlT_SJ_SK_SL_E_clIPxSE_SF_SF_EESI_SY_SJ_SK_SL_EUlSY_E1_NS1_11comp_targetILNS1_3genE4ELNS1_11target_archE910ELNS1_3gpuE8ELNS1_3repE0EEENS1_36merge_oddeven_config_static_selectorELNS0_4arch9wavefront6targetE0EEEvSK_.numbered_sgpr, 0
	.set _ZN7rocprim17ROCPRIM_400000_NS6detail17trampoline_kernelINS0_14default_configENS1_38merge_sort_block_merge_config_selectorIxNS0_10empty_typeEEEZZNS1_27merge_sort_block_merge_implIS3_N6thrust23THRUST_200600_302600_NS6detail15normal_iteratorINS9_10device_ptrIxEEEEPS5_m11less_div_10IxEEE10hipError_tT0_T1_T2_jT3_P12ihipStream_tbPNSt15iterator_traitsISJ_E10value_typeEPNSP_ISK_E10value_typeEPSL_NS1_7vsmem_tEENKUlT_SJ_SK_SL_E_clIPxSE_SF_SF_EESI_SY_SJ_SK_SL_EUlSY_E1_NS1_11comp_targetILNS1_3genE4ELNS1_11target_archE910ELNS1_3gpuE8ELNS1_3repE0EEENS1_36merge_oddeven_config_static_selectorELNS0_4arch9wavefront6targetE0EEEvSK_.num_named_barrier, 0
	.set _ZN7rocprim17ROCPRIM_400000_NS6detail17trampoline_kernelINS0_14default_configENS1_38merge_sort_block_merge_config_selectorIxNS0_10empty_typeEEEZZNS1_27merge_sort_block_merge_implIS3_N6thrust23THRUST_200600_302600_NS6detail15normal_iteratorINS9_10device_ptrIxEEEEPS5_m11less_div_10IxEEE10hipError_tT0_T1_T2_jT3_P12ihipStream_tbPNSt15iterator_traitsISJ_E10value_typeEPNSP_ISK_E10value_typeEPSL_NS1_7vsmem_tEENKUlT_SJ_SK_SL_E_clIPxSE_SF_SF_EESI_SY_SJ_SK_SL_EUlSY_E1_NS1_11comp_targetILNS1_3genE4ELNS1_11target_archE910ELNS1_3gpuE8ELNS1_3repE0EEENS1_36merge_oddeven_config_static_selectorELNS0_4arch9wavefront6targetE0EEEvSK_.private_seg_size, 0
	.set _ZN7rocprim17ROCPRIM_400000_NS6detail17trampoline_kernelINS0_14default_configENS1_38merge_sort_block_merge_config_selectorIxNS0_10empty_typeEEEZZNS1_27merge_sort_block_merge_implIS3_N6thrust23THRUST_200600_302600_NS6detail15normal_iteratorINS9_10device_ptrIxEEEEPS5_m11less_div_10IxEEE10hipError_tT0_T1_T2_jT3_P12ihipStream_tbPNSt15iterator_traitsISJ_E10value_typeEPNSP_ISK_E10value_typeEPSL_NS1_7vsmem_tEENKUlT_SJ_SK_SL_E_clIPxSE_SF_SF_EESI_SY_SJ_SK_SL_EUlSY_E1_NS1_11comp_targetILNS1_3genE4ELNS1_11target_archE910ELNS1_3gpuE8ELNS1_3repE0EEENS1_36merge_oddeven_config_static_selectorELNS0_4arch9wavefront6targetE0EEEvSK_.uses_vcc, 0
	.set _ZN7rocprim17ROCPRIM_400000_NS6detail17trampoline_kernelINS0_14default_configENS1_38merge_sort_block_merge_config_selectorIxNS0_10empty_typeEEEZZNS1_27merge_sort_block_merge_implIS3_N6thrust23THRUST_200600_302600_NS6detail15normal_iteratorINS9_10device_ptrIxEEEEPS5_m11less_div_10IxEEE10hipError_tT0_T1_T2_jT3_P12ihipStream_tbPNSt15iterator_traitsISJ_E10value_typeEPNSP_ISK_E10value_typeEPSL_NS1_7vsmem_tEENKUlT_SJ_SK_SL_E_clIPxSE_SF_SF_EESI_SY_SJ_SK_SL_EUlSY_E1_NS1_11comp_targetILNS1_3genE4ELNS1_11target_archE910ELNS1_3gpuE8ELNS1_3repE0EEENS1_36merge_oddeven_config_static_selectorELNS0_4arch9wavefront6targetE0EEEvSK_.uses_flat_scratch, 0
	.set _ZN7rocprim17ROCPRIM_400000_NS6detail17trampoline_kernelINS0_14default_configENS1_38merge_sort_block_merge_config_selectorIxNS0_10empty_typeEEEZZNS1_27merge_sort_block_merge_implIS3_N6thrust23THRUST_200600_302600_NS6detail15normal_iteratorINS9_10device_ptrIxEEEEPS5_m11less_div_10IxEEE10hipError_tT0_T1_T2_jT3_P12ihipStream_tbPNSt15iterator_traitsISJ_E10value_typeEPNSP_ISK_E10value_typeEPSL_NS1_7vsmem_tEENKUlT_SJ_SK_SL_E_clIPxSE_SF_SF_EESI_SY_SJ_SK_SL_EUlSY_E1_NS1_11comp_targetILNS1_3genE4ELNS1_11target_archE910ELNS1_3gpuE8ELNS1_3repE0EEENS1_36merge_oddeven_config_static_selectorELNS0_4arch9wavefront6targetE0EEEvSK_.has_dyn_sized_stack, 0
	.set _ZN7rocprim17ROCPRIM_400000_NS6detail17trampoline_kernelINS0_14default_configENS1_38merge_sort_block_merge_config_selectorIxNS0_10empty_typeEEEZZNS1_27merge_sort_block_merge_implIS3_N6thrust23THRUST_200600_302600_NS6detail15normal_iteratorINS9_10device_ptrIxEEEEPS5_m11less_div_10IxEEE10hipError_tT0_T1_T2_jT3_P12ihipStream_tbPNSt15iterator_traitsISJ_E10value_typeEPNSP_ISK_E10value_typeEPSL_NS1_7vsmem_tEENKUlT_SJ_SK_SL_E_clIPxSE_SF_SF_EESI_SY_SJ_SK_SL_EUlSY_E1_NS1_11comp_targetILNS1_3genE4ELNS1_11target_archE910ELNS1_3gpuE8ELNS1_3repE0EEENS1_36merge_oddeven_config_static_selectorELNS0_4arch9wavefront6targetE0EEEvSK_.has_recursion, 0
	.set _ZN7rocprim17ROCPRIM_400000_NS6detail17trampoline_kernelINS0_14default_configENS1_38merge_sort_block_merge_config_selectorIxNS0_10empty_typeEEEZZNS1_27merge_sort_block_merge_implIS3_N6thrust23THRUST_200600_302600_NS6detail15normal_iteratorINS9_10device_ptrIxEEEEPS5_m11less_div_10IxEEE10hipError_tT0_T1_T2_jT3_P12ihipStream_tbPNSt15iterator_traitsISJ_E10value_typeEPNSP_ISK_E10value_typeEPSL_NS1_7vsmem_tEENKUlT_SJ_SK_SL_E_clIPxSE_SF_SF_EESI_SY_SJ_SK_SL_EUlSY_E1_NS1_11comp_targetILNS1_3genE4ELNS1_11target_archE910ELNS1_3gpuE8ELNS1_3repE0EEENS1_36merge_oddeven_config_static_selectorELNS0_4arch9wavefront6targetE0EEEvSK_.has_indirect_call, 0
	.section	.AMDGPU.csdata,"",@progbits
; Kernel info:
; codeLenInByte = 0
; TotalNumSgprs: 0
; NumVgprs: 0
; ScratchSize: 0
; MemoryBound: 0
; FloatMode: 240
; IeeeMode: 1
; LDSByteSize: 0 bytes/workgroup (compile time only)
; SGPRBlocks: 0
; VGPRBlocks: 0
; NumSGPRsForWavesPerEU: 1
; NumVGPRsForWavesPerEU: 1
; Occupancy: 16
; WaveLimiterHint : 0
; COMPUTE_PGM_RSRC2:SCRATCH_EN: 0
; COMPUTE_PGM_RSRC2:USER_SGPR: 6
; COMPUTE_PGM_RSRC2:TRAP_HANDLER: 0
; COMPUTE_PGM_RSRC2:TGID_X_EN: 1
; COMPUTE_PGM_RSRC2:TGID_Y_EN: 0
; COMPUTE_PGM_RSRC2:TGID_Z_EN: 0
; COMPUTE_PGM_RSRC2:TIDIG_COMP_CNT: 0
	.section	.text._ZN7rocprim17ROCPRIM_400000_NS6detail17trampoline_kernelINS0_14default_configENS1_38merge_sort_block_merge_config_selectorIxNS0_10empty_typeEEEZZNS1_27merge_sort_block_merge_implIS3_N6thrust23THRUST_200600_302600_NS6detail15normal_iteratorINS9_10device_ptrIxEEEEPS5_m11less_div_10IxEEE10hipError_tT0_T1_T2_jT3_P12ihipStream_tbPNSt15iterator_traitsISJ_E10value_typeEPNSP_ISK_E10value_typeEPSL_NS1_7vsmem_tEENKUlT_SJ_SK_SL_E_clIPxSE_SF_SF_EESI_SY_SJ_SK_SL_EUlSY_E1_NS1_11comp_targetILNS1_3genE3ELNS1_11target_archE908ELNS1_3gpuE7ELNS1_3repE0EEENS1_36merge_oddeven_config_static_selectorELNS0_4arch9wavefront6targetE0EEEvSK_,"axG",@progbits,_ZN7rocprim17ROCPRIM_400000_NS6detail17trampoline_kernelINS0_14default_configENS1_38merge_sort_block_merge_config_selectorIxNS0_10empty_typeEEEZZNS1_27merge_sort_block_merge_implIS3_N6thrust23THRUST_200600_302600_NS6detail15normal_iteratorINS9_10device_ptrIxEEEEPS5_m11less_div_10IxEEE10hipError_tT0_T1_T2_jT3_P12ihipStream_tbPNSt15iterator_traitsISJ_E10value_typeEPNSP_ISK_E10value_typeEPSL_NS1_7vsmem_tEENKUlT_SJ_SK_SL_E_clIPxSE_SF_SF_EESI_SY_SJ_SK_SL_EUlSY_E1_NS1_11comp_targetILNS1_3genE3ELNS1_11target_archE908ELNS1_3gpuE7ELNS1_3repE0EEENS1_36merge_oddeven_config_static_selectorELNS0_4arch9wavefront6targetE0EEEvSK_,comdat
	.protected	_ZN7rocprim17ROCPRIM_400000_NS6detail17trampoline_kernelINS0_14default_configENS1_38merge_sort_block_merge_config_selectorIxNS0_10empty_typeEEEZZNS1_27merge_sort_block_merge_implIS3_N6thrust23THRUST_200600_302600_NS6detail15normal_iteratorINS9_10device_ptrIxEEEEPS5_m11less_div_10IxEEE10hipError_tT0_T1_T2_jT3_P12ihipStream_tbPNSt15iterator_traitsISJ_E10value_typeEPNSP_ISK_E10value_typeEPSL_NS1_7vsmem_tEENKUlT_SJ_SK_SL_E_clIPxSE_SF_SF_EESI_SY_SJ_SK_SL_EUlSY_E1_NS1_11comp_targetILNS1_3genE3ELNS1_11target_archE908ELNS1_3gpuE7ELNS1_3repE0EEENS1_36merge_oddeven_config_static_selectorELNS0_4arch9wavefront6targetE0EEEvSK_ ; -- Begin function _ZN7rocprim17ROCPRIM_400000_NS6detail17trampoline_kernelINS0_14default_configENS1_38merge_sort_block_merge_config_selectorIxNS0_10empty_typeEEEZZNS1_27merge_sort_block_merge_implIS3_N6thrust23THRUST_200600_302600_NS6detail15normal_iteratorINS9_10device_ptrIxEEEEPS5_m11less_div_10IxEEE10hipError_tT0_T1_T2_jT3_P12ihipStream_tbPNSt15iterator_traitsISJ_E10value_typeEPNSP_ISK_E10value_typeEPSL_NS1_7vsmem_tEENKUlT_SJ_SK_SL_E_clIPxSE_SF_SF_EESI_SY_SJ_SK_SL_EUlSY_E1_NS1_11comp_targetILNS1_3genE3ELNS1_11target_archE908ELNS1_3gpuE7ELNS1_3repE0EEENS1_36merge_oddeven_config_static_selectorELNS0_4arch9wavefront6targetE0EEEvSK_
	.globl	_ZN7rocprim17ROCPRIM_400000_NS6detail17trampoline_kernelINS0_14default_configENS1_38merge_sort_block_merge_config_selectorIxNS0_10empty_typeEEEZZNS1_27merge_sort_block_merge_implIS3_N6thrust23THRUST_200600_302600_NS6detail15normal_iteratorINS9_10device_ptrIxEEEEPS5_m11less_div_10IxEEE10hipError_tT0_T1_T2_jT3_P12ihipStream_tbPNSt15iterator_traitsISJ_E10value_typeEPNSP_ISK_E10value_typeEPSL_NS1_7vsmem_tEENKUlT_SJ_SK_SL_E_clIPxSE_SF_SF_EESI_SY_SJ_SK_SL_EUlSY_E1_NS1_11comp_targetILNS1_3genE3ELNS1_11target_archE908ELNS1_3gpuE7ELNS1_3repE0EEENS1_36merge_oddeven_config_static_selectorELNS0_4arch9wavefront6targetE0EEEvSK_
	.p2align	8
	.type	_ZN7rocprim17ROCPRIM_400000_NS6detail17trampoline_kernelINS0_14default_configENS1_38merge_sort_block_merge_config_selectorIxNS0_10empty_typeEEEZZNS1_27merge_sort_block_merge_implIS3_N6thrust23THRUST_200600_302600_NS6detail15normal_iteratorINS9_10device_ptrIxEEEEPS5_m11less_div_10IxEEE10hipError_tT0_T1_T2_jT3_P12ihipStream_tbPNSt15iterator_traitsISJ_E10value_typeEPNSP_ISK_E10value_typeEPSL_NS1_7vsmem_tEENKUlT_SJ_SK_SL_E_clIPxSE_SF_SF_EESI_SY_SJ_SK_SL_EUlSY_E1_NS1_11comp_targetILNS1_3genE3ELNS1_11target_archE908ELNS1_3gpuE7ELNS1_3repE0EEENS1_36merge_oddeven_config_static_selectorELNS0_4arch9wavefront6targetE0EEEvSK_,@function
_ZN7rocprim17ROCPRIM_400000_NS6detail17trampoline_kernelINS0_14default_configENS1_38merge_sort_block_merge_config_selectorIxNS0_10empty_typeEEEZZNS1_27merge_sort_block_merge_implIS3_N6thrust23THRUST_200600_302600_NS6detail15normal_iteratorINS9_10device_ptrIxEEEEPS5_m11less_div_10IxEEE10hipError_tT0_T1_T2_jT3_P12ihipStream_tbPNSt15iterator_traitsISJ_E10value_typeEPNSP_ISK_E10value_typeEPSL_NS1_7vsmem_tEENKUlT_SJ_SK_SL_E_clIPxSE_SF_SF_EESI_SY_SJ_SK_SL_EUlSY_E1_NS1_11comp_targetILNS1_3genE3ELNS1_11target_archE908ELNS1_3gpuE7ELNS1_3repE0EEENS1_36merge_oddeven_config_static_selectorELNS0_4arch9wavefront6targetE0EEEvSK_: ; @_ZN7rocprim17ROCPRIM_400000_NS6detail17trampoline_kernelINS0_14default_configENS1_38merge_sort_block_merge_config_selectorIxNS0_10empty_typeEEEZZNS1_27merge_sort_block_merge_implIS3_N6thrust23THRUST_200600_302600_NS6detail15normal_iteratorINS9_10device_ptrIxEEEEPS5_m11less_div_10IxEEE10hipError_tT0_T1_T2_jT3_P12ihipStream_tbPNSt15iterator_traitsISJ_E10value_typeEPNSP_ISK_E10value_typeEPSL_NS1_7vsmem_tEENKUlT_SJ_SK_SL_E_clIPxSE_SF_SF_EESI_SY_SJ_SK_SL_EUlSY_E1_NS1_11comp_targetILNS1_3genE3ELNS1_11target_archE908ELNS1_3gpuE7ELNS1_3repE0EEENS1_36merge_oddeven_config_static_selectorELNS0_4arch9wavefront6targetE0EEEvSK_
; %bb.0:
	.section	.rodata,"a",@progbits
	.p2align	6, 0x0
	.amdhsa_kernel _ZN7rocprim17ROCPRIM_400000_NS6detail17trampoline_kernelINS0_14default_configENS1_38merge_sort_block_merge_config_selectorIxNS0_10empty_typeEEEZZNS1_27merge_sort_block_merge_implIS3_N6thrust23THRUST_200600_302600_NS6detail15normal_iteratorINS9_10device_ptrIxEEEEPS5_m11less_div_10IxEEE10hipError_tT0_T1_T2_jT3_P12ihipStream_tbPNSt15iterator_traitsISJ_E10value_typeEPNSP_ISK_E10value_typeEPSL_NS1_7vsmem_tEENKUlT_SJ_SK_SL_E_clIPxSE_SF_SF_EESI_SY_SJ_SK_SL_EUlSY_E1_NS1_11comp_targetILNS1_3genE3ELNS1_11target_archE908ELNS1_3gpuE7ELNS1_3repE0EEENS1_36merge_oddeven_config_static_selectorELNS0_4arch9wavefront6targetE0EEEvSK_
		.amdhsa_group_segment_fixed_size 0
		.amdhsa_private_segment_fixed_size 0
		.amdhsa_kernarg_size 56
		.amdhsa_user_sgpr_count 6
		.amdhsa_user_sgpr_private_segment_buffer 1
		.amdhsa_user_sgpr_dispatch_ptr 0
		.amdhsa_user_sgpr_queue_ptr 0
		.amdhsa_user_sgpr_kernarg_segment_ptr 1
		.amdhsa_user_sgpr_dispatch_id 0
		.amdhsa_user_sgpr_flat_scratch_init 0
		.amdhsa_user_sgpr_private_segment_size 0
		.amdhsa_wavefront_size32 1
		.amdhsa_uses_dynamic_stack 0
		.amdhsa_system_sgpr_private_segment_wavefront_offset 0
		.amdhsa_system_sgpr_workgroup_id_x 1
		.amdhsa_system_sgpr_workgroup_id_y 0
		.amdhsa_system_sgpr_workgroup_id_z 0
		.amdhsa_system_sgpr_workgroup_info 0
		.amdhsa_system_vgpr_workitem_id 0
		.amdhsa_next_free_vgpr 1
		.amdhsa_next_free_sgpr 1
		.amdhsa_reserve_vcc 0
		.amdhsa_reserve_flat_scratch 0
		.amdhsa_float_round_mode_32 0
		.amdhsa_float_round_mode_16_64 0
		.amdhsa_float_denorm_mode_32 3
		.amdhsa_float_denorm_mode_16_64 3
		.amdhsa_dx10_clamp 1
		.amdhsa_ieee_mode 1
		.amdhsa_fp16_overflow 0
		.amdhsa_workgroup_processor_mode 1
		.amdhsa_memory_ordered 1
		.amdhsa_forward_progress 1
		.amdhsa_shared_vgpr_count 0
		.amdhsa_exception_fp_ieee_invalid_op 0
		.amdhsa_exception_fp_denorm_src 0
		.amdhsa_exception_fp_ieee_div_zero 0
		.amdhsa_exception_fp_ieee_overflow 0
		.amdhsa_exception_fp_ieee_underflow 0
		.amdhsa_exception_fp_ieee_inexact 0
		.amdhsa_exception_int_div_zero 0
	.end_amdhsa_kernel
	.section	.text._ZN7rocprim17ROCPRIM_400000_NS6detail17trampoline_kernelINS0_14default_configENS1_38merge_sort_block_merge_config_selectorIxNS0_10empty_typeEEEZZNS1_27merge_sort_block_merge_implIS3_N6thrust23THRUST_200600_302600_NS6detail15normal_iteratorINS9_10device_ptrIxEEEEPS5_m11less_div_10IxEEE10hipError_tT0_T1_T2_jT3_P12ihipStream_tbPNSt15iterator_traitsISJ_E10value_typeEPNSP_ISK_E10value_typeEPSL_NS1_7vsmem_tEENKUlT_SJ_SK_SL_E_clIPxSE_SF_SF_EESI_SY_SJ_SK_SL_EUlSY_E1_NS1_11comp_targetILNS1_3genE3ELNS1_11target_archE908ELNS1_3gpuE7ELNS1_3repE0EEENS1_36merge_oddeven_config_static_selectorELNS0_4arch9wavefront6targetE0EEEvSK_,"axG",@progbits,_ZN7rocprim17ROCPRIM_400000_NS6detail17trampoline_kernelINS0_14default_configENS1_38merge_sort_block_merge_config_selectorIxNS0_10empty_typeEEEZZNS1_27merge_sort_block_merge_implIS3_N6thrust23THRUST_200600_302600_NS6detail15normal_iteratorINS9_10device_ptrIxEEEEPS5_m11less_div_10IxEEE10hipError_tT0_T1_T2_jT3_P12ihipStream_tbPNSt15iterator_traitsISJ_E10value_typeEPNSP_ISK_E10value_typeEPSL_NS1_7vsmem_tEENKUlT_SJ_SK_SL_E_clIPxSE_SF_SF_EESI_SY_SJ_SK_SL_EUlSY_E1_NS1_11comp_targetILNS1_3genE3ELNS1_11target_archE908ELNS1_3gpuE7ELNS1_3repE0EEENS1_36merge_oddeven_config_static_selectorELNS0_4arch9wavefront6targetE0EEEvSK_,comdat
.Lfunc_end356:
	.size	_ZN7rocprim17ROCPRIM_400000_NS6detail17trampoline_kernelINS0_14default_configENS1_38merge_sort_block_merge_config_selectorIxNS0_10empty_typeEEEZZNS1_27merge_sort_block_merge_implIS3_N6thrust23THRUST_200600_302600_NS6detail15normal_iteratorINS9_10device_ptrIxEEEEPS5_m11less_div_10IxEEE10hipError_tT0_T1_T2_jT3_P12ihipStream_tbPNSt15iterator_traitsISJ_E10value_typeEPNSP_ISK_E10value_typeEPSL_NS1_7vsmem_tEENKUlT_SJ_SK_SL_E_clIPxSE_SF_SF_EESI_SY_SJ_SK_SL_EUlSY_E1_NS1_11comp_targetILNS1_3genE3ELNS1_11target_archE908ELNS1_3gpuE7ELNS1_3repE0EEENS1_36merge_oddeven_config_static_selectorELNS0_4arch9wavefront6targetE0EEEvSK_, .Lfunc_end356-_ZN7rocprim17ROCPRIM_400000_NS6detail17trampoline_kernelINS0_14default_configENS1_38merge_sort_block_merge_config_selectorIxNS0_10empty_typeEEEZZNS1_27merge_sort_block_merge_implIS3_N6thrust23THRUST_200600_302600_NS6detail15normal_iteratorINS9_10device_ptrIxEEEEPS5_m11less_div_10IxEEE10hipError_tT0_T1_T2_jT3_P12ihipStream_tbPNSt15iterator_traitsISJ_E10value_typeEPNSP_ISK_E10value_typeEPSL_NS1_7vsmem_tEENKUlT_SJ_SK_SL_E_clIPxSE_SF_SF_EESI_SY_SJ_SK_SL_EUlSY_E1_NS1_11comp_targetILNS1_3genE3ELNS1_11target_archE908ELNS1_3gpuE7ELNS1_3repE0EEENS1_36merge_oddeven_config_static_selectorELNS0_4arch9wavefront6targetE0EEEvSK_
                                        ; -- End function
	.set _ZN7rocprim17ROCPRIM_400000_NS6detail17trampoline_kernelINS0_14default_configENS1_38merge_sort_block_merge_config_selectorIxNS0_10empty_typeEEEZZNS1_27merge_sort_block_merge_implIS3_N6thrust23THRUST_200600_302600_NS6detail15normal_iteratorINS9_10device_ptrIxEEEEPS5_m11less_div_10IxEEE10hipError_tT0_T1_T2_jT3_P12ihipStream_tbPNSt15iterator_traitsISJ_E10value_typeEPNSP_ISK_E10value_typeEPSL_NS1_7vsmem_tEENKUlT_SJ_SK_SL_E_clIPxSE_SF_SF_EESI_SY_SJ_SK_SL_EUlSY_E1_NS1_11comp_targetILNS1_3genE3ELNS1_11target_archE908ELNS1_3gpuE7ELNS1_3repE0EEENS1_36merge_oddeven_config_static_selectorELNS0_4arch9wavefront6targetE0EEEvSK_.num_vgpr, 0
	.set _ZN7rocprim17ROCPRIM_400000_NS6detail17trampoline_kernelINS0_14default_configENS1_38merge_sort_block_merge_config_selectorIxNS0_10empty_typeEEEZZNS1_27merge_sort_block_merge_implIS3_N6thrust23THRUST_200600_302600_NS6detail15normal_iteratorINS9_10device_ptrIxEEEEPS5_m11less_div_10IxEEE10hipError_tT0_T1_T2_jT3_P12ihipStream_tbPNSt15iterator_traitsISJ_E10value_typeEPNSP_ISK_E10value_typeEPSL_NS1_7vsmem_tEENKUlT_SJ_SK_SL_E_clIPxSE_SF_SF_EESI_SY_SJ_SK_SL_EUlSY_E1_NS1_11comp_targetILNS1_3genE3ELNS1_11target_archE908ELNS1_3gpuE7ELNS1_3repE0EEENS1_36merge_oddeven_config_static_selectorELNS0_4arch9wavefront6targetE0EEEvSK_.num_agpr, 0
	.set _ZN7rocprim17ROCPRIM_400000_NS6detail17trampoline_kernelINS0_14default_configENS1_38merge_sort_block_merge_config_selectorIxNS0_10empty_typeEEEZZNS1_27merge_sort_block_merge_implIS3_N6thrust23THRUST_200600_302600_NS6detail15normal_iteratorINS9_10device_ptrIxEEEEPS5_m11less_div_10IxEEE10hipError_tT0_T1_T2_jT3_P12ihipStream_tbPNSt15iterator_traitsISJ_E10value_typeEPNSP_ISK_E10value_typeEPSL_NS1_7vsmem_tEENKUlT_SJ_SK_SL_E_clIPxSE_SF_SF_EESI_SY_SJ_SK_SL_EUlSY_E1_NS1_11comp_targetILNS1_3genE3ELNS1_11target_archE908ELNS1_3gpuE7ELNS1_3repE0EEENS1_36merge_oddeven_config_static_selectorELNS0_4arch9wavefront6targetE0EEEvSK_.numbered_sgpr, 0
	.set _ZN7rocprim17ROCPRIM_400000_NS6detail17trampoline_kernelINS0_14default_configENS1_38merge_sort_block_merge_config_selectorIxNS0_10empty_typeEEEZZNS1_27merge_sort_block_merge_implIS3_N6thrust23THRUST_200600_302600_NS6detail15normal_iteratorINS9_10device_ptrIxEEEEPS5_m11less_div_10IxEEE10hipError_tT0_T1_T2_jT3_P12ihipStream_tbPNSt15iterator_traitsISJ_E10value_typeEPNSP_ISK_E10value_typeEPSL_NS1_7vsmem_tEENKUlT_SJ_SK_SL_E_clIPxSE_SF_SF_EESI_SY_SJ_SK_SL_EUlSY_E1_NS1_11comp_targetILNS1_3genE3ELNS1_11target_archE908ELNS1_3gpuE7ELNS1_3repE0EEENS1_36merge_oddeven_config_static_selectorELNS0_4arch9wavefront6targetE0EEEvSK_.num_named_barrier, 0
	.set _ZN7rocprim17ROCPRIM_400000_NS6detail17trampoline_kernelINS0_14default_configENS1_38merge_sort_block_merge_config_selectorIxNS0_10empty_typeEEEZZNS1_27merge_sort_block_merge_implIS3_N6thrust23THRUST_200600_302600_NS6detail15normal_iteratorINS9_10device_ptrIxEEEEPS5_m11less_div_10IxEEE10hipError_tT0_T1_T2_jT3_P12ihipStream_tbPNSt15iterator_traitsISJ_E10value_typeEPNSP_ISK_E10value_typeEPSL_NS1_7vsmem_tEENKUlT_SJ_SK_SL_E_clIPxSE_SF_SF_EESI_SY_SJ_SK_SL_EUlSY_E1_NS1_11comp_targetILNS1_3genE3ELNS1_11target_archE908ELNS1_3gpuE7ELNS1_3repE0EEENS1_36merge_oddeven_config_static_selectorELNS0_4arch9wavefront6targetE0EEEvSK_.private_seg_size, 0
	.set _ZN7rocprim17ROCPRIM_400000_NS6detail17trampoline_kernelINS0_14default_configENS1_38merge_sort_block_merge_config_selectorIxNS0_10empty_typeEEEZZNS1_27merge_sort_block_merge_implIS3_N6thrust23THRUST_200600_302600_NS6detail15normal_iteratorINS9_10device_ptrIxEEEEPS5_m11less_div_10IxEEE10hipError_tT0_T1_T2_jT3_P12ihipStream_tbPNSt15iterator_traitsISJ_E10value_typeEPNSP_ISK_E10value_typeEPSL_NS1_7vsmem_tEENKUlT_SJ_SK_SL_E_clIPxSE_SF_SF_EESI_SY_SJ_SK_SL_EUlSY_E1_NS1_11comp_targetILNS1_3genE3ELNS1_11target_archE908ELNS1_3gpuE7ELNS1_3repE0EEENS1_36merge_oddeven_config_static_selectorELNS0_4arch9wavefront6targetE0EEEvSK_.uses_vcc, 0
	.set _ZN7rocprim17ROCPRIM_400000_NS6detail17trampoline_kernelINS0_14default_configENS1_38merge_sort_block_merge_config_selectorIxNS0_10empty_typeEEEZZNS1_27merge_sort_block_merge_implIS3_N6thrust23THRUST_200600_302600_NS6detail15normal_iteratorINS9_10device_ptrIxEEEEPS5_m11less_div_10IxEEE10hipError_tT0_T1_T2_jT3_P12ihipStream_tbPNSt15iterator_traitsISJ_E10value_typeEPNSP_ISK_E10value_typeEPSL_NS1_7vsmem_tEENKUlT_SJ_SK_SL_E_clIPxSE_SF_SF_EESI_SY_SJ_SK_SL_EUlSY_E1_NS1_11comp_targetILNS1_3genE3ELNS1_11target_archE908ELNS1_3gpuE7ELNS1_3repE0EEENS1_36merge_oddeven_config_static_selectorELNS0_4arch9wavefront6targetE0EEEvSK_.uses_flat_scratch, 0
	.set _ZN7rocprim17ROCPRIM_400000_NS6detail17trampoline_kernelINS0_14default_configENS1_38merge_sort_block_merge_config_selectorIxNS0_10empty_typeEEEZZNS1_27merge_sort_block_merge_implIS3_N6thrust23THRUST_200600_302600_NS6detail15normal_iteratorINS9_10device_ptrIxEEEEPS5_m11less_div_10IxEEE10hipError_tT0_T1_T2_jT3_P12ihipStream_tbPNSt15iterator_traitsISJ_E10value_typeEPNSP_ISK_E10value_typeEPSL_NS1_7vsmem_tEENKUlT_SJ_SK_SL_E_clIPxSE_SF_SF_EESI_SY_SJ_SK_SL_EUlSY_E1_NS1_11comp_targetILNS1_3genE3ELNS1_11target_archE908ELNS1_3gpuE7ELNS1_3repE0EEENS1_36merge_oddeven_config_static_selectorELNS0_4arch9wavefront6targetE0EEEvSK_.has_dyn_sized_stack, 0
	.set _ZN7rocprim17ROCPRIM_400000_NS6detail17trampoline_kernelINS0_14default_configENS1_38merge_sort_block_merge_config_selectorIxNS0_10empty_typeEEEZZNS1_27merge_sort_block_merge_implIS3_N6thrust23THRUST_200600_302600_NS6detail15normal_iteratorINS9_10device_ptrIxEEEEPS5_m11less_div_10IxEEE10hipError_tT0_T1_T2_jT3_P12ihipStream_tbPNSt15iterator_traitsISJ_E10value_typeEPNSP_ISK_E10value_typeEPSL_NS1_7vsmem_tEENKUlT_SJ_SK_SL_E_clIPxSE_SF_SF_EESI_SY_SJ_SK_SL_EUlSY_E1_NS1_11comp_targetILNS1_3genE3ELNS1_11target_archE908ELNS1_3gpuE7ELNS1_3repE0EEENS1_36merge_oddeven_config_static_selectorELNS0_4arch9wavefront6targetE0EEEvSK_.has_recursion, 0
	.set _ZN7rocprim17ROCPRIM_400000_NS6detail17trampoline_kernelINS0_14default_configENS1_38merge_sort_block_merge_config_selectorIxNS0_10empty_typeEEEZZNS1_27merge_sort_block_merge_implIS3_N6thrust23THRUST_200600_302600_NS6detail15normal_iteratorINS9_10device_ptrIxEEEEPS5_m11less_div_10IxEEE10hipError_tT0_T1_T2_jT3_P12ihipStream_tbPNSt15iterator_traitsISJ_E10value_typeEPNSP_ISK_E10value_typeEPSL_NS1_7vsmem_tEENKUlT_SJ_SK_SL_E_clIPxSE_SF_SF_EESI_SY_SJ_SK_SL_EUlSY_E1_NS1_11comp_targetILNS1_3genE3ELNS1_11target_archE908ELNS1_3gpuE7ELNS1_3repE0EEENS1_36merge_oddeven_config_static_selectorELNS0_4arch9wavefront6targetE0EEEvSK_.has_indirect_call, 0
	.section	.AMDGPU.csdata,"",@progbits
; Kernel info:
; codeLenInByte = 0
; TotalNumSgprs: 0
; NumVgprs: 0
; ScratchSize: 0
; MemoryBound: 0
; FloatMode: 240
; IeeeMode: 1
; LDSByteSize: 0 bytes/workgroup (compile time only)
; SGPRBlocks: 0
; VGPRBlocks: 0
; NumSGPRsForWavesPerEU: 1
; NumVGPRsForWavesPerEU: 1
; Occupancy: 16
; WaveLimiterHint : 0
; COMPUTE_PGM_RSRC2:SCRATCH_EN: 0
; COMPUTE_PGM_RSRC2:USER_SGPR: 6
; COMPUTE_PGM_RSRC2:TRAP_HANDLER: 0
; COMPUTE_PGM_RSRC2:TGID_X_EN: 1
; COMPUTE_PGM_RSRC2:TGID_Y_EN: 0
; COMPUTE_PGM_RSRC2:TGID_Z_EN: 0
; COMPUTE_PGM_RSRC2:TIDIG_COMP_CNT: 0
	.section	.text._ZN7rocprim17ROCPRIM_400000_NS6detail17trampoline_kernelINS0_14default_configENS1_38merge_sort_block_merge_config_selectorIxNS0_10empty_typeEEEZZNS1_27merge_sort_block_merge_implIS3_N6thrust23THRUST_200600_302600_NS6detail15normal_iteratorINS9_10device_ptrIxEEEEPS5_m11less_div_10IxEEE10hipError_tT0_T1_T2_jT3_P12ihipStream_tbPNSt15iterator_traitsISJ_E10value_typeEPNSP_ISK_E10value_typeEPSL_NS1_7vsmem_tEENKUlT_SJ_SK_SL_E_clIPxSE_SF_SF_EESI_SY_SJ_SK_SL_EUlSY_E1_NS1_11comp_targetILNS1_3genE2ELNS1_11target_archE906ELNS1_3gpuE6ELNS1_3repE0EEENS1_36merge_oddeven_config_static_selectorELNS0_4arch9wavefront6targetE0EEEvSK_,"axG",@progbits,_ZN7rocprim17ROCPRIM_400000_NS6detail17trampoline_kernelINS0_14default_configENS1_38merge_sort_block_merge_config_selectorIxNS0_10empty_typeEEEZZNS1_27merge_sort_block_merge_implIS3_N6thrust23THRUST_200600_302600_NS6detail15normal_iteratorINS9_10device_ptrIxEEEEPS5_m11less_div_10IxEEE10hipError_tT0_T1_T2_jT3_P12ihipStream_tbPNSt15iterator_traitsISJ_E10value_typeEPNSP_ISK_E10value_typeEPSL_NS1_7vsmem_tEENKUlT_SJ_SK_SL_E_clIPxSE_SF_SF_EESI_SY_SJ_SK_SL_EUlSY_E1_NS1_11comp_targetILNS1_3genE2ELNS1_11target_archE906ELNS1_3gpuE6ELNS1_3repE0EEENS1_36merge_oddeven_config_static_selectorELNS0_4arch9wavefront6targetE0EEEvSK_,comdat
	.protected	_ZN7rocprim17ROCPRIM_400000_NS6detail17trampoline_kernelINS0_14default_configENS1_38merge_sort_block_merge_config_selectorIxNS0_10empty_typeEEEZZNS1_27merge_sort_block_merge_implIS3_N6thrust23THRUST_200600_302600_NS6detail15normal_iteratorINS9_10device_ptrIxEEEEPS5_m11less_div_10IxEEE10hipError_tT0_T1_T2_jT3_P12ihipStream_tbPNSt15iterator_traitsISJ_E10value_typeEPNSP_ISK_E10value_typeEPSL_NS1_7vsmem_tEENKUlT_SJ_SK_SL_E_clIPxSE_SF_SF_EESI_SY_SJ_SK_SL_EUlSY_E1_NS1_11comp_targetILNS1_3genE2ELNS1_11target_archE906ELNS1_3gpuE6ELNS1_3repE0EEENS1_36merge_oddeven_config_static_selectorELNS0_4arch9wavefront6targetE0EEEvSK_ ; -- Begin function _ZN7rocprim17ROCPRIM_400000_NS6detail17trampoline_kernelINS0_14default_configENS1_38merge_sort_block_merge_config_selectorIxNS0_10empty_typeEEEZZNS1_27merge_sort_block_merge_implIS3_N6thrust23THRUST_200600_302600_NS6detail15normal_iteratorINS9_10device_ptrIxEEEEPS5_m11less_div_10IxEEE10hipError_tT0_T1_T2_jT3_P12ihipStream_tbPNSt15iterator_traitsISJ_E10value_typeEPNSP_ISK_E10value_typeEPSL_NS1_7vsmem_tEENKUlT_SJ_SK_SL_E_clIPxSE_SF_SF_EESI_SY_SJ_SK_SL_EUlSY_E1_NS1_11comp_targetILNS1_3genE2ELNS1_11target_archE906ELNS1_3gpuE6ELNS1_3repE0EEENS1_36merge_oddeven_config_static_selectorELNS0_4arch9wavefront6targetE0EEEvSK_
	.globl	_ZN7rocprim17ROCPRIM_400000_NS6detail17trampoline_kernelINS0_14default_configENS1_38merge_sort_block_merge_config_selectorIxNS0_10empty_typeEEEZZNS1_27merge_sort_block_merge_implIS3_N6thrust23THRUST_200600_302600_NS6detail15normal_iteratorINS9_10device_ptrIxEEEEPS5_m11less_div_10IxEEE10hipError_tT0_T1_T2_jT3_P12ihipStream_tbPNSt15iterator_traitsISJ_E10value_typeEPNSP_ISK_E10value_typeEPSL_NS1_7vsmem_tEENKUlT_SJ_SK_SL_E_clIPxSE_SF_SF_EESI_SY_SJ_SK_SL_EUlSY_E1_NS1_11comp_targetILNS1_3genE2ELNS1_11target_archE906ELNS1_3gpuE6ELNS1_3repE0EEENS1_36merge_oddeven_config_static_selectorELNS0_4arch9wavefront6targetE0EEEvSK_
	.p2align	8
	.type	_ZN7rocprim17ROCPRIM_400000_NS6detail17trampoline_kernelINS0_14default_configENS1_38merge_sort_block_merge_config_selectorIxNS0_10empty_typeEEEZZNS1_27merge_sort_block_merge_implIS3_N6thrust23THRUST_200600_302600_NS6detail15normal_iteratorINS9_10device_ptrIxEEEEPS5_m11less_div_10IxEEE10hipError_tT0_T1_T2_jT3_P12ihipStream_tbPNSt15iterator_traitsISJ_E10value_typeEPNSP_ISK_E10value_typeEPSL_NS1_7vsmem_tEENKUlT_SJ_SK_SL_E_clIPxSE_SF_SF_EESI_SY_SJ_SK_SL_EUlSY_E1_NS1_11comp_targetILNS1_3genE2ELNS1_11target_archE906ELNS1_3gpuE6ELNS1_3repE0EEENS1_36merge_oddeven_config_static_selectorELNS0_4arch9wavefront6targetE0EEEvSK_,@function
_ZN7rocprim17ROCPRIM_400000_NS6detail17trampoline_kernelINS0_14default_configENS1_38merge_sort_block_merge_config_selectorIxNS0_10empty_typeEEEZZNS1_27merge_sort_block_merge_implIS3_N6thrust23THRUST_200600_302600_NS6detail15normal_iteratorINS9_10device_ptrIxEEEEPS5_m11less_div_10IxEEE10hipError_tT0_T1_T2_jT3_P12ihipStream_tbPNSt15iterator_traitsISJ_E10value_typeEPNSP_ISK_E10value_typeEPSL_NS1_7vsmem_tEENKUlT_SJ_SK_SL_E_clIPxSE_SF_SF_EESI_SY_SJ_SK_SL_EUlSY_E1_NS1_11comp_targetILNS1_3genE2ELNS1_11target_archE906ELNS1_3gpuE6ELNS1_3repE0EEENS1_36merge_oddeven_config_static_selectorELNS0_4arch9wavefront6targetE0EEEvSK_: ; @_ZN7rocprim17ROCPRIM_400000_NS6detail17trampoline_kernelINS0_14default_configENS1_38merge_sort_block_merge_config_selectorIxNS0_10empty_typeEEEZZNS1_27merge_sort_block_merge_implIS3_N6thrust23THRUST_200600_302600_NS6detail15normal_iteratorINS9_10device_ptrIxEEEEPS5_m11less_div_10IxEEE10hipError_tT0_T1_T2_jT3_P12ihipStream_tbPNSt15iterator_traitsISJ_E10value_typeEPNSP_ISK_E10value_typeEPSL_NS1_7vsmem_tEENKUlT_SJ_SK_SL_E_clIPxSE_SF_SF_EESI_SY_SJ_SK_SL_EUlSY_E1_NS1_11comp_targetILNS1_3genE2ELNS1_11target_archE906ELNS1_3gpuE6ELNS1_3repE0EEENS1_36merge_oddeven_config_static_selectorELNS0_4arch9wavefront6targetE0EEEvSK_
; %bb.0:
	.section	.rodata,"a",@progbits
	.p2align	6, 0x0
	.amdhsa_kernel _ZN7rocprim17ROCPRIM_400000_NS6detail17trampoline_kernelINS0_14default_configENS1_38merge_sort_block_merge_config_selectorIxNS0_10empty_typeEEEZZNS1_27merge_sort_block_merge_implIS3_N6thrust23THRUST_200600_302600_NS6detail15normal_iteratorINS9_10device_ptrIxEEEEPS5_m11less_div_10IxEEE10hipError_tT0_T1_T2_jT3_P12ihipStream_tbPNSt15iterator_traitsISJ_E10value_typeEPNSP_ISK_E10value_typeEPSL_NS1_7vsmem_tEENKUlT_SJ_SK_SL_E_clIPxSE_SF_SF_EESI_SY_SJ_SK_SL_EUlSY_E1_NS1_11comp_targetILNS1_3genE2ELNS1_11target_archE906ELNS1_3gpuE6ELNS1_3repE0EEENS1_36merge_oddeven_config_static_selectorELNS0_4arch9wavefront6targetE0EEEvSK_
		.amdhsa_group_segment_fixed_size 0
		.amdhsa_private_segment_fixed_size 0
		.amdhsa_kernarg_size 56
		.amdhsa_user_sgpr_count 6
		.amdhsa_user_sgpr_private_segment_buffer 1
		.amdhsa_user_sgpr_dispatch_ptr 0
		.amdhsa_user_sgpr_queue_ptr 0
		.amdhsa_user_sgpr_kernarg_segment_ptr 1
		.amdhsa_user_sgpr_dispatch_id 0
		.amdhsa_user_sgpr_flat_scratch_init 0
		.amdhsa_user_sgpr_private_segment_size 0
		.amdhsa_wavefront_size32 1
		.amdhsa_uses_dynamic_stack 0
		.amdhsa_system_sgpr_private_segment_wavefront_offset 0
		.amdhsa_system_sgpr_workgroup_id_x 1
		.amdhsa_system_sgpr_workgroup_id_y 0
		.amdhsa_system_sgpr_workgroup_id_z 0
		.amdhsa_system_sgpr_workgroup_info 0
		.amdhsa_system_vgpr_workitem_id 0
		.amdhsa_next_free_vgpr 1
		.amdhsa_next_free_sgpr 1
		.amdhsa_reserve_vcc 0
		.amdhsa_reserve_flat_scratch 0
		.amdhsa_float_round_mode_32 0
		.amdhsa_float_round_mode_16_64 0
		.amdhsa_float_denorm_mode_32 3
		.amdhsa_float_denorm_mode_16_64 3
		.amdhsa_dx10_clamp 1
		.amdhsa_ieee_mode 1
		.amdhsa_fp16_overflow 0
		.amdhsa_workgroup_processor_mode 1
		.amdhsa_memory_ordered 1
		.amdhsa_forward_progress 1
		.amdhsa_shared_vgpr_count 0
		.amdhsa_exception_fp_ieee_invalid_op 0
		.amdhsa_exception_fp_denorm_src 0
		.amdhsa_exception_fp_ieee_div_zero 0
		.amdhsa_exception_fp_ieee_overflow 0
		.amdhsa_exception_fp_ieee_underflow 0
		.amdhsa_exception_fp_ieee_inexact 0
		.amdhsa_exception_int_div_zero 0
	.end_amdhsa_kernel
	.section	.text._ZN7rocprim17ROCPRIM_400000_NS6detail17trampoline_kernelINS0_14default_configENS1_38merge_sort_block_merge_config_selectorIxNS0_10empty_typeEEEZZNS1_27merge_sort_block_merge_implIS3_N6thrust23THRUST_200600_302600_NS6detail15normal_iteratorINS9_10device_ptrIxEEEEPS5_m11less_div_10IxEEE10hipError_tT0_T1_T2_jT3_P12ihipStream_tbPNSt15iterator_traitsISJ_E10value_typeEPNSP_ISK_E10value_typeEPSL_NS1_7vsmem_tEENKUlT_SJ_SK_SL_E_clIPxSE_SF_SF_EESI_SY_SJ_SK_SL_EUlSY_E1_NS1_11comp_targetILNS1_3genE2ELNS1_11target_archE906ELNS1_3gpuE6ELNS1_3repE0EEENS1_36merge_oddeven_config_static_selectorELNS0_4arch9wavefront6targetE0EEEvSK_,"axG",@progbits,_ZN7rocprim17ROCPRIM_400000_NS6detail17trampoline_kernelINS0_14default_configENS1_38merge_sort_block_merge_config_selectorIxNS0_10empty_typeEEEZZNS1_27merge_sort_block_merge_implIS3_N6thrust23THRUST_200600_302600_NS6detail15normal_iteratorINS9_10device_ptrIxEEEEPS5_m11less_div_10IxEEE10hipError_tT0_T1_T2_jT3_P12ihipStream_tbPNSt15iterator_traitsISJ_E10value_typeEPNSP_ISK_E10value_typeEPSL_NS1_7vsmem_tEENKUlT_SJ_SK_SL_E_clIPxSE_SF_SF_EESI_SY_SJ_SK_SL_EUlSY_E1_NS1_11comp_targetILNS1_3genE2ELNS1_11target_archE906ELNS1_3gpuE6ELNS1_3repE0EEENS1_36merge_oddeven_config_static_selectorELNS0_4arch9wavefront6targetE0EEEvSK_,comdat
.Lfunc_end357:
	.size	_ZN7rocprim17ROCPRIM_400000_NS6detail17trampoline_kernelINS0_14default_configENS1_38merge_sort_block_merge_config_selectorIxNS0_10empty_typeEEEZZNS1_27merge_sort_block_merge_implIS3_N6thrust23THRUST_200600_302600_NS6detail15normal_iteratorINS9_10device_ptrIxEEEEPS5_m11less_div_10IxEEE10hipError_tT0_T1_T2_jT3_P12ihipStream_tbPNSt15iterator_traitsISJ_E10value_typeEPNSP_ISK_E10value_typeEPSL_NS1_7vsmem_tEENKUlT_SJ_SK_SL_E_clIPxSE_SF_SF_EESI_SY_SJ_SK_SL_EUlSY_E1_NS1_11comp_targetILNS1_3genE2ELNS1_11target_archE906ELNS1_3gpuE6ELNS1_3repE0EEENS1_36merge_oddeven_config_static_selectorELNS0_4arch9wavefront6targetE0EEEvSK_, .Lfunc_end357-_ZN7rocprim17ROCPRIM_400000_NS6detail17trampoline_kernelINS0_14default_configENS1_38merge_sort_block_merge_config_selectorIxNS0_10empty_typeEEEZZNS1_27merge_sort_block_merge_implIS3_N6thrust23THRUST_200600_302600_NS6detail15normal_iteratorINS9_10device_ptrIxEEEEPS5_m11less_div_10IxEEE10hipError_tT0_T1_T2_jT3_P12ihipStream_tbPNSt15iterator_traitsISJ_E10value_typeEPNSP_ISK_E10value_typeEPSL_NS1_7vsmem_tEENKUlT_SJ_SK_SL_E_clIPxSE_SF_SF_EESI_SY_SJ_SK_SL_EUlSY_E1_NS1_11comp_targetILNS1_3genE2ELNS1_11target_archE906ELNS1_3gpuE6ELNS1_3repE0EEENS1_36merge_oddeven_config_static_selectorELNS0_4arch9wavefront6targetE0EEEvSK_
                                        ; -- End function
	.set _ZN7rocprim17ROCPRIM_400000_NS6detail17trampoline_kernelINS0_14default_configENS1_38merge_sort_block_merge_config_selectorIxNS0_10empty_typeEEEZZNS1_27merge_sort_block_merge_implIS3_N6thrust23THRUST_200600_302600_NS6detail15normal_iteratorINS9_10device_ptrIxEEEEPS5_m11less_div_10IxEEE10hipError_tT0_T1_T2_jT3_P12ihipStream_tbPNSt15iterator_traitsISJ_E10value_typeEPNSP_ISK_E10value_typeEPSL_NS1_7vsmem_tEENKUlT_SJ_SK_SL_E_clIPxSE_SF_SF_EESI_SY_SJ_SK_SL_EUlSY_E1_NS1_11comp_targetILNS1_3genE2ELNS1_11target_archE906ELNS1_3gpuE6ELNS1_3repE0EEENS1_36merge_oddeven_config_static_selectorELNS0_4arch9wavefront6targetE0EEEvSK_.num_vgpr, 0
	.set _ZN7rocprim17ROCPRIM_400000_NS6detail17trampoline_kernelINS0_14default_configENS1_38merge_sort_block_merge_config_selectorIxNS0_10empty_typeEEEZZNS1_27merge_sort_block_merge_implIS3_N6thrust23THRUST_200600_302600_NS6detail15normal_iteratorINS9_10device_ptrIxEEEEPS5_m11less_div_10IxEEE10hipError_tT0_T1_T2_jT3_P12ihipStream_tbPNSt15iterator_traitsISJ_E10value_typeEPNSP_ISK_E10value_typeEPSL_NS1_7vsmem_tEENKUlT_SJ_SK_SL_E_clIPxSE_SF_SF_EESI_SY_SJ_SK_SL_EUlSY_E1_NS1_11comp_targetILNS1_3genE2ELNS1_11target_archE906ELNS1_3gpuE6ELNS1_3repE0EEENS1_36merge_oddeven_config_static_selectorELNS0_4arch9wavefront6targetE0EEEvSK_.num_agpr, 0
	.set _ZN7rocprim17ROCPRIM_400000_NS6detail17trampoline_kernelINS0_14default_configENS1_38merge_sort_block_merge_config_selectorIxNS0_10empty_typeEEEZZNS1_27merge_sort_block_merge_implIS3_N6thrust23THRUST_200600_302600_NS6detail15normal_iteratorINS9_10device_ptrIxEEEEPS5_m11less_div_10IxEEE10hipError_tT0_T1_T2_jT3_P12ihipStream_tbPNSt15iterator_traitsISJ_E10value_typeEPNSP_ISK_E10value_typeEPSL_NS1_7vsmem_tEENKUlT_SJ_SK_SL_E_clIPxSE_SF_SF_EESI_SY_SJ_SK_SL_EUlSY_E1_NS1_11comp_targetILNS1_3genE2ELNS1_11target_archE906ELNS1_3gpuE6ELNS1_3repE0EEENS1_36merge_oddeven_config_static_selectorELNS0_4arch9wavefront6targetE0EEEvSK_.numbered_sgpr, 0
	.set _ZN7rocprim17ROCPRIM_400000_NS6detail17trampoline_kernelINS0_14default_configENS1_38merge_sort_block_merge_config_selectorIxNS0_10empty_typeEEEZZNS1_27merge_sort_block_merge_implIS3_N6thrust23THRUST_200600_302600_NS6detail15normal_iteratorINS9_10device_ptrIxEEEEPS5_m11less_div_10IxEEE10hipError_tT0_T1_T2_jT3_P12ihipStream_tbPNSt15iterator_traitsISJ_E10value_typeEPNSP_ISK_E10value_typeEPSL_NS1_7vsmem_tEENKUlT_SJ_SK_SL_E_clIPxSE_SF_SF_EESI_SY_SJ_SK_SL_EUlSY_E1_NS1_11comp_targetILNS1_3genE2ELNS1_11target_archE906ELNS1_3gpuE6ELNS1_3repE0EEENS1_36merge_oddeven_config_static_selectorELNS0_4arch9wavefront6targetE0EEEvSK_.num_named_barrier, 0
	.set _ZN7rocprim17ROCPRIM_400000_NS6detail17trampoline_kernelINS0_14default_configENS1_38merge_sort_block_merge_config_selectorIxNS0_10empty_typeEEEZZNS1_27merge_sort_block_merge_implIS3_N6thrust23THRUST_200600_302600_NS6detail15normal_iteratorINS9_10device_ptrIxEEEEPS5_m11less_div_10IxEEE10hipError_tT0_T1_T2_jT3_P12ihipStream_tbPNSt15iterator_traitsISJ_E10value_typeEPNSP_ISK_E10value_typeEPSL_NS1_7vsmem_tEENKUlT_SJ_SK_SL_E_clIPxSE_SF_SF_EESI_SY_SJ_SK_SL_EUlSY_E1_NS1_11comp_targetILNS1_3genE2ELNS1_11target_archE906ELNS1_3gpuE6ELNS1_3repE0EEENS1_36merge_oddeven_config_static_selectorELNS0_4arch9wavefront6targetE0EEEvSK_.private_seg_size, 0
	.set _ZN7rocprim17ROCPRIM_400000_NS6detail17trampoline_kernelINS0_14default_configENS1_38merge_sort_block_merge_config_selectorIxNS0_10empty_typeEEEZZNS1_27merge_sort_block_merge_implIS3_N6thrust23THRUST_200600_302600_NS6detail15normal_iteratorINS9_10device_ptrIxEEEEPS5_m11less_div_10IxEEE10hipError_tT0_T1_T2_jT3_P12ihipStream_tbPNSt15iterator_traitsISJ_E10value_typeEPNSP_ISK_E10value_typeEPSL_NS1_7vsmem_tEENKUlT_SJ_SK_SL_E_clIPxSE_SF_SF_EESI_SY_SJ_SK_SL_EUlSY_E1_NS1_11comp_targetILNS1_3genE2ELNS1_11target_archE906ELNS1_3gpuE6ELNS1_3repE0EEENS1_36merge_oddeven_config_static_selectorELNS0_4arch9wavefront6targetE0EEEvSK_.uses_vcc, 0
	.set _ZN7rocprim17ROCPRIM_400000_NS6detail17trampoline_kernelINS0_14default_configENS1_38merge_sort_block_merge_config_selectorIxNS0_10empty_typeEEEZZNS1_27merge_sort_block_merge_implIS3_N6thrust23THRUST_200600_302600_NS6detail15normal_iteratorINS9_10device_ptrIxEEEEPS5_m11less_div_10IxEEE10hipError_tT0_T1_T2_jT3_P12ihipStream_tbPNSt15iterator_traitsISJ_E10value_typeEPNSP_ISK_E10value_typeEPSL_NS1_7vsmem_tEENKUlT_SJ_SK_SL_E_clIPxSE_SF_SF_EESI_SY_SJ_SK_SL_EUlSY_E1_NS1_11comp_targetILNS1_3genE2ELNS1_11target_archE906ELNS1_3gpuE6ELNS1_3repE0EEENS1_36merge_oddeven_config_static_selectorELNS0_4arch9wavefront6targetE0EEEvSK_.uses_flat_scratch, 0
	.set _ZN7rocprim17ROCPRIM_400000_NS6detail17trampoline_kernelINS0_14default_configENS1_38merge_sort_block_merge_config_selectorIxNS0_10empty_typeEEEZZNS1_27merge_sort_block_merge_implIS3_N6thrust23THRUST_200600_302600_NS6detail15normal_iteratorINS9_10device_ptrIxEEEEPS5_m11less_div_10IxEEE10hipError_tT0_T1_T2_jT3_P12ihipStream_tbPNSt15iterator_traitsISJ_E10value_typeEPNSP_ISK_E10value_typeEPSL_NS1_7vsmem_tEENKUlT_SJ_SK_SL_E_clIPxSE_SF_SF_EESI_SY_SJ_SK_SL_EUlSY_E1_NS1_11comp_targetILNS1_3genE2ELNS1_11target_archE906ELNS1_3gpuE6ELNS1_3repE0EEENS1_36merge_oddeven_config_static_selectorELNS0_4arch9wavefront6targetE0EEEvSK_.has_dyn_sized_stack, 0
	.set _ZN7rocprim17ROCPRIM_400000_NS6detail17trampoline_kernelINS0_14default_configENS1_38merge_sort_block_merge_config_selectorIxNS0_10empty_typeEEEZZNS1_27merge_sort_block_merge_implIS3_N6thrust23THRUST_200600_302600_NS6detail15normal_iteratorINS9_10device_ptrIxEEEEPS5_m11less_div_10IxEEE10hipError_tT0_T1_T2_jT3_P12ihipStream_tbPNSt15iterator_traitsISJ_E10value_typeEPNSP_ISK_E10value_typeEPSL_NS1_7vsmem_tEENKUlT_SJ_SK_SL_E_clIPxSE_SF_SF_EESI_SY_SJ_SK_SL_EUlSY_E1_NS1_11comp_targetILNS1_3genE2ELNS1_11target_archE906ELNS1_3gpuE6ELNS1_3repE0EEENS1_36merge_oddeven_config_static_selectorELNS0_4arch9wavefront6targetE0EEEvSK_.has_recursion, 0
	.set _ZN7rocprim17ROCPRIM_400000_NS6detail17trampoline_kernelINS0_14default_configENS1_38merge_sort_block_merge_config_selectorIxNS0_10empty_typeEEEZZNS1_27merge_sort_block_merge_implIS3_N6thrust23THRUST_200600_302600_NS6detail15normal_iteratorINS9_10device_ptrIxEEEEPS5_m11less_div_10IxEEE10hipError_tT0_T1_T2_jT3_P12ihipStream_tbPNSt15iterator_traitsISJ_E10value_typeEPNSP_ISK_E10value_typeEPSL_NS1_7vsmem_tEENKUlT_SJ_SK_SL_E_clIPxSE_SF_SF_EESI_SY_SJ_SK_SL_EUlSY_E1_NS1_11comp_targetILNS1_3genE2ELNS1_11target_archE906ELNS1_3gpuE6ELNS1_3repE0EEENS1_36merge_oddeven_config_static_selectorELNS0_4arch9wavefront6targetE0EEEvSK_.has_indirect_call, 0
	.section	.AMDGPU.csdata,"",@progbits
; Kernel info:
; codeLenInByte = 0
; TotalNumSgprs: 0
; NumVgprs: 0
; ScratchSize: 0
; MemoryBound: 0
; FloatMode: 240
; IeeeMode: 1
; LDSByteSize: 0 bytes/workgroup (compile time only)
; SGPRBlocks: 0
; VGPRBlocks: 0
; NumSGPRsForWavesPerEU: 1
; NumVGPRsForWavesPerEU: 1
; Occupancy: 16
; WaveLimiterHint : 0
; COMPUTE_PGM_RSRC2:SCRATCH_EN: 0
; COMPUTE_PGM_RSRC2:USER_SGPR: 6
; COMPUTE_PGM_RSRC2:TRAP_HANDLER: 0
; COMPUTE_PGM_RSRC2:TGID_X_EN: 1
; COMPUTE_PGM_RSRC2:TGID_Y_EN: 0
; COMPUTE_PGM_RSRC2:TGID_Z_EN: 0
; COMPUTE_PGM_RSRC2:TIDIG_COMP_CNT: 0
	.section	.text._ZN7rocprim17ROCPRIM_400000_NS6detail17trampoline_kernelINS0_14default_configENS1_38merge_sort_block_merge_config_selectorIxNS0_10empty_typeEEEZZNS1_27merge_sort_block_merge_implIS3_N6thrust23THRUST_200600_302600_NS6detail15normal_iteratorINS9_10device_ptrIxEEEEPS5_m11less_div_10IxEEE10hipError_tT0_T1_T2_jT3_P12ihipStream_tbPNSt15iterator_traitsISJ_E10value_typeEPNSP_ISK_E10value_typeEPSL_NS1_7vsmem_tEENKUlT_SJ_SK_SL_E_clIPxSE_SF_SF_EESI_SY_SJ_SK_SL_EUlSY_E1_NS1_11comp_targetILNS1_3genE9ELNS1_11target_archE1100ELNS1_3gpuE3ELNS1_3repE0EEENS1_36merge_oddeven_config_static_selectorELNS0_4arch9wavefront6targetE0EEEvSK_,"axG",@progbits,_ZN7rocprim17ROCPRIM_400000_NS6detail17trampoline_kernelINS0_14default_configENS1_38merge_sort_block_merge_config_selectorIxNS0_10empty_typeEEEZZNS1_27merge_sort_block_merge_implIS3_N6thrust23THRUST_200600_302600_NS6detail15normal_iteratorINS9_10device_ptrIxEEEEPS5_m11less_div_10IxEEE10hipError_tT0_T1_T2_jT3_P12ihipStream_tbPNSt15iterator_traitsISJ_E10value_typeEPNSP_ISK_E10value_typeEPSL_NS1_7vsmem_tEENKUlT_SJ_SK_SL_E_clIPxSE_SF_SF_EESI_SY_SJ_SK_SL_EUlSY_E1_NS1_11comp_targetILNS1_3genE9ELNS1_11target_archE1100ELNS1_3gpuE3ELNS1_3repE0EEENS1_36merge_oddeven_config_static_selectorELNS0_4arch9wavefront6targetE0EEEvSK_,comdat
	.protected	_ZN7rocprim17ROCPRIM_400000_NS6detail17trampoline_kernelINS0_14default_configENS1_38merge_sort_block_merge_config_selectorIxNS0_10empty_typeEEEZZNS1_27merge_sort_block_merge_implIS3_N6thrust23THRUST_200600_302600_NS6detail15normal_iteratorINS9_10device_ptrIxEEEEPS5_m11less_div_10IxEEE10hipError_tT0_T1_T2_jT3_P12ihipStream_tbPNSt15iterator_traitsISJ_E10value_typeEPNSP_ISK_E10value_typeEPSL_NS1_7vsmem_tEENKUlT_SJ_SK_SL_E_clIPxSE_SF_SF_EESI_SY_SJ_SK_SL_EUlSY_E1_NS1_11comp_targetILNS1_3genE9ELNS1_11target_archE1100ELNS1_3gpuE3ELNS1_3repE0EEENS1_36merge_oddeven_config_static_selectorELNS0_4arch9wavefront6targetE0EEEvSK_ ; -- Begin function _ZN7rocprim17ROCPRIM_400000_NS6detail17trampoline_kernelINS0_14default_configENS1_38merge_sort_block_merge_config_selectorIxNS0_10empty_typeEEEZZNS1_27merge_sort_block_merge_implIS3_N6thrust23THRUST_200600_302600_NS6detail15normal_iteratorINS9_10device_ptrIxEEEEPS5_m11less_div_10IxEEE10hipError_tT0_T1_T2_jT3_P12ihipStream_tbPNSt15iterator_traitsISJ_E10value_typeEPNSP_ISK_E10value_typeEPSL_NS1_7vsmem_tEENKUlT_SJ_SK_SL_E_clIPxSE_SF_SF_EESI_SY_SJ_SK_SL_EUlSY_E1_NS1_11comp_targetILNS1_3genE9ELNS1_11target_archE1100ELNS1_3gpuE3ELNS1_3repE0EEENS1_36merge_oddeven_config_static_selectorELNS0_4arch9wavefront6targetE0EEEvSK_
	.globl	_ZN7rocprim17ROCPRIM_400000_NS6detail17trampoline_kernelINS0_14default_configENS1_38merge_sort_block_merge_config_selectorIxNS0_10empty_typeEEEZZNS1_27merge_sort_block_merge_implIS3_N6thrust23THRUST_200600_302600_NS6detail15normal_iteratorINS9_10device_ptrIxEEEEPS5_m11less_div_10IxEEE10hipError_tT0_T1_T2_jT3_P12ihipStream_tbPNSt15iterator_traitsISJ_E10value_typeEPNSP_ISK_E10value_typeEPSL_NS1_7vsmem_tEENKUlT_SJ_SK_SL_E_clIPxSE_SF_SF_EESI_SY_SJ_SK_SL_EUlSY_E1_NS1_11comp_targetILNS1_3genE9ELNS1_11target_archE1100ELNS1_3gpuE3ELNS1_3repE0EEENS1_36merge_oddeven_config_static_selectorELNS0_4arch9wavefront6targetE0EEEvSK_
	.p2align	8
	.type	_ZN7rocprim17ROCPRIM_400000_NS6detail17trampoline_kernelINS0_14default_configENS1_38merge_sort_block_merge_config_selectorIxNS0_10empty_typeEEEZZNS1_27merge_sort_block_merge_implIS3_N6thrust23THRUST_200600_302600_NS6detail15normal_iteratorINS9_10device_ptrIxEEEEPS5_m11less_div_10IxEEE10hipError_tT0_T1_T2_jT3_P12ihipStream_tbPNSt15iterator_traitsISJ_E10value_typeEPNSP_ISK_E10value_typeEPSL_NS1_7vsmem_tEENKUlT_SJ_SK_SL_E_clIPxSE_SF_SF_EESI_SY_SJ_SK_SL_EUlSY_E1_NS1_11comp_targetILNS1_3genE9ELNS1_11target_archE1100ELNS1_3gpuE3ELNS1_3repE0EEENS1_36merge_oddeven_config_static_selectorELNS0_4arch9wavefront6targetE0EEEvSK_,@function
_ZN7rocprim17ROCPRIM_400000_NS6detail17trampoline_kernelINS0_14default_configENS1_38merge_sort_block_merge_config_selectorIxNS0_10empty_typeEEEZZNS1_27merge_sort_block_merge_implIS3_N6thrust23THRUST_200600_302600_NS6detail15normal_iteratorINS9_10device_ptrIxEEEEPS5_m11less_div_10IxEEE10hipError_tT0_T1_T2_jT3_P12ihipStream_tbPNSt15iterator_traitsISJ_E10value_typeEPNSP_ISK_E10value_typeEPSL_NS1_7vsmem_tEENKUlT_SJ_SK_SL_E_clIPxSE_SF_SF_EESI_SY_SJ_SK_SL_EUlSY_E1_NS1_11comp_targetILNS1_3genE9ELNS1_11target_archE1100ELNS1_3gpuE3ELNS1_3repE0EEENS1_36merge_oddeven_config_static_selectorELNS0_4arch9wavefront6targetE0EEEvSK_: ; @_ZN7rocprim17ROCPRIM_400000_NS6detail17trampoline_kernelINS0_14default_configENS1_38merge_sort_block_merge_config_selectorIxNS0_10empty_typeEEEZZNS1_27merge_sort_block_merge_implIS3_N6thrust23THRUST_200600_302600_NS6detail15normal_iteratorINS9_10device_ptrIxEEEEPS5_m11less_div_10IxEEE10hipError_tT0_T1_T2_jT3_P12ihipStream_tbPNSt15iterator_traitsISJ_E10value_typeEPNSP_ISK_E10value_typeEPSL_NS1_7vsmem_tEENKUlT_SJ_SK_SL_E_clIPxSE_SF_SF_EESI_SY_SJ_SK_SL_EUlSY_E1_NS1_11comp_targetILNS1_3genE9ELNS1_11target_archE1100ELNS1_3gpuE3ELNS1_3repE0EEENS1_36merge_oddeven_config_static_selectorELNS0_4arch9wavefront6targetE0EEEvSK_
; %bb.0:
	.section	.rodata,"a",@progbits
	.p2align	6, 0x0
	.amdhsa_kernel _ZN7rocprim17ROCPRIM_400000_NS6detail17trampoline_kernelINS0_14default_configENS1_38merge_sort_block_merge_config_selectorIxNS0_10empty_typeEEEZZNS1_27merge_sort_block_merge_implIS3_N6thrust23THRUST_200600_302600_NS6detail15normal_iteratorINS9_10device_ptrIxEEEEPS5_m11less_div_10IxEEE10hipError_tT0_T1_T2_jT3_P12ihipStream_tbPNSt15iterator_traitsISJ_E10value_typeEPNSP_ISK_E10value_typeEPSL_NS1_7vsmem_tEENKUlT_SJ_SK_SL_E_clIPxSE_SF_SF_EESI_SY_SJ_SK_SL_EUlSY_E1_NS1_11comp_targetILNS1_3genE9ELNS1_11target_archE1100ELNS1_3gpuE3ELNS1_3repE0EEENS1_36merge_oddeven_config_static_selectorELNS0_4arch9wavefront6targetE0EEEvSK_
		.amdhsa_group_segment_fixed_size 0
		.amdhsa_private_segment_fixed_size 0
		.amdhsa_kernarg_size 56
		.amdhsa_user_sgpr_count 6
		.amdhsa_user_sgpr_private_segment_buffer 1
		.amdhsa_user_sgpr_dispatch_ptr 0
		.amdhsa_user_sgpr_queue_ptr 0
		.amdhsa_user_sgpr_kernarg_segment_ptr 1
		.amdhsa_user_sgpr_dispatch_id 0
		.amdhsa_user_sgpr_flat_scratch_init 0
		.amdhsa_user_sgpr_private_segment_size 0
		.amdhsa_wavefront_size32 1
		.amdhsa_uses_dynamic_stack 0
		.amdhsa_system_sgpr_private_segment_wavefront_offset 0
		.amdhsa_system_sgpr_workgroup_id_x 1
		.amdhsa_system_sgpr_workgroup_id_y 0
		.amdhsa_system_sgpr_workgroup_id_z 0
		.amdhsa_system_sgpr_workgroup_info 0
		.amdhsa_system_vgpr_workitem_id 0
		.amdhsa_next_free_vgpr 1
		.amdhsa_next_free_sgpr 1
		.amdhsa_reserve_vcc 0
		.amdhsa_reserve_flat_scratch 0
		.amdhsa_float_round_mode_32 0
		.amdhsa_float_round_mode_16_64 0
		.amdhsa_float_denorm_mode_32 3
		.amdhsa_float_denorm_mode_16_64 3
		.amdhsa_dx10_clamp 1
		.amdhsa_ieee_mode 1
		.amdhsa_fp16_overflow 0
		.amdhsa_workgroup_processor_mode 1
		.amdhsa_memory_ordered 1
		.amdhsa_forward_progress 1
		.amdhsa_shared_vgpr_count 0
		.amdhsa_exception_fp_ieee_invalid_op 0
		.amdhsa_exception_fp_denorm_src 0
		.amdhsa_exception_fp_ieee_div_zero 0
		.amdhsa_exception_fp_ieee_overflow 0
		.amdhsa_exception_fp_ieee_underflow 0
		.amdhsa_exception_fp_ieee_inexact 0
		.amdhsa_exception_int_div_zero 0
	.end_amdhsa_kernel
	.section	.text._ZN7rocprim17ROCPRIM_400000_NS6detail17trampoline_kernelINS0_14default_configENS1_38merge_sort_block_merge_config_selectorIxNS0_10empty_typeEEEZZNS1_27merge_sort_block_merge_implIS3_N6thrust23THRUST_200600_302600_NS6detail15normal_iteratorINS9_10device_ptrIxEEEEPS5_m11less_div_10IxEEE10hipError_tT0_T1_T2_jT3_P12ihipStream_tbPNSt15iterator_traitsISJ_E10value_typeEPNSP_ISK_E10value_typeEPSL_NS1_7vsmem_tEENKUlT_SJ_SK_SL_E_clIPxSE_SF_SF_EESI_SY_SJ_SK_SL_EUlSY_E1_NS1_11comp_targetILNS1_3genE9ELNS1_11target_archE1100ELNS1_3gpuE3ELNS1_3repE0EEENS1_36merge_oddeven_config_static_selectorELNS0_4arch9wavefront6targetE0EEEvSK_,"axG",@progbits,_ZN7rocprim17ROCPRIM_400000_NS6detail17trampoline_kernelINS0_14default_configENS1_38merge_sort_block_merge_config_selectorIxNS0_10empty_typeEEEZZNS1_27merge_sort_block_merge_implIS3_N6thrust23THRUST_200600_302600_NS6detail15normal_iteratorINS9_10device_ptrIxEEEEPS5_m11less_div_10IxEEE10hipError_tT0_T1_T2_jT3_P12ihipStream_tbPNSt15iterator_traitsISJ_E10value_typeEPNSP_ISK_E10value_typeEPSL_NS1_7vsmem_tEENKUlT_SJ_SK_SL_E_clIPxSE_SF_SF_EESI_SY_SJ_SK_SL_EUlSY_E1_NS1_11comp_targetILNS1_3genE9ELNS1_11target_archE1100ELNS1_3gpuE3ELNS1_3repE0EEENS1_36merge_oddeven_config_static_selectorELNS0_4arch9wavefront6targetE0EEEvSK_,comdat
.Lfunc_end358:
	.size	_ZN7rocprim17ROCPRIM_400000_NS6detail17trampoline_kernelINS0_14default_configENS1_38merge_sort_block_merge_config_selectorIxNS0_10empty_typeEEEZZNS1_27merge_sort_block_merge_implIS3_N6thrust23THRUST_200600_302600_NS6detail15normal_iteratorINS9_10device_ptrIxEEEEPS5_m11less_div_10IxEEE10hipError_tT0_T1_T2_jT3_P12ihipStream_tbPNSt15iterator_traitsISJ_E10value_typeEPNSP_ISK_E10value_typeEPSL_NS1_7vsmem_tEENKUlT_SJ_SK_SL_E_clIPxSE_SF_SF_EESI_SY_SJ_SK_SL_EUlSY_E1_NS1_11comp_targetILNS1_3genE9ELNS1_11target_archE1100ELNS1_3gpuE3ELNS1_3repE0EEENS1_36merge_oddeven_config_static_selectorELNS0_4arch9wavefront6targetE0EEEvSK_, .Lfunc_end358-_ZN7rocprim17ROCPRIM_400000_NS6detail17trampoline_kernelINS0_14default_configENS1_38merge_sort_block_merge_config_selectorIxNS0_10empty_typeEEEZZNS1_27merge_sort_block_merge_implIS3_N6thrust23THRUST_200600_302600_NS6detail15normal_iteratorINS9_10device_ptrIxEEEEPS5_m11less_div_10IxEEE10hipError_tT0_T1_T2_jT3_P12ihipStream_tbPNSt15iterator_traitsISJ_E10value_typeEPNSP_ISK_E10value_typeEPSL_NS1_7vsmem_tEENKUlT_SJ_SK_SL_E_clIPxSE_SF_SF_EESI_SY_SJ_SK_SL_EUlSY_E1_NS1_11comp_targetILNS1_3genE9ELNS1_11target_archE1100ELNS1_3gpuE3ELNS1_3repE0EEENS1_36merge_oddeven_config_static_selectorELNS0_4arch9wavefront6targetE0EEEvSK_
                                        ; -- End function
	.set _ZN7rocprim17ROCPRIM_400000_NS6detail17trampoline_kernelINS0_14default_configENS1_38merge_sort_block_merge_config_selectorIxNS0_10empty_typeEEEZZNS1_27merge_sort_block_merge_implIS3_N6thrust23THRUST_200600_302600_NS6detail15normal_iteratorINS9_10device_ptrIxEEEEPS5_m11less_div_10IxEEE10hipError_tT0_T1_T2_jT3_P12ihipStream_tbPNSt15iterator_traitsISJ_E10value_typeEPNSP_ISK_E10value_typeEPSL_NS1_7vsmem_tEENKUlT_SJ_SK_SL_E_clIPxSE_SF_SF_EESI_SY_SJ_SK_SL_EUlSY_E1_NS1_11comp_targetILNS1_3genE9ELNS1_11target_archE1100ELNS1_3gpuE3ELNS1_3repE0EEENS1_36merge_oddeven_config_static_selectorELNS0_4arch9wavefront6targetE0EEEvSK_.num_vgpr, 0
	.set _ZN7rocprim17ROCPRIM_400000_NS6detail17trampoline_kernelINS0_14default_configENS1_38merge_sort_block_merge_config_selectorIxNS0_10empty_typeEEEZZNS1_27merge_sort_block_merge_implIS3_N6thrust23THRUST_200600_302600_NS6detail15normal_iteratorINS9_10device_ptrIxEEEEPS5_m11less_div_10IxEEE10hipError_tT0_T1_T2_jT3_P12ihipStream_tbPNSt15iterator_traitsISJ_E10value_typeEPNSP_ISK_E10value_typeEPSL_NS1_7vsmem_tEENKUlT_SJ_SK_SL_E_clIPxSE_SF_SF_EESI_SY_SJ_SK_SL_EUlSY_E1_NS1_11comp_targetILNS1_3genE9ELNS1_11target_archE1100ELNS1_3gpuE3ELNS1_3repE0EEENS1_36merge_oddeven_config_static_selectorELNS0_4arch9wavefront6targetE0EEEvSK_.num_agpr, 0
	.set _ZN7rocprim17ROCPRIM_400000_NS6detail17trampoline_kernelINS0_14default_configENS1_38merge_sort_block_merge_config_selectorIxNS0_10empty_typeEEEZZNS1_27merge_sort_block_merge_implIS3_N6thrust23THRUST_200600_302600_NS6detail15normal_iteratorINS9_10device_ptrIxEEEEPS5_m11less_div_10IxEEE10hipError_tT0_T1_T2_jT3_P12ihipStream_tbPNSt15iterator_traitsISJ_E10value_typeEPNSP_ISK_E10value_typeEPSL_NS1_7vsmem_tEENKUlT_SJ_SK_SL_E_clIPxSE_SF_SF_EESI_SY_SJ_SK_SL_EUlSY_E1_NS1_11comp_targetILNS1_3genE9ELNS1_11target_archE1100ELNS1_3gpuE3ELNS1_3repE0EEENS1_36merge_oddeven_config_static_selectorELNS0_4arch9wavefront6targetE0EEEvSK_.numbered_sgpr, 0
	.set _ZN7rocprim17ROCPRIM_400000_NS6detail17trampoline_kernelINS0_14default_configENS1_38merge_sort_block_merge_config_selectorIxNS0_10empty_typeEEEZZNS1_27merge_sort_block_merge_implIS3_N6thrust23THRUST_200600_302600_NS6detail15normal_iteratorINS9_10device_ptrIxEEEEPS5_m11less_div_10IxEEE10hipError_tT0_T1_T2_jT3_P12ihipStream_tbPNSt15iterator_traitsISJ_E10value_typeEPNSP_ISK_E10value_typeEPSL_NS1_7vsmem_tEENKUlT_SJ_SK_SL_E_clIPxSE_SF_SF_EESI_SY_SJ_SK_SL_EUlSY_E1_NS1_11comp_targetILNS1_3genE9ELNS1_11target_archE1100ELNS1_3gpuE3ELNS1_3repE0EEENS1_36merge_oddeven_config_static_selectorELNS0_4arch9wavefront6targetE0EEEvSK_.num_named_barrier, 0
	.set _ZN7rocprim17ROCPRIM_400000_NS6detail17trampoline_kernelINS0_14default_configENS1_38merge_sort_block_merge_config_selectorIxNS0_10empty_typeEEEZZNS1_27merge_sort_block_merge_implIS3_N6thrust23THRUST_200600_302600_NS6detail15normal_iteratorINS9_10device_ptrIxEEEEPS5_m11less_div_10IxEEE10hipError_tT0_T1_T2_jT3_P12ihipStream_tbPNSt15iterator_traitsISJ_E10value_typeEPNSP_ISK_E10value_typeEPSL_NS1_7vsmem_tEENKUlT_SJ_SK_SL_E_clIPxSE_SF_SF_EESI_SY_SJ_SK_SL_EUlSY_E1_NS1_11comp_targetILNS1_3genE9ELNS1_11target_archE1100ELNS1_3gpuE3ELNS1_3repE0EEENS1_36merge_oddeven_config_static_selectorELNS0_4arch9wavefront6targetE0EEEvSK_.private_seg_size, 0
	.set _ZN7rocprim17ROCPRIM_400000_NS6detail17trampoline_kernelINS0_14default_configENS1_38merge_sort_block_merge_config_selectorIxNS0_10empty_typeEEEZZNS1_27merge_sort_block_merge_implIS3_N6thrust23THRUST_200600_302600_NS6detail15normal_iteratorINS9_10device_ptrIxEEEEPS5_m11less_div_10IxEEE10hipError_tT0_T1_T2_jT3_P12ihipStream_tbPNSt15iterator_traitsISJ_E10value_typeEPNSP_ISK_E10value_typeEPSL_NS1_7vsmem_tEENKUlT_SJ_SK_SL_E_clIPxSE_SF_SF_EESI_SY_SJ_SK_SL_EUlSY_E1_NS1_11comp_targetILNS1_3genE9ELNS1_11target_archE1100ELNS1_3gpuE3ELNS1_3repE0EEENS1_36merge_oddeven_config_static_selectorELNS0_4arch9wavefront6targetE0EEEvSK_.uses_vcc, 0
	.set _ZN7rocprim17ROCPRIM_400000_NS6detail17trampoline_kernelINS0_14default_configENS1_38merge_sort_block_merge_config_selectorIxNS0_10empty_typeEEEZZNS1_27merge_sort_block_merge_implIS3_N6thrust23THRUST_200600_302600_NS6detail15normal_iteratorINS9_10device_ptrIxEEEEPS5_m11less_div_10IxEEE10hipError_tT0_T1_T2_jT3_P12ihipStream_tbPNSt15iterator_traitsISJ_E10value_typeEPNSP_ISK_E10value_typeEPSL_NS1_7vsmem_tEENKUlT_SJ_SK_SL_E_clIPxSE_SF_SF_EESI_SY_SJ_SK_SL_EUlSY_E1_NS1_11comp_targetILNS1_3genE9ELNS1_11target_archE1100ELNS1_3gpuE3ELNS1_3repE0EEENS1_36merge_oddeven_config_static_selectorELNS0_4arch9wavefront6targetE0EEEvSK_.uses_flat_scratch, 0
	.set _ZN7rocprim17ROCPRIM_400000_NS6detail17trampoline_kernelINS0_14default_configENS1_38merge_sort_block_merge_config_selectorIxNS0_10empty_typeEEEZZNS1_27merge_sort_block_merge_implIS3_N6thrust23THRUST_200600_302600_NS6detail15normal_iteratorINS9_10device_ptrIxEEEEPS5_m11less_div_10IxEEE10hipError_tT0_T1_T2_jT3_P12ihipStream_tbPNSt15iterator_traitsISJ_E10value_typeEPNSP_ISK_E10value_typeEPSL_NS1_7vsmem_tEENKUlT_SJ_SK_SL_E_clIPxSE_SF_SF_EESI_SY_SJ_SK_SL_EUlSY_E1_NS1_11comp_targetILNS1_3genE9ELNS1_11target_archE1100ELNS1_3gpuE3ELNS1_3repE0EEENS1_36merge_oddeven_config_static_selectorELNS0_4arch9wavefront6targetE0EEEvSK_.has_dyn_sized_stack, 0
	.set _ZN7rocprim17ROCPRIM_400000_NS6detail17trampoline_kernelINS0_14default_configENS1_38merge_sort_block_merge_config_selectorIxNS0_10empty_typeEEEZZNS1_27merge_sort_block_merge_implIS3_N6thrust23THRUST_200600_302600_NS6detail15normal_iteratorINS9_10device_ptrIxEEEEPS5_m11less_div_10IxEEE10hipError_tT0_T1_T2_jT3_P12ihipStream_tbPNSt15iterator_traitsISJ_E10value_typeEPNSP_ISK_E10value_typeEPSL_NS1_7vsmem_tEENKUlT_SJ_SK_SL_E_clIPxSE_SF_SF_EESI_SY_SJ_SK_SL_EUlSY_E1_NS1_11comp_targetILNS1_3genE9ELNS1_11target_archE1100ELNS1_3gpuE3ELNS1_3repE0EEENS1_36merge_oddeven_config_static_selectorELNS0_4arch9wavefront6targetE0EEEvSK_.has_recursion, 0
	.set _ZN7rocprim17ROCPRIM_400000_NS6detail17trampoline_kernelINS0_14default_configENS1_38merge_sort_block_merge_config_selectorIxNS0_10empty_typeEEEZZNS1_27merge_sort_block_merge_implIS3_N6thrust23THRUST_200600_302600_NS6detail15normal_iteratorINS9_10device_ptrIxEEEEPS5_m11less_div_10IxEEE10hipError_tT0_T1_T2_jT3_P12ihipStream_tbPNSt15iterator_traitsISJ_E10value_typeEPNSP_ISK_E10value_typeEPSL_NS1_7vsmem_tEENKUlT_SJ_SK_SL_E_clIPxSE_SF_SF_EESI_SY_SJ_SK_SL_EUlSY_E1_NS1_11comp_targetILNS1_3genE9ELNS1_11target_archE1100ELNS1_3gpuE3ELNS1_3repE0EEENS1_36merge_oddeven_config_static_selectorELNS0_4arch9wavefront6targetE0EEEvSK_.has_indirect_call, 0
	.section	.AMDGPU.csdata,"",@progbits
; Kernel info:
; codeLenInByte = 0
; TotalNumSgprs: 0
; NumVgprs: 0
; ScratchSize: 0
; MemoryBound: 0
; FloatMode: 240
; IeeeMode: 1
; LDSByteSize: 0 bytes/workgroup (compile time only)
; SGPRBlocks: 0
; VGPRBlocks: 0
; NumSGPRsForWavesPerEU: 1
; NumVGPRsForWavesPerEU: 1
; Occupancy: 16
; WaveLimiterHint : 0
; COMPUTE_PGM_RSRC2:SCRATCH_EN: 0
; COMPUTE_PGM_RSRC2:USER_SGPR: 6
; COMPUTE_PGM_RSRC2:TRAP_HANDLER: 0
; COMPUTE_PGM_RSRC2:TGID_X_EN: 1
; COMPUTE_PGM_RSRC2:TGID_Y_EN: 0
; COMPUTE_PGM_RSRC2:TGID_Z_EN: 0
; COMPUTE_PGM_RSRC2:TIDIG_COMP_CNT: 0
	.section	.text._ZN7rocprim17ROCPRIM_400000_NS6detail17trampoline_kernelINS0_14default_configENS1_38merge_sort_block_merge_config_selectorIxNS0_10empty_typeEEEZZNS1_27merge_sort_block_merge_implIS3_N6thrust23THRUST_200600_302600_NS6detail15normal_iteratorINS9_10device_ptrIxEEEEPS5_m11less_div_10IxEEE10hipError_tT0_T1_T2_jT3_P12ihipStream_tbPNSt15iterator_traitsISJ_E10value_typeEPNSP_ISK_E10value_typeEPSL_NS1_7vsmem_tEENKUlT_SJ_SK_SL_E_clIPxSE_SF_SF_EESI_SY_SJ_SK_SL_EUlSY_E1_NS1_11comp_targetILNS1_3genE8ELNS1_11target_archE1030ELNS1_3gpuE2ELNS1_3repE0EEENS1_36merge_oddeven_config_static_selectorELNS0_4arch9wavefront6targetE0EEEvSK_,"axG",@progbits,_ZN7rocprim17ROCPRIM_400000_NS6detail17trampoline_kernelINS0_14default_configENS1_38merge_sort_block_merge_config_selectorIxNS0_10empty_typeEEEZZNS1_27merge_sort_block_merge_implIS3_N6thrust23THRUST_200600_302600_NS6detail15normal_iteratorINS9_10device_ptrIxEEEEPS5_m11less_div_10IxEEE10hipError_tT0_T1_T2_jT3_P12ihipStream_tbPNSt15iterator_traitsISJ_E10value_typeEPNSP_ISK_E10value_typeEPSL_NS1_7vsmem_tEENKUlT_SJ_SK_SL_E_clIPxSE_SF_SF_EESI_SY_SJ_SK_SL_EUlSY_E1_NS1_11comp_targetILNS1_3genE8ELNS1_11target_archE1030ELNS1_3gpuE2ELNS1_3repE0EEENS1_36merge_oddeven_config_static_selectorELNS0_4arch9wavefront6targetE0EEEvSK_,comdat
	.protected	_ZN7rocprim17ROCPRIM_400000_NS6detail17trampoline_kernelINS0_14default_configENS1_38merge_sort_block_merge_config_selectorIxNS0_10empty_typeEEEZZNS1_27merge_sort_block_merge_implIS3_N6thrust23THRUST_200600_302600_NS6detail15normal_iteratorINS9_10device_ptrIxEEEEPS5_m11less_div_10IxEEE10hipError_tT0_T1_T2_jT3_P12ihipStream_tbPNSt15iterator_traitsISJ_E10value_typeEPNSP_ISK_E10value_typeEPSL_NS1_7vsmem_tEENKUlT_SJ_SK_SL_E_clIPxSE_SF_SF_EESI_SY_SJ_SK_SL_EUlSY_E1_NS1_11comp_targetILNS1_3genE8ELNS1_11target_archE1030ELNS1_3gpuE2ELNS1_3repE0EEENS1_36merge_oddeven_config_static_selectorELNS0_4arch9wavefront6targetE0EEEvSK_ ; -- Begin function _ZN7rocprim17ROCPRIM_400000_NS6detail17trampoline_kernelINS0_14default_configENS1_38merge_sort_block_merge_config_selectorIxNS0_10empty_typeEEEZZNS1_27merge_sort_block_merge_implIS3_N6thrust23THRUST_200600_302600_NS6detail15normal_iteratorINS9_10device_ptrIxEEEEPS5_m11less_div_10IxEEE10hipError_tT0_T1_T2_jT3_P12ihipStream_tbPNSt15iterator_traitsISJ_E10value_typeEPNSP_ISK_E10value_typeEPSL_NS1_7vsmem_tEENKUlT_SJ_SK_SL_E_clIPxSE_SF_SF_EESI_SY_SJ_SK_SL_EUlSY_E1_NS1_11comp_targetILNS1_3genE8ELNS1_11target_archE1030ELNS1_3gpuE2ELNS1_3repE0EEENS1_36merge_oddeven_config_static_selectorELNS0_4arch9wavefront6targetE0EEEvSK_
	.globl	_ZN7rocprim17ROCPRIM_400000_NS6detail17trampoline_kernelINS0_14default_configENS1_38merge_sort_block_merge_config_selectorIxNS0_10empty_typeEEEZZNS1_27merge_sort_block_merge_implIS3_N6thrust23THRUST_200600_302600_NS6detail15normal_iteratorINS9_10device_ptrIxEEEEPS5_m11less_div_10IxEEE10hipError_tT0_T1_T2_jT3_P12ihipStream_tbPNSt15iterator_traitsISJ_E10value_typeEPNSP_ISK_E10value_typeEPSL_NS1_7vsmem_tEENKUlT_SJ_SK_SL_E_clIPxSE_SF_SF_EESI_SY_SJ_SK_SL_EUlSY_E1_NS1_11comp_targetILNS1_3genE8ELNS1_11target_archE1030ELNS1_3gpuE2ELNS1_3repE0EEENS1_36merge_oddeven_config_static_selectorELNS0_4arch9wavefront6targetE0EEEvSK_
	.p2align	8
	.type	_ZN7rocprim17ROCPRIM_400000_NS6detail17trampoline_kernelINS0_14default_configENS1_38merge_sort_block_merge_config_selectorIxNS0_10empty_typeEEEZZNS1_27merge_sort_block_merge_implIS3_N6thrust23THRUST_200600_302600_NS6detail15normal_iteratorINS9_10device_ptrIxEEEEPS5_m11less_div_10IxEEE10hipError_tT0_T1_T2_jT3_P12ihipStream_tbPNSt15iterator_traitsISJ_E10value_typeEPNSP_ISK_E10value_typeEPSL_NS1_7vsmem_tEENKUlT_SJ_SK_SL_E_clIPxSE_SF_SF_EESI_SY_SJ_SK_SL_EUlSY_E1_NS1_11comp_targetILNS1_3genE8ELNS1_11target_archE1030ELNS1_3gpuE2ELNS1_3repE0EEENS1_36merge_oddeven_config_static_selectorELNS0_4arch9wavefront6targetE0EEEvSK_,@function
_ZN7rocprim17ROCPRIM_400000_NS6detail17trampoline_kernelINS0_14default_configENS1_38merge_sort_block_merge_config_selectorIxNS0_10empty_typeEEEZZNS1_27merge_sort_block_merge_implIS3_N6thrust23THRUST_200600_302600_NS6detail15normal_iteratorINS9_10device_ptrIxEEEEPS5_m11less_div_10IxEEE10hipError_tT0_T1_T2_jT3_P12ihipStream_tbPNSt15iterator_traitsISJ_E10value_typeEPNSP_ISK_E10value_typeEPSL_NS1_7vsmem_tEENKUlT_SJ_SK_SL_E_clIPxSE_SF_SF_EESI_SY_SJ_SK_SL_EUlSY_E1_NS1_11comp_targetILNS1_3genE8ELNS1_11target_archE1030ELNS1_3gpuE2ELNS1_3repE0EEENS1_36merge_oddeven_config_static_selectorELNS0_4arch9wavefront6targetE0EEEvSK_: ; @_ZN7rocprim17ROCPRIM_400000_NS6detail17trampoline_kernelINS0_14default_configENS1_38merge_sort_block_merge_config_selectorIxNS0_10empty_typeEEEZZNS1_27merge_sort_block_merge_implIS3_N6thrust23THRUST_200600_302600_NS6detail15normal_iteratorINS9_10device_ptrIxEEEEPS5_m11less_div_10IxEEE10hipError_tT0_T1_T2_jT3_P12ihipStream_tbPNSt15iterator_traitsISJ_E10value_typeEPNSP_ISK_E10value_typeEPSL_NS1_7vsmem_tEENKUlT_SJ_SK_SL_E_clIPxSE_SF_SF_EESI_SY_SJ_SK_SL_EUlSY_E1_NS1_11comp_targetILNS1_3genE8ELNS1_11target_archE1030ELNS1_3gpuE2ELNS1_3repE0EEENS1_36merge_oddeven_config_static_selectorELNS0_4arch9wavefront6targetE0EEEvSK_
; %bb.0:
	s_load_dword s7, s[4:5], 0x20
	s_waitcnt lgkmcnt(0)
	s_lshr_b32 s0, s7, 8
	s_cmp_lg_u32 s6, s0
	s_cselect_b32 s13, -1, 0
	s_cmp_eq_u32 s6, s0
	s_cselect_b32 s12, -1, 0
	s_lshl_b32 s2, s6, 8
	s_sub_i32 s0, s7, s2
	v_cmp_gt_u32_e64 s1, s0, v0
	s_or_b32 s0, s13, s1
	s_and_saveexec_b32 s3, s0
	s_cbranch_execz .LBB359_20
; %bb.1:
	s_load_dwordx4 s[8:11], s[4:5], 0x0
	s_mov_b32 s3, 0
	v_lshlrev_b32_e32 v1, 3, v0
	s_lshl_b64 s[14:15], s[2:3], 3
	s_load_dword s5, s[4:5], 0x28
	v_add_nc_u32_e32 v3, s2, v0
	s_waitcnt lgkmcnt(0)
	s_add_u32 s14, s8, s14
	s_addc_u32 s15, s9, s15
	global_load_dwordx2 v[1:2], v1, s[14:15]
	s_lshr_b32 s0, s5, 8
	s_sub_i32 s4, 0, s0
	s_and_b32 s4, s6, s4
	s_and_b32 s0, s4, s0
	s_lshl_b32 s6, s4, 8
	s_sub_i32 s4, 0, s5
	s_cmp_eq_u32 s0, 0
	s_cselect_b32 s0, -1, 0
	s_and_b32 s14, s0, exec_lo
	s_cselect_b32 s4, s5, s4
	s_add_i32 s4, s4, s6
	s_cmp_lt_u32 s4, s7
	s_cbranch_scc1 .LBB359_3
; %bb.2:
	v_cmp_gt_u32_e32 vcc_lo, s7, v3
	s_or_b32 s3, vcc_lo, s13
	s_and_b32 s3, s3, exec_lo
	s_cbranch_execz .LBB359_4
	s_branch .LBB359_18
.LBB359_3:
.LBB359_4:
	s_waitcnt vmcnt(0)
	v_mul_hi_i32 v0, 0x66666667, v1
	s_min_u32 s2, s4, s7
	s_and_b32 vcc_lo, exec_lo, s12
	s_add_i32 s13, s6, s2
	s_min_u32 s6, s6, s2
	v_subrev_nc_u32_e32 v3, s13, v3
	s_add_i32 s5, s2, s5
	s_min_u32 s5, s5, s7
	v_lshrrev_b32_e32 v4, 31, v0
	v_ashrrev_i32_e32 v5, 2, v0
	v_add_nc_u32_e32 v0, s6, v3
	v_add_nc_u32_e32 v5, v5, v4
	s_cbranch_vccz .LBB359_12
; %bb.5:
                                        ; implicit-def: $vgpr3
	s_and_saveexec_b32 s6, s1
	s_cbranch_execz .LBB359_11
; %bb.6:
	v_mov_b32_e32 v6, s2
	s_cmp_ge_u32 s4, s5
	s_cbranch_scc1 .LBB359_10
; %bb.7:
	v_mov_b32_e32 v7, s5
	v_mov_b32_e32 v6, s2
	v_mov_b32_e32 v4, 0
	s_mov_b32 s1, 0
	s_inst_prefetch 0x1
	.p2align	6
.LBB359_8:                              ; =>This Inner Loop Header: Depth=1
	v_add_nc_u32_e32 v3, v6, v7
	v_lshrrev_b32_e32 v3, 1, v3
	v_lshlrev_b64 v[8:9], 3, v[3:4]
	v_add_co_u32 v8, vcc_lo, s8, v8
	v_add_co_ci_u32_e64 v9, null, s9, v9, vcc_lo
	global_load_dword v8, v[8:9], off
	s_waitcnt vmcnt(0)
	v_mul_hi_i32 v8, 0x66666667, v8
	v_lshrrev_b32_e32 v9, 31, v8
	v_ashrrev_i32_e32 v8, 2, v8
	v_add_nc_u32_e32 v8, v8, v9
	v_cmp_lt_i32_e32 vcc_lo, v8, v5
	v_cndmask_b32_e64 v9, 0, 1, vcc_lo
	v_cmp_ge_i32_e32 vcc_lo, v5, v8
	v_cndmask_b32_e64 v8, 0, 1, vcc_lo
	v_cndmask_b32_e64 v8, v8, v9, s0
	v_add_nc_u32_e32 v9, 1, v3
	v_and_b32_e32 v8, 1, v8
	v_cmp_eq_u32_e32 vcc_lo, 1, v8
	v_cndmask_b32_e32 v7, v3, v7, vcc_lo
	v_cndmask_b32_e32 v6, v6, v9, vcc_lo
	v_cmp_ge_u32_e32 vcc_lo, v6, v7
	s_or_b32 s1, vcc_lo, s1
	s_andn2_b32 exec_lo, exec_lo, s1
	s_cbranch_execnz .LBB359_8
; %bb.9:
	s_inst_prefetch 0x2
	s_or_b32 exec_lo, exec_lo, s1
.LBB359_10:
	v_add_nc_u32_e32 v3, v6, v0
	s_or_b32 s3, s3, exec_lo
.LBB359_11:
	s_or_b32 exec_lo, exec_lo, s6
	s_branch .LBB359_18
.LBB359_12:
                                        ; implicit-def: $vgpr3
	s_cbranch_execz .LBB359_18
; %bb.13:
	v_mov_b32_e32 v6, s2
	s_cmp_ge_u32 s4, s5
	s_cbranch_scc1 .LBB359_17
; %bb.14:
	v_mov_b32_e32 v7, s5
	v_mov_b32_e32 v6, s2
	;; [unrolled: 1-line block ×3, first 2 shown]
	s_mov_b32 s1, 0
	s_inst_prefetch 0x1
	.p2align	6
.LBB359_15:                             ; =>This Inner Loop Header: Depth=1
	v_add_nc_u32_e32 v3, v6, v7
	v_lshrrev_b32_e32 v3, 1, v3
	v_lshlrev_b64 v[8:9], 3, v[3:4]
	v_add_co_u32 v8, vcc_lo, s8, v8
	v_add_co_ci_u32_e64 v9, null, s9, v9, vcc_lo
	global_load_dword v8, v[8:9], off
	s_waitcnt vmcnt(0)
	v_mul_hi_i32 v8, 0x66666667, v8
	v_lshrrev_b32_e32 v9, 31, v8
	v_ashrrev_i32_e32 v8, 2, v8
	v_add_nc_u32_e32 v8, v8, v9
	v_cmp_lt_i32_e32 vcc_lo, v8, v5
	v_cndmask_b32_e64 v9, 0, 1, vcc_lo
	v_cmp_ge_i32_e32 vcc_lo, v5, v8
	v_cndmask_b32_e64 v8, 0, 1, vcc_lo
	v_cndmask_b32_e64 v8, v8, v9, s0
	v_add_nc_u32_e32 v9, 1, v3
	v_and_b32_e32 v8, 1, v8
	v_cmp_eq_u32_e32 vcc_lo, 1, v8
	v_cndmask_b32_e32 v7, v3, v7, vcc_lo
	v_cndmask_b32_e32 v6, v6, v9, vcc_lo
	v_cmp_ge_u32_e32 vcc_lo, v6, v7
	s_or_b32 s1, vcc_lo, s1
	s_andn2_b32 exec_lo, exec_lo, s1
	s_cbranch_execnz .LBB359_15
; %bb.16:
	s_inst_prefetch 0x2
	s_or_b32 exec_lo, exec_lo, s1
.LBB359_17:
	v_add_nc_u32_e32 v3, v6, v0
	s_mov_b32 s3, -1
.LBB359_18:
	s_and_b32 exec_lo, exec_lo, s3
	s_cbranch_execz .LBB359_20
; %bb.19:
	v_mov_b32_e32 v4, 0
	v_lshlrev_b64 v[3:4], 3, v[3:4]
	v_add_co_u32 v3, vcc_lo, s10, v3
	v_add_co_ci_u32_e64 v4, null, s11, v4, vcc_lo
	s_waitcnt vmcnt(0)
	global_store_dwordx2 v[3:4], v[1:2], off
.LBB359_20:
	s_endpgm
	.section	.rodata,"a",@progbits
	.p2align	6, 0x0
	.amdhsa_kernel _ZN7rocprim17ROCPRIM_400000_NS6detail17trampoline_kernelINS0_14default_configENS1_38merge_sort_block_merge_config_selectorIxNS0_10empty_typeEEEZZNS1_27merge_sort_block_merge_implIS3_N6thrust23THRUST_200600_302600_NS6detail15normal_iteratorINS9_10device_ptrIxEEEEPS5_m11less_div_10IxEEE10hipError_tT0_T1_T2_jT3_P12ihipStream_tbPNSt15iterator_traitsISJ_E10value_typeEPNSP_ISK_E10value_typeEPSL_NS1_7vsmem_tEENKUlT_SJ_SK_SL_E_clIPxSE_SF_SF_EESI_SY_SJ_SK_SL_EUlSY_E1_NS1_11comp_targetILNS1_3genE8ELNS1_11target_archE1030ELNS1_3gpuE2ELNS1_3repE0EEENS1_36merge_oddeven_config_static_selectorELNS0_4arch9wavefront6targetE0EEEvSK_
		.amdhsa_group_segment_fixed_size 0
		.amdhsa_private_segment_fixed_size 0
		.amdhsa_kernarg_size 56
		.amdhsa_user_sgpr_count 6
		.amdhsa_user_sgpr_private_segment_buffer 1
		.amdhsa_user_sgpr_dispatch_ptr 0
		.amdhsa_user_sgpr_queue_ptr 0
		.amdhsa_user_sgpr_kernarg_segment_ptr 1
		.amdhsa_user_sgpr_dispatch_id 0
		.amdhsa_user_sgpr_flat_scratch_init 0
		.amdhsa_user_sgpr_private_segment_size 0
		.amdhsa_wavefront_size32 1
		.amdhsa_uses_dynamic_stack 0
		.amdhsa_system_sgpr_private_segment_wavefront_offset 0
		.amdhsa_system_sgpr_workgroup_id_x 1
		.amdhsa_system_sgpr_workgroup_id_y 0
		.amdhsa_system_sgpr_workgroup_id_z 0
		.amdhsa_system_sgpr_workgroup_info 0
		.amdhsa_system_vgpr_workitem_id 0
		.amdhsa_next_free_vgpr 10
		.amdhsa_next_free_sgpr 16
		.amdhsa_reserve_vcc 1
		.amdhsa_reserve_flat_scratch 0
		.amdhsa_float_round_mode_32 0
		.amdhsa_float_round_mode_16_64 0
		.amdhsa_float_denorm_mode_32 3
		.amdhsa_float_denorm_mode_16_64 3
		.amdhsa_dx10_clamp 1
		.amdhsa_ieee_mode 1
		.amdhsa_fp16_overflow 0
		.amdhsa_workgroup_processor_mode 1
		.amdhsa_memory_ordered 1
		.amdhsa_forward_progress 1
		.amdhsa_shared_vgpr_count 0
		.amdhsa_exception_fp_ieee_invalid_op 0
		.amdhsa_exception_fp_denorm_src 0
		.amdhsa_exception_fp_ieee_div_zero 0
		.amdhsa_exception_fp_ieee_overflow 0
		.amdhsa_exception_fp_ieee_underflow 0
		.amdhsa_exception_fp_ieee_inexact 0
		.amdhsa_exception_int_div_zero 0
	.end_amdhsa_kernel
	.section	.text._ZN7rocprim17ROCPRIM_400000_NS6detail17trampoline_kernelINS0_14default_configENS1_38merge_sort_block_merge_config_selectorIxNS0_10empty_typeEEEZZNS1_27merge_sort_block_merge_implIS3_N6thrust23THRUST_200600_302600_NS6detail15normal_iteratorINS9_10device_ptrIxEEEEPS5_m11less_div_10IxEEE10hipError_tT0_T1_T2_jT3_P12ihipStream_tbPNSt15iterator_traitsISJ_E10value_typeEPNSP_ISK_E10value_typeEPSL_NS1_7vsmem_tEENKUlT_SJ_SK_SL_E_clIPxSE_SF_SF_EESI_SY_SJ_SK_SL_EUlSY_E1_NS1_11comp_targetILNS1_3genE8ELNS1_11target_archE1030ELNS1_3gpuE2ELNS1_3repE0EEENS1_36merge_oddeven_config_static_selectorELNS0_4arch9wavefront6targetE0EEEvSK_,"axG",@progbits,_ZN7rocprim17ROCPRIM_400000_NS6detail17trampoline_kernelINS0_14default_configENS1_38merge_sort_block_merge_config_selectorIxNS0_10empty_typeEEEZZNS1_27merge_sort_block_merge_implIS3_N6thrust23THRUST_200600_302600_NS6detail15normal_iteratorINS9_10device_ptrIxEEEEPS5_m11less_div_10IxEEE10hipError_tT0_T1_T2_jT3_P12ihipStream_tbPNSt15iterator_traitsISJ_E10value_typeEPNSP_ISK_E10value_typeEPSL_NS1_7vsmem_tEENKUlT_SJ_SK_SL_E_clIPxSE_SF_SF_EESI_SY_SJ_SK_SL_EUlSY_E1_NS1_11comp_targetILNS1_3genE8ELNS1_11target_archE1030ELNS1_3gpuE2ELNS1_3repE0EEENS1_36merge_oddeven_config_static_selectorELNS0_4arch9wavefront6targetE0EEEvSK_,comdat
.Lfunc_end359:
	.size	_ZN7rocprim17ROCPRIM_400000_NS6detail17trampoline_kernelINS0_14default_configENS1_38merge_sort_block_merge_config_selectorIxNS0_10empty_typeEEEZZNS1_27merge_sort_block_merge_implIS3_N6thrust23THRUST_200600_302600_NS6detail15normal_iteratorINS9_10device_ptrIxEEEEPS5_m11less_div_10IxEEE10hipError_tT0_T1_T2_jT3_P12ihipStream_tbPNSt15iterator_traitsISJ_E10value_typeEPNSP_ISK_E10value_typeEPSL_NS1_7vsmem_tEENKUlT_SJ_SK_SL_E_clIPxSE_SF_SF_EESI_SY_SJ_SK_SL_EUlSY_E1_NS1_11comp_targetILNS1_3genE8ELNS1_11target_archE1030ELNS1_3gpuE2ELNS1_3repE0EEENS1_36merge_oddeven_config_static_selectorELNS0_4arch9wavefront6targetE0EEEvSK_, .Lfunc_end359-_ZN7rocprim17ROCPRIM_400000_NS6detail17trampoline_kernelINS0_14default_configENS1_38merge_sort_block_merge_config_selectorIxNS0_10empty_typeEEEZZNS1_27merge_sort_block_merge_implIS3_N6thrust23THRUST_200600_302600_NS6detail15normal_iteratorINS9_10device_ptrIxEEEEPS5_m11less_div_10IxEEE10hipError_tT0_T1_T2_jT3_P12ihipStream_tbPNSt15iterator_traitsISJ_E10value_typeEPNSP_ISK_E10value_typeEPSL_NS1_7vsmem_tEENKUlT_SJ_SK_SL_E_clIPxSE_SF_SF_EESI_SY_SJ_SK_SL_EUlSY_E1_NS1_11comp_targetILNS1_3genE8ELNS1_11target_archE1030ELNS1_3gpuE2ELNS1_3repE0EEENS1_36merge_oddeven_config_static_selectorELNS0_4arch9wavefront6targetE0EEEvSK_
                                        ; -- End function
	.set _ZN7rocprim17ROCPRIM_400000_NS6detail17trampoline_kernelINS0_14default_configENS1_38merge_sort_block_merge_config_selectorIxNS0_10empty_typeEEEZZNS1_27merge_sort_block_merge_implIS3_N6thrust23THRUST_200600_302600_NS6detail15normal_iteratorINS9_10device_ptrIxEEEEPS5_m11less_div_10IxEEE10hipError_tT0_T1_T2_jT3_P12ihipStream_tbPNSt15iterator_traitsISJ_E10value_typeEPNSP_ISK_E10value_typeEPSL_NS1_7vsmem_tEENKUlT_SJ_SK_SL_E_clIPxSE_SF_SF_EESI_SY_SJ_SK_SL_EUlSY_E1_NS1_11comp_targetILNS1_3genE8ELNS1_11target_archE1030ELNS1_3gpuE2ELNS1_3repE0EEENS1_36merge_oddeven_config_static_selectorELNS0_4arch9wavefront6targetE0EEEvSK_.num_vgpr, 10
	.set _ZN7rocprim17ROCPRIM_400000_NS6detail17trampoline_kernelINS0_14default_configENS1_38merge_sort_block_merge_config_selectorIxNS0_10empty_typeEEEZZNS1_27merge_sort_block_merge_implIS3_N6thrust23THRUST_200600_302600_NS6detail15normal_iteratorINS9_10device_ptrIxEEEEPS5_m11less_div_10IxEEE10hipError_tT0_T1_T2_jT3_P12ihipStream_tbPNSt15iterator_traitsISJ_E10value_typeEPNSP_ISK_E10value_typeEPSL_NS1_7vsmem_tEENKUlT_SJ_SK_SL_E_clIPxSE_SF_SF_EESI_SY_SJ_SK_SL_EUlSY_E1_NS1_11comp_targetILNS1_3genE8ELNS1_11target_archE1030ELNS1_3gpuE2ELNS1_3repE0EEENS1_36merge_oddeven_config_static_selectorELNS0_4arch9wavefront6targetE0EEEvSK_.num_agpr, 0
	.set _ZN7rocprim17ROCPRIM_400000_NS6detail17trampoline_kernelINS0_14default_configENS1_38merge_sort_block_merge_config_selectorIxNS0_10empty_typeEEEZZNS1_27merge_sort_block_merge_implIS3_N6thrust23THRUST_200600_302600_NS6detail15normal_iteratorINS9_10device_ptrIxEEEEPS5_m11less_div_10IxEEE10hipError_tT0_T1_T2_jT3_P12ihipStream_tbPNSt15iterator_traitsISJ_E10value_typeEPNSP_ISK_E10value_typeEPSL_NS1_7vsmem_tEENKUlT_SJ_SK_SL_E_clIPxSE_SF_SF_EESI_SY_SJ_SK_SL_EUlSY_E1_NS1_11comp_targetILNS1_3genE8ELNS1_11target_archE1030ELNS1_3gpuE2ELNS1_3repE0EEENS1_36merge_oddeven_config_static_selectorELNS0_4arch9wavefront6targetE0EEEvSK_.numbered_sgpr, 16
	.set _ZN7rocprim17ROCPRIM_400000_NS6detail17trampoline_kernelINS0_14default_configENS1_38merge_sort_block_merge_config_selectorIxNS0_10empty_typeEEEZZNS1_27merge_sort_block_merge_implIS3_N6thrust23THRUST_200600_302600_NS6detail15normal_iteratorINS9_10device_ptrIxEEEEPS5_m11less_div_10IxEEE10hipError_tT0_T1_T2_jT3_P12ihipStream_tbPNSt15iterator_traitsISJ_E10value_typeEPNSP_ISK_E10value_typeEPSL_NS1_7vsmem_tEENKUlT_SJ_SK_SL_E_clIPxSE_SF_SF_EESI_SY_SJ_SK_SL_EUlSY_E1_NS1_11comp_targetILNS1_3genE8ELNS1_11target_archE1030ELNS1_3gpuE2ELNS1_3repE0EEENS1_36merge_oddeven_config_static_selectorELNS0_4arch9wavefront6targetE0EEEvSK_.num_named_barrier, 0
	.set _ZN7rocprim17ROCPRIM_400000_NS6detail17trampoline_kernelINS0_14default_configENS1_38merge_sort_block_merge_config_selectorIxNS0_10empty_typeEEEZZNS1_27merge_sort_block_merge_implIS3_N6thrust23THRUST_200600_302600_NS6detail15normal_iteratorINS9_10device_ptrIxEEEEPS5_m11less_div_10IxEEE10hipError_tT0_T1_T2_jT3_P12ihipStream_tbPNSt15iterator_traitsISJ_E10value_typeEPNSP_ISK_E10value_typeEPSL_NS1_7vsmem_tEENKUlT_SJ_SK_SL_E_clIPxSE_SF_SF_EESI_SY_SJ_SK_SL_EUlSY_E1_NS1_11comp_targetILNS1_3genE8ELNS1_11target_archE1030ELNS1_3gpuE2ELNS1_3repE0EEENS1_36merge_oddeven_config_static_selectorELNS0_4arch9wavefront6targetE0EEEvSK_.private_seg_size, 0
	.set _ZN7rocprim17ROCPRIM_400000_NS6detail17trampoline_kernelINS0_14default_configENS1_38merge_sort_block_merge_config_selectorIxNS0_10empty_typeEEEZZNS1_27merge_sort_block_merge_implIS3_N6thrust23THRUST_200600_302600_NS6detail15normal_iteratorINS9_10device_ptrIxEEEEPS5_m11less_div_10IxEEE10hipError_tT0_T1_T2_jT3_P12ihipStream_tbPNSt15iterator_traitsISJ_E10value_typeEPNSP_ISK_E10value_typeEPSL_NS1_7vsmem_tEENKUlT_SJ_SK_SL_E_clIPxSE_SF_SF_EESI_SY_SJ_SK_SL_EUlSY_E1_NS1_11comp_targetILNS1_3genE8ELNS1_11target_archE1030ELNS1_3gpuE2ELNS1_3repE0EEENS1_36merge_oddeven_config_static_selectorELNS0_4arch9wavefront6targetE0EEEvSK_.uses_vcc, 1
	.set _ZN7rocprim17ROCPRIM_400000_NS6detail17trampoline_kernelINS0_14default_configENS1_38merge_sort_block_merge_config_selectorIxNS0_10empty_typeEEEZZNS1_27merge_sort_block_merge_implIS3_N6thrust23THRUST_200600_302600_NS6detail15normal_iteratorINS9_10device_ptrIxEEEEPS5_m11less_div_10IxEEE10hipError_tT0_T1_T2_jT3_P12ihipStream_tbPNSt15iterator_traitsISJ_E10value_typeEPNSP_ISK_E10value_typeEPSL_NS1_7vsmem_tEENKUlT_SJ_SK_SL_E_clIPxSE_SF_SF_EESI_SY_SJ_SK_SL_EUlSY_E1_NS1_11comp_targetILNS1_3genE8ELNS1_11target_archE1030ELNS1_3gpuE2ELNS1_3repE0EEENS1_36merge_oddeven_config_static_selectorELNS0_4arch9wavefront6targetE0EEEvSK_.uses_flat_scratch, 0
	.set _ZN7rocprim17ROCPRIM_400000_NS6detail17trampoline_kernelINS0_14default_configENS1_38merge_sort_block_merge_config_selectorIxNS0_10empty_typeEEEZZNS1_27merge_sort_block_merge_implIS3_N6thrust23THRUST_200600_302600_NS6detail15normal_iteratorINS9_10device_ptrIxEEEEPS5_m11less_div_10IxEEE10hipError_tT0_T1_T2_jT3_P12ihipStream_tbPNSt15iterator_traitsISJ_E10value_typeEPNSP_ISK_E10value_typeEPSL_NS1_7vsmem_tEENKUlT_SJ_SK_SL_E_clIPxSE_SF_SF_EESI_SY_SJ_SK_SL_EUlSY_E1_NS1_11comp_targetILNS1_3genE8ELNS1_11target_archE1030ELNS1_3gpuE2ELNS1_3repE0EEENS1_36merge_oddeven_config_static_selectorELNS0_4arch9wavefront6targetE0EEEvSK_.has_dyn_sized_stack, 0
	.set _ZN7rocprim17ROCPRIM_400000_NS6detail17trampoline_kernelINS0_14default_configENS1_38merge_sort_block_merge_config_selectorIxNS0_10empty_typeEEEZZNS1_27merge_sort_block_merge_implIS3_N6thrust23THRUST_200600_302600_NS6detail15normal_iteratorINS9_10device_ptrIxEEEEPS5_m11less_div_10IxEEE10hipError_tT0_T1_T2_jT3_P12ihipStream_tbPNSt15iterator_traitsISJ_E10value_typeEPNSP_ISK_E10value_typeEPSL_NS1_7vsmem_tEENKUlT_SJ_SK_SL_E_clIPxSE_SF_SF_EESI_SY_SJ_SK_SL_EUlSY_E1_NS1_11comp_targetILNS1_3genE8ELNS1_11target_archE1030ELNS1_3gpuE2ELNS1_3repE0EEENS1_36merge_oddeven_config_static_selectorELNS0_4arch9wavefront6targetE0EEEvSK_.has_recursion, 0
	.set _ZN7rocprim17ROCPRIM_400000_NS6detail17trampoline_kernelINS0_14default_configENS1_38merge_sort_block_merge_config_selectorIxNS0_10empty_typeEEEZZNS1_27merge_sort_block_merge_implIS3_N6thrust23THRUST_200600_302600_NS6detail15normal_iteratorINS9_10device_ptrIxEEEEPS5_m11less_div_10IxEEE10hipError_tT0_T1_T2_jT3_P12ihipStream_tbPNSt15iterator_traitsISJ_E10value_typeEPNSP_ISK_E10value_typeEPSL_NS1_7vsmem_tEENKUlT_SJ_SK_SL_E_clIPxSE_SF_SF_EESI_SY_SJ_SK_SL_EUlSY_E1_NS1_11comp_targetILNS1_3genE8ELNS1_11target_archE1030ELNS1_3gpuE2ELNS1_3repE0EEENS1_36merge_oddeven_config_static_selectorELNS0_4arch9wavefront6targetE0EEEvSK_.has_indirect_call, 0
	.section	.AMDGPU.csdata,"",@progbits
; Kernel info:
; codeLenInByte = 780
; TotalNumSgprs: 18
; NumVgprs: 10
; ScratchSize: 0
; MemoryBound: 0
; FloatMode: 240
; IeeeMode: 1
; LDSByteSize: 0 bytes/workgroup (compile time only)
; SGPRBlocks: 0
; VGPRBlocks: 1
; NumSGPRsForWavesPerEU: 18
; NumVGPRsForWavesPerEU: 10
; Occupancy: 16
; WaveLimiterHint : 0
; COMPUTE_PGM_RSRC2:SCRATCH_EN: 0
; COMPUTE_PGM_RSRC2:USER_SGPR: 6
; COMPUTE_PGM_RSRC2:TRAP_HANDLER: 0
; COMPUTE_PGM_RSRC2:TGID_X_EN: 1
; COMPUTE_PGM_RSRC2:TGID_Y_EN: 0
; COMPUTE_PGM_RSRC2:TGID_Z_EN: 0
; COMPUTE_PGM_RSRC2:TIDIG_COMP_CNT: 0
	.section	.text._ZN7rocprim17ROCPRIM_400000_NS6detail17trampoline_kernelINS0_14default_configENS1_38merge_sort_block_merge_config_selectorIxNS0_10empty_typeEEEZZNS1_27merge_sort_block_merge_implIS3_N6thrust23THRUST_200600_302600_NS6detail15normal_iteratorINS9_10device_ptrIxEEEEPS5_m11less_div_10IxEEE10hipError_tT0_T1_T2_jT3_P12ihipStream_tbPNSt15iterator_traitsISJ_E10value_typeEPNSP_ISK_E10value_typeEPSL_NS1_7vsmem_tEENKUlT_SJ_SK_SL_E_clISE_PxSF_SF_EESI_SY_SJ_SK_SL_EUlSY_E_NS1_11comp_targetILNS1_3genE0ELNS1_11target_archE4294967295ELNS1_3gpuE0ELNS1_3repE0EEENS1_48merge_mergepath_partition_config_static_selectorELNS0_4arch9wavefront6targetE0EEEvSK_,"axG",@progbits,_ZN7rocprim17ROCPRIM_400000_NS6detail17trampoline_kernelINS0_14default_configENS1_38merge_sort_block_merge_config_selectorIxNS0_10empty_typeEEEZZNS1_27merge_sort_block_merge_implIS3_N6thrust23THRUST_200600_302600_NS6detail15normal_iteratorINS9_10device_ptrIxEEEEPS5_m11less_div_10IxEEE10hipError_tT0_T1_T2_jT3_P12ihipStream_tbPNSt15iterator_traitsISJ_E10value_typeEPNSP_ISK_E10value_typeEPSL_NS1_7vsmem_tEENKUlT_SJ_SK_SL_E_clISE_PxSF_SF_EESI_SY_SJ_SK_SL_EUlSY_E_NS1_11comp_targetILNS1_3genE0ELNS1_11target_archE4294967295ELNS1_3gpuE0ELNS1_3repE0EEENS1_48merge_mergepath_partition_config_static_selectorELNS0_4arch9wavefront6targetE0EEEvSK_,comdat
	.protected	_ZN7rocprim17ROCPRIM_400000_NS6detail17trampoline_kernelINS0_14default_configENS1_38merge_sort_block_merge_config_selectorIxNS0_10empty_typeEEEZZNS1_27merge_sort_block_merge_implIS3_N6thrust23THRUST_200600_302600_NS6detail15normal_iteratorINS9_10device_ptrIxEEEEPS5_m11less_div_10IxEEE10hipError_tT0_T1_T2_jT3_P12ihipStream_tbPNSt15iterator_traitsISJ_E10value_typeEPNSP_ISK_E10value_typeEPSL_NS1_7vsmem_tEENKUlT_SJ_SK_SL_E_clISE_PxSF_SF_EESI_SY_SJ_SK_SL_EUlSY_E_NS1_11comp_targetILNS1_3genE0ELNS1_11target_archE4294967295ELNS1_3gpuE0ELNS1_3repE0EEENS1_48merge_mergepath_partition_config_static_selectorELNS0_4arch9wavefront6targetE0EEEvSK_ ; -- Begin function _ZN7rocprim17ROCPRIM_400000_NS6detail17trampoline_kernelINS0_14default_configENS1_38merge_sort_block_merge_config_selectorIxNS0_10empty_typeEEEZZNS1_27merge_sort_block_merge_implIS3_N6thrust23THRUST_200600_302600_NS6detail15normal_iteratorINS9_10device_ptrIxEEEEPS5_m11less_div_10IxEEE10hipError_tT0_T1_T2_jT3_P12ihipStream_tbPNSt15iterator_traitsISJ_E10value_typeEPNSP_ISK_E10value_typeEPSL_NS1_7vsmem_tEENKUlT_SJ_SK_SL_E_clISE_PxSF_SF_EESI_SY_SJ_SK_SL_EUlSY_E_NS1_11comp_targetILNS1_3genE0ELNS1_11target_archE4294967295ELNS1_3gpuE0ELNS1_3repE0EEENS1_48merge_mergepath_partition_config_static_selectorELNS0_4arch9wavefront6targetE0EEEvSK_
	.globl	_ZN7rocprim17ROCPRIM_400000_NS6detail17trampoline_kernelINS0_14default_configENS1_38merge_sort_block_merge_config_selectorIxNS0_10empty_typeEEEZZNS1_27merge_sort_block_merge_implIS3_N6thrust23THRUST_200600_302600_NS6detail15normal_iteratorINS9_10device_ptrIxEEEEPS5_m11less_div_10IxEEE10hipError_tT0_T1_T2_jT3_P12ihipStream_tbPNSt15iterator_traitsISJ_E10value_typeEPNSP_ISK_E10value_typeEPSL_NS1_7vsmem_tEENKUlT_SJ_SK_SL_E_clISE_PxSF_SF_EESI_SY_SJ_SK_SL_EUlSY_E_NS1_11comp_targetILNS1_3genE0ELNS1_11target_archE4294967295ELNS1_3gpuE0ELNS1_3repE0EEENS1_48merge_mergepath_partition_config_static_selectorELNS0_4arch9wavefront6targetE0EEEvSK_
	.p2align	8
	.type	_ZN7rocprim17ROCPRIM_400000_NS6detail17trampoline_kernelINS0_14default_configENS1_38merge_sort_block_merge_config_selectorIxNS0_10empty_typeEEEZZNS1_27merge_sort_block_merge_implIS3_N6thrust23THRUST_200600_302600_NS6detail15normal_iteratorINS9_10device_ptrIxEEEEPS5_m11less_div_10IxEEE10hipError_tT0_T1_T2_jT3_P12ihipStream_tbPNSt15iterator_traitsISJ_E10value_typeEPNSP_ISK_E10value_typeEPSL_NS1_7vsmem_tEENKUlT_SJ_SK_SL_E_clISE_PxSF_SF_EESI_SY_SJ_SK_SL_EUlSY_E_NS1_11comp_targetILNS1_3genE0ELNS1_11target_archE4294967295ELNS1_3gpuE0ELNS1_3repE0EEENS1_48merge_mergepath_partition_config_static_selectorELNS0_4arch9wavefront6targetE0EEEvSK_,@function
_ZN7rocprim17ROCPRIM_400000_NS6detail17trampoline_kernelINS0_14default_configENS1_38merge_sort_block_merge_config_selectorIxNS0_10empty_typeEEEZZNS1_27merge_sort_block_merge_implIS3_N6thrust23THRUST_200600_302600_NS6detail15normal_iteratorINS9_10device_ptrIxEEEEPS5_m11less_div_10IxEEE10hipError_tT0_T1_T2_jT3_P12ihipStream_tbPNSt15iterator_traitsISJ_E10value_typeEPNSP_ISK_E10value_typeEPSL_NS1_7vsmem_tEENKUlT_SJ_SK_SL_E_clISE_PxSF_SF_EESI_SY_SJ_SK_SL_EUlSY_E_NS1_11comp_targetILNS1_3genE0ELNS1_11target_archE4294967295ELNS1_3gpuE0ELNS1_3repE0EEENS1_48merge_mergepath_partition_config_static_selectorELNS0_4arch9wavefront6targetE0EEEvSK_: ; @_ZN7rocprim17ROCPRIM_400000_NS6detail17trampoline_kernelINS0_14default_configENS1_38merge_sort_block_merge_config_selectorIxNS0_10empty_typeEEEZZNS1_27merge_sort_block_merge_implIS3_N6thrust23THRUST_200600_302600_NS6detail15normal_iteratorINS9_10device_ptrIxEEEEPS5_m11less_div_10IxEEE10hipError_tT0_T1_T2_jT3_P12ihipStream_tbPNSt15iterator_traitsISJ_E10value_typeEPNSP_ISK_E10value_typeEPSL_NS1_7vsmem_tEENKUlT_SJ_SK_SL_E_clISE_PxSF_SF_EESI_SY_SJ_SK_SL_EUlSY_E_NS1_11comp_targetILNS1_3genE0ELNS1_11target_archE4294967295ELNS1_3gpuE0ELNS1_3repE0EEENS1_48merge_mergepath_partition_config_static_selectorELNS0_4arch9wavefront6targetE0EEEvSK_
; %bb.0:
	.section	.rodata,"a",@progbits
	.p2align	6, 0x0
	.amdhsa_kernel _ZN7rocprim17ROCPRIM_400000_NS6detail17trampoline_kernelINS0_14default_configENS1_38merge_sort_block_merge_config_selectorIxNS0_10empty_typeEEEZZNS1_27merge_sort_block_merge_implIS3_N6thrust23THRUST_200600_302600_NS6detail15normal_iteratorINS9_10device_ptrIxEEEEPS5_m11less_div_10IxEEE10hipError_tT0_T1_T2_jT3_P12ihipStream_tbPNSt15iterator_traitsISJ_E10value_typeEPNSP_ISK_E10value_typeEPSL_NS1_7vsmem_tEENKUlT_SJ_SK_SL_E_clISE_PxSF_SF_EESI_SY_SJ_SK_SL_EUlSY_E_NS1_11comp_targetILNS1_3genE0ELNS1_11target_archE4294967295ELNS1_3gpuE0ELNS1_3repE0EEENS1_48merge_mergepath_partition_config_static_selectorELNS0_4arch9wavefront6targetE0EEEvSK_
		.amdhsa_group_segment_fixed_size 0
		.amdhsa_private_segment_fixed_size 0
		.amdhsa_kernarg_size 48
		.amdhsa_user_sgpr_count 6
		.amdhsa_user_sgpr_private_segment_buffer 1
		.amdhsa_user_sgpr_dispatch_ptr 0
		.amdhsa_user_sgpr_queue_ptr 0
		.amdhsa_user_sgpr_kernarg_segment_ptr 1
		.amdhsa_user_sgpr_dispatch_id 0
		.amdhsa_user_sgpr_flat_scratch_init 0
		.amdhsa_user_sgpr_private_segment_size 0
		.amdhsa_wavefront_size32 1
		.amdhsa_uses_dynamic_stack 0
		.amdhsa_system_sgpr_private_segment_wavefront_offset 0
		.amdhsa_system_sgpr_workgroup_id_x 1
		.amdhsa_system_sgpr_workgroup_id_y 0
		.amdhsa_system_sgpr_workgroup_id_z 0
		.amdhsa_system_sgpr_workgroup_info 0
		.amdhsa_system_vgpr_workitem_id 0
		.amdhsa_next_free_vgpr 1
		.amdhsa_next_free_sgpr 1
		.amdhsa_reserve_vcc 0
		.amdhsa_reserve_flat_scratch 0
		.amdhsa_float_round_mode_32 0
		.amdhsa_float_round_mode_16_64 0
		.amdhsa_float_denorm_mode_32 3
		.amdhsa_float_denorm_mode_16_64 3
		.amdhsa_dx10_clamp 1
		.amdhsa_ieee_mode 1
		.amdhsa_fp16_overflow 0
		.amdhsa_workgroup_processor_mode 1
		.amdhsa_memory_ordered 1
		.amdhsa_forward_progress 1
		.amdhsa_shared_vgpr_count 0
		.amdhsa_exception_fp_ieee_invalid_op 0
		.amdhsa_exception_fp_denorm_src 0
		.amdhsa_exception_fp_ieee_div_zero 0
		.amdhsa_exception_fp_ieee_overflow 0
		.amdhsa_exception_fp_ieee_underflow 0
		.amdhsa_exception_fp_ieee_inexact 0
		.amdhsa_exception_int_div_zero 0
	.end_amdhsa_kernel
	.section	.text._ZN7rocprim17ROCPRIM_400000_NS6detail17trampoline_kernelINS0_14default_configENS1_38merge_sort_block_merge_config_selectorIxNS0_10empty_typeEEEZZNS1_27merge_sort_block_merge_implIS3_N6thrust23THRUST_200600_302600_NS6detail15normal_iteratorINS9_10device_ptrIxEEEEPS5_m11less_div_10IxEEE10hipError_tT0_T1_T2_jT3_P12ihipStream_tbPNSt15iterator_traitsISJ_E10value_typeEPNSP_ISK_E10value_typeEPSL_NS1_7vsmem_tEENKUlT_SJ_SK_SL_E_clISE_PxSF_SF_EESI_SY_SJ_SK_SL_EUlSY_E_NS1_11comp_targetILNS1_3genE0ELNS1_11target_archE4294967295ELNS1_3gpuE0ELNS1_3repE0EEENS1_48merge_mergepath_partition_config_static_selectorELNS0_4arch9wavefront6targetE0EEEvSK_,"axG",@progbits,_ZN7rocprim17ROCPRIM_400000_NS6detail17trampoline_kernelINS0_14default_configENS1_38merge_sort_block_merge_config_selectorIxNS0_10empty_typeEEEZZNS1_27merge_sort_block_merge_implIS3_N6thrust23THRUST_200600_302600_NS6detail15normal_iteratorINS9_10device_ptrIxEEEEPS5_m11less_div_10IxEEE10hipError_tT0_T1_T2_jT3_P12ihipStream_tbPNSt15iterator_traitsISJ_E10value_typeEPNSP_ISK_E10value_typeEPSL_NS1_7vsmem_tEENKUlT_SJ_SK_SL_E_clISE_PxSF_SF_EESI_SY_SJ_SK_SL_EUlSY_E_NS1_11comp_targetILNS1_3genE0ELNS1_11target_archE4294967295ELNS1_3gpuE0ELNS1_3repE0EEENS1_48merge_mergepath_partition_config_static_selectorELNS0_4arch9wavefront6targetE0EEEvSK_,comdat
.Lfunc_end360:
	.size	_ZN7rocprim17ROCPRIM_400000_NS6detail17trampoline_kernelINS0_14default_configENS1_38merge_sort_block_merge_config_selectorIxNS0_10empty_typeEEEZZNS1_27merge_sort_block_merge_implIS3_N6thrust23THRUST_200600_302600_NS6detail15normal_iteratorINS9_10device_ptrIxEEEEPS5_m11less_div_10IxEEE10hipError_tT0_T1_T2_jT3_P12ihipStream_tbPNSt15iterator_traitsISJ_E10value_typeEPNSP_ISK_E10value_typeEPSL_NS1_7vsmem_tEENKUlT_SJ_SK_SL_E_clISE_PxSF_SF_EESI_SY_SJ_SK_SL_EUlSY_E_NS1_11comp_targetILNS1_3genE0ELNS1_11target_archE4294967295ELNS1_3gpuE0ELNS1_3repE0EEENS1_48merge_mergepath_partition_config_static_selectorELNS0_4arch9wavefront6targetE0EEEvSK_, .Lfunc_end360-_ZN7rocprim17ROCPRIM_400000_NS6detail17trampoline_kernelINS0_14default_configENS1_38merge_sort_block_merge_config_selectorIxNS0_10empty_typeEEEZZNS1_27merge_sort_block_merge_implIS3_N6thrust23THRUST_200600_302600_NS6detail15normal_iteratorINS9_10device_ptrIxEEEEPS5_m11less_div_10IxEEE10hipError_tT0_T1_T2_jT3_P12ihipStream_tbPNSt15iterator_traitsISJ_E10value_typeEPNSP_ISK_E10value_typeEPSL_NS1_7vsmem_tEENKUlT_SJ_SK_SL_E_clISE_PxSF_SF_EESI_SY_SJ_SK_SL_EUlSY_E_NS1_11comp_targetILNS1_3genE0ELNS1_11target_archE4294967295ELNS1_3gpuE0ELNS1_3repE0EEENS1_48merge_mergepath_partition_config_static_selectorELNS0_4arch9wavefront6targetE0EEEvSK_
                                        ; -- End function
	.set _ZN7rocprim17ROCPRIM_400000_NS6detail17trampoline_kernelINS0_14default_configENS1_38merge_sort_block_merge_config_selectorIxNS0_10empty_typeEEEZZNS1_27merge_sort_block_merge_implIS3_N6thrust23THRUST_200600_302600_NS6detail15normal_iteratorINS9_10device_ptrIxEEEEPS5_m11less_div_10IxEEE10hipError_tT0_T1_T2_jT3_P12ihipStream_tbPNSt15iterator_traitsISJ_E10value_typeEPNSP_ISK_E10value_typeEPSL_NS1_7vsmem_tEENKUlT_SJ_SK_SL_E_clISE_PxSF_SF_EESI_SY_SJ_SK_SL_EUlSY_E_NS1_11comp_targetILNS1_3genE0ELNS1_11target_archE4294967295ELNS1_3gpuE0ELNS1_3repE0EEENS1_48merge_mergepath_partition_config_static_selectorELNS0_4arch9wavefront6targetE0EEEvSK_.num_vgpr, 0
	.set _ZN7rocprim17ROCPRIM_400000_NS6detail17trampoline_kernelINS0_14default_configENS1_38merge_sort_block_merge_config_selectorIxNS0_10empty_typeEEEZZNS1_27merge_sort_block_merge_implIS3_N6thrust23THRUST_200600_302600_NS6detail15normal_iteratorINS9_10device_ptrIxEEEEPS5_m11less_div_10IxEEE10hipError_tT0_T1_T2_jT3_P12ihipStream_tbPNSt15iterator_traitsISJ_E10value_typeEPNSP_ISK_E10value_typeEPSL_NS1_7vsmem_tEENKUlT_SJ_SK_SL_E_clISE_PxSF_SF_EESI_SY_SJ_SK_SL_EUlSY_E_NS1_11comp_targetILNS1_3genE0ELNS1_11target_archE4294967295ELNS1_3gpuE0ELNS1_3repE0EEENS1_48merge_mergepath_partition_config_static_selectorELNS0_4arch9wavefront6targetE0EEEvSK_.num_agpr, 0
	.set _ZN7rocprim17ROCPRIM_400000_NS6detail17trampoline_kernelINS0_14default_configENS1_38merge_sort_block_merge_config_selectorIxNS0_10empty_typeEEEZZNS1_27merge_sort_block_merge_implIS3_N6thrust23THRUST_200600_302600_NS6detail15normal_iteratorINS9_10device_ptrIxEEEEPS5_m11less_div_10IxEEE10hipError_tT0_T1_T2_jT3_P12ihipStream_tbPNSt15iterator_traitsISJ_E10value_typeEPNSP_ISK_E10value_typeEPSL_NS1_7vsmem_tEENKUlT_SJ_SK_SL_E_clISE_PxSF_SF_EESI_SY_SJ_SK_SL_EUlSY_E_NS1_11comp_targetILNS1_3genE0ELNS1_11target_archE4294967295ELNS1_3gpuE0ELNS1_3repE0EEENS1_48merge_mergepath_partition_config_static_selectorELNS0_4arch9wavefront6targetE0EEEvSK_.numbered_sgpr, 0
	.set _ZN7rocprim17ROCPRIM_400000_NS6detail17trampoline_kernelINS0_14default_configENS1_38merge_sort_block_merge_config_selectorIxNS0_10empty_typeEEEZZNS1_27merge_sort_block_merge_implIS3_N6thrust23THRUST_200600_302600_NS6detail15normal_iteratorINS9_10device_ptrIxEEEEPS5_m11less_div_10IxEEE10hipError_tT0_T1_T2_jT3_P12ihipStream_tbPNSt15iterator_traitsISJ_E10value_typeEPNSP_ISK_E10value_typeEPSL_NS1_7vsmem_tEENKUlT_SJ_SK_SL_E_clISE_PxSF_SF_EESI_SY_SJ_SK_SL_EUlSY_E_NS1_11comp_targetILNS1_3genE0ELNS1_11target_archE4294967295ELNS1_3gpuE0ELNS1_3repE0EEENS1_48merge_mergepath_partition_config_static_selectorELNS0_4arch9wavefront6targetE0EEEvSK_.num_named_barrier, 0
	.set _ZN7rocprim17ROCPRIM_400000_NS6detail17trampoline_kernelINS0_14default_configENS1_38merge_sort_block_merge_config_selectorIxNS0_10empty_typeEEEZZNS1_27merge_sort_block_merge_implIS3_N6thrust23THRUST_200600_302600_NS6detail15normal_iteratorINS9_10device_ptrIxEEEEPS5_m11less_div_10IxEEE10hipError_tT0_T1_T2_jT3_P12ihipStream_tbPNSt15iterator_traitsISJ_E10value_typeEPNSP_ISK_E10value_typeEPSL_NS1_7vsmem_tEENKUlT_SJ_SK_SL_E_clISE_PxSF_SF_EESI_SY_SJ_SK_SL_EUlSY_E_NS1_11comp_targetILNS1_3genE0ELNS1_11target_archE4294967295ELNS1_3gpuE0ELNS1_3repE0EEENS1_48merge_mergepath_partition_config_static_selectorELNS0_4arch9wavefront6targetE0EEEvSK_.private_seg_size, 0
	.set _ZN7rocprim17ROCPRIM_400000_NS6detail17trampoline_kernelINS0_14default_configENS1_38merge_sort_block_merge_config_selectorIxNS0_10empty_typeEEEZZNS1_27merge_sort_block_merge_implIS3_N6thrust23THRUST_200600_302600_NS6detail15normal_iteratorINS9_10device_ptrIxEEEEPS5_m11less_div_10IxEEE10hipError_tT0_T1_T2_jT3_P12ihipStream_tbPNSt15iterator_traitsISJ_E10value_typeEPNSP_ISK_E10value_typeEPSL_NS1_7vsmem_tEENKUlT_SJ_SK_SL_E_clISE_PxSF_SF_EESI_SY_SJ_SK_SL_EUlSY_E_NS1_11comp_targetILNS1_3genE0ELNS1_11target_archE4294967295ELNS1_3gpuE0ELNS1_3repE0EEENS1_48merge_mergepath_partition_config_static_selectorELNS0_4arch9wavefront6targetE0EEEvSK_.uses_vcc, 0
	.set _ZN7rocprim17ROCPRIM_400000_NS6detail17trampoline_kernelINS0_14default_configENS1_38merge_sort_block_merge_config_selectorIxNS0_10empty_typeEEEZZNS1_27merge_sort_block_merge_implIS3_N6thrust23THRUST_200600_302600_NS6detail15normal_iteratorINS9_10device_ptrIxEEEEPS5_m11less_div_10IxEEE10hipError_tT0_T1_T2_jT3_P12ihipStream_tbPNSt15iterator_traitsISJ_E10value_typeEPNSP_ISK_E10value_typeEPSL_NS1_7vsmem_tEENKUlT_SJ_SK_SL_E_clISE_PxSF_SF_EESI_SY_SJ_SK_SL_EUlSY_E_NS1_11comp_targetILNS1_3genE0ELNS1_11target_archE4294967295ELNS1_3gpuE0ELNS1_3repE0EEENS1_48merge_mergepath_partition_config_static_selectorELNS0_4arch9wavefront6targetE0EEEvSK_.uses_flat_scratch, 0
	.set _ZN7rocprim17ROCPRIM_400000_NS6detail17trampoline_kernelINS0_14default_configENS1_38merge_sort_block_merge_config_selectorIxNS0_10empty_typeEEEZZNS1_27merge_sort_block_merge_implIS3_N6thrust23THRUST_200600_302600_NS6detail15normal_iteratorINS9_10device_ptrIxEEEEPS5_m11less_div_10IxEEE10hipError_tT0_T1_T2_jT3_P12ihipStream_tbPNSt15iterator_traitsISJ_E10value_typeEPNSP_ISK_E10value_typeEPSL_NS1_7vsmem_tEENKUlT_SJ_SK_SL_E_clISE_PxSF_SF_EESI_SY_SJ_SK_SL_EUlSY_E_NS1_11comp_targetILNS1_3genE0ELNS1_11target_archE4294967295ELNS1_3gpuE0ELNS1_3repE0EEENS1_48merge_mergepath_partition_config_static_selectorELNS0_4arch9wavefront6targetE0EEEvSK_.has_dyn_sized_stack, 0
	.set _ZN7rocprim17ROCPRIM_400000_NS6detail17trampoline_kernelINS0_14default_configENS1_38merge_sort_block_merge_config_selectorIxNS0_10empty_typeEEEZZNS1_27merge_sort_block_merge_implIS3_N6thrust23THRUST_200600_302600_NS6detail15normal_iteratorINS9_10device_ptrIxEEEEPS5_m11less_div_10IxEEE10hipError_tT0_T1_T2_jT3_P12ihipStream_tbPNSt15iterator_traitsISJ_E10value_typeEPNSP_ISK_E10value_typeEPSL_NS1_7vsmem_tEENKUlT_SJ_SK_SL_E_clISE_PxSF_SF_EESI_SY_SJ_SK_SL_EUlSY_E_NS1_11comp_targetILNS1_3genE0ELNS1_11target_archE4294967295ELNS1_3gpuE0ELNS1_3repE0EEENS1_48merge_mergepath_partition_config_static_selectorELNS0_4arch9wavefront6targetE0EEEvSK_.has_recursion, 0
	.set _ZN7rocprim17ROCPRIM_400000_NS6detail17trampoline_kernelINS0_14default_configENS1_38merge_sort_block_merge_config_selectorIxNS0_10empty_typeEEEZZNS1_27merge_sort_block_merge_implIS3_N6thrust23THRUST_200600_302600_NS6detail15normal_iteratorINS9_10device_ptrIxEEEEPS5_m11less_div_10IxEEE10hipError_tT0_T1_T2_jT3_P12ihipStream_tbPNSt15iterator_traitsISJ_E10value_typeEPNSP_ISK_E10value_typeEPSL_NS1_7vsmem_tEENKUlT_SJ_SK_SL_E_clISE_PxSF_SF_EESI_SY_SJ_SK_SL_EUlSY_E_NS1_11comp_targetILNS1_3genE0ELNS1_11target_archE4294967295ELNS1_3gpuE0ELNS1_3repE0EEENS1_48merge_mergepath_partition_config_static_selectorELNS0_4arch9wavefront6targetE0EEEvSK_.has_indirect_call, 0
	.section	.AMDGPU.csdata,"",@progbits
; Kernel info:
; codeLenInByte = 0
; TotalNumSgprs: 0
; NumVgprs: 0
; ScratchSize: 0
; MemoryBound: 0
; FloatMode: 240
; IeeeMode: 1
; LDSByteSize: 0 bytes/workgroup (compile time only)
; SGPRBlocks: 0
; VGPRBlocks: 0
; NumSGPRsForWavesPerEU: 1
; NumVGPRsForWavesPerEU: 1
; Occupancy: 16
; WaveLimiterHint : 0
; COMPUTE_PGM_RSRC2:SCRATCH_EN: 0
; COMPUTE_PGM_RSRC2:USER_SGPR: 6
; COMPUTE_PGM_RSRC2:TRAP_HANDLER: 0
; COMPUTE_PGM_RSRC2:TGID_X_EN: 1
; COMPUTE_PGM_RSRC2:TGID_Y_EN: 0
; COMPUTE_PGM_RSRC2:TGID_Z_EN: 0
; COMPUTE_PGM_RSRC2:TIDIG_COMP_CNT: 0
	.section	.text._ZN7rocprim17ROCPRIM_400000_NS6detail17trampoline_kernelINS0_14default_configENS1_38merge_sort_block_merge_config_selectorIxNS0_10empty_typeEEEZZNS1_27merge_sort_block_merge_implIS3_N6thrust23THRUST_200600_302600_NS6detail15normal_iteratorINS9_10device_ptrIxEEEEPS5_m11less_div_10IxEEE10hipError_tT0_T1_T2_jT3_P12ihipStream_tbPNSt15iterator_traitsISJ_E10value_typeEPNSP_ISK_E10value_typeEPSL_NS1_7vsmem_tEENKUlT_SJ_SK_SL_E_clISE_PxSF_SF_EESI_SY_SJ_SK_SL_EUlSY_E_NS1_11comp_targetILNS1_3genE10ELNS1_11target_archE1201ELNS1_3gpuE5ELNS1_3repE0EEENS1_48merge_mergepath_partition_config_static_selectorELNS0_4arch9wavefront6targetE0EEEvSK_,"axG",@progbits,_ZN7rocprim17ROCPRIM_400000_NS6detail17trampoline_kernelINS0_14default_configENS1_38merge_sort_block_merge_config_selectorIxNS0_10empty_typeEEEZZNS1_27merge_sort_block_merge_implIS3_N6thrust23THRUST_200600_302600_NS6detail15normal_iteratorINS9_10device_ptrIxEEEEPS5_m11less_div_10IxEEE10hipError_tT0_T1_T2_jT3_P12ihipStream_tbPNSt15iterator_traitsISJ_E10value_typeEPNSP_ISK_E10value_typeEPSL_NS1_7vsmem_tEENKUlT_SJ_SK_SL_E_clISE_PxSF_SF_EESI_SY_SJ_SK_SL_EUlSY_E_NS1_11comp_targetILNS1_3genE10ELNS1_11target_archE1201ELNS1_3gpuE5ELNS1_3repE0EEENS1_48merge_mergepath_partition_config_static_selectorELNS0_4arch9wavefront6targetE0EEEvSK_,comdat
	.protected	_ZN7rocprim17ROCPRIM_400000_NS6detail17trampoline_kernelINS0_14default_configENS1_38merge_sort_block_merge_config_selectorIxNS0_10empty_typeEEEZZNS1_27merge_sort_block_merge_implIS3_N6thrust23THRUST_200600_302600_NS6detail15normal_iteratorINS9_10device_ptrIxEEEEPS5_m11less_div_10IxEEE10hipError_tT0_T1_T2_jT3_P12ihipStream_tbPNSt15iterator_traitsISJ_E10value_typeEPNSP_ISK_E10value_typeEPSL_NS1_7vsmem_tEENKUlT_SJ_SK_SL_E_clISE_PxSF_SF_EESI_SY_SJ_SK_SL_EUlSY_E_NS1_11comp_targetILNS1_3genE10ELNS1_11target_archE1201ELNS1_3gpuE5ELNS1_3repE0EEENS1_48merge_mergepath_partition_config_static_selectorELNS0_4arch9wavefront6targetE0EEEvSK_ ; -- Begin function _ZN7rocprim17ROCPRIM_400000_NS6detail17trampoline_kernelINS0_14default_configENS1_38merge_sort_block_merge_config_selectorIxNS0_10empty_typeEEEZZNS1_27merge_sort_block_merge_implIS3_N6thrust23THRUST_200600_302600_NS6detail15normal_iteratorINS9_10device_ptrIxEEEEPS5_m11less_div_10IxEEE10hipError_tT0_T1_T2_jT3_P12ihipStream_tbPNSt15iterator_traitsISJ_E10value_typeEPNSP_ISK_E10value_typeEPSL_NS1_7vsmem_tEENKUlT_SJ_SK_SL_E_clISE_PxSF_SF_EESI_SY_SJ_SK_SL_EUlSY_E_NS1_11comp_targetILNS1_3genE10ELNS1_11target_archE1201ELNS1_3gpuE5ELNS1_3repE0EEENS1_48merge_mergepath_partition_config_static_selectorELNS0_4arch9wavefront6targetE0EEEvSK_
	.globl	_ZN7rocprim17ROCPRIM_400000_NS6detail17trampoline_kernelINS0_14default_configENS1_38merge_sort_block_merge_config_selectorIxNS0_10empty_typeEEEZZNS1_27merge_sort_block_merge_implIS3_N6thrust23THRUST_200600_302600_NS6detail15normal_iteratorINS9_10device_ptrIxEEEEPS5_m11less_div_10IxEEE10hipError_tT0_T1_T2_jT3_P12ihipStream_tbPNSt15iterator_traitsISJ_E10value_typeEPNSP_ISK_E10value_typeEPSL_NS1_7vsmem_tEENKUlT_SJ_SK_SL_E_clISE_PxSF_SF_EESI_SY_SJ_SK_SL_EUlSY_E_NS1_11comp_targetILNS1_3genE10ELNS1_11target_archE1201ELNS1_3gpuE5ELNS1_3repE0EEENS1_48merge_mergepath_partition_config_static_selectorELNS0_4arch9wavefront6targetE0EEEvSK_
	.p2align	8
	.type	_ZN7rocprim17ROCPRIM_400000_NS6detail17trampoline_kernelINS0_14default_configENS1_38merge_sort_block_merge_config_selectorIxNS0_10empty_typeEEEZZNS1_27merge_sort_block_merge_implIS3_N6thrust23THRUST_200600_302600_NS6detail15normal_iteratorINS9_10device_ptrIxEEEEPS5_m11less_div_10IxEEE10hipError_tT0_T1_T2_jT3_P12ihipStream_tbPNSt15iterator_traitsISJ_E10value_typeEPNSP_ISK_E10value_typeEPSL_NS1_7vsmem_tEENKUlT_SJ_SK_SL_E_clISE_PxSF_SF_EESI_SY_SJ_SK_SL_EUlSY_E_NS1_11comp_targetILNS1_3genE10ELNS1_11target_archE1201ELNS1_3gpuE5ELNS1_3repE0EEENS1_48merge_mergepath_partition_config_static_selectorELNS0_4arch9wavefront6targetE0EEEvSK_,@function
_ZN7rocprim17ROCPRIM_400000_NS6detail17trampoline_kernelINS0_14default_configENS1_38merge_sort_block_merge_config_selectorIxNS0_10empty_typeEEEZZNS1_27merge_sort_block_merge_implIS3_N6thrust23THRUST_200600_302600_NS6detail15normal_iteratorINS9_10device_ptrIxEEEEPS5_m11less_div_10IxEEE10hipError_tT0_T1_T2_jT3_P12ihipStream_tbPNSt15iterator_traitsISJ_E10value_typeEPNSP_ISK_E10value_typeEPSL_NS1_7vsmem_tEENKUlT_SJ_SK_SL_E_clISE_PxSF_SF_EESI_SY_SJ_SK_SL_EUlSY_E_NS1_11comp_targetILNS1_3genE10ELNS1_11target_archE1201ELNS1_3gpuE5ELNS1_3repE0EEENS1_48merge_mergepath_partition_config_static_selectorELNS0_4arch9wavefront6targetE0EEEvSK_: ; @_ZN7rocprim17ROCPRIM_400000_NS6detail17trampoline_kernelINS0_14default_configENS1_38merge_sort_block_merge_config_selectorIxNS0_10empty_typeEEEZZNS1_27merge_sort_block_merge_implIS3_N6thrust23THRUST_200600_302600_NS6detail15normal_iteratorINS9_10device_ptrIxEEEEPS5_m11less_div_10IxEEE10hipError_tT0_T1_T2_jT3_P12ihipStream_tbPNSt15iterator_traitsISJ_E10value_typeEPNSP_ISK_E10value_typeEPSL_NS1_7vsmem_tEENKUlT_SJ_SK_SL_E_clISE_PxSF_SF_EESI_SY_SJ_SK_SL_EUlSY_E_NS1_11comp_targetILNS1_3genE10ELNS1_11target_archE1201ELNS1_3gpuE5ELNS1_3repE0EEENS1_48merge_mergepath_partition_config_static_selectorELNS0_4arch9wavefront6targetE0EEEvSK_
; %bb.0:
	.section	.rodata,"a",@progbits
	.p2align	6, 0x0
	.amdhsa_kernel _ZN7rocprim17ROCPRIM_400000_NS6detail17trampoline_kernelINS0_14default_configENS1_38merge_sort_block_merge_config_selectorIxNS0_10empty_typeEEEZZNS1_27merge_sort_block_merge_implIS3_N6thrust23THRUST_200600_302600_NS6detail15normal_iteratorINS9_10device_ptrIxEEEEPS5_m11less_div_10IxEEE10hipError_tT0_T1_T2_jT3_P12ihipStream_tbPNSt15iterator_traitsISJ_E10value_typeEPNSP_ISK_E10value_typeEPSL_NS1_7vsmem_tEENKUlT_SJ_SK_SL_E_clISE_PxSF_SF_EESI_SY_SJ_SK_SL_EUlSY_E_NS1_11comp_targetILNS1_3genE10ELNS1_11target_archE1201ELNS1_3gpuE5ELNS1_3repE0EEENS1_48merge_mergepath_partition_config_static_selectorELNS0_4arch9wavefront6targetE0EEEvSK_
		.amdhsa_group_segment_fixed_size 0
		.amdhsa_private_segment_fixed_size 0
		.amdhsa_kernarg_size 48
		.amdhsa_user_sgpr_count 6
		.amdhsa_user_sgpr_private_segment_buffer 1
		.amdhsa_user_sgpr_dispatch_ptr 0
		.amdhsa_user_sgpr_queue_ptr 0
		.amdhsa_user_sgpr_kernarg_segment_ptr 1
		.amdhsa_user_sgpr_dispatch_id 0
		.amdhsa_user_sgpr_flat_scratch_init 0
		.amdhsa_user_sgpr_private_segment_size 0
		.amdhsa_wavefront_size32 1
		.amdhsa_uses_dynamic_stack 0
		.amdhsa_system_sgpr_private_segment_wavefront_offset 0
		.amdhsa_system_sgpr_workgroup_id_x 1
		.amdhsa_system_sgpr_workgroup_id_y 0
		.amdhsa_system_sgpr_workgroup_id_z 0
		.amdhsa_system_sgpr_workgroup_info 0
		.amdhsa_system_vgpr_workitem_id 0
		.amdhsa_next_free_vgpr 1
		.amdhsa_next_free_sgpr 1
		.amdhsa_reserve_vcc 0
		.amdhsa_reserve_flat_scratch 0
		.amdhsa_float_round_mode_32 0
		.amdhsa_float_round_mode_16_64 0
		.amdhsa_float_denorm_mode_32 3
		.amdhsa_float_denorm_mode_16_64 3
		.amdhsa_dx10_clamp 1
		.amdhsa_ieee_mode 1
		.amdhsa_fp16_overflow 0
		.amdhsa_workgroup_processor_mode 1
		.amdhsa_memory_ordered 1
		.amdhsa_forward_progress 1
		.amdhsa_shared_vgpr_count 0
		.amdhsa_exception_fp_ieee_invalid_op 0
		.amdhsa_exception_fp_denorm_src 0
		.amdhsa_exception_fp_ieee_div_zero 0
		.amdhsa_exception_fp_ieee_overflow 0
		.amdhsa_exception_fp_ieee_underflow 0
		.amdhsa_exception_fp_ieee_inexact 0
		.amdhsa_exception_int_div_zero 0
	.end_amdhsa_kernel
	.section	.text._ZN7rocprim17ROCPRIM_400000_NS6detail17trampoline_kernelINS0_14default_configENS1_38merge_sort_block_merge_config_selectorIxNS0_10empty_typeEEEZZNS1_27merge_sort_block_merge_implIS3_N6thrust23THRUST_200600_302600_NS6detail15normal_iteratorINS9_10device_ptrIxEEEEPS5_m11less_div_10IxEEE10hipError_tT0_T1_T2_jT3_P12ihipStream_tbPNSt15iterator_traitsISJ_E10value_typeEPNSP_ISK_E10value_typeEPSL_NS1_7vsmem_tEENKUlT_SJ_SK_SL_E_clISE_PxSF_SF_EESI_SY_SJ_SK_SL_EUlSY_E_NS1_11comp_targetILNS1_3genE10ELNS1_11target_archE1201ELNS1_3gpuE5ELNS1_3repE0EEENS1_48merge_mergepath_partition_config_static_selectorELNS0_4arch9wavefront6targetE0EEEvSK_,"axG",@progbits,_ZN7rocprim17ROCPRIM_400000_NS6detail17trampoline_kernelINS0_14default_configENS1_38merge_sort_block_merge_config_selectorIxNS0_10empty_typeEEEZZNS1_27merge_sort_block_merge_implIS3_N6thrust23THRUST_200600_302600_NS6detail15normal_iteratorINS9_10device_ptrIxEEEEPS5_m11less_div_10IxEEE10hipError_tT0_T1_T2_jT3_P12ihipStream_tbPNSt15iterator_traitsISJ_E10value_typeEPNSP_ISK_E10value_typeEPSL_NS1_7vsmem_tEENKUlT_SJ_SK_SL_E_clISE_PxSF_SF_EESI_SY_SJ_SK_SL_EUlSY_E_NS1_11comp_targetILNS1_3genE10ELNS1_11target_archE1201ELNS1_3gpuE5ELNS1_3repE0EEENS1_48merge_mergepath_partition_config_static_selectorELNS0_4arch9wavefront6targetE0EEEvSK_,comdat
.Lfunc_end361:
	.size	_ZN7rocprim17ROCPRIM_400000_NS6detail17trampoline_kernelINS0_14default_configENS1_38merge_sort_block_merge_config_selectorIxNS0_10empty_typeEEEZZNS1_27merge_sort_block_merge_implIS3_N6thrust23THRUST_200600_302600_NS6detail15normal_iteratorINS9_10device_ptrIxEEEEPS5_m11less_div_10IxEEE10hipError_tT0_T1_T2_jT3_P12ihipStream_tbPNSt15iterator_traitsISJ_E10value_typeEPNSP_ISK_E10value_typeEPSL_NS1_7vsmem_tEENKUlT_SJ_SK_SL_E_clISE_PxSF_SF_EESI_SY_SJ_SK_SL_EUlSY_E_NS1_11comp_targetILNS1_3genE10ELNS1_11target_archE1201ELNS1_3gpuE5ELNS1_3repE0EEENS1_48merge_mergepath_partition_config_static_selectorELNS0_4arch9wavefront6targetE0EEEvSK_, .Lfunc_end361-_ZN7rocprim17ROCPRIM_400000_NS6detail17trampoline_kernelINS0_14default_configENS1_38merge_sort_block_merge_config_selectorIxNS0_10empty_typeEEEZZNS1_27merge_sort_block_merge_implIS3_N6thrust23THRUST_200600_302600_NS6detail15normal_iteratorINS9_10device_ptrIxEEEEPS5_m11less_div_10IxEEE10hipError_tT0_T1_T2_jT3_P12ihipStream_tbPNSt15iterator_traitsISJ_E10value_typeEPNSP_ISK_E10value_typeEPSL_NS1_7vsmem_tEENKUlT_SJ_SK_SL_E_clISE_PxSF_SF_EESI_SY_SJ_SK_SL_EUlSY_E_NS1_11comp_targetILNS1_3genE10ELNS1_11target_archE1201ELNS1_3gpuE5ELNS1_3repE0EEENS1_48merge_mergepath_partition_config_static_selectorELNS0_4arch9wavefront6targetE0EEEvSK_
                                        ; -- End function
	.set _ZN7rocprim17ROCPRIM_400000_NS6detail17trampoline_kernelINS0_14default_configENS1_38merge_sort_block_merge_config_selectorIxNS0_10empty_typeEEEZZNS1_27merge_sort_block_merge_implIS3_N6thrust23THRUST_200600_302600_NS6detail15normal_iteratorINS9_10device_ptrIxEEEEPS5_m11less_div_10IxEEE10hipError_tT0_T1_T2_jT3_P12ihipStream_tbPNSt15iterator_traitsISJ_E10value_typeEPNSP_ISK_E10value_typeEPSL_NS1_7vsmem_tEENKUlT_SJ_SK_SL_E_clISE_PxSF_SF_EESI_SY_SJ_SK_SL_EUlSY_E_NS1_11comp_targetILNS1_3genE10ELNS1_11target_archE1201ELNS1_3gpuE5ELNS1_3repE0EEENS1_48merge_mergepath_partition_config_static_selectorELNS0_4arch9wavefront6targetE0EEEvSK_.num_vgpr, 0
	.set _ZN7rocprim17ROCPRIM_400000_NS6detail17trampoline_kernelINS0_14default_configENS1_38merge_sort_block_merge_config_selectorIxNS0_10empty_typeEEEZZNS1_27merge_sort_block_merge_implIS3_N6thrust23THRUST_200600_302600_NS6detail15normal_iteratorINS9_10device_ptrIxEEEEPS5_m11less_div_10IxEEE10hipError_tT0_T1_T2_jT3_P12ihipStream_tbPNSt15iterator_traitsISJ_E10value_typeEPNSP_ISK_E10value_typeEPSL_NS1_7vsmem_tEENKUlT_SJ_SK_SL_E_clISE_PxSF_SF_EESI_SY_SJ_SK_SL_EUlSY_E_NS1_11comp_targetILNS1_3genE10ELNS1_11target_archE1201ELNS1_3gpuE5ELNS1_3repE0EEENS1_48merge_mergepath_partition_config_static_selectorELNS0_4arch9wavefront6targetE0EEEvSK_.num_agpr, 0
	.set _ZN7rocprim17ROCPRIM_400000_NS6detail17trampoline_kernelINS0_14default_configENS1_38merge_sort_block_merge_config_selectorIxNS0_10empty_typeEEEZZNS1_27merge_sort_block_merge_implIS3_N6thrust23THRUST_200600_302600_NS6detail15normal_iteratorINS9_10device_ptrIxEEEEPS5_m11less_div_10IxEEE10hipError_tT0_T1_T2_jT3_P12ihipStream_tbPNSt15iterator_traitsISJ_E10value_typeEPNSP_ISK_E10value_typeEPSL_NS1_7vsmem_tEENKUlT_SJ_SK_SL_E_clISE_PxSF_SF_EESI_SY_SJ_SK_SL_EUlSY_E_NS1_11comp_targetILNS1_3genE10ELNS1_11target_archE1201ELNS1_3gpuE5ELNS1_3repE0EEENS1_48merge_mergepath_partition_config_static_selectorELNS0_4arch9wavefront6targetE0EEEvSK_.numbered_sgpr, 0
	.set _ZN7rocprim17ROCPRIM_400000_NS6detail17trampoline_kernelINS0_14default_configENS1_38merge_sort_block_merge_config_selectorIxNS0_10empty_typeEEEZZNS1_27merge_sort_block_merge_implIS3_N6thrust23THRUST_200600_302600_NS6detail15normal_iteratorINS9_10device_ptrIxEEEEPS5_m11less_div_10IxEEE10hipError_tT0_T1_T2_jT3_P12ihipStream_tbPNSt15iterator_traitsISJ_E10value_typeEPNSP_ISK_E10value_typeEPSL_NS1_7vsmem_tEENKUlT_SJ_SK_SL_E_clISE_PxSF_SF_EESI_SY_SJ_SK_SL_EUlSY_E_NS1_11comp_targetILNS1_3genE10ELNS1_11target_archE1201ELNS1_3gpuE5ELNS1_3repE0EEENS1_48merge_mergepath_partition_config_static_selectorELNS0_4arch9wavefront6targetE0EEEvSK_.num_named_barrier, 0
	.set _ZN7rocprim17ROCPRIM_400000_NS6detail17trampoline_kernelINS0_14default_configENS1_38merge_sort_block_merge_config_selectorIxNS0_10empty_typeEEEZZNS1_27merge_sort_block_merge_implIS3_N6thrust23THRUST_200600_302600_NS6detail15normal_iteratorINS9_10device_ptrIxEEEEPS5_m11less_div_10IxEEE10hipError_tT0_T1_T2_jT3_P12ihipStream_tbPNSt15iterator_traitsISJ_E10value_typeEPNSP_ISK_E10value_typeEPSL_NS1_7vsmem_tEENKUlT_SJ_SK_SL_E_clISE_PxSF_SF_EESI_SY_SJ_SK_SL_EUlSY_E_NS1_11comp_targetILNS1_3genE10ELNS1_11target_archE1201ELNS1_3gpuE5ELNS1_3repE0EEENS1_48merge_mergepath_partition_config_static_selectorELNS0_4arch9wavefront6targetE0EEEvSK_.private_seg_size, 0
	.set _ZN7rocprim17ROCPRIM_400000_NS6detail17trampoline_kernelINS0_14default_configENS1_38merge_sort_block_merge_config_selectorIxNS0_10empty_typeEEEZZNS1_27merge_sort_block_merge_implIS3_N6thrust23THRUST_200600_302600_NS6detail15normal_iteratorINS9_10device_ptrIxEEEEPS5_m11less_div_10IxEEE10hipError_tT0_T1_T2_jT3_P12ihipStream_tbPNSt15iterator_traitsISJ_E10value_typeEPNSP_ISK_E10value_typeEPSL_NS1_7vsmem_tEENKUlT_SJ_SK_SL_E_clISE_PxSF_SF_EESI_SY_SJ_SK_SL_EUlSY_E_NS1_11comp_targetILNS1_3genE10ELNS1_11target_archE1201ELNS1_3gpuE5ELNS1_3repE0EEENS1_48merge_mergepath_partition_config_static_selectorELNS0_4arch9wavefront6targetE0EEEvSK_.uses_vcc, 0
	.set _ZN7rocprim17ROCPRIM_400000_NS6detail17trampoline_kernelINS0_14default_configENS1_38merge_sort_block_merge_config_selectorIxNS0_10empty_typeEEEZZNS1_27merge_sort_block_merge_implIS3_N6thrust23THRUST_200600_302600_NS6detail15normal_iteratorINS9_10device_ptrIxEEEEPS5_m11less_div_10IxEEE10hipError_tT0_T1_T2_jT3_P12ihipStream_tbPNSt15iterator_traitsISJ_E10value_typeEPNSP_ISK_E10value_typeEPSL_NS1_7vsmem_tEENKUlT_SJ_SK_SL_E_clISE_PxSF_SF_EESI_SY_SJ_SK_SL_EUlSY_E_NS1_11comp_targetILNS1_3genE10ELNS1_11target_archE1201ELNS1_3gpuE5ELNS1_3repE0EEENS1_48merge_mergepath_partition_config_static_selectorELNS0_4arch9wavefront6targetE0EEEvSK_.uses_flat_scratch, 0
	.set _ZN7rocprim17ROCPRIM_400000_NS6detail17trampoline_kernelINS0_14default_configENS1_38merge_sort_block_merge_config_selectorIxNS0_10empty_typeEEEZZNS1_27merge_sort_block_merge_implIS3_N6thrust23THRUST_200600_302600_NS6detail15normal_iteratorINS9_10device_ptrIxEEEEPS5_m11less_div_10IxEEE10hipError_tT0_T1_T2_jT3_P12ihipStream_tbPNSt15iterator_traitsISJ_E10value_typeEPNSP_ISK_E10value_typeEPSL_NS1_7vsmem_tEENKUlT_SJ_SK_SL_E_clISE_PxSF_SF_EESI_SY_SJ_SK_SL_EUlSY_E_NS1_11comp_targetILNS1_3genE10ELNS1_11target_archE1201ELNS1_3gpuE5ELNS1_3repE0EEENS1_48merge_mergepath_partition_config_static_selectorELNS0_4arch9wavefront6targetE0EEEvSK_.has_dyn_sized_stack, 0
	.set _ZN7rocprim17ROCPRIM_400000_NS6detail17trampoline_kernelINS0_14default_configENS1_38merge_sort_block_merge_config_selectorIxNS0_10empty_typeEEEZZNS1_27merge_sort_block_merge_implIS3_N6thrust23THRUST_200600_302600_NS6detail15normal_iteratorINS9_10device_ptrIxEEEEPS5_m11less_div_10IxEEE10hipError_tT0_T1_T2_jT3_P12ihipStream_tbPNSt15iterator_traitsISJ_E10value_typeEPNSP_ISK_E10value_typeEPSL_NS1_7vsmem_tEENKUlT_SJ_SK_SL_E_clISE_PxSF_SF_EESI_SY_SJ_SK_SL_EUlSY_E_NS1_11comp_targetILNS1_3genE10ELNS1_11target_archE1201ELNS1_3gpuE5ELNS1_3repE0EEENS1_48merge_mergepath_partition_config_static_selectorELNS0_4arch9wavefront6targetE0EEEvSK_.has_recursion, 0
	.set _ZN7rocprim17ROCPRIM_400000_NS6detail17trampoline_kernelINS0_14default_configENS1_38merge_sort_block_merge_config_selectorIxNS0_10empty_typeEEEZZNS1_27merge_sort_block_merge_implIS3_N6thrust23THRUST_200600_302600_NS6detail15normal_iteratorINS9_10device_ptrIxEEEEPS5_m11less_div_10IxEEE10hipError_tT0_T1_T2_jT3_P12ihipStream_tbPNSt15iterator_traitsISJ_E10value_typeEPNSP_ISK_E10value_typeEPSL_NS1_7vsmem_tEENKUlT_SJ_SK_SL_E_clISE_PxSF_SF_EESI_SY_SJ_SK_SL_EUlSY_E_NS1_11comp_targetILNS1_3genE10ELNS1_11target_archE1201ELNS1_3gpuE5ELNS1_3repE0EEENS1_48merge_mergepath_partition_config_static_selectorELNS0_4arch9wavefront6targetE0EEEvSK_.has_indirect_call, 0
	.section	.AMDGPU.csdata,"",@progbits
; Kernel info:
; codeLenInByte = 0
; TotalNumSgprs: 0
; NumVgprs: 0
; ScratchSize: 0
; MemoryBound: 0
; FloatMode: 240
; IeeeMode: 1
; LDSByteSize: 0 bytes/workgroup (compile time only)
; SGPRBlocks: 0
; VGPRBlocks: 0
; NumSGPRsForWavesPerEU: 1
; NumVGPRsForWavesPerEU: 1
; Occupancy: 16
; WaveLimiterHint : 0
; COMPUTE_PGM_RSRC2:SCRATCH_EN: 0
; COMPUTE_PGM_RSRC2:USER_SGPR: 6
; COMPUTE_PGM_RSRC2:TRAP_HANDLER: 0
; COMPUTE_PGM_RSRC2:TGID_X_EN: 1
; COMPUTE_PGM_RSRC2:TGID_Y_EN: 0
; COMPUTE_PGM_RSRC2:TGID_Z_EN: 0
; COMPUTE_PGM_RSRC2:TIDIG_COMP_CNT: 0
	.section	.text._ZN7rocprim17ROCPRIM_400000_NS6detail17trampoline_kernelINS0_14default_configENS1_38merge_sort_block_merge_config_selectorIxNS0_10empty_typeEEEZZNS1_27merge_sort_block_merge_implIS3_N6thrust23THRUST_200600_302600_NS6detail15normal_iteratorINS9_10device_ptrIxEEEEPS5_m11less_div_10IxEEE10hipError_tT0_T1_T2_jT3_P12ihipStream_tbPNSt15iterator_traitsISJ_E10value_typeEPNSP_ISK_E10value_typeEPSL_NS1_7vsmem_tEENKUlT_SJ_SK_SL_E_clISE_PxSF_SF_EESI_SY_SJ_SK_SL_EUlSY_E_NS1_11comp_targetILNS1_3genE5ELNS1_11target_archE942ELNS1_3gpuE9ELNS1_3repE0EEENS1_48merge_mergepath_partition_config_static_selectorELNS0_4arch9wavefront6targetE0EEEvSK_,"axG",@progbits,_ZN7rocprim17ROCPRIM_400000_NS6detail17trampoline_kernelINS0_14default_configENS1_38merge_sort_block_merge_config_selectorIxNS0_10empty_typeEEEZZNS1_27merge_sort_block_merge_implIS3_N6thrust23THRUST_200600_302600_NS6detail15normal_iteratorINS9_10device_ptrIxEEEEPS5_m11less_div_10IxEEE10hipError_tT0_T1_T2_jT3_P12ihipStream_tbPNSt15iterator_traitsISJ_E10value_typeEPNSP_ISK_E10value_typeEPSL_NS1_7vsmem_tEENKUlT_SJ_SK_SL_E_clISE_PxSF_SF_EESI_SY_SJ_SK_SL_EUlSY_E_NS1_11comp_targetILNS1_3genE5ELNS1_11target_archE942ELNS1_3gpuE9ELNS1_3repE0EEENS1_48merge_mergepath_partition_config_static_selectorELNS0_4arch9wavefront6targetE0EEEvSK_,comdat
	.protected	_ZN7rocprim17ROCPRIM_400000_NS6detail17trampoline_kernelINS0_14default_configENS1_38merge_sort_block_merge_config_selectorIxNS0_10empty_typeEEEZZNS1_27merge_sort_block_merge_implIS3_N6thrust23THRUST_200600_302600_NS6detail15normal_iteratorINS9_10device_ptrIxEEEEPS5_m11less_div_10IxEEE10hipError_tT0_T1_T2_jT3_P12ihipStream_tbPNSt15iterator_traitsISJ_E10value_typeEPNSP_ISK_E10value_typeEPSL_NS1_7vsmem_tEENKUlT_SJ_SK_SL_E_clISE_PxSF_SF_EESI_SY_SJ_SK_SL_EUlSY_E_NS1_11comp_targetILNS1_3genE5ELNS1_11target_archE942ELNS1_3gpuE9ELNS1_3repE0EEENS1_48merge_mergepath_partition_config_static_selectorELNS0_4arch9wavefront6targetE0EEEvSK_ ; -- Begin function _ZN7rocprim17ROCPRIM_400000_NS6detail17trampoline_kernelINS0_14default_configENS1_38merge_sort_block_merge_config_selectorIxNS0_10empty_typeEEEZZNS1_27merge_sort_block_merge_implIS3_N6thrust23THRUST_200600_302600_NS6detail15normal_iteratorINS9_10device_ptrIxEEEEPS5_m11less_div_10IxEEE10hipError_tT0_T1_T2_jT3_P12ihipStream_tbPNSt15iterator_traitsISJ_E10value_typeEPNSP_ISK_E10value_typeEPSL_NS1_7vsmem_tEENKUlT_SJ_SK_SL_E_clISE_PxSF_SF_EESI_SY_SJ_SK_SL_EUlSY_E_NS1_11comp_targetILNS1_3genE5ELNS1_11target_archE942ELNS1_3gpuE9ELNS1_3repE0EEENS1_48merge_mergepath_partition_config_static_selectorELNS0_4arch9wavefront6targetE0EEEvSK_
	.globl	_ZN7rocprim17ROCPRIM_400000_NS6detail17trampoline_kernelINS0_14default_configENS1_38merge_sort_block_merge_config_selectorIxNS0_10empty_typeEEEZZNS1_27merge_sort_block_merge_implIS3_N6thrust23THRUST_200600_302600_NS6detail15normal_iteratorINS9_10device_ptrIxEEEEPS5_m11less_div_10IxEEE10hipError_tT0_T1_T2_jT3_P12ihipStream_tbPNSt15iterator_traitsISJ_E10value_typeEPNSP_ISK_E10value_typeEPSL_NS1_7vsmem_tEENKUlT_SJ_SK_SL_E_clISE_PxSF_SF_EESI_SY_SJ_SK_SL_EUlSY_E_NS1_11comp_targetILNS1_3genE5ELNS1_11target_archE942ELNS1_3gpuE9ELNS1_3repE0EEENS1_48merge_mergepath_partition_config_static_selectorELNS0_4arch9wavefront6targetE0EEEvSK_
	.p2align	8
	.type	_ZN7rocprim17ROCPRIM_400000_NS6detail17trampoline_kernelINS0_14default_configENS1_38merge_sort_block_merge_config_selectorIxNS0_10empty_typeEEEZZNS1_27merge_sort_block_merge_implIS3_N6thrust23THRUST_200600_302600_NS6detail15normal_iteratorINS9_10device_ptrIxEEEEPS5_m11less_div_10IxEEE10hipError_tT0_T1_T2_jT3_P12ihipStream_tbPNSt15iterator_traitsISJ_E10value_typeEPNSP_ISK_E10value_typeEPSL_NS1_7vsmem_tEENKUlT_SJ_SK_SL_E_clISE_PxSF_SF_EESI_SY_SJ_SK_SL_EUlSY_E_NS1_11comp_targetILNS1_3genE5ELNS1_11target_archE942ELNS1_3gpuE9ELNS1_3repE0EEENS1_48merge_mergepath_partition_config_static_selectorELNS0_4arch9wavefront6targetE0EEEvSK_,@function
_ZN7rocprim17ROCPRIM_400000_NS6detail17trampoline_kernelINS0_14default_configENS1_38merge_sort_block_merge_config_selectorIxNS0_10empty_typeEEEZZNS1_27merge_sort_block_merge_implIS3_N6thrust23THRUST_200600_302600_NS6detail15normal_iteratorINS9_10device_ptrIxEEEEPS5_m11less_div_10IxEEE10hipError_tT0_T1_T2_jT3_P12ihipStream_tbPNSt15iterator_traitsISJ_E10value_typeEPNSP_ISK_E10value_typeEPSL_NS1_7vsmem_tEENKUlT_SJ_SK_SL_E_clISE_PxSF_SF_EESI_SY_SJ_SK_SL_EUlSY_E_NS1_11comp_targetILNS1_3genE5ELNS1_11target_archE942ELNS1_3gpuE9ELNS1_3repE0EEENS1_48merge_mergepath_partition_config_static_selectorELNS0_4arch9wavefront6targetE0EEEvSK_: ; @_ZN7rocprim17ROCPRIM_400000_NS6detail17trampoline_kernelINS0_14default_configENS1_38merge_sort_block_merge_config_selectorIxNS0_10empty_typeEEEZZNS1_27merge_sort_block_merge_implIS3_N6thrust23THRUST_200600_302600_NS6detail15normal_iteratorINS9_10device_ptrIxEEEEPS5_m11less_div_10IxEEE10hipError_tT0_T1_T2_jT3_P12ihipStream_tbPNSt15iterator_traitsISJ_E10value_typeEPNSP_ISK_E10value_typeEPSL_NS1_7vsmem_tEENKUlT_SJ_SK_SL_E_clISE_PxSF_SF_EESI_SY_SJ_SK_SL_EUlSY_E_NS1_11comp_targetILNS1_3genE5ELNS1_11target_archE942ELNS1_3gpuE9ELNS1_3repE0EEENS1_48merge_mergepath_partition_config_static_selectorELNS0_4arch9wavefront6targetE0EEEvSK_
; %bb.0:
	.section	.rodata,"a",@progbits
	.p2align	6, 0x0
	.amdhsa_kernel _ZN7rocprim17ROCPRIM_400000_NS6detail17trampoline_kernelINS0_14default_configENS1_38merge_sort_block_merge_config_selectorIxNS0_10empty_typeEEEZZNS1_27merge_sort_block_merge_implIS3_N6thrust23THRUST_200600_302600_NS6detail15normal_iteratorINS9_10device_ptrIxEEEEPS5_m11less_div_10IxEEE10hipError_tT0_T1_T2_jT3_P12ihipStream_tbPNSt15iterator_traitsISJ_E10value_typeEPNSP_ISK_E10value_typeEPSL_NS1_7vsmem_tEENKUlT_SJ_SK_SL_E_clISE_PxSF_SF_EESI_SY_SJ_SK_SL_EUlSY_E_NS1_11comp_targetILNS1_3genE5ELNS1_11target_archE942ELNS1_3gpuE9ELNS1_3repE0EEENS1_48merge_mergepath_partition_config_static_selectorELNS0_4arch9wavefront6targetE0EEEvSK_
		.amdhsa_group_segment_fixed_size 0
		.amdhsa_private_segment_fixed_size 0
		.amdhsa_kernarg_size 48
		.amdhsa_user_sgpr_count 6
		.amdhsa_user_sgpr_private_segment_buffer 1
		.amdhsa_user_sgpr_dispatch_ptr 0
		.amdhsa_user_sgpr_queue_ptr 0
		.amdhsa_user_sgpr_kernarg_segment_ptr 1
		.amdhsa_user_sgpr_dispatch_id 0
		.amdhsa_user_sgpr_flat_scratch_init 0
		.amdhsa_user_sgpr_private_segment_size 0
		.amdhsa_wavefront_size32 1
		.amdhsa_uses_dynamic_stack 0
		.amdhsa_system_sgpr_private_segment_wavefront_offset 0
		.amdhsa_system_sgpr_workgroup_id_x 1
		.amdhsa_system_sgpr_workgroup_id_y 0
		.amdhsa_system_sgpr_workgroup_id_z 0
		.amdhsa_system_sgpr_workgroup_info 0
		.amdhsa_system_vgpr_workitem_id 0
		.amdhsa_next_free_vgpr 1
		.amdhsa_next_free_sgpr 1
		.amdhsa_reserve_vcc 0
		.amdhsa_reserve_flat_scratch 0
		.amdhsa_float_round_mode_32 0
		.amdhsa_float_round_mode_16_64 0
		.amdhsa_float_denorm_mode_32 3
		.amdhsa_float_denorm_mode_16_64 3
		.amdhsa_dx10_clamp 1
		.amdhsa_ieee_mode 1
		.amdhsa_fp16_overflow 0
		.amdhsa_workgroup_processor_mode 1
		.amdhsa_memory_ordered 1
		.amdhsa_forward_progress 1
		.amdhsa_shared_vgpr_count 0
		.amdhsa_exception_fp_ieee_invalid_op 0
		.amdhsa_exception_fp_denorm_src 0
		.amdhsa_exception_fp_ieee_div_zero 0
		.amdhsa_exception_fp_ieee_overflow 0
		.amdhsa_exception_fp_ieee_underflow 0
		.amdhsa_exception_fp_ieee_inexact 0
		.amdhsa_exception_int_div_zero 0
	.end_amdhsa_kernel
	.section	.text._ZN7rocprim17ROCPRIM_400000_NS6detail17trampoline_kernelINS0_14default_configENS1_38merge_sort_block_merge_config_selectorIxNS0_10empty_typeEEEZZNS1_27merge_sort_block_merge_implIS3_N6thrust23THRUST_200600_302600_NS6detail15normal_iteratorINS9_10device_ptrIxEEEEPS5_m11less_div_10IxEEE10hipError_tT0_T1_T2_jT3_P12ihipStream_tbPNSt15iterator_traitsISJ_E10value_typeEPNSP_ISK_E10value_typeEPSL_NS1_7vsmem_tEENKUlT_SJ_SK_SL_E_clISE_PxSF_SF_EESI_SY_SJ_SK_SL_EUlSY_E_NS1_11comp_targetILNS1_3genE5ELNS1_11target_archE942ELNS1_3gpuE9ELNS1_3repE0EEENS1_48merge_mergepath_partition_config_static_selectorELNS0_4arch9wavefront6targetE0EEEvSK_,"axG",@progbits,_ZN7rocprim17ROCPRIM_400000_NS6detail17trampoline_kernelINS0_14default_configENS1_38merge_sort_block_merge_config_selectorIxNS0_10empty_typeEEEZZNS1_27merge_sort_block_merge_implIS3_N6thrust23THRUST_200600_302600_NS6detail15normal_iteratorINS9_10device_ptrIxEEEEPS5_m11less_div_10IxEEE10hipError_tT0_T1_T2_jT3_P12ihipStream_tbPNSt15iterator_traitsISJ_E10value_typeEPNSP_ISK_E10value_typeEPSL_NS1_7vsmem_tEENKUlT_SJ_SK_SL_E_clISE_PxSF_SF_EESI_SY_SJ_SK_SL_EUlSY_E_NS1_11comp_targetILNS1_3genE5ELNS1_11target_archE942ELNS1_3gpuE9ELNS1_3repE0EEENS1_48merge_mergepath_partition_config_static_selectorELNS0_4arch9wavefront6targetE0EEEvSK_,comdat
.Lfunc_end362:
	.size	_ZN7rocprim17ROCPRIM_400000_NS6detail17trampoline_kernelINS0_14default_configENS1_38merge_sort_block_merge_config_selectorIxNS0_10empty_typeEEEZZNS1_27merge_sort_block_merge_implIS3_N6thrust23THRUST_200600_302600_NS6detail15normal_iteratorINS9_10device_ptrIxEEEEPS5_m11less_div_10IxEEE10hipError_tT0_T1_T2_jT3_P12ihipStream_tbPNSt15iterator_traitsISJ_E10value_typeEPNSP_ISK_E10value_typeEPSL_NS1_7vsmem_tEENKUlT_SJ_SK_SL_E_clISE_PxSF_SF_EESI_SY_SJ_SK_SL_EUlSY_E_NS1_11comp_targetILNS1_3genE5ELNS1_11target_archE942ELNS1_3gpuE9ELNS1_3repE0EEENS1_48merge_mergepath_partition_config_static_selectorELNS0_4arch9wavefront6targetE0EEEvSK_, .Lfunc_end362-_ZN7rocprim17ROCPRIM_400000_NS6detail17trampoline_kernelINS0_14default_configENS1_38merge_sort_block_merge_config_selectorIxNS0_10empty_typeEEEZZNS1_27merge_sort_block_merge_implIS3_N6thrust23THRUST_200600_302600_NS6detail15normal_iteratorINS9_10device_ptrIxEEEEPS5_m11less_div_10IxEEE10hipError_tT0_T1_T2_jT3_P12ihipStream_tbPNSt15iterator_traitsISJ_E10value_typeEPNSP_ISK_E10value_typeEPSL_NS1_7vsmem_tEENKUlT_SJ_SK_SL_E_clISE_PxSF_SF_EESI_SY_SJ_SK_SL_EUlSY_E_NS1_11comp_targetILNS1_3genE5ELNS1_11target_archE942ELNS1_3gpuE9ELNS1_3repE0EEENS1_48merge_mergepath_partition_config_static_selectorELNS0_4arch9wavefront6targetE0EEEvSK_
                                        ; -- End function
	.set _ZN7rocprim17ROCPRIM_400000_NS6detail17trampoline_kernelINS0_14default_configENS1_38merge_sort_block_merge_config_selectorIxNS0_10empty_typeEEEZZNS1_27merge_sort_block_merge_implIS3_N6thrust23THRUST_200600_302600_NS6detail15normal_iteratorINS9_10device_ptrIxEEEEPS5_m11less_div_10IxEEE10hipError_tT0_T1_T2_jT3_P12ihipStream_tbPNSt15iterator_traitsISJ_E10value_typeEPNSP_ISK_E10value_typeEPSL_NS1_7vsmem_tEENKUlT_SJ_SK_SL_E_clISE_PxSF_SF_EESI_SY_SJ_SK_SL_EUlSY_E_NS1_11comp_targetILNS1_3genE5ELNS1_11target_archE942ELNS1_3gpuE9ELNS1_3repE0EEENS1_48merge_mergepath_partition_config_static_selectorELNS0_4arch9wavefront6targetE0EEEvSK_.num_vgpr, 0
	.set _ZN7rocprim17ROCPRIM_400000_NS6detail17trampoline_kernelINS0_14default_configENS1_38merge_sort_block_merge_config_selectorIxNS0_10empty_typeEEEZZNS1_27merge_sort_block_merge_implIS3_N6thrust23THRUST_200600_302600_NS6detail15normal_iteratorINS9_10device_ptrIxEEEEPS5_m11less_div_10IxEEE10hipError_tT0_T1_T2_jT3_P12ihipStream_tbPNSt15iterator_traitsISJ_E10value_typeEPNSP_ISK_E10value_typeEPSL_NS1_7vsmem_tEENKUlT_SJ_SK_SL_E_clISE_PxSF_SF_EESI_SY_SJ_SK_SL_EUlSY_E_NS1_11comp_targetILNS1_3genE5ELNS1_11target_archE942ELNS1_3gpuE9ELNS1_3repE0EEENS1_48merge_mergepath_partition_config_static_selectorELNS0_4arch9wavefront6targetE0EEEvSK_.num_agpr, 0
	.set _ZN7rocprim17ROCPRIM_400000_NS6detail17trampoline_kernelINS0_14default_configENS1_38merge_sort_block_merge_config_selectorIxNS0_10empty_typeEEEZZNS1_27merge_sort_block_merge_implIS3_N6thrust23THRUST_200600_302600_NS6detail15normal_iteratorINS9_10device_ptrIxEEEEPS5_m11less_div_10IxEEE10hipError_tT0_T1_T2_jT3_P12ihipStream_tbPNSt15iterator_traitsISJ_E10value_typeEPNSP_ISK_E10value_typeEPSL_NS1_7vsmem_tEENKUlT_SJ_SK_SL_E_clISE_PxSF_SF_EESI_SY_SJ_SK_SL_EUlSY_E_NS1_11comp_targetILNS1_3genE5ELNS1_11target_archE942ELNS1_3gpuE9ELNS1_3repE0EEENS1_48merge_mergepath_partition_config_static_selectorELNS0_4arch9wavefront6targetE0EEEvSK_.numbered_sgpr, 0
	.set _ZN7rocprim17ROCPRIM_400000_NS6detail17trampoline_kernelINS0_14default_configENS1_38merge_sort_block_merge_config_selectorIxNS0_10empty_typeEEEZZNS1_27merge_sort_block_merge_implIS3_N6thrust23THRUST_200600_302600_NS6detail15normal_iteratorINS9_10device_ptrIxEEEEPS5_m11less_div_10IxEEE10hipError_tT0_T1_T2_jT3_P12ihipStream_tbPNSt15iterator_traitsISJ_E10value_typeEPNSP_ISK_E10value_typeEPSL_NS1_7vsmem_tEENKUlT_SJ_SK_SL_E_clISE_PxSF_SF_EESI_SY_SJ_SK_SL_EUlSY_E_NS1_11comp_targetILNS1_3genE5ELNS1_11target_archE942ELNS1_3gpuE9ELNS1_3repE0EEENS1_48merge_mergepath_partition_config_static_selectorELNS0_4arch9wavefront6targetE0EEEvSK_.num_named_barrier, 0
	.set _ZN7rocprim17ROCPRIM_400000_NS6detail17trampoline_kernelINS0_14default_configENS1_38merge_sort_block_merge_config_selectorIxNS0_10empty_typeEEEZZNS1_27merge_sort_block_merge_implIS3_N6thrust23THRUST_200600_302600_NS6detail15normal_iteratorINS9_10device_ptrIxEEEEPS5_m11less_div_10IxEEE10hipError_tT0_T1_T2_jT3_P12ihipStream_tbPNSt15iterator_traitsISJ_E10value_typeEPNSP_ISK_E10value_typeEPSL_NS1_7vsmem_tEENKUlT_SJ_SK_SL_E_clISE_PxSF_SF_EESI_SY_SJ_SK_SL_EUlSY_E_NS1_11comp_targetILNS1_3genE5ELNS1_11target_archE942ELNS1_3gpuE9ELNS1_3repE0EEENS1_48merge_mergepath_partition_config_static_selectorELNS0_4arch9wavefront6targetE0EEEvSK_.private_seg_size, 0
	.set _ZN7rocprim17ROCPRIM_400000_NS6detail17trampoline_kernelINS0_14default_configENS1_38merge_sort_block_merge_config_selectorIxNS0_10empty_typeEEEZZNS1_27merge_sort_block_merge_implIS3_N6thrust23THRUST_200600_302600_NS6detail15normal_iteratorINS9_10device_ptrIxEEEEPS5_m11less_div_10IxEEE10hipError_tT0_T1_T2_jT3_P12ihipStream_tbPNSt15iterator_traitsISJ_E10value_typeEPNSP_ISK_E10value_typeEPSL_NS1_7vsmem_tEENKUlT_SJ_SK_SL_E_clISE_PxSF_SF_EESI_SY_SJ_SK_SL_EUlSY_E_NS1_11comp_targetILNS1_3genE5ELNS1_11target_archE942ELNS1_3gpuE9ELNS1_3repE0EEENS1_48merge_mergepath_partition_config_static_selectorELNS0_4arch9wavefront6targetE0EEEvSK_.uses_vcc, 0
	.set _ZN7rocprim17ROCPRIM_400000_NS6detail17trampoline_kernelINS0_14default_configENS1_38merge_sort_block_merge_config_selectorIxNS0_10empty_typeEEEZZNS1_27merge_sort_block_merge_implIS3_N6thrust23THRUST_200600_302600_NS6detail15normal_iteratorINS9_10device_ptrIxEEEEPS5_m11less_div_10IxEEE10hipError_tT0_T1_T2_jT3_P12ihipStream_tbPNSt15iterator_traitsISJ_E10value_typeEPNSP_ISK_E10value_typeEPSL_NS1_7vsmem_tEENKUlT_SJ_SK_SL_E_clISE_PxSF_SF_EESI_SY_SJ_SK_SL_EUlSY_E_NS1_11comp_targetILNS1_3genE5ELNS1_11target_archE942ELNS1_3gpuE9ELNS1_3repE0EEENS1_48merge_mergepath_partition_config_static_selectorELNS0_4arch9wavefront6targetE0EEEvSK_.uses_flat_scratch, 0
	.set _ZN7rocprim17ROCPRIM_400000_NS6detail17trampoline_kernelINS0_14default_configENS1_38merge_sort_block_merge_config_selectorIxNS0_10empty_typeEEEZZNS1_27merge_sort_block_merge_implIS3_N6thrust23THRUST_200600_302600_NS6detail15normal_iteratorINS9_10device_ptrIxEEEEPS5_m11less_div_10IxEEE10hipError_tT0_T1_T2_jT3_P12ihipStream_tbPNSt15iterator_traitsISJ_E10value_typeEPNSP_ISK_E10value_typeEPSL_NS1_7vsmem_tEENKUlT_SJ_SK_SL_E_clISE_PxSF_SF_EESI_SY_SJ_SK_SL_EUlSY_E_NS1_11comp_targetILNS1_3genE5ELNS1_11target_archE942ELNS1_3gpuE9ELNS1_3repE0EEENS1_48merge_mergepath_partition_config_static_selectorELNS0_4arch9wavefront6targetE0EEEvSK_.has_dyn_sized_stack, 0
	.set _ZN7rocprim17ROCPRIM_400000_NS6detail17trampoline_kernelINS0_14default_configENS1_38merge_sort_block_merge_config_selectorIxNS0_10empty_typeEEEZZNS1_27merge_sort_block_merge_implIS3_N6thrust23THRUST_200600_302600_NS6detail15normal_iteratorINS9_10device_ptrIxEEEEPS5_m11less_div_10IxEEE10hipError_tT0_T1_T2_jT3_P12ihipStream_tbPNSt15iterator_traitsISJ_E10value_typeEPNSP_ISK_E10value_typeEPSL_NS1_7vsmem_tEENKUlT_SJ_SK_SL_E_clISE_PxSF_SF_EESI_SY_SJ_SK_SL_EUlSY_E_NS1_11comp_targetILNS1_3genE5ELNS1_11target_archE942ELNS1_3gpuE9ELNS1_3repE0EEENS1_48merge_mergepath_partition_config_static_selectorELNS0_4arch9wavefront6targetE0EEEvSK_.has_recursion, 0
	.set _ZN7rocprim17ROCPRIM_400000_NS6detail17trampoline_kernelINS0_14default_configENS1_38merge_sort_block_merge_config_selectorIxNS0_10empty_typeEEEZZNS1_27merge_sort_block_merge_implIS3_N6thrust23THRUST_200600_302600_NS6detail15normal_iteratorINS9_10device_ptrIxEEEEPS5_m11less_div_10IxEEE10hipError_tT0_T1_T2_jT3_P12ihipStream_tbPNSt15iterator_traitsISJ_E10value_typeEPNSP_ISK_E10value_typeEPSL_NS1_7vsmem_tEENKUlT_SJ_SK_SL_E_clISE_PxSF_SF_EESI_SY_SJ_SK_SL_EUlSY_E_NS1_11comp_targetILNS1_3genE5ELNS1_11target_archE942ELNS1_3gpuE9ELNS1_3repE0EEENS1_48merge_mergepath_partition_config_static_selectorELNS0_4arch9wavefront6targetE0EEEvSK_.has_indirect_call, 0
	.section	.AMDGPU.csdata,"",@progbits
; Kernel info:
; codeLenInByte = 0
; TotalNumSgprs: 0
; NumVgprs: 0
; ScratchSize: 0
; MemoryBound: 0
; FloatMode: 240
; IeeeMode: 1
; LDSByteSize: 0 bytes/workgroup (compile time only)
; SGPRBlocks: 0
; VGPRBlocks: 0
; NumSGPRsForWavesPerEU: 1
; NumVGPRsForWavesPerEU: 1
; Occupancy: 16
; WaveLimiterHint : 0
; COMPUTE_PGM_RSRC2:SCRATCH_EN: 0
; COMPUTE_PGM_RSRC2:USER_SGPR: 6
; COMPUTE_PGM_RSRC2:TRAP_HANDLER: 0
; COMPUTE_PGM_RSRC2:TGID_X_EN: 1
; COMPUTE_PGM_RSRC2:TGID_Y_EN: 0
; COMPUTE_PGM_RSRC2:TGID_Z_EN: 0
; COMPUTE_PGM_RSRC2:TIDIG_COMP_CNT: 0
	.section	.text._ZN7rocprim17ROCPRIM_400000_NS6detail17trampoline_kernelINS0_14default_configENS1_38merge_sort_block_merge_config_selectorIxNS0_10empty_typeEEEZZNS1_27merge_sort_block_merge_implIS3_N6thrust23THRUST_200600_302600_NS6detail15normal_iteratorINS9_10device_ptrIxEEEEPS5_m11less_div_10IxEEE10hipError_tT0_T1_T2_jT3_P12ihipStream_tbPNSt15iterator_traitsISJ_E10value_typeEPNSP_ISK_E10value_typeEPSL_NS1_7vsmem_tEENKUlT_SJ_SK_SL_E_clISE_PxSF_SF_EESI_SY_SJ_SK_SL_EUlSY_E_NS1_11comp_targetILNS1_3genE4ELNS1_11target_archE910ELNS1_3gpuE8ELNS1_3repE0EEENS1_48merge_mergepath_partition_config_static_selectorELNS0_4arch9wavefront6targetE0EEEvSK_,"axG",@progbits,_ZN7rocprim17ROCPRIM_400000_NS6detail17trampoline_kernelINS0_14default_configENS1_38merge_sort_block_merge_config_selectorIxNS0_10empty_typeEEEZZNS1_27merge_sort_block_merge_implIS3_N6thrust23THRUST_200600_302600_NS6detail15normal_iteratorINS9_10device_ptrIxEEEEPS5_m11less_div_10IxEEE10hipError_tT0_T1_T2_jT3_P12ihipStream_tbPNSt15iterator_traitsISJ_E10value_typeEPNSP_ISK_E10value_typeEPSL_NS1_7vsmem_tEENKUlT_SJ_SK_SL_E_clISE_PxSF_SF_EESI_SY_SJ_SK_SL_EUlSY_E_NS1_11comp_targetILNS1_3genE4ELNS1_11target_archE910ELNS1_3gpuE8ELNS1_3repE0EEENS1_48merge_mergepath_partition_config_static_selectorELNS0_4arch9wavefront6targetE0EEEvSK_,comdat
	.protected	_ZN7rocprim17ROCPRIM_400000_NS6detail17trampoline_kernelINS0_14default_configENS1_38merge_sort_block_merge_config_selectorIxNS0_10empty_typeEEEZZNS1_27merge_sort_block_merge_implIS3_N6thrust23THRUST_200600_302600_NS6detail15normal_iteratorINS9_10device_ptrIxEEEEPS5_m11less_div_10IxEEE10hipError_tT0_T1_T2_jT3_P12ihipStream_tbPNSt15iterator_traitsISJ_E10value_typeEPNSP_ISK_E10value_typeEPSL_NS1_7vsmem_tEENKUlT_SJ_SK_SL_E_clISE_PxSF_SF_EESI_SY_SJ_SK_SL_EUlSY_E_NS1_11comp_targetILNS1_3genE4ELNS1_11target_archE910ELNS1_3gpuE8ELNS1_3repE0EEENS1_48merge_mergepath_partition_config_static_selectorELNS0_4arch9wavefront6targetE0EEEvSK_ ; -- Begin function _ZN7rocprim17ROCPRIM_400000_NS6detail17trampoline_kernelINS0_14default_configENS1_38merge_sort_block_merge_config_selectorIxNS0_10empty_typeEEEZZNS1_27merge_sort_block_merge_implIS3_N6thrust23THRUST_200600_302600_NS6detail15normal_iteratorINS9_10device_ptrIxEEEEPS5_m11less_div_10IxEEE10hipError_tT0_T1_T2_jT3_P12ihipStream_tbPNSt15iterator_traitsISJ_E10value_typeEPNSP_ISK_E10value_typeEPSL_NS1_7vsmem_tEENKUlT_SJ_SK_SL_E_clISE_PxSF_SF_EESI_SY_SJ_SK_SL_EUlSY_E_NS1_11comp_targetILNS1_3genE4ELNS1_11target_archE910ELNS1_3gpuE8ELNS1_3repE0EEENS1_48merge_mergepath_partition_config_static_selectorELNS0_4arch9wavefront6targetE0EEEvSK_
	.globl	_ZN7rocprim17ROCPRIM_400000_NS6detail17trampoline_kernelINS0_14default_configENS1_38merge_sort_block_merge_config_selectorIxNS0_10empty_typeEEEZZNS1_27merge_sort_block_merge_implIS3_N6thrust23THRUST_200600_302600_NS6detail15normal_iteratorINS9_10device_ptrIxEEEEPS5_m11less_div_10IxEEE10hipError_tT0_T1_T2_jT3_P12ihipStream_tbPNSt15iterator_traitsISJ_E10value_typeEPNSP_ISK_E10value_typeEPSL_NS1_7vsmem_tEENKUlT_SJ_SK_SL_E_clISE_PxSF_SF_EESI_SY_SJ_SK_SL_EUlSY_E_NS1_11comp_targetILNS1_3genE4ELNS1_11target_archE910ELNS1_3gpuE8ELNS1_3repE0EEENS1_48merge_mergepath_partition_config_static_selectorELNS0_4arch9wavefront6targetE0EEEvSK_
	.p2align	8
	.type	_ZN7rocprim17ROCPRIM_400000_NS6detail17trampoline_kernelINS0_14default_configENS1_38merge_sort_block_merge_config_selectorIxNS0_10empty_typeEEEZZNS1_27merge_sort_block_merge_implIS3_N6thrust23THRUST_200600_302600_NS6detail15normal_iteratorINS9_10device_ptrIxEEEEPS5_m11less_div_10IxEEE10hipError_tT0_T1_T2_jT3_P12ihipStream_tbPNSt15iterator_traitsISJ_E10value_typeEPNSP_ISK_E10value_typeEPSL_NS1_7vsmem_tEENKUlT_SJ_SK_SL_E_clISE_PxSF_SF_EESI_SY_SJ_SK_SL_EUlSY_E_NS1_11comp_targetILNS1_3genE4ELNS1_11target_archE910ELNS1_3gpuE8ELNS1_3repE0EEENS1_48merge_mergepath_partition_config_static_selectorELNS0_4arch9wavefront6targetE0EEEvSK_,@function
_ZN7rocprim17ROCPRIM_400000_NS6detail17trampoline_kernelINS0_14default_configENS1_38merge_sort_block_merge_config_selectorIxNS0_10empty_typeEEEZZNS1_27merge_sort_block_merge_implIS3_N6thrust23THRUST_200600_302600_NS6detail15normal_iteratorINS9_10device_ptrIxEEEEPS5_m11less_div_10IxEEE10hipError_tT0_T1_T2_jT3_P12ihipStream_tbPNSt15iterator_traitsISJ_E10value_typeEPNSP_ISK_E10value_typeEPSL_NS1_7vsmem_tEENKUlT_SJ_SK_SL_E_clISE_PxSF_SF_EESI_SY_SJ_SK_SL_EUlSY_E_NS1_11comp_targetILNS1_3genE4ELNS1_11target_archE910ELNS1_3gpuE8ELNS1_3repE0EEENS1_48merge_mergepath_partition_config_static_selectorELNS0_4arch9wavefront6targetE0EEEvSK_: ; @_ZN7rocprim17ROCPRIM_400000_NS6detail17trampoline_kernelINS0_14default_configENS1_38merge_sort_block_merge_config_selectorIxNS0_10empty_typeEEEZZNS1_27merge_sort_block_merge_implIS3_N6thrust23THRUST_200600_302600_NS6detail15normal_iteratorINS9_10device_ptrIxEEEEPS5_m11less_div_10IxEEE10hipError_tT0_T1_T2_jT3_P12ihipStream_tbPNSt15iterator_traitsISJ_E10value_typeEPNSP_ISK_E10value_typeEPSL_NS1_7vsmem_tEENKUlT_SJ_SK_SL_E_clISE_PxSF_SF_EESI_SY_SJ_SK_SL_EUlSY_E_NS1_11comp_targetILNS1_3genE4ELNS1_11target_archE910ELNS1_3gpuE8ELNS1_3repE0EEENS1_48merge_mergepath_partition_config_static_selectorELNS0_4arch9wavefront6targetE0EEEvSK_
; %bb.0:
	.section	.rodata,"a",@progbits
	.p2align	6, 0x0
	.amdhsa_kernel _ZN7rocprim17ROCPRIM_400000_NS6detail17trampoline_kernelINS0_14default_configENS1_38merge_sort_block_merge_config_selectorIxNS0_10empty_typeEEEZZNS1_27merge_sort_block_merge_implIS3_N6thrust23THRUST_200600_302600_NS6detail15normal_iteratorINS9_10device_ptrIxEEEEPS5_m11less_div_10IxEEE10hipError_tT0_T1_T2_jT3_P12ihipStream_tbPNSt15iterator_traitsISJ_E10value_typeEPNSP_ISK_E10value_typeEPSL_NS1_7vsmem_tEENKUlT_SJ_SK_SL_E_clISE_PxSF_SF_EESI_SY_SJ_SK_SL_EUlSY_E_NS1_11comp_targetILNS1_3genE4ELNS1_11target_archE910ELNS1_3gpuE8ELNS1_3repE0EEENS1_48merge_mergepath_partition_config_static_selectorELNS0_4arch9wavefront6targetE0EEEvSK_
		.amdhsa_group_segment_fixed_size 0
		.amdhsa_private_segment_fixed_size 0
		.amdhsa_kernarg_size 48
		.amdhsa_user_sgpr_count 6
		.amdhsa_user_sgpr_private_segment_buffer 1
		.amdhsa_user_sgpr_dispatch_ptr 0
		.amdhsa_user_sgpr_queue_ptr 0
		.amdhsa_user_sgpr_kernarg_segment_ptr 1
		.amdhsa_user_sgpr_dispatch_id 0
		.amdhsa_user_sgpr_flat_scratch_init 0
		.amdhsa_user_sgpr_private_segment_size 0
		.amdhsa_wavefront_size32 1
		.amdhsa_uses_dynamic_stack 0
		.amdhsa_system_sgpr_private_segment_wavefront_offset 0
		.amdhsa_system_sgpr_workgroup_id_x 1
		.amdhsa_system_sgpr_workgroup_id_y 0
		.amdhsa_system_sgpr_workgroup_id_z 0
		.amdhsa_system_sgpr_workgroup_info 0
		.amdhsa_system_vgpr_workitem_id 0
		.amdhsa_next_free_vgpr 1
		.amdhsa_next_free_sgpr 1
		.amdhsa_reserve_vcc 0
		.amdhsa_reserve_flat_scratch 0
		.amdhsa_float_round_mode_32 0
		.amdhsa_float_round_mode_16_64 0
		.amdhsa_float_denorm_mode_32 3
		.amdhsa_float_denorm_mode_16_64 3
		.amdhsa_dx10_clamp 1
		.amdhsa_ieee_mode 1
		.amdhsa_fp16_overflow 0
		.amdhsa_workgroup_processor_mode 1
		.amdhsa_memory_ordered 1
		.amdhsa_forward_progress 1
		.amdhsa_shared_vgpr_count 0
		.amdhsa_exception_fp_ieee_invalid_op 0
		.amdhsa_exception_fp_denorm_src 0
		.amdhsa_exception_fp_ieee_div_zero 0
		.amdhsa_exception_fp_ieee_overflow 0
		.amdhsa_exception_fp_ieee_underflow 0
		.amdhsa_exception_fp_ieee_inexact 0
		.amdhsa_exception_int_div_zero 0
	.end_amdhsa_kernel
	.section	.text._ZN7rocprim17ROCPRIM_400000_NS6detail17trampoline_kernelINS0_14default_configENS1_38merge_sort_block_merge_config_selectorIxNS0_10empty_typeEEEZZNS1_27merge_sort_block_merge_implIS3_N6thrust23THRUST_200600_302600_NS6detail15normal_iteratorINS9_10device_ptrIxEEEEPS5_m11less_div_10IxEEE10hipError_tT0_T1_T2_jT3_P12ihipStream_tbPNSt15iterator_traitsISJ_E10value_typeEPNSP_ISK_E10value_typeEPSL_NS1_7vsmem_tEENKUlT_SJ_SK_SL_E_clISE_PxSF_SF_EESI_SY_SJ_SK_SL_EUlSY_E_NS1_11comp_targetILNS1_3genE4ELNS1_11target_archE910ELNS1_3gpuE8ELNS1_3repE0EEENS1_48merge_mergepath_partition_config_static_selectorELNS0_4arch9wavefront6targetE0EEEvSK_,"axG",@progbits,_ZN7rocprim17ROCPRIM_400000_NS6detail17trampoline_kernelINS0_14default_configENS1_38merge_sort_block_merge_config_selectorIxNS0_10empty_typeEEEZZNS1_27merge_sort_block_merge_implIS3_N6thrust23THRUST_200600_302600_NS6detail15normal_iteratorINS9_10device_ptrIxEEEEPS5_m11less_div_10IxEEE10hipError_tT0_T1_T2_jT3_P12ihipStream_tbPNSt15iterator_traitsISJ_E10value_typeEPNSP_ISK_E10value_typeEPSL_NS1_7vsmem_tEENKUlT_SJ_SK_SL_E_clISE_PxSF_SF_EESI_SY_SJ_SK_SL_EUlSY_E_NS1_11comp_targetILNS1_3genE4ELNS1_11target_archE910ELNS1_3gpuE8ELNS1_3repE0EEENS1_48merge_mergepath_partition_config_static_selectorELNS0_4arch9wavefront6targetE0EEEvSK_,comdat
.Lfunc_end363:
	.size	_ZN7rocprim17ROCPRIM_400000_NS6detail17trampoline_kernelINS0_14default_configENS1_38merge_sort_block_merge_config_selectorIxNS0_10empty_typeEEEZZNS1_27merge_sort_block_merge_implIS3_N6thrust23THRUST_200600_302600_NS6detail15normal_iteratorINS9_10device_ptrIxEEEEPS5_m11less_div_10IxEEE10hipError_tT0_T1_T2_jT3_P12ihipStream_tbPNSt15iterator_traitsISJ_E10value_typeEPNSP_ISK_E10value_typeEPSL_NS1_7vsmem_tEENKUlT_SJ_SK_SL_E_clISE_PxSF_SF_EESI_SY_SJ_SK_SL_EUlSY_E_NS1_11comp_targetILNS1_3genE4ELNS1_11target_archE910ELNS1_3gpuE8ELNS1_3repE0EEENS1_48merge_mergepath_partition_config_static_selectorELNS0_4arch9wavefront6targetE0EEEvSK_, .Lfunc_end363-_ZN7rocprim17ROCPRIM_400000_NS6detail17trampoline_kernelINS0_14default_configENS1_38merge_sort_block_merge_config_selectorIxNS0_10empty_typeEEEZZNS1_27merge_sort_block_merge_implIS3_N6thrust23THRUST_200600_302600_NS6detail15normal_iteratorINS9_10device_ptrIxEEEEPS5_m11less_div_10IxEEE10hipError_tT0_T1_T2_jT3_P12ihipStream_tbPNSt15iterator_traitsISJ_E10value_typeEPNSP_ISK_E10value_typeEPSL_NS1_7vsmem_tEENKUlT_SJ_SK_SL_E_clISE_PxSF_SF_EESI_SY_SJ_SK_SL_EUlSY_E_NS1_11comp_targetILNS1_3genE4ELNS1_11target_archE910ELNS1_3gpuE8ELNS1_3repE0EEENS1_48merge_mergepath_partition_config_static_selectorELNS0_4arch9wavefront6targetE0EEEvSK_
                                        ; -- End function
	.set _ZN7rocprim17ROCPRIM_400000_NS6detail17trampoline_kernelINS0_14default_configENS1_38merge_sort_block_merge_config_selectorIxNS0_10empty_typeEEEZZNS1_27merge_sort_block_merge_implIS3_N6thrust23THRUST_200600_302600_NS6detail15normal_iteratorINS9_10device_ptrIxEEEEPS5_m11less_div_10IxEEE10hipError_tT0_T1_T2_jT3_P12ihipStream_tbPNSt15iterator_traitsISJ_E10value_typeEPNSP_ISK_E10value_typeEPSL_NS1_7vsmem_tEENKUlT_SJ_SK_SL_E_clISE_PxSF_SF_EESI_SY_SJ_SK_SL_EUlSY_E_NS1_11comp_targetILNS1_3genE4ELNS1_11target_archE910ELNS1_3gpuE8ELNS1_3repE0EEENS1_48merge_mergepath_partition_config_static_selectorELNS0_4arch9wavefront6targetE0EEEvSK_.num_vgpr, 0
	.set _ZN7rocprim17ROCPRIM_400000_NS6detail17trampoline_kernelINS0_14default_configENS1_38merge_sort_block_merge_config_selectorIxNS0_10empty_typeEEEZZNS1_27merge_sort_block_merge_implIS3_N6thrust23THRUST_200600_302600_NS6detail15normal_iteratorINS9_10device_ptrIxEEEEPS5_m11less_div_10IxEEE10hipError_tT0_T1_T2_jT3_P12ihipStream_tbPNSt15iterator_traitsISJ_E10value_typeEPNSP_ISK_E10value_typeEPSL_NS1_7vsmem_tEENKUlT_SJ_SK_SL_E_clISE_PxSF_SF_EESI_SY_SJ_SK_SL_EUlSY_E_NS1_11comp_targetILNS1_3genE4ELNS1_11target_archE910ELNS1_3gpuE8ELNS1_3repE0EEENS1_48merge_mergepath_partition_config_static_selectorELNS0_4arch9wavefront6targetE0EEEvSK_.num_agpr, 0
	.set _ZN7rocprim17ROCPRIM_400000_NS6detail17trampoline_kernelINS0_14default_configENS1_38merge_sort_block_merge_config_selectorIxNS0_10empty_typeEEEZZNS1_27merge_sort_block_merge_implIS3_N6thrust23THRUST_200600_302600_NS6detail15normal_iteratorINS9_10device_ptrIxEEEEPS5_m11less_div_10IxEEE10hipError_tT0_T1_T2_jT3_P12ihipStream_tbPNSt15iterator_traitsISJ_E10value_typeEPNSP_ISK_E10value_typeEPSL_NS1_7vsmem_tEENKUlT_SJ_SK_SL_E_clISE_PxSF_SF_EESI_SY_SJ_SK_SL_EUlSY_E_NS1_11comp_targetILNS1_3genE4ELNS1_11target_archE910ELNS1_3gpuE8ELNS1_3repE0EEENS1_48merge_mergepath_partition_config_static_selectorELNS0_4arch9wavefront6targetE0EEEvSK_.numbered_sgpr, 0
	.set _ZN7rocprim17ROCPRIM_400000_NS6detail17trampoline_kernelINS0_14default_configENS1_38merge_sort_block_merge_config_selectorIxNS0_10empty_typeEEEZZNS1_27merge_sort_block_merge_implIS3_N6thrust23THRUST_200600_302600_NS6detail15normal_iteratorINS9_10device_ptrIxEEEEPS5_m11less_div_10IxEEE10hipError_tT0_T1_T2_jT3_P12ihipStream_tbPNSt15iterator_traitsISJ_E10value_typeEPNSP_ISK_E10value_typeEPSL_NS1_7vsmem_tEENKUlT_SJ_SK_SL_E_clISE_PxSF_SF_EESI_SY_SJ_SK_SL_EUlSY_E_NS1_11comp_targetILNS1_3genE4ELNS1_11target_archE910ELNS1_3gpuE8ELNS1_3repE0EEENS1_48merge_mergepath_partition_config_static_selectorELNS0_4arch9wavefront6targetE0EEEvSK_.num_named_barrier, 0
	.set _ZN7rocprim17ROCPRIM_400000_NS6detail17trampoline_kernelINS0_14default_configENS1_38merge_sort_block_merge_config_selectorIxNS0_10empty_typeEEEZZNS1_27merge_sort_block_merge_implIS3_N6thrust23THRUST_200600_302600_NS6detail15normal_iteratorINS9_10device_ptrIxEEEEPS5_m11less_div_10IxEEE10hipError_tT0_T1_T2_jT3_P12ihipStream_tbPNSt15iterator_traitsISJ_E10value_typeEPNSP_ISK_E10value_typeEPSL_NS1_7vsmem_tEENKUlT_SJ_SK_SL_E_clISE_PxSF_SF_EESI_SY_SJ_SK_SL_EUlSY_E_NS1_11comp_targetILNS1_3genE4ELNS1_11target_archE910ELNS1_3gpuE8ELNS1_3repE0EEENS1_48merge_mergepath_partition_config_static_selectorELNS0_4arch9wavefront6targetE0EEEvSK_.private_seg_size, 0
	.set _ZN7rocprim17ROCPRIM_400000_NS6detail17trampoline_kernelINS0_14default_configENS1_38merge_sort_block_merge_config_selectorIxNS0_10empty_typeEEEZZNS1_27merge_sort_block_merge_implIS3_N6thrust23THRUST_200600_302600_NS6detail15normal_iteratorINS9_10device_ptrIxEEEEPS5_m11less_div_10IxEEE10hipError_tT0_T1_T2_jT3_P12ihipStream_tbPNSt15iterator_traitsISJ_E10value_typeEPNSP_ISK_E10value_typeEPSL_NS1_7vsmem_tEENKUlT_SJ_SK_SL_E_clISE_PxSF_SF_EESI_SY_SJ_SK_SL_EUlSY_E_NS1_11comp_targetILNS1_3genE4ELNS1_11target_archE910ELNS1_3gpuE8ELNS1_3repE0EEENS1_48merge_mergepath_partition_config_static_selectorELNS0_4arch9wavefront6targetE0EEEvSK_.uses_vcc, 0
	.set _ZN7rocprim17ROCPRIM_400000_NS6detail17trampoline_kernelINS0_14default_configENS1_38merge_sort_block_merge_config_selectorIxNS0_10empty_typeEEEZZNS1_27merge_sort_block_merge_implIS3_N6thrust23THRUST_200600_302600_NS6detail15normal_iteratorINS9_10device_ptrIxEEEEPS5_m11less_div_10IxEEE10hipError_tT0_T1_T2_jT3_P12ihipStream_tbPNSt15iterator_traitsISJ_E10value_typeEPNSP_ISK_E10value_typeEPSL_NS1_7vsmem_tEENKUlT_SJ_SK_SL_E_clISE_PxSF_SF_EESI_SY_SJ_SK_SL_EUlSY_E_NS1_11comp_targetILNS1_3genE4ELNS1_11target_archE910ELNS1_3gpuE8ELNS1_3repE0EEENS1_48merge_mergepath_partition_config_static_selectorELNS0_4arch9wavefront6targetE0EEEvSK_.uses_flat_scratch, 0
	.set _ZN7rocprim17ROCPRIM_400000_NS6detail17trampoline_kernelINS0_14default_configENS1_38merge_sort_block_merge_config_selectorIxNS0_10empty_typeEEEZZNS1_27merge_sort_block_merge_implIS3_N6thrust23THRUST_200600_302600_NS6detail15normal_iteratorINS9_10device_ptrIxEEEEPS5_m11less_div_10IxEEE10hipError_tT0_T1_T2_jT3_P12ihipStream_tbPNSt15iterator_traitsISJ_E10value_typeEPNSP_ISK_E10value_typeEPSL_NS1_7vsmem_tEENKUlT_SJ_SK_SL_E_clISE_PxSF_SF_EESI_SY_SJ_SK_SL_EUlSY_E_NS1_11comp_targetILNS1_3genE4ELNS1_11target_archE910ELNS1_3gpuE8ELNS1_3repE0EEENS1_48merge_mergepath_partition_config_static_selectorELNS0_4arch9wavefront6targetE0EEEvSK_.has_dyn_sized_stack, 0
	.set _ZN7rocprim17ROCPRIM_400000_NS6detail17trampoline_kernelINS0_14default_configENS1_38merge_sort_block_merge_config_selectorIxNS0_10empty_typeEEEZZNS1_27merge_sort_block_merge_implIS3_N6thrust23THRUST_200600_302600_NS6detail15normal_iteratorINS9_10device_ptrIxEEEEPS5_m11less_div_10IxEEE10hipError_tT0_T1_T2_jT3_P12ihipStream_tbPNSt15iterator_traitsISJ_E10value_typeEPNSP_ISK_E10value_typeEPSL_NS1_7vsmem_tEENKUlT_SJ_SK_SL_E_clISE_PxSF_SF_EESI_SY_SJ_SK_SL_EUlSY_E_NS1_11comp_targetILNS1_3genE4ELNS1_11target_archE910ELNS1_3gpuE8ELNS1_3repE0EEENS1_48merge_mergepath_partition_config_static_selectorELNS0_4arch9wavefront6targetE0EEEvSK_.has_recursion, 0
	.set _ZN7rocprim17ROCPRIM_400000_NS6detail17trampoline_kernelINS0_14default_configENS1_38merge_sort_block_merge_config_selectorIxNS0_10empty_typeEEEZZNS1_27merge_sort_block_merge_implIS3_N6thrust23THRUST_200600_302600_NS6detail15normal_iteratorINS9_10device_ptrIxEEEEPS5_m11less_div_10IxEEE10hipError_tT0_T1_T2_jT3_P12ihipStream_tbPNSt15iterator_traitsISJ_E10value_typeEPNSP_ISK_E10value_typeEPSL_NS1_7vsmem_tEENKUlT_SJ_SK_SL_E_clISE_PxSF_SF_EESI_SY_SJ_SK_SL_EUlSY_E_NS1_11comp_targetILNS1_3genE4ELNS1_11target_archE910ELNS1_3gpuE8ELNS1_3repE0EEENS1_48merge_mergepath_partition_config_static_selectorELNS0_4arch9wavefront6targetE0EEEvSK_.has_indirect_call, 0
	.section	.AMDGPU.csdata,"",@progbits
; Kernel info:
; codeLenInByte = 0
; TotalNumSgprs: 0
; NumVgprs: 0
; ScratchSize: 0
; MemoryBound: 0
; FloatMode: 240
; IeeeMode: 1
; LDSByteSize: 0 bytes/workgroup (compile time only)
; SGPRBlocks: 0
; VGPRBlocks: 0
; NumSGPRsForWavesPerEU: 1
; NumVGPRsForWavesPerEU: 1
; Occupancy: 16
; WaveLimiterHint : 0
; COMPUTE_PGM_RSRC2:SCRATCH_EN: 0
; COMPUTE_PGM_RSRC2:USER_SGPR: 6
; COMPUTE_PGM_RSRC2:TRAP_HANDLER: 0
; COMPUTE_PGM_RSRC2:TGID_X_EN: 1
; COMPUTE_PGM_RSRC2:TGID_Y_EN: 0
; COMPUTE_PGM_RSRC2:TGID_Z_EN: 0
; COMPUTE_PGM_RSRC2:TIDIG_COMP_CNT: 0
	.section	.text._ZN7rocprim17ROCPRIM_400000_NS6detail17trampoline_kernelINS0_14default_configENS1_38merge_sort_block_merge_config_selectorIxNS0_10empty_typeEEEZZNS1_27merge_sort_block_merge_implIS3_N6thrust23THRUST_200600_302600_NS6detail15normal_iteratorINS9_10device_ptrIxEEEEPS5_m11less_div_10IxEEE10hipError_tT0_T1_T2_jT3_P12ihipStream_tbPNSt15iterator_traitsISJ_E10value_typeEPNSP_ISK_E10value_typeEPSL_NS1_7vsmem_tEENKUlT_SJ_SK_SL_E_clISE_PxSF_SF_EESI_SY_SJ_SK_SL_EUlSY_E_NS1_11comp_targetILNS1_3genE3ELNS1_11target_archE908ELNS1_3gpuE7ELNS1_3repE0EEENS1_48merge_mergepath_partition_config_static_selectorELNS0_4arch9wavefront6targetE0EEEvSK_,"axG",@progbits,_ZN7rocprim17ROCPRIM_400000_NS6detail17trampoline_kernelINS0_14default_configENS1_38merge_sort_block_merge_config_selectorIxNS0_10empty_typeEEEZZNS1_27merge_sort_block_merge_implIS3_N6thrust23THRUST_200600_302600_NS6detail15normal_iteratorINS9_10device_ptrIxEEEEPS5_m11less_div_10IxEEE10hipError_tT0_T1_T2_jT3_P12ihipStream_tbPNSt15iterator_traitsISJ_E10value_typeEPNSP_ISK_E10value_typeEPSL_NS1_7vsmem_tEENKUlT_SJ_SK_SL_E_clISE_PxSF_SF_EESI_SY_SJ_SK_SL_EUlSY_E_NS1_11comp_targetILNS1_3genE3ELNS1_11target_archE908ELNS1_3gpuE7ELNS1_3repE0EEENS1_48merge_mergepath_partition_config_static_selectorELNS0_4arch9wavefront6targetE0EEEvSK_,comdat
	.protected	_ZN7rocprim17ROCPRIM_400000_NS6detail17trampoline_kernelINS0_14default_configENS1_38merge_sort_block_merge_config_selectorIxNS0_10empty_typeEEEZZNS1_27merge_sort_block_merge_implIS3_N6thrust23THRUST_200600_302600_NS6detail15normal_iteratorINS9_10device_ptrIxEEEEPS5_m11less_div_10IxEEE10hipError_tT0_T1_T2_jT3_P12ihipStream_tbPNSt15iterator_traitsISJ_E10value_typeEPNSP_ISK_E10value_typeEPSL_NS1_7vsmem_tEENKUlT_SJ_SK_SL_E_clISE_PxSF_SF_EESI_SY_SJ_SK_SL_EUlSY_E_NS1_11comp_targetILNS1_3genE3ELNS1_11target_archE908ELNS1_3gpuE7ELNS1_3repE0EEENS1_48merge_mergepath_partition_config_static_selectorELNS0_4arch9wavefront6targetE0EEEvSK_ ; -- Begin function _ZN7rocprim17ROCPRIM_400000_NS6detail17trampoline_kernelINS0_14default_configENS1_38merge_sort_block_merge_config_selectorIxNS0_10empty_typeEEEZZNS1_27merge_sort_block_merge_implIS3_N6thrust23THRUST_200600_302600_NS6detail15normal_iteratorINS9_10device_ptrIxEEEEPS5_m11less_div_10IxEEE10hipError_tT0_T1_T2_jT3_P12ihipStream_tbPNSt15iterator_traitsISJ_E10value_typeEPNSP_ISK_E10value_typeEPSL_NS1_7vsmem_tEENKUlT_SJ_SK_SL_E_clISE_PxSF_SF_EESI_SY_SJ_SK_SL_EUlSY_E_NS1_11comp_targetILNS1_3genE3ELNS1_11target_archE908ELNS1_3gpuE7ELNS1_3repE0EEENS1_48merge_mergepath_partition_config_static_selectorELNS0_4arch9wavefront6targetE0EEEvSK_
	.globl	_ZN7rocprim17ROCPRIM_400000_NS6detail17trampoline_kernelINS0_14default_configENS1_38merge_sort_block_merge_config_selectorIxNS0_10empty_typeEEEZZNS1_27merge_sort_block_merge_implIS3_N6thrust23THRUST_200600_302600_NS6detail15normal_iteratorINS9_10device_ptrIxEEEEPS5_m11less_div_10IxEEE10hipError_tT0_T1_T2_jT3_P12ihipStream_tbPNSt15iterator_traitsISJ_E10value_typeEPNSP_ISK_E10value_typeEPSL_NS1_7vsmem_tEENKUlT_SJ_SK_SL_E_clISE_PxSF_SF_EESI_SY_SJ_SK_SL_EUlSY_E_NS1_11comp_targetILNS1_3genE3ELNS1_11target_archE908ELNS1_3gpuE7ELNS1_3repE0EEENS1_48merge_mergepath_partition_config_static_selectorELNS0_4arch9wavefront6targetE0EEEvSK_
	.p2align	8
	.type	_ZN7rocprim17ROCPRIM_400000_NS6detail17trampoline_kernelINS0_14default_configENS1_38merge_sort_block_merge_config_selectorIxNS0_10empty_typeEEEZZNS1_27merge_sort_block_merge_implIS3_N6thrust23THRUST_200600_302600_NS6detail15normal_iteratorINS9_10device_ptrIxEEEEPS5_m11less_div_10IxEEE10hipError_tT0_T1_T2_jT3_P12ihipStream_tbPNSt15iterator_traitsISJ_E10value_typeEPNSP_ISK_E10value_typeEPSL_NS1_7vsmem_tEENKUlT_SJ_SK_SL_E_clISE_PxSF_SF_EESI_SY_SJ_SK_SL_EUlSY_E_NS1_11comp_targetILNS1_3genE3ELNS1_11target_archE908ELNS1_3gpuE7ELNS1_3repE0EEENS1_48merge_mergepath_partition_config_static_selectorELNS0_4arch9wavefront6targetE0EEEvSK_,@function
_ZN7rocprim17ROCPRIM_400000_NS6detail17trampoline_kernelINS0_14default_configENS1_38merge_sort_block_merge_config_selectorIxNS0_10empty_typeEEEZZNS1_27merge_sort_block_merge_implIS3_N6thrust23THRUST_200600_302600_NS6detail15normal_iteratorINS9_10device_ptrIxEEEEPS5_m11less_div_10IxEEE10hipError_tT0_T1_T2_jT3_P12ihipStream_tbPNSt15iterator_traitsISJ_E10value_typeEPNSP_ISK_E10value_typeEPSL_NS1_7vsmem_tEENKUlT_SJ_SK_SL_E_clISE_PxSF_SF_EESI_SY_SJ_SK_SL_EUlSY_E_NS1_11comp_targetILNS1_3genE3ELNS1_11target_archE908ELNS1_3gpuE7ELNS1_3repE0EEENS1_48merge_mergepath_partition_config_static_selectorELNS0_4arch9wavefront6targetE0EEEvSK_: ; @_ZN7rocprim17ROCPRIM_400000_NS6detail17trampoline_kernelINS0_14default_configENS1_38merge_sort_block_merge_config_selectorIxNS0_10empty_typeEEEZZNS1_27merge_sort_block_merge_implIS3_N6thrust23THRUST_200600_302600_NS6detail15normal_iteratorINS9_10device_ptrIxEEEEPS5_m11less_div_10IxEEE10hipError_tT0_T1_T2_jT3_P12ihipStream_tbPNSt15iterator_traitsISJ_E10value_typeEPNSP_ISK_E10value_typeEPSL_NS1_7vsmem_tEENKUlT_SJ_SK_SL_E_clISE_PxSF_SF_EESI_SY_SJ_SK_SL_EUlSY_E_NS1_11comp_targetILNS1_3genE3ELNS1_11target_archE908ELNS1_3gpuE7ELNS1_3repE0EEENS1_48merge_mergepath_partition_config_static_selectorELNS0_4arch9wavefront6targetE0EEEvSK_
; %bb.0:
	.section	.rodata,"a",@progbits
	.p2align	6, 0x0
	.amdhsa_kernel _ZN7rocprim17ROCPRIM_400000_NS6detail17trampoline_kernelINS0_14default_configENS1_38merge_sort_block_merge_config_selectorIxNS0_10empty_typeEEEZZNS1_27merge_sort_block_merge_implIS3_N6thrust23THRUST_200600_302600_NS6detail15normal_iteratorINS9_10device_ptrIxEEEEPS5_m11less_div_10IxEEE10hipError_tT0_T1_T2_jT3_P12ihipStream_tbPNSt15iterator_traitsISJ_E10value_typeEPNSP_ISK_E10value_typeEPSL_NS1_7vsmem_tEENKUlT_SJ_SK_SL_E_clISE_PxSF_SF_EESI_SY_SJ_SK_SL_EUlSY_E_NS1_11comp_targetILNS1_3genE3ELNS1_11target_archE908ELNS1_3gpuE7ELNS1_3repE0EEENS1_48merge_mergepath_partition_config_static_selectorELNS0_4arch9wavefront6targetE0EEEvSK_
		.amdhsa_group_segment_fixed_size 0
		.amdhsa_private_segment_fixed_size 0
		.amdhsa_kernarg_size 48
		.amdhsa_user_sgpr_count 6
		.amdhsa_user_sgpr_private_segment_buffer 1
		.amdhsa_user_sgpr_dispatch_ptr 0
		.amdhsa_user_sgpr_queue_ptr 0
		.amdhsa_user_sgpr_kernarg_segment_ptr 1
		.amdhsa_user_sgpr_dispatch_id 0
		.amdhsa_user_sgpr_flat_scratch_init 0
		.amdhsa_user_sgpr_private_segment_size 0
		.amdhsa_wavefront_size32 1
		.amdhsa_uses_dynamic_stack 0
		.amdhsa_system_sgpr_private_segment_wavefront_offset 0
		.amdhsa_system_sgpr_workgroup_id_x 1
		.amdhsa_system_sgpr_workgroup_id_y 0
		.amdhsa_system_sgpr_workgroup_id_z 0
		.amdhsa_system_sgpr_workgroup_info 0
		.amdhsa_system_vgpr_workitem_id 0
		.amdhsa_next_free_vgpr 1
		.amdhsa_next_free_sgpr 1
		.amdhsa_reserve_vcc 0
		.amdhsa_reserve_flat_scratch 0
		.amdhsa_float_round_mode_32 0
		.amdhsa_float_round_mode_16_64 0
		.amdhsa_float_denorm_mode_32 3
		.amdhsa_float_denorm_mode_16_64 3
		.amdhsa_dx10_clamp 1
		.amdhsa_ieee_mode 1
		.amdhsa_fp16_overflow 0
		.amdhsa_workgroup_processor_mode 1
		.amdhsa_memory_ordered 1
		.amdhsa_forward_progress 1
		.amdhsa_shared_vgpr_count 0
		.amdhsa_exception_fp_ieee_invalid_op 0
		.amdhsa_exception_fp_denorm_src 0
		.amdhsa_exception_fp_ieee_div_zero 0
		.amdhsa_exception_fp_ieee_overflow 0
		.amdhsa_exception_fp_ieee_underflow 0
		.amdhsa_exception_fp_ieee_inexact 0
		.amdhsa_exception_int_div_zero 0
	.end_amdhsa_kernel
	.section	.text._ZN7rocprim17ROCPRIM_400000_NS6detail17trampoline_kernelINS0_14default_configENS1_38merge_sort_block_merge_config_selectorIxNS0_10empty_typeEEEZZNS1_27merge_sort_block_merge_implIS3_N6thrust23THRUST_200600_302600_NS6detail15normal_iteratorINS9_10device_ptrIxEEEEPS5_m11less_div_10IxEEE10hipError_tT0_T1_T2_jT3_P12ihipStream_tbPNSt15iterator_traitsISJ_E10value_typeEPNSP_ISK_E10value_typeEPSL_NS1_7vsmem_tEENKUlT_SJ_SK_SL_E_clISE_PxSF_SF_EESI_SY_SJ_SK_SL_EUlSY_E_NS1_11comp_targetILNS1_3genE3ELNS1_11target_archE908ELNS1_3gpuE7ELNS1_3repE0EEENS1_48merge_mergepath_partition_config_static_selectorELNS0_4arch9wavefront6targetE0EEEvSK_,"axG",@progbits,_ZN7rocprim17ROCPRIM_400000_NS6detail17trampoline_kernelINS0_14default_configENS1_38merge_sort_block_merge_config_selectorIxNS0_10empty_typeEEEZZNS1_27merge_sort_block_merge_implIS3_N6thrust23THRUST_200600_302600_NS6detail15normal_iteratorINS9_10device_ptrIxEEEEPS5_m11less_div_10IxEEE10hipError_tT0_T1_T2_jT3_P12ihipStream_tbPNSt15iterator_traitsISJ_E10value_typeEPNSP_ISK_E10value_typeEPSL_NS1_7vsmem_tEENKUlT_SJ_SK_SL_E_clISE_PxSF_SF_EESI_SY_SJ_SK_SL_EUlSY_E_NS1_11comp_targetILNS1_3genE3ELNS1_11target_archE908ELNS1_3gpuE7ELNS1_3repE0EEENS1_48merge_mergepath_partition_config_static_selectorELNS0_4arch9wavefront6targetE0EEEvSK_,comdat
.Lfunc_end364:
	.size	_ZN7rocprim17ROCPRIM_400000_NS6detail17trampoline_kernelINS0_14default_configENS1_38merge_sort_block_merge_config_selectorIxNS0_10empty_typeEEEZZNS1_27merge_sort_block_merge_implIS3_N6thrust23THRUST_200600_302600_NS6detail15normal_iteratorINS9_10device_ptrIxEEEEPS5_m11less_div_10IxEEE10hipError_tT0_T1_T2_jT3_P12ihipStream_tbPNSt15iterator_traitsISJ_E10value_typeEPNSP_ISK_E10value_typeEPSL_NS1_7vsmem_tEENKUlT_SJ_SK_SL_E_clISE_PxSF_SF_EESI_SY_SJ_SK_SL_EUlSY_E_NS1_11comp_targetILNS1_3genE3ELNS1_11target_archE908ELNS1_3gpuE7ELNS1_3repE0EEENS1_48merge_mergepath_partition_config_static_selectorELNS0_4arch9wavefront6targetE0EEEvSK_, .Lfunc_end364-_ZN7rocprim17ROCPRIM_400000_NS6detail17trampoline_kernelINS0_14default_configENS1_38merge_sort_block_merge_config_selectorIxNS0_10empty_typeEEEZZNS1_27merge_sort_block_merge_implIS3_N6thrust23THRUST_200600_302600_NS6detail15normal_iteratorINS9_10device_ptrIxEEEEPS5_m11less_div_10IxEEE10hipError_tT0_T1_T2_jT3_P12ihipStream_tbPNSt15iterator_traitsISJ_E10value_typeEPNSP_ISK_E10value_typeEPSL_NS1_7vsmem_tEENKUlT_SJ_SK_SL_E_clISE_PxSF_SF_EESI_SY_SJ_SK_SL_EUlSY_E_NS1_11comp_targetILNS1_3genE3ELNS1_11target_archE908ELNS1_3gpuE7ELNS1_3repE0EEENS1_48merge_mergepath_partition_config_static_selectorELNS0_4arch9wavefront6targetE0EEEvSK_
                                        ; -- End function
	.set _ZN7rocprim17ROCPRIM_400000_NS6detail17trampoline_kernelINS0_14default_configENS1_38merge_sort_block_merge_config_selectorIxNS0_10empty_typeEEEZZNS1_27merge_sort_block_merge_implIS3_N6thrust23THRUST_200600_302600_NS6detail15normal_iteratorINS9_10device_ptrIxEEEEPS5_m11less_div_10IxEEE10hipError_tT0_T1_T2_jT3_P12ihipStream_tbPNSt15iterator_traitsISJ_E10value_typeEPNSP_ISK_E10value_typeEPSL_NS1_7vsmem_tEENKUlT_SJ_SK_SL_E_clISE_PxSF_SF_EESI_SY_SJ_SK_SL_EUlSY_E_NS1_11comp_targetILNS1_3genE3ELNS1_11target_archE908ELNS1_3gpuE7ELNS1_3repE0EEENS1_48merge_mergepath_partition_config_static_selectorELNS0_4arch9wavefront6targetE0EEEvSK_.num_vgpr, 0
	.set _ZN7rocprim17ROCPRIM_400000_NS6detail17trampoline_kernelINS0_14default_configENS1_38merge_sort_block_merge_config_selectorIxNS0_10empty_typeEEEZZNS1_27merge_sort_block_merge_implIS3_N6thrust23THRUST_200600_302600_NS6detail15normal_iteratorINS9_10device_ptrIxEEEEPS5_m11less_div_10IxEEE10hipError_tT0_T1_T2_jT3_P12ihipStream_tbPNSt15iterator_traitsISJ_E10value_typeEPNSP_ISK_E10value_typeEPSL_NS1_7vsmem_tEENKUlT_SJ_SK_SL_E_clISE_PxSF_SF_EESI_SY_SJ_SK_SL_EUlSY_E_NS1_11comp_targetILNS1_3genE3ELNS1_11target_archE908ELNS1_3gpuE7ELNS1_3repE0EEENS1_48merge_mergepath_partition_config_static_selectorELNS0_4arch9wavefront6targetE0EEEvSK_.num_agpr, 0
	.set _ZN7rocprim17ROCPRIM_400000_NS6detail17trampoline_kernelINS0_14default_configENS1_38merge_sort_block_merge_config_selectorIxNS0_10empty_typeEEEZZNS1_27merge_sort_block_merge_implIS3_N6thrust23THRUST_200600_302600_NS6detail15normal_iteratorINS9_10device_ptrIxEEEEPS5_m11less_div_10IxEEE10hipError_tT0_T1_T2_jT3_P12ihipStream_tbPNSt15iterator_traitsISJ_E10value_typeEPNSP_ISK_E10value_typeEPSL_NS1_7vsmem_tEENKUlT_SJ_SK_SL_E_clISE_PxSF_SF_EESI_SY_SJ_SK_SL_EUlSY_E_NS1_11comp_targetILNS1_3genE3ELNS1_11target_archE908ELNS1_3gpuE7ELNS1_3repE0EEENS1_48merge_mergepath_partition_config_static_selectorELNS0_4arch9wavefront6targetE0EEEvSK_.numbered_sgpr, 0
	.set _ZN7rocprim17ROCPRIM_400000_NS6detail17trampoline_kernelINS0_14default_configENS1_38merge_sort_block_merge_config_selectorIxNS0_10empty_typeEEEZZNS1_27merge_sort_block_merge_implIS3_N6thrust23THRUST_200600_302600_NS6detail15normal_iteratorINS9_10device_ptrIxEEEEPS5_m11less_div_10IxEEE10hipError_tT0_T1_T2_jT3_P12ihipStream_tbPNSt15iterator_traitsISJ_E10value_typeEPNSP_ISK_E10value_typeEPSL_NS1_7vsmem_tEENKUlT_SJ_SK_SL_E_clISE_PxSF_SF_EESI_SY_SJ_SK_SL_EUlSY_E_NS1_11comp_targetILNS1_3genE3ELNS1_11target_archE908ELNS1_3gpuE7ELNS1_3repE0EEENS1_48merge_mergepath_partition_config_static_selectorELNS0_4arch9wavefront6targetE0EEEvSK_.num_named_barrier, 0
	.set _ZN7rocprim17ROCPRIM_400000_NS6detail17trampoline_kernelINS0_14default_configENS1_38merge_sort_block_merge_config_selectorIxNS0_10empty_typeEEEZZNS1_27merge_sort_block_merge_implIS3_N6thrust23THRUST_200600_302600_NS6detail15normal_iteratorINS9_10device_ptrIxEEEEPS5_m11less_div_10IxEEE10hipError_tT0_T1_T2_jT3_P12ihipStream_tbPNSt15iterator_traitsISJ_E10value_typeEPNSP_ISK_E10value_typeEPSL_NS1_7vsmem_tEENKUlT_SJ_SK_SL_E_clISE_PxSF_SF_EESI_SY_SJ_SK_SL_EUlSY_E_NS1_11comp_targetILNS1_3genE3ELNS1_11target_archE908ELNS1_3gpuE7ELNS1_3repE0EEENS1_48merge_mergepath_partition_config_static_selectorELNS0_4arch9wavefront6targetE0EEEvSK_.private_seg_size, 0
	.set _ZN7rocprim17ROCPRIM_400000_NS6detail17trampoline_kernelINS0_14default_configENS1_38merge_sort_block_merge_config_selectorIxNS0_10empty_typeEEEZZNS1_27merge_sort_block_merge_implIS3_N6thrust23THRUST_200600_302600_NS6detail15normal_iteratorINS9_10device_ptrIxEEEEPS5_m11less_div_10IxEEE10hipError_tT0_T1_T2_jT3_P12ihipStream_tbPNSt15iterator_traitsISJ_E10value_typeEPNSP_ISK_E10value_typeEPSL_NS1_7vsmem_tEENKUlT_SJ_SK_SL_E_clISE_PxSF_SF_EESI_SY_SJ_SK_SL_EUlSY_E_NS1_11comp_targetILNS1_3genE3ELNS1_11target_archE908ELNS1_3gpuE7ELNS1_3repE0EEENS1_48merge_mergepath_partition_config_static_selectorELNS0_4arch9wavefront6targetE0EEEvSK_.uses_vcc, 0
	.set _ZN7rocprim17ROCPRIM_400000_NS6detail17trampoline_kernelINS0_14default_configENS1_38merge_sort_block_merge_config_selectorIxNS0_10empty_typeEEEZZNS1_27merge_sort_block_merge_implIS3_N6thrust23THRUST_200600_302600_NS6detail15normal_iteratorINS9_10device_ptrIxEEEEPS5_m11less_div_10IxEEE10hipError_tT0_T1_T2_jT3_P12ihipStream_tbPNSt15iterator_traitsISJ_E10value_typeEPNSP_ISK_E10value_typeEPSL_NS1_7vsmem_tEENKUlT_SJ_SK_SL_E_clISE_PxSF_SF_EESI_SY_SJ_SK_SL_EUlSY_E_NS1_11comp_targetILNS1_3genE3ELNS1_11target_archE908ELNS1_3gpuE7ELNS1_3repE0EEENS1_48merge_mergepath_partition_config_static_selectorELNS0_4arch9wavefront6targetE0EEEvSK_.uses_flat_scratch, 0
	.set _ZN7rocprim17ROCPRIM_400000_NS6detail17trampoline_kernelINS0_14default_configENS1_38merge_sort_block_merge_config_selectorIxNS0_10empty_typeEEEZZNS1_27merge_sort_block_merge_implIS3_N6thrust23THRUST_200600_302600_NS6detail15normal_iteratorINS9_10device_ptrIxEEEEPS5_m11less_div_10IxEEE10hipError_tT0_T1_T2_jT3_P12ihipStream_tbPNSt15iterator_traitsISJ_E10value_typeEPNSP_ISK_E10value_typeEPSL_NS1_7vsmem_tEENKUlT_SJ_SK_SL_E_clISE_PxSF_SF_EESI_SY_SJ_SK_SL_EUlSY_E_NS1_11comp_targetILNS1_3genE3ELNS1_11target_archE908ELNS1_3gpuE7ELNS1_3repE0EEENS1_48merge_mergepath_partition_config_static_selectorELNS0_4arch9wavefront6targetE0EEEvSK_.has_dyn_sized_stack, 0
	.set _ZN7rocprim17ROCPRIM_400000_NS6detail17trampoline_kernelINS0_14default_configENS1_38merge_sort_block_merge_config_selectorIxNS0_10empty_typeEEEZZNS1_27merge_sort_block_merge_implIS3_N6thrust23THRUST_200600_302600_NS6detail15normal_iteratorINS9_10device_ptrIxEEEEPS5_m11less_div_10IxEEE10hipError_tT0_T1_T2_jT3_P12ihipStream_tbPNSt15iterator_traitsISJ_E10value_typeEPNSP_ISK_E10value_typeEPSL_NS1_7vsmem_tEENKUlT_SJ_SK_SL_E_clISE_PxSF_SF_EESI_SY_SJ_SK_SL_EUlSY_E_NS1_11comp_targetILNS1_3genE3ELNS1_11target_archE908ELNS1_3gpuE7ELNS1_3repE0EEENS1_48merge_mergepath_partition_config_static_selectorELNS0_4arch9wavefront6targetE0EEEvSK_.has_recursion, 0
	.set _ZN7rocprim17ROCPRIM_400000_NS6detail17trampoline_kernelINS0_14default_configENS1_38merge_sort_block_merge_config_selectorIxNS0_10empty_typeEEEZZNS1_27merge_sort_block_merge_implIS3_N6thrust23THRUST_200600_302600_NS6detail15normal_iteratorINS9_10device_ptrIxEEEEPS5_m11less_div_10IxEEE10hipError_tT0_T1_T2_jT3_P12ihipStream_tbPNSt15iterator_traitsISJ_E10value_typeEPNSP_ISK_E10value_typeEPSL_NS1_7vsmem_tEENKUlT_SJ_SK_SL_E_clISE_PxSF_SF_EESI_SY_SJ_SK_SL_EUlSY_E_NS1_11comp_targetILNS1_3genE3ELNS1_11target_archE908ELNS1_3gpuE7ELNS1_3repE0EEENS1_48merge_mergepath_partition_config_static_selectorELNS0_4arch9wavefront6targetE0EEEvSK_.has_indirect_call, 0
	.section	.AMDGPU.csdata,"",@progbits
; Kernel info:
; codeLenInByte = 0
; TotalNumSgprs: 0
; NumVgprs: 0
; ScratchSize: 0
; MemoryBound: 0
; FloatMode: 240
; IeeeMode: 1
; LDSByteSize: 0 bytes/workgroup (compile time only)
; SGPRBlocks: 0
; VGPRBlocks: 0
; NumSGPRsForWavesPerEU: 1
; NumVGPRsForWavesPerEU: 1
; Occupancy: 16
; WaveLimiterHint : 0
; COMPUTE_PGM_RSRC2:SCRATCH_EN: 0
; COMPUTE_PGM_RSRC2:USER_SGPR: 6
; COMPUTE_PGM_RSRC2:TRAP_HANDLER: 0
; COMPUTE_PGM_RSRC2:TGID_X_EN: 1
; COMPUTE_PGM_RSRC2:TGID_Y_EN: 0
; COMPUTE_PGM_RSRC2:TGID_Z_EN: 0
; COMPUTE_PGM_RSRC2:TIDIG_COMP_CNT: 0
	.section	.text._ZN7rocprim17ROCPRIM_400000_NS6detail17trampoline_kernelINS0_14default_configENS1_38merge_sort_block_merge_config_selectorIxNS0_10empty_typeEEEZZNS1_27merge_sort_block_merge_implIS3_N6thrust23THRUST_200600_302600_NS6detail15normal_iteratorINS9_10device_ptrIxEEEEPS5_m11less_div_10IxEEE10hipError_tT0_T1_T2_jT3_P12ihipStream_tbPNSt15iterator_traitsISJ_E10value_typeEPNSP_ISK_E10value_typeEPSL_NS1_7vsmem_tEENKUlT_SJ_SK_SL_E_clISE_PxSF_SF_EESI_SY_SJ_SK_SL_EUlSY_E_NS1_11comp_targetILNS1_3genE2ELNS1_11target_archE906ELNS1_3gpuE6ELNS1_3repE0EEENS1_48merge_mergepath_partition_config_static_selectorELNS0_4arch9wavefront6targetE0EEEvSK_,"axG",@progbits,_ZN7rocprim17ROCPRIM_400000_NS6detail17trampoline_kernelINS0_14default_configENS1_38merge_sort_block_merge_config_selectorIxNS0_10empty_typeEEEZZNS1_27merge_sort_block_merge_implIS3_N6thrust23THRUST_200600_302600_NS6detail15normal_iteratorINS9_10device_ptrIxEEEEPS5_m11less_div_10IxEEE10hipError_tT0_T1_T2_jT3_P12ihipStream_tbPNSt15iterator_traitsISJ_E10value_typeEPNSP_ISK_E10value_typeEPSL_NS1_7vsmem_tEENKUlT_SJ_SK_SL_E_clISE_PxSF_SF_EESI_SY_SJ_SK_SL_EUlSY_E_NS1_11comp_targetILNS1_3genE2ELNS1_11target_archE906ELNS1_3gpuE6ELNS1_3repE0EEENS1_48merge_mergepath_partition_config_static_selectorELNS0_4arch9wavefront6targetE0EEEvSK_,comdat
	.protected	_ZN7rocprim17ROCPRIM_400000_NS6detail17trampoline_kernelINS0_14default_configENS1_38merge_sort_block_merge_config_selectorIxNS0_10empty_typeEEEZZNS1_27merge_sort_block_merge_implIS3_N6thrust23THRUST_200600_302600_NS6detail15normal_iteratorINS9_10device_ptrIxEEEEPS5_m11less_div_10IxEEE10hipError_tT0_T1_T2_jT3_P12ihipStream_tbPNSt15iterator_traitsISJ_E10value_typeEPNSP_ISK_E10value_typeEPSL_NS1_7vsmem_tEENKUlT_SJ_SK_SL_E_clISE_PxSF_SF_EESI_SY_SJ_SK_SL_EUlSY_E_NS1_11comp_targetILNS1_3genE2ELNS1_11target_archE906ELNS1_3gpuE6ELNS1_3repE0EEENS1_48merge_mergepath_partition_config_static_selectorELNS0_4arch9wavefront6targetE0EEEvSK_ ; -- Begin function _ZN7rocprim17ROCPRIM_400000_NS6detail17trampoline_kernelINS0_14default_configENS1_38merge_sort_block_merge_config_selectorIxNS0_10empty_typeEEEZZNS1_27merge_sort_block_merge_implIS3_N6thrust23THRUST_200600_302600_NS6detail15normal_iteratorINS9_10device_ptrIxEEEEPS5_m11less_div_10IxEEE10hipError_tT0_T1_T2_jT3_P12ihipStream_tbPNSt15iterator_traitsISJ_E10value_typeEPNSP_ISK_E10value_typeEPSL_NS1_7vsmem_tEENKUlT_SJ_SK_SL_E_clISE_PxSF_SF_EESI_SY_SJ_SK_SL_EUlSY_E_NS1_11comp_targetILNS1_3genE2ELNS1_11target_archE906ELNS1_3gpuE6ELNS1_3repE0EEENS1_48merge_mergepath_partition_config_static_selectorELNS0_4arch9wavefront6targetE0EEEvSK_
	.globl	_ZN7rocprim17ROCPRIM_400000_NS6detail17trampoline_kernelINS0_14default_configENS1_38merge_sort_block_merge_config_selectorIxNS0_10empty_typeEEEZZNS1_27merge_sort_block_merge_implIS3_N6thrust23THRUST_200600_302600_NS6detail15normal_iteratorINS9_10device_ptrIxEEEEPS5_m11less_div_10IxEEE10hipError_tT0_T1_T2_jT3_P12ihipStream_tbPNSt15iterator_traitsISJ_E10value_typeEPNSP_ISK_E10value_typeEPSL_NS1_7vsmem_tEENKUlT_SJ_SK_SL_E_clISE_PxSF_SF_EESI_SY_SJ_SK_SL_EUlSY_E_NS1_11comp_targetILNS1_3genE2ELNS1_11target_archE906ELNS1_3gpuE6ELNS1_3repE0EEENS1_48merge_mergepath_partition_config_static_selectorELNS0_4arch9wavefront6targetE0EEEvSK_
	.p2align	8
	.type	_ZN7rocprim17ROCPRIM_400000_NS6detail17trampoline_kernelINS0_14default_configENS1_38merge_sort_block_merge_config_selectorIxNS0_10empty_typeEEEZZNS1_27merge_sort_block_merge_implIS3_N6thrust23THRUST_200600_302600_NS6detail15normal_iteratorINS9_10device_ptrIxEEEEPS5_m11less_div_10IxEEE10hipError_tT0_T1_T2_jT3_P12ihipStream_tbPNSt15iterator_traitsISJ_E10value_typeEPNSP_ISK_E10value_typeEPSL_NS1_7vsmem_tEENKUlT_SJ_SK_SL_E_clISE_PxSF_SF_EESI_SY_SJ_SK_SL_EUlSY_E_NS1_11comp_targetILNS1_3genE2ELNS1_11target_archE906ELNS1_3gpuE6ELNS1_3repE0EEENS1_48merge_mergepath_partition_config_static_selectorELNS0_4arch9wavefront6targetE0EEEvSK_,@function
_ZN7rocprim17ROCPRIM_400000_NS6detail17trampoline_kernelINS0_14default_configENS1_38merge_sort_block_merge_config_selectorIxNS0_10empty_typeEEEZZNS1_27merge_sort_block_merge_implIS3_N6thrust23THRUST_200600_302600_NS6detail15normal_iteratorINS9_10device_ptrIxEEEEPS5_m11less_div_10IxEEE10hipError_tT0_T1_T2_jT3_P12ihipStream_tbPNSt15iterator_traitsISJ_E10value_typeEPNSP_ISK_E10value_typeEPSL_NS1_7vsmem_tEENKUlT_SJ_SK_SL_E_clISE_PxSF_SF_EESI_SY_SJ_SK_SL_EUlSY_E_NS1_11comp_targetILNS1_3genE2ELNS1_11target_archE906ELNS1_3gpuE6ELNS1_3repE0EEENS1_48merge_mergepath_partition_config_static_selectorELNS0_4arch9wavefront6targetE0EEEvSK_: ; @_ZN7rocprim17ROCPRIM_400000_NS6detail17trampoline_kernelINS0_14default_configENS1_38merge_sort_block_merge_config_selectorIxNS0_10empty_typeEEEZZNS1_27merge_sort_block_merge_implIS3_N6thrust23THRUST_200600_302600_NS6detail15normal_iteratorINS9_10device_ptrIxEEEEPS5_m11less_div_10IxEEE10hipError_tT0_T1_T2_jT3_P12ihipStream_tbPNSt15iterator_traitsISJ_E10value_typeEPNSP_ISK_E10value_typeEPSL_NS1_7vsmem_tEENKUlT_SJ_SK_SL_E_clISE_PxSF_SF_EESI_SY_SJ_SK_SL_EUlSY_E_NS1_11comp_targetILNS1_3genE2ELNS1_11target_archE906ELNS1_3gpuE6ELNS1_3repE0EEENS1_48merge_mergepath_partition_config_static_selectorELNS0_4arch9wavefront6targetE0EEEvSK_
; %bb.0:
	.section	.rodata,"a",@progbits
	.p2align	6, 0x0
	.amdhsa_kernel _ZN7rocprim17ROCPRIM_400000_NS6detail17trampoline_kernelINS0_14default_configENS1_38merge_sort_block_merge_config_selectorIxNS0_10empty_typeEEEZZNS1_27merge_sort_block_merge_implIS3_N6thrust23THRUST_200600_302600_NS6detail15normal_iteratorINS9_10device_ptrIxEEEEPS5_m11less_div_10IxEEE10hipError_tT0_T1_T2_jT3_P12ihipStream_tbPNSt15iterator_traitsISJ_E10value_typeEPNSP_ISK_E10value_typeEPSL_NS1_7vsmem_tEENKUlT_SJ_SK_SL_E_clISE_PxSF_SF_EESI_SY_SJ_SK_SL_EUlSY_E_NS1_11comp_targetILNS1_3genE2ELNS1_11target_archE906ELNS1_3gpuE6ELNS1_3repE0EEENS1_48merge_mergepath_partition_config_static_selectorELNS0_4arch9wavefront6targetE0EEEvSK_
		.amdhsa_group_segment_fixed_size 0
		.amdhsa_private_segment_fixed_size 0
		.amdhsa_kernarg_size 48
		.amdhsa_user_sgpr_count 6
		.amdhsa_user_sgpr_private_segment_buffer 1
		.amdhsa_user_sgpr_dispatch_ptr 0
		.amdhsa_user_sgpr_queue_ptr 0
		.amdhsa_user_sgpr_kernarg_segment_ptr 1
		.amdhsa_user_sgpr_dispatch_id 0
		.amdhsa_user_sgpr_flat_scratch_init 0
		.amdhsa_user_sgpr_private_segment_size 0
		.amdhsa_wavefront_size32 1
		.amdhsa_uses_dynamic_stack 0
		.amdhsa_system_sgpr_private_segment_wavefront_offset 0
		.amdhsa_system_sgpr_workgroup_id_x 1
		.amdhsa_system_sgpr_workgroup_id_y 0
		.amdhsa_system_sgpr_workgroup_id_z 0
		.amdhsa_system_sgpr_workgroup_info 0
		.amdhsa_system_vgpr_workitem_id 0
		.amdhsa_next_free_vgpr 1
		.amdhsa_next_free_sgpr 1
		.amdhsa_reserve_vcc 0
		.amdhsa_reserve_flat_scratch 0
		.amdhsa_float_round_mode_32 0
		.amdhsa_float_round_mode_16_64 0
		.amdhsa_float_denorm_mode_32 3
		.amdhsa_float_denorm_mode_16_64 3
		.amdhsa_dx10_clamp 1
		.amdhsa_ieee_mode 1
		.amdhsa_fp16_overflow 0
		.amdhsa_workgroup_processor_mode 1
		.amdhsa_memory_ordered 1
		.amdhsa_forward_progress 1
		.amdhsa_shared_vgpr_count 0
		.amdhsa_exception_fp_ieee_invalid_op 0
		.amdhsa_exception_fp_denorm_src 0
		.amdhsa_exception_fp_ieee_div_zero 0
		.amdhsa_exception_fp_ieee_overflow 0
		.amdhsa_exception_fp_ieee_underflow 0
		.amdhsa_exception_fp_ieee_inexact 0
		.amdhsa_exception_int_div_zero 0
	.end_amdhsa_kernel
	.section	.text._ZN7rocprim17ROCPRIM_400000_NS6detail17trampoline_kernelINS0_14default_configENS1_38merge_sort_block_merge_config_selectorIxNS0_10empty_typeEEEZZNS1_27merge_sort_block_merge_implIS3_N6thrust23THRUST_200600_302600_NS6detail15normal_iteratorINS9_10device_ptrIxEEEEPS5_m11less_div_10IxEEE10hipError_tT0_T1_T2_jT3_P12ihipStream_tbPNSt15iterator_traitsISJ_E10value_typeEPNSP_ISK_E10value_typeEPSL_NS1_7vsmem_tEENKUlT_SJ_SK_SL_E_clISE_PxSF_SF_EESI_SY_SJ_SK_SL_EUlSY_E_NS1_11comp_targetILNS1_3genE2ELNS1_11target_archE906ELNS1_3gpuE6ELNS1_3repE0EEENS1_48merge_mergepath_partition_config_static_selectorELNS0_4arch9wavefront6targetE0EEEvSK_,"axG",@progbits,_ZN7rocprim17ROCPRIM_400000_NS6detail17trampoline_kernelINS0_14default_configENS1_38merge_sort_block_merge_config_selectorIxNS0_10empty_typeEEEZZNS1_27merge_sort_block_merge_implIS3_N6thrust23THRUST_200600_302600_NS6detail15normal_iteratorINS9_10device_ptrIxEEEEPS5_m11less_div_10IxEEE10hipError_tT0_T1_T2_jT3_P12ihipStream_tbPNSt15iterator_traitsISJ_E10value_typeEPNSP_ISK_E10value_typeEPSL_NS1_7vsmem_tEENKUlT_SJ_SK_SL_E_clISE_PxSF_SF_EESI_SY_SJ_SK_SL_EUlSY_E_NS1_11comp_targetILNS1_3genE2ELNS1_11target_archE906ELNS1_3gpuE6ELNS1_3repE0EEENS1_48merge_mergepath_partition_config_static_selectorELNS0_4arch9wavefront6targetE0EEEvSK_,comdat
.Lfunc_end365:
	.size	_ZN7rocprim17ROCPRIM_400000_NS6detail17trampoline_kernelINS0_14default_configENS1_38merge_sort_block_merge_config_selectorIxNS0_10empty_typeEEEZZNS1_27merge_sort_block_merge_implIS3_N6thrust23THRUST_200600_302600_NS6detail15normal_iteratorINS9_10device_ptrIxEEEEPS5_m11less_div_10IxEEE10hipError_tT0_T1_T2_jT3_P12ihipStream_tbPNSt15iterator_traitsISJ_E10value_typeEPNSP_ISK_E10value_typeEPSL_NS1_7vsmem_tEENKUlT_SJ_SK_SL_E_clISE_PxSF_SF_EESI_SY_SJ_SK_SL_EUlSY_E_NS1_11comp_targetILNS1_3genE2ELNS1_11target_archE906ELNS1_3gpuE6ELNS1_3repE0EEENS1_48merge_mergepath_partition_config_static_selectorELNS0_4arch9wavefront6targetE0EEEvSK_, .Lfunc_end365-_ZN7rocprim17ROCPRIM_400000_NS6detail17trampoline_kernelINS0_14default_configENS1_38merge_sort_block_merge_config_selectorIxNS0_10empty_typeEEEZZNS1_27merge_sort_block_merge_implIS3_N6thrust23THRUST_200600_302600_NS6detail15normal_iteratorINS9_10device_ptrIxEEEEPS5_m11less_div_10IxEEE10hipError_tT0_T1_T2_jT3_P12ihipStream_tbPNSt15iterator_traitsISJ_E10value_typeEPNSP_ISK_E10value_typeEPSL_NS1_7vsmem_tEENKUlT_SJ_SK_SL_E_clISE_PxSF_SF_EESI_SY_SJ_SK_SL_EUlSY_E_NS1_11comp_targetILNS1_3genE2ELNS1_11target_archE906ELNS1_3gpuE6ELNS1_3repE0EEENS1_48merge_mergepath_partition_config_static_selectorELNS0_4arch9wavefront6targetE0EEEvSK_
                                        ; -- End function
	.set _ZN7rocprim17ROCPRIM_400000_NS6detail17trampoline_kernelINS0_14default_configENS1_38merge_sort_block_merge_config_selectorIxNS0_10empty_typeEEEZZNS1_27merge_sort_block_merge_implIS3_N6thrust23THRUST_200600_302600_NS6detail15normal_iteratorINS9_10device_ptrIxEEEEPS5_m11less_div_10IxEEE10hipError_tT0_T1_T2_jT3_P12ihipStream_tbPNSt15iterator_traitsISJ_E10value_typeEPNSP_ISK_E10value_typeEPSL_NS1_7vsmem_tEENKUlT_SJ_SK_SL_E_clISE_PxSF_SF_EESI_SY_SJ_SK_SL_EUlSY_E_NS1_11comp_targetILNS1_3genE2ELNS1_11target_archE906ELNS1_3gpuE6ELNS1_3repE0EEENS1_48merge_mergepath_partition_config_static_selectorELNS0_4arch9wavefront6targetE0EEEvSK_.num_vgpr, 0
	.set _ZN7rocprim17ROCPRIM_400000_NS6detail17trampoline_kernelINS0_14default_configENS1_38merge_sort_block_merge_config_selectorIxNS0_10empty_typeEEEZZNS1_27merge_sort_block_merge_implIS3_N6thrust23THRUST_200600_302600_NS6detail15normal_iteratorINS9_10device_ptrIxEEEEPS5_m11less_div_10IxEEE10hipError_tT0_T1_T2_jT3_P12ihipStream_tbPNSt15iterator_traitsISJ_E10value_typeEPNSP_ISK_E10value_typeEPSL_NS1_7vsmem_tEENKUlT_SJ_SK_SL_E_clISE_PxSF_SF_EESI_SY_SJ_SK_SL_EUlSY_E_NS1_11comp_targetILNS1_3genE2ELNS1_11target_archE906ELNS1_3gpuE6ELNS1_3repE0EEENS1_48merge_mergepath_partition_config_static_selectorELNS0_4arch9wavefront6targetE0EEEvSK_.num_agpr, 0
	.set _ZN7rocprim17ROCPRIM_400000_NS6detail17trampoline_kernelINS0_14default_configENS1_38merge_sort_block_merge_config_selectorIxNS0_10empty_typeEEEZZNS1_27merge_sort_block_merge_implIS3_N6thrust23THRUST_200600_302600_NS6detail15normal_iteratorINS9_10device_ptrIxEEEEPS5_m11less_div_10IxEEE10hipError_tT0_T1_T2_jT3_P12ihipStream_tbPNSt15iterator_traitsISJ_E10value_typeEPNSP_ISK_E10value_typeEPSL_NS1_7vsmem_tEENKUlT_SJ_SK_SL_E_clISE_PxSF_SF_EESI_SY_SJ_SK_SL_EUlSY_E_NS1_11comp_targetILNS1_3genE2ELNS1_11target_archE906ELNS1_3gpuE6ELNS1_3repE0EEENS1_48merge_mergepath_partition_config_static_selectorELNS0_4arch9wavefront6targetE0EEEvSK_.numbered_sgpr, 0
	.set _ZN7rocprim17ROCPRIM_400000_NS6detail17trampoline_kernelINS0_14default_configENS1_38merge_sort_block_merge_config_selectorIxNS0_10empty_typeEEEZZNS1_27merge_sort_block_merge_implIS3_N6thrust23THRUST_200600_302600_NS6detail15normal_iteratorINS9_10device_ptrIxEEEEPS5_m11less_div_10IxEEE10hipError_tT0_T1_T2_jT3_P12ihipStream_tbPNSt15iterator_traitsISJ_E10value_typeEPNSP_ISK_E10value_typeEPSL_NS1_7vsmem_tEENKUlT_SJ_SK_SL_E_clISE_PxSF_SF_EESI_SY_SJ_SK_SL_EUlSY_E_NS1_11comp_targetILNS1_3genE2ELNS1_11target_archE906ELNS1_3gpuE6ELNS1_3repE0EEENS1_48merge_mergepath_partition_config_static_selectorELNS0_4arch9wavefront6targetE0EEEvSK_.num_named_barrier, 0
	.set _ZN7rocprim17ROCPRIM_400000_NS6detail17trampoline_kernelINS0_14default_configENS1_38merge_sort_block_merge_config_selectorIxNS0_10empty_typeEEEZZNS1_27merge_sort_block_merge_implIS3_N6thrust23THRUST_200600_302600_NS6detail15normal_iteratorINS9_10device_ptrIxEEEEPS5_m11less_div_10IxEEE10hipError_tT0_T1_T2_jT3_P12ihipStream_tbPNSt15iterator_traitsISJ_E10value_typeEPNSP_ISK_E10value_typeEPSL_NS1_7vsmem_tEENKUlT_SJ_SK_SL_E_clISE_PxSF_SF_EESI_SY_SJ_SK_SL_EUlSY_E_NS1_11comp_targetILNS1_3genE2ELNS1_11target_archE906ELNS1_3gpuE6ELNS1_3repE0EEENS1_48merge_mergepath_partition_config_static_selectorELNS0_4arch9wavefront6targetE0EEEvSK_.private_seg_size, 0
	.set _ZN7rocprim17ROCPRIM_400000_NS6detail17trampoline_kernelINS0_14default_configENS1_38merge_sort_block_merge_config_selectorIxNS0_10empty_typeEEEZZNS1_27merge_sort_block_merge_implIS3_N6thrust23THRUST_200600_302600_NS6detail15normal_iteratorINS9_10device_ptrIxEEEEPS5_m11less_div_10IxEEE10hipError_tT0_T1_T2_jT3_P12ihipStream_tbPNSt15iterator_traitsISJ_E10value_typeEPNSP_ISK_E10value_typeEPSL_NS1_7vsmem_tEENKUlT_SJ_SK_SL_E_clISE_PxSF_SF_EESI_SY_SJ_SK_SL_EUlSY_E_NS1_11comp_targetILNS1_3genE2ELNS1_11target_archE906ELNS1_3gpuE6ELNS1_3repE0EEENS1_48merge_mergepath_partition_config_static_selectorELNS0_4arch9wavefront6targetE0EEEvSK_.uses_vcc, 0
	.set _ZN7rocprim17ROCPRIM_400000_NS6detail17trampoline_kernelINS0_14default_configENS1_38merge_sort_block_merge_config_selectorIxNS0_10empty_typeEEEZZNS1_27merge_sort_block_merge_implIS3_N6thrust23THRUST_200600_302600_NS6detail15normal_iteratorINS9_10device_ptrIxEEEEPS5_m11less_div_10IxEEE10hipError_tT0_T1_T2_jT3_P12ihipStream_tbPNSt15iterator_traitsISJ_E10value_typeEPNSP_ISK_E10value_typeEPSL_NS1_7vsmem_tEENKUlT_SJ_SK_SL_E_clISE_PxSF_SF_EESI_SY_SJ_SK_SL_EUlSY_E_NS1_11comp_targetILNS1_3genE2ELNS1_11target_archE906ELNS1_3gpuE6ELNS1_3repE0EEENS1_48merge_mergepath_partition_config_static_selectorELNS0_4arch9wavefront6targetE0EEEvSK_.uses_flat_scratch, 0
	.set _ZN7rocprim17ROCPRIM_400000_NS6detail17trampoline_kernelINS0_14default_configENS1_38merge_sort_block_merge_config_selectorIxNS0_10empty_typeEEEZZNS1_27merge_sort_block_merge_implIS3_N6thrust23THRUST_200600_302600_NS6detail15normal_iteratorINS9_10device_ptrIxEEEEPS5_m11less_div_10IxEEE10hipError_tT0_T1_T2_jT3_P12ihipStream_tbPNSt15iterator_traitsISJ_E10value_typeEPNSP_ISK_E10value_typeEPSL_NS1_7vsmem_tEENKUlT_SJ_SK_SL_E_clISE_PxSF_SF_EESI_SY_SJ_SK_SL_EUlSY_E_NS1_11comp_targetILNS1_3genE2ELNS1_11target_archE906ELNS1_3gpuE6ELNS1_3repE0EEENS1_48merge_mergepath_partition_config_static_selectorELNS0_4arch9wavefront6targetE0EEEvSK_.has_dyn_sized_stack, 0
	.set _ZN7rocprim17ROCPRIM_400000_NS6detail17trampoline_kernelINS0_14default_configENS1_38merge_sort_block_merge_config_selectorIxNS0_10empty_typeEEEZZNS1_27merge_sort_block_merge_implIS3_N6thrust23THRUST_200600_302600_NS6detail15normal_iteratorINS9_10device_ptrIxEEEEPS5_m11less_div_10IxEEE10hipError_tT0_T1_T2_jT3_P12ihipStream_tbPNSt15iterator_traitsISJ_E10value_typeEPNSP_ISK_E10value_typeEPSL_NS1_7vsmem_tEENKUlT_SJ_SK_SL_E_clISE_PxSF_SF_EESI_SY_SJ_SK_SL_EUlSY_E_NS1_11comp_targetILNS1_3genE2ELNS1_11target_archE906ELNS1_3gpuE6ELNS1_3repE0EEENS1_48merge_mergepath_partition_config_static_selectorELNS0_4arch9wavefront6targetE0EEEvSK_.has_recursion, 0
	.set _ZN7rocprim17ROCPRIM_400000_NS6detail17trampoline_kernelINS0_14default_configENS1_38merge_sort_block_merge_config_selectorIxNS0_10empty_typeEEEZZNS1_27merge_sort_block_merge_implIS3_N6thrust23THRUST_200600_302600_NS6detail15normal_iteratorINS9_10device_ptrIxEEEEPS5_m11less_div_10IxEEE10hipError_tT0_T1_T2_jT3_P12ihipStream_tbPNSt15iterator_traitsISJ_E10value_typeEPNSP_ISK_E10value_typeEPSL_NS1_7vsmem_tEENKUlT_SJ_SK_SL_E_clISE_PxSF_SF_EESI_SY_SJ_SK_SL_EUlSY_E_NS1_11comp_targetILNS1_3genE2ELNS1_11target_archE906ELNS1_3gpuE6ELNS1_3repE0EEENS1_48merge_mergepath_partition_config_static_selectorELNS0_4arch9wavefront6targetE0EEEvSK_.has_indirect_call, 0
	.section	.AMDGPU.csdata,"",@progbits
; Kernel info:
; codeLenInByte = 0
; TotalNumSgprs: 0
; NumVgprs: 0
; ScratchSize: 0
; MemoryBound: 0
; FloatMode: 240
; IeeeMode: 1
; LDSByteSize: 0 bytes/workgroup (compile time only)
; SGPRBlocks: 0
; VGPRBlocks: 0
; NumSGPRsForWavesPerEU: 1
; NumVGPRsForWavesPerEU: 1
; Occupancy: 16
; WaveLimiterHint : 0
; COMPUTE_PGM_RSRC2:SCRATCH_EN: 0
; COMPUTE_PGM_RSRC2:USER_SGPR: 6
; COMPUTE_PGM_RSRC2:TRAP_HANDLER: 0
; COMPUTE_PGM_RSRC2:TGID_X_EN: 1
; COMPUTE_PGM_RSRC2:TGID_Y_EN: 0
; COMPUTE_PGM_RSRC2:TGID_Z_EN: 0
; COMPUTE_PGM_RSRC2:TIDIG_COMP_CNT: 0
	.section	.text._ZN7rocprim17ROCPRIM_400000_NS6detail17trampoline_kernelINS0_14default_configENS1_38merge_sort_block_merge_config_selectorIxNS0_10empty_typeEEEZZNS1_27merge_sort_block_merge_implIS3_N6thrust23THRUST_200600_302600_NS6detail15normal_iteratorINS9_10device_ptrIxEEEEPS5_m11less_div_10IxEEE10hipError_tT0_T1_T2_jT3_P12ihipStream_tbPNSt15iterator_traitsISJ_E10value_typeEPNSP_ISK_E10value_typeEPSL_NS1_7vsmem_tEENKUlT_SJ_SK_SL_E_clISE_PxSF_SF_EESI_SY_SJ_SK_SL_EUlSY_E_NS1_11comp_targetILNS1_3genE9ELNS1_11target_archE1100ELNS1_3gpuE3ELNS1_3repE0EEENS1_48merge_mergepath_partition_config_static_selectorELNS0_4arch9wavefront6targetE0EEEvSK_,"axG",@progbits,_ZN7rocprim17ROCPRIM_400000_NS6detail17trampoline_kernelINS0_14default_configENS1_38merge_sort_block_merge_config_selectorIxNS0_10empty_typeEEEZZNS1_27merge_sort_block_merge_implIS3_N6thrust23THRUST_200600_302600_NS6detail15normal_iteratorINS9_10device_ptrIxEEEEPS5_m11less_div_10IxEEE10hipError_tT0_T1_T2_jT3_P12ihipStream_tbPNSt15iterator_traitsISJ_E10value_typeEPNSP_ISK_E10value_typeEPSL_NS1_7vsmem_tEENKUlT_SJ_SK_SL_E_clISE_PxSF_SF_EESI_SY_SJ_SK_SL_EUlSY_E_NS1_11comp_targetILNS1_3genE9ELNS1_11target_archE1100ELNS1_3gpuE3ELNS1_3repE0EEENS1_48merge_mergepath_partition_config_static_selectorELNS0_4arch9wavefront6targetE0EEEvSK_,comdat
	.protected	_ZN7rocprim17ROCPRIM_400000_NS6detail17trampoline_kernelINS0_14default_configENS1_38merge_sort_block_merge_config_selectorIxNS0_10empty_typeEEEZZNS1_27merge_sort_block_merge_implIS3_N6thrust23THRUST_200600_302600_NS6detail15normal_iteratorINS9_10device_ptrIxEEEEPS5_m11less_div_10IxEEE10hipError_tT0_T1_T2_jT3_P12ihipStream_tbPNSt15iterator_traitsISJ_E10value_typeEPNSP_ISK_E10value_typeEPSL_NS1_7vsmem_tEENKUlT_SJ_SK_SL_E_clISE_PxSF_SF_EESI_SY_SJ_SK_SL_EUlSY_E_NS1_11comp_targetILNS1_3genE9ELNS1_11target_archE1100ELNS1_3gpuE3ELNS1_3repE0EEENS1_48merge_mergepath_partition_config_static_selectorELNS0_4arch9wavefront6targetE0EEEvSK_ ; -- Begin function _ZN7rocprim17ROCPRIM_400000_NS6detail17trampoline_kernelINS0_14default_configENS1_38merge_sort_block_merge_config_selectorIxNS0_10empty_typeEEEZZNS1_27merge_sort_block_merge_implIS3_N6thrust23THRUST_200600_302600_NS6detail15normal_iteratorINS9_10device_ptrIxEEEEPS5_m11less_div_10IxEEE10hipError_tT0_T1_T2_jT3_P12ihipStream_tbPNSt15iterator_traitsISJ_E10value_typeEPNSP_ISK_E10value_typeEPSL_NS1_7vsmem_tEENKUlT_SJ_SK_SL_E_clISE_PxSF_SF_EESI_SY_SJ_SK_SL_EUlSY_E_NS1_11comp_targetILNS1_3genE9ELNS1_11target_archE1100ELNS1_3gpuE3ELNS1_3repE0EEENS1_48merge_mergepath_partition_config_static_selectorELNS0_4arch9wavefront6targetE0EEEvSK_
	.globl	_ZN7rocprim17ROCPRIM_400000_NS6detail17trampoline_kernelINS0_14default_configENS1_38merge_sort_block_merge_config_selectorIxNS0_10empty_typeEEEZZNS1_27merge_sort_block_merge_implIS3_N6thrust23THRUST_200600_302600_NS6detail15normal_iteratorINS9_10device_ptrIxEEEEPS5_m11less_div_10IxEEE10hipError_tT0_T1_T2_jT3_P12ihipStream_tbPNSt15iterator_traitsISJ_E10value_typeEPNSP_ISK_E10value_typeEPSL_NS1_7vsmem_tEENKUlT_SJ_SK_SL_E_clISE_PxSF_SF_EESI_SY_SJ_SK_SL_EUlSY_E_NS1_11comp_targetILNS1_3genE9ELNS1_11target_archE1100ELNS1_3gpuE3ELNS1_3repE0EEENS1_48merge_mergepath_partition_config_static_selectorELNS0_4arch9wavefront6targetE0EEEvSK_
	.p2align	8
	.type	_ZN7rocprim17ROCPRIM_400000_NS6detail17trampoline_kernelINS0_14default_configENS1_38merge_sort_block_merge_config_selectorIxNS0_10empty_typeEEEZZNS1_27merge_sort_block_merge_implIS3_N6thrust23THRUST_200600_302600_NS6detail15normal_iteratorINS9_10device_ptrIxEEEEPS5_m11less_div_10IxEEE10hipError_tT0_T1_T2_jT3_P12ihipStream_tbPNSt15iterator_traitsISJ_E10value_typeEPNSP_ISK_E10value_typeEPSL_NS1_7vsmem_tEENKUlT_SJ_SK_SL_E_clISE_PxSF_SF_EESI_SY_SJ_SK_SL_EUlSY_E_NS1_11comp_targetILNS1_3genE9ELNS1_11target_archE1100ELNS1_3gpuE3ELNS1_3repE0EEENS1_48merge_mergepath_partition_config_static_selectorELNS0_4arch9wavefront6targetE0EEEvSK_,@function
_ZN7rocprim17ROCPRIM_400000_NS6detail17trampoline_kernelINS0_14default_configENS1_38merge_sort_block_merge_config_selectorIxNS0_10empty_typeEEEZZNS1_27merge_sort_block_merge_implIS3_N6thrust23THRUST_200600_302600_NS6detail15normal_iteratorINS9_10device_ptrIxEEEEPS5_m11less_div_10IxEEE10hipError_tT0_T1_T2_jT3_P12ihipStream_tbPNSt15iterator_traitsISJ_E10value_typeEPNSP_ISK_E10value_typeEPSL_NS1_7vsmem_tEENKUlT_SJ_SK_SL_E_clISE_PxSF_SF_EESI_SY_SJ_SK_SL_EUlSY_E_NS1_11comp_targetILNS1_3genE9ELNS1_11target_archE1100ELNS1_3gpuE3ELNS1_3repE0EEENS1_48merge_mergepath_partition_config_static_selectorELNS0_4arch9wavefront6targetE0EEEvSK_: ; @_ZN7rocprim17ROCPRIM_400000_NS6detail17trampoline_kernelINS0_14default_configENS1_38merge_sort_block_merge_config_selectorIxNS0_10empty_typeEEEZZNS1_27merge_sort_block_merge_implIS3_N6thrust23THRUST_200600_302600_NS6detail15normal_iteratorINS9_10device_ptrIxEEEEPS5_m11less_div_10IxEEE10hipError_tT0_T1_T2_jT3_P12ihipStream_tbPNSt15iterator_traitsISJ_E10value_typeEPNSP_ISK_E10value_typeEPSL_NS1_7vsmem_tEENKUlT_SJ_SK_SL_E_clISE_PxSF_SF_EESI_SY_SJ_SK_SL_EUlSY_E_NS1_11comp_targetILNS1_3genE9ELNS1_11target_archE1100ELNS1_3gpuE3ELNS1_3repE0EEENS1_48merge_mergepath_partition_config_static_selectorELNS0_4arch9wavefront6targetE0EEEvSK_
; %bb.0:
	.section	.rodata,"a",@progbits
	.p2align	6, 0x0
	.amdhsa_kernel _ZN7rocprim17ROCPRIM_400000_NS6detail17trampoline_kernelINS0_14default_configENS1_38merge_sort_block_merge_config_selectorIxNS0_10empty_typeEEEZZNS1_27merge_sort_block_merge_implIS3_N6thrust23THRUST_200600_302600_NS6detail15normal_iteratorINS9_10device_ptrIxEEEEPS5_m11less_div_10IxEEE10hipError_tT0_T1_T2_jT3_P12ihipStream_tbPNSt15iterator_traitsISJ_E10value_typeEPNSP_ISK_E10value_typeEPSL_NS1_7vsmem_tEENKUlT_SJ_SK_SL_E_clISE_PxSF_SF_EESI_SY_SJ_SK_SL_EUlSY_E_NS1_11comp_targetILNS1_3genE9ELNS1_11target_archE1100ELNS1_3gpuE3ELNS1_3repE0EEENS1_48merge_mergepath_partition_config_static_selectorELNS0_4arch9wavefront6targetE0EEEvSK_
		.amdhsa_group_segment_fixed_size 0
		.amdhsa_private_segment_fixed_size 0
		.amdhsa_kernarg_size 48
		.amdhsa_user_sgpr_count 6
		.amdhsa_user_sgpr_private_segment_buffer 1
		.amdhsa_user_sgpr_dispatch_ptr 0
		.amdhsa_user_sgpr_queue_ptr 0
		.amdhsa_user_sgpr_kernarg_segment_ptr 1
		.amdhsa_user_sgpr_dispatch_id 0
		.amdhsa_user_sgpr_flat_scratch_init 0
		.amdhsa_user_sgpr_private_segment_size 0
		.amdhsa_wavefront_size32 1
		.amdhsa_uses_dynamic_stack 0
		.amdhsa_system_sgpr_private_segment_wavefront_offset 0
		.amdhsa_system_sgpr_workgroup_id_x 1
		.amdhsa_system_sgpr_workgroup_id_y 0
		.amdhsa_system_sgpr_workgroup_id_z 0
		.amdhsa_system_sgpr_workgroup_info 0
		.amdhsa_system_vgpr_workitem_id 0
		.amdhsa_next_free_vgpr 1
		.amdhsa_next_free_sgpr 1
		.amdhsa_reserve_vcc 0
		.amdhsa_reserve_flat_scratch 0
		.amdhsa_float_round_mode_32 0
		.amdhsa_float_round_mode_16_64 0
		.amdhsa_float_denorm_mode_32 3
		.amdhsa_float_denorm_mode_16_64 3
		.amdhsa_dx10_clamp 1
		.amdhsa_ieee_mode 1
		.amdhsa_fp16_overflow 0
		.amdhsa_workgroup_processor_mode 1
		.amdhsa_memory_ordered 1
		.amdhsa_forward_progress 1
		.amdhsa_shared_vgpr_count 0
		.amdhsa_exception_fp_ieee_invalid_op 0
		.amdhsa_exception_fp_denorm_src 0
		.amdhsa_exception_fp_ieee_div_zero 0
		.amdhsa_exception_fp_ieee_overflow 0
		.amdhsa_exception_fp_ieee_underflow 0
		.amdhsa_exception_fp_ieee_inexact 0
		.amdhsa_exception_int_div_zero 0
	.end_amdhsa_kernel
	.section	.text._ZN7rocprim17ROCPRIM_400000_NS6detail17trampoline_kernelINS0_14default_configENS1_38merge_sort_block_merge_config_selectorIxNS0_10empty_typeEEEZZNS1_27merge_sort_block_merge_implIS3_N6thrust23THRUST_200600_302600_NS6detail15normal_iteratorINS9_10device_ptrIxEEEEPS5_m11less_div_10IxEEE10hipError_tT0_T1_T2_jT3_P12ihipStream_tbPNSt15iterator_traitsISJ_E10value_typeEPNSP_ISK_E10value_typeEPSL_NS1_7vsmem_tEENKUlT_SJ_SK_SL_E_clISE_PxSF_SF_EESI_SY_SJ_SK_SL_EUlSY_E_NS1_11comp_targetILNS1_3genE9ELNS1_11target_archE1100ELNS1_3gpuE3ELNS1_3repE0EEENS1_48merge_mergepath_partition_config_static_selectorELNS0_4arch9wavefront6targetE0EEEvSK_,"axG",@progbits,_ZN7rocprim17ROCPRIM_400000_NS6detail17trampoline_kernelINS0_14default_configENS1_38merge_sort_block_merge_config_selectorIxNS0_10empty_typeEEEZZNS1_27merge_sort_block_merge_implIS3_N6thrust23THRUST_200600_302600_NS6detail15normal_iteratorINS9_10device_ptrIxEEEEPS5_m11less_div_10IxEEE10hipError_tT0_T1_T2_jT3_P12ihipStream_tbPNSt15iterator_traitsISJ_E10value_typeEPNSP_ISK_E10value_typeEPSL_NS1_7vsmem_tEENKUlT_SJ_SK_SL_E_clISE_PxSF_SF_EESI_SY_SJ_SK_SL_EUlSY_E_NS1_11comp_targetILNS1_3genE9ELNS1_11target_archE1100ELNS1_3gpuE3ELNS1_3repE0EEENS1_48merge_mergepath_partition_config_static_selectorELNS0_4arch9wavefront6targetE0EEEvSK_,comdat
.Lfunc_end366:
	.size	_ZN7rocprim17ROCPRIM_400000_NS6detail17trampoline_kernelINS0_14default_configENS1_38merge_sort_block_merge_config_selectorIxNS0_10empty_typeEEEZZNS1_27merge_sort_block_merge_implIS3_N6thrust23THRUST_200600_302600_NS6detail15normal_iteratorINS9_10device_ptrIxEEEEPS5_m11less_div_10IxEEE10hipError_tT0_T1_T2_jT3_P12ihipStream_tbPNSt15iterator_traitsISJ_E10value_typeEPNSP_ISK_E10value_typeEPSL_NS1_7vsmem_tEENKUlT_SJ_SK_SL_E_clISE_PxSF_SF_EESI_SY_SJ_SK_SL_EUlSY_E_NS1_11comp_targetILNS1_3genE9ELNS1_11target_archE1100ELNS1_3gpuE3ELNS1_3repE0EEENS1_48merge_mergepath_partition_config_static_selectorELNS0_4arch9wavefront6targetE0EEEvSK_, .Lfunc_end366-_ZN7rocprim17ROCPRIM_400000_NS6detail17trampoline_kernelINS0_14default_configENS1_38merge_sort_block_merge_config_selectorIxNS0_10empty_typeEEEZZNS1_27merge_sort_block_merge_implIS3_N6thrust23THRUST_200600_302600_NS6detail15normal_iteratorINS9_10device_ptrIxEEEEPS5_m11less_div_10IxEEE10hipError_tT0_T1_T2_jT3_P12ihipStream_tbPNSt15iterator_traitsISJ_E10value_typeEPNSP_ISK_E10value_typeEPSL_NS1_7vsmem_tEENKUlT_SJ_SK_SL_E_clISE_PxSF_SF_EESI_SY_SJ_SK_SL_EUlSY_E_NS1_11comp_targetILNS1_3genE9ELNS1_11target_archE1100ELNS1_3gpuE3ELNS1_3repE0EEENS1_48merge_mergepath_partition_config_static_selectorELNS0_4arch9wavefront6targetE0EEEvSK_
                                        ; -- End function
	.set _ZN7rocprim17ROCPRIM_400000_NS6detail17trampoline_kernelINS0_14default_configENS1_38merge_sort_block_merge_config_selectorIxNS0_10empty_typeEEEZZNS1_27merge_sort_block_merge_implIS3_N6thrust23THRUST_200600_302600_NS6detail15normal_iteratorINS9_10device_ptrIxEEEEPS5_m11less_div_10IxEEE10hipError_tT0_T1_T2_jT3_P12ihipStream_tbPNSt15iterator_traitsISJ_E10value_typeEPNSP_ISK_E10value_typeEPSL_NS1_7vsmem_tEENKUlT_SJ_SK_SL_E_clISE_PxSF_SF_EESI_SY_SJ_SK_SL_EUlSY_E_NS1_11comp_targetILNS1_3genE9ELNS1_11target_archE1100ELNS1_3gpuE3ELNS1_3repE0EEENS1_48merge_mergepath_partition_config_static_selectorELNS0_4arch9wavefront6targetE0EEEvSK_.num_vgpr, 0
	.set _ZN7rocprim17ROCPRIM_400000_NS6detail17trampoline_kernelINS0_14default_configENS1_38merge_sort_block_merge_config_selectorIxNS0_10empty_typeEEEZZNS1_27merge_sort_block_merge_implIS3_N6thrust23THRUST_200600_302600_NS6detail15normal_iteratorINS9_10device_ptrIxEEEEPS5_m11less_div_10IxEEE10hipError_tT0_T1_T2_jT3_P12ihipStream_tbPNSt15iterator_traitsISJ_E10value_typeEPNSP_ISK_E10value_typeEPSL_NS1_7vsmem_tEENKUlT_SJ_SK_SL_E_clISE_PxSF_SF_EESI_SY_SJ_SK_SL_EUlSY_E_NS1_11comp_targetILNS1_3genE9ELNS1_11target_archE1100ELNS1_3gpuE3ELNS1_3repE0EEENS1_48merge_mergepath_partition_config_static_selectorELNS0_4arch9wavefront6targetE0EEEvSK_.num_agpr, 0
	.set _ZN7rocprim17ROCPRIM_400000_NS6detail17trampoline_kernelINS0_14default_configENS1_38merge_sort_block_merge_config_selectorIxNS0_10empty_typeEEEZZNS1_27merge_sort_block_merge_implIS3_N6thrust23THRUST_200600_302600_NS6detail15normal_iteratorINS9_10device_ptrIxEEEEPS5_m11less_div_10IxEEE10hipError_tT0_T1_T2_jT3_P12ihipStream_tbPNSt15iterator_traitsISJ_E10value_typeEPNSP_ISK_E10value_typeEPSL_NS1_7vsmem_tEENKUlT_SJ_SK_SL_E_clISE_PxSF_SF_EESI_SY_SJ_SK_SL_EUlSY_E_NS1_11comp_targetILNS1_3genE9ELNS1_11target_archE1100ELNS1_3gpuE3ELNS1_3repE0EEENS1_48merge_mergepath_partition_config_static_selectorELNS0_4arch9wavefront6targetE0EEEvSK_.numbered_sgpr, 0
	.set _ZN7rocprim17ROCPRIM_400000_NS6detail17trampoline_kernelINS0_14default_configENS1_38merge_sort_block_merge_config_selectorIxNS0_10empty_typeEEEZZNS1_27merge_sort_block_merge_implIS3_N6thrust23THRUST_200600_302600_NS6detail15normal_iteratorINS9_10device_ptrIxEEEEPS5_m11less_div_10IxEEE10hipError_tT0_T1_T2_jT3_P12ihipStream_tbPNSt15iterator_traitsISJ_E10value_typeEPNSP_ISK_E10value_typeEPSL_NS1_7vsmem_tEENKUlT_SJ_SK_SL_E_clISE_PxSF_SF_EESI_SY_SJ_SK_SL_EUlSY_E_NS1_11comp_targetILNS1_3genE9ELNS1_11target_archE1100ELNS1_3gpuE3ELNS1_3repE0EEENS1_48merge_mergepath_partition_config_static_selectorELNS0_4arch9wavefront6targetE0EEEvSK_.num_named_barrier, 0
	.set _ZN7rocprim17ROCPRIM_400000_NS6detail17trampoline_kernelINS0_14default_configENS1_38merge_sort_block_merge_config_selectorIxNS0_10empty_typeEEEZZNS1_27merge_sort_block_merge_implIS3_N6thrust23THRUST_200600_302600_NS6detail15normal_iteratorINS9_10device_ptrIxEEEEPS5_m11less_div_10IxEEE10hipError_tT0_T1_T2_jT3_P12ihipStream_tbPNSt15iterator_traitsISJ_E10value_typeEPNSP_ISK_E10value_typeEPSL_NS1_7vsmem_tEENKUlT_SJ_SK_SL_E_clISE_PxSF_SF_EESI_SY_SJ_SK_SL_EUlSY_E_NS1_11comp_targetILNS1_3genE9ELNS1_11target_archE1100ELNS1_3gpuE3ELNS1_3repE0EEENS1_48merge_mergepath_partition_config_static_selectorELNS0_4arch9wavefront6targetE0EEEvSK_.private_seg_size, 0
	.set _ZN7rocprim17ROCPRIM_400000_NS6detail17trampoline_kernelINS0_14default_configENS1_38merge_sort_block_merge_config_selectorIxNS0_10empty_typeEEEZZNS1_27merge_sort_block_merge_implIS3_N6thrust23THRUST_200600_302600_NS6detail15normal_iteratorINS9_10device_ptrIxEEEEPS5_m11less_div_10IxEEE10hipError_tT0_T1_T2_jT3_P12ihipStream_tbPNSt15iterator_traitsISJ_E10value_typeEPNSP_ISK_E10value_typeEPSL_NS1_7vsmem_tEENKUlT_SJ_SK_SL_E_clISE_PxSF_SF_EESI_SY_SJ_SK_SL_EUlSY_E_NS1_11comp_targetILNS1_3genE9ELNS1_11target_archE1100ELNS1_3gpuE3ELNS1_3repE0EEENS1_48merge_mergepath_partition_config_static_selectorELNS0_4arch9wavefront6targetE0EEEvSK_.uses_vcc, 0
	.set _ZN7rocprim17ROCPRIM_400000_NS6detail17trampoline_kernelINS0_14default_configENS1_38merge_sort_block_merge_config_selectorIxNS0_10empty_typeEEEZZNS1_27merge_sort_block_merge_implIS3_N6thrust23THRUST_200600_302600_NS6detail15normal_iteratorINS9_10device_ptrIxEEEEPS5_m11less_div_10IxEEE10hipError_tT0_T1_T2_jT3_P12ihipStream_tbPNSt15iterator_traitsISJ_E10value_typeEPNSP_ISK_E10value_typeEPSL_NS1_7vsmem_tEENKUlT_SJ_SK_SL_E_clISE_PxSF_SF_EESI_SY_SJ_SK_SL_EUlSY_E_NS1_11comp_targetILNS1_3genE9ELNS1_11target_archE1100ELNS1_3gpuE3ELNS1_3repE0EEENS1_48merge_mergepath_partition_config_static_selectorELNS0_4arch9wavefront6targetE0EEEvSK_.uses_flat_scratch, 0
	.set _ZN7rocprim17ROCPRIM_400000_NS6detail17trampoline_kernelINS0_14default_configENS1_38merge_sort_block_merge_config_selectorIxNS0_10empty_typeEEEZZNS1_27merge_sort_block_merge_implIS3_N6thrust23THRUST_200600_302600_NS6detail15normal_iteratorINS9_10device_ptrIxEEEEPS5_m11less_div_10IxEEE10hipError_tT0_T1_T2_jT3_P12ihipStream_tbPNSt15iterator_traitsISJ_E10value_typeEPNSP_ISK_E10value_typeEPSL_NS1_7vsmem_tEENKUlT_SJ_SK_SL_E_clISE_PxSF_SF_EESI_SY_SJ_SK_SL_EUlSY_E_NS1_11comp_targetILNS1_3genE9ELNS1_11target_archE1100ELNS1_3gpuE3ELNS1_3repE0EEENS1_48merge_mergepath_partition_config_static_selectorELNS0_4arch9wavefront6targetE0EEEvSK_.has_dyn_sized_stack, 0
	.set _ZN7rocprim17ROCPRIM_400000_NS6detail17trampoline_kernelINS0_14default_configENS1_38merge_sort_block_merge_config_selectorIxNS0_10empty_typeEEEZZNS1_27merge_sort_block_merge_implIS3_N6thrust23THRUST_200600_302600_NS6detail15normal_iteratorINS9_10device_ptrIxEEEEPS5_m11less_div_10IxEEE10hipError_tT0_T1_T2_jT3_P12ihipStream_tbPNSt15iterator_traitsISJ_E10value_typeEPNSP_ISK_E10value_typeEPSL_NS1_7vsmem_tEENKUlT_SJ_SK_SL_E_clISE_PxSF_SF_EESI_SY_SJ_SK_SL_EUlSY_E_NS1_11comp_targetILNS1_3genE9ELNS1_11target_archE1100ELNS1_3gpuE3ELNS1_3repE0EEENS1_48merge_mergepath_partition_config_static_selectorELNS0_4arch9wavefront6targetE0EEEvSK_.has_recursion, 0
	.set _ZN7rocprim17ROCPRIM_400000_NS6detail17trampoline_kernelINS0_14default_configENS1_38merge_sort_block_merge_config_selectorIxNS0_10empty_typeEEEZZNS1_27merge_sort_block_merge_implIS3_N6thrust23THRUST_200600_302600_NS6detail15normal_iteratorINS9_10device_ptrIxEEEEPS5_m11less_div_10IxEEE10hipError_tT0_T1_T2_jT3_P12ihipStream_tbPNSt15iterator_traitsISJ_E10value_typeEPNSP_ISK_E10value_typeEPSL_NS1_7vsmem_tEENKUlT_SJ_SK_SL_E_clISE_PxSF_SF_EESI_SY_SJ_SK_SL_EUlSY_E_NS1_11comp_targetILNS1_3genE9ELNS1_11target_archE1100ELNS1_3gpuE3ELNS1_3repE0EEENS1_48merge_mergepath_partition_config_static_selectorELNS0_4arch9wavefront6targetE0EEEvSK_.has_indirect_call, 0
	.section	.AMDGPU.csdata,"",@progbits
; Kernel info:
; codeLenInByte = 0
; TotalNumSgprs: 0
; NumVgprs: 0
; ScratchSize: 0
; MemoryBound: 0
; FloatMode: 240
; IeeeMode: 1
; LDSByteSize: 0 bytes/workgroup (compile time only)
; SGPRBlocks: 0
; VGPRBlocks: 0
; NumSGPRsForWavesPerEU: 1
; NumVGPRsForWavesPerEU: 1
; Occupancy: 16
; WaveLimiterHint : 0
; COMPUTE_PGM_RSRC2:SCRATCH_EN: 0
; COMPUTE_PGM_RSRC2:USER_SGPR: 6
; COMPUTE_PGM_RSRC2:TRAP_HANDLER: 0
; COMPUTE_PGM_RSRC2:TGID_X_EN: 1
; COMPUTE_PGM_RSRC2:TGID_Y_EN: 0
; COMPUTE_PGM_RSRC2:TGID_Z_EN: 0
; COMPUTE_PGM_RSRC2:TIDIG_COMP_CNT: 0
	.section	.text._ZN7rocprim17ROCPRIM_400000_NS6detail17trampoline_kernelINS0_14default_configENS1_38merge_sort_block_merge_config_selectorIxNS0_10empty_typeEEEZZNS1_27merge_sort_block_merge_implIS3_N6thrust23THRUST_200600_302600_NS6detail15normal_iteratorINS9_10device_ptrIxEEEEPS5_m11less_div_10IxEEE10hipError_tT0_T1_T2_jT3_P12ihipStream_tbPNSt15iterator_traitsISJ_E10value_typeEPNSP_ISK_E10value_typeEPSL_NS1_7vsmem_tEENKUlT_SJ_SK_SL_E_clISE_PxSF_SF_EESI_SY_SJ_SK_SL_EUlSY_E_NS1_11comp_targetILNS1_3genE8ELNS1_11target_archE1030ELNS1_3gpuE2ELNS1_3repE0EEENS1_48merge_mergepath_partition_config_static_selectorELNS0_4arch9wavefront6targetE0EEEvSK_,"axG",@progbits,_ZN7rocprim17ROCPRIM_400000_NS6detail17trampoline_kernelINS0_14default_configENS1_38merge_sort_block_merge_config_selectorIxNS0_10empty_typeEEEZZNS1_27merge_sort_block_merge_implIS3_N6thrust23THRUST_200600_302600_NS6detail15normal_iteratorINS9_10device_ptrIxEEEEPS5_m11less_div_10IxEEE10hipError_tT0_T1_T2_jT3_P12ihipStream_tbPNSt15iterator_traitsISJ_E10value_typeEPNSP_ISK_E10value_typeEPSL_NS1_7vsmem_tEENKUlT_SJ_SK_SL_E_clISE_PxSF_SF_EESI_SY_SJ_SK_SL_EUlSY_E_NS1_11comp_targetILNS1_3genE8ELNS1_11target_archE1030ELNS1_3gpuE2ELNS1_3repE0EEENS1_48merge_mergepath_partition_config_static_selectorELNS0_4arch9wavefront6targetE0EEEvSK_,comdat
	.protected	_ZN7rocprim17ROCPRIM_400000_NS6detail17trampoline_kernelINS0_14default_configENS1_38merge_sort_block_merge_config_selectorIxNS0_10empty_typeEEEZZNS1_27merge_sort_block_merge_implIS3_N6thrust23THRUST_200600_302600_NS6detail15normal_iteratorINS9_10device_ptrIxEEEEPS5_m11less_div_10IxEEE10hipError_tT0_T1_T2_jT3_P12ihipStream_tbPNSt15iterator_traitsISJ_E10value_typeEPNSP_ISK_E10value_typeEPSL_NS1_7vsmem_tEENKUlT_SJ_SK_SL_E_clISE_PxSF_SF_EESI_SY_SJ_SK_SL_EUlSY_E_NS1_11comp_targetILNS1_3genE8ELNS1_11target_archE1030ELNS1_3gpuE2ELNS1_3repE0EEENS1_48merge_mergepath_partition_config_static_selectorELNS0_4arch9wavefront6targetE0EEEvSK_ ; -- Begin function _ZN7rocprim17ROCPRIM_400000_NS6detail17trampoline_kernelINS0_14default_configENS1_38merge_sort_block_merge_config_selectorIxNS0_10empty_typeEEEZZNS1_27merge_sort_block_merge_implIS3_N6thrust23THRUST_200600_302600_NS6detail15normal_iteratorINS9_10device_ptrIxEEEEPS5_m11less_div_10IxEEE10hipError_tT0_T1_T2_jT3_P12ihipStream_tbPNSt15iterator_traitsISJ_E10value_typeEPNSP_ISK_E10value_typeEPSL_NS1_7vsmem_tEENKUlT_SJ_SK_SL_E_clISE_PxSF_SF_EESI_SY_SJ_SK_SL_EUlSY_E_NS1_11comp_targetILNS1_3genE8ELNS1_11target_archE1030ELNS1_3gpuE2ELNS1_3repE0EEENS1_48merge_mergepath_partition_config_static_selectorELNS0_4arch9wavefront6targetE0EEEvSK_
	.globl	_ZN7rocprim17ROCPRIM_400000_NS6detail17trampoline_kernelINS0_14default_configENS1_38merge_sort_block_merge_config_selectorIxNS0_10empty_typeEEEZZNS1_27merge_sort_block_merge_implIS3_N6thrust23THRUST_200600_302600_NS6detail15normal_iteratorINS9_10device_ptrIxEEEEPS5_m11less_div_10IxEEE10hipError_tT0_T1_T2_jT3_P12ihipStream_tbPNSt15iterator_traitsISJ_E10value_typeEPNSP_ISK_E10value_typeEPSL_NS1_7vsmem_tEENKUlT_SJ_SK_SL_E_clISE_PxSF_SF_EESI_SY_SJ_SK_SL_EUlSY_E_NS1_11comp_targetILNS1_3genE8ELNS1_11target_archE1030ELNS1_3gpuE2ELNS1_3repE0EEENS1_48merge_mergepath_partition_config_static_selectorELNS0_4arch9wavefront6targetE0EEEvSK_
	.p2align	8
	.type	_ZN7rocprim17ROCPRIM_400000_NS6detail17trampoline_kernelINS0_14default_configENS1_38merge_sort_block_merge_config_selectorIxNS0_10empty_typeEEEZZNS1_27merge_sort_block_merge_implIS3_N6thrust23THRUST_200600_302600_NS6detail15normal_iteratorINS9_10device_ptrIxEEEEPS5_m11less_div_10IxEEE10hipError_tT0_T1_T2_jT3_P12ihipStream_tbPNSt15iterator_traitsISJ_E10value_typeEPNSP_ISK_E10value_typeEPSL_NS1_7vsmem_tEENKUlT_SJ_SK_SL_E_clISE_PxSF_SF_EESI_SY_SJ_SK_SL_EUlSY_E_NS1_11comp_targetILNS1_3genE8ELNS1_11target_archE1030ELNS1_3gpuE2ELNS1_3repE0EEENS1_48merge_mergepath_partition_config_static_selectorELNS0_4arch9wavefront6targetE0EEEvSK_,@function
_ZN7rocprim17ROCPRIM_400000_NS6detail17trampoline_kernelINS0_14default_configENS1_38merge_sort_block_merge_config_selectorIxNS0_10empty_typeEEEZZNS1_27merge_sort_block_merge_implIS3_N6thrust23THRUST_200600_302600_NS6detail15normal_iteratorINS9_10device_ptrIxEEEEPS5_m11less_div_10IxEEE10hipError_tT0_T1_T2_jT3_P12ihipStream_tbPNSt15iterator_traitsISJ_E10value_typeEPNSP_ISK_E10value_typeEPSL_NS1_7vsmem_tEENKUlT_SJ_SK_SL_E_clISE_PxSF_SF_EESI_SY_SJ_SK_SL_EUlSY_E_NS1_11comp_targetILNS1_3genE8ELNS1_11target_archE1030ELNS1_3gpuE2ELNS1_3repE0EEENS1_48merge_mergepath_partition_config_static_selectorELNS0_4arch9wavefront6targetE0EEEvSK_: ; @_ZN7rocprim17ROCPRIM_400000_NS6detail17trampoline_kernelINS0_14default_configENS1_38merge_sort_block_merge_config_selectorIxNS0_10empty_typeEEEZZNS1_27merge_sort_block_merge_implIS3_N6thrust23THRUST_200600_302600_NS6detail15normal_iteratorINS9_10device_ptrIxEEEEPS5_m11less_div_10IxEEE10hipError_tT0_T1_T2_jT3_P12ihipStream_tbPNSt15iterator_traitsISJ_E10value_typeEPNSP_ISK_E10value_typeEPSL_NS1_7vsmem_tEENKUlT_SJ_SK_SL_E_clISE_PxSF_SF_EESI_SY_SJ_SK_SL_EUlSY_E_NS1_11comp_targetILNS1_3genE8ELNS1_11target_archE1030ELNS1_3gpuE2ELNS1_3repE0EEENS1_48merge_mergepath_partition_config_static_selectorELNS0_4arch9wavefront6targetE0EEEvSK_
; %bb.0:
	s_load_dword s0, s[4:5], 0x0
	v_lshl_or_b32 v0, s6, 7, v0
	s_waitcnt lgkmcnt(0)
	v_cmp_gt_u32_e32 vcc_lo, s0, v0
	s_and_saveexec_b32 s0, vcc_lo
	s_cbranch_execz .LBB367_6
; %bb.1:
	s_load_dwordx4 s[0:3], s[4:5], 0x8
	v_mov_b32_e32 v2, 0
	v_mov_b32_e32 v11, v2
	s_waitcnt lgkmcnt(0)
	s_lshr_b64 s[6:7], s[0:1], 9
	s_and_b32 s6, s6, -2
	s_sub_i32 s7, 0, s6
	s_add_i32 s6, s6, -1
	v_and_b32_e32 v1, s7, v0
	v_and_b32_e32 v10, s6, v0
	v_lshlrev_b64 v[4:5], 10, v[1:2]
	v_add_co_u32 v6, vcc_lo, v4, s0
	v_add_co_ci_u32_e64 v7, null, s1, v5, vcc_lo
	v_cmp_lt_u64_e32 vcc_lo, s[2:3], v[6:7]
	v_cndmask_b32_e64 v8, v6, s2, vcc_lo
	v_cndmask_b32_e64 v9, v7, s3, vcc_lo
	v_add_co_u32 v6, vcc_lo, v8, s0
	v_add_co_ci_u32_e64 v7, null, s1, v9, vcc_lo
	v_cmp_lt_u64_e32 vcc_lo, s[2:3], v[4:5]
	s_mov_b32 s1, 0
	v_cmp_lt_u64_e64 s0, s[2:3], v[6:7]
	v_cndmask_b32_e64 v2, v4, s2, vcc_lo
	v_cndmask_b32_e64 v3, v5, s3, vcc_lo
	v_lshlrev_b64 v[4:5], 10, v[10:11]
	v_cndmask_b32_e64 v12, v6, s2, s0
	v_cndmask_b32_e64 v1, v7, s3, s0
	s_load_dwordx2 s[2:3], s[4:5], 0x28
	v_sub_co_u32 v6, vcc_lo, v12, v2
	v_sub_co_ci_u32_e64 v7, null, v1, v3, vcc_lo
	v_cmp_lt_u64_e32 vcc_lo, v[6:7], v[4:5]
	v_cndmask_b32_e32 v11, v5, v7, vcc_lo
	v_cndmask_b32_e32 v10, v4, v6, vcc_lo
	v_sub_co_u32 v4, vcc_lo, v8, v12
	v_sub_co_ci_u32_e64 v1, null, v9, v1, vcc_lo
	v_add_co_u32 v4, vcc_lo, v10, v4
	v_add_co_ci_u32_e64 v5, null, v11, v1, vcc_lo
	v_sub_co_u32 v6, vcc_lo, v8, v2
	v_sub_co_ci_u32_e64 v7, null, v9, v3, vcc_lo
	v_cmp_gt_u64_e32 vcc_lo, v[4:5], v[10:11]
	v_cmp_lt_u64_e64 s0, v[10:11], v[6:7]
	v_cndmask_b32_e64 v5, v5, 0, vcc_lo
	v_cndmask_b32_e64 v4, v4, 0, vcc_lo
	v_cndmask_b32_e64 v7, v7, v11, s0
	v_cndmask_b32_e64 v6, v6, v10, s0
	s_mov_b32 s0, exec_lo
	v_cmpx_lt_u64_e64 v[4:5], v[6:7]
	s_cbranch_execz .LBB367_5
; %bb.2:
	s_load_dwordx2 s[4:5], s[4:5], 0x18
	v_lshlrev_b64 v[8:9], 3, v[8:9]
	v_lshlrev_b64 v[12:13], 3, v[2:3]
	;; [unrolled: 1-line block ×3, first 2 shown]
	s_waitcnt lgkmcnt(0)
	v_add_co_u32 v14, vcc_lo, s4, v8
	v_add_co_ci_u32_e64 v15, null, s5, v9, vcc_lo
	v_add_co_u32 v1, vcc_lo, s4, v12
	v_add_co_ci_u32_e64 v8, null, s5, v13, vcc_lo
	;; [unrolled: 2-line block ×3, first 2 shown]
	s_inst_prefetch 0x1
	.p2align	6
.LBB367_3:                              ; =>This Inner Loop Header: Depth=1
	v_add_co_u32 v11, vcc_lo, v6, v4
	v_add_co_ci_u32_e64 v12, null, v7, v5, vcc_lo
	v_lshrrev_b64 v[11:12], 1, v[11:12]
	v_lshlrev_b64 v[13:14], 3, v[11:12]
	v_xor_b32_e32 v15, -8, v13
	v_xor_b32_e32 v16, -1, v14
	v_add_co_u32 v13, vcc_lo, v1, v13
	v_add_co_ci_u32_e64 v14, null, v8, v14, vcc_lo
	v_add_co_u32 v15, vcc_lo, v9, v15
	v_add_co_ci_u32_e64 v16, null, v10, v16, vcc_lo
	v_add_co_u32 v17, vcc_lo, v11, 1
	flat_load_dword v13, v[13:14]
	flat_load_dword v14, v[15:16]
	s_waitcnt vmcnt(1) lgkmcnt(1)
	v_mul_hi_i32 v13, 0x66666667, v13
	s_waitcnt vmcnt(0) lgkmcnt(0)
	v_mul_hi_i32 v14, 0x66666667, v14
	v_lshrrev_b32_e32 v15, 31, v13
	v_ashrrev_i32_e32 v13, 2, v13
	v_lshrrev_b32_e32 v16, 31, v14
	v_ashrrev_i32_e32 v14, 2, v14
	v_add_nc_u32_e32 v13, v13, v15
	v_add_co_ci_u32_e64 v15, null, 0, v12, vcc_lo
	v_add_nc_u32_e32 v14, v14, v16
	v_cmp_lt_i32_e32 vcc_lo, v14, v13
	v_cndmask_b32_e32 v7, v7, v12, vcc_lo
	v_cndmask_b32_e32 v6, v6, v11, vcc_lo
	;; [unrolled: 1-line block ×4, first 2 shown]
	v_cmp_ge_u64_e32 vcc_lo, v[4:5], v[6:7]
	s_or_b32 s1, vcc_lo, s1
	s_andn2_b32 exec_lo, exec_lo, s1
	s_cbranch_execnz .LBB367_3
; %bb.4:
	s_inst_prefetch 0x2
	s_or_b32 exec_lo, exec_lo, s1
.LBB367_5:
	s_or_b32 exec_lo, exec_lo, s0
	v_mov_b32_e32 v1, 0
	v_add_co_u32 v2, vcc_lo, v4, v2
	v_add_co_ci_u32_e64 v3, null, v5, v3, vcc_lo
	v_lshlrev_b64 v[0:1], 3, v[0:1]
	s_waitcnt lgkmcnt(0)
	v_add_co_u32 v0, vcc_lo, s2, v0
	v_add_co_ci_u32_e64 v1, null, s3, v1, vcc_lo
	global_store_dwordx2 v[0:1], v[2:3], off
.LBB367_6:
	s_endpgm
	.section	.rodata,"a",@progbits
	.p2align	6, 0x0
	.amdhsa_kernel _ZN7rocprim17ROCPRIM_400000_NS6detail17trampoline_kernelINS0_14default_configENS1_38merge_sort_block_merge_config_selectorIxNS0_10empty_typeEEEZZNS1_27merge_sort_block_merge_implIS3_N6thrust23THRUST_200600_302600_NS6detail15normal_iteratorINS9_10device_ptrIxEEEEPS5_m11less_div_10IxEEE10hipError_tT0_T1_T2_jT3_P12ihipStream_tbPNSt15iterator_traitsISJ_E10value_typeEPNSP_ISK_E10value_typeEPSL_NS1_7vsmem_tEENKUlT_SJ_SK_SL_E_clISE_PxSF_SF_EESI_SY_SJ_SK_SL_EUlSY_E_NS1_11comp_targetILNS1_3genE8ELNS1_11target_archE1030ELNS1_3gpuE2ELNS1_3repE0EEENS1_48merge_mergepath_partition_config_static_selectorELNS0_4arch9wavefront6targetE0EEEvSK_
		.amdhsa_group_segment_fixed_size 0
		.amdhsa_private_segment_fixed_size 0
		.amdhsa_kernarg_size 48
		.amdhsa_user_sgpr_count 6
		.amdhsa_user_sgpr_private_segment_buffer 1
		.amdhsa_user_sgpr_dispatch_ptr 0
		.amdhsa_user_sgpr_queue_ptr 0
		.amdhsa_user_sgpr_kernarg_segment_ptr 1
		.amdhsa_user_sgpr_dispatch_id 0
		.amdhsa_user_sgpr_flat_scratch_init 0
		.amdhsa_user_sgpr_private_segment_size 0
		.amdhsa_wavefront_size32 1
		.amdhsa_uses_dynamic_stack 0
		.amdhsa_system_sgpr_private_segment_wavefront_offset 0
		.amdhsa_system_sgpr_workgroup_id_x 1
		.amdhsa_system_sgpr_workgroup_id_y 0
		.amdhsa_system_sgpr_workgroup_id_z 0
		.amdhsa_system_sgpr_workgroup_info 0
		.amdhsa_system_vgpr_workitem_id 0
		.amdhsa_next_free_vgpr 18
		.amdhsa_next_free_sgpr 8
		.amdhsa_reserve_vcc 1
		.amdhsa_reserve_flat_scratch 0
		.amdhsa_float_round_mode_32 0
		.amdhsa_float_round_mode_16_64 0
		.amdhsa_float_denorm_mode_32 3
		.amdhsa_float_denorm_mode_16_64 3
		.amdhsa_dx10_clamp 1
		.amdhsa_ieee_mode 1
		.amdhsa_fp16_overflow 0
		.amdhsa_workgroup_processor_mode 1
		.amdhsa_memory_ordered 1
		.amdhsa_forward_progress 1
		.amdhsa_shared_vgpr_count 0
		.amdhsa_exception_fp_ieee_invalid_op 0
		.amdhsa_exception_fp_denorm_src 0
		.amdhsa_exception_fp_ieee_div_zero 0
		.amdhsa_exception_fp_ieee_overflow 0
		.amdhsa_exception_fp_ieee_underflow 0
		.amdhsa_exception_fp_ieee_inexact 0
		.amdhsa_exception_int_div_zero 0
	.end_amdhsa_kernel
	.section	.text._ZN7rocprim17ROCPRIM_400000_NS6detail17trampoline_kernelINS0_14default_configENS1_38merge_sort_block_merge_config_selectorIxNS0_10empty_typeEEEZZNS1_27merge_sort_block_merge_implIS3_N6thrust23THRUST_200600_302600_NS6detail15normal_iteratorINS9_10device_ptrIxEEEEPS5_m11less_div_10IxEEE10hipError_tT0_T1_T2_jT3_P12ihipStream_tbPNSt15iterator_traitsISJ_E10value_typeEPNSP_ISK_E10value_typeEPSL_NS1_7vsmem_tEENKUlT_SJ_SK_SL_E_clISE_PxSF_SF_EESI_SY_SJ_SK_SL_EUlSY_E_NS1_11comp_targetILNS1_3genE8ELNS1_11target_archE1030ELNS1_3gpuE2ELNS1_3repE0EEENS1_48merge_mergepath_partition_config_static_selectorELNS0_4arch9wavefront6targetE0EEEvSK_,"axG",@progbits,_ZN7rocprim17ROCPRIM_400000_NS6detail17trampoline_kernelINS0_14default_configENS1_38merge_sort_block_merge_config_selectorIxNS0_10empty_typeEEEZZNS1_27merge_sort_block_merge_implIS3_N6thrust23THRUST_200600_302600_NS6detail15normal_iteratorINS9_10device_ptrIxEEEEPS5_m11less_div_10IxEEE10hipError_tT0_T1_T2_jT3_P12ihipStream_tbPNSt15iterator_traitsISJ_E10value_typeEPNSP_ISK_E10value_typeEPSL_NS1_7vsmem_tEENKUlT_SJ_SK_SL_E_clISE_PxSF_SF_EESI_SY_SJ_SK_SL_EUlSY_E_NS1_11comp_targetILNS1_3genE8ELNS1_11target_archE1030ELNS1_3gpuE2ELNS1_3repE0EEENS1_48merge_mergepath_partition_config_static_selectorELNS0_4arch9wavefront6targetE0EEEvSK_,comdat
.Lfunc_end367:
	.size	_ZN7rocprim17ROCPRIM_400000_NS6detail17trampoline_kernelINS0_14default_configENS1_38merge_sort_block_merge_config_selectorIxNS0_10empty_typeEEEZZNS1_27merge_sort_block_merge_implIS3_N6thrust23THRUST_200600_302600_NS6detail15normal_iteratorINS9_10device_ptrIxEEEEPS5_m11less_div_10IxEEE10hipError_tT0_T1_T2_jT3_P12ihipStream_tbPNSt15iterator_traitsISJ_E10value_typeEPNSP_ISK_E10value_typeEPSL_NS1_7vsmem_tEENKUlT_SJ_SK_SL_E_clISE_PxSF_SF_EESI_SY_SJ_SK_SL_EUlSY_E_NS1_11comp_targetILNS1_3genE8ELNS1_11target_archE1030ELNS1_3gpuE2ELNS1_3repE0EEENS1_48merge_mergepath_partition_config_static_selectorELNS0_4arch9wavefront6targetE0EEEvSK_, .Lfunc_end367-_ZN7rocprim17ROCPRIM_400000_NS6detail17trampoline_kernelINS0_14default_configENS1_38merge_sort_block_merge_config_selectorIxNS0_10empty_typeEEEZZNS1_27merge_sort_block_merge_implIS3_N6thrust23THRUST_200600_302600_NS6detail15normal_iteratorINS9_10device_ptrIxEEEEPS5_m11less_div_10IxEEE10hipError_tT0_T1_T2_jT3_P12ihipStream_tbPNSt15iterator_traitsISJ_E10value_typeEPNSP_ISK_E10value_typeEPSL_NS1_7vsmem_tEENKUlT_SJ_SK_SL_E_clISE_PxSF_SF_EESI_SY_SJ_SK_SL_EUlSY_E_NS1_11comp_targetILNS1_3genE8ELNS1_11target_archE1030ELNS1_3gpuE2ELNS1_3repE0EEENS1_48merge_mergepath_partition_config_static_selectorELNS0_4arch9wavefront6targetE0EEEvSK_
                                        ; -- End function
	.set _ZN7rocprim17ROCPRIM_400000_NS6detail17trampoline_kernelINS0_14default_configENS1_38merge_sort_block_merge_config_selectorIxNS0_10empty_typeEEEZZNS1_27merge_sort_block_merge_implIS3_N6thrust23THRUST_200600_302600_NS6detail15normal_iteratorINS9_10device_ptrIxEEEEPS5_m11less_div_10IxEEE10hipError_tT0_T1_T2_jT3_P12ihipStream_tbPNSt15iterator_traitsISJ_E10value_typeEPNSP_ISK_E10value_typeEPSL_NS1_7vsmem_tEENKUlT_SJ_SK_SL_E_clISE_PxSF_SF_EESI_SY_SJ_SK_SL_EUlSY_E_NS1_11comp_targetILNS1_3genE8ELNS1_11target_archE1030ELNS1_3gpuE2ELNS1_3repE0EEENS1_48merge_mergepath_partition_config_static_selectorELNS0_4arch9wavefront6targetE0EEEvSK_.num_vgpr, 18
	.set _ZN7rocprim17ROCPRIM_400000_NS6detail17trampoline_kernelINS0_14default_configENS1_38merge_sort_block_merge_config_selectorIxNS0_10empty_typeEEEZZNS1_27merge_sort_block_merge_implIS3_N6thrust23THRUST_200600_302600_NS6detail15normal_iteratorINS9_10device_ptrIxEEEEPS5_m11less_div_10IxEEE10hipError_tT0_T1_T2_jT3_P12ihipStream_tbPNSt15iterator_traitsISJ_E10value_typeEPNSP_ISK_E10value_typeEPSL_NS1_7vsmem_tEENKUlT_SJ_SK_SL_E_clISE_PxSF_SF_EESI_SY_SJ_SK_SL_EUlSY_E_NS1_11comp_targetILNS1_3genE8ELNS1_11target_archE1030ELNS1_3gpuE2ELNS1_3repE0EEENS1_48merge_mergepath_partition_config_static_selectorELNS0_4arch9wavefront6targetE0EEEvSK_.num_agpr, 0
	.set _ZN7rocprim17ROCPRIM_400000_NS6detail17trampoline_kernelINS0_14default_configENS1_38merge_sort_block_merge_config_selectorIxNS0_10empty_typeEEEZZNS1_27merge_sort_block_merge_implIS3_N6thrust23THRUST_200600_302600_NS6detail15normal_iteratorINS9_10device_ptrIxEEEEPS5_m11less_div_10IxEEE10hipError_tT0_T1_T2_jT3_P12ihipStream_tbPNSt15iterator_traitsISJ_E10value_typeEPNSP_ISK_E10value_typeEPSL_NS1_7vsmem_tEENKUlT_SJ_SK_SL_E_clISE_PxSF_SF_EESI_SY_SJ_SK_SL_EUlSY_E_NS1_11comp_targetILNS1_3genE8ELNS1_11target_archE1030ELNS1_3gpuE2ELNS1_3repE0EEENS1_48merge_mergepath_partition_config_static_selectorELNS0_4arch9wavefront6targetE0EEEvSK_.numbered_sgpr, 8
	.set _ZN7rocprim17ROCPRIM_400000_NS6detail17trampoline_kernelINS0_14default_configENS1_38merge_sort_block_merge_config_selectorIxNS0_10empty_typeEEEZZNS1_27merge_sort_block_merge_implIS3_N6thrust23THRUST_200600_302600_NS6detail15normal_iteratorINS9_10device_ptrIxEEEEPS5_m11less_div_10IxEEE10hipError_tT0_T1_T2_jT3_P12ihipStream_tbPNSt15iterator_traitsISJ_E10value_typeEPNSP_ISK_E10value_typeEPSL_NS1_7vsmem_tEENKUlT_SJ_SK_SL_E_clISE_PxSF_SF_EESI_SY_SJ_SK_SL_EUlSY_E_NS1_11comp_targetILNS1_3genE8ELNS1_11target_archE1030ELNS1_3gpuE2ELNS1_3repE0EEENS1_48merge_mergepath_partition_config_static_selectorELNS0_4arch9wavefront6targetE0EEEvSK_.num_named_barrier, 0
	.set _ZN7rocprim17ROCPRIM_400000_NS6detail17trampoline_kernelINS0_14default_configENS1_38merge_sort_block_merge_config_selectorIxNS0_10empty_typeEEEZZNS1_27merge_sort_block_merge_implIS3_N6thrust23THRUST_200600_302600_NS6detail15normal_iteratorINS9_10device_ptrIxEEEEPS5_m11less_div_10IxEEE10hipError_tT0_T1_T2_jT3_P12ihipStream_tbPNSt15iterator_traitsISJ_E10value_typeEPNSP_ISK_E10value_typeEPSL_NS1_7vsmem_tEENKUlT_SJ_SK_SL_E_clISE_PxSF_SF_EESI_SY_SJ_SK_SL_EUlSY_E_NS1_11comp_targetILNS1_3genE8ELNS1_11target_archE1030ELNS1_3gpuE2ELNS1_3repE0EEENS1_48merge_mergepath_partition_config_static_selectorELNS0_4arch9wavefront6targetE0EEEvSK_.private_seg_size, 0
	.set _ZN7rocprim17ROCPRIM_400000_NS6detail17trampoline_kernelINS0_14default_configENS1_38merge_sort_block_merge_config_selectorIxNS0_10empty_typeEEEZZNS1_27merge_sort_block_merge_implIS3_N6thrust23THRUST_200600_302600_NS6detail15normal_iteratorINS9_10device_ptrIxEEEEPS5_m11less_div_10IxEEE10hipError_tT0_T1_T2_jT3_P12ihipStream_tbPNSt15iterator_traitsISJ_E10value_typeEPNSP_ISK_E10value_typeEPSL_NS1_7vsmem_tEENKUlT_SJ_SK_SL_E_clISE_PxSF_SF_EESI_SY_SJ_SK_SL_EUlSY_E_NS1_11comp_targetILNS1_3genE8ELNS1_11target_archE1030ELNS1_3gpuE2ELNS1_3repE0EEENS1_48merge_mergepath_partition_config_static_selectorELNS0_4arch9wavefront6targetE0EEEvSK_.uses_vcc, 1
	.set _ZN7rocprim17ROCPRIM_400000_NS6detail17trampoline_kernelINS0_14default_configENS1_38merge_sort_block_merge_config_selectorIxNS0_10empty_typeEEEZZNS1_27merge_sort_block_merge_implIS3_N6thrust23THRUST_200600_302600_NS6detail15normal_iteratorINS9_10device_ptrIxEEEEPS5_m11less_div_10IxEEE10hipError_tT0_T1_T2_jT3_P12ihipStream_tbPNSt15iterator_traitsISJ_E10value_typeEPNSP_ISK_E10value_typeEPSL_NS1_7vsmem_tEENKUlT_SJ_SK_SL_E_clISE_PxSF_SF_EESI_SY_SJ_SK_SL_EUlSY_E_NS1_11comp_targetILNS1_3genE8ELNS1_11target_archE1030ELNS1_3gpuE2ELNS1_3repE0EEENS1_48merge_mergepath_partition_config_static_selectorELNS0_4arch9wavefront6targetE0EEEvSK_.uses_flat_scratch, 0
	.set _ZN7rocprim17ROCPRIM_400000_NS6detail17trampoline_kernelINS0_14default_configENS1_38merge_sort_block_merge_config_selectorIxNS0_10empty_typeEEEZZNS1_27merge_sort_block_merge_implIS3_N6thrust23THRUST_200600_302600_NS6detail15normal_iteratorINS9_10device_ptrIxEEEEPS5_m11less_div_10IxEEE10hipError_tT0_T1_T2_jT3_P12ihipStream_tbPNSt15iterator_traitsISJ_E10value_typeEPNSP_ISK_E10value_typeEPSL_NS1_7vsmem_tEENKUlT_SJ_SK_SL_E_clISE_PxSF_SF_EESI_SY_SJ_SK_SL_EUlSY_E_NS1_11comp_targetILNS1_3genE8ELNS1_11target_archE1030ELNS1_3gpuE2ELNS1_3repE0EEENS1_48merge_mergepath_partition_config_static_selectorELNS0_4arch9wavefront6targetE0EEEvSK_.has_dyn_sized_stack, 0
	.set _ZN7rocprim17ROCPRIM_400000_NS6detail17trampoline_kernelINS0_14default_configENS1_38merge_sort_block_merge_config_selectorIxNS0_10empty_typeEEEZZNS1_27merge_sort_block_merge_implIS3_N6thrust23THRUST_200600_302600_NS6detail15normal_iteratorINS9_10device_ptrIxEEEEPS5_m11less_div_10IxEEE10hipError_tT0_T1_T2_jT3_P12ihipStream_tbPNSt15iterator_traitsISJ_E10value_typeEPNSP_ISK_E10value_typeEPSL_NS1_7vsmem_tEENKUlT_SJ_SK_SL_E_clISE_PxSF_SF_EESI_SY_SJ_SK_SL_EUlSY_E_NS1_11comp_targetILNS1_3genE8ELNS1_11target_archE1030ELNS1_3gpuE2ELNS1_3repE0EEENS1_48merge_mergepath_partition_config_static_selectorELNS0_4arch9wavefront6targetE0EEEvSK_.has_recursion, 0
	.set _ZN7rocprim17ROCPRIM_400000_NS6detail17trampoline_kernelINS0_14default_configENS1_38merge_sort_block_merge_config_selectorIxNS0_10empty_typeEEEZZNS1_27merge_sort_block_merge_implIS3_N6thrust23THRUST_200600_302600_NS6detail15normal_iteratorINS9_10device_ptrIxEEEEPS5_m11less_div_10IxEEE10hipError_tT0_T1_T2_jT3_P12ihipStream_tbPNSt15iterator_traitsISJ_E10value_typeEPNSP_ISK_E10value_typeEPSL_NS1_7vsmem_tEENKUlT_SJ_SK_SL_E_clISE_PxSF_SF_EESI_SY_SJ_SK_SL_EUlSY_E_NS1_11comp_targetILNS1_3genE8ELNS1_11target_archE1030ELNS1_3gpuE2ELNS1_3repE0EEENS1_48merge_mergepath_partition_config_static_selectorELNS0_4arch9wavefront6targetE0EEEvSK_.has_indirect_call, 0
	.section	.AMDGPU.csdata,"",@progbits
; Kernel info:
; codeLenInByte = 716
; TotalNumSgprs: 10
; NumVgprs: 18
; ScratchSize: 0
; MemoryBound: 0
; FloatMode: 240
; IeeeMode: 1
; LDSByteSize: 0 bytes/workgroup (compile time only)
; SGPRBlocks: 0
; VGPRBlocks: 2
; NumSGPRsForWavesPerEU: 10
; NumVGPRsForWavesPerEU: 18
; Occupancy: 16
; WaveLimiterHint : 0
; COMPUTE_PGM_RSRC2:SCRATCH_EN: 0
; COMPUTE_PGM_RSRC2:USER_SGPR: 6
; COMPUTE_PGM_RSRC2:TRAP_HANDLER: 0
; COMPUTE_PGM_RSRC2:TGID_X_EN: 1
; COMPUTE_PGM_RSRC2:TGID_Y_EN: 0
; COMPUTE_PGM_RSRC2:TGID_Z_EN: 0
; COMPUTE_PGM_RSRC2:TIDIG_COMP_CNT: 0
	.section	.text._ZN7rocprim17ROCPRIM_400000_NS6detail17trampoline_kernelINS0_14default_configENS1_38merge_sort_block_merge_config_selectorIxNS0_10empty_typeEEEZZNS1_27merge_sort_block_merge_implIS3_N6thrust23THRUST_200600_302600_NS6detail15normal_iteratorINS9_10device_ptrIxEEEEPS5_m11less_div_10IxEEE10hipError_tT0_T1_T2_jT3_P12ihipStream_tbPNSt15iterator_traitsISJ_E10value_typeEPNSP_ISK_E10value_typeEPSL_NS1_7vsmem_tEENKUlT_SJ_SK_SL_E_clISE_PxSF_SF_EESI_SY_SJ_SK_SL_EUlSY_E0_NS1_11comp_targetILNS1_3genE0ELNS1_11target_archE4294967295ELNS1_3gpuE0ELNS1_3repE0EEENS1_38merge_mergepath_config_static_selectorELNS0_4arch9wavefront6targetE0EEEvSK_,"axG",@progbits,_ZN7rocprim17ROCPRIM_400000_NS6detail17trampoline_kernelINS0_14default_configENS1_38merge_sort_block_merge_config_selectorIxNS0_10empty_typeEEEZZNS1_27merge_sort_block_merge_implIS3_N6thrust23THRUST_200600_302600_NS6detail15normal_iteratorINS9_10device_ptrIxEEEEPS5_m11less_div_10IxEEE10hipError_tT0_T1_T2_jT3_P12ihipStream_tbPNSt15iterator_traitsISJ_E10value_typeEPNSP_ISK_E10value_typeEPSL_NS1_7vsmem_tEENKUlT_SJ_SK_SL_E_clISE_PxSF_SF_EESI_SY_SJ_SK_SL_EUlSY_E0_NS1_11comp_targetILNS1_3genE0ELNS1_11target_archE4294967295ELNS1_3gpuE0ELNS1_3repE0EEENS1_38merge_mergepath_config_static_selectorELNS0_4arch9wavefront6targetE0EEEvSK_,comdat
	.protected	_ZN7rocprim17ROCPRIM_400000_NS6detail17trampoline_kernelINS0_14default_configENS1_38merge_sort_block_merge_config_selectorIxNS0_10empty_typeEEEZZNS1_27merge_sort_block_merge_implIS3_N6thrust23THRUST_200600_302600_NS6detail15normal_iteratorINS9_10device_ptrIxEEEEPS5_m11less_div_10IxEEE10hipError_tT0_T1_T2_jT3_P12ihipStream_tbPNSt15iterator_traitsISJ_E10value_typeEPNSP_ISK_E10value_typeEPSL_NS1_7vsmem_tEENKUlT_SJ_SK_SL_E_clISE_PxSF_SF_EESI_SY_SJ_SK_SL_EUlSY_E0_NS1_11comp_targetILNS1_3genE0ELNS1_11target_archE4294967295ELNS1_3gpuE0ELNS1_3repE0EEENS1_38merge_mergepath_config_static_selectorELNS0_4arch9wavefront6targetE0EEEvSK_ ; -- Begin function _ZN7rocprim17ROCPRIM_400000_NS6detail17trampoline_kernelINS0_14default_configENS1_38merge_sort_block_merge_config_selectorIxNS0_10empty_typeEEEZZNS1_27merge_sort_block_merge_implIS3_N6thrust23THRUST_200600_302600_NS6detail15normal_iteratorINS9_10device_ptrIxEEEEPS5_m11less_div_10IxEEE10hipError_tT0_T1_T2_jT3_P12ihipStream_tbPNSt15iterator_traitsISJ_E10value_typeEPNSP_ISK_E10value_typeEPSL_NS1_7vsmem_tEENKUlT_SJ_SK_SL_E_clISE_PxSF_SF_EESI_SY_SJ_SK_SL_EUlSY_E0_NS1_11comp_targetILNS1_3genE0ELNS1_11target_archE4294967295ELNS1_3gpuE0ELNS1_3repE0EEENS1_38merge_mergepath_config_static_selectorELNS0_4arch9wavefront6targetE0EEEvSK_
	.globl	_ZN7rocprim17ROCPRIM_400000_NS6detail17trampoline_kernelINS0_14default_configENS1_38merge_sort_block_merge_config_selectorIxNS0_10empty_typeEEEZZNS1_27merge_sort_block_merge_implIS3_N6thrust23THRUST_200600_302600_NS6detail15normal_iteratorINS9_10device_ptrIxEEEEPS5_m11less_div_10IxEEE10hipError_tT0_T1_T2_jT3_P12ihipStream_tbPNSt15iterator_traitsISJ_E10value_typeEPNSP_ISK_E10value_typeEPSL_NS1_7vsmem_tEENKUlT_SJ_SK_SL_E_clISE_PxSF_SF_EESI_SY_SJ_SK_SL_EUlSY_E0_NS1_11comp_targetILNS1_3genE0ELNS1_11target_archE4294967295ELNS1_3gpuE0ELNS1_3repE0EEENS1_38merge_mergepath_config_static_selectorELNS0_4arch9wavefront6targetE0EEEvSK_
	.p2align	8
	.type	_ZN7rocprim17ROCPRIM_400000_NS6detail17trampoline_kernelINS0_14default_configENS1_38merge_sort_block_merge_config_selectorIxNS0_10empty_typeEEEZZNS1_27merge_sort_block_merge_implIS3_N6thrust23THRUST_200600_302600_NS6detail15normal_iteratorINS9_10device_ptrIxEEEEPS5_m11less_div_10IxEEE10hipError_tT0_T1_T2_jT3_P12ihipStream_tbPNSt15iterator_traitsISJ_E10value_typeEPNSP_ISK_E10value_typeEPSL_NS1_7vsmem_tEENKUlT_SJ_SK_SL_E_clISE_PxSF_SF_EESI_SY_SJ_SK_SL_EUlSY_E0_NS1_11comp_targetILNS1_3genE0ELNS1_11target_archE4294967295ELNS1_3gpuE0ELNS1_3repE0EEENS1_38merge_mergepath_config_static_selectorELNS0_4arch9wavefront6targetE0EEEvSK_,@function
_ZN7rocprim17ROCPRIM_400000_NS6detail17trampoline_kernelINS0_14default_configENS1_38merge_sort_block_merge_config_selectorIxNS0_10empty_typeEEEZZNS1_27merge_sort_block_merge_implIS3_N6thrust23THRUST_200600_302600_NS6detail15normal_iteratorINS9_10device_ptrIxEEEEPS5_m11less_div_10IxEEE10hipError_tT0_T1_T2_jT3_P12ihipStream_tbPNSt15iterator_traitsISJ_E10value_typeEPNSP_ISK_E10value_typeEPSL_NS1_7vsmem_tEENKUlT_SJ_SK_SL_E_clISE_PxSF_SF_EESI_SY_SJ_SK_SL_EUlSY_E0_NS1_11comp_targetILNS1_3genE0ELNS1_11target_archE4294967295ELNS1_3gpuE0ELNS1_3repE0EEENS1_38merge_mergepath_config_static_selectorELNS0_4arch9wavefront6targetE0EEEvSK_: ; @_ZN7rocprim17ROCPRIM_400000_NS6detail17trampoline_kernelINS0_14default_configENS1_38merge_sort_block_merge_config_selectorIxNS0_10empty_typeEEEZZNS1_27merge_sort_block_merge_implIS3_N6thrust23THRUST_200600_302600_NS6detail15normal_iteratorINS9_10device_ptrIxEEEEPS5_m11less_div_10IxEEE10hipError_tT0_T1_T2_jT3_P12ihipStream_tbPNSt15iterator_traitsISJ_E10value_typeEPNSP_ISK_E10value_typeEPSL_NS1_7vsmem_tEENKUlT_SJ_SK_SL_E_clISE_PxSF_SF_EESI_SY_SJ_SK_SL_EUlSY_E0_NS1_11comp_targetILNS1_3genE0ELNS1_11target_archE4294967295ELNS1_3gpuE0ELNS1_3repE0EEENS1_38merge_mergepath_config_static_selectorELNS0_4arch9wavefront6targetE0EEEvSK_
; %bb.0:
	.section	.rodata,"a",@progbits
	.p2align	6, 0x0
	.amdhsa_kernel _ZN7rocprim17ROCPRIM_400000_NS6detail17trampoline_kernelINS0_14default_configENS1_38merge_sort_block_merge_config_selectorIxNS0_10empty_typeEEEZZNS1_27merge_sort_block_merge_implIS3_N6thrust23THRUST_200600_302600_NS6detail15normal_iteratorINS9_10device_ptrIxEEEEPS5_m11less_div_10IxEEE10hipError_tT0_T1_T2_jT3_P12ihipStream_tbPNSt15iterator_traitsISJ_E10value_typeEPNSP_ISK_E10value_typeEPSL_NS1_7vsmem_tEENKUlT_SJ_SK_SL_E_clISE_PxSF_SF_EESI_SY_SJ_SK_SL_EUlSY_E0_NS1_11comp_targetILNS1_3genE0ELNS1_11target_archE4294967295ELNS1_3gpuE0ELNS1_3repE0EEENS1_38merge_mergepath_config_static_selectorELNS0_4arch9wavefront6targetE0EEEvSK_
		.amdhsa_group_segment_fixed_size 0
		.amdhsa_private_segment_fixed_size 0
		.amdhsa_kernarg_size 72
		.amdhsa_user_sgpr_count 6
		.amdhsa_user_sgpr_private_segment_buffer 1
		.amdhsa_user_sgpr_dispatch_ptr 0
		.amdhsa_user_sgpr_queue_ptr 0
		.amdhsa_user_sgpr_kernarg_segment_ptr 1
		.amdhsa_user_sgpr_dispatch_id 0
		.amdhsa_user_sgpr_flat_scratch_init 0
		.amdhsa_user_sgpr_private_segment_size 0
		.amdhsa_wavefront_size32 1
		.amdhsa_uses_dynamic_stack 0
		.amdhsa_system_sgpr_private_segment_wavefront_offset 0
		.amdhsa_system_sgpr_workgroup_id_x 1
		.amdhsa_system_sgpr_workgroup_id_y 0
		.amdhsa_system_sgpr_workgroup_id_z 0
		.amdhsa_system_sgpr_workgroup_info 0
		.amdhsa_system_vgpr_workitem_id 0
		.amdhsa_next_free_vgpr 1
		.amdhsa_next_free_sgpr 1
		.amdhsa_reserve_vcc 0
		.amdhsa_reserve_flat_scratch 0
		.amdhsa_float_round_mode_32 0
		.amdhsa_float_round_mode_16_64 0
		.amdhsa_float_denorm_mode_32 3
		.amdhsa_float_denorm_mode_16_64 3
		.amdhsa_dx10_clamp 1
		.amdhsa_ieee_mode 1
		.amdhsa_fp16_overflow 0
		.amdhsa_workgroup_processor_mode 1
		.amdhsa_memory_ordered 1
		.amdhsa_forward_progress 1
		.amdhsa_shared_vgpr_count 0
		.amdhsa_exception_fp_ieee_invalid_op 0
		.amdhsa_exception_fp_denorm_src 0
		.amdhsa_exception_fp_ieee_div_zero 0
		.amdhsa_exception_fp_ieee_overflow 0
		.amdhsa_exception_fp_ieee_underflow 0
		.amdhsa_exception_fp_ieee_inexact 0
		.amdhsa_exception_int_div_zero 0
	.end_amdhsa_kernel
	.section	.text._ZN7rocprim17ROCPRIM_400000_NS6detail17trampoline_kernelINS0_14default_configENS1_38merge_sort_block_merge_config_selectorIxNS0_10empty_typeEEEZZNS1_27merge_sort_block_merge_implIS3_N6thrust23THRUST_200600_302600_NS6detail15normal_iteratorINS9_10device_ptrIxEEEEPS5_m11less_div_10IxEEE10hipError_tT0_T1_T2_jT3_P12ihipStream_tbPNSt15iterator_traitsISJ_E10value_typeEPNSP_ISK_E10value_typeEPSL_NS1_7vsmem_tEENKUlT_SJ_SK_SL_E_clISE_PxSF_SF_EESI_SY_SJ_SK_SL_EUlSY_E0_NS1_11comp_targetILNS1_3genE0ELNS1_11target_archE4294967295ELNS1_3gpuE0ELNS1_3repE0EEENS1_38merge_mergepath_config_static_selectorELNS0_4arch9wavefront6targetE0EEEvSK_,"axG",@progbits,_ZN7rocprim17ROCPRIM_400000_NS6detail17trampoline_kernelINS0_14default_configENS1_38merge_sort_block_merge_config_selectorIxNS0_10empty_typeEEEZZNS1_27merge_sort_block_merge_implIS3_N6thrust23THRUST_200600_302600_NS6detail15normal_iteratorINS9_10device_ptrIxEEEEPS5_m11less_div_10IxEEE10hipError_tT0_T1_T2_jT3_P12ihipStream_tbPNSt15iterator_traitsISJ_E10value_typeEPNSP_ISK_E10value_typeEPSL_NS1_7vsmem_tEENKUlT_SJ_SK_SL_E_clISE_PxSF_SF_EESI_SY_SJ_SK_SL_EUlSY_E0_NS1_11comp_targetILNS1_3genE0ELNS1_11target_archE4294967295ELNS1_3gpuE0ELNS1_3repE0EEENS1_38merge_mergepath_config_static_selectorELNS0_4arch9wavefront6targetE0EEEvSK_,comdat
.Lfunc_end368:
	.size	_ZN7rocprim17ROCPRIM_400000_NS6detail17trampoline_kernelINS0_14default_configENS1_38merge_sort_block_merge_config_selectorIxNS0_10empty_typeEEEZZNS1_27merge_sort_block_merge_implIS3_N6thrust23THRUST_200600_302600_NS6detail15normal_iteratorINS9_10device_ptrIxEEEEPS5_m11less_div_10IxEEE10hipError_tT0_T1_T2_jT3_P12ihipStream_tbPNSt15iterator_traitsISJ_E10value_typeEPNSP_ISK_E10value_typeEPSL_NS1_7vsmem_tEENKUlT_SJ_SK_SL_E_clISE_PxSF_SF_EESI_SY_SJ_SK_SL_EUlSY_E0_NS1_11comp_targetILNS1_3genE0ELNS1_11target_archE4294967295ELNS1_3gpuE0ELNS1_3repE0EEENS1_38merge_mergepath_config_static_selectorELNS0_4arch9wavefront6targetE0EEEvSK_, .Lfunc_end368-_ZN7rocprim17ROCPRIM_400000_NS6detail17trampoline_kernelINS0_14default_configENS1_38merge_sort_block_merge_config_selectorIxNS0_10empty_typeEEEZZNS1_27merge_sort_block_merge_implIS3_N6thrust23THRUST_200600_302600_NS6detail15normal_iteratorINS9_10device_ptrIxEEEEPS5_m11less_div_10IxEEE10hipError_tT0_T1_T2_jT3_P12ihipStream_tbPNSt15iterator_traitsISJ_E10value_typeEPNSP_ISK_E10value_typeEPSL_NS1_7vsmem_tEENKUlT_SJ_SK_SL_E_clISE_PxSF_SF_EESI_SY_SJ_SK_SL_EUlSY_E0_NS1_11comp_targetILNS1_3genE0ELNS1_11target_archE4294967295ELNS1_3gpuE0ELNS1_3repE0EEENS1_38merge_mergepath_config_static_selectorELNS0_4arch9wavefront6targetE0EEEvSK_
                                        ; -- End function
	.set _ZN7rocprim17ROCPRIM_400000_NS6detail17trampoline_kernelINS0_14default_configENS1_38merge_sort_block_merge_config_selectorIxNS0_10empty_typeEEEZZNS1_27merge_sort_block_merge_implIS3_N6thrust23THRUST_200600_302600_NS6detail15normal_iteratorINS9_10device_ptrIxEEEEPS5_m11less_div_10IxEEE10hipError_tT0_T1_T2_jT3_P12ihipStream_tbPNSt15iterator_traitsISJ_E10value_typeEPNSP_ISK_E10value_typeEPSL_NS1_7vsmem_tEENKUlT_SJ_SK_SL_E_clISE_PxSF_SF_EESI_SY_SJ_SK_SL_EUlSY_E0_NS1_11comp_targetILNS1_3genE0ELNS1_11target_archE4294967295ELNS1_3gpuE0ELNS1_3repE0EEENS1_38merge_mergepath_config_static_selectorELNS0_4arch9wavefront6targetE0EEEvSK_.num_vgpr, 0
	.set _ZN7rocprim17ROCPRIM_400000_NS6detail17trampoline_kernelINS0_14default_configENS1_38merge_sort_block_merge_config_selectorIxNS0_10empty_typeEEEZZNS1_27merge_sort_block_merge_implIS3_N6thrust23THRUST_200600_302600_NS6detail15normal_iteratorINS9_10device_ptrIxEEEEPS5_m11less_div_10IxEEE10hipError_tT0_T1_T2_jT3_P12ihipStream_tbPNSt15iterator_traitsISJ_E10value_typeEPNSP_ISK_E10value_typeEPSL_NS1_7vsmem_tEENKUlT_SJ_SK_SL_E_clISE_PxSF_SF_EESI_SY_SJ_SK_SL_EUlSY_E0_NS1_11comp_targetILNS1_3genE0ELNS1_11target_archE4294967295ELNS1_3gpuE0ELNS1_3repE0EEENS1_38merge_mergepath_config_static_selectorELNS0_4arch9wavefront6targetE0EEEvSK_.num_agpr, 0
	.set _ZN7rocprim17ROCPRIM_400000_NS6detail17trampoline_kernelINS0_14default_configENS1_38merge_sort_block_merge_config_selectorIxNS0_10empty_typeEEEZZNS1_27merge_sort_block_merge_implIS3_N6thrust23THRUST_200600_302600_NS6detail15normal_iteratorINS9_10device_ptrIxEEEEPS5_m11less_div_10IxEEE10hipError_tT0_T1_T2_jT3_P12ihipStream_tbPNSt15iterator_traitsISJ_E10value_typeEPNSP_ISK_E10value_typeEPSL_NS1_7vsmem_tEENKUlT_SJ_SK_SL_E_clISE_PxSF_SF_EESI_SY_SJ_SK_SL_EUlSY_E0_NS1_11comp_targetILNS1_3genE0ELNS1_11target_archE4294967295ELNS1_3gpuE0ELNS1_3repE0EEENS1_38merge_mergepath_config_static_selectorELNS0_4arch9wavefront6targetE0EEEvSK_.numbered_sgpr, 0
	.set _ZN7rocprim17ROCPRIM_400000_NS6detail17trampoline_kernelINS0_14default_configENS1_38merge_sort_block_merge_config_selectorIxNS0_10empty_typeEEEZZNS1_27merge_sort_block_merge_implIS3_N6thrust23THRUST_200600_302600_NS6detail15normal_iteratorINS9_10device_ptrIxEEEEPS5_m11less_div_10IxEEE10hipError_tT0_T1_T2_jT3_P12ihipStream_tbPNSt15iterator_traitsISJ_E10value_typeEPNSP_ISK_E10value_typeEPSL_NS1_7vsmem_tEENKUlT_SJ_SK_SL_E_clISE_PxSF_SF_EESI_SY_SJ_SK_SL_EUlSY_E0_NS1_11comp_targetILNS1_3genE0ELNS1_11target_archE4294967295ELNS1_3gpuE0ELNS1_3repE0EEENS1_38merge_mergepath_config_static_selectorELNS0_4arch9wavefront6targetE0EEEvSK_.num_named_barrier, 0
	.set _ZN7rocprim17ROCPRIM_400000_NS6detail17trampoline_kernelINS0_14default_configENS1_38merge_sort_block_merge_config_selectorIxNS0_10empty_typeEEEZZNS1_27merge_sort_block_merge_implIS3_N6thrust23THRUST_200600_302600_NS6detail15normal_iteratorINS9_10device_ptrIxEEEEPS5_m11less_div_10IxEEE10hipError_tT0_T1_T2_jT3_P12ihipStream_tbPNSt15iterator_traitsISJ_E10value_typeEPNSP_ISK_E10value_typeEPSL_NS1_7vsmem_tEENKUlT_SJ_SK_SL_E_clISE_PxSF_SF_EESI_SY_SJ_SK_SL_EUlSY_E0_NS1_11comp_targetILNS1_3genE0ELNS1_11target_archE4294967295ELNS1_3gpuE0ELNS1_3repE0EEENS1_38merge_mergepath_config_static_selectorELNS0_4arch9wavefront6targetE0EEEvSK_.private_seg_size, 0
	.set _ZN7rocprim17ROCPRIM_400000_NS6detail17trampoline_kernelINS0_14default_configENS1_38merge_sort_block_merge_config_selectorIxNS0_10empty_typeEEEZZNS1_27merge_sort_block_merge_implIS3_N6thrust23THRUST_200600_302600_NS6detail15normal_iteratorINS9_10device_ptrIxEEEEPS5_m11less_div_10IxEEE10hipError_tT0_T1_T2_jT3_P12ihipStream_tbPNSt15iterator_traitsISJ_E10value_typeEPNSP_ISK_E10value_typeEPSL_NS1_7vsmem_tEENKUlT_SJ_SK_SL_E_clISE_PxSF_SF_EESI_SY_SJ_SK_SL_EUlSY_E0_NS1_11comp_targetILNS1_3genE0ELNS1_11target_archE4294967295ELNS1_3gpuE0ELNS1_3repE0EEENS1_38merge_mergepath_config_static_selectorELNS0_4arch9wavefront6targetE0EEEvSK_.uses_vcc, 0
	.set _ZN7rocprim17ROCPRIM_400000_NS6detail17trampoline_kernelINS0_14default_configENS1_38merge_sort_block_merge_config_selectorIxNS0_10empty_typeEEEZZNS1_27merge_sort_block_merge_implIS3_N6thrust23THRUST_200600_302600_NS6detail15normal_iteratorINS9_10device_ptrIxEEEEPS5_m11less_div_10IxEEE10hipError_tT0_T1_T2_jT3_P12ihipStream_tbPNSt15iterator_traitsISJ_E10value_typeEPNSP_ISK_E10value_typeEPSL_NS1_7vsmem_tEENKUlT_SJ_SK_SL_E_clISE_PxSF_SF_EESI_SY_SJ_SK_SL_EUlSY_E0_NS1_11comp_targetILNS1_3genE0ELNS1_11target_archE4294967295ELNS1_3gpuE0ELNS1_3repE0EEENS1_38merge_mergepath_config_static_selectorELNS0_4arch9wavefront6targetE0EEEvSK_.uses_flat_scratch, 0
	.set _ZN7rocprim17ROCPRIM_400000_NS6detail17trampoline_kernelINS0_14default_configENS1_38merge_sort_block_merge_config_selectorIxNS0_10empty_typeEEEZZNS1_27merge_sort_block_merge_implIS3_N6thrust23THRUST_200600_302600_NS6detail15normal_iteratorINS9_10device_ptrIxEEEEPS5_m11less_div_10IxEEE10hipError_tT0_T1_T2_jT3_P12ihipStream_tbPNSt15iterator_traitsISJ_E10value_typeEPNSP_ISK_E10value_typeEPSL_NS1_7vsmem_tEENKUlT_SJ_SK_SL_E_clISE_PxSF_SF_EESI_SY_SJ_SK_SL_EUlSY_E0_NS1_11comp_targetILNS1_3genE0ELNS1_11target_archE4294967295ELNS1_3gpuE0ELNS1_3repE0EEENS1_38merge_mergepath_config_static_selectorELNS0_4arch9wavefront6targetE0EEEvSK_.has_dyn_sized_stack, 0
	.set _ZN7rocprim17ROCPRIM_400000_NS6detail17trampoline_kernelINS0_14default_configENS1_38merge_sort_block_merge_config_selectorIxNS0_10empty_typeEEEZZNS1_27merge_sort_block_merge_implIS3_N6thrust23THRUST_200600_302600_NS6detail15normal_iteratorINS9_10device_ptrIxEEEEPS5_m11less_div_10IxEEE10hipError_tT0_T1_T2_jT3_P12ihipStream_tbPNSt15iterator_traitsISJ_E10value_typeEPNSP_ISK_E10value_typeEPSL_NS1_7vsmem_tEENKUlT_SJ_SK_SL_E_clISE_PxSF_SF_EESI_SY_SJ_SK_SL_EUlSY_E0_NS1_11comp_targetILNS1_3genE0ELNS1_11target_archE4294967295ELNS1_3gpuE0ELNS1_3repE0EEENS1_38merge_mergepath_config_static_selectorELNS0_4arch9wavefront6targetE0EEEvSK_.has_recursion, 0
	.set _ZN7rocprim17ROCPRIM_400000_NS6detail17trampoline_kernelINS0_14default_configENS1_38merge_sort_block_merge_config_selectorIxNS0_10empty_typeEEEZZNS1_27merge_sort_block_merge_implIS3_N6thrust23THRUST_200600_302600_NS6detail15normal_iteratorINS9_10device_ptrIxEEEEPS5_m11less_div_10IxEEE10hipError_tT0_T1_T2_jT3_P12ihipStream_tbPNSt15iterator_traitsISJ_E10value_typeEPNSP_ISK_E10value_typeEPSL_NS1_7vsmem_tEENKUlT_SJ_SK_SL_E_clISE_PxSF_SF_EESI_SY_SJ_SK_SL_EUlSY_E0_NS1_11comp_targetILNS1_3genE0ELNS1_11target_archE4294967295ELNS1_3gpuE0ELNS1_3repE0EEENS1_38merge_mergepath_config_static_selectorELNS0_4arch9wavefront6targetE0EEEvSK_.has_indirect_call, 0
	.section	.AMDGPU.csdata,"",@progbits
; Kernel info:
; codeLenInByte = 0
; TotalNumSgprs: 0
; NumVgprs: 0
; ScratchSize: 0
; MemoryBound: 0
; FloatMode: 240
; IeeeMode: 1
; LDSByteSize: 0 bytes/workgroup (compile time only)
; SGPRBlocks: 0
; VGPRBlocks: 0
; NumSGPRsForWavesPerEU: 1
; NumVGPRsForWavesPerEU: 1
; Occupancy: 16
; WaveLimiterHint : 0
; COMPUTE_PGM_RSRC2:SCRATCH_EN: 0
; COMPUTE_PGM_RSRC2:USER_SGPR: 6
; COMPUTE_PGM_RSRC2:TRAP_HANDLER: 0
; COMPUTE_PGM_RSRC2:TGID_X_EN: 1
; COMPUTE_PGM_RSRC2:TGID_Y_EN: 0
; COMPUTE_PGM_RSRC2:TGID_Z_EN: 0
; COMPUTE_PGM_RSRC2:TIDIG_COMP_CNT: 0
	.section	.text._ZN7rocprim17ROCPRIM_400000_NS6detail17trampoline_kernelINS0_14default_configENS1_38merge_sort_block_merge_config_selectorIxNS0_10empty_typeEEEZZNS1_27merge_sort_block_merge_implIS3_N6thrust23THRUST_200600_302600_NS6detail15normal_iteratorINS9_10device_ptrIxEEEEPS5_m11less_div_10IxEEE10hipError_tT0_T1_T2_jT3_P12ihipStream_tbPNSt15iterator_traitsISJ_E10value_typeEPNSP_ISK_E10value_typeEPSL_NS1_7vsmem_tEENKUlT_SJ_SK_SL_E_clISE_PxSF_SF_EESI_SY_SJ_SK_SL_EUlSY_E0_NS1_11comp_targetILNS1_3genE10ELNS1_11target_archE1201ELNS1_3gpuE5ELNS1_3repE0EEENS1_38merge_mergepath_config_static_selectorELNS0_4arch9wavefront6targetE0EEEvSK_,"axG",@progbits,_ZN7rocprim17ROCPRIM_400000_NS6detail17trampoline_kernelINS0_14default_configENS1_38merge_sort_block_merge_config_selectorIxNS0_10empty_typeEEEZZNS1_27merge_sort_block_merge_implIS3_N6thrust23THRUST_200600_302600_NS6detail15normal_iteratorINS9_10device_ptrIxEEEEPS5_m11less_div_10IxEEE10hipError_tT0_T1_T2_jT3_P12ihipStream_tbPNSt15iterator_traitsISJ_E10value_typeEPNSP_ISK_E10value_typeEPSL_NS1_7vsmem_tEENKUlT_SJ_SK_SL_E_clISE_PxSF_SF_EESI_SY_SJ_SK_SL_EUlSY_E0_NS1_11comp_targetILNS1_3genE10ELNS1_11target_archE1201ELNS1_3gpuE5ELNS1_3repE0EEENS1_38merge_mergepath_config_static_selectorELNS0_4arch9wavefront6targetE0EEEvSK_,comdat
	.protected	_ZN7rocprim17ROCPRIM_400000_NS6detail17trampoline_kernelINS0_14default_configENS1_38merge_sort_block_merge_config_selectorIxNS0_10empty_typeEEEZZNS1_27merge_sort_block_merge_implIS3_N6thrust23THRUST_200600_302600_NS6detail15normal_iteratorINS9_10device_ptrIxEEEEPS5_m11less_div_10IxEEE10hipError_tT0_T1_T2_jT3_P12ihipStream_tbPNSt15iterator_traitsISJ_E10value_typeEPNSP_ISK_E10value_typeEPSL_NS1_7vsmem_tEENKUlT_SJ_SK_SL_E_clISE_PxSF_SF_EESI_SY_SJ_SK_SL_EUlSY_E0_NS1_11comp_targetILNS1_3genE10ELNS1_11target_archE1201ELNS1_3gpuE5ELNS1_3repE0EEENS1_38merge_mergepath_config_static_selectorELNS0_4arch9wavefront6targetE0EEEvSK_ ; -- Begin function _ZN7rocprim17ROCPRIM_400000_NS6detail17trampoline_kernelINS0_14default_configENS1_38merge_sort_block_merge_config_selectorIxNS0_10empty_typeEEEZZNS1_27merge_sort_block_merge_implIS3_N6thrust23THRUST_200600_302600_NS6detail15normal_iteratorINS9_10device_ptrIxEEEEPS5_m11less_div_10IxEEE10hipError_tT0_T1_T2_jT3_P12ihipStream_tbPNSt15iterator_traitsISJ_E10value_typeEPNSP_ISK_E10value_typeEPSL_NS1_7vsmem_tEENKUlT_SJ_SK_SL_E_clISE_PxSF_SF_EESI_SY_SJ_SK_SL_EUlSY_E0_NS1_11comp_targetILNS1_3genE10ELNS1_11target_archE1201ELNS1_3gpuE5ELNS1_3repE0EEENS1_38merge_mergepath_config_static_selectorELNS0_4arch9wavefront6targetE0EEEvSK_
	.globl	_ZN7rocprim17ROCPRIM_400000_NS6detail17trampoline_kernelINS0_14default_configENS1_38merge_sort_block_merge_config_selectorIxNS0_10empty_typeEEEZZNS1_27merge_sort_block_merge_implIS3_N6thrust23THRUST_200600_302600_NS6detail15normal_iteratorINS9_10device_ptrIxEEEEPS5_m11less_div_10IxEEE10hipError_tT0_T1_T2_jT3_P12ihipStream_tbPNSt15iterator_traitsISJ_E10value_typeEPNSP_ISK_E10value_typeEPSL_NS1_7vsmem_tEENKUlT_SJ_SK_SL_E_clISE_PxSF_SF_EESI_SY_SJ_SK_SL_EUlSY_E0_NS1_11comp_targetILNS1_3genE10ELNS1_11target_archE1201ELNS1_3gpuE5ELNS1_3repE0EEENS1_38merge_mergepath_config_static_selectorELNS0_4arch9wavefront6targetE0EEEvSK_
	.p2align	8
	.type	_ZN7rocprim17ROCPRIM_400000_NS6detail17trampoline_kernelINS0_14default_configENS1_38merge_sort_block_merge_config_selectorIxNS0_10empty_typeEEEZZNS1_27merge_sort_block_merge_implIS3_N6thrust23THRUST_200600_302600_NS6detail15normal_iteratorINS9_10device_ptrIxEEEEPS5_m11less_div_10IxEEE10hipError_tT0_T1_T2_jT3_P12ihipStream_tbPNSt15iterator_traitsISJ_E10value_typeEPNSP_ISK_E10value_typeEPSL_NS1_7vsmem_tEENKUlT_SJ_SK_SL_E_clISE_PxSF_SF_EESI_SY_SJ_SK_SL_EUlSY_E0_NS1_11comp_targetILNS1_3genE10ELNS1_11target_archE1201ELNS1_3gpuE5ELNS1_3repE0EEENS1_38merge_mergepath_config_static_selectorELNS0_4arch9wavefront6targetE0EEEvSK_,@function
_ZN7rocprim17ROCPRIM_400000_NS6detail17trampoline_kernelINS0_14default_configENS1_38merge_sort_block_merge_config_selectorIxNS0_10empty_typeEEEZZNS1_27merge_sort_block_merge_implIS3_N6thrust23THRUST_200600_302600_NS6detail15normal_iteratorINS9_10device_ptrIxEEEEPS5_m11less_div_10IxEEE10hipError_tT0_T1_T2_jT3_P12ihipStream_tbPNSt15iterator_traitsISJ_E10value_typeEPNSP_ISK_E10value_typeEPSL_NS1_7vsmem_tEENKUlT_SJ_SK_SL_E_clISE_PxSF_SF_EESI_SY_SJ_SK_SL_EUlSY_E0_NS1_11comp_targetILNS1_3genE10ELNS1_11target_archE1201ELNS1_3gpuE5ELNS1_3repE0EEENS1_38merge_mergepath_config_static_selectorELNS0_4arch9wavefront6targetE0EEEvSK_: ; @_ZN7rocprim17ROCPRIM_400000_NS6detail17trampoline_kernelINS0_14default_configENS1_38merge_sort_block_merge_config_selectorIxNS0_10empty_typeEEEZZNS1_27merge_sort_block_merge_implIS3_N6thrust23THRUST_200600_302600_NS6detail15normal_iteratorINS9_10device_ptrIxEEEEPS5_m11less_div_10IxEEE10hipError_tT0_T1_T2_jT3_P12ihipStream_tbPNSt15iterator_traitsISJ_E10value_typeEPNSP_ISK_E10value_typeEPSL_NS1_7vsmem_tEENKUlT_SJ_SK_SL_E_clISE_PxSF_SF_EESI_SY_SJ_SK_SL_EUlSY_E0_NS1_11comp_targetILNS1_3genE10ELNS1_11target_archE1201ELNS1_3gpuE5ELNS1_3repE0EEENS1_38merge_mergepath_config_static_selectorELNS0_4arch9wavefront6targetE0EEEvSK_
; %bb.0:
	.section	.rodata,"a",@progbits
	.p2align	6, 0x0
	.amdhsa_kernel _ZN7rocprim17ROCPRIM_400000_NS6detail17trampoline_kernelINS0_14default_configENS1_38merge_sort_block_merge_config_selectorIxNS0_10empty_typeEEEZZNS1_27merge_sort_block_merge_implIS3_N6thrust23THRUST_200600_302600_NS6detail15normal_iteratorINS9_10device_ptrIxEEEEPS5_m11less_div_10IxEEE10hipError_tT0_T1_T2_jT3_P12ihipStream_tbPNSt15iterator_traitsISJ_E10value_typeEPNSP_ISK_E10value_typeEPSL_NS1_7vsmem_tEENKUlT_SJ_SK_SL_E_clISE_PxSF_SF_EESI_SY_SJ_SK_SL_EUlSY_E0_NS1_11comp_targetILNS1_3genE10ELNS1_11target_archE1201ELNS1_3gpuE5ELNS1_3repE0EEENS1_38merge_mergepath_config_static_selectorELNS0_4arch9wavefront6targetE0EEEvSK_
		.amdhsa_group_segment_fixed_size 0
		.amdhsa_private_segment_fixed_size 0
		.amdhsa_kernarg_size 72
		.amdhsa_user_sgpr_count 6
		.amdhsa_user_sgpr_private_segment_buffer 1
		.amdhsa_user_sgpr_dispatch_ptr 0
		.amdhsa_user_sgpr_queue_ptr 0
		.amdhsa_user_sgpr_kernarg_segment_ptr 1
		.amdhsa_user_sgpr_dispatch_id 0
		.amdhsa_user_sgpr_flat_scratch_init 0
		.amdhsa_user_sgpr_private_segment_size 0
		.amdhsa_wavefront_size32 1
		.amdhsa_uses_dynamic_stack 0
		.amdhsa_system_sgpr_private_segment_wavefront_offset 0
		.amdhsa_system_sgpr_workgroup_id_x 1
		.amdhsa_system_sgpr_workgroup_id_y 0
		.amdhsa_system_sgpr_workgroup_id_z 0
		.amdhsa_system_sgpr_workgroup_info 0
		.amdhsa_system_vgpr_workitem_id 0
		.amdhsa_next_free_vgpr 1
		.amdhsa_next_free_sgpr 1
		.amdhsa_reserve_vcc 0
		.amdhsa_reserve_flat_scratch 0
		.amdhsa_float_round_mode_32 0
		.amdhsa_float_round_mode_16_64 0
		.amdhsa_float_denorm_mode_32 3
		.amdhsa_float_denorm_mode_16_64 3
		.amdhsa_dx10_clamp 1
		.amdhsa_ieee_mode 1
		.amdhsa_fp16_overflow 0
		.amdhsa_workgroup_processor_mode 1
		.amdhsa_memory_ordered 1
		.amdhsa_forward_progress 1
		.amdhsa_shared_vgpr_count 0
		.amdhsa_exception_fp_ieee_invalid_op 0
		.amdhsa_exception_fp_denorm_src 0
		.amdhsa_exception_fp_ieee_div_zero 0
		.amdhsa_exception_fp_ieee_overflow 0
		.amdhsa_exception_fp_ieee_underflow 0
		.amdhsa_exception_fp_ieee_inexact 0
		.amdhsa_exception_int_div_zero 0
	.end_amdhsa_kernel
	.section	.text._ZN7rocprim17ROCPRIM_400000_NS6detail17trampoline_kernelINS0_14default_configENS1_38merge_sort_block_merge_config_selectorIxNS0_10empty_typeEEEZZNS1_27merge_sort_block_merge_implIS3_N6thrust23THRUST_200600_302600_NS6detail15normal_iteratorINS9_10device_ptrIxEEEEPS5_m11less_div_10IxEEE10hipError_tT0_T1_T2_jT3_P12ihipStream_tbPNSt15iterator_traitsISJ_E10value_typeEPNSP_ISK_E10value_typeEPSL_NS1_7vsmem_tEENKUlT_SJ_SK_SL_E_clISE_PxSF_SF_EESI_SY_SJ_SK_SL_EUlSY_E0_NS1_11comp_targetILNS1_3genE10ELNS1_11target_archE1201ELNS1_3gpuE5ELNS1_3repE0EEENS1_38merge_mergepath_config_static_selectorELNS0_4arch9wavefront6targetE0EEEvSK_,"axG",@progbits,_ZN7rocprim17ROCPRIM_400000_NS6detail17trampoline_kernelINS0_14default_configENS1_38merge_sort_block_merge_config_selectorIxNS0_10empty_typeEEEZZNS1_27merge_sort_block_merge_implIS3_N6thrust23THRUST_200600_302600_NS6detail15normal_iteratorINS9_10device_ptrIxEEEEPS5_m11less_div_10IxEEE10hipError_tT0_T1_T2_jT3_P12ihipStream_tbPNSt15iterator_traitsISJ_E10value_typeEPNSP_ISK_E10value_typeEPSL_NS1_7vsmem_tEENKUlT_SJ_SK_SL_E_clISE_PxSF_SF_EESI_SY_SJ_SK_SL_EUlSY_E0_NS1_11comp_targetILNS1_3genE10ELNS1_11target_archE1201ELNS1_3gpuE5ELNS1_3repE0EEENS1_38merge_mergepath_config_static_selectorELNS0_4arch9wavefront6targetE0EEEvSK_,comdat
.Lfunc_end369:
	.size	_ZN7rocprim17ROCPRIM_400000_NS6detail17trampoline_kernelINS0_14default_configENS1_38merge_sort_block_merge_config_selectorIxNS0_10empty_typeEEEZZNS1_27merge_sort_block_merge_implIS3_N6thrust23THRUST_200600_302600_NS6detail15normal_iteratorINS9_10device_ptrIxEEEEPS5_m11less_div_10IxEEE10hipError_tT0_T1_T2_jT3_P12ihipStream_tbPNSt15iterator_traitsISJ_E10value_typeEPNSP_ISK_E10value_typeEPSL_NS1_7vsmem_tEENKUlT_SJ_SK_SL_E_clISE_PxSF_SF_EESI_SY_SJ_SK_SL_EUlSY_E0_NS1_11comp_targetILNS1_3genE10ELNS1_11target_archE1201ELNS1_3gpuE5ELNS1_3repE0EEENS1_38merge_mergepath_config_static_selectorELNS0_4arch9wavefront6targetE0EEEvSK_, .Lfunc_end369-_ZN7rocprim17ROCPRIM_400000_NS6detail17trampoline_kernelINS0_14default_configENS1_38merge_sort_block_merge_config_selectorIxNS0_10empty_typeEEEZZNS1_27merge_sort_block_merge_implIS3_N6thrust23THRUST_200600_302600_NS6detail15normal_iteratorINS9_10device_ptrIxEEEEPS5_m11less_div_10IxEEE10hipError_tT0_T1_T2_jT3_P12ihipStream_tbPNSt15iterator_traitsISJ_E10value_typeEPNSP_ISK_E10value_typeEPSL_NS1_7vsmem_tEENKUlT_SJ_SK_SL_E_clISE_PxSF_SF_EESI_SY_SJ_SK_SL_EUlSY_E0_NS1_11comp_targetILNS1_3genE10ELNS1_11target_archE1201ELNS1_3gpuE5ELNS1_3repE0EEENS1_38merge_mergepath_config_static_selectorELNS0_4arch9wavefront6targetE0EEEvSK_
                                        ; -- End function
	.set _ZN7rocprim17ROCPRIM_400000_NS6detail17trampoline_kernelINS0_14default_configENS1_38merge_sort_block_merge_config_selectorIxNS0_10empty_typeEEEZZNS1_27merge_sort_block_merge_implIS3_N6thrust23THRUST_200600_302600_NS6detail15normal_iteratorINS9_10device_ptrIxEEEEPS5_m11less_div_10IxEEE10hipError_tT0_T1_T2_jT3_P12ihipStream_tbPNSt15iterator_traitsISJ_E10value_typeEPNSP_ISK_E10value_typeEPSL_NS1_7vsmem_tEENKUlT_SJ_SK_SL_E_clISE_PxSF_SF_EESI_SY_SJ_SK_SL_EUlSY_E0_NS1_11comp_targetILNS1_3genE10ELNS1_11target_archE1201ELNS1_3gpuE5ELNS1_3repE0EEENS1_38merge_mergepath_config_static_selectorELNS0_4arch9wavefront6targetE0EEEvSK_.num_vgpr, 0
	.set _ZN7rocprim17ROCPRIM_400000_NS6detail17trampoline_kernelINS0_14default_configENS1_38merge_sort_block_merge_config_selectorIxNS0_10empty_typeEEEZZNS1_27merge_sort_block_merge_implIS3_N6thrust23THRUST_200600_302600_NS6detail15normal_iteratorINS9_10device_ptrIxEEEEPS5_m11less_div_10IxEEE10hipError_tT0_T1_T2_jT3_P12ihipStream_tbPNSt15iterator_traitsISJ_E10value_typeEPNSP_ISK_E10value_typeEPSL_NS1_7vsmem_tEENKUlT_SJ_SK_SL_E_clISE_PxSF_SF_EESI_SY_SJ_SK_SL_EUlSY_E0_NS1_11comp_targetILNS1_3genE10ELNS1_11target_archE1201ELNS1_3gpuE5ELNS1_3repE0EEENS1_38merge_mergepath_config_static_selectorELNS0_4arch9wavefront6targetE0EEEvSK_.num_agpr, 0
	.set _ZN7rocprim17ROCPRIM_400000_NS6detail17trampoline_kernelINS0_14default_configENS1_38merge_sort_block_merge_config_selectorIxNS0_10empty_typeEEEZZNS1_27merge_sort_block_merge_implIS3_N6thrust23THRUST_200600_302600_NS6detail15normal_iteratorINS9_10device_ptrIxEEEEPS5_m11less_div_10IxEEE10hipError_tT0_T1_T2_jT3_P12ihipStream_tbPNSt15iterator_traitsISJ_E10value_typeEPNSP_ISK_E10value_typeEPSL_NS1_7vsmem_tEENKUlT_SJ_SK_SL_E_clISE_PxSF_SF_EESI_SY_SJ_SK_SL_EUlSY_E0_NS1_11comp_targetILNS1_3genE10ELNS1_11target_archE1201ELNS1_3gpuE5ELNS1_3repE0EEENS1_38merge_mergepath_config_static_selectorELNS0_4arch9wavefront6targetE0EEEvSK_.numbered_sgpr, 0
	.set _ZN7rocprim17ROCPRIM_400000_NS6detail17trampoline_kernelINS0_14default_configENS1_38merge_sort_block_merge_config_selectorIxNS0_10empty_typeEEEZZNS1_27merge_sort_block_merge_implIS3_N6thrust23THRUST_200600_302600_NS6detail15normal_iteratorINS9_10device_ptrIxEEEEPS5_m11less_div_10IxEEE10hipError_tT0_T1_T2_jT3_P12ihipStream_tbPNSt15iterator_traitsISJ_E10value_typeEPNSP_ISK_E10value_typeEPSL_NS1_7vsmem_tEENKUlT_SJ_SK_SL_E_clISE_PxSF_SF_EESI_SY_SJ_SK_SL_EUlSY_E0_NS1_11comp_targetILNS1_3genE10ELNS1_11target_archE1201ELNS1_3gpuE5ELNS1_3repE0EEENS1_38merge_mergepath_config_static_selectorELNS0_4arch9wavefront6targetE0EEEvSK_.num_named_barrier, 0
	.set _ZN7rocprim17ROCPRIM_400000_NS6detail17trampoline_kernelINS0_14default_configENS1_38merge_sort_block_merge_config_selectorIxNS0_10empty_typeEEEZZNS1_27merge_sort_block_merge_implIS3_N6thrust23THRUST_200600_302600_NS6detail15normal_iteratorINS9_10device_ptrIxEEEEPS5_m11less_div_10IxEEE10hipError_tT0_T1_T2_jT3_P12ihipStream_tbPNSt15iterator_traitsISJ_E10value_typeEPNSP_ISK_E10value_typeEPSL_NS1_7vsmem_tEENKUlT_SJ_SK_SL_E_clISE_PxSF_SF_EESI_SY_SJ_SK_SL_EUlSY_E0_NS1_11comp_targetILNS1_3genE10ELNS1_11target_archE1201ELNS1_3gpuE5ELNS1_3repE0EEENS1_38merge_mergepath_config_static_selectorELNS0_4arch9wavefront6targetE0EEEvSK_.private_seg_size, 0
	.set _ZN7rocprim17ROCPRIM_400000_NS6detail17trampoline_kernelINS0_14default_configENS1_38merge_sort_block_merge_config_selectorIxNS0_10empty_typeEEEZZNS1_27merge_sort_block_merge_implIS3_N6thrust23THRUST_200600_302600_NS6detail15normal_iteratorINS9_10device_ptrIxEEEEPS5_m11less_div_10IxEEE10hipError_tT0_T1_T2_jT3_P12ihipStream_tbPNSt15iterator_traitsISJ_E10value_typeEPNSP_ISK_E10value_typeEPSL_NS1_7vsmem_tEENKUlT_SJ_SK_SL_E_clISE_PxSF_SF_EESI_SY_SJ_SK_SL_EUlSY_E0_NS1_11comp_targetILNS1_3genE10ELNS1_11target_archE1201ELNS1_3gpuE5ELNS1_3repE0EEENS1_38merge_mergepath_config_static_selectorELNS0_4arch9wavefront6targetE0EEEvSK_.uses_vcc, 0
	.set _ZN7rocprim17ROCPRIM_400000_NS6detail17trampoline_kernelINS0_14default_configENS1_38merge_sort_block_merge_config_selectorIxNS0_10empty_typeEEEZZNS1_27merge_sort_block_merge_implIS3_N6thrust23THRUST_200600_302600_NS6detail15normal_iteratorINS9_10device_ptrIxEEEEPS5_m11less_div_10IxEEE10hipError_tT0_T1_T2_jT3_P12ihipStream_tbPNSt15iterator_traitsISJ_E10value_typeEPNSP_ISK_E10value_typeEPSL_NS1_7vsmem_tEENKUlT_SJ_SK_SL_E_clISE_PxSF_SF_EESI_SY_SJ_SK_SL_EUlSY_E0_NS1_11comp_targetILNS1_3genE10ELNS1_11target_archE1201ELNS1_3gpuE5ELNS1_3repE0EEENS1_38merge_mergepath_config_static_selectorELNS0_4arch9wavefront6targetE0EEEvSK_.uses_flat_scratch, 0
	.set _ZN7rocprim17ROCPRIM_400000_NS6detail17trampoline_kernelINS0_14default_configENS1_38merge_sort_block_merge_config_selectorIxNS0_10empty_typeEEEZZNS1_27merge_sort_block_merge_implIS3_N6thrust23THRUST_200600_302600_NS6detail15normal_iteratorINS9_10device_ptrIxEEEEPS5_m11less_div_10IxEEE10hipError_tT0_T1_T2_jT3_P12ihipStream_tbPNSt15iterator_traitsISJ_E10value_typeEPNSP_ISK_E10value_typeEPSL_NS1_7vsmem_tEENKUlT_SJ_SK_SL_E_clISE_PxSF_SF_EESI_SY_SJ_SK_SL_EUlSY_E0_NS1_11comp_targetILNS1_3genE10ELNS1_11target_archE1201ELNS1_3gpuE5ELNS1_3repE0EEENS1_38merge_mergepath_config_static_selectorELNS0_4arch9wavefront6targetE0EEEvSK_.has_dyn_sized_stack, 0
	.set _ZN7rocprim17ROCPRIM_400000_NS6detail17trampoline_kernelINS0_14default_configENS1_38merge_sort_block_merge_config_selectorIxNS0_10empty_typeEEEZZNS1_27merge_sort_block_merge_implIS3_N6thrust23THRUST_200600_302600_NS6detail15normal_iteratorINS9_10device_ptrIxEEEEPS5_m11less_div_10IxEEE10hipError_tT0_T1_T2_jT3_P12ihipStream_tbPNSt15iterator_traitsISJ_E10value_typeEPNSP_ISK_E10value_typeEPSL_NS1_7vsmem_tEENKUlT_SJ_SK_SL_E_clISE_PxSF_SF_EESI_SY_SJ_SK_SL_EUlSY_E0_NS1_11comp_targetILNS1_3genE10ELNS1_11target_archE1201ELNS1_3gpuE5ELNS1_3repE0EEENS1_38merge_mergepath_config_static_selectorELNS0_4arch9wavefront6targetE0EEEvSK_.has_recursion, 0
	.set _ZN7rocprim17ROCPRIM_400000_NS6detail17trampoline_kernelINS0_14default_configENS1_38merge_sort_block_merge_config_selectorIxNS0_10empty_typeEEEZZNS1_27merge_sort_block_merge_implIS3_N6thrust23THRUST_200600_302600_NS6detail15normal_iteratorINS9_10device_ptrIxEEEEPS5_m11less_div_10IxEEE10hipError_tT0_T1_T2_jT3_P12ihipStream_tbPNSt15iterator_traitsISJ_E10value_typeEPNSP_ISK_E10value_typeEPSL_NS1_7vsmem_tEENKUlT_SJ_SK_SL_E_clISE_PxSF_SF_EESI_SY_SJ_SK_SL_EUlSY_E0_NS1_11comp_targetILNS1_3genE10ELNS1_11target_archE1201ELNS1_3gpuE5ELNS1_3repE0EEENS1_38merge_mergepath_config_static_selectorELNS0_4arch9wavefront6targetE0EEEvSK_.has_indirect_call, 0
	.section	.AMDGPU.csdata,"",@progbits
; Kernel info:
; codeLenInByte = 0
; TotalNumSgprs: 0
; NumVgprs: 0
; ScratchSize: 0
; MemoryBound: 0
; FloatMode: 240
; IeeeMode: 1
; LDSByteSize: 0 bytes/workgroup (compile time only)
; SGPRBlocks: 0
; VGPRBlocks: 0
; NumSGPRsForWavesPerEU: 1
; NumVGPRsForWavesPerEU: 1
; Occupancy: 16
; WaveLimiterHint : 0
; COMPUTE_PGM_RSRC2:SCRATCH_EN: 0
; COMPUTE_PGM_RSRC2:USER_SGPR: 6
; COMPUTE_PGM_RSRC2:TRAP_HANDLER: 0
; COMPUTE_PGM_RSRC2:TGID_X_EN: 1
; COMPUTE_PGM_RSRC2:TGID_Y_EN: 0
; COMPUTE_PGM_RSRC2:TGID_Z_EN: 0
; COMPUTE_PGM_RSRC2:TIDIG_COMP_CNT: 0
	.section	.text._ZN7rocprim17ROCPRIM_400000_NS6detail17trampoline_kernelINS0_14default_configENS1_38merge_sort_block_merge_config_selectorIxNS0_10empty_typeEEEZZNS1_27merge_sort_block_merge_implIS3_N6thrust23THRUST_200600_302600_NS6detail15normal_iteratorINS9_10device_ptrIxEEEEPS5_m11less_div_10IxEEE10hipError_tT0_T1_T2_jT3_P12ihipStream_tbPNSt15iterator_traitsISJ_E10value_typeEPNSP_ISK_E10value_typeEPSL_NS1_7vsmem_tEENKUlT_SJ_SK_SL_E_clISE_PxSF_SF_EESI_SY_SJ_SK_SL_EUlSY_E0_NS1_11comp_targetILNS1_3genE5ELNS1_11target_archE942ELNS1_3gpuE9ELNS1_3repE0EEENS1_38merge_mergepath_config_static_selectorELNS0_4arch9wavefront6targetE0EEEvSK_,"axG",@progbits,_ZN7rocprim17ROCPRIM_400000_NS6detail17trampoline_kernelINS0_14default_configENS1_38merge_sort_block_merge_config_selectorIxNS0_10empty_typeEEEZZNS1_27merge_sort_block_merge_implIS3_N6thrust23THRUST_200600_302600_NS6detail15normal_iteratorINS9_10device_ptrIxEEEEPS5_m11less_div_10IxEEE10hipError_tT0_T1_T2_jT3_P12ihipStream_tbPNSt15iterator_traitsISJ_E10value_typeEPNSP_ISK_E10value_typeEPSL_NS1_7vsmem_tEENKUlT_SJ_SK_SL_E_clISE_PxSF_SF_EESI_SY_SJ_SK_SL_EUlSY_E0_NS1_11comp_targetILNS1_3genE5ELNS1_11target_archE942ELNS1_3gpuE9ELNS1_3repE0EEENS1_38merge_mergepath_config_static_selectorELNS0_4arch9wavefront6targetE0EEEvSK_,comdat
	.protected	_ZN7rocprim17ROCPRIM_400000_NS6detail17trampoline_kernelINS0_14default_configENS1_38merge_sort_block_merge_config_selectorIxNS0_10empty_typeEEEZZNS1_27merge_sort_block_merge_implIS3_N6thrust23THRUST_200600_302600_NS6detail15normal_iteratorINS9_10device_ptrIxEEEEPS5_m11less_div_10IxEEE10hipError_tT0_T1_T2_jT3_P12ihipStream_tbPNSt15iterator_traitsISJ_E10value_typeEPNSP_ISK_E10value_typeEPSL_NS1_7vsmem_tEENKUlT_SJ_SK_SL_E_clISE_PxSF_SF_EESI_SY_SJ_SK_SL_EUlSY_E0_NS1_11comp_targetILNS1_3genE5ELNS1_11target_archE942ELNS1_3gpuE9ELNS1_3repE0EEENS1_38merge_mergepath_config_static_selectorELNS0_4arch9wavefront6targetE0EEEvSK_ ; -- Begin function _ZN7rocprim17ROCPRIM_400000_NS6detail17trampoline_kernelINS0_14default_configENS1_38merge_sort_block_merge_config_selectorIxNS0_10empty_typeEEEZZNS1_27merge_sort_block_merge_implIS3_N6thrust23THRUST_200600_302600_NS6detail15normal_iteratorINS9_10device_ptrIxEEEEPS5_m11less_div_10IxEEE10hipError_tT0_T1_T2_jT3_P12ihipStream_tbPNSt15iterator_traitsISJ_E10value_typeEPNSP_ISK_E10value_typeEPSL_NS1_7vsmem_tEENKUlT_SJ_SK_SL_E_clISE_PxSF_SF_EESI_SY_SJ_SK_SL_EUlSY_E0_NS1_11comp_targetILNS1_3genE5ELNS1_11target_archE942ELNS1_3gpuE9ELNS1_3repE0EEENS1_38merge_mergepath_config_static_selectorELNS0_4arch9wavefront6targetE0EEEvSK_
	.globl	_ZN7rocprim17ROCPRIM_400000_NS6detail17trampoline_kernelINS0_14default_configENS1_38merge_sort_block_merge_config_selectorIxNS0_10empty_typeEEEZZNS1_27merge_sort_block_merge_implIS3_N6thrust23THRUST_200600_302600_NS6detail15normal_iteratorINS9_10device_ptrIxEEEEPS5_m11less_div_10IxEEE10hipError_tT0_T1_T2_jT3_P12ihipStream_tbPNSt15iterator_traitsISJ_E10value_typeEPNSP_ISK_E10value_typeEPSL_NS1_7vsmem_tEENKUlT_SJ_SK_SL_E_clISE_PxSF_SF_EESI_SY_SJ_SK_SL_EUlSY_E0_NS1_11comp_targetILNS1_3genE5ELNS1_11target_archE942ELNS1_3gpuE9ELNS1_3repE0EEENS1_38merge_mergepath_config_static_selectorELNS0_4arch9wavefront6targetE0EEEvSK_
	.p2align	8
	.type	_ZN7rocprim17ROCPRIM_400000_NS6detail17trampoline_kernelINS0_14default_configENS1_38merge_sort_block_merge_config_selectorIxNS0_10empty_typeEEEZZNS1_27merge_sort_block_merge_implIS3_N6thrust23THRUST_200600_302600_NS6detail15normal_iteratorINS9_10device_ptrIxEEEEPS5_m11less_div_10IxEEE10hipError_tT0_T1_T2_jT3_P12ihipStream_tbPNSt15iterator_traitsISJ_E10value_typeEPNSP_ISK_E10value_typeEPSL_NS1_7vsmem_tEENKUlT_SJ_SK_SL_E_clISE_PxSF_SF_EESI_SY_SJ_SK_SL_EUlSY_E0_NS1_11comp_targetILNS1_3genE5ELNS1_11target_archE942ELNS1_3gpuE9ELNS1_3repE0EEENS1_38merge_mergepath_config_static_selectorELNS0_4arch9wavefront6targetE0EEEvSK_,@function
_ZN7rocprim17ROCPRIM_400000_NS6detail17trampoline_kernelINS0_14default_configENS1_38merge_sort_block_merge_config_selectorIxNS0_10empty_typeEEEZZNS1_27merge_sort_block_merge_implIS3_N6thrust23THRUST_200600_302600_NS6detail15normal_iteratorINS9_10device_ptrIxEEEEPS5_m11less_div_10IxEEE10hipError_tT0_T1_T2_jT3_P12ihipStream_tbPNSt15iterator_traitsISJ_E10value_typeEPNSP_ISK_E10value_typeEPSL_NS1_7vsmem_tEENKUlT_SJ_SK_SL_E_clISE_PxSF_SF_EESI_SY_SJ_SK_SL_EUlSY_E0_NS1_11comp_targetILNS1_3genE5ELNS1_11target_archE942ELNS1_3gpuE9ELNS1_3repE0EEENS1_38merge_mergepath_config_static_selectorELNS0_4arch9wavefront6targetE0EEEvSK_: ; @_ZN7rocprim17ROCPRIM_400000_NS6detail17trampoline_kernelINS0_14default_configENS1_38merge_sort_block_merge_config_selectorIxNS0_10empty_typeEEEZZNS1_27merge_sort_block_merge_implIS3_N6thrust23THRUST_200600_302600_NS6detail15normal_iteratorINS9_10device_ptrIxEEEEPS5_m11less_div_10IxEEE10hipError_tT0_T1_T2_jT3_P12ihipStream_tbPNSt15iterator_traitsISJ_E10value_typeEPNSP_ISK_E10value_typeEPSL_NS1_7vsmem_tEENKUlT_SJ_SK_SL_E_clISE_PxSF_SF_EESI_SY_SJ_SK_SL_EUlSY_E0_NS1_11comp_targetILNS1_3genE5ELNS1_11target_archE942ELNS1_3gpuE9ELNS1_3repE0EEENS1_38merge_mergepath_config_static_selectorELNS0_4arch9wavefront6targetE0EEEvSK_
; %bb.0:
	.section	.rodata,"a",@progbits
	.p2align	6, 0x0
	.amdhsa_kernel _ZN7rocprim17ROCPRIM_400000_NS6detail17trampoline_kernelINS0_14default_configENS1_38merge_sort_block_merge_config_selectorIxNS0_10empty_typeEEEZZNS1_27merge_sort_block_merge_implIS3_N6thrust23THRUST_200600_302600_NS6detail15normal_iteratorINS9_10device_ptrIxEEEEPS5_m11less_div_10IxEEE10hipError_tT0_T1_T2_jT3_P12ihipStream_tbPNSt15iterator_traitsISJ_E10value_typeEPNSP_ISK_E10value_typeEPSL_NS1_7vsmem_tEENKUlT_SJ_SK_SL_E_clISE_PxSF_SF_EESI_SY_SJ_SK_SL_EUlSY_E0_NS1_11comp_targetILNS1_3genE5ELNS1_11target_archE942ELNS1_3gpuE9ELNS1_3repE0EEENS1_38merge_mergepath_config_static_selectorELNS0_4arch9wavefront6targetE0EEEvSK_
		.amdhsa_group_segment_fixed_size 0
		.amdhsa_private_segment_fixed_size 0
		.amdhsa_kernarg_size 72
		.amdhsa_user_sgpr_count 6
		.amdhsa_user_sgpr_private_segment_buffer 1
		.amdhsa_user_sgpr_dispatch_ptr 0
		.amdhsa_user_sgpr_queue_ptr 0
		.amdhsa_user_sgpr_kernarg_segment_ptr 1
		.amdhsa_user_sgpr_dispatch_id 0
		.amdhsa_user_sgpr_flat_scratch_init 0
		.amdhsa_user_sgpr_private_segment_size 0
		.amdhsa_wavefront_size32 1
		.amdhsa_uses_dynamic_stack 0
		.amdhsa_system_sgpr_private_segment_wavefront_offset 0
		.amdhsa_system_sgpr_workgroup_id_x 1
		.amdhsa_system_sgpr_workgroup_id_y 0
		.amdhsa_system_sgpr_workgroup_id_z 0
		.amdhsa_system_sgpr_workgroup_info 0
		.amdhsa_system_vgpr_workitem_id 0
		.amdhsa_next_free_vgpr 1
		.amdhsa_next_free_sgpr 1
		.amdhsa_reserve_vcc 0
		.amdhsa_reserve_flat_scratch 0
		.amdhsa_float_round_mode_32 0
		.amdhsa_float_round_mode_16_64 0
		.amdhsa_float_denorm_mode_32 3
		.amdhsa_float_denorm_mode_16_64 3
		.amdhsa_dx10_clamp 1
		.amdhsa_ieee_mode 1
		.amdhsa_fp16_overflow 0
		.amdhsa_workgroup_processor_mode 1
		.amdhsa_memory_ordered 1
		.amdhsa_forward_progress 1
		.amdhsa_shared_vgpr_count 0
		.amdhsa_exception_fp_ieee_invalid_op 0
		.amdhsa_exception_fp_denorm_src 0
		.amdhsa_exception_fp_ieee_div_zero 0
		.amdhsa_exception_fp_ieee_overflow 0
		.amdhsa_exception_fp_ieee_underflow 0
		.amdhsa_exception_fp_ieee_inexact 0
		.amdhsa_exception_int_div_zero 0
	.end_amdhsa_kernel
	.section	.text._ZN7rocprim17ROCPRIM_400000_NS6detail17trampoline_kernelINS0_14default_configENS1_38merge_sort_block_merge_config_selectorIxNS0_10empty_typeEEEZZNS1_27merge_sort_block_merge_implIS3_N6thrust23THRUST_200600_302600_NS6detail15normal_iteratorINS9_10device_ptrIxEEEEPS5_m11less_div_10IxEEE10hipError_tT0_T1_T2_jT3_P12ihipStream_tbPNSt15iterator_traitsISJ_E10value_typeEPNSP_ISK_E10value_typeEPSL_NS1_7vsmem_tEENKUlT_SJ_SK_SL_E_clISE_PxSF_SF_EESI_SY_SJ_SK_SL_EUlSY_E0_NS1_11comp_targetILNS1_3genE5ELNS1_11target_archE942ELNS1_3gpuE9ELNS1_3repE0EEENS1_38merge_mergepath_config_static_selectorELNS0_4arch9wavefront6targetE0EEEvSK_,"axG",@progbits,_ZN7rocprim17ROCPRIM_400000_NS6detail17trampoline_kernelINS0_14default_configENS1_38merge_sort_block_merge_config_selectorIxNS0_10empty_typeEEEZZNS1_27merge_sort_block_merge_implIS3_N6thrust23THRUST_200600_302600_NS6detail15normal_iteratorINS9_10device_ptrIxEEEEPS5_m11less_div_10IxEEE10hipError_tT0_T1_T2_jT3_P12ihipStream_tbPNSt15iterator_traitsISJ_E10value_typeEPNSP_ISK_E10value_typeEPSL_NS1_7vsmem_tEENKUlT_SJ_SK_SL_E_clISE_PxSF_SF_EESI_SY_SJ_SK_SL_EUlSY_E0_NS1_11comp_targetILNS1_3genE5ELNS1_11target_archE942ELNS1_3gpuE9ELNS1_3repE0EEENS1_38merge_mergepath_config_static_selectorELNS0_4arch9wavefront6targetE0EEEvSK_,comdat
.Lfunc_end370:
	.size	_ZN7rocprim17ROCPRIM_400000_NS6detail17trampoline_kernelINS0_14default_configENS1_38merge_sort_block_merge_config_selectorIxNS0_10empty_typeEEEZZNS1_27merge_sort_block_merge_implIS3_N6thrust23THRUST_200600_302600_NS6detail15normal_iteratorINS9_10device_ptrIxEEEEPS5_m11less_div_10IxEEE10hipError_tT0_T1_T2_jT3_P12ihipStream_tbPNSt15iterator_traitsISJ_E10value_typeEPNSP_ISK_E10value_typeEPSL_NS1_7vsmem_tEENKUlT_SJ_SK_SL_E_clISE_PxSF_SF_EESI_SY_SJ_SK_SL_EUlSY_E0_NS1_11comp_targetILNS1_3genE5ELNS1_11target_archE942ELNS1_3gpuE9ELNS1_3repE0EEENS1_38merge_mergepath_config_static_selectorELNS0_4arch9wavefront6targetE0EEEvSK_, .Lfunc_end370-_ZN7rocprim17ROCPRIM_400000_NS6detail17trampoline_kernelINS0_14default_configENS1_38merge_sort_block_merge_config_selectorIxNS0_10empty_typeEEEZZNS1_27merge_sort_block_merge_implIS3_N6thrust23THRUST_200600_302600_NS6detail15normal_iteratorINS9_10device_ptrIxEEEEPS5_m11less_div_10IxEEE10hipError_tT0_T1_T2_jT3_P12ihipStream_tbPNSt15iterator_traitsISJ_E10value_typeEPNSP_ISK_E10value_typeEPSL_NS1_7vsmem_tEENKUlT_SJ_SK_SL_E_clISE_PxSF_SF_EESI_SY_SJ_SK_SL_EUlSY_E0_NS1_11comp_targetILNS1_3genE5ELNS1_11target_archE942ELNS1_3gpuE9ELNS1_3repE0EEENS1_38merge_mergepath_config_static_selectorELNS0_4arch9wavefront6targetE0EEEvSK_
                                        ; -- End function
	.set _ZN7rocprim17ROCPRIM_400000_NS6detail17trampoline_kernelINS0_14default_configENS1_38merge_sort_block_merge_config_selectorIxNS0_10empty_typeEEEZZNS1_27merge_sort_block_merge_implIS3_N6thrust23THRUST_200600_302600_NS6detail15normal_iteratorINS9_10device_ptrIxEEEEPS5_m11less_div_10IxEEE10hipError_tT0_T1_T2_jT3_P12ihipStream_tbPNSt15iterator_traitsISJ_E10value_typeEPNSP_ISK_E10value_typeEPSL_NS1_7vsmem_tEENKUlT_SJ_SK_SL_E_clISE_PxSF_SF_EESI_SY_SJ_SK_SL_EUlSY_E0_NS1_11comp_targetILNS1_3genE5ELNS1_11target_archE942ELNS1_3gpuE9ELNS1_3repE0EEENS1_38merge_mergepath_config_static_selectorELNS0_4arch9wavefront6targetE0EEEvSK_.num_vgpr, 0
	.set _ZN7rocprim17ROCPRIM_400000_NS6detail17trampoline_kernelINS0_14default_configENS1_38merge_sort_block_merge_config_selectorIxNS0_10empty_typeEEEZZNS1_27merge_sort_block_merge_implIS3_N6thrust23THRUST_200600_302600_NS6detail15normal_iteratorINS9_10device_ptrIxEEEEPS5_m11less_div_10IxEEE10hipError_tT0_T1_T2_jT3_P12ihipStream_tbPNSt15iterator_traitsISJ_E10value_typeEPNSP_ISK_E10value_typeEPSL_NS1_7vsmem_tEENKUlT_SJ_SK_SL_E_clISE_PxSF_SF_EESI_SY_SJ_SK_SL_EUlSY_E0_NS1_11comp_targetILNS1_3genE5ELNS1_11target_archE942ELNS1_3gpuE9ELNS1_3repE0EEENS1_38merge_mergepath_config_static_selectorELNS0_4arch9wavefront6targetE0EEEvSK_.num_agpr, 0
	.set _ZN7rocprim17ROCPRIM_400000_NS6detail17trampoline_kernelINS0_14default_configENS1_38merge_sort_block_merge_config_selectorIxNS0_10empty_typeEEEZZNS1_27merge_sort_block_merge_implIS3_N6thrust23THRUST_200600_302600_NS6detail15normal_iteratorINS9_10device_ptrIxEEEEPS5_m11less_div_10IxEEE10hipError_tT0_T1_T2_jT3_P12ihipStream_tbPNSt15iterator_traitsISJ_E10value_typeEPNSP_ISK_E10value_typeEPSL_NS1_7vsmem_tEENKUlT_SJ_SK_SL_E_clISE_PxSF_SF_EESI_SY_SJ_SK_SL_EUlSY_E0_NS1_11comp_targetILNS1_3genE5ELNS1_11target_archE942ELNS1_3gpuE9ELNS1_3repE0EEENS1_38merge_mergepath_config_static_selectorELNS0_4arch9wavefront6targetE0EEEvSK_.numbered_sgpr, 0
	.set _ZN7rocprim17ROCPRIM_400000_NS6detail17trampoline_kernelINS0_14default_configENS1_38merge_sort_block_merge_config_selectorIxNS0_10empty_typeEEEZZNS1_27merge_sort_block_merge_implIS3_N6thrust23THRUST_200600_302600_NS6detail15normal_iteratorINS9_10device_ptrIxEEEEPS5_m11less_div_10IxEEE10hipError_tT0_T1_T2_jT3_P12ihipStream_tbPNSt15iterator_traitsISJ_E10value_typeEPNSP_ISK_E10value_typeEPSL_NS1_7vsmem_tEENKUlT_SJ_SK_SL_E_clISE_PxSF_SF_EESI_SY_SJ_SK_SL_EUlSY_E0_NS1_11comp_targetILNS1_3genE5ELNS1_11target_archE942ELNS1_3gpuE9ELNS1_3repE0EEENS1_38merge_mergepath_config_static_selectorELNS0_4arch9wavefront6targetE0EEEvSK_.num_named_barrier, 0
	.set _ZN7rocprim17ROCPRIM_400000_NS6detail17trampoline_kernelINS0_14default_configENS1_38merge_sort_block_merge_config_selectorIxNS0_10empty_typeEEEZZNS1_27merge_sort_block_merge_implIS3_N6thrust23THRUST_200600_302600_NS6detail15normal_iteratorINS9_10device_ptrIxEEEEPS5_m11less_div_10IxEEE10hipError_tT0_T1_T2_jT3_P12ihipStream_tbPNSt15iterator_traitsISJ_E10value_typeEPNSP_ISK_E10value_typeEPSL_NS1_7vsmem_tEENKUlT_SJ_SK_SL_E_clISE_PxSF_SF_EESI_SY_SJ_SK_SL_EUlSY_E0_NS1_11comp_targetILNS1_3genE5ELNS1_11target_archE942ELNS1_3gpuE9ELNS1_3repE0EEENS1_38merge_mergepath_config_static_selectorELNS0_4arch9wavefront6targetE0EEEvSK_.private_seg_size, 0
	.set _ZN7rocprim17ROCPRIM_400000_NS6detail17trampoline_kernelINS0_14default_configENS1_38merge_sort_block_merge_config_selectorIxNS0_10empty_typeEEEZZNS1_27merge_sort_block_merge_implIS3_N6thrust23THRUST_200600_302600_NS6detail15normal_iteratorINS9_10device_ptrIxEEEEPS5_m11less_div_10IxEEE10hipError_tT0_T1_T2_jT3_P12ihipStream_tbPNSt15iterator_traitsISJ_E10value_typeEPNSP_ISK_E10value_typeEPSL_NS1_7vsmem_tEENKUlT_SJ_SK_SL_E_clISE_PxSF_SF_EESI_SY_SJ_SK_SL_EUlSY_E0_NS1_11comp_targetILNS1_3genE5ELNS1_11target_archE942ELNS1_3gpuE9ELNS1_3repE0EEENS1_38merge_mergepath_config_static_selectorELNS0_4arch9wavefront6targetE0EEEvSK_.uses_vcc, 0
	.set _ZN7rocprim17ROCPRIM_400000_NS6detail17trampoline_kernelINS0_14default_configENS1_38merge_sort_block_merge_config_selectorIxNS0_10empty_typeEEEZZNS1_27merge_sort_block_merge_implIS3_N6thrust23THRUST_200600_302600_NS6detail15normal_iteratorINS9_10device_ptrIxEEEEPS5_m11less_div_10IxEEE10hipError_tT0_T1_T2_jT3_P12ihipStream_tbPNSt15iterator_traitsISJ_E10value_typeEPNSP_ISK_E10value_typeEPSL_NS1_7vsmem_tEENKUlT_SJ_SK_SL_E_clISE_PxSF_SF_EESI_SY_SJ_SK_SL_EUlSY_E0_NS1_11comp_targetILNS1_3genE5ELNS1_11target_archE942ELNS1_3gpuE9ELNS1_3repE0EEENS1_38merge_mergepath_config_static_selectorELNS0_4arch9wavefront6targetE0EEEvSK_.uses_flat_scratch, 0
	.set _ZN7rocprim17ROCPRIM_400000_NS6detail17trampoline_kernelINS0_14default_configENS1_38merge_sort_block_merge_config_selectorIxNS0_10empty_typeEEEZZNS1_27merge_sort_block_merge_implIS3_N6thrust23THRUST_200600_302600_NS6detail15normal_iteratorINS9_10device_ptrIxEEEEPS5_m11less_div_10IxEEE10hipError_tT0_T1_T2_jT3_P12ihipStream_tbPNSt15iterator_traitsISJ_E10value_typeEPNSP_ISK_E10value_typeEPSL_NS1_7vsmem_tEENKUlT_SJ_SK_SL_E_clISE_PxSF_SF_EESI_SY_SJ_SK_SL_EUlSY_E0_NS1_11comp_targetILNS1_3genE5ELNS1_11target_archE942ELNS1_3gpuE9ELNS1_3repE0EEENS1_38merge_mergepath_config_static_selectorELNS0_4arch9wavefront6targetE0EEEvSK_.has_dyn_sized_stack, 0
	.set _ZN7rocprim17ROCPRIM_400000_NS6detail17trampoline_kernelINS0_14default_configENS1_38merge_sort_block_merge_config_selectorIxNS0_10empty_typeEEEZZNS1_27merge_sort_block_merge_implIS3_N6thrust23THRUST_200600_302600_NS6detail15normal_iteratorINS9_10device_ptrIxEEEEPS5_m11less_div_10IxEEE10hipError_tT0_T1_T2_jT3_P12ihipStream_tbPNSt15iterator_traitsISJ_E10value_typeEPNSP_ISK_E10value_typeEPSL_NS1_7vsmem_tEENKUlT_SJ_SK_SL_E_clISE_PxSF_SF_EESI_SY_SJ_SK_SL_EUlSY_E0_NS1_11comp_targetILNS1_3genE5ELNS1_11target_archE942ELNS1_3gpuE9ELNS1_3repE0EEENS1_38merge_mergepath_config_static_selectorELNS0_4arch9wavefront6targetE0EEEvSK_.has_recursion, 0
	.set _ZN7rocprim17ROCPRIM_400000_NS6detail17trampoline_kernelINS0_14default_configENS1_38merge_sort_block_merge_config_selectorIxNS0_10empty_typeEEEZZNS1_27merge_sort_block_merge_implIS3_N6thrust23THRUST_200600_302600_NS6detail15normal_iteratorINS9_10device_ptrIxEEEEPS5_m11less_div_10IxEEE10hipError_tT0_T1_T2_jT3_P12ihipStream_tbPNSt15iterator_traitsISJ_E10value_typeEPNSP_ISK_E10value_typeEPSL_NS1_7vsmem_tEENKUlT_SJ_SK_SL_E_clISE_PxSF_SF_EESI_SY_SJ_SK_SL_EUlSY_E0_NS1_11comp_targetILNS1_3genE5ELNS1_11target_archE942ELNS1_3gpuE9ELNS1_3repE0EEENS1_38merge_mergepath_config_static_selectorELNS0_4arch9wavefront6targetE0EEEvSK_.has_indirect_call, 0
	.section	.AMDGPU.csdata,"",@progbits
; Kernel info:
; codeLenInByte = 0
; TotalNumSgprs: 0
; NumVgprs: 0
; ScratchSize: 0
; MemoryBound: 0
; FloatMode: 240
; IeeeMode: 1
; LDSByteSize: 0 bytes/workgroup (compile time only)
; SGPRBlocks: 0
; VGPRBlocks: 0
; NumSGPRsForWavesPerEU: 1
; NumVGPRsForWavesPerEU: 1
; Occupancy: 16
; WaveLimiterHint : 0
; COMPUTE_PGM_RSRC2:SCRATCH_EN: 0
; COMPUTE_PGM_RSRC2:USER_SGPR: 6
; COMPUTE_PGM_RSRC2:TRAP_HANDLER: 0
; COMPUTE_PGM_RSRC2:TGID_X_EN: 1
; COMPUTE_PGM_RSRC2:TGID_Y_EN: 0
; COMPUTE_PGM_RSRC2:TGID_Z_EN: 0
; COMPUTE_PGM_RSRC2:TIDIG_COMP_CNT: 0
	.section	.text._ZN7rocprim17ROCPRIM_400000_NS6detail17trampoline_kernelINS0_14default_configENS1_38merge_sort_block_merge_config_selectorIxNS0_10empty_typeEEEZZNS1_27merge_sort_block_merge_implIS3_N6thrust23THRUST_200600_302600_NS6detail15normal_iteratorINS9_10device_ptrIxEEEEPS5_m11less_div_10IxEEE10hipError_tT0_T1_T2_jT3_P12ihipStream_tbPNSt15iterator_traitsISJ_E10value_typeEPNSP_ISK_E10value_typeEPSL_NS1_7vsmem_tEENKUlT_SJ_SK_SL_E_clISE_PxSF_SF_EESI_SY_SJ_SK_SL_EUlSY_E0_NS1_11comp_targetILNS1_3genE4ELNS1_11target_archE910ELNS1_3gpuE8ELNS1_3repE0EEENS1_38merge_mergepath_config_static_selectorELNS0_4arch9wavefront6targetE0EEEvSK_,"axG",@progbits,_ZN7rocprim17ROCPRIM_400000_NS6detail17trampoline_kernelINS0_14default_configENS1_38merge_sort_block_merge_config_selectorIxNS0_10empty_typeEEEZZNS1_27merge_sort_block_merge_implIS3_N6thrust23THRUST_200600_302600_NS6detail15normal_iteratorINS9_10device_ptrIxEEEEPS5_m11less_div_10IxEEE10hipError_tT0_T1_T2_jT3_P12ihipStream_tbPNSt15iterator_traitsISJ_E10value_typeEPNSP_ISK_E10value_typeEPSL_NS1_7vsmem_tEENKUlT_SJ_SK_SL_E_clISE_PxSF_SF_EESI_SY_SJ_SK_SL_EUlSY_E0_NS1_11comp_targetILNS1_3genE4ELNS1_11target_archE910ELNS1_3gpuE8ELNS1_3repE0EEENS1_38merge_mergepath_config_static_selectorELNS0_4arch9wavefront6targetE0EEEvSK_,comdat
	.protected	_ZN7rocprim17ROCPRIM_400000_NS6detail17trampoline_kernelINS0_14default_configENS1_38merge_sort_block_merge_config_selectorIxNS0_10empty_typeEEEZZNS1_27merge_sort_block_merge_implIS3_N6thrust23THRUST_200600_302600_NS6detail15normal_iteratorINS9_10device_ptrIxEEEEPS5_m11less_div_10IxEEE10hipError_tT0_T1_T2_jT3_P12ihipStream_tbPNSt15iterator_traitsISJ_E10value_typeEPNSP_ISK_E10value_typeEPSL_NS1_7vsmem_tEENKUlT_SJ_SK_SL_E_clISE_PxSF_SF_EESI_SY_SJ_SK_SL_EUlSY_E0_NS1_11comp_targetILNS1_3genE4ELNS1_11target_archE910ELNS1_3gpuE8ELNS1_3repE0EEENS1_38merge_mergepath_config_static_selectorELNS0_4arch9wavefront6targetE0EEEvSK_ ; -- Begin function _ZN7rocprim17ROCPRIM_400000_NS6detail17trampoline_kernelINS0_14default_configENS1_38merge_sort_block_merge_config_selectorIxNS0_10empty_typeEEEZZNS1_27merge_sort_block_merge_implIS3_N6thrust23THRUST_200600_302600_NS6detail15normal_iteratorINS9_10device_ptrIxEEEEPS5_m11less_div_10IxEEE10hipError_tT0_T1_T2_jT3_P12ihipStream_tbPNSt15iterator_traitsISJ_E10value_typeEPNSP_ISK_E10value_typeEPSL_NS1_7vsmem_tEENKUlT_SJ_SK_SL_E_clISE_PxSF_SF_EESI_SY_SJ_SK_SL_EUlSY_E0_NS1_11comp_targetILNS1_3genE4ELNS1_11target_archE910ELNS1_3gpuE8ELNS1_3repE0EEENS1_38merge_mergepath_config_static_selectorELNS0_4arch9wavefront6targetE0EEEvSK_
	.globl	_ZN7rocprim17ROCPRIM_400000_NS6detail17trampoline_kernelINS0_14default_configENS1_38merge_sort_block_merge_config_selectorIxNS0_10empty_typeEEEZZNS1_27merge_sort_block_merge_implIS3_N6thrust23THRUST_200600_302600_NS6detail15normal_iteratorINS9_10device_ptrIxEEEEPS5_m11less_div_10IxEEE10hipError_tT0_T1_T2_jT3_P12ihipStream_tbPNSt15iterator_traitsISJ_E10value_typeEPNSP_ISK_E10value_typeEPSL_NS1_7vsmem_tEENKUlT_SJ_SK_SL_E_clISE_PxSF_SF_EESI_SY_SJ_SK_SL_EUlSY_E0_NS1_11comp_targetILNS1_3genE4ELNS1_11target_archE910ELNS1_3gpuE8ELNS1_3repE0EEENS1_38merge_mergepath_config_static_selectorELNS0_4arch9wavefront6targetE0EEEvSK_
	.p2align	8
	.type	_ZN7rocprim17ROCPRIM_400000_NS6detail17trampoline_kernelINS0_14default_configENS1_38merge_sort_block_merge_config_selectorIxNS0_10empty_typeEEEZZNS1_27merge_sort_block_merge_implIS3_N6thrust23THRUST_200600_302600_NS6detail15normal_iteratorINS9_10device_ptrIxEEEEPS5_m11less_div_10IxEEE10hipError_tT0_T1_T2_jT3_P12ihipStream_tbPNSt15iterator_traitsISJ_E10value_typeEPNSP_ISK_E10value_typeEPSL_NS1_7vsmem_tEENKUlT_SJ_SK_SL_E_clISE_PxSF_SF_EESI_SY_SJ_SK_SL_EUlSY_E0_NS1_11comp_targetILNS1_3genE4ELNS1_11target_archE910ELNS1_3gpuE8ELNS1_3repE0EEENS1_38merge_mergepath_config_static_selectorELNS0_4arch9wavefront6targetE0EEEvSK_,@function
_ZN7rocprim17ROCPRIM_400000_NS6detail17trampoline_kernelINS0_14default_configENS1_38merge_sort_block_merge_config_selectorIxNS0_10empty_typeEEEZZNS1_27merge_sort_block_merge_implIS3_N6thrust23THRUST_200600_302600_NS6detail15normal_iteratorINS9_10device_ptrIxEEEEPS5_m11less_div_10IxEEE10hipError_tT0_T1_T2_jT3_P12ihipStream_tbPNSt15iterator_traitsISJ_E10value_typeEPNSP_ISK_E10value_typeEPSL_NS1_7vsmem_tEENKUlT_SJ_SK_SL_E_clISE_PxSF_SF_EESI_SY_SJ_SK_SL_EUlSY_E0_NS1_11comp_targetILNS1_3genE4ELNS1_11target_archE910ELNS1_3gpuE8ELNS1_3repE0EEENS1_38merge_mergepath_config_static_selectorELNS0_4arch9wavefront6targetE0EEEvSK_: ; @_ZN7rocprim17ROCPRIM_400000_NS6detail17trampoline_kernelINS0_14default_configENS1_38merge_sort_block_merge_config_selectorIxNS0_10empty_typeEEEZZNS1_27merge_sort_block_merge_implIS3_N6thrust23THRUST_200600_302600_NS6detail15normal_iteratorINS9_10device_ptrIxEEEEPS5_m11less_div_10IxEEE10hipError_tT0_T1_T2_jT3_P12ihipStream_tbPNSt15iterator_traitsISJ_E10value_typeEPNSP_ISK_E10value_typeEPSL_NS1_7vsmem_tEENKUlT_SJ_SK_SL_E_clISE_PxSF_SF_EESI_SY_SJ_SK_SL_EUlSY_E0_NS1_11comp_targetILNS1_3genE4ELNS1_11target_archE910ELNS1_3gpuE8ELNS1_3repE0EEENS1_38merge_mergepath_config_static_selectorELNS0_4arch9wavefront6targetE0EEEvSK_
; %bb.0:
	.section	.rodata,"a",@progbits
	.p2align	6, 0x0
	.amdhsa_kernel _ZN7rocprim17ROCPRIM_400000_NS6detail17trampoline_kernelINS0_14default_configENS1_38merge_sort_block_merge_config_selectorIxNS0_10empty_typeEEEZZNS1_27merge_sort_block_merge_implIS3_N6thrust23THRUST_200600_302600_NS6detail15normal_iteratorINS9_10device_ptrIxEEEEPS5_m11less_div_10IxEEE10hipError_tT0_T1_T2_jT3_P12ihipStream_tbPNSt15iterator_traitsISJ_E10value_typeEPNSP_ISK_E10value_typeEPSL_NS1_7vsmem_tEENKUlT_SJ_SK_SL_E_clISE_PxSF_SF_EESI_SY_SJ_SK_SL_EUlSY_E0_NS1_11comp_targetILNS1_3genE4ELNS1_11target_archE910ELNS1_3gpuE8ELNS1_3repE0EEENS1_38merge_mergepath_config_static_selectorELNS0_4arch9wavefront6targetE0EEEvSK_
		.amdhsa_group_segment_fixed_size 0
		.amdhsa_private_segment_fixed_size 0
		.amdhsa_kernarg_size 72
		.amdhsa_user_sgpr_count 6
		.amdhsa_user_sgpr_private_segment_buffer 1
		.amdhsa_user_sgpr_dispatch_ptr 0
		.amdhsa_user_sgpr_queue_ptr 0
		.amdhsa_user_sgpr_kernarg_segment_ptr 1
		.amdhsa_user_sgpr_dispatch_id 0
		.amdhsa_user_sgpr_flat_scratch_init 0
		.amdhsa_user_sgpr_private_segment_size 0
		.amdhsa_wavefront_size32 1
		.amdhsa_uses_dynamic_stack 0
		.amdhsa_system_sgpr_private_segment_wavefront_offset 0
		.amdhsa_system_sgpr_workgroup_id_x 1
		.amdhsa_system_sgpr_workgroup_id_y 0
		.amdhsa_system_sgpr_workgroup_id_z 0
		.amdhsa_system_sgpr_workgroup_info 0
		.amdhsa_system_vgpr_workitem_id 0
		.amdhsa_next_free_vgpr 1
		.amdhsa_next_free_sgpr 1
		.amdhsa_reserve_vcc 0
		.amdhsa_reserve_flat_scratch 0
		.amdhsa_float_round_mode_32 0
		.amdhsa_float_round_mode_16_64 0
		.amdhsa_float_denorm_mode_32 3
		.amdhsa_float_denorm_mode_16_64 3
		.amdhsa_dx10_clamp 1
		.amdhsa_ieee_mode 1
		.amdhsa_fp16_overflow 0
		.amdhsa_workgroup_processor_mode 1
		.amdhsa_memory_ordered 1
		.amdhsa_forward_progress 1
		.amdhsa_shared_vgpr_count 0
		.amdhsa_exception_fp_ieee_invalid_op 0
		.amdhsa_exception_fp_denorm_src 0
		.amdhsa_exception_fp_ieee_div_zero 0
		.amdhsa_exception_fp_ieee_overflow 0
		.amdhsa_exception_fp_ieee_underflow 0
		.amdhsa_exception_fp_ieee_inexact 0
		.amdhsa_exception_int_div_zero 0
	.end_amdhsa_kernel
	.section	.text._ZN7rocprim17ROCPRIM_400000_NS6detail17trampoline_kernelINS0_14default_configENS1_38merge_sort_block_merge_config_selectorIxNS0_10empty_typeEEEZZNS1_27merge_sort_block_merge_implIS3_N6thrust23THRUST_200600_302600_NS6detail15normal_iteratorINS9_10device_ptrIxEEEEPS5_m11less_div_10IxEEE10hipError_tT0_T1_T2_jT3_P12ihipStream_tbPNSt15iterator_traitsISJ_E10value_typeEPNSP_ISK_E10value_typeEPSL_NS1_7vsmem_tEENKUlT_SJ_SK_SL_E_clISE_PxSF_SF_EESI_SY_SJ_SK_SL_EUlSY_E0_NS1_11comp_targetILNS1_3genE4ELNS1_11target_archE910ELNS1_3gpuE8ELNS1_3repE0EEENS1_38merge_mergepath_config_static_selectorELNS0_4arch9wavefront6targetE0EEEvSK_,"axG",@progbits,_ZN7rocprim17ROCPRIM_400000_NS6detail17trampoline_kernelINS0_14default_configENS1_38merge_sort_block_merge_config_selectorIxNS0_10empty_typeEEEZZNS1_27merge_sort_block_merge_implIS3_N6thrust23THRUST_200600_302600_NS6detail15normal_iteratorINS9_10device_ptrIxEEEEPS5_m11less_div_10IxEEE10hipError_tT0_T1_T2_jT3_P12ihipStream_tbPNSt15iterator_traitsISJ_E10value_typeEPNSP_ISK_E10value_typeEPSL_NS1_7vsmem_tEENKUlT_SJ_SK_SL_E_clISE_PxSF_SF_EESI_SY_SJ_SK_SL_EUlSY_E0_NS1_11comp_targetILNS1_3genE4ELNS1_11target_archE910ELNS1_3gpuE8ELNS1_3repE0EEENS1_38merge_mergepath_config_static_selectorELNS0_4arch9wavefront6targetE0EEEvSK_,comdat
.Lfunc_end371:
	.size	_ZN7rocprim17ROCPRIM_400000_NS6detail17trampoline_kernelINS0_14default_configENS1_38merge_sort_block_merge_config_selectorIxNS0_10empty_typeEEEZZNS1_27merge_sort_block_merge_implIS3_N6thrust23THRUST_200600_302600_NS6detail15normal_iteratorINS9_10device_ptrIxEEEEPS5_m11less_div_10IxEEE10hipError_tT0_T1_T2_jT3_P12ihipStream_tbPNSt15iterator_traitsISJ_E10value_typeEPNSP_ISK_E10value_typeEPSL_NS1_7vsmem_tEENKUlT_SJ_SK_SL_E_clISE_PxSF_SF_EESI_SY_SJ_SK_SL_EUlSY_E0_NS1_11comp_targetILNS1_3genE4ELNS1_11target_archE910ELNS1_3gpuE8ELNS1_3repE0EEENS1_38merge_mergepath_config_static_selectorELNS0_4arch9wavefront6targetE0EEEvSK_, .Lfunc_end371-_ZN7rocprim17ROCPRIM_400000_NS6detail17trampoline_kernelINS0_14default_configENS1_38merge_sort_block_merge_config_selectorIxNS0_10empty_typeEEEZZNS1_27merge_sort_block_merge_implIS3_N6thrust23THRUST_200600_302600_NS6detail15normal_iteratorINS9_10device_ptrIxEEEEPS5_m11less_div_10IxEEE10hipError_tT0_T1_T2_jT3_P12ihipStream_tbPNSt15iterator_traitsISJ_E10value_typeEPNSP_ISK_E10value_typeEPSL_NS1_7vsmem_tEENKUlT_SJ_SK_SL_E_clISE_PxSF_SF_EESI_SY_SJ_SK_SL_EUlSY_E0_NS1_11comp_targetILNS1_3genE4ELNS1_11target_archE910ELNS1_3gpuE8ELNS1_3repE0EEENS1_38merge_mergepath_config_static_selectorELNS0_4arch9wavefront6targetE0EEEvSK_
                                        ; -- End function
	.set _ZN7rocprim17ROCPRIM_400000_NS6detail17trampoline_kernelINS0_14default_configENS1_38merge_sort_block_merge_config_selectorIxNS0_10empty_typeEEEZZNS1_27merge_sort_block_merge_implIS3_N6thrust23THRUST_200600_302600_NS6detail15normal_iteratorINS9_10device_ptrIxEEEEPS5_m11less_div_10IxEEE10hipError_tT0_T1_T2_jT3_P12ihipStream_tbPNSt15iterator_traitsISJ_E10value_typeEPNSP_ISK_E10value_typeEPSL_NS1_7vsmem_tEENKUlT_SJ_SK_SL_E_clISE_PxSF_SF_EESI_SY_SJ_SK_SL_EUlSY_E0_NS1_11comp_targetILNS1_3genE4ELNS1_11target_archE910ELNS1_3gpuE8ELNS1_3repE0EEENS1_38merge_mergepath_config_static_selectorELNS0_4arch9wavefront6targetE0EEEvSK_.num_vgpr, 0
	.set _ZN7rocprim17ROCPRIM_400000_NS6detail17trampoline_kernelINS0_14default_configENS1_38merge_sort_block_merge_config_selectorIxNS0_10empty_typeEEEZZNS1_27merge_sort_block_merge_implIS3_N6thrust23THRUST_200600_302600_NS6detail15normal_iteratorINS9_10device_ptrIxEEEEPS5_m11less_div_10IxEEE10hipError_tT0_T1_T2_jT3_P12ihipStream_tbPNSt15iterator_traitsISJ_E10value_typeEPNSP_ISK_E10value_typeEPSL_NS1_7vsmem_tEENKUlT_SJ_SK_SL_E_clISE_PxSF_SF_EESI_SY_SJ_SK_SL_EUlSY_E0_NS1_11comp_targetILNS1_3genE4ELNS1_11target_archE910ELNS1_3gpuE8ELNS1_3repE0EEENS1_38merge_mergepath_config_static_selectorELNS0_4arch9wavefront6targetE0EEEvSK_.num_agpr, 0
	.set _ZN7rocprim17ROCPRIM_400000_NS6detail17trampoline_kernelINS0_14default_configENS1_38merge_sort_block_merge_config_selectorIxNS0_10empty_typeEEEZZNS1_27merge_sort_block_merge_implIS3_N6thrust23THRUST_200600_302600_NS6detail15normal_iteratorINS9_10device_ptrIxEEEEPS5_m11less_div_10IxEEE10hipError_tT0_T1_T2_jT3_P12ihipStream_tbPNSt15iterator_traitsISJ_E10value_typeEPNSP_ISK_E10value_typeEPSL_NS1_7vsmem_tEENKUlT_SJ_SK_SL_E_clISE_PxSF_SF_EESI_SY_SJ_SK_SL_EUlSY_E0_NS1_11comp_targetILNS1_3genE4ELNS1_11target_archE910ELNS1_3gpuE8ELNS1_3repE0EEENS1_38merge_mergepath_config_static_selectorELNS0_4arch9wavefront6targetE0EEEvSK_.numbered_sgpr, 0
	.set _ZN7rocprim17ROCPRIM_400000_NS6detail17trampoline_kernelINS0_14default_configENS1_38merge_sort_block_merge_config_selectorIxNS0_10empty_typeEEEZZNS1_27merge_sort_block_merge_implIS3_N6thrust23THRUST_200600_302600_NS6detail15normal_iteratorINS9_10device_ptrIxEEEEPS5_m11less_div_10IxEEE10hipError_tT0_T1_T2_jT3_P12ihipStream_tbPNSt15iterator_traitsISJ_E10value_typeEPNSP_ISK_E10value_typeEPSL_NS1_7vsmem_tEENKUlT_SJ_SK_SL_E_clISE_PxSF_SF_EESI_SY_SJ_SK_SL_EUlSY_E0_NS1_11comp_targetILNS1_3genE4ELNS1_11target_archE910ELNS1_3gpuE8ELNS1_3repE0EEENS1_38merge_mergepath_config_static_selectorELNS0_4arch9wavefront6targetE0EEEvSK_.num_named_barrier, 0
	.set _ZN7rocprim17ROCPRIM_400000_NS6detail17trampoline_kernelINS0_14default_configENS1_38merge_sort_block_merge_config_selectorIxNS0_10empty_typeEEEZZNS1_27merge_sort_block_merge_implIS3_N6thrust23THRUST_200600_302600_NS6detail15normal_iteratorINS9_10device_ptrIxEEEEPS5_m11less_div_10IxEEE10hipError_tT0_T1_T2_jT3_P12ihipStream_tbPNSt15iterator_traitsISJ_E10value_typeEPNSP_ISK_E10value_typeEPSL_NS1_7vsmem_tEENKUlT_SJ_SK_SL_E_clISE_PxSF_SF_EESI_SY_SJ_SK_SL_EUlSY_E0_NS1_11comp_targetILNS1_3genE4ELNS1_11target_archE910ELNS1_3gpuE8ELNS1_3repE0EEENS1_38merge_mergepath_config_static_selectorELNS0_4arch9wavefront6targetE0EEEvSK_.private_seg_size, 0
	.set _ZN7rocprim17ROCPRIM_400000_NS6detail17trampoline_kernelINS0_14default_configENS1_38merge_sort_block_merge_config_selectorIxNS0_10empty_typeEEEZZNS1_27merge_sort_block_merge_implIS3_N6thrust23THRUST_200600_302600_NS6detail15normal_iteratorINS9_10device_ptrIxEEEEPS5_m11less_div_10IxEEE10hipError_tT0_T1_T2_jT3_P12ihipStream_tbPNSt15iterator_traitsISJ_E10value_typeEPNSP_ISK_E10value_typeEPSL_NS1_7vsmem_tEENKUlT_SJ_SK_SL_E_clISE_PxSF_SF_EESI_SY_SJ_SK_SL_EUlSY_E0_NS1_11comp_targetILNS1_3genE4ELNS1_11target_archE910ELNS1_3gpuE8ELNS1_3repE0EEENS1_38merge_mergepath_config_static_selectorELNS0_4arch9wavefront6targetE0EEEvSK_.uses_vcc, 0
	.set _ZN7rocprim17ROCPRIM_400000_NS6detail17trampoline_kernelINS0_14default_configENS1_38merge_sort_block_merge_config_selectorIxNS0_10empty_typeEEEZZNS1_27merge_sort_block_merge_implIS3_N6thrust23THRUST_200600_302600_NS6detail15normal_iteratorINS9_10device_ptrIxEEEEPS5_m11less_div_10IxEEE10hipError_tT0_T1_T2_jT3_P12ihipStream_tbPNSt15iterator_traitsISJ_E10value_typeEPNSP_ISK_E10value_typeEPSL_NS1_7vsmem_tEENKUlT_SJ_SK_SL_E_clISE_PxSF_SF_EESI_SY_SJ_SK_SL_EUlSY_E0_NS1_11comp_targetILNS1_3genE4ELNS1_11target_archE910ELNS1_3gpuE8ELNS1_3repE0EEENS1_38merge_mergepath_config_static_selectorELNS0_4arch9wavefront6targetE0EEEvSK_.uses_flat_scratch, 0
	.set _ZN7rocprim17ROCPRIM_400000_NS6detail17trampoline_kernelINS0_14default_configENS1_38merge_sort_block_merge_config_selectorIxNS0_10empty_typeEEEZZNS1_27merge_sort_block_merge_implIS3_N6thrust23THRUST_200600_302600_NS6detail15normal_iteratorINS9_10device_ptrIxEEEEPS5_m11less_div_10IxEEE10hipError_tT0_T1_T2_jT3_P12ihipStream_tbPNSt15iterator_traitsISJ_E10value_typeEPNSP_ISK_E10value_typeEPSL_NS1_7vsmem_tEENKUlT_SJ_SK_SL_E_clISE_PxSF_SF_EESI_SY_SJ_SK_SL_EUlSY_E0_NS1_11comp_targetILNS1_3genE4ELNS1_11target_archE910ELNS1_3gpuE8ELNS1_3repE0EEENS1_38merge_mergepath_config_static_selectorELNS0_4arch9wavefront6targetE0EEEvSK_.has_dyn_sized_stack, 0
	.set _ZN7rocprim17ROCPRIM_400000_NS6detail17trampoline_kernelINS0_14default_configENS1_38merge_sort_block_merge_config_selectorIxNS0_10empty_typeEEEZZNS1_27merge_sort_block_merge_implIS3_N6thrust23THRUST_200600_302600_NS6detail15normal_iteratorINS9_10device_ptrIxEEEEPS5_m11less_div_10IxEEE10hipError_tT0_T1_T2_jT3_P12ihipStream_tbPNSt15iterator_traitsISJ_E10value_typeEPNSP_ISK_E10value_typeEPSL_NS1_7vsmem_tEENKUlT_SJ_SK_SL_E_clISE_PxSF_SF_EESI_SY_SJ_SK_SL_EUlSY_E0_NS1_11comp_targetILNS1_3genE4ELNS1_11target_archE910ELNS1_3gpuE8ELNS1_3repE0EEENS1_38merge_mergepath_config_static_selectorELNS0_4arch9wavefront6targetE0EEEvSK_.has_recursion, 0
	.set _ZN7rocprim17ROCPRIM_400000_NS6detail17trampoline_kernelINS0_14default_configENS1_38merge_sort_block_merge_config_selectorIxNS0_10empty_typeEEEZZNS1_27merge_sort_block_merge_implIS3_N6thrust23THRUST_200600_302600_NS6detail15normal_iteratorINS9_10device_ptrIxEEEEPS5_m11less_div_10IxEEE10hipError_tT0_T1_T2_jT3_P12ihipStream_tbPNSt15iterator_traitsISJ_E10value_typeEPNSP_ISK_E10value_typeEPSL_NS1_7vsmem_tEENKUlT_SJ_SK_SL_E_clISE_PxSF_SF_EESI_SY_SJ_SK_SL_EUlSY_E0_NS1_11comp_targetILNS1_3genE4ELNS1_11target_archE910ELNS1_3gpuE8ELNS1_3repE0EEENS1_38merge_mergepath_config_static_selectorELNS0_4arch9wavefront6targetE0EEEvSK_.has_indirect_call, 0
	.section	.AMDGPU.csdata,"",@progbits
; Kernel info:
; codeLenInByte = 0
; TotalNumSgprs: 0
; NumVgprs: 0
; ScratchSize: 0
; MemoryBound: 0
; FloatMode: 240
; IeeeMode: 1
; LDSByteSize: 0 bytes/workgroup (compile time only)
; SGPRBlocks: 0
; VGPRBlocks: 0
; NumSGPRsForWavesPerEU: 1
; NumVGPRsForWavesPerEU: 1
; Occupancy: 16
; WaveLimiterHint : 0
; COMPUTE_PGM_RSRC2:SCRATCH_EN: 0
; COMPUTE_PGM_RSRC2:USER_SGPR: 6
; COMPUTE_PGM_RSRC2:TRAP_HANDLER: 0
; COMPUTE_PGM_RSRC2:TGID_X_EN: 1
; COMPUTE_PGM_RSRC2:TGID_Y_EN: 0
; COMPUTE_PGM_RSRC2:TGID_Z_EN: 0
; COMPUTE_PGM_RSRC2:TIDIG_COMP_CNT: 0
	.section	.text._ZN7rocprim17ROCPRIM_400000_NS6detail17trampoline_kernelINS0_14default_configENS1_38merge_sort_block_merge_config_selectorIxNS0_10empty_typeEEEZZNS1_27merge_sort_block_merge_implIS3_N6thrust23THRUST_200600_302600_NS6detail15normal_iteratorINS9_10device_ptrIxEEEEPS5_m11less_div_10IxEEE10hipError_tT0_T1_T2_jT3_P12ihipStream_tbPNSt15iterator_traitsISJ_E10value_typeEPNSP_ISK_E10value_typeEPSL_NS1_7vsmem_tEENKUlT_SJ_SK_SL_E_clISE_PxSF_SF_EESI_SY_SJ_SK_SL_EUlSY_E0_NS1_11comp_targetILNS1_3genE3ELNS1_11target_archE908ELNS1_3gpuE7ELNS1_3repE0EEENS1_38merge_mergepath_config_static_selectorELNS0_4arch9wavefront6targetE0EEEvSK_,"axG",@progbits,_ZN7rocprim17ROCPRIM_400000_NS6detail17trampoline_kernelINS0_14default_configENS1_38merge_sort_block_merge_config_selectorIxNS0_10empty_typeEEEZZNS1_27merge_sort_block_merge_implIS3_N6thrust23THRUST_200600_302600_NS6detail15normal_iteratorINS9_10device_ptrIxEEEEPS5_m11less_div_10IxEEE10hipError_tT0_T1_T2_jT3_P12ihipStream_tbPNSt15iterator_traitsISJ_E10value_typeEPNSP_ISK_E10value_typeEPSL_NS1_7vsmem_tEENKUlT_SJ_SK_SL_E_clISE_PxSF_SF_EESI_SY_SJ_SK_SL_EUlSY_E0_NS1_11comp_targetILNS1_3genE3ELNS1_11target_archE908ELNS1_3gpuE7ELNS1_3repE0EEENS1_38merge_mergepath_config_static_selectorELNS0_4arch9wavefront6targetE0EEEvSK_,comdat
	.protected	_ZN7rocprim17ROCPRIM_400000_NS6detail17trampoline_kernelINS0_14default_configENS1_38merge_sort_block_merge_config_selectorIxNS0_10empty_typeEEEZZNS1_27merge_sort_block_merge_implIS3_N6thrust23THRUST_200600_302600_NS6detail15normal_iteratorINS9_10device_ptrIxEEEEPS5_m11less_div_10IxEEE10hipError_tT0_T1_T2_jT3_P12ihipStream_tbPNSt15iterator_traitsISJ_E10value_typeEPNSP_ISK_E10value_typeEPSL_NS1_7vsmem_tEENKUlT_SJ_SK_SL_E_clISE_PxSF_SF_EESI_SY_SJ_SK_SL_EUlSY_E0_NS1_11comp_targetILNS1_3genE3ELNS1_11target_archE908ELNS1_3gpuE7ELNS1_3repE0EEENS1_38merge_mergepath_config_static_selectorELNS0_4arch9wavefront6targetE0EEEvSK_ ; -- Begin function _ZN7rocprim17ROCPRIM_400000_NS6detail17trampoline_kernelINS0_14default_configENS1_38merge_sort_block_merge_config_selectorIxNS0_10empty_typeEEEZZNS1_27merge_sort_block_merge_implIS3_N6thrust23THRUST_200600_302600_NS6detail15normal_iteratorINS9_10device_ptrIxEEEEPS5_m11less_div_10IxEEE10hipError_tT0_T1_T2_jT3_P12ihipStream_tbPNSt15iterator_traitsISJ_E10value_typeEPNSP_ISK_E10value_typeEPSL_NS1_7vsmem_tEENKUlT_SJ_SK_SL_E_clISE_PxSF_SF_EESI_SY_SJ_SK_SL_EUlSY_E0_NS1_11comp_targetILNS1_3genE3ELNS1_11target_archE908ELNS1_3gpuE7ELNS1_3repE0EEENS1_38merge_mergepath_config_static_selectorELNS0_4arch9wavefront6targetE0EEEvSK_
	.globl	_ZN7rocprim17ROCPRIM_400000_NS6detail17trampoline_kernelINS0_14default_configENS1_38merge_sort_block_merge_config_selectorIxNS0_10empty_typeEEEZZNS1_27merge_sort_block_merge_implIS3_N6thrust23THRUST_200600_302600_NS6detail15normal_iteratorINS9_10device_ptrIxEEEEPS5_m11less_div_10IxEEE10hipError_tT0_T1_T2_jT3_P12ihipStream_tbPNSt15iterator_traitsISJ_E10value_typeEPNSP_ISK_E10value_typeEPSL_NS1_7vsmem_tEENKUlT_SJ_SK_SL_E_clISE_PxSF_SF_EESI_SY_SJ_SK_SL_EUlSY_E0_NS1_11comp_targetILNS1_3genE3ELNS1_11target_archE908ELNS1_3gpuE7ELNS1_3repE0EEENS1_38merge_mergepath_config_static_selectorELNS0_4arch9wavefront6targetE0EEEvSK_
	.p2align	8
	.type	_ZN7rocprim17ROCPRIM_400000_NS6detail17trampoline_kernelINS0_14default_configENS1_38merge_sort_block_merge_config_selectorIxNS0_10empty_typeEEEZZNS1_27merge_sort_block_merge_implIS3_N6thrust23THRUST_200600_302600_NS6detail15normal_iteratorINS9_10device_ptrIxEEEEPS5_m11less_div_10IxEEE10hipError_tT0_T1_T2_jT3_P12ihipStream_tbPNSt15iterator_traitsISJ_E10value_typeEPNSP_ISK_E10value_typeEPSL_NS1_7vsmem_tEENKUlT_SJ_SK_SL_E_clISE_PxSF_SF_EESI_SY_SJ_SK_SL_EUlSY_E0_NS1_11comp_targetILNS1_3genE3ELNS1_11target_archE908ELNS1_3gpuE7ELNS1_3repE0EEENS1_38merge_mergepath_config_static_selectorELNS0_4arch9wavefront6targetE0EEEvSK_,@function
_ZN7rocprim17ROCPRIM_400000_NS6detail17trampoline_kernelINS0_14default_configENS1_38merge_sort_block_merge_config_selectorIxNS0_10empty_typeEEEZZNS1_27merge_sort_block_merge_implIS3_N6thrust23THRUST_200600_302600_NS6detail15normal_iteratorINS9_10device_ptrIxEEEEPS5_m11less_div_10IxEEE10hipError_tT0_T1_T2_jT3_P12ihipStream_tbPNSt15iterator_traitsISJ_E10value_typeEPNSP_ISK_E10value_typeEPSL_NS1_7vsmem_tEENKUlT_SJ_SK_SL_E_clISE_PxSF_SF_EESI_SY_SJ_SK_SL_EUlSY_E0_NS1_11comp_targetILNS1_3genE3ELNS1_11target_archE908ELNS1_3gpuE7ELNS1_3repE0EEENS1_38merge_mergepath_config_static_selectorELNS0_4arch9wavefront6targetE0EEEvSK_: ; @_ZN7rocprim17ROCPRIM_400000_NS6detail17trampoline_kernelINS0_14default_configENS1_38merge_sort_block_merge_config_selectorIxNS0_10empty_typeEEEZZNS1_27merge_sort_block_merge_implIS3_N6thrust23THRUST_200600_302600_NS6detail15normal_iteratorINS9_10device_ptrIxEEEEPS5_m11less_div_10IxEEE10hipError_tT0_T1_T2_jT3_P12ihipStream_tbPNSt15iterator_traitsISJ_E10value_typeEPNSP_ISK_E10value_typeEPSL_NS1_7vsmem_tEENKUlT_SJ_SK_SL_E_clISE_PxSF_SF_EESI_SY_SJ_SK_SL_EUlSY_E0_NS1_11comp_targetILNS1_3genE3ELNS1_11target_archE908ELNS1_3gpuE7ELNS1_3repE0EEENS1_38merge_mergepath_config_static_selectorELNS0_4arch9wavefront6targetE0EEEvSK_
; %bb.0:
	.section	.rodata,"a",@progbits
	.p2align	6, 0x0
	.amdhsa_kernel _ZN7rocprim17ROCPRIM_400000_NS6detail17trampoline_kernelINS0_14default_configENS1_38merge_sort_block_merge_config_selectorIxNS0_10empty_typeEEEZZNS1_27merge_sort_block_merge_implIS3_N6thrust23THRUST_200600_302600_NS6detail15normal_iteratorINS9_10device_ptrIxEEEEPS5_m11less_div_10IxEEE10hipError_tT0_T1_T2_jT3_P12ihipStream_tbPNSt15iterator_traitsISJ_E10value_typeEPNSP_ISK_E10value_typeEPSL_NS1_7vsmem_tEENKUlT_SJ_SK_SL_E_clISE_PxSF_SF_EESI_SY_SJ_SK_SL_EUlSY_E0_NS1_11comp_targetILNS1_3genE3ELNS1_11target_archE908ELNS1_3gpuE7ELNS1_3repE0EEENS1_38merge_mergepath_config_static_selectorELNS0_4arch9wavefront6targetE0EEEvSK_
		.amdhsa_group_segment_fixed_size 0
		.amdhsa_private_segment_fixed_size 0
		.amdhsa_kernarg_size 72
		.amdhsa_user_sgpr_count 6
		.amdhsa_user_sgpr_private_segment_buffer 1
		.amdhsa_user_sgpr_dispatch_ptr 0
		.amdhsa_user_sgpr_queue_ptr 0
		.amdhsa_user_sgpr_kernarg_segment_ptr 1
		.amdhsa_user_sgpr_dispatch_id 0
		.amdhsa_user_sgpr_flat_scratch_init 0
		.amdhsa_user_sgpr_private_segment_size 0
		.amdhsa_wavefront_size32 1
		.amdhsa_uses_dynamic_stack 0
		.amdhsa_system_sgpr_private_segment_wavefront_offset 0
		.amdhsa_system_sgpr_workgroup_id_x 1
		.amdhsa_system_sgpr_workgroup_id_y 0
		.amdhsa_system_sgpr_workgroup_id_z 0
		.amdhsa_system_sgpr_workgroup_info 0
		.amdhsa_system_vgpr_workitem_id 0
		.amdhsa_next_free_vgpr 1
		.amdhsa_next_free_sgpr 1
		.amdhsa_reserve_vcc 0
		.amdhsa_reserve_flat_scratch 0
		.amdhsa_float_round_mode_32 0
		.amdhsa_float_round_mode_16_64 0
		.amdhsa_float_denorm_mode_32 3
		.amdhsa_float_denorm_mode_16_64 3
		.amdhsa_dx10_clamp 1
		.amdhsa_ieee_mode 1
		.amdhsa_fp16_overflow 0
		.amdhsa_workgroup_processor_mode 1
		.amdhsa_memory_ordered 1
		.amdhsa_forward_progress 1
		.amdhsa_shared_vgpr_count 0
		.amdhsa_exception_fp_ieee_invalid_op 0
		.amdhsa_exception_fp_denorm_src 0
		.amdhsa_exception_fp_ieee_div_zero 0
		.amdhsa_exception_fp_ieee_overflow 0
		.amdhsa_exception_fp_ieee_underflow 0
		.amdhsa_exception_fp_ieee_inexact 0
		.amdhsa_exception_int_div_zero 0
	.end_amdhsa_kernel
	.section	.text._ZN7rocprim17ROCPRIM_400000_NS6detail17trampoline_kernelINS0_14default_configENS1_38merge_sort_block_merge_config_selectorIxNS0_10empty_typeEEEZZNS1_27merge_sort_block_merge_implIS3_N6thrust23THRUST_200600_302600_NS6detail15normal_iteratorINS9_10device_ptrIxEEEEPS5_m11less_div_10IxEEE10hipError_tT0_T1_T2_jT3_P12ihipStream_tbPNSt15iterator_traitsISJ_E10value_typeEPNSP_ISK_E10value_typeEPSL_NS1_7vsmem_tEENKUlT_SJ_SK_SL_E_clISE_PxSF_SF_EESI_SY_SJ_SK_SL_EUlSY_E0_NS1_11comp_targetILNS1_3genE3ELNS1_11target_archE908ELNS1_3gpuE7ELNS1_3repE0EEENS1_38merge_mergepath_config_static_selectorELNS0_4arch9wavefront6targetE0EEEvSK_,"axG",@progbits,_ZN7rocprim17ROCPRIM_400000_NS6detail17trampoline_kernelINS0_14default_configENS1_38merge_sort_block_merge_config_selectorIxNS0_10empty_typeEEEZZNS1_27merge_sort_block_merge_implIS3_N6thrust23THRUST_200600_302600_NS6detail15normal_iteratorINS9_10device_ptrIxEEEEPS5_m11less_div_10IxEEE10hipError_tT0_T1_T2_jT3_P12ihipStream_tbPNSt15iterator_traitsISJ_E10value_typeEPNSP_ISK_E10value_typeEPSL_NS1_7vsmem_tEENKUlT_SJ_SK_SL_E_clISE_PxSF_SF_EESI_SY_SJ_SK_SL_EUlSY_E0_NS1_11comp_targetILNS1_3genE3ELNS1_11target_archE908ELNS1_3gpuE7ELNS1_3repE0EEENS1_38merge_mergepath_config_static_selectorELNS0_4arch9wavefront6targetE0EEEvSK_,comdat
.Lfunc_end372:
	.size	_ZN7rocprim17ROCPRIM_400000_NS6detail17trampoline_kernelINS0_14default_configENS1_38merge_sort_block_merge_config_selectorIxNS0_10empty_typeEEEZZNS1_27merge_sort_block_merge_implIS3_N6thrust23THRUST_200600_302600_NS6detail15normal_iteratorINS9_10device_ptrIxEEEEPS5_m11less_div_10IxEEE10hipError_tT0_T1_T2_jT3_P12ihipStream_tbPNSt15iterator_traitsISJ_E10value_typeEPNSP_ISK_E10value_typeEPSL_NS1_7vsmem_tEENKUlT_SJ_SK_SL_E_clISE_PxSF_SF_EESI_SY_SJ_SK_SL_EUlSY_E0_NS1_11comp_targetILNS1_3genE3ELNS1_11target_archE908ELNS1_3gpuE7ELNS1_3repE0EEENS1_38merge_mergepath_config_static_selectorELNS0_4arch9wavefront6targetE0EEEvSK_, .Lfunc_end372-_ZN7rocprim17ROCPRIM_400000_NS6detail17trampoline_kernelINS0_14default_configENS1_38merge_sort_block_merge_config_selectorIxNS0_10empty_typeEEEZZNS1_27merge_sort_block_merge_implIS3_N6thrust23THRUST_200600_302600_NS6detail15normal_iteratorINS9_10device_ptrIxEEEEPS5_m11less_div_10IxEEE10hipError_tT0_T1_T2_jT3_P12ihipStream_tbPNSt15iterator_traitsISJ_E10value_typeEPNSP_ISK_E10value_typeEPSL_NS1_7vsmem_tEENKUlT_SJ_SK_SL_E_clISE_PxSF_SF_EESI_SY_SJ_SK_SL_EUlSY_E0_NS1_11comp_targetILNS1_3genE3ELNS1_11target_archE908ELNS1_3gpuE7ELNS1_3repE0EEENS1_38merge_mergepath_config_static_selectorELNS0_4arch9wavefront6targetE0EEEvSK_
                                        ; -- End function
	.set _ZN7rocprim17ROCPRIM_400000_NS6detail17trampoline_kernelINS0_14default_configENS1_38merge_sort_block_merge_config_selectorIxNS0_10empty_typeEEEZZNS1_27merge_sort_block_merge_implIS3_N6thrust23THRUST_200600_302600_NS6detail15normal_iteratorINS9_10device_ptrIxEEEEPS5_m11less_div_10IxEEE10hipError_tT0_T1_T2_jT3_P12ihipStream_tbPNSt15iterator_traitsISJ_E10value_typeEPNSP_ISK_E10value_typeEPSL_NS1_7vsmem_tEENKUlT_SJ_SK_SL_E_clISE_PxSF_SF_EESI_SY_SJ_SK_SL_EUlSY_E0_NS1_11comp_targetILNS1_3genE3ELNS1_11target_archE908ELNS1_3gpuE7ELNS1_3repE0EEENS1_38merge_mergepath_config_static_selectorELNS0_4arch9wavefront6targetE0EEEvSK_.num_vgpr, 0
	.set _ZN7rocprim17ROCPRIM_400000_NS6detail17trampoline_kernelINS0_14default_configENS1_38merge_sort_block_merge_config_selectorIxNS0_10empty_typeEEEZZNS1_27merge_sort_block_merge_implIS3_N6thrust23THRUST_200600_302600_NS6detail15normal_iteratorINS9_10device_ptrIxEEEEPS5_m11less_div_10IxEEE10hipError_tT0_T1_T2_jT3_P12ihipStream_tbPNSt15iterator_traitsISJ_E10value_typeEPNSP_ISK_E10value_typeEPSL_NS1_7vsmem_tEENKUlT_SJ_SK_SL_E_clISE_PxSF_SF_EESI_SY_SJ_SK_SL_EUlSY_E0_NS1_11comp_targetILNS1_3genE3ELNS1_11target_archE908ELNS1_3gpuE7ELNS1_3repE0EEENS1_38merge_mergepath_config_static_selectorELNS0_4arch9wavefront6targetE0EEEvSK_.num_agpr, 0
	.set _ZN7rocprim17ROCPRIM_400000_NS6detail17trampoline_kernelINS0_14default_configENS1_38merge_sort_block_merge_config_selectorIxNS0_10empty_typeEEEZZNS1_27merge_sort_block_merge_implIS3_N6thrust23THRUST_200600_302600_NS6detail15normal_iteratorINS9_10device_ptrIxEEEEPS5_m11less_div_10IxEEE10hipError_tT0_T1_T2_jT3_P12ihipStream_tbPNSt15iterator_traitsISJ_E10value_typeEPNSP_ISK_E10value_typeEPSL_NS1_7vsmem_tEENKUlT_SJ_SK_SL_E_clISE_PxSF_SF_EESI_SY_SJ_SK_SL_EUlSY_E0_NS1_11comp_targetILNS1_3genE3ELNS1_11target_archE908ELNS1_3gpuE7ELNS1_3repE0EEENS1_38merge_mergepath_config_static_selectorELNS0_4arch9wavefront6targetE0EEEvSK_.numbered_sgpr, 0
	.set _ZN7rocprim17ROCPRIM_400000_NS6detail17trampoline_kernelINS0_14default_configENS1_38merge_sort_block_merge_config_selectorIxNS0_10empty_typeEEEZZNS1_27merge_sort_block_merge_implIS3_N6thrust23THRUST_200600_302600_NS6detail15normal_iteratorINS9_10device_ptrIxEEEEPS5_m11less_div_10IxEEE10hipError_tT0_T1_T2_jT3_P12ihipStream_tbPNSt15iterator_traitsISJ_E10value_typeEPNSP_ISK_E10value_typeEPSL_NS1_7vsmem_tEENKUlT_SJ_SK_SL_E_clISE_PxSF_SF_EESI_SY_SJ_SK_SL_EUlSY_E0_NS1_11comp_targetILNS1_3genE3ELNS1_11target_archE908ELNS1_3gpuE7ELNS1_3repE0EEENS1_38merge_mergepath_config_static_selectorELNS0_4arch9wavefront6targetE0EEEvSK_.num_named_barrier, 0
	.set _ZN7rocprim17ROCPRIM_400000_NS6detail17trampoline_kernelINS0_14default_configENS1_38merge_sort_block_merge_config_selectorIxNS0_10empty_typeEEEZZNS1_27merge_sort_block_merge_implIS3_N6thrust23THRUST_200600_302600_NS6detail15normal_iteratorINS9_10device_ptrIxEEEEPS5_m11less_div_10IxEEE10hipError_tT0_T1_T2_jT3_P12ihipStream_tbPNSt15iterator_traitsISJ_E10value_typeEPNSP_ISK_E10value_typeEPSL_NS1_7vsmem_tEENKUlT_SJ_SK_SL_E_clISE_PxSF_SF_EESI_SY_SJ_SK_SL_EUlSY_E0_NS1_11comp_targetILNS1_3genE3ELNS1_11target_archE908ELNS1_3gpuE7ELNS1_3repE0EEENS1_38merge_mergepath_config_static_selectorELNS0_4arch9wavefront6targetE0EEEvSK_.private_seg_size, 0
	.set _ZN7rocprim17ROCPRIM_400000_NS6detail17trampoline_kernelINS0_14default_configENS1_38merge_sort_block_merge_config_selectorIxNS0_10empty_typeEEEZZNS1_27merge_sort_block_merge_implIS3_N6thrust23THRUST_200600_302600_NS6detail15normal_iteratorINS9_10device_ptrIxEEEEPS5_m11less_div_10IxEEE10hipError_tT0_T1_T2_jT3_P12ihipStream_tbPNSt15iterator_traitsISJ_E10value_typeEPNSP_ISK_E10value_typeEPSL_NS1_7vsmem_tEENKUlT_SJ_SK_SL_E_clISE_PxSF_SF_EESI_SY_SJ_SK_SL_EUlSY_E0_NS1_11comp_targetILNS1_3genE3ELNS1_11target_archE908ELNS1_3gpuE7ELNS1_3repE0EEENS1_38merge_mergepath_config_static_selectorELNS0_4arch9wavefront6targetE0EEEvSK_.uses_vcc, 0
	.set _ZN7rocprim17ROCPRIM_400000_NS6detail17trampoline_kernelINS0_14default_configENS1_38merge_sort_block_merge_config_selectorIxNS0_10empty_typeEEEZZNS1_27merge_sort_block_merge_implIS3_N6thrust23THRUST_200600_302600_NS6detail15normal_iteratorINS9_10device_ptrIxEEEEPS5_m11less_div_10IxEEE10hipError_tT0_T1_T2_jT3_P12ihipStream_tbPNSt15iterator_traitsISJ_E10value_typeEPNSP_ISK_E10value_typeEPSL_NS1_7vsmem_tEENKUlT_SJ_SK_SL_E_clISE_PxSF_SF_EESI_SY_SJ_SK_SL_EUlSY_E0_NS1_11comp_targetILNS1_3genE3ELNS1_11target_archE908ELNS1_3gpuE7ELNS1_3repE0EEENS1_38merge_mergepath_config_static_selectorELNS0_4arch9wavefront6targetE0EEEvSK_.uses_flat_scratch, 0
	.set _ZN7rocprim17ROCPRIM_400000_NS6detail17trampoline_kernelINS0_14default_configENS1_38merge_sort_block_merge_config_selectorIxNS0_10empty_typeEEEZZNS1_27merge_sort_block_merge_implIS3_N6thrust23THRUST_200600_302600_NS6detail15normal_iteratorINS9_10device_ptrIxEEEEPS5_m11less_div_10IxEEE10hipError_tT0_T1_T2_jT3_P12ihipStream_tbPNSt15iterator_traitsISJ_E10value_typeEPNSP_ISK_E10value_typeEPSL_NS1_7vsmem_tEENKUlT_SJ_SK_SL_E_clISE_PxSF_SF_EESI_SY_SJ_SK_SL_EUlSY_E0_NS1_11comp_targetILNS1_3genE3ELNS1_11target_archE908ELNS1_3gpuE7ELNS1_3repE0EEENS1_38merge_mergepath_config_static_selectorELNS0_4arch9wavefront6targetE0EEEvSK_.has_dyn_sized_stack, 0
	.set _ZN7rocprim17ROCPRIM_400000_NS6detail17trampoline_kernelINS0_14default_configENS1_38merge_sort_block_merge_config_selectorIxNS0_10empty_typeEEEZZNS1_27merge_sort_block_merge_implIS3_N6thrust23THRUST_200600_302600_NS6detail15normal_iteratorINS9_10device_ptrIxEEEEPS5_m11less_div_10IxEEE10hipError_tT0_T1_T2_jT3_P12ihipStream_tbPNSt15iterator_traitsISJ_E10value_typeEPNSP_ISK_E10value_typeEPSL_NS1_7vsmem_tEENKUlT_SJ_SK_SL_E_clISE_PxSF_SF_EESI_SY_SJ_SK_SL_EUlSY_E0_NS1_11comp_targetILNS1_3genE3ELNS1_11target_archE908ELNS1_3gpuE7ELNS1_3repE0EEENS1_38merge_mergepath_config_static_selectorELNS0_4arch9wavefront6targetE0EEEvSK_.has_recursion, 0
	.set _ZN7rocprim17ROCPRIM_400000_NS6detail17trampoline_kernelINS0_14default_configENS1_38merge_sort_block_merge_config_selectorIxNS0_10empty_typeEEEZZNS1_27merge_sort_block_merge_implIS3_N6thrust23THRUST_200600_302600_NS6detail15normal_iteratorINS9_10device_ptrIxEEEEPS5_m11less_div_10IxEEE10hipError_tT0_T1_T2_jT3_P12ihipStream_tbPNSt15iterator_traitsISJ_E10value_typeEPNSP_ISK_E10value_typeEPSL_NS1_7vsmem_tEENKUlT_SJ_SK_SL_E_clISE_PxSF_SF_EESI_SY_SJ_SK_SL_EUlSY_E0_NS1_11comp_targetILNS1_3genE3ELNS1_11target_archE908ELNS1_3gpuE7ELNS1_3repE0EEENS1_38merge_mergepath_config_static_selectorELNS0_4arch9wavefront6targetE0EEEvSK_.has_indirect_call, 0
	.section	.AMDGPU.csdata,"",@progbits
; Kernel info:
; codeLenInByte = 0
; TotalNumSgprs: 0
; NumVgprs: 0
; ScratchSize: 0
; MemoryBound: 0
; FloatMode: 240
; IeeeMode: 1
; LDSByteSize: 0 bytes/workgroup (compile time only)
; SGPRBlocks: 0
; VGPRBlocks: 0
; NumSGPRsForWavesPerEU: 1
; NumVGPRsForWavesPerEU: 1
; Occupancy: 16
; WaveLimiterHint : 0
; COMPUTE_PGM_RSRC2:SCRATCH_EN: 0
; COMPUTE_PGM_RSRC2:USER_SGPR: 6
; COMPUTE_PGM_RSRC2:TRAP_HANDLER: 0
; COMPUTE_PGM_RSRC2:TGID_X_EN: 1
; COMPUTE_PGM_RSRC2:TGID_Y_EN: 0
; COMPUTE_PGM_RSRC2:TGID_Z_EN: 0
; COMPUTE_PGM_RSRC2:TIDIG_COMP_CNT: 0
	.section	.text._ZN7rocprim17ROCPRIM_400000_NS6detail17trampoline_kernelINS0_14default_configENS1_38merge_sort_block_merge_config_selectorIxNS0_10empty_typeEEEZZNS1_27merge_sort_block_merge_implIS3_N6thrust23THRUST_200600_302600_NS6detail15normal_iteratorINS9_10device_ptrIxEEEEPS5_m11less_div_10IxEEE10hipError_tT0_T1_T2_jT3_P12ihipStream_tbPNSt15iterator_traitsISJ_E10value_typeEPNSP_ISK_E10value_typeEPSL_NS1_7vsmem_tEENKUlT_SJ_SK_SL_E_clISE_PxSF_SF_EESI_SY_SJ_SK_SL_EUlSY_E0_NS1_11comp_targetILNS1_3genE2ELNS1_11target_archE906ELNS1_3gpuE6ELNS1_3repE0EEENS1_38merge_mergepath_config_static_selectorELNS0_4arch9wavefront6targetE0EEEvSK_,"axG",@progbits,_ZN7rocprim17ROCPRIM_400000_NS6detail17trampoline_kernelINS0_14default_configENS1_38merge_sort_block_merge_config_selectorIxNS0_10empty_typeEEEZZNS1_27merge_sort_block_merge_implIS3_N6thrust23THRUST_200600_302600_NS6detail15normal_iteratorINS9_10device_ptrIxEEEEPS5_m11less_div_10IxEEE10hipError_tT0_T1_T2_jT3_P12ihipStream_tbPNSt15iterator_traitsISJ_E10value_typeEPNSP_ISK_E10value_typeEPSL_NS1_7vsmem_tEENKUlT_SJ_SK_SL_E_clISE_PxSF_SF_EESI_SY_SJ_SK_SL_EUlSY_E0_NS1_11comp_targetILNS1_3genE2ELNS1_11target_archE906ELNS1_3gpuE6ELNS1_3repE0EEENS1_38merge_mergepath_config_static_selectorELNS0_4arch9wavefront6targetE0EEEvSK_,comdat
	.protected	_ZN7rocprim17ROCPRIM_400000_NS6detail17trampoline_kernelINS0_14default_configENS1_38merge_sort_block_merge_config_selectorIxNS0_10empty_typeEEEZZNS1_27merge_sort_block_merge_implIS3_N6thrust23THRUST_200600_302600_NS6detail15normal_iteratorINS9_10device_ptrIxEEEEPS5_m11less_div_10IxEEE10hipError_tT0_T1_T2_jT3_P12ihipStream_tbPNSt15iterator_traitsISJ_E10value_typeEPNSP_ISK_E10value_typeEPSL_NS1_7vsmem_tEENKUlT_SJ_SK_SL_E_clISE_PxSF_SF_EESI_SY_SJ_SK_SL_EUlSY_E0_NS1_11comp_targetILNS1_3genE2ELNS1_11target_archE906ELNS1_3gpuE6ELNS1_3repE0EEENS1_38merge_mergepath_config_static_selectorELNS0_4arch9wavefront6targetE0EEEvSK_ ; -- Begin function _ZN7rocprim17ROCPRIM_400000_NS6detail17trampoline_kernelINS0_14default_configENS1_38merge_sort_block_merge_config_selectorIxNS0_10empty_typeEEEZZNS1_27merge_sort_block_merge_implIS3_N6thrust23THRUST_200600_302600_NS6detail15normal_iteratorINS9_10device_ptrIxEEEEPS5_m11less_div_10IxEEE10hipError_tT0_T1_T2_jT3_P12ihipStream_tbPNSt15iterator_traitsISJ_E10value_typeEPNSP_ISK_E10value_typeEPSL_NS1_7vsmem_tEENKUlT_SJ_SK_SL_E_clISE_PxSF_SF_EESI_SY_SJ_SK_SL_EUlSY_E0_NS1_11comp_targetILNS1_3genE2ELNS1_11target_archE906ELNS1_3gpuE6ELNS1_3repE0EEENS1_38merge_mergepath_config_static_selectorELNS0_4arch9wavefront6targetE0EEEvSK_
	.globl	_ZN7rocprim17ROCPRIM_400000_NS6detail17trampoline_kernelINS0_14default_configENS1_38merge_sort_block_merge_config_selectorIxNS0_10empty_typeEEEZZNS1_27merge_sort_block_merge_implIS3_N6thrust23THRUST_200600_302600_NS6detail15normal_iteratorINS9_10device_ptrIxEEEEPS5_m11less_div_10IxEEE10hipError_tT0_T1_T2_jT3_P12ihipStream_tbPNSt15iterator_traitsISJ_E10value_typeEPNSP_ISK_E10value_typeEPSL_NS1_7vsmem_tEENKUlT_SJ_SK_SL_E_clISE_PxSF_SF_EESI_SY_SJ_SK_SL_EUlSY_E0_NS1_11comp_targetILNS1_3genE2ELNS1_11target_archE906ELNS1_3gpuE6ELNS1_3repE0EEENS1_38merge_mergepath_config_static_selectorELNS0_4arch9wavefront6targetE0EEEvSK_
	.p2align	8
	.type	_ZN7rocprim17ROCPRIM_400000_NS6detail17trampoline_kernelINS0_14default_configENS1_38merge_sort_block_merge_config_selectorIxNS0_10empty_typeEEEZZNS1_27merge_sort_block_merge_implIS3_N6thrust23THRUST_200600_302600_NS6detail15normal_iteratorINS9_10device_ptrIxEEEEPS5_m11less_div_10IxEEE10hipError_tT0_T1_T2_jT3_P12ihipStream_tbPNSt15iterator_traitsISJ_E10value_typeEPNSP_ISK_E10value_typeEPSL_NS1_7vsmem_tEENKUlT_SJ_SK_SL_E_clISE_PxSF_SF_EESI_SY_SJ_SK_SL_EUlSY_E0_NS1_11comp_targetILNS1_3genE2ELNS1_11target_archE906ELNS1_3gpuE6ELNS1_3repE0EEENS1_38merge_mergepath_config_static_selectorELNS0_4arch9wavefront6targetE0EEEvSK_,@function
_ZN7rocprim17ROCPRIM_400000_NS6detail17trampoline_kernelINS0_14default_configENS1_38merge_sort_block_merge_config_selectorIxNS0_10empty_typeEEEZZNS1_27merge_sort_block_merge_implIS3_N6thrust23THRUST_200600_302600_NS6detail15normal_iteratorINS9_10device_ptrIxEEEEPS5_m11less_div_10IxEEE10hipError_tT0_T1_T2_jT3_P12ihipStream_tbPNSt15iterator_traitsISJ_E10value_typeEPNSP_ISK_E10value_typeEPSL_NS1_7vsmem_tEENKUlT_SJ_SK_SL_E_clISE_PxSF_SF_EESI_SY_SJ_SK_SL_EUlSY_E0_NS1_11comp_targetILNS1_3genE2ELNS1_11target_archE906ELNS1_3gpuE6ELNS1_3repE0EEENS1_38merge_mergepath_config_static_selectorELNS0_4arch9wavefront6targetE0EEEvSK_: ; @_ZN7rocprim17ROCPRIM_400000_NS6detail17trampoline_kernelINS0_14default_configENS1_38merge_sort_block_merge_config_selectorIxNS0_10empty_typeEEEZZNS1_27merge_sort_block_merge_implIS3_N6thrust23THRUST_200600_302600_NS6detail15normal_iteratorINS9_10device_ptrIxEEEEPS5_m11less_div_10IxEEE10hipError_tT0_T1_T2_jT3_P12ihipStream_tbPNSt15iterator_traitsISJ_E10value_typeEPNSP_ISK_E10value_typeEPSL_NS1_7vsmem_tEENKUlT_SJ_SK_SL_E_clISE_PxSF_SF_EESI_SY_SJ_SK_SL_EUlSY_E0_NS1_11comp_targetILNS1_3genE2ELNS1_11target_archE906ELNS1_3gpuE6ELNS1_3repE0EEENS1_38merge_mergepath_config_static_selectorELNS0_4arch9wavefront6targetE0EEEvSK_
; %bb.0:
	.section	.rodata,"a",@progbits
	.p2align	6, 0x0
	.amdhsa_kernel _ZN7rocprim17ROCPRIM_400000_NS6detail17trampoline_kernelINS0_14default_configENS1_38merge_sort_block_merge_config_selectorIxNS0_10empty_typeEEEZZNS1_27merge_sort_block_merge_implIS3_N6thrust23THRUST_200600_302600_NS6detail15normal_iteratorINS9_10device_ptrIxEEEEPS5_m11less_div_10IxEEE10hipError_tT0_T1_T2_jT3_P12ihipStream_tbPNSt15iterator_traitsISJ_E10value_typeEPNSP_ISK_E10value_typeEPSL_NS1_7vsmem_tEENKUlT_SJ_SK_SL_E_clISE_PxSF_SF_EESI_SY_SJ_SK_SL_EUlSY_E0_NS1_11comp_targetILNS1_3genE2ELNS1_11target_archE906ELNS1_3gpuE6ELNS1_3repE0EEENS1_38merge_mergepath_config_static_selectorELNS0_4arch9wavefront6targetE0EEEvSK_
		.amdhsa_group_segment_fixed_size 0
		.amdhsa_private_segment_fixed_size 0
		.amdhsa_kernarg_size 72
		.amdhsa_user_sgpr_count 6
		.amdhsa_user_sgpr_private_segment_buffer 1
		.amdhsa_user_sgpr_dispatch_ptr 0
		.amdhsa_user_sgpr_queue_ptr 0
		.amdhsa_user_sgpr_kernarg_segment_ptr 1
		.amdhsa_user_sgpr_dispatch_id 0
		.amdhsa_user_sgpr_flat_scratch_init 0
		.amdhsa_user_sgpr_private_segment_size 0
		.amdhsa_wavefront_size32 1
		.amdhsa_uses_dynamic_stack 0
		.amdhsa_system_sgpr_private_segment_wavefront_offset 0
		.amdhsa_system_sgpr_workgroup_id_x 1
		.amdhsa_system_sgpr_workgroup_id_y 0
		.amdhsa_system_sgpr_workgroup_id_z 0
		.amdhsa_system_sgpr_workgroup_info 0
		.amdhsa_system_vgpr_workitem_id 0
		.amdhsa_next_free_vgpr 1
		.amdhsa_next_free_sgpr 1
		.amdhsa_reserve_vcc 0
		.amdhsa_reserve_flat_scratch 0
		.amdhsa_float_round_mode_32 0
		.amdhsa_float_round_mode_16_64 0
		.amdhsa_float_denorm_mode_32 3
		.amdhsa_float_denorm_mode_16_64 3
		.amdhsa_dx10_clamp 1
		.amdhsa_ieee_mode 1
		.amdhsa_fp16_overflow 0
		.amdhsa_workgroup_processor_mode 1
		.amdhsa_memory_ordered 1
		.amdhsa_forward_progress 1
		.amdhsa_shared_vgpr_count 0
		.amdhsa_exception_fp_ieee_invalid_op 0
		.amdhsa_exception_fp_denorm_src 0
		.amdhsa_exception_fp_ieee_div_zero 0
		.amdhsa_exception_fp_ieee_overflow 0
		.amdhsa_exception_fp_ieee_underflow 0
		.amdhsa_exception_fp_ieee_inexact 0
		.amdhsa_exception_int_div_zero 0
	.end_amdhsa_kernel
	.section	.text._ZN7rocprim17ROCPRIM_400000_NS6detail17trampoline_kernelINS0_14default_configENS1_38merge_sort_block_merge_config_selectorIxNS0_10empty_typeEEEZZNS1_27merge_sort_block_merge_implIS3_N6thrust23THRUST_200600_302600_NS6detail15normal_iteratorINS9_10device_ptrIxEEEEPS5_m11less_div_10IxEEE10hipError_tT0_T1_T2_jT3_P12ihipStream_tbPNSt15iterator_traitsISJ_E10value_typeEPNSP_ISK_E10value_typeEPSL_NS1_7vsmem_tEENKUlT_SJ_SK_SL_E_clISE_PxSF_SF_EESI_SY_SJ_SK_SL_EUlSY_E0_NS1_11comp_targetILNS1_3genE2ELNS1_11target_archE906ELNS1_3gpuE6ELNS1_3repE0EEENS1_38merge_mergepath_config_static_selectorELNS0_4arch9wavefront6targetE0EEEvSK_,"axG",@progbits,_ZN7rocprim17ROCPRIM_400000_NS6detail17trampoline_kernelINS0_14default_configENS1_38merge_sort_block_merge_config_selectorIxNS0_10empty_typeEEEZZNS1_27merge_sort_block_merge_implIS3_N6thrust23THRUST_200600_302600_NS6detail15normal_iteratorINS9_10device_ptrIxEEEEPS5_m11less_div_10IxEEE10hipError_tT0_T1_T2_jT3_P12ihipStream_tbPNSt15iterator_traitsISJ_E10value_typeEPNSP_ISK_E10value_typeEPSL_NS1_7vsmem_tEENKUlT_SJ_SK_SL_E_clISE_PxSF_SF_EESI_SY_SJ_SK_SL_EUlSY_E0_NS1_11comp_targetILNS1_3genE2ELNS1_11target_archE906ELNS1_3gpuE6ELNS1_3repE0EEENS1_38merge_mergepath_config_static_selectorELNS0_4arch9wavefront6targetE0EEEvSK_,comdat
.Lfunc_end373:
	.size	_ZN7rocprim17ROCPRIM_400000_NS6detail17trampoline_kernelINS0_14default_configENS1_38merge_sort_block_merge_config_selectorIxNS0_10empty_typeEEEZZNS1_27merge_sort_block_merge_implIS3_N6thrust23THRUST_200600_302600_NS6detail15normal_iteratorINS9_10device_ptrIxEEEEPS5_m11less_div_10IxEEE10hipError_tT0_T1_T2_jT3_P12ihipStream_tbPNSt15iterator_traitsISJ_E10value_typeEPNSP_ISK_E10value_typeEPSL_NS1_7vsmem_tEENKUlT_SJ_SK_SL_E_clISE_PxSF_SF_EESI_SY_SJ_SK_SL_EUlSY_E0_NS1_11comp_targetILNS1_3genE2ELNS1_11target_archE906ELNS1_3gpuE6ELNS1_3repE0EEENS1_38merge_mergepath_config_static_selectorELNS0_4arch9wavefront6targetE0EEEvSK_, .Lfunc_end373-_ZN7rocprim17ROCPRIM_400000_NS6detail17trampoline_kernelINS0_14default_configENS1_38merge_sort_block_merge_config_selectorIxNS0_10empty_typeEEEZZNS1_27merge_sort_block_merge_implIS3_N6thrust23THRUST_200600_302600_NS6detail15normal_iteratorINS9_10device_ptrIxEEEEPS5_m11less_div_10IxEEE10hipError_tT0_T1_T2_jT3_P12ihipStream_tbPNSt15iterator_traitsISJ_E10value_typeEPNSP_ISK_E10value_typeEPSL_NS1_7vsmem_tEENKUlT_SJ_SK_SL_E_clISE_PxSF_SF_EESI_SY_SJ_SK_SL_EUlSY_E0_NS1_11comp_targetILNS1_3genE2ELNS1_11target_archE906ELNS1_3gpuE6ELNS1_3repE0EEENS1_38merge_mergepath_config_static_selectorELNS0_4arch9wavefront6targetE0EEEvSK_
                                        ; -- End function
	.set _ZN7rocprim17ROCPRIM_400000_NS6detail17trampoline_kernelINS0_14default_configENS1_38merge_sort_block_merge_config_selectorIxNS0_10empty_typeEEEZZNS1_27merge_sort_block_merge_implIS3_N6thrust23THRUST_200600_302600_NS6detail15normal_iteratorINS9_10device_ptrIxEEEEPS5_m11less_div_10IxEEE10hipError_tT0_T1_T2_jT3_P12ihipStream_tbPNSt15iterator_traitsISJ_E10value_typeEPNSP_ISK_E10value_typeEPSL_NS1_7vsmem_tEENKUlT_SJ_SK_SL_E_clISE_PxSF_SF_EESI_SY_SJ_SK_SL_EUlSY_E0_NS1_11comp_targetILNS1_3genE2ELNS1_11target_archE906ELNS1_3gpuE6ELNS1_3repE0EEENS1_38merge_mergepath_config_static_selectorELNS0_4arch9wavefront6targetE0EEEvSK_.num_vgpr, 0
	.set _ZN7rocprim17ROCPRIM_400000_NS6detail17trampoline_kernelINS0_14default_configENS1_38merge_sort_block_merge_config_selectorIxNS0_10empty_typeEEEZZNS1_27merge_sort_block_merge_implIS3_N6thrust23THRUST_200600_302600_NS6detail15normal_iteratorINS9_10device_ptrIxEEEEPS5_m11less_div_10IxEEE10hipError_tT0_T1_T2_jT3_P12ihipStream_tbPNSt15iterator_traitsISJ_E10value_typeEPNSP_ISK_E10value_typeEPSL_NS1_7vsmem_tEENKUlT_SJ_SK_SL_E_clISE_PxSF_SF_EESI_SY_SJ_SK_SL_EUlSY_E0_NS1_11comp_targetILNS1_3genE2ELNS1_11target_archE906ELNS1_3gpuE6ELNS1_3repE0EEENS1_38merge_mergepath_config_static_selectorELNS0_4arch9wavefront6targetE0EEEvSK_.num_agpr, 0
	.set _ZN7rocprim17ROCPRIM_400000_NS6detail17trampoline_kernelINS0_14default_configENS1_38merge_sort_block_merge_config_selectorIxNS0_10empty_typeEEEZZNS1_27merge_sort_block_merge_implIS3_N6thrust23THRUST_200600_302600_NS6detail15normal_iteratorINS9_10device_ptrIxEEEEPS5_m11less_div_10IxEEE10hipError_tT0_T1_T2_jT3_P12ihipStream_tbPNSt15iterator_traitsISJ_E10value_typeEPNSP_ISK_E10value_typeEPSL_NS1_7vsmem_tEENKUlT_SJ_SK_SL_E_clISE_PxSF_SF_EESI_SY_SJ_SK_SL_EUlSY_E0_NS1_11comp_targetILNS1_3genE2ELNS1_11target_archE906ELNS1_3gpuE6ELNS1_3repE0EEENS1_38merge_mergepath_config_static_selectorELNS0_4arch9wavefront6targetE0EEEvSK_.numbered_sgpr, 0
	.set _ZN7rocprim17ROCPRIM_400000_NS6detail17trampoline_kernelINS0_14default_configENS1_38merge_sort_block_merge_config_selectorIxNS0_10empty_typeEEEZZNS1_27merge_sort_block_merge_implIS3_N6thrust23THRUST_200600_302600_NS6detail15normal_iteratorINS9_10device_ptrIxEEEEPS5_m11less_div_10IxEEE10hipError_tT0_T1_T2_jT3_P12ihipStream_tbPNSt15iterator_traitsISJ_E10value_typeEPNSP_ISK_E10value_typeEPSL_NS1_7vsmem_tEENKUlT_SJ_SK_SL_E_clISE_PxSF_SF_EESI_SY_SJ_SK_SL_EUlSY_E0_NS1_11comp_targetILNS1_3genE2ELNS1_11target_archE906ELNS1_3gpuE6ELNS1_3repE0EEENS1_38merge_mergepath_config_static_selectorELNS0_4arch9wavefront6targetE0EEEvSK_.num_named_barrier, 0
	.set _ZN7rocprim17ROCPRIM_400000_NS6detail17trampoline_kernelINS0_14default_configENS1_38merge_sort_block_merge_config_selectorIxNS0_10empty_typeEEEZZNS1_27merge_sort_block_merge_implIS3_N6thrust23THRUST_200600_302600_NS6detail15normal_iteratorINS9_10device_ptrIxEEEEPS5_m11less_div_10IxEEE10hipError_tT0_T1_T2_jT3_P12ihipStream_tbPNSt15iterator_traitsISJ_E10value_typeEPNSP_ISK_E10value_typeEPSL_NS1_7vsmem_tEENKUlT_SJ_SK_SL_E_clISE_PxSF_SF_EESI_SY_SJ_SK_SL_EUlSY_E0_NS1_11comp_targetILNS1_3genE2ELNS1_11target_archE906ELNS1_3gpuE6ELNS1_3repE0EEENS1_38merge_mergepath_config_static_selectorELNS0_4arch9wavefront6targetE0EEEvSK_.private_seg_size, 0
	.set _ZN7rocprim17ROCPRIM_400000_NS6detail17trampoline_kernelINS0_14default_configENS1_38merge_sort_block_merge_config_selectorIxNS0_10empty_typeEEEZZNS1_27merge_sort_block_merge_implIS3_N6thrust23THRUST_200600_302600_NS6detail15normal_iteratorINS9_10device_ptrIxEEEEPS5_m11less_div_10IxEEE10hipError_tT0_T1_T2_jT3_P12ihipStream_tbPNSt15iterator_traitsISJ_E10value_typeEPNSP_ISK_E10value_typeEPSL_NS1_7vsmem_tEENKUlT_SJ_SK_SL_E_clISE_PxSF_SF_EESI_SY_SJ_SK_SL_EUlSY_E0_NS1_11comp_targetILNS1_3genE2ELNS1_11target_archE906ELNS1_3gpuE6ELNS1_3repE0EEENS1_38merge_mergepath_config_static_selectorELNS0_4arch9wavefront6targetE0EEEvSK_.uses_vcc, 0
	.set _ZN7rocprim17ROCPRIM_400000_NS6detail17trampoline_kernelINS0_14default_configENS1_38merge_sort_block_merge_config_selectorIxNS0_10empty_typeEEEZZNS1_27merge_sort_block_merge_implIS3_N6thrust23THRUST_200600_302600_NS6detail15normal_iteratorINS9_10device_ptrIxEEEEPS5_m11less_div_10IxEEE10hipError_tT0_T1_T2_jT3_P12ihipStream_tbPNSt15iterator_traitsISJ_E10value_typeEPNSP_ISK_E10value_typeEPSL_NS1_7vsmem_tEENKUlT_SJ_SK_SL_E_clISE_PxSF_SF_EESI_SY_SJ_SK_SL_EUlSY_E0_NS1_11comp_targetILNS1_3genE2ELNS1_11target_archE906ELNS1_3gpuE6ELNS1_3repE0EEENS1_38merge_mergepath_config_static_selectorELNS0_4arch9wavefront6targetE0EEEvSK_.uses_flat_scratch, 0
	.set _ZN7rocprim17ROCPRIM_400000_NS6detail17trampoline_kernelINS0_14default_configENS1_38merge_sort_block_merge_config_selectorIxNS0_10empty_typeEEEZZNS1_27merge_sort_block_merge_implIS3_N6thrust23THRUST_200600_302600_NS6detail15normal_iteratorINS9_10device_ptrIxEEEEPS5_m11less_div_10IxEEE10hipError_tT0_T1_T2_jT3_P12ihipStream_tbPNSt15iterator_traitsISJ_E10value_typeEPNSP_ISK_E10value_typeEPSL_NS1_7vsmem_tEENKUlT_SJ_SK_SL_E_clISE_PxSF_SF_EESI_SY_SJ_SK_SL_EUlSY_E0_NS1_11comp_targetILNS1_3genE2ELNS1_11target_archE906ELNS1_3gpuE6ELNS1_3repE0EEENS1_38merge_mergepath_config_static_selectorELNS0_4arch9wavefront6targetE0EEEvSK_.has_dyn_sized_stack, 0
	.set _ZN7rocprim17ROCPRIM_400000_NS6detail17trampoline_kernelINS0_14default_configENS1_38merge_sort_block_merge_config_selectorIxNS0_10empty_typeEEEZZNS1_27merge_sort_block_merge_implIS3_N6thrust23THRUST_200600_302600_NS6detail15normal_iteratorINS9_10device_ptrIxEEEEPS5_m11less_div_10IxEEE10hipError_tT0_T1_T2_jT3_P12ihipStream_tbPNSt15iterator_traitsISJ_E10value_typeEPNSP_ISK_E10value_typeEPSL_NS1_7vsmem_tEENKUlT_SJ_SK_SL_E_clISE_PxSF_SF_EESI_SY_SJ_SK_SL_EUlSY_E0_NS1_11comp_targetILNS1_3genE2ELNS1_11target_archE906ELNS1_3gpuE6ELNS1_3repE0EEENS1_38merge_mergepath_config_static_selectorELNS0_4arch9wavefront6targetE0EEEvSK_.has_recursion, 0
	.set _ZN7rocprim17ROCPRIM_400000_NS6detail17trampoline_kernelINS0_14default_configENS1_38merge_sort_block_merge_config_selectorIxNS0_10empty_typeEEEZZNS1_27merge_sort_block_merge_implIS3_N6thrust23THRUST_200600_302600_NS6detail15normal_iteratorINS9_10device_ptrIxEEEEPS5_m11less_div_10IxEEE10hipError_tT0_T1_T2_jT3_P12ihipStream_tbPNSt15iterator_traitsISJ_E10value_typeEPNSP_ISK_E10value_typeEPSL_NS1_7vsmem_tEENKUlT_SJ_SK_SL_E_clISE_PxSF_SF_EESI_SY_SJ_SK_SL_EUlSY_E0_NS1_11comp_targetILNS1_3genE2ELNS1_11target_archE906ELNS1_3gpuE6ELNS1_3repE0EEENS1_38merge_mergepath_config_static_selectorELNS0_4arch9wavefront6targetE0EEEvSK_.has_indirect_call, 0
	.section	.AMDGPU.csdata,"",@progbits
; Kernel info:
; codeLenInByte = 0
; TotalNumSgprs: 0
; NumVgprs: 0
; ScratchSize: 0
; MemoryBound: 0
; FloatMode: 240
; IeeeMode: 1
; LDSByteSize: 0 bytes/workgroup (compile time only)
; SGPRBlocks: 0
; VGPRBlocks: 0
; NumSGPRsForWavesPerEU: 1
; NumVGPRsForWavesPerEU: 1
; Occupancy: 16
; WaveLimiterHint : 0
; COMPUTE_PGM_RSRC2:SCRATCH_EN: 0
; COMPUTE_PGM_RSRC2:USER_SGPR: 6
; COMPUTE_PGM_RSRC2:TRAP_HANDLER: 0
; COMPUTE_PGM_RSRC2:TGID_X_EN: 1
; COMPUTE_PGM_RSRC2:TGID_Y_EN: 0
; COMPUTE_PGM_RSRC2:TGID_Z_EN: 0
; COMPUTE_PGM_RSRC2:TIDIG_COMP_CNT: 0
	.section	.text._ZN7rocprim17ROCPRIM_400000_NS6detail17trampoline_kernelINS0_14default_configENS1_38merge_sort_block_merge_config_selectorIxNS0_10empty_typeEEEZZNS1_27merge_sort_block_merge_implIS3_N6thrust23THRUST_200600_302600_NS6detail15normal_iteratorINS9_10device_ptrIxEEEEPS5_m11less_div_10IxEEE10hipError_tT0_T1_T2_jT3_P12ihipStream_tbPNSt15iterator_traitsISJ_E10value_typeEPNSP_ISK_E10value_typeEPSL_NS1_7vsmem_tEENKUlT_SJ_SK_SL_E_clISE_PxSF_SF_EESI_SY_SJ_SK_SL_EUlSY_E0_NS1_11comp_targetILNS1_3genE9ELNS1_11target_archE1100ELNS1_3gpuE3ELNS1_3repE0EEENS1_38merge_mergepath_config_static_selectorELNS0_4arch9wavefront6targetE0EEEvSK_,"axG",@progbits,_ZN7rocprim17ROCPRIM_400000_NS6detail17trampoline_kernelINS0_14default_configENS1_38merge_sort_block_merge_config_selectorIxNS0_10empty_typeEEEZZNS1_27merge_sort_block_merge_implIS3_N6thrust23THRUST_200600_302600_NS6detail15normal_iteratorINS9_10device_ptrIxEEEEPS5_m11less_div_10IxEEE10hipError_tT0_T1_T2_jT3_P12ihipStream_tbPNSt15iterator_traitsISJ_E10value_typeEPNSP_ISK_E10value_typeEPSL_NS1_7vsmem_tEENKUlT_SJ_SK_SL_E_clISE_PxSF_SF_EESI_SY_SJ_SK_SL_EUlSY_E0_NS1_11comp_targetILNS1_3genE9ELNS1_11target_archE1100ELNS1_3gpuE3ELNS1_3repE0EEENS1_38merge_mergepath_config_static_selectorELNS0_4arch9wavefront6targetE0EEEvSK_,comdat
	.protected	_ZN7rocprim17ROCPRIM_400000_NS6detail17trampoline_kernelINS0_14default_configENS1_38merge_sort_block_merge_config_selectorIxNS0_10empty_typeEEEZZNS1_27merge_sort_block_merge_implIS3_N6thrust23THRUST_200600_302600_NS6detail15normal_iteratorINS9_10device_ptrIxEEEEPS5_m11less_div_10IxEEE10hipError_tT0_T1_T2_jT3_P12ihipStream_tbPNSt15iterator_traitsISJ_E10value_typeEPNSP_ISK_E10value_typeEPSL_NS1_7vsmem_tEENKUlT_SJ_SK_SL_E_clISE_PxSF_SF_EESI_SY_SJ_SK_SL_EUlSY_E0_NS1_11comp_targetILNS1_3genE9ELNS1_11target_archE1100ELNS1_3gpuE3ELNS1_3repE0EEENS1_38merge_mergepath_config_static_selectorELNS0_4arch9wavefront6targetE0EEEvSK_ ; -- Begin function _ZN7rocprim17ROCPRIM_400000_NS6detail17trampoline_kernelINS0_14default_configENS1_38merge_sort_block_merge_config_selectorIxNS0_10empty_typeEEEZZNS1_27merge_sort_block_merge_implIS3_N6thrust23THRUST_200600_302600_NS6detail15normal_iteratorINS9_10device_ptrIxEEEEPS5_m11less_div_10IxEEE10hipError_tT0_T1_T2_jT3_P12ihipStream_tbPNSt15iterator_traitsISJ_E10value_typeEPNSP_ISK_E10value_typeEPSL_NS1_7vsmem_tEENKUlT_SJ_SK_SL_E_clISE_PxSF_SF_EESI_SY_SJ_SK_SL_EUlSY_E0_NS1_11comp_targetILNS1_3genE9ELNS1_11target_archE1100ELNS1_3gpuE3ELNS1_3repE0EEENS1_38merge_mergepath_config_static_selectorELNS0_4arch9wavefront6targetE0EEEvSK_
	.globl	_ZN7rocprim17ROCPRIM_400000_NS6detail17trampoline_kernelINS0_14default_configENS1_38merge_sort_block_merge_config_selectorIxNS0_10empty_typeEEEZZNS1_27merge_sort_block_merge_implIS3_N6thrust23THRUST_200600_302600_NS6detail15normal_iteratorINS9_10device_ptrIxEEEEPS5_m11less_div_10IxEEE10hipError_tT0_T1_T2_jT3_P12ihipStream_tbPNSt15iterator_traitsISJ_E10value_typeEPNSP_ISK_E10value_typeEPSL_NS1_7vsmem_tEENKUlT_SJ_SK_SL_E_clISE_PxSF_SF_EESI_SY_SJ_SK_SL_EUlSY_E0_NS1_11comp_targetILNS1_3genE9ELNS1_11target_archE1100ELNS1_3gpuE3ELNS1_3repE0EEENS1_38merge_mergepath_config_static_selectorELNS0_4arch9wavefront6targetE0EEEvSK_
	.p2align	8
	.type	_ZN7rocprim17ROCPRIM_400000_NS6detail17trampoline_kernelINS0_14default_configENS1_38merge_sort_block_merge_config_selectorIxNS0_10empty_typeEEEZZNS1_27merge_sort_block_merge_implIS3_N6thrust23THRUST_200600_302600_NS6detail15normal_iteratorINS9_10device_ptrIxEEEEPS5_m11less_div_10IxEEE10hipError_tT0_T1_T2_jT3_P12ihipStream_tbPNSt15iterator_traitsISJ_E10value_typeEPNSP_ISK_E10value_typeEPSL_NS1_7vsmem_tEENKUlT_SJ_SK_SL_E_clISE_PxSF_SF_EESI_SY_SJ_SK_SL_EUlSY_E0_NS1_11comp_targetILNS1_3genE9ELNS1_11target_archE1100ELNS1_3gpuE3ELNS1_3repE0EEENS1_38merge_mergepath_config_static_selectorELNS0_4arch9wavefront6targetE0EEEvSK_,@function
_ZN7rocprim17ROCPRIM_400000_NS6detail17trampoline_kernelINS0_14default_configENS1_38merge_sort_block_merge_config_selectorIxNS0_10empty_typeEEEZZNS1_27merge_sort_block_merge_implIS3_N6thrust23THRUST_200600_302600_NS6detail15normal_iteratorINS9_10device_ptrIxEEEEPS5_m11less_div_10IxEEE10hipError_tT0_T1_T2_jT3_P12ihipStream_tbPNSt15iterator_traitsISJ_E10value_typeEPNSP_ISK_E10value_typeEPSL_NS1_7vsmem_tEENKUlT_SJ_SK_SL_E_clISE_PxSF_SF_EESI_SY_SJ_SK_SL_EUlSY_E0_NS1_11comp_targetILNS1_3genE9ELNS1_11target_archE1100ELNS1_3gpuE3ELNS1_3repE0EEENS1_38merge_mergepath_config_static_selectorELNS0_4arch9wavefront6targetE0EEEvSK_: ; @_ZN7rocprim17ROCPRIM_400000_NS6detail17trampoline_kernelINS0_14default_configENS1_38merge_sort_block_merge_config_selectorIxNS0_10empty_typeEEEZZNS1_27merge_sort_block_merge_implIS3_N6thrust23THRUST_200600_302600_NS6detail15normal_iteratorINS9_10device_ptrIxEEEEPS5_m11less_div_10IxEEE10hipError_tT0_T1_T2_jT3_P12ihipStream_tbPNSt15iterator_traitsISJ_E10value_typeEPNSP_ISK_E10value_typeEPSL_NS1_7vsmem_tEENKUlT_SJ_SK_SL_E_clISE_PxSF_SF_EESI_SY_SJ_SK_SL_EUlSY_E0_NS1_11comp_targetILNS1_3genE9ELNS1_11target_archE1100ELNS1_3gpuE3ELNS1_3repE0EEENS1_38merge_mergepath_config_static_selectorELNS0_4arch9wavefront6targetE0EEEvSK_
; %bb.0:
	.section	.rodata,"a",@progbits
	.p2align	6, 0x0
	.amdhsa_kernel _ZN7rocprim17ROCPRIM_400000_NS6detail17trampoline_kernelINS0_14default_configENS1_38merge_sort_block_merge_config_selectorIxNS0_10empty_typeEEEZZNS1_27merge_sort_block_merge_implIS3_N6thrust23THRUST_200600_302600_NS6detail15normal_iteratorINS9_10device_ptrIxEEEEPS5_m11less_div_10IxEEE10hipError_tT0_T1_T2_jT3_P12ihipStream_tbPNSt15iterator_traitsISJ_E10value_typeEPNSP_ISK_E10value_typeEPSL_NS1_7vsmem_tEENKUlT_SJ_SK_SL_E_clISE_PxSF_SF_EESI_SY_SJ_SK_SL_EUlSY_E0_NS1_11comp_targetILNS1_3genE9ELNS1_11target_archE1100ELNS1_3gpuE3ELNS1_3repE0EEENS1_38merge_mergepath_config_static_selectorELNS0_4arch9wavefront6targetE0EEEvSK_
		.amdhsa_group_segment_fixed_size 0
		.amdhsa_private_segment_fixed_size 0
		.amdhsa_kernarg_size 72
		.amdhsa_user_sgpr_count 6
		.amdhsa_user_sgpr_private_segment_buffer 1
		.amdhsa_user_sgpr_dispatch_ptr 0
		.amdhsa_user_sgpr_queue_ptr 0
		.amdhsa_user_sgpr_kernarg_segment_ptr 1
		.amdhsa_user_sgpr_dispatch_id 0
		.amdhsa_user_sgpr_flat_scratch_init 0
		.amdhsa_user_sgpr_private_segment_size 0
		.amdhsa_wavefront_size32 1
		.amdhsa_uses_dynamic_stack 0
		.amdhsa_system_sgpr_private_segment_wavefront_offset 0
		.amdhsa_system_sgpr_workgroup_id_x 1
		.amdhsa_system_sgpr_workgroup_id_y 0
		.amdhsa_system_sgpr_workgroup_id_z 0
		.amdhsa_system_sgpr_workgroup_info 0
		.amdhsa_system_vgpr_workitem_id 0
		.amdhsa_next_free_vgpr 1
		.amdhsa_next_free_sgpr 1
		.amdhsa_reserve_vcc 0
		.amdhsa_reserve_flat_scratch 0
		.amdhsa_float_round_mode_32 0
		.amdhsa_float_round_mode_16_64 0
		.amdhsa_float_denorm_mode_32 3
		.amdhsa_float_denorm_mode_16_64 3
		.amdhsa_dx10_clamp 1
		.amdhsa_ieee_mode 1
		.amdhsa_fp16_overflow 0
		.amdhsa_workgroup_processor_mode 1
		.amdhsa_memory_ordered 1
		.amdhsa_forward_progress 1
		.amdhsa_shared_vgpr_count 0
		.amdhsa_exception_fp_ieee_invalid_op 0
		.amdhsa_exception_fp_denorm_src 0
		.amdhsa_exception_fp_ieee_div_zero 0
		.amdhsa_exception_fp_ieee_overflow 0
		.amdhsa_exception_fp_ieee_underflow 0
		.amdhsa_exception_fp_ieee_inexact 0
		.amdhsa_exception_int_div_zero 0
	.end_amdhsa_kernel
	.section	.text._ZN7rocprim17ROCPRIM_400000_NS6detail17trampoline_kernelINS0_14default_configENS1_38merge_sort_block_merge_config_selectorIxNS0_10empty_typeEEEZZNS1_27merge_sort_block_merge_implIS3_N6thrust23THRUST_200600_302600_NS6detail15normal_iteratorINS9_10device_ptrIxEEEEPS5_m11less_div_10IxEEE10hipError_tT0_T1_T2_jT3_P12ihipStream_tbPNSt15iterator_traitsISJ_E10value_typeEPNSP_ISK_E10value_typeEPSL_NS1_7vsmem_tEENKUlT_SJ_SK_SL_E_clISE_PxSF_SF_EESI_SY_SJ_SK_SL_EUlSY_E0_NS1_11comp_targetILNS1_3genE9ELNS1_11target_archE1100ELNS1_3gpuE3ELNS1_3repE0EEENS1_38merge_mergepath_config_static_selectorELNS0_4arch9wavefront6targetE0EEEvSK_,"axG",@progbits,_ZN7rocprim17ROCPRIM_400000_NS6detail17trampoline_kernelINS0_14default_configENS1_38merge_sort_block_merge_config_selectorIxNS0_10empty_typeEEEZZNS1_27merge_sort_block_merge_implIS3_N6thrust23THRUST_200600_302600_NS6detail15normal_iteratorINS9_10device_ptrIxEEEEPS5_m11less_div_10IxEEE10hipError_tT0_T1_T2_jT3_P12ihipStream_tbPNSt15iterator_traitsISJ_E10value_typeEPNSP_ISK_E10value_typeEPSL_NS1_7vsmem_tEENKUlT_SJ_SK_SL_E_clISE_PxSF_SF_EESI_SY_SJ_SK_SL_EUlSY_E0_NS1_11comp_targetILNS1_3genE9ELNS1_11target_archE1100ELNS1_3gpuE3ELNS1_3repE0EEENS1_38merge_mergepath_config_static_selectorELNS0_4arch9wavefront6targetE0EEEvSK_,comdat
.Lfunc_end374:
	.size	_ZN7rocprim17ROCPRIM_400000_NS6detail17trampoline_kernelINS0_14default_configENS1_38merge_sort_block_merge_config_selectorIxNS0_10empty_typeEEEZZNS1_27merge_sort_block_merge_implIS3_N6thrust23THRUST_200600_302600_NS6detail15normal_iteratorINS9_10device_ptrIxEEEEPS5_m11less_div_10IxEEE10hipError_tT0_T1_T2_jT3_P12ihipStream_tbPNSt15iterator_traitsISJ_E10value_typeEPNSP_ISK_E10value_typeEPSL_NS1_7vsmem_tEENKUlT_SJ_SK_SL_E_clISE_PxSF_SF_EESI_SY_SJ_SK_SL_EUlSY_E0_NS1_11comp_targetILNS1_3genE9ELNS1_11target_archE1100ELNS1_3gpuE3ELNS1_3repE0EEENS1_38merge_mergepath_config_static_selectorELNS0_4arch9wavefront6targetE0EEEvSK_, .Lfunc_end374-_ZN7rocprim17ROCPRIM_400000_NS6detail17trampoline_kernelINS0_14default_configENS1_38merge_sort_block_merge_config_selectorIxNS0_10empty_typeEEEZZNS1_27merge_sort_block_merge_implIS3_N6thrust23THRUST_200600_302600_NS6detail15normal_iteratorINS9_10device_ptrIxEEEEPS5_m11less_div_10IxEEE10hipError_tT0_T1_T2_jT3_P12ihipStream_tbPNSt15iterator_traitsISJ_E10value_typeEPNSP_ISK_E10value_typeEPSL_NS1_7vsmem_tEENKUlT_SJ_SK_SL_E_clISE_PxSF_SF_EESI_SY_SJ_SK_SL_EUlSY_E0_NS1_11comp_targetILNS1_3genE9ELNS1_11target_archE1100ELNS1_3gpuE3ELNS1_3repE0EEENS1_38merge_mergepath_config_static_selectorELNS0_4arch9wavefront6targetE0EEEvSK_
                                        ; -- End function
	.set _ZN7rocprim17ROCPRIM_400000_NS6detail17trampoline_kernelINS0_14default_configENS1_38merge_sort_block_merge_config_selectorIxNS0_10empty_typeEEEZZNS1_27merge_sort_block_merge_implIS3_N6thrust23THRUST_200600_302600_NS6detail15normal_iteratorINS9_10device_ptrIxEEEEPS5_m11less_div_10IxEEE10hipError_tT0_T1_T2_jT3_P12ihipStream_tbPNSt15iterator_traitsISJ_E10value_typeEPNSP_ISK_E10value_typeEPSL_NS1_7vsmem_tEENKUlT_SJ_SK_SL_E_clISE_PxSF_SF_EESI_SY_SJ_SK_SL_EUlSY_E0_NS1_11comp_targetILNS1_3genE9ELNS1_11target_archE1100ELNS1_3gpuE3ELNS1_3repE0EEENS1_38merge_mergepath_config_static_selectorELNS0_4arch9wavefront6targetE0EEEvSK_.num_vgpr, 0
	.set _ZN7rocprim17ROCPRIM_400000_NS6detail17trampoline_kernelINS0_14default_configENS1_38merge_sort_block_merge_config_selectorIxNS0_10empty_typeEEEZZNS1_27merge_sort_block_merge_implIS3_N6thrust23THRUST_200600_302600_NS6detail15normal_iteratorINS9_10device_ptrIxEEEEPS5_m11less_div_10IxEEE10hipError_tT0_T1_T2_jT3_P12ihipStream_tbPNSt15iterator_traitsISJ_E10value_typeEPNSP_ISK_E10value_typeEPSL_NS1_7vsmem_tEENKUlT_SJ_SK_SL_E_clISE_PxSF_SF_EESI_SY_SJ_SK_SL_EUlSY_E0_NS1_11comp_targetILNS1_3genE9ELNS1_11target_archE1100ELNS1_3gpuE3ELNS1_3repE0EEENS1_38merge_mergepath_config_static_selectorELNS0_4arch9wavefront6targetE0EEEvSK_.num_agpr, 0
	.set _ZN7rocprim17ROCPRIM_400000_NS6detail17trampoline_kernelINS0_14default_configENS1_38merge_sort_block_merge_config_selectorIxNS0_10empty_typeEEEZZNS1_27merge_sort_block_merge_implIS3_N6thrust23THRUST_200600_302600_NS6detail15normal_iteratorINS9_10device_ptrIxEEEEPS5_m11less_div_10IxEEE10hipError_tT0_T1_T2_jT3_P12ihipStream_tbPNSt15iterator_traitsISJ_E10value_typeEPNSP_ISK_E10value_typeEPSL_NS1_7vsmem_tEENKUlT_SJ_SK_SL_E_clISE_PxSF_SF_EESI_SY_SJ_SK_SL_EUlSY_E0_NS1_11comp_targetILNS1_3genE9ELNS1_11target_archE1100ELNS1_3gpuE3ELNS1_3repE0EEENS1_38merge_mergepath_config_static_selectorELNS0_4arch9wavefront6targetE0EEEvSK_.numbered_sgpr, 0
	.set _ZN7rocprim17ROCPRIM_400000_NS6detail17trampoline_kernelINS0_14default_configENS1_38merge_sort_block_merge_config_selectorIxNS0_10empty_typeEEEZZNS1_27merge_sort_block_merge_implIS3_N6thrust23THRUST_200600_302600_NS6detail15normal_iteratorINS9_10device_ptrIxEEEEPS5_m11less_div_10IxEEE10hipError_tT0_T1_T2_jT3_P12ihipStream_tbPNSt15iterator_traitsISJ_E10value_typeEPNSP_ISK_E10value_typeEPSL_NS1_7vsmem_tEENKUlT_SJ_SK_SL_E_clISE_PxSF_SF_EESI_SY_SJ_SK_SL_EUlSY_E0_NS1_11comp_targetILNS1_3genE9ELNS1_11target_archE1100ELNS1_3gpuE3ELNS1_3repE0EEENS1_38merge_mergepath_config_static_selectorELNS0_4arch9wavefront6targetE0EEEvSK_.num_named_barrier, 0
	.set _ZN7rocprim17ROCPRIM_400000_NS6detail17trampoline_kernelINS0_14default_configENS1_38merge_sort_block_merge_config_selectorIxNS0_10empty_typeEEEZZNS1_27merge_sort_block_merge_implIS3_N6thrust23THRUST_200600_302600_NS6detail15normal_iteratorINS9_10device_ptrIxEEEEPS5_m11less_div_10IxEEE10hipError_tT0_T1_T2_jT3_P12ihipStream_tbPNSt15iterator_traitsISJ_E10value_typeEPNSP_ISK_E10value_typeEPSL_NS1_7vsmem_tEENKUlT_SJ_SK_SL_E_clISE_PxSF_SF_EESI_SY_SJ_SK_SL_EUlSY_E0_NS1_11comp_targetILNS1_3genE9ELNS1_11target_archE1100ELNS1_3gpuE3ELNS1_3repE0EEENS1_38merge_mergepath_config_static_selectorELNS0_4arch9wavefront6targetE0EEEvSK_.private_seg_size, 0
	.set _ZN7rocprim17ROCPRIM_400000_NS6detail17trampoline_kernelINS0_14default_configENS1_38merge_sort_block_merge_config_selectorIxNS0_10empty_typeEEEZZNS1_27merge_sort_block_merge_implIS3_N6thrust23THRUST_200600_302600_NS6detail15normal_iteratorINS9_10device_ptrIxEEEEPS5_m11less_div_10IxEEE10hipError_tT0_T1_T2_jT3_P12ihipStream_tbPNSt15iterator_traitsISJ_E10value_typeEPNSP_ISK_E10value_typeEPSL_NS1_7vsmem_tEENKUlT_SJ_SK_SL_E_clISE_PxSF_SF_EESI_SY_SJ_SK_SL_EUlSY_E0_NS1_11comp_targetILNS1_3genE9ELNS1_11target_archE1100ELNS1_3gpuE3ELNS1_3repE0EEENS1_38merge_mergepath_config_static_selectorELNS0_4arch9wavefront6targetE0EEEvSK_.uses_vcc, 0
	.set _ZN7rocprim17ROCPRIM_400000_NS6detail17trampoline_kernelINS0_14default_configENS1_38merge_sort_block_merge_config_selectorIxNS0_10empty_typeEEEZZNS1_27merge_sort_block_merge_implIS3_N6thrust23THRUST_200600_302600_NS6detail15normal_iteratorINS9_10device_ptrIxEEEEPS5_m11less_div_10IxEEE10hipError_tT0_T1_T2_jT3_P12ihipStream_tbPNSt15iterator_traitsISJ_E10value_typeEPNSP_ISK_E10value_typeEPSL_NS1_7vsmem_tEENKUlT_SJ_SK_SL_E_clISE_PxSF_SF_EESI_SY_SJ_SK_SL_EUlSY_E0_NS1_11comp_targetILNS1_3genE9ELNS1_11target_archE1100ELNS1_3gpuE3ELNS1_3repE0EEENS1_38merge_mergepath_config_static_selectorELNS0_4arch9wavefront6targetE0EEEvSK_.uses_flat_scratch, 0
	.set _ZN7rocprim17ROCPRIM_400000_NS6detail17trampoline_kernelINS0_14default_configENS1_38merge_sort_block_merge_config_selectorIxNS0_10empty_typeEEEZZNS1_27merge_sort_block_merge_implIS3_N6thrust23THRUST_200600_302600_NS6detail15normal_iteratorINS9_10device_ptrIxEEEEPS5_m11less_div_10IxEEE10hipError_tT0_T1_T2_jT3_P12ihipStream_tbPNSt15iterator_traitsISJ_E10value_typeEPNSP_ISK_E10value_typeEPSL_NS1_7vsmem_tEENKUlT_SJ_SK_SL_E_clISE_PxSF_SF_EESI_SY_SJ_SK_SL_EUlSY_E0_NS1_11comp_targetILNS1_3genE9ELNS1_11target_archE1100ELNS1_3gpuE3ELNS1_3repE0EEENS1_38merge_mergepath_config_static_selectorELNS0_4arch9wavefront6targetE0EEEvSK_.has_dyn_sized_stack, 0
	.set _ZN7rocprim17ROCPRIM_400000_NS6detail17trampoline_kernelINS0_14default_configENS1_38merge_sort_block_merge_config_selectorIxNS0_10empty_typeEEEZZNS1_27merge_sort_block_merge_implIS3_N6thrust23THRUST_200600_302600_NS6detail15normal_iteratorINS9_10device_ptrIxEEEEPS5_m11less_div_10IxEEE10hipError_tT0_T1_T2_jT3_P12ihipStream_tbPNSt15iterator_traitsISJ_E10value_typeEPNSP_ISK_E10value_typeEPSL_NS1_7vsmem_tEENKUlT_SJ_SK_SL_E_clISE_PxSF_SF_EESI_SY_SJ_SK_SL_EUlSY_E0_NS1_11comp_targetILNS1_3genE9ELNS1_11target_archE1100ELNS1_3gpuE3ELNS1_3repE0EEENS1_38merge_mergepath_config_static_selectorELNS0_4arch9wavefront6targetE0EEEvSK_.has_recursion, 0
	.set _ZN7rocprim17ROCPRIM_400000_NS6detail17trampoline_kernelINS0_14default_configENS1_38merge_sort_block_merge_config_selectorIxNS0_10empty_typeEEEZZNS1_27merge_sort_block_merge_implIS3_N6thrust23THRUST_200600_302600_NS6detail15normal_iteratorINS9_10device_ptrIxEEEEPS5_m11less_div_10IxEEE10hipError_tT0_T1_T2_jT3_P12ihipStream_tbPNSt15iterator_traitsISJ_E10value_typeEPNSP_ISK_E10value_typeEPSL_NS1_7vsmem_tEENKUlT_SJ_SK_SL_E_clISE_PxSF_SF_EESI_SY_SJ_SK_SL_EUlSY_E0_NS1_11comp_targetILNS1_3genE9ELNS1_11target_archE1100ELNS1_3gpuE3ELNS1_3repE0EEENS1_38merge_mergepath_config_static_selectorELNS0_4arch9wavefront6targetE0EEEvSK_.has_indirect_call, 0
	.section	.AMDGPU.csdata,"",@progbits
; Kernel info:
; codeLenInByte = 0
; TotalNumSgprs: 0
; NumVgprs: 0
; ScratchSize: 0
; MemoryBound: 0
; FloatMode: 240
; IeeeMode: 1
; LDSByteSize: 0 bytes/workgroup (compile time only)
; SGPRBlocks: 0
; VGPRBlocks: 0
; NumSGPRsForWavesPerEU: 1
; NumVGPRsForWavesPerEU: 1
; Occupancy: 16
; WaveLimiterHint : 0
; COMPUTE_PGM_RSRC2:SCRATCH_EN: 0
; COMPUTE_PGM_RSRC2:USER_SGPR: 6
; COMPUTE_PGM_RSRC2:TRAP_HANDLER: 0
; COMPUTE_PGM_RSRC2:TGID_X_EN: 1
; COMPUTE_PGM_RSRC2:TGID_Y_EN: 0
; COMPUTE_PGM_RSRC2:TGID_Z_EN: 0
; COMPUTE_PGM_RSRC2:TIDIG_COMP_CNT: 0
	.section	.text._ZN7rocprim17ROCPRIM_400000_NS6detail17trampoline_kernelINS0_14default_configENS1_38merge_sort_block_merge_config_selectorIxNS0_10empty_typeEEEZZNS1_27merge_sort_block_merge_implIS3_N6thrust23THRUST_200600_302600_NS6detail15normal_iteratorINS9_10device_ptrIxEEEEPS5_m11less_div_10IxEEE10hipError_tT0_T1_T2_jT3_P12ihipStream_tbPNSt15iterator_traitsISJ_E10value_typeEPNSP_ISK_E10value_typeEPSL_NS1_7vsmem_tEENKUlT_SJ_SK_SL_E_clISE_PxSF_SF_EESI_SY_SJ_SK_SL_EUlSY_E0_NS1_11comp_targetILNS1_3genE8ELNS1_11target_archE1030ELNS1_3gpuE2ELNS1_3repE0EEENS1_38merge_mergepath_config_static_selectorELNS0_4arch9wavefront6targetE0EEEvSK_,"axG",@progbits,_ZN7rocprim17ROCPRIM_400000_NS6detail17trampoline_kernelINS0_14default_configENS1_38merge_sort_block_merge_config_selectorIxNS0_10empty_typeEEEZZNS1_27merge_sort_block_merge_implIS3_N6thrust23THRUST_200600_302600_NS6detail15normal_iteratorINS9_10device_ptrIxEEEEPS5_m11less_div_10IxEEE10hipError_tT0_T1_T2_jT3_P12ihipStream_tbPNSt15iterator_traitsISJ_E10value_typeEPNSP_ISK_E10value_typeEPSL_NS1_7vsmem_tEENKUlT_SJ_SK_SL_E_clISE_PxSF_SF_EESI_SY_SJ_SK_SL_EUlSY_E0_NS1_11comp_targetILNS1_3genE8ELNS1_11target_archE1030ELNS1_3gpuE2ELNS1_3repE0EEENS1_38merge_mergepath_config_static_selectorELNS0_4arch9wavefront6targetE0EEEvSK_,comdat
	.protected	_ZN7rocprim17ROCPRIM_400000_NS6detail17trampoline_kernelINS0_14default_configENS1_38merge_sort_block_merge_config_selectorIxNS0_10empty_typeEEEZZNS1_27merge_sort_block_merge_implIS3_N6thrust23THRUST_200600_302600_NS6detail15normal_iteratorINS9_10device_ptrIxEEEEPS5_m11less_div_10IxEEE10hipError_tT0_T1_T2_jT3_P12ihipStream_tbPNSt15iterator_traitsISJ_E10value_typeEPNSP_ISK_E10value_typeEPSL_NS1_7vsmem_tEENKUlT_SJ_SK_SL_E_clISE_PxSF_SF_EESI_SY_SJ_SK_SL_EUlSY_E0_NS1_11comp_targetILNS1_3genE8ELNS1_11target_archE1030ELNS1_3gpuE2ELNS1_3repE0EEENS1_38merge_mergepath_config_static_selectorELNS0_4arch9wavefront6targetE0EEEvSK_ ; -- Begin function _ZN7rocprim17ROCPRIM_400000_NS6detail17trampoline_kernelINS0_14default_configENS1_38merge_sort_block_merge_config_selectorIxNS0_10empty_typeEEEZZNS1_27merge_sort_block_merge_implIS3_N6thrust23THRUST_200600_302600_NS6detail15normal_iteratorINS9_10device_ptrIxEEEEPS5_m11less_div_10IxEEE10hipError_tT0_T1_T2_jT3_P12ihipStream_tbPNSt15iterator_traitsISJ_E10value_typeEPNSP_ISK_E10value_typeEPSL_NS1_7vsmem_tEENKUlT_SJ_SK_SL_E_clISE_PxSF_SF_EESI_SY_SJ_SK_SL_EUlSY_E0_NS1_11comp_targetILNS1_3genE8ELNS1_11target_archE1030ELNS1_3gpuE2ELNS1_3repE0EEENS1_38merge_mergepath_config_static_selectorELNS0_4arch9wavefront6targetE0EEEvSK_
	.globl	_ZN7rocprim17ROCPRIM_400000_NS6detail17trampoline_kernelINS0_14default_configENS1_38merge_sort_block_merge_config_selectorIxNS0_10empty_typeEEEZZNS1_27merge_sort_block_merge_implIS3_N6thrust23THRUST_200600_302600_NS6detail15normal_iteratorINS9_10device_ptrIxEEEEPS5_m11less_div_10IxEEE10hipError_tT0_T1_T2_jT3_P12ihipStream_tbPNSt15iterator_traitsISJ_E10value_typeEPNSP_ISK_E10value_typeEPSL_NS1_7vsmem_tEENKUlT_SJ_SK_SL_E_clISE_PxSF_SF_EESI_SY_SJ_SK_SL_EUlSY_E0_NS1_11comp_targetILNS1_3genE8ELNS1_11target_archE1030ELNS1_3gpuE2ELNS1_3repE0EEENS1_38merge_mergepath_config_static_selectorELNS0_4arch9wavefront6targetE0EEEvSK_
	.p2align	8
	.type	_ZN7rocprim17ROCPRIM_400000_NS6detail17trampoline_kernelINS0_14default_configENS1_38merge_sort_block_merge_config_selectorIxNS0_10empty_typeEEEZZNS1_27merge_sort_block_merge_implIS3_N6thrust23THRUST_200600_302600_NS6detail15normal_iteratorINS9_10device_ptrIxEEEEPS5_m11less_div_10IxEEE10hipError_tT0_T1_T2_jT3_P12ihipStream_tbPNSt15iterator_traitsISJ_E10value_typeEPNSP_ISK_E10value_typeEPSL_NS1_7vsmem_tEENKUlT_SJ_SK_SL_E_clISE_PxSF_SF_EESI_SY_SJ_SK_SL_EUlSY_E0_NS1_11comp_targetILNS1_3genE8ELNS1_11target_archE1030ELNS1_3gpuE2ELNS1_3repE0EEENS1_38merge_mergepath_config_static_selectorELNS0_4arch9wavefront6targetE0EEEvSK_,@function
_ZN7rocprim17ROCPRIM_400000_NS6detail17trampoline_kernelINS0_14default_configENS1_38merge_sort_block_merge_config_selectorIxNS0_10empty_typeEEEZZNS1_27merge_sort_block_merge_implIS3_N6thrust23THRUST_200600_302600_NS6detail15normal_iteratorINS9_10device_ptrIxEEEEPS5_m11less_div_10IxEEE10hipError_tT0_T1_T2_jT3_P12ihipStream_tbPNSt15iterator_traitsISJ_E10value_typeEPNSP_ISK_E10value_typeEPSL_NS1_7vsmem_tEENKUlT_SJ_SK_SL_E_clISE_PxSF_SF_EESI_SY_SJ_SK_SL_EUlSY_E0_NS1_11comp_targetILNS1_3genE8ELNS1_11target_archE1030ELNS1_3gpuE2ELNS1_3repE0EEENS1_38merge_mergepath_config_static_selectorELNS0_4arch9wavefront6targetE0EEEvSK_: ; @_ZN7rocprim17ROCPRIM_400000_NS6detail17trampoline_kernelINS0_14default_configENS1_38merge_sort_block_merge_config_selectorIxNS0_10empty_typeEEEZZNS1_27merge_sort_block_merge_implIS3_N6thrust23THRUST_200600_302600_NS6detail15normal_iteratorINS9_10device_ptrIxEEEEPS5_m11less_div_10IxEEE10hipError_tT0_T1_T2_jT3_P12ihipStream_tbPNSt15iterator_traitsISJ_E10value_typeEPNSP_ISK_E10value_typeEPSL_NS1_7vsmem_tEENKUlT_SJ_SK_SL_E_clISE_PxSF_SF_EESI_SY_SJ_SK_SL_EUlSY_E0_NS1_11comp_targetILNS1_3genE8ELNS1_11target_archE1030ELNS1_3gpuE2ELNS1_3repE0EEENS1_38merge_mergepath_config_static_selectorELNS0_4arch9wavefront6targetE0EEEvSK_
; %bb.0:
	s_clause 0x1
	s_load_dwordx2 s[0:1], s[4:5], 0x48
	s_load_dword s2, s[4:5], 0x38
	s_waitcnt lgkmcnt(0)
	s_mul_i32 s1, s1, s8
	s_add_i32 s1, s1, s7
	s_mul_i32 s0, s1, s0
	s_add_i32 s16, s0, s6
	s_cmp_ge_u32 s16, s2
	s_cbranch_scc1 .LBB375_28
; %bb.1:
	s_clause 0x1
	s_load_dwordx2 s[0:1], s[4:5], 0x40
	s_load_dwordx4 s[8:11], s[4:5], 0x28
	s_mov_b32 s17, 0
	s_lshl_b64 s[2:3], s[16:17], 3
	s_waitcnt lgkmcnt(0)
	s_add_u32 s0, s0, s2
	s_addc_u32 s1, s1, s3
	s_lshl_b64 s[6:7], s[16:17], 10
	s_load_dwordx4 s[12:15], s[0:1], 0x0
	s_lshr_b64 s[0:1], s[10:11], 9
	s_mov_b32 s1, s17
	s_and_b32 s0, s0, -2
	s_sub_i32 s23, 0, s0
	s_and_b32 s0, s16, s23
	s_lshl_b64 s[18:19], s[0:1], 10
	s_sub_u32 s24, s6, s18
	s_subb_u32 s25, s7, s19
	s_lshl_b64 s[20:21], s[0:1], 11
	s_load_dwordx4 s[0:3], s[4:5], 0x8
	s_add_u32 s4, s20, s10
	s_addc_u32 s22, s21, s11
	s_add_u32 s5, s4, s24
	s_addc_u32 s20, s22, s25
	s_waitcnt lgkmcnt(0)
	s_sub_u32 s21, s5, s14
	s_subb_u32 s15, s20, s15
	s_add_u32 s24, s21, 0x400
	s_addc_u32 s25, s15, 0
	v_cmp_lt_u64_e64 s15, s[8:9], s[24:25]
	s_and_b32 s15, s15, exec_lo
	s_cselect_b32 s21, s8, s24
	s_or_b32 s15, s16, s23
	s_cmp_lg_u32 s15, -1
	s_mov_b32 s15, -1
	s_cbranch_scc1 .LBB375_3
; %bb.2:
	s_sub_u32 s18, s4, s18
	s_subb_u32 s19, s22, s19
	v_cmp_lt_u64_e64 s4, s[8:9], s[18:19]
	s_and_b32 s4, s4, exec_lo
	s_cselect_b32 s14, s8, s18
	s_add_u32 s10, s18, s10
	s_addc_u32 s11, s19, s11
	v_cmp_lt_u64_e64 s4, s[8:9], s[10:11]
	s_and_b32 s4, s4, exec_lo
	s_cselect_b32 s21, s8, s10
.LBB375_3:
	s_lshr_b64 s[18:19], s[8:9], 10
	v_lshlrev_b32_e32 v5, 3, v0
	s_cmp_lg_u64 s[18:19], s[16:17]
	s_cselect_b32 s4, -1, 0
	s_sub_u32 s10, s5, s12
	s_subb_u32 s11, s20, s13
	v_cmp_lt_u64_e64 s5, s[8:9], s[10:11]
	s_and_b32 s5, s5, exec_lo
	s_cselect_b32 s10, s8, s10
	s_cselect_b32 s11, s9, s11
	s_sub_i32 s5, s14, s12
	s_lshl_b64 s[12:13], s[12:13], 3
	s_sub_i32 s9, s21, s10
	s_add_u32 s12, s0, s12
	s_addc_u32 s13, s1, s13
	s_lshl_b64 s[10:11], s[10:11], 3
	s_add_u32 s10, s0, s10
	s_addc_u32 s11, s1, s11
	s_cmp_eq_u64 s[18:19], s[16:17]
	s_cbranch_scc1 .LBB375_5
; %bb.4:
	v_sub_co_u32 v1, vcc_lo, v0, s5
	v_mov_b32_e32 v2, 0
	v_add_co_u32 v3, s0, s12, v5
	v_add_co_ci_u32_e64 v4, null, s13, 0, s0
	v_lshlrev_b64 v[1:2], 3, v[1:2]
	s_add_i32 s1, s5, s9
	s_mov_b32 s17, -1
	v_add_co_u32 v1, s0, s10, v1
	v_add_co_ci_u32_e64 v2, null, s11, v2, s0
	v_cndmask_b32_e32 v3, v1, v3, vcc_lo
	v_cndmask_b32_e32 v4, v2, v4, vcc_lo
	s_cbranch_execz .LBB375_6
	s_branch .LBB375_9
.LBB375_5:
                                        ; implicit-def: $vgpr3_vgpr4
                                        ; implicit-def: $sgpr1
	s_andn2_b32 vcc_lo, exec_lo, s15
	s_cbranch_vccnz .LBB375_9
.LBB375_6:
	s_add_i32 s1, s5, s9
	s_mov_b32 s14, exec_lo
                                        ; implicit-def: $vgpr3_vgpr4
	v_cmpx_gt_u32_e64 s1, v0
	s_cbranch_execz .LBB375_8
; %bb.7:
	v_sub_co_u32 v1, vcc_lo, v0, s5
	v_mov_b32_e32 v2, 0
	v_add_co_u32 v3, s0, s12, v5
	v_add_co_ci_u32_e64 v4, null, s13, 0, s0
	v_lshlrev_b64 v[1:2], 3, v[1:2]
	s_or_b32 s17, s17, exec_lo
	v_add_co_u32 v1, s0, s10, v1
	v_add_co_ci_u32_e64 v2, null, s11, v2, s0
	v_cndmask_b32_e32 v3, v1, v3, vcc_lo
	v_cndmask_b32_e32 v4, v2, v4, vcc_lo
.LBB375_8:
	s_or_b32 exec_lo, exec_lo, s14
.LBB375_9:
	v_mov_b32_e32 v6, s1
                                        ; implicit-def: $vgpr1_vgpr2
	s_and_saveexec_b32 s0, s17
	s_cbranch_execz .LBB375_11
; %bb.10:
	global_load_dwordx2 v[1:2], v[3:4], off
	v_mov_b32_e32 v6, s1
.LBB375_11:
	s_or_b32 exec_lo, exec_lo, s0
	v_min_u32_e32 v4, v6, v0
	s_mov_b32 s0, exec_lo
	s_waitcnt vmcnt(0)
	ds_write_b64 v5, v[1:2]
	s_waitcnt lgkmcnt(0)
	s_barrier
	v_sub_nc_u32_e64 v3, v4, s9 clamp
	v_min_u32_e32 v7, s5, v4
	buffer_gl0_inv
	v_cmpx_lt_u32_e64 v3, v7
	s_cbranch_execz .LBB375_15
; %bb.12:
	v_lshlrev_b32_e32 v8, 3, v4
	s_mov_b32 s1, 0
	v_lshl_add_u32 v8, s5, 3, v8
	.p2align	6
.LBB375_13:                             ; =>This Inner Loop Header: Depth=1
	v_add_nc_u32_e32 v9, v7, v3
	v_lshrrev_b32_e32 v9, 1, v9
	v_not_b32_e32 v10, v9
	v_lshlrev_b32_e32 v11, 3, v9
	v_lshl_add_u32 v10, v10, 3, v8
	ds_read_b32 v11, v11
	ds_read_b32 v10, v10
	s_waitcnt lgkmcnt(1)
	v_mul_hi_i32 v11, 0x66666667, v11
	s_waitcnt lgkmcnt(0)
	v_mul_hi_i32 v10, 0x66666667, v10
	v_lshrrev_b32_e32 v12, 31, v11
	v_ashrrev_i32_e32 v11, 2, v11
	v_lshrrev_b32_e32 v13, 31, v10
	v_ashrrev_i32_e32 v10, 2, v10
	v_add_nc_u32_e32 v11, v11, v12
	v_add_nc_u32_e32 v12, 1, v9
	;; [unrolled: 1-line block ×3, first 2 shown]
	v_cmp_lt_i32_e32 vcc_lo, v10, v11
	v_cndmask_b32_e32 v7, v7, v9, vcc_lo
	v_cndmask_b32_e32 v3, v12, v3, vcc_lo
	v_cmp_ge_u32_e32 vcc_lo, v3, v7
	s_or_b32 s1, vcc_lo, s1
	s_andn2_b32 exec_lo, exec_lo, s1
	s_cbranch_execnz .LBB375_13
; %bb.14:
	s_or_b32 exec_lo, exec_lo, s1
.LBB375_15:
	s_or_b32 exec_lo, exec_lo, s0
	v_sub_nc_u32_e32 v4, v4, v3
	v_cmp_ge_u32_e32 vcc_lo, s5, v3
	v_add_nc_u32_e32 v7, s5, v4
	v_cmp_le_u32_e64 s0, v7, v6
	s_or_b32 s0, vcc_lo, s0
	s_and_saveexec_b32 s1, s0
	s_cbranch_execz .LBB375_23
; %bb.16:
	v_cmp_gt_u32_e64 s0, s5, v3
	v_cmp_le_u32_e32 vcc_lo, s5, v3
                                        ; implicit-def: $vgpr1_vgpr2
	s_and_saveexec_b32 s5, s0
; %bb.17:
	v_lshlrev_b32_e32 v1, 3, v3
	ds_read_b64 v[1:2], v1
; %bb.18:
	s_or_b32 exec_lo, exec_lo, s5
	v_cmp_ge_u32_e64 s5, v7, v6
	s_mov_b32 s9, exec_lo
                                        ; implicit-def: $vgpr3_vgpr4
	v_cmpx_lt_u32_e64 v7, v6
; %bb.19:
	v_lshlrev_b32_e32 v3, 3, v7
	ds_read_b64 v[3:4], v3
; %bb.20:
	s_or_b32 exec_lo, exec_lo, s9
	s_nor_b32 s9, vcc_lo, s5
	s_and_saveexec_b32 s0, s9
	s_cbranch_execz .LBB375_22
; %bb.21:
	s_waitcnt lgkmcnt(0)
	v_mul_hi_i32 v6, 0x66666667, v3
	v_mul_hi_i32 v7, 0x66666667, v1
	s_andn2_b32 s5, s5, exec_lo
	v_lshrrev_b32_e32 v8, 31, v6
	v_ashrrev_i32_e32 v6, 2, v6
	v_lshrrev_b32_e32 v9, 31, v7
	v_ashrrev_i32_e32 v7, 2, v7
	v_add_nc_u32_e32 v6, v6, v8
	v_add_nc_u32_e32 v7, v7, v9
	v_cmp_ge_i32_e32 vcc_lo, v6, v7
	s_and_b32 s9, vcc_lo, exec_lo
	s_or_b32 s5, s5, s9
.LBB375_22:
	s_or_b32 exec_lo, exec_lo, s0
	s_waitcnt lgkmcnt(0)
	v_cndmask_b32_e64 v2, v4, v2, s5
	v_cndmask_b32_e64 v1, v3, v1, s5
.LBB375_23:
	s_or_b32 exec_lo, exec_lo, s1
	s_and_b32 vcc_lo, exec_lo, s4
	s_mov_b32 s0, -1
	s_barrier
	buffer_gl0_inv
	s_barrier
	buffer_gl0_inv
	s_cbranch_vccz .LBB375_25
; %bb.24:
	ds_write_b64 v5, v[1:2]
	s_waitcnt lgkmcnt(0)
	s_barrier
	buffer_gl0_inv
	ds_read_b64 v[3:4], v5
	s_lshl_b64 s[0:1], s[6:7], 3
	s_add_u32 s4, s2, s0
	s_addc_u32 s5, s3, s1
	s_mov_b32 s0, 0
	s_waitcnt lgkmcnt(0)
	global_store_dwordx2 v5, v[3:4], s[4:5]
.LBB375_25:
	s_andn2_b32 vcc_lo, exec_lo, s0
	s_cbranch_vccnz .LBB375_28
; %bb.26:
	s_sub_i32 s0, s8, s6
	ds_write_b64 v5, v[1:2]
	v_cmp_gt_u32_e32 vcc_lo, s0, v0
	s_waitcnt lgkmcnt(0)
	s_waitcnt_vscnt null, 0x0
	s_barrier
	buffer_gl0_inv
	s_and_saveexec_b32 s0, vcc_lo
	s_cbranch_execz .LBB375_28
; %bb.27:
	ds_read_b64 v[0:1], v5
	s_lshl_b64 s[0:1], s[6:7], 3
	s_add_u32 s0, s2, s0
	s_addc_u32 s1, s3, s1
	s_waitcnt lgkmcnt(0)
	global_store_dwordx2 v5, v[0:1], s[0:1]
.LBB375_28:
	s_endpgm
	.section	.rodata,"a",@progbits
	.p2align	6, 0x0
	.amdhsa_kernel _ZN7rocprim17ROCPRIM_400000_NS6detail17trampoline_kernelINS0_14default_configENS1_38merge_sort_block_merge_config_selectorIxNS0_10empty_typeEEEZZNS1_27merge_sort_block_merge_implIS3_N6thrust23THRUST_200600_302600_NS6detail15normal_iteratorINS9_10device_ptrIxEEEEPS5_m11less_div_10IxEEE10hipError_tT0_T1_T2_jT3_P12ihipStream_tbPNSt15iterator_traitsISJ_E10value_typeEPNSP_ISK_E10value_typeEPSL_NS1_7vsmem_tEENKUlT_SJ_SK_SL_E_clISE_PxSF_SF_EESI_SY_SJ_SK_SL_EUlSY_E0_NS1_11comp_targetILNS1_3genE8ELNS1_11target_archE1030ELNS1_3gpuE2ELNS1_3repE0EEENS1_38merge_mergepath_config_static_selectorELNS0_4arch9wavefront6targetE0EEEvSK_
		.amdhsa_group_segment_fixed_size 8208
		.amdhsa_private_segment_fixed_size 0
		.amdhsa_kernarg_size 328
		.amdhsa_user_sgpr_count 6
		.amdhsa_user_sgpr_private_segment_buffer 1
		.amdhsa_user_sgpr_dispatch_ptr 0
		.amdhsa_user_sgpr_queue_ptr 0
		.amdhsa_user_sgpr_kernarg_segment_ptr 1
		.amdhsa_user_sgpr_dispatch_id 0
		.amdhsa_user_sgpr_flat_scratch_init 0
		.amdhsa_user_sgpr_private_segment_size 0
		.amdhsa_wavefront_size32 1
		.amdhsa_uses_dynamic_stack 0
		.amdhsa_system_sgpr_private_segment_wavefront_offset 0
		.amdhsa_system_sgpr_workgroup_id_x 1
		.amdhsa_system_sgpr_workgroup_id_y 1
		.amdhsa_system_sgpr_workgroup_id_z 1
		.amdhsa_system_sgpr_workgroup_info 0
		.amdhsa_system_vgpr_workitem_id 0
		.amdhsa_next_free_vgpr 14
		.amdhsa_next_free_sgpr 26
		.amdhsa_reserve_vcc 1
		.amdhsa_reserve_flat_scratch 0
		.amdhsa_float_round_mode_32 0
		.amdhsa_float_round_mode_16_64 0
		.amdhsa_float_denorm_mode_32 3
		.amdhsa_float_denorm_mode_16_64 3
		.amdhsa_dx10_clamp 1
		.amdhsa_ieee_mode 1
		.amdhsa_fp16_overflow 0
		.amdhsa_workgroup_processor_mode 1
		.amdhsa_memory_ordered 1
		.amdhsa_forward_progress 1
		.amdhsa_shared_vgpr_count 0
		.amdhsa_exception_fp_ieee_invalid_op 0
		.amdhsa_exception_fp_denorm_src 0
		.amdhsa_exception_fp_ieee_div_zero 0
		.amdhsa_exception_fp_ieee_overflow 0
		.amdhsa_exception_fp_ieee_underflow 0
		.amdhsa_exception_fp_ieee_inexact 0
		.amdhsa_exception_int_div_zero 0
	.end_amdhsa_kernel
	.section	.text._ZN7rocprim17ROCPRIM_400000_NS6detail17trampoline_kernelINS0_14default_configENS1_38merge_sort_block_merge_config_selectorIxNS0_10empty_typeEEEZZNS1_27merge_sort_block_merge_implIS3_N6thrust23THRUST_200600_302600_NS6detail15normal_iteratorINS9_10device_ptrIxEEEEPS5_m11less_div_10IxEEE10hipError_tT0_T1_T2_jT3_P12ihipStream_tbPNSt15iterator_traitsISJ_E10value_typeEPNSP_ISK_E10value_typeEPSL_NS1_7vsmem_tEENKUlT_SJ_SK_SL_E_clISE_PxSF_SF_EESI_SY_SJ_SK_SL_EUlSY_E0_NS1_11comp_targetILNS1_3genE8ELNS1_11target_archE1030ELNS1_3gpuE2ELNS1_3repE0EEENS1_38merge_mergepath_config_static_selectorELNS0_4arch9wavefront6targetE0EEEvSK_,"axG",@progbits,_ZN7rocprim17ROCPRIM_400000_NS6detail17trampoline_kernelINS0_14default_configENS1_38merge_sort_block_merge_config_selectorIxNS0_10empty_typeEEEZZNS1_27merge_sort_block_merge_implIS3_N6thrust23THRUST_200600_302600_NS6detail15normal_iteratorINS9_10device_ptrIxEEEEPS5_m11less_div_10IxEEE10hipError_tT0_T1_T2_jT3_P12ihipStream_tbPNSt15iterator_traitsISJ_E10value_typeEPNSP_ISK_E10value_typeEPSL_NS1_7vsmem_tEENKUlT_SJ_SK_SL_E_clISE_PxSF_SF_EESI_SY_SJ_SK_SL_EUlSY_E0_NS1_11comp_targetILNS1_3genE8ELNS1_11target_archE1030ELNS1_3gpuE2ELNS1_3repE0EEENS1_38merge_mergepath_config_static_selectorELNS0_4arch9wavefront6targetE0EEEvSK_,comdat
.Lfunc_end375:
	.size	_ZN7rocprim17ROCPRIM_400000_NS6detail17trampoline_kernelINS0_14default_configENS1_38merge_sort_block_merge_config_selectorIxNS0_10empty_typeEEEZZNS1_27merge_sort_block_merge_implIS3_N6thrust23THRUST_200600_302600_NS6detail15normal_iteratorINS9_10device_ptrIxEEEEPS5_m11less_div_10IxEEE10hipError_tT0_T1_T2_jT3_P12ihipStream_tbPNSt15iterator_traitsISJ_E10value_typeEPNSP_ISK_E10value_typeEPSL_NS1_7vsmem_tEENKUlT_SJ_SK_SL_E_clISE_PxSF_SF_EESI_SY_SJ_SK_SL_EUlSY_E0_NS1_11comp_targetILNS1_3genE8ELNS1_11target_archE1030ELNS1_3gpuE2ELNS1_3repE0EEENS1_38merge_mergepath_config_static_selectorELNS0_4arch9wavefront6targetE0EEEvSK_, .Lfunc_end375-_ZN7rocprim17ROCPRIM_400000_NS6detail17trampoline_kernelINS0_14default_configENS1_38merge_sort_block_merge_config_selectorIxNS0_10empty_typeEEEZZNS1_27merge_sort_block_merge_implIS3_N6thrust23THRUST_200600_302600_NS6detail15normal_iteratorINS9_10device_ptrIxEEEEPS5_m11less_div_10IxEEE10hipError_tT0_T1_T2_jT3_P12ihipStream_tbPNSt15iterator_traitsISJ_E10value_typeEPNSP_ISK_E10value_typeEPSL_NS1_7vsmem_tEENKUlT_SJ_SK_SL_E_clISE_PxSF_SF_EESI_SY_SJ_SK_SL_EUlSY_E0_NS1_11comp_targetILNS1_3genE8ELNS1_11target_archE1030ELNS1_3gpuE2ELNS1_3repE0EEENS1_38merge_mergepath_config_static_selectorELNS0_4arch9wavefront6targetE0EEEvSK_
                                        ; -- End function
	.set _ZN7rocprim17ROCPRIM_400000_NS6detail17trampoline_kernelINS0_14default_configENS1_38merge_sort_block_merge_config_selectorIxNS0_10empty_typeEEEZZNS1_27merge_sort_block_merge_implIS3_N6thrust23THRUST_200600_302600_NS6detail15normal_iteratorINS9_10device_ptrIxEEEEPS5_m11less_div_10IxEEE10hipError_tT0_T1_T2_jT3_P12ihipStream_tbPNSt15iterator_traitsISJ_E10value_typeEPNSP_ISK_E10value_typeEPSL_NS1_7vsmem_tEENKUlT_SJ_SK_SL_E_clISE_PxSF_SF_EESI_SY_SJ_SK_SL_EUlSY_E0_NS1_11comp_targetILNS1_3genE8ELNS1_11target_archE1030ELNS1_3gpuE2ELNS1_3repE0EEENS1_38merge_mergepath_config_static_selectorELNS0_4arch9wavefront6targetE0EEEvSK_.num_vgpr, 14
	.set _ZN7rocprim17ROCPRIM_400000_NS6detail17trampoline_kernelINS0_14default_configENS1_38merge_sort_block_merge_config_selectorIxNS0_10empty_typeEEEZZNS1_27merge_sort_block_merge_implIS3_N6thrust23THRUST_200600_302600_NS6detail15normal_iteratorINS9_10device_ptrIxEEEEPS5_m11less_div_10IxEEE10hipError_tT0_T1_T2_jT3_P12ihipStream_tbPNSt15iterator_traitsISJ_E10value_typeEPNSP_ISK_E10value_typeEPSL_NS1_7vsmem_tEENKUlT_SJ_SK_SL_E_clISE_PxSF_SF_EESI_SY_SJ_SK_SL_EUlSY_E0_NS1_11comp_targetILNS1_3genE8ELNS1_11target_archE1030ELNS1_3gpuE2ELNS1_3repE0EEENS1_38merge_mergepath_config_static_selectorELNS0_4arch9wavefront6targetE0EEEvSK_.num_agpr, 0
	.set _ZN7rocprim17ROCPRIM_400000_NS6detail17trampoline_kernelINS0_14default_configENS1_38merge_sort_block_merge_config_selectorIxNS0_10empty_typeEEEZZNS1_27merge_sort_block_merge_implIS3_N6thrust23THRUST_200600_302600_NS6detail15normal_iteratorINS9_10device_ptrIxEEEEPS5_m11less_div_10IxEEE10hipError_tT0_T1_T2_jT3_P12ihipStream_tbPNSt15iterator_traitsISJ_E10value_typeEPNSP_ISK_E10value_typeEPSL_NS1_7vsmem_tEENKUlT_SJ_SK_SL_E_clISE_PxSF_SF_EESI_SY_SJ_SK_SL_EUlSY_E0_NS1_11comp_targetILNS1_3genE8ELNS1_11target_archE1030ELNS1_3gpuE2ELNS1_3repE0EEENS1_38merge_mergepath_config_static_selectorELNS0_4arch9wavefront6targetE0EEEvSK_.numbered_sgpr, 26
	.set _ZN7rocprim17ROCPRIM_400000_NS6detail17trampoline_kernelINS0_14default_configENS1_38merge_sort_block_merge_config_selectorIxNS0_10empty_typeEEEZZNS1_27merge_sort_block_merge_implIS3_N6thrust23THRUST_200600_302600_NS6detail15normal_iteratorINS9_10device_ptrIxEEEEPS5_m11less_div_10IxEEE10hipError_tT0_T1_T2_jT3_P12ihipStream_tbPNSt15iterator_traitsISJ_E10value_typeEPNSP_ISK_E10value_typeEPSL_NS1_7vsmem_tEENKUlT_SJ_SK_SL_E_clISE_PxSF_SF_EESI_SY_SJ_SK_SL_EUlSY_E0_NS1_11comp_targetILNS1_3genE8ELNS1_11target_archE1030ELNS1_3gpuE2ELNS1_3repE0EEENS1_38merge_mergepath_config_static_selectorELNS0_4arch9wavefront6targetE0EEEvSK_.num_named_barrier, 0
	.set _ZN7rocprim17ROCPRIM_400000_NS6detail17trampoline_kernelINS0_14default_configENS1_38merge_sort_block_merge_config_selectorIxNS0_10empty_typeEEEZZNS1_27merge_sort_block_merge_implIS3_N6thrust23THRUST_200600_302600_NS6detail15normal_iteratorINS9_10device_ptrIxEEEEPS5_m11less_div_10IxEEE10hipError_tT0_T1_T2_jT3_P12ihipStream_tbPNSt15iterator_traitsISJ_E10value_typeEPNSP_ISK_E10value_typeEPSL_NS1_7vsmem_tEENKUlT_SJ_SK_SL_E_clISE_PxSF_SF_EESI_SY_SJ_SK_SL_EUlSY_E0_NS1_11comp_targetILNS1_3genE8ELNS1_11target_archE1030ELNS1_3gpuE2ELNS1_3repE0EEENS1_38merge_mergepath_config_static_selectorELNS0_4arch9wavefront6targetE0EEEvSK_.private_seg_size, 0
	.set _ZN7rocprim17ROCPRIM_400000_NS6detail17trampoline_kernelINS0_14default_configENS1_38merge_sort_block_merge_config_selectorIxNS0_10empty_typeEEEZZNS1_27merge_sort_block_merge_implIS3_N6thrust23THRUST_200600_302600_NS6detail15normal_iteratorINS9_10device_ptrIxEEEEPS5_m11less_div_10IxEEE10hipError_tT0_T1_T2_jT3_P12ihipStream_tbPNSt15iterator_traitsISJ_E10value_typeEPNSP_ISK_E10value_typeEPSL_NS1_7vsmem_tEENKUlT_SJ_SK_SL_E_clISE_PxSF_SF_EESI_SY_SJ_SK_SL_EUlSY_E0_NS1_11comp_targetILNS1_3genE8ELNS1_11target_archE1030ELNS1_3gpuE2ELNS1_3repE0EEENS1_38merge_mergepath_config_static_selectorELNS0_4arch9wavefront6targetE0EEEvSK_.uses_vcc, 1
	.set _ZN7rocprim17ROCPRIM_400000_NS6detail17trampoline_kernelINS0_14default_configENS1_38merge_sort_block_merge_config_selectorIxNS0_10empty_typeEEEZZNS1_27merge_sort_block_merge_implIS3_N6thrust23THRUST_200600_302600_NS6detail15normal_iteratorINS9_10device_ptrIxEEEEPS5_m11less_div_10IxEEE10hipError_tT0_T1_T2_jT3_P12ihipStream_tbPNSt15iterator_traitsISJ_E10value_typeEPNSP_ISK_E10value_typeEPSL_NS1_7vsmem_tEENKUlT_SJ_SK_SL_E_clISE_PxSF_SF_EESI_SY_SJ_SK_SL_EUlSY_E0_NS1_11comp_targetILNS1_3genE8ELNS1_11target_archE1030ELNS1_3gpuE2ELNS1_3repE0EEENS1_38merge_mergepath_config_static_selectorELNS0_4arch9wavefront6targetE0EEEvSK_.uses_flat_scratch, 0
	.set _ZN7rocprim17ROCPRIM_400000_NS6detail17trampoline_kernelINS0_14default_configENS1_38merge_sort_block_merge_config_selectorIxNS0_10empty_typeEEEZZNS1_27merge_sort_block_merge_implIS3_N6thrust23THRUST_200600_302600_NS6detail15normal_iteratorINS9_10device_ptrIxEEEEPS5_m11less_div_10IxEEE10hipError_tT0_T1_T2_jT3_P12ihipStream_tbPNSt15iterator_traitsISJ_E10value_typeEPNSP_ISK_E10value_typeEPSL_NS1_7vsmem_tEENKUlT_SJ_SK_SL_E_clISE_PxSF_SF_EESI_SY_SJ_SK_SL_EUlSY_E0_NS1_11comp_targetILNS1_3genE8ELNS1_11target_archE1030ELNS1_3gpuE2ELNS1_3repE0EEENS1_38merge_mergepath_config_static_selectorELNS0_4arch9wavefront6targetE0EEEvSK_.has_dyn_sized_stack, 0
	.set _ZN7rocprim17ROCPRIM_400000_NS6detail17trampoline_kernelINS0_14default_configENS1_38merge_sort_block_merge_config_selectorIxNS0_10empty_typeEEEZZNS1_27merge_sort_block_merge_implIS3_N6thrust23THRUST_200600_302600_NS6detail15normal_iteratorINS9_10device_ptrIxEEEEPS5_m11less_div_10IxEEE10hipError_tT0_T1_T2_jT3_P12ihipStream_tbPNSt15iterator_traitsISJ_E10value_typeEPNSP_ISK_E10value_typeEPSL_NS1_7vsmem_tEENKUlT_SJ_SK_SL_E_clISE_PxSF_SF_EESI_SY_SJ_SK_SL_EUlSY_E0_NS1_11comp_targetILNS1_3genE8ELNS1_11target_archE1030ELNS1_3gpuE2ELNS1_3repE0EEENS1_38merge_mergepath_config_static_selectorELNS0_4arch9wavefront6targetE0EEEvSK_.has_recursion, 0
	.set _ZN7rocprim17ROCPRIM_400000_NS6detail17trampoline_kernelINS0_14default_configENS1_38merge_sort_block_merge_config_selectorIxNS0_10empty_typeEEEZZNS1_27merge_sort_block_merge_implIS3_N6thrust23THRUST_200600_302600_NS6detail15normal_iteratorINS9_10device_ptrIxEEEEPS5_m11less_div_10IxEEE10hipError_tT0_T1_T2_jT3_P12ihipStream_tbPNSt15iterator_traitsISJ_E10value_typeEPNSP_ISK_E10value_typeEPSL_NS1_7vsmem_tEENKUlT_SJ_SK_SL_E_clISE_PxSF_SF_EESI_SY_SJ_SK_SL_EUlSY_E0_NS1_11comp_targetILNS1_3genE8ELNS1_11target_archE1030ELNS1_3gpuE2ELNS1_3repE0EEENS1_38merge_mergepath_config_static_selectorELNS0_4arch9wavefront6targetE0EEEvSK_.has_indirect_call, 0
	.section	.AMDGPU.csdata,"",@progbits
; Kernel info:
; codeLenInByte = 1168
; TotalNumSgprs: 28
; NumVgprs: 14
; ScratchSize: 0
; MemoryBound: 0
; FloatMode: 240
; IeeeMode: 1
; LDSByteSize: 8208 bytes/workgroup (compile time only)
; SGPRBlocks: 0
; VGPRBlocks: 1
; NumSGPRsForWavesPerEU: 28
; NumVGPRsForWavesPerEU: 14
; Occupancy: 16
; WaveLimiterHint : 0
; COMPUTE_PGM_RSRC2:SCRATCH_EN: 0
; COMPUTE_PGM_RSRC2:USER_SGPR: 6
; COMPUTE_PGM_RSRC2:TRAP_HANDLER: 0
; COMPUTE_PGM_RSRC2:TGID_X_EN: 1
; COMPUTE_PGM_RSRC2:TGID_Y_EN: 1
; COMPUTE_PGM_RSRC2:TGID_Z_EN: 1
; COMPUTE_PGM_RSRC2:TIDIG_COMP_CNT: 0
	.section	.text._ZN7rocprim17ROCPRIM_400000_NS6detail17trampoline_kernelINS0_14default_configENS1_38merge_sort_block_merge_config_selectorIxNS0_10empty_typeEEEZZNS1_27merge_sort_block_merge_implIS3_N6thrust23THRUST_200600_302600_NS6detail15normal_iteratorINS9_10device_ptrIxEEEEPS5_m11less_div_10IxEEE10hipError_tT0_T1_T2_jT3_P12ihipStream_tbPNSt15iterator_traitsISJ_E10value_typeEPNSP_ISK_E10value_typeEPSL_NS1_7vsmem_tEENKUlT_SJ_SK_SL_E_clISE_PxSF_SF_EESI_SY_SJ_SK_SL_EUlSY_E1_NS1_11comp_targetILNS1_3genE0ELNS1_11target_archE4294967295ELNS1_3gpuE0ELNS1_3repE0EEENS1_36merge_oddeven_config_static_selectorELNS0_4arch9wavefront6targetE0EEEvSK_,"axG",@progbits,_ZN7rocprim17ROCPRIM_400000_NS6detail17trampoline_kernelINS0_14default_configENS1_38merge_sort_block_merge_config_selectorIxNS0_10empty_typeEEEZZNS1_27merge_sort_block_merge_implIS3_N6thrust23THRUST_200600_302600_NS6detail15normal_iteratorINS9_10device_ptrIxEEEEPS5_m11less_div_10IxEEE10hipError_tT0_T1_T2_jT3_P12ihipStream_tbPNSt15iterator_traitsISJ_E10value_typeEPNSP_ISK_E10value_typeEPSL_NS1_7vsmem_tEENKUlT_SJ_SK_SL_E_clISE_PxSF_SF_EESI_SY_SJ_SK_SL_EUlSY_E1_NS1_11comp_targetILNS1_3genE0ELNS1_11target_archE4294967295ELNS1_3gpuE0ELNS1_3repE0EEENS1_36merge_oddeven_config_static_selectorELNS0_4arch9wavefront6targetE0EEEvSK_,comdat
	.protected	_ZN7rocprim17ROCPRIM_400000_NS6detail17trampoline_kernelINS0_14default_configENS1_38merge_sort_block_merge_config_selectorIxNS0_10empty_typeEEEZZNS1_27merge_sort_block_merge_implIS3_N6thrust23THRUST_200600_302600_NS6detail15normal_iteratorINS9_10device_ptrIxEEEEPS5_m11less_div_10IxEEE10hipError_tT0_T1_T2_jT3_P12ihipStream_tbPNSt15iterator_traitsISJ_E10value_typeEPNSP_ISK_E10value_typeEPSL_NS1_7vsmem_tEENKUlT_SJ_SK_SL_E_clISE_PxSF_SF_EESI_SY_SJ_SK_SL_EUlSY_E1_NS1_11comp_targetILNS1_3genE0ELNS1_11target_archE4294967295ELNS1_3gpuE0ELNS1_3repE0EEENS1_36merge_oddeven_config_static_selectorELNS0_4arch9wavefront6targetE0EEEvSK_ ; -- Begin function _ZN7rocprim17ROCPRIM_400000_NS6detail17trampoline_kernelINS0_14default_configENS1_38merge_sort_block_merge_config_selectorIxNS0_10empty_typeEEEZZNS1_27merge_sort_block_merge_implIS3_N6thrust23THRUST_200600_302600_NS6detail15normal_iteratorINS9_10device_ptrIxEEEEPS5_m11less_div_10IxEEE10hipError_tT0_T1_T2_jT3_P12ihipStream_tbPNSt15iterator_traitsISJ_E10value_typeEPNSP_ISK_E10value_typeEPSL_NS1_7vsmem_tEENKUlT_SJ_SK_SL_E_clISE_PxSF_SF_EESI_SY_SJ_SK_SL_EUlSY_E1_NS1_11comp_targetILNS1_3genE0ELNS1_11target_archE4294967295ELNS1_3gpuE0ELNS1_3repE0EEENS1_36merge_oddeven_config_static_selectorELNS0_4arch9wavefront6targetE0EEEvSK_
	.globl	_ZN7rocprim17ROCPRIM_400000_NS6detail17trampoline_kernelINS0_14default_configENS1_38merge_sort_block_merge_config_selectorIxNS0_10empty_typeEEEZZNS1_27merge_sort_block_merge_implIS3_N6thrust23THRUST_200600_302600_NS6detail15normal_iteratorINS9_10device_ptrIxEEEEPS5_m11less_div_10IxEEE10hipError_tT0_T1_T2_jT3_P12ihipStream_tbPNSt15iterator_traitsISJ_E10value_typeEPNSP_ISK_E10value_typeEPSL_NS1_7vsmem_tEENKUlT_SJ_SK_SL_E_clISE_PxSF_SF_EESI_SY_SJ_SK_SL_EUlSY_E1_NS1_11comp_targetILNS1_3genE0ELNS1_11target_archE4294967295ELNS1_3gpuE0ELNS1_3repE0EEENS1_36merge_oddeven_config_static_selectorELNS0_4arch9wavefront6targetE0EEEvSK_
	.p2align	8
	.type	_ZN7rocprim17ROCPRIM_400000_NS6detail17trampoline_kernelINS0_14default_configENS1_38merge_sort_block_merge_config_selectorIxNS0_10empty_typeEEEZZNS1_27merge_sort_block_merge_implIS3_N6thrust23THRUST_200600_302600_NS6detail15normal_iteratorINS9_10device_ptrIxEEEEPS5_m11less_div_10IxEEE10hipError_tT0_T1_T2_jT3_P12ihipStream_tbPNSt15iterator_traitsISJ_E10value_typeEPNSP_ISK_E10value_typeEPSL_NS1_7vsmem_tEENKUlT_SJ_SK_SL_E_clISE_PxSF_SF_EESI_SY_SJ_SK_SL_EUlSY_E1_NS1_11comp_targetILNS1_3genE0ELNS1_11target_archE4294967295ELNS1_3gpuE0ELNS1_3repE0EEENS1_36merge_oddeven_config_static_selectorELNS0_4arch9wavefront6targetE0EEEvSK_,@function
_ZN7rocprim17ROCPRIM_400000_NS6detail17trampoline_kernelINS0_14default_configENS1_38merge_sort_block_merge_config_selectorIxNS0_10empty_typeEEEZZNS1_27merge_sort_block_merge_implIS3_N6thrust23THRUST_200600_302600_NS6detail15normal_iteratorINS9_10device_ptrIxEEEEPS5_m11less_div_10IxEEE10hipError_tT0_T1_T2_jT3_P12ihipStream_tbPNSt15iterator_traitsISJ_E10value_typeEPNSP_ISK_E10value_typeEPSL_NS1_7vsmem_tEENKUlT_SJ_SK_SL_E_clISE_PxSF_SF_EESI_SY_SJ_SK_SL_EUlSY_E1_NS1_11comp_targetILNS1_3genE0ELNS1_11target_archE4294967295ELNS1_3gpuE0ELNS1_3repE0EEENS1_36merge_oddeven_config_static_selectorELNS0_4arch9wavefront6targetE0EEEvSK_: ; @_ZN7rocprim17ROCPRIM_400000_NS6detail17trampoline_kernelINS0_14default_configENS1_38merge_sort_block_merge_config_selectorIxNS0_10empty_typeEEEZZNS1_27merge_sort_block_merge_implIS3_N6thrust23THRUST_200600_302600_NS6detail15normal_iteratorINS9_10device_ptrIxEEEEPS5_m11less_div_10IxEEE10hipError_tT0_T1_T2_jT3_P12ihipStream_tbPNSt15iterator_traitsISJ_E10value_typeEPNSP_ISK_E10value_typeEPSL_NS1_7vsmem_tEENKUlT_SJ_SK_SL_E_clISE_PxSF_SF_EESI_SY_SJ_SK_SL_EUlSY_E1_NS1_11comp_targetILNS1_3genE0ELNS1_11target_archE4294967295ELNS1_3gpuE0ELNS1_3repE0EEENS1_36merge_oddeven_config_static_selectorELNS0_4arch9wavefront6targetE0EEEvSK_
; %bb.0:
	.section	.rodata,"a",@progbits
	.p2align	6, 0x0
	.amdhsa_kernel _ZN7rocprim17ROCPRIM_400000_NS6detail17trampoline_kernelINS0_14default_configENS1_38merge_sort_block_merge_config_selectorIxNS0_10empty_typeEEEZZNS1_27merge_sort_block_merge_implIS3_N6thrust23THRUST_200600_302600_NS6detail15normal_iteratorINS9_10device_ptrIxEEEEPS5_m11less_div_10IxEEE10hipError_tT0_T1_T2_jT3_P12ihipStream_tbPNSt15iterator_traitsISJ_E10value_typeEPNSP_ISK_E10value_typeEPSL_NS1_7vsmem_tEENKUlT_SJ_SK_SL_E_clISE_PxSF_SF_EESI_SY_SJ_SK_SL_EUlSY_E1_NS1_11comp_targetILNS1_3genE0ELNS1_11target_archE4294967295ELNS1_3gpuE0ELNS1_3repE0EEENS1_36merge_oddeven_config_static_selectorELNS0_4arch9wavefront6targetE0EEEvSK_
		.amdhsa_group_segment_fixed_size 0
		.amdhsa_private_segment_fixed_size 0
		.amdhsa_kernarg_size 56
		.amdhsa_user_sgpr_count 6
		.amdhsa_user_sgpr_private_segment_buffer 1
		.amdhsa_user_sgpr_dispatch_ptr 0
		.amdhsa_user_sgpr_queue_ptr 0
		.amdhsa_user_sgpr_kernarg_segment_ptr 1
		.amdhsa_user_sgpr_dispatch_id 0
		.amdhsa_user_sgpr_flat_scratch_init 0
		.amdhsa_user_sgpr_private_segment_size 0
		.amdhsa_wavefront_size32 1
		.amdhsa_uses_dynamic_stack 0
		.amdhsa_system_sgpr_private_segment_wavefront_offset 0
		.amdhsa_system_sgpr_workgroup_id_x 1
		.amdhsa_system_sgpr_workgroup_id_y 0
		.amdhsa_system_sgpr_workgroup_id_z 0
		.amdhsa_system_sgpr_workgroup_info 0
		.amdhsa_system_vgpr_workitem_id 0
		.amdhsa_next_free_vgpr 1
		.amdhsa_next_free_sgpr 1
		.amdhsa_reserve_vcc 0
		.amdhsa_reserve_flat_scratch 0
		.amdhsa_float_round_mode_32 0
		.amdhsa_float_round_mode_16_64 0
		.amdhsa_float_denorm_mode_32 3
		.amdhsa_float_denorm_mode_16_64 3
		.amdhsa_dx10_clamp 1
		.amdhsa_ieee_mode 1
		.amdhsa_fp16_overflow 0
		.amdhsa_workgroup_processor_mode 1
		.amdhsa_memory_ordered 1
		.amdhsa_forward_progress 1
		.amdhsa_shared_vgpr_count 0
		.amdhsa_exception_fp_ieee_invalid_op 0
		.amdhsa_exception_fp_denorm_src 0
		.amdhsa_exception_fp_ieee_div_zero 0
		.amdhsa_exception_fp_ieee_overflow 0
		.amdhsa_exception_fp_ieee_underflow 0
		.amdhsa_exception_fp_ieee_inexact 0
		.amdhsa_exception_int_div_zero 0
	.end_amdhsa_kernel
	.section	.text._ZN7rocprim17ROCPRIM_400000_NS6detail17trampoline_kernelINS0_14default_configENS1_38merge_sort_block_merge_config_selectorIxNS0_10empty_typeEEEZZNS1_27merge_sort_block_merge_implIS3_N6thrust23THRUST_200600_302600_NS6detail15normal_iteratorINS9_10device_ptrIxEEEEPS5_m11less_div_10IxEEE10hipError_tT0_T1_T2_jT3_P12ihipStream_tbPNSt15iterator_traitsISJ_E10value_typeEPNSP_ISK_E10value_typeEPSL_NS1_7vsmem_tEENKUlT_SJ_SK_SL_E_clISE_PxSF_SF_EESI_SY_SJ_SK_SL_EUlSY_E1_NS1_11comp_targetILNS1_3genE0ELNS1_11target_archE4294967295ELNS1_3gpuE0ELNS1_3repE0EEENS1_36merge_oddeven_config_static_selectorELNS0_4arch9wavefront6targetE0EEEvSK_,"axG",@progbits,_ZN7rocprim17ROCPRIM_400000_NS6detail17trampoline_kernelINS0_14default_configENS1_38merge_sort_block_merge_config_selectorIxNS0_10empty_typeEEEZZNS1_27merge_sort_block_merge_implIS3_N6thrust23THRUST_200600_302600_NS6detail15normal_iteratorINS9_10device_ptrIxEEEEPS5_m11less_div_10IxEEE10hipError_tT0_T1_T2_jT3_P12ihipStream_tbPNSt15iterator_traitsISJ_E10value_typeEPNSP_ISK_E10value_typeEPSL_NS1_7vsmem_tEENKUlT_SJ_SK_SL_E_clISE_PxSF_SF_EESI_SY_SJ_SK_SL_EUlSY_E1_NS1_11comp_targetILNS1_3genE0ELNS1_11target_archE4294967295ELNS1_3gpuE0ELNS1_3repE0EEENS1_36merge_oddeven_config_static_selectorELNS0_4arch9wavefront6targetE0EEEvSK_,comdat
.Lfunc_end376:
	.size	_ZN7rocprim17ROCPRIM_400000_NS6detail17trampoline_kernelINS0_14default_configENS1_38merge_sort_block_merge_config_selectorIxNS0_10empty_typeEEEZZNS1_27merge_sort_block_merge_implIS3_N6thrust23THRUST_200600_302600_NS6detail15normal_iteratorINS9_10device_ptrIxEEEEPS5_m11less_div_10IxEEE10hipError_tT0_T1_T2_jT3_P12ihipStream_tbPNSt15iterator_traitsISJ_E10value_typeEPNSP_ISK_E10value_typeEPSL_NS1_7vsmem_tEENKUlT_SJ_SK_SL_E_clISE_PxSF_SF_EESI_SY_SJ_SK_SL_EUlSY_E1_NS1_11comp_targetILNS1_3genE0ELNS1_11target_archE4294967295ELNS1_3gpuE0ELNS1_3repE0EEENS1_36merge_oddeven_config_static_selectorELNS0_4arch9wavefront6targetE0EEEvSK_, .Lfunc_end376-_ZN7rocprim17ROCPRIM_400000_NS6detail17trampoline_kernelINS0_14default_configENS1_38merge_sort_block_merge_config_selectorIxNS0_10empty_typeEEEZZNS1_27merge_sort_block_merge_implIS3_N6thrust23THRUST_200600_302600_NS6detail15normal_iteratorINS9_10device_ptrIxEEEEPS5_m11less_div_10IxEEE10hipError_tT0_T1_T2_jT3_P12ihipStream_tbPNSt15iterator_traitsISJ_E10value_typeEPNSP_ISK_E10value_typeEPSL_NS1_7vsmem_tEENKUlT_SJ_SK_SL_E_clISE_PxSF_SF_EESI_SY_SJ_SK_SL_EUlSY_E1_NS1_11comp_targetILNS1_3genE0ELNS1_11target_archE4294967295ELNS1_3gpuE0ELNS1_3repE0EEENS1_36merge_oddeven_config_static_selectorELNS0_4arch9wavefront6targetE0EEEvSK_
                                        ; -- End function
	.set _ZN7rocprim17ROCPRIM_400000_NS6detail17trampoline_kernelINS0_14default_configENS1_38merge_sort_block_merge_config_selectorIxNS0_10empty_typeEEEZZNS1_27merge_sort_block_merge_implIS3_N6thrust23THRUST_200600_302600_NS6detail15normal_iteratorINS9_10device_ptrIxEEEEPS5_m11less_div_10IxEEE10hipError_tT0_T1_T2_jT3_P12ihipStream_tbPNSt15iterator_traitsISJ_E10value_typeEPNSP_ISK_E10value_typeEPSL_NS1_7vsmem_tEENKUlT_SJ_SK_SL_E_clISE_PxSF_SF_EESI_SY_SJ_SK_SL_EUlSY_E1_NS1_11comp_targetILNS1_3genE0ELNS1_11target_archE4294967295ELNS1_3gpuE0ELNS1_3repE0EEENS1_36merge_oddeven_config_static_selectorELNS0_4arch9wavefront6targetE0EEEvSK_.num_vgpr, 0
	.set _ZN7rocprim17ROCPRIM_400000_NS6detail17trampoline_kernelINS0_14default_configENS1_38merge_sort_block_merge_config_selectorIxNS0_10empty_typeEEEZZNS1_27merge_sort_block_merge_implIS3_N6thrust23THRUST_200600_302600_NS6detail15normal_iteratorINS9_10device_ptrIxEEEEPS5_m11less_div_10IxEEE10hipError_tT0_T1_T2_jT3_P12ihipStream_tbPNSt15iterator_traitsISJ_E10value_typeEPNSP_ISK_E10value_typeEPSL_NS1_7vsmem_tEENKUlT_SJ_SK_SL_E_clISE_PxSF_SF_EESI_SY_SJ_SK_SL_EUlSY_E1_NS1_11comp_targetILNS1_3genE0ELNS1_11target_archE4294967295ELNS1_3gpuE0ELNS1_3repE0EEENS1_36merge_oddeven_config_static_selectorELNS0_4arch9wavefront6targetE0EEEvSK_.num_agpr, 0
	.set _ZN7rocprim17ROCPRIM_400000_NS6detail17trampoline_kernelINS0_14default_configENS1_38merge_sort_block_merge_config_selectorIxNS0_10empty_typeEEEZZNS1_27merge_sort_block_merge_implIS3_N6thrust23THRUST_200600_302600_NS6detail15normal_iteratorINS9_10device_ptrIxEEEEPS5_m11less_div_10IxEEE10hipError_tT0_T1_T2_jT3_P12ihipStream_tbPNSt15iterator_traitsISJ_E10value_typeEPNSP_ISK_E10value_typeEPSL_NS1_7vsmem_tEENKUlT_SJ_SK_SL_E_clISE_PxSF_SF_EESI_SY_SJ_SK_SL_EUlSY_E1_NS1_11comp_targetILNS1_3genE0ELNS1_11target_archE4294967295ELNS1_3gpuE0ELNS1_3repE0EEENS1_36merge_oddeven_config_static_selectorELNS0_4arch9wavefront6targetE0EEEvSK_.numbered_sgpr, 0
	.set _ZN7rocprim17ROCPRIM_400000_NS6detail17trampoline_kernelINS0_14default_configENS1_38merge_sort_block_merge_config_selectorIxNS0_10empty_typeEEEZZNS1_27merge_sort_block_merge_implIS3_N6thrust23THRUST_200600_302600_NS6detail15normal_iteratorINS9_10device_ptrIxEEEEPS5_m11less_div_10IxEEE10hipError_tT0_T1_T2_jT3_P12ihipStream_tbPNSt15iterator_traitsISJ_E10value_typeEPNSP_ISK_E10value_typeEPSL_NS1_7vsmem_tEENKUlT_SJ_SK_SL_E_clISE_PxSF_SF_EESI_SY_SJ_SK_SL_EUlSY_E1_NS1_11comp_targetILNS1_3genE0ELNS1_11target_archE4294967295ELNS1_3gpuE0ELNS1_3repE0EEENS1_36merge_oddeven_config_static_selectorELNS0_4arch9wavefront6targetE0EEEvSK_.num_named_barrier, 0
	.set _ZN7rocprim17ROCPRIM_400000_NS6detail17trampoline_kernelINS0_14default_configENS1_38merge_sort_block_merge_config_selectorIxNS0_10empty_typeEEEZZNS1_27merge_sort_block_merge_implIS3_N6thrust23THRUST_200600_302600_NS6detail15normal_iteratorINS9_10device_ptrIxEEEEPS5_m11less_div_10IxEEE10hipError_tT0_T1_T2_jT3_P12ihipStream_tbPNSt15iterator_traitsISJ_E10value_typeEPNSP_ISK_E10value_typeEPSL_NS1_7vsmem_tEENKUlT_SJ_SK_SL_E_clISE_PxSF_SF_EESI_SY_SJ_SK_SL_EUlSY_E1_NS1_11comp_targetILNS1_3genE0ELNS1_11target_archE4294967295ELNS1_3gpuE0ELNS1_3repE0EEENS1_36merge_oddeven_config_static_selectorELNS0_4arch9wavefront6targetE0EEEvSK_.private_seg_size, 0
	.set _ZN7rocprim17ROCPRIM_400000_NS6detail17trampoline_kernelINS0_14default_configENS1_38merge_sort_block_merge_config_selectorIxNS0_10empty_typeEEEZZNS1_27merge_sort_block_merge_implIS3_N6thrust23THRUST_200600_302600_NS6detail15normal_iteratorINS9_10device_ptrIxEEEEPS5_m11less_div_10IxEEE10hipError_tT0_T1_T2_jT3_P12ihipStream_tbPNSt15iterator_traitsISJ_E10value_typeEPNSP_ISK_E10value_typeEPSL_NS1_7vsmem_tEENKUlT_SJ_SK_SL_E_clISE_PxSF_SF_EESI_SY_SJ_SK_SL_EUlSY_E1_NS1_11comp_targetILNS1_3genE0ELNS1_11target_archE4294967295ELNS1_3gpuE0ELNS1_3repE0EEENS1_36merge_oddeven_config_static_selectorELNS0_4arch9wavefront6targetE0EEEvSK_.uses_vcc, 0
	.set _ZN7rocprim17ROCPRIM_400000_NS6detail17trampoline_kernelINS0_14default_configENS1_38merge_sort_block_merge_config_selectorIxNS0_10empty_typeEEEZZNS1_27merge_sort_block_merge_implIS3_N6thrust23THRUST_200600_302600_NS6detail15normal_iteratorINS9_10device_ptrIxEEEEPS5_m11less_div_10IxEEE10hipError_tT0_T1_T2_jT3_P12ihipStream_tbPNSt15iterator_traitsISJ_E10value_typeEPNSP_ISK_E10value_typeEPSL_NS1_7vsmem_tEENKUlT_SJ_SK_SL_E_clISE_PxSF_SF_EESI_SY_SJ_SK_SL_EUlSY_E1_NS1_11comp_targetILNS1_3genE0ELNS1_11target_archE4294967295ELNS1_3gpuE0ELNS1_3repE0EEENS1_36merge_oddeven_config_static_selectorELNS0_4arch9wavefront6targetE0EEEvSK_.uses_flat_scratch, 0
	.set _ZN7rocprim17ROCPRIM_400000_NS6detail17trampoline_kernelINS0_14default_configENS1_38merge_sort_block_merge_config_selectorIxNS0_10empty_typeEEEZZNS1_27merge_sort_block_merge_implIS3_N6thrust23THRUST_200600_302600_NS6detail15normal_iteratorINS9_10device_ptrIxEEEEPS5_m11less_div_10IxEEE10hipError_tT0_T1_T2_jT3_P12ihipStream_tbPNSt15iterator_traitsISJ_E10value_typeEPNSP_ISK_E10value_typeEPSL_NS1_7vsmem_tEENKUlT_SJ_SK_SL_E_clISE_PxSF_SF_EESI_SY_SJ_SK_SL_EUlSY_E1_NS1_11comp_targetILNS1_3genE0ELNS1_11target_archE4294967295ELNS1_3gpuE0ELNS1_3repE0EEENS1_36merge_oddeven_config_static_selectorELNS0_4arch9wavefront6targetE0EEEvSK_.has_dyn_sized_stack, 0
	.set _ZN7rocprim17ROCPRIM_400000_NS6detail17trampoline_kernelINS0_14default_configENS1_38merge_sort_block_merge_config_selectorIxNS0_10empty_typeEEEZZNS1_27merge_sort_block_merge_implIS3_N6thrust23THRUST_200600_302600_NS6detail15normal_iteratorINS9_10device_ptrIxEEEEPS5_m11less_div_10IxEEE10hipError_tT0_T1_T2_jT3_P12ihipStream_tbPNSt15iterator_traitsISJ_E10value_typeEPNSP_ISK_E10value_typeEPSL_NS1_7vsmem_tEENKUlT_SJ_SK_SL_E_clISE_PxSF_SF_EESI_SY_SJ_SK_SL_EUlSY_E1_NS1_11comp_targetILNS1_3genE0ELNS1_11target_archE4294967295ELNS1_3gpuE0ELNS1_3repE0EEENS1_36merge_oddeven_config_static_selectorELNS0_4arch9wavefront6targetE0EEEvSK_.has_recursion, 0
	.set _ZN7rocprim17ROCPRIM_400000_NS6detail17trampoline_kernelINS0_14default_configENS1_38merge_sort_block_merge_config_selectorIxNS0_10empty_typeEEEZZNS1_27merge_sort_block_merge_implIS3_N6thrust23THRUST_200600_302600_NS6detail15normal_iteratorINS9_10device_ptrIxEEEEPS5_m11less_div_10IxEEE10hipError_tT0_T1_T2_jT3_P12ihipStream_tbPNSt15iterator_traitsISJ_E10value_typeEPNSP_ISK_E10value_typeEPSL_NS1_7vsmem_tEENKUlT_SJ_SK_SL_E_clISE_PxSF_SF_EESI_SY_SJ_SK_SL_EUlSY_E1_NS1_11comp_targetILNS1_3genE0ELNS1_11target_archE4294967295ELNS1_3gpuE0ELNS1_3repE0EEENS1_36merge_oddeven_config_static_selectorELNS0_4arch9wavefront6targetE0EEEvSK_.has_indirect_call, 0
	.section	.AMDGPU.csdata,"",@progbits
; Kernel info:
; codeLenInByte = 0
; TotalNumSgprs: 0
; NumVgprs: 0
; ScratchSize: 0
; MemoryBound: 0
; FloatMode: 240
; IeeeMode: 1
; LDSByteSize: 0 bytes/workgroup (compile time only)
; SGPRBlocks: 0
; VGPRBlocks: 0
; NumSGPRsForWavesPerEU: 1
; NumVGPRsForWavesPerEU: 1
; Occupancy: 16
; WaveLimiterHint : 0
; COMPUTE_PGM_RSRC2:SCRATCH_EN: 0
; COMPUTE_PGM_RSRC2:USER_SGPR: 6
; COMPUTE_PGM_RSRC2:TRAP_HANDLER: 0
; COMPUTE_PGM_RSRC2:TGID_X_EN: 1
; COMPUTE_PGM_RSRC2:TGID_Y_EN: 0
; COMPUTE_PGM_RSRC2:TGID_Z_EN: 0
; COMPUTE_PGM_RSRC2:TIDIG_COMP_CNT: 0
	.section	.text._ZN7rocprim17ROCPRIM_400000_NS6detail17trampoline_kernelINS0_14default_configENS1_38merge_sort_block_merge_config_selectorIxNS0_10empty_typeEEEZZNS1_27merge_sort_block_merge_implIS3_N6thrust23THRUST_200600_302600_NS6detail15normal_iteratorINS9_10device_ptrIxEEEEPS5_m11less_div_10IxEEE10hipError_tT0_T1_T2_jT3_P12ihipStream_tbPNSt15iterator_traitsISJ_E10value_typeEPNSP_ISK_E10value_typeEPSL_NS1_7vsmem_tEENKUlT_SJ_SK_SL_E_clISE_PxSF_SF_EESI_SY_SJ_SK_SL_EUlSY_E1_NS1_11comp_targetILNS1_3genE10ELNS1_11target_archE1201ELNS1_3gpuE5ELNS1_3repE0EEENS1_36merge_oddeven_config_static_selectorELNS0_4arch9wavefront6targetE0EEEvSK_,"axG",@progbits,_ZN7rocprim17ROCPRIM_400000_NS6detail17trampoline_kernelINS0_14default_configENS1_38merge_sort_block_merge_config_selectorIxNS0_10empty_typeEEEZZNS1_27merge_sort_block_merge_implIS3_N6thrust23THRUST_200600_302600_NS6detail15normal_iteratorINS9_10device_ptrIxEEEEPS5_m11less_div_10IxEEE10hipError_tT0_T1_T2_jT3_P12ihipStream_tbPNSt15iterator_traitsISJ_E10value_typeEPNSP_ISK_E10value_typeEPSL_NS1_7vsmem_tEENKUlT_SJ_SK_SL_E_clISE_PxSF_SF_EESI_SY_SJ_SK_SL_EUlSY_E1_NS1_11comp_targetILNS1_3genE10ELNS1_11target_archE1201ELNS1_3gpuE5ELNS1_3repE0EEENS1_36merge_oddeven_config_static_selectorELNS0_4arch9wavefront6targetE0EEEvSK_,comdat
	.protected	_ZN7rocprim17ROCPRIM_400000_NS6detail17trampoline_kernelINS0_14default_configENS1_38merge_sort_block_merge_config_selectorIxNS0_10empty_typeEEEZZNS1_27merge_sort_block_merge_implIS3_N6thrust23THRUST_200600_302600_NS6detail15normal_iteratorINS9_10device_ptrIxEEEEPS5_m11less_div_10IxEEE10hipError_tT0_T1_T2_jT3_P12ihipStream_tbPNSt15iterator_traitsISJ_E10value_typeEPNSP_ISK_E10value_typeEPSL_NS1_7vsmem_tEENKUlT_SJ_SK_SL_E_clISE_PxSF_SF_EESI_SY_SJ_SK_SL_EUlSY_E1_NS1_11comp_targetILNS1_3genE10ELNS1_11target_archE1201ELNS1_3gpuE5ELNS1_3repE0EEENS1_36merge_oddeven_config_static_selectorELNS0_4arch9wavefront6targetE0EEEvSK_ ; -- Begin function _ZN7rocprim17ROCPRIM_400000_NS6detail17trampoline_kernelINS0_14default_configENS1_38merge_sort_block_merge_config_selectorIxNS0_10empty_typeEEEZZNS1_27merge_sort_block_merge_implIS3_N6thrust23THRUST_200600_302600_NS6detail15normal_iteratorINS9_10device_ptrIxEEEEPS5_m11less_div_10IxEEE10hipError_tT0_T1_T2_jT3_P12ihipStream_tbPNSt15iterator_traitsISJ_E10value_typeEPNSP_ISK_E10value_typeEPSL_NS1_7vsmem_tEENKUlT_SJ_SK_SL_E_clISE_PxSF_SF_EESI_SY_SJ_SK_SL_EUlSY_E1_NS1_11comp_targetILNS1_3genE10ELNS1_11target_archE1201ELNS1_3gpuE5ELNS1_3repE0EEENS1_36merge_oddeven_config_static_selectorELNS0_4arch9wavefront6targetE0EEEvSK_
	.globl	_ZN7rocprim17ROCPRIM_400000_NS6detail17trampoline_kernelINS0_14default_configENS1_38merge_sort_block_merge_config_selectorIxNS0_10empty_typeEEEZZNS1_27merge_sort_block_merge_implIS3_N6thrust23THRUST_200600_302600_NS6detail15normal_iteratorINS9_10device_ptrIxEEEEPS5_m11less_div_10IxEEE10hipError_tT0_T1_T2_jT3_P12ihipStream_tbPNSt15iterator_traitsISJ_E10value_typeEPNSP_ISK_E10value_typeEPSL_NS1_7vsmem_tEENKUlT_SJ_SK_SL_E_clISE_PxSF_SF_EESI_SY_SJ_SK_SL_EUlSY_E1_NS1_11comp_targetILNS1_3genE10ELNS1_11target_archE1201ELNS1_3gpuE5ELNS1_3repE0EEENS1_36merge_oddeven_config_static_selectorELNS0_4arch9wavefront6targetE0EEEvSK_
	.p2align	8
	.type	_ZN7rocprim17ROCPRIM_400000_NS6detail17trampoline_kernelINS0_14default_configENS1_38merge_sort_block_merge_config_selectorIxNS0_10empty_typeEEEZZNS1_27merge_sort_block_merge_implIS3_N6thrust23THRUST_200600_302600_NS6detail15normal_iteratorINS9_10device_ptrIxEEEEPS5_m11less_div_10IxEEE10hipError_tT0_T1_T2_jT3_P12ihipStream_tbPNSt15iterator_traitsISJ_E10value_typeEPNSP_ISK_E10value_typeEPSL_NS1_7vsmem_tEENKUlT_SJ_SK_SL_E_clISE_PxSF_SF_EESI_SY_SJ_SK_SL_EUlSY_E1_NS1_11comp_targetILNS1_3genE10ELNS1_11target_archE1201ELNS1_3gpuE5ELNS1_3repE0EEENS1_36merge_oddeven_config_static_selectorELNS0_4arch9wavefront6targetE0EEEvSK_,@function
_ZN7rocprim17ROCPRIM_400000_NS6detail17trampoline_kernelINS0_14default_configENS1_38merge_sort_block_merge_config_selectorIxNS0_10empty_typeEEEZZNS1_27merge_sort_block_merge_implIS3_N6thrust23THRUST_200600_302600_NS6detail15normal_iteratorINS9_10device_ptrIxEEEEPS5_m11less_div_10IxEEE10hipError_tT0_T1_T2_jT3_P12ihipStream_tbPNSt15iterator_traitsISJ_E10value_typeEPNSP_ISK_E10value_typeEPSL_NS1_7vsmem_tEENKUlT_SJ_SK_SL_E_clISE_PxSF_SF_EESI_SY_SJ_SK_SL_EUlSY_E1_NS1_11comp_targetILNS1_3genE10ELNS1_11target_archE1201ELNS1_3gpuE5ELNS1_3repE0EEENS1_36merge_oddeven_config_static_selectorELNS0_4arch9wavefront6targetE0EEEvSK_: ; @_ZN7rocprim17ROCPRIM_400000_NS6detail17trampoline_kernelINS0_14default_configENS1_38merge_sort_block_merge_config_selectorIxNS0_10empty_typeEEEZZNS1_27merge_sort_block_merge_implIS3_N6thrust23THRUST_200600_302600_NS6detail15normal_iteratorINS9_10device_ptrIxEEEEPS5_m11less_div_10IxEEE10hipError_tT0_T1_T2_jT3_P12ihipStream_tbPNSt15iterator_traitsISJ_E10value_typeEPNSP_ISK_E10value_typeEPSL_NS1_7vsmem_tEENKUlT_SJ_SK_SL_E_clISE_PxSF_SF_EESI_SY_SJ_SK_SL_EUlSY_E1_NS1_11comp_targetILNS1_3genE10ELNS1_11target_archE1201ELNS1_3gpuE5ELNS1_3repE0EEENS1_36merge_oddeven_config_static_selectorELNS0_4arch9wavefront6targetE0EEEvSK_
; %bb.0:
	.section	.rodata,"a",@progbits
	.p2align	6, 0x0
	.amdhsa_kernel _ZN7rocprim17ROCPRIM_400000_NS6detail17trampoline_kernelINS0_14default_configENS1_38merge_sort_block_merge_config_selectorIxNS0_10empty_typeEEEZZNS1_27merge_sort_block_merge_implIS3_N6thrust23THRUST_200600_302600_NS6detail15normal_iteratorINS9_10device_ptrIxEEEEPS5_m11less_div_10IxEEE10hipError_tT0_T1_T2_jT3_P12ihipStream_tbPNSt15iterator_traitsISJ_E10value_typeEPNSP_ISK_E10value_typeEPSL_NS1_7vsmem_tEENKUlT_SJ_SK_SL_E_clISE_PxSF_SF_EESI_SY_SJ_SK_SL_EUlSY_E1_NS1_11comp_targetILNS1_3genE10ELNS1_11target_archE1201ELNS1_3gpuE5ELNS1_3repE0EEENS1_36merge_oddeven_config_static_selectorELNS0_4arch9wavefront6targetE0EEEvSK_
		.amdhsa_group_segment_fixed_size 0
		.amdhsa_private_segment_fixed_size 0
		.amdhsa_kernarg_size 56
		.amdhsa_user_sgpr_count 6
		.amdhsa_user_sgpr_private_segment_buffer 1
		.amdhsa_user_sgpr_dispatch_ptr 0
		.amdhsa_user_sgpr_queue_ptr 0
		.amdhsa_user_sgpr_kernarg_segment_ptr 1
		.amdhsa_user_sgpr_dispatch_id 0
		.amdhsa_user_sgpr_flat_scratch_init 0
		.amdhsa_user_sgpr_private_segment_size 0
		.amdhsa_wavefront_size32 1
		.amdhsa_uses_dynamic_stack 0
		.amdhsa_system_sgpr_private_segment_wavefront_offset 0
		.amdhsa_system_sgpr_workgroup_id_x 1
		.amdhsa_system_sgpr_workgroup_id_y 0
		.amdhsa_system_sgpr_workgroup_id_z 0
		.amdhsa_system_sgpr_workgroup_info 0
		.amdhsa_system_vgpr_workitem_id 0
		.amdhsa_next_free_vgpr 1
		.amdhsa_next_free_sgpr 1
		.amdhsa_reserve_vcc 0
		.amdhsa_reserve_flat_scratch 0
		.amdhsa_float_round_mode_32 0
		.amdhsa_float_round_mode_16_64 0
		.amdhsa_float_denorm_mode_32 3
		.amdhsa_float_denorm_mode_16_64 3
		.amdhsa_dx10_clamp 1
		.amdhsa_ieee_mode 1
		.amdhsa_fp16_overflow 0
		.amdhsa_workgroup_processor_mode 1
		.amdhsa_memory_ordered 1
		.amdhsa_forward_progress 1
		.amdhsa_shared_vgpr_count 0
		.amdhsa_exception_fp_ieee_invalid_op 0
		.amdhsa_exception_fp_denorm_src 0
		.amdhsa_exception_fp_ieee_div_zero 0
		.amdhsa_exception_fp_ieee_overflow 0
		.amdhsa_exception_fp_ieee_underflow 0
		.amdhsa_exception_fp_ieee_inexact 0
		.amdhsa_exception_int_div_zero 0
	.end_amdhsa_kernel
	.section	.text._ZN7rocprim17ROCPRIM_400000_NS6detail17trampoline_kernelINS0_14default_configENS1_38merge_sort_block_merge_config_selectorIxNS0_10empty_typeEEEZZNS1_27merge_sort_block_merge_implIS3_N6thrust23THRUST_200600_302600_NS6detail15normal_iteratorINS9_10device_ptrIxEEEEPS5_m11less_div_10IxEEE10hipError_tT0_T1_T2_jT3_P12ihipStream_tbPNSt15iterator_traitsISJ_E10value_typeEPNSP_ISK_E10value_typeEPSL_NS1_7vsmem_tEENKUlT_SJ_SK_SL_E_clISE_PxSF_SF_EESI_SY_SJ_SK_SL_EUlSY_E1_NS1_11comp_targetILNS1_3genE10ELNS1_11target_archE1201ELNS1_3gpuE5ELNS1_3repE0EEENS1_36merge_oddeven_config_static_selectorELNS0_4arch9wavefront6targetE0EEEvSK_,"axG",@progbits,_ZN7rocprim17ROCPRIM_400000_NS6detail17trampoline_kernelINS0_14default_configENS1_38merge_sort_block_merge_config_selectorIxNS0_10empty_typeEEEZZNS1_27merge_sort_block_merge_implIS3_N6thrust23THRUST_200600_302600_NS6detail15normal_iteratorINS9_10device_ptrIxEEEEPS5_m11less_div_10IxEEE10hipError_tT0_T1_T2_jT3_P12ihipStream_tbPNSt15iterator_traitsISJ_E10value_typeEPNSP_ISK_E10value_typeEPSL_NS1_7vsmem_tEENKUlT_SJ_SK_SL_E_clISE_PxSF_SF_EESI_SY_SJ_SK_SL_EUlSY_E1_NS1_11comp_targetILNS1_3genE10ELNS1_11target_archE1201ELNS1_3gpuE5ELNS1_3repE0EEENS1_36merge_oddeven_config_static_selectorELNS0_4arch9wavefront6targetE0EEEvSK_,comdat
.Lfunc_end377:
	.size	_ZN7rocprim17ROCPRIM_400000_NS6detail17trampoline_kernelINS0_14default_configENS1_38merge_sort_block_merge_config_selectorIxNS0_10empty_typeEEEZZNS1_27merge_sort_block_merge_implIS3_N6thrust23THRUST_200600_302600_NS6detail15normal_iteratorINS9_10device_ptrIxEEEEPS5_m11less_div_10IxEEE10hipError_tT0_T1_T2_jT3_P12ihipStream_tbPNSt15iterator_traitsISJ_E10value_typeEPNSP_ISK_E10value_typeEPSL_NS1_7vsmem_tEENKUlT_SJ_SK_SL_E_clISE_PxSF_SF_EESI_SY_SJ_SK_SL_EUlSY_E1_NS1_11comp_targetILNS1_3genE10ELNS1_11target_archE1201ELNS1_3gpuE5ELNS1_3repE0EEENS1_36merge_oddeven_config_static_selectorELNS0_4arch9wavefront6targetE0EEEvSK_, .Lfunc_end377-_ZN7rocprim17ROCPRIM_400000_NS6detail17trampoline_kernelINS0_14default_configENS1_38merge_sort_block_merge_config_selectorIxNS0_10empty_typeEEEZZNS1_27merge_sort_block_merge_implIS3_N6thrust23THRUST_200600_302600_NS6detail15normal_iteratorINS9_10device_ptrIxEEEEPS5_m11less_div_10IxEEE10hipError_tT0_T1_T2_jT3_P12ihipStream_tbPNSt15iterator_traitsISJ_E10value_typeEPNSP_ISK_E10value_typeEPSL_NS1_7vsmem_tEENKUlT_SJ_SK_SL_E_clISE_PxSF_SF_EESI_SY_SJ_SK_SL_EUlSY_E1_NS1_11comp_targetILNS1_3genE10ELNS1_11target_archE1201ELNS1_3gpuE5ELNS1_3repE0EEENS1_36merge_oddeven_config_static_selectorELNS0_4arch9wavefront6targetE0EEEvSK_
                                        ; -- End function
	.set _ZN7rocprim17ROCPRIM_400000_NS6detail17trampoline_kernelINS0_14default_configENS1_38merge_sort_block_merge_config_selectorIxNS0_10empty_typeEEEZZNS1_27merge_sort_block_merge_implIS3_N6thrust23THRUST_200600_302600_NS6detail15normal_iteratorINS9_10device_ptrIxEEEEPS5_m11less_div_10IxEEE10hipError_tT0_T1_T2_jT3_P12ihipStream_tbPNSt15iterator_traitsISJ_E10value_typeEPNSP_ISK_E10value_typeEPSL_NS1_7vsmem_tEENKUlT_SJ_SK_SL_E_clISE_PxSF_SF_EESI_SY_SJ_SK_SL_EUlSY_E1_NS1_11comp_targetILNS1_3genE10ELNS1_11target_archE1201ELNS1_3gpuE5ELNS1_3repE0EEENS1_36merge_oddeven_config_static_selectorELNS0_4arch9wavefront6targetE0EEEvSK_.num_vgpr, 0
	.set _ZN7rocprim17ROCPRIM_400000_NS6detail17trampoline_kernelINS0_14default_configENS1_38merge_sort_block_merge_config_selectorIxNS0_10empty_typeEEEZZNS1_27merge_sort_block_merge_implIS3_N6thrust23THRUST_200600_302600_NS6detail15normal_iteratorINS9_10device_ptrIxEEEEPS5_m11less_div_10IxEEE10hipError_tT0_T1_T2_jT3_P12ihipStream_tbPNSt15iterator_traitsISJ_E10value_typeEPNSP_ISK_E10value_typeEPSL_NS1_7vsmem_tEENKUlT_SJ_SK_SL_E_clISE_PxSF_SF_EESI_SY_SJ_SK_SL_EUlSY_E1_NS1_11comp_targetILNS1_3genE10ELNS1_11target_archE1201ELNS1_3gpuE5ELNS1_3repE0EEENS1_36merge_oddeven_config_static_selectorELNS0_4arch9wavefront6targetE0EEEvSK_.num_agpr, 0
	.set _ZN7rocprim17ROCPRIM_400000_NS6detail17trampoline_kernelINS0_14default_configENS1_38merge_sort_block_merge_config_selectorIxNS0_10empty_typeEEEZZNS1_27merge_sort_block_merge_implIS3_N6thrust23THRUST_200600_302600_NS6detail15normal_iteratorINS9_10device_ptrIxEEEEPS5_m11less_div_10IxEEE10hipError_tT0_T1_T2_jT3_P12ihipStream_tbPNSt15iterator_traitsISJ_E10value_typeEPNSP_ISK_E10value_typeEPSL_NS1_7vsmem_tEENKUlT_SJ_SK_SL_E_clISE_PxSF_SF_EESI_SY_SJ_SK_SL_EUlSY_E1_NS1_11comp_targetILNS1_3genE10ELNS1_11target_archE1201ELNS1_3gpuE5ELNS1_3repE0EEENS1_36merge_oddeven_config_static_selectorELNS0_4arch9wavefront6targetE0EEEvSK_.numbered_sgpr, 0
	.set _ZN7rocprim17ROCPRIM_400000_NS6detail17trampoline_kernelINS0_14default_configENS1_38merge_sort_block_merge_config_selectorIxNS0_10empty_typeEEEZZNS1_27merge_sort_block_merge_implIS3_N6thrust23THRUST_200600_302600_NS6detail15normal_iteratorINS9_10device_ptrIxEEEEPS5_m11less_div_10IxEEE10hipError_tT0_T1_T2_jT3_P12ihipStream_tbPNSt15iterator_traitsISJ_E10value_typeEPNSP_ISK_E10value_typeEPSL_NS1_7vsmem_tEENKUlT_SJ_SK_SL_E_clISE_PxSF_SF_EESI_SY_SJ_SK_SL_EUlSY_E1_NS1_11comp_targetILNS1_3genE10ELNS1_11target_archE1201ELNS1_3gpuE5ELNS1_3repE0EEENS1_36merge_oddeven_config_static_selectorELNS0_4arch9wavefront6targetE0EEEvSK_.num_named_barrier, 0
	.set _ZN7rocprim17ROCPRIM_400000_NS6detail17trampoline_kernelINS0_14default_configENS1_38merge_sort_block_merge_config_selectorIxNS0_10empty_typeEEEZZNS1_27merge_sort_block_merge_implIS3_N6thrust23THRUST_200600_302600_NS6detail15normal_iteratorINS9_10device_ptrIxEEEEPS5_m11less_div_10IxEEE10hipError_tT0_T1_T2_jT3_P12ihipStream_tbPNSt15iterator_traitsISJ_E10value_typeEPNSP_ISK_E10value_typeEPSL_NS1_7vsmem_tEENKUlT_SJ_SK_SL_E_clISE_PxSF_SF_EESI_SY_SJ_SK_SL_EUlSY_E1_NS1_11comp_targetILNS1_3genE10ELNS1_11target_archE1201ELNS1_3gpuE5ELNS1_3repE0EEENS1_36merge_oddeven_config_static_selectorELNS0_4arch9wavefront6targetE0EEEvSK_.private_seg_size, 0
	.set _ZN7rocprim17ROCPRIM_400000_NS6detail17trampoline_kernelINS0_14default_configENS1_38merge_sort_block_merge_config_selectorIxNS0_10empty_typeEEEZZNS1_27merge_sort_block_merge_implIS3_N6thrust23THRUST_200600_302600_NS6detail15normal_iteratorINS9_10device_ptrIxEEEEPS5_m11less_div_10IxEEE10hipError_tT0_T1_T2_jT3_P12ihipStream_tbPNSt15iterator_traitsISJ_E10value_typeEPNSP_ISK_E10value_typeEPSL_NS1_7vsmem_tEENKUlT_SJ_SK_SL_E_clISE_PxSF_SF_EESI_SY_SJ_SK_SL_EUlSY_E1_NS1_11comp_targetILNS1_3genE10ELNS1_11target_archE1201ELNS1_3gpuE5ELNS1_3repE0EEENS1_36merge_oddeven_config_static_selectorELNS0_4arch9wavefront6targetE0EEEvSK_.uses_vcc, 0
	.set _ZN7rocprim17ROCPRIM_400000_NS6detail17trampoline_kernelINS0_14default_configENS1_38merge_sort_block_merge_config_selectorIxNS0_10empty_typeEEEZZNS1_27merge_sort_block_merge_implIS3_N6thrust23THRUST_200600_302600_NS6detail15normal_iteratorINS9_10device_ptrIxEEEEPS5_m11less_div_10IxEEE10hipError_tT0_T1_T2_jT3_P12ihipStream_tbPNSt15iterator_traitsISJ_E10value_typeEPNSP_ISK_E10value_typeEPSL_NS1_7vsmem_tEENKUlT_SJ_SK_SL_E_clISE_PxSF_SF_EESI_SY_SJ_SK_SL_EUlSY_E1_NS1_11comp_targetILNS1_3genE10ELNS1_11target_archE1201ELNS1_3gpuE5ELNS1_3repE0EEENS1_36merge_oddeven_config_static_selectorELNS0_4arch9wavefront6targetE0EEEvSK_.uses_flat_scratch, 0
	.set _ZN7rocprim17ROCPRIM_400000_NS6detail17trampoline_kernelINS0_14default_configENS1_38merge_sort_block_merge_config_selectorIxNS0_10empty_typeEEEZZNS1_27merge_sort_block_merge_implIS3_N6thrust23THRUST_200600_302600_NS6detail15normal_iteratorINS9_10device_ptrIxEEEEPS5_m11less_div_10IxEEE10hipError_tT0_T1_T2_jT3_P12ihipStream_tbPNSt15iterator_traitsISJ_E10value_typeEPNSP_ISK_E10value_typeEPSL_NS1_7vsmem_tEENKUlT_SJ_SK_SL_E_clISE_PxSF_SF_EESI_SY_SJ_SK_SL_EUlSY_E1_NS1_11comp_targetILNS1_3genE10ELNS1_11target_archE1201ELNS1_3gpuE5ELNS1_3repE0EEENS1_36merge_oddeven_config_static_selectorELNS0_4arch9wavefront6targetE0EEEvSK_.has_dyn_sized_stack, 0
	.set _ZN7rocprim17ROCPRIM_400000_NS6detail17trampoline_kernelINS0_14default_configENS1_38merge_sort_block_merge_config_selectorIxNS0_10empty_typeEEEZZNS1_27merge_sort_block_merge_implIS3_N6thrust23THRUST_200600_302600_NS6detail15normal_iteratorINS9_10device_ptrIxEEEEPS5_m11less_div_10IxEEE10hipError_tT0_T1_T2_jT3_P12ihipStream_tbPNSt15iterator_traitsISJ_E10value_typeEPNSP_ISK_E10value_typeEPSL_NS1_7vsmem_tEENKUlT_SJ_SK_SL_E_clISE_PxSF_SF_EESI_SY_SJ_SK_SL_EUlSY_E1_NS1_11comp_targetILNS1_3genE10ELNS1_11target_archE1201ELNS1_3gpuE5ELNS1_3repE0EEENS1_36merge_oddeven_config_static_selectorELNS0_4arch9wavefront6targetE0EEEvSK_.has_recursion, 0
	.set _ZN7rocprim17ROCPRIM_400000_NS6detail17trampoline_kernelINS0_14default_configENS1_38merge_sort_block_merge_config_selectorIxNS0_10empty_typeEEEZZNS1_27merge_sort_block_merge_implIS3_N6thrust23THRUST_200600_302600_NS6detail15normal_iteratorINS9_10device_ptrIxEEEEPS5_m11less_div_10IxEEE10hipError_tT0_T1_T2_jT3_P12ihipStream_tbPNSt15iterator_traitsISJ_E10value_typeEPNSP_ISK_E10value_typeEPSL_NS1_7vsmem_tEENKUlT_SJ_SK_SL_E_clISE_PxSF_SF_EESI_SY_SJ_SK_SL_EUlSY_E1_NS1_11comp_targetILNS1_3genE10ELNS1_11target_archE1201ELNS1_3gpuE5ELNS1_3repE0EEENS1_36merge_oddeven_config_static_selectorELNS0_4arch9wavefront6targetE0EEEvSK_.has_indirect_call, 0
	.section	.AMDGPU.csdata,"",@progbits
; Kernel info:
; codeLenInByte = 0
; TotalNumSgprs: 0
; NumVgprs: 0
; ScratchSize: 0
; MemoryBound: 0
; FloatMode: 240
; IeeeMode: 1
; LDSByteSize: 0 bytes/workgroup (compile time only)
; SGPRBlocks: 0
; VGPRBlocks: 0
; NumSGPRsForWavesPerEU: 1
; NumVGPRsForWavesPerEU: 1
; Occupancy: 16
; WaveLimiterHint : 0
; COMPUTE_PGM_RSRC2:SCRATCH_EN: 0
; COMPUTE_PGM_RSRC2:USER_SGPR: 6
; COMPUTE_PGM_RSRC2:TRAP_HANDLER: 0
; COMPUTE_PGM_RSRC2:TGID_X_EN: 1
; COMPUTE_PGM_RSRC2:TGID_Y_EN: 0
; COMPUTE_PGM_RSRC2:TGID_Z_EN: 0
; COMPUTE_PGM_RSRC2:TIDIG_COMP_CNT: 0
	.section	.text._ZN7rocprim17ROCPRIM_400000_NS6detail17trampoline_kernelINS0_14default_configENS1_38merge_sort_block_merge_config_selectorIxNS0_10empty_typeEEEZZNS1_27merge_sort_block_merge_implIS3_N6thrust23THRUST_200600_302600_NS6detail15normal_iteratorINS9_10device_ptrIxEEEEPS5_m11less_div_10IxEEE10hipError_tT0_T1_T2_jT3_P12ihipStream_tbPNSt15iterator_traitsISJ_E10value_typeEPNSP_ISK_E10value_typeEPSL_NS1_7vsmem_tEENKUlT_SJ_SK_SL_E_clISE_PxSF_SF_EESI_SY_SJ_SK_SL_EUlSY_E1_NS1_11comp_targetILNS1_3genE5ELNS1_11target_archE942ELNS1_3gpuE9ELNS1_3repE0EEENS1_36merge_oddeven_config_static_selectorELNS0_4arch9wavefront6targetE0EEEvSK_,"axG",@progbits,_ZN7rocprim17ROCPRIM_400000_NS6detail17trampoline_kernelINS0_14default_configENS1_38merge_sort_block_merge_config_selectorIxNS0_10empty_typeEEEZZNS1_27merge_sort_block_merge_implIS3_N6thrust23THRUST_200600_302600_NS6detail15normal_iteratorINS9_10device_ptrIxEEEEPS5_m11less_div_10IxEEE10hipError_tT0_T1_T2_jT3_P12ihipStream_tbPNSt15iterator_traitsISJ_E10value_typeEPNSP_ISK_E10value_typeEPSL_NS1_7vsmem_tEENKUlT_SJ_SK_SL_E_clISE_PxSF_SF_EESI_SY_SJ_SK_SL_EUlSY_E1_NS1_11comp_targetILNS1_3genE5ELNS1_11target_archE942ELNS1_3gpuE9ELNS1_3repE0EEENS1_36merge_oddeven_config_static_selectorELNS0_4arch9wavefront6targetE0EEEvSK_,comdat
	.protected	_ZN7rocprim17ROCPRIM_400000_NS6detail17trampoline_kernelINS0_14default_configENS1_38merge_sort_block_merge_config_selectorIxNS0_10empty_typeEEEZZNS1_27merge_sort_block_merge_implIS3_N6thrust23THRUST_200600_302600_NS6detail15normal_iteratorINS9_10device_ptrIxEEEEPS5_m11less_div_10IxEEE10hipError_tT0_T1_T2_jT3_P12ihipStream_tbPNSt15iterator_traitsISJ_E10value_typeEPNSP_ISK_E10value_typeEPSL_NS1_7vsmem_tEENKUlT_SJ_SK_SL_E_clISE_PxSF_SF_EESI_SY_SJ_SK_SL_EUlSY_E1_NS1_11comp_targetILNS1_3genE5ELNS1_11target_archE942ELNS1_3gpuE9ELNS1_3repE0EEENS1_36merge_oddeven_config_static_selectorELNS0_4arch9wavefront6targetE0EEEvSK_ ; -- Begin function _ZN7rocprim17ROCPRIM_400000_NS6detail17trampoline_kernelINS0_14default_configENS1_38merge_sort_block_merge_config_selectorIxNS0_10empty_typeEEEZZNS1_27merge_sort_block_merge_implIS3_N6thrust23THRUST_200600_302600_NS6detail15normal_iteratorINS9_10device_ptrIxEEEEPS5_m11less_div_10IxEEE10hipError_tT0_T1_T2_jT3_P12ihipStream_tbPNSt15iterator_traitsISJ_E10value_typeEPNSP_ISK_E10value_typeEPSL_NS1_7vsmem_tEENKUlT_SJ_SK_SL_E_clISE_PxSF_SF_EESI_SY_SJ_SK_SL_EUlSY_E1_NS1_11comp_targetILNS1_3genE5ELNS1_11target_archE942ELNS1_3gpuE9ELNS1_3repE0EEENS1_36merge_oddeven_config_static_selectorELNS0_4arch9wavefront6targetE0EEEvSK_
	.globl	_ZN7rocprim17ROCPRIM_400000_NS6detail17trampoline_kernelINS0_14default_configENS1_38merge_sort_block_merge_config_selectorIxNS0_10empty_typeEEEZZNS1_27merge_sort_block_merge_implIS3_N6thrust23THRUST_200600_302600_NS6detail15normal_iteratorINS9_10device_ptrIxEEEEPS5_m11less_div_10IxEEE10hipError_tT0_T1_T2_jT3_P12ihipStream_tbPNSt15iterator_traitsISJ_E10value_typeEPNSP_ISK_E10value_typeEPSL_NS1_7vsmem_tEENKUlT_SJ_SK_SL_E_clISE_PxSF_SF_EESI_SY_SJ_SK_SL_EUlSY_E1_NS1_11comp_targetILNS1_3genE5ELNS1_11target_archE942ELNS1_3gpuE9ELNS1_3repE0EEENS1_36merge_oddeven_config_static_selectorELNS0_4arch9wavefront6targetE0EEEvSK_
	.p2align	8
	.type	_ZN7rocprim17ROCPRIM_400000_NS6detail17trampoline_kernelINS0_14default_configENS1_38merge_sort_block_merge_config_selectorIxNS0_10empty_typeEEEZZNS1_27merge_sort_block_merge_implIS3_N6thrust23THRUST_200600_302600_NS6detail15normal_iteratorINS9_10device_ptrIxEEEEPS5_m11less_div_10IxEEE10hipError_tT0_T1_T2_jT3_P12ihipStream_tbPNSt15iterator_traitsISJ_E10value_typeEPNSP_ISK_E10value_typeEPSL_NS1_7vsmem_tEENKUlT_SJ_SK_SL_E_clISE_PxSF_SF_EESI_SY_SJ_SK_SL_EUlSY_E1_NS1_11comp_targetILNS1_3genE5ELNS1_11target_archE942ELNS1_3gpuE9ELNS1_3repE0EEENS1_36merge_oddeven_config_static_selectorELNS0_4arch9wavefront6targetE0EEEvSK_,@function
_ZN7rocprim17ROCPRIM_400000_NS6detail17trampoline_kernelINS0_14default_configENS1_38merge_sort_block_merge_config_selectorIxNS0_10empty_typeEEEZZNS1_27merge_sort_block_merge_implIS3_N6thrust23THRUST_200600_302600_NS6detail15normal_iteratorINS9_10device_ptrIxEEEEPS5_m11less_div_10IxEEE10hipError_tT0_T1_T2_jT3_P12ihipStream_tbPNSt15iterator_traitsISJ_E10value_typeEPNSP_ISK_E10value_typeEPSL_NS1_7vsmem_tEENKUlT_SJ_SK_SL_E_clISE_PxSF_SF_EESI_SY_SJ_SK_SL_EUlSY_E1_NS1_11comp_targetILNS1_3genE5ELNS1_11target_archE942ELNS1_3gpuE9ELNS1_3repE0EEENS1_36merge_oddeven_config_static_selectorELNS0_4arch9wavefront6targetE0EEEvSK_: ; @_ZN7rocprim17ROCPRIM_400000_NS6detail17trampoline_kernelINS0_14default_configENS1_38merge_sort_block_merge_config_selectorIxNS0_10empty_typeEEEZZNS1_27merge_sort_block_merge_implIS3_N6thrust23THRUST_200600_302600_NS6detail15normal_iteratorINS9_10device_ptrIxEEEEPS5_m11less_div_10IxEEE10hipError_tT0_T1_T2_jT3_P12ihipStream_tbPNSt15iterator_traitsISJ_E10value_typeEPNSP_ISK_E10value_typeEPSL_NS1_7vsmem_tEENKUlT_SJ_SK_SL_E_clISE_PxSF_SF_EESI_SY_SJ_SK_SL_EUlSY_E1_NS1_11comp_targetILNS1_3genE5ELNS1_11target_archE942ELNS1_3gpuE9ELNS1_3repE0EEENS1_36merge_oddeven_config_static_selectorELNS0_4arch9wavefront6targetE0EEEvSK_
; %bb.0:
	.section	.rodata,"a",@progbits
	.p2align	6, 0x0
	.amdhsa_kernel _ZN7rocprim17ROCPRIM_400000_NS6detail17trampoline_kernelINS0_14default_configENS1_38merge_sort_block_merge_config_selectorIxNS0_10empty_typeEEEZZNS1_27merge_sort_block_merge_implIS3_N6thrust23THRUST_200600_302600_NS6detail15normal_iteratorINS9_10device_ptrIxEEEEPS5_m11less_div_10IxEEE10hipError_tT0_T1_T2_jT3_P12ihipStream_tbPNSt15iterator_traitsISJ_E10value_typeEPNSP_ISK_E10value_typeEPSL_NS1_7vsmem_tEENKUlT_SJ_SK_SL_E_clISE_PxSF_SF_EESI_SY_SJ_SK_SL_EUlSY_E1_NS1_11comp_targetILNS1_3genE5ELNS1_11target_archE942ELNS1_3gpuE9ELNS1_3repE0EEENS1_36merge_oddeven_config_static_selectorELNS0_4arch9wavefront6targetE0EEEvSK_
		.amdhsa_group_segment_fixed_size 0
		.amdhsa_private_segment_fixed_size 0
		.amdhsa_kernarg_size 56
		.amdhsa_user_sgpr_count 6
		.amdhsa_user_sgpr_private_segment_buffer 1
		.amdhsa_user_sgpr_dispatch_ptr 0
		.amdhsa_user_sgpr_queue_ptr 0
		.amdhsa_user_sgpr_kernarg_segment_ptr 1
		.amdhsa_user_sgpr_dispatch_id 0
		.amdhsa_user_sgpr_flat_scratch_init 0
		.amdhsa_user_sgpr_private_segment_size 0
		.amdhsa_wavefront_size32 1
		.amdhsa_uses_dynamic_stack 0
		.amdhsa_system_sgpr_private_segment_wavefront_offset 0
		.amdhsa_system_sgpr_workgroup_id_x 1
		.amdhsa_system_sgpr_workgroup_id_y 0
		.amdhsa_system_sgpr_workgroup_id_z 0
		.amdhsa_system_sgpr_workgroup_info 0
		.amdhsa_system_vgpr_workitem_id 0
		.amdhsa_next_free_vgpr 1
		.amdhsa_next_free_sgpr 1
		.amdhsa_reserve_vcc 0
		.amdhsa_reserve_flat_scratch 0
		.amdhsa_float_round_mode_32 0
		.amdhsa_float_round_mode_16_64 0
		.amdhsa_float_denorm_mode_32 3
		.amdhsa_float_denorm_mode_16_64 3
		.amdhsa_dx10_clamp 1
		.amdhsa_ieee_mode 1
		.amdhsa_fp16_overflow 0
		.amdhsa_workgroup_processor_mode 1
		.amdhsa_memory_ordered 1
		.amdhsa_forward_progress 1
		.amdhsa_shared_vgpr_count 0
		.amdhsa_exception_fp_ieee_invalid_op 0
		.amdhsa_exception_fp_denorm_src 0
		.amdhsa_exception_fp_ieee_div_zero 0
		.amdhsa_exception_fp_ieee_overflow 0
		.amdhsa_exception_fp_ieee_underflow 0
		.amdhsa_exception_fp_ieee_inexact 0
		.amdhsa_exception_int_div_zero 0
	.end_amdhsa_kernel
	.section	.text._ZN7rocprim17ROCPRIM_400000_NS6detail17trampoline_kernelINS0_14default_configENS1_38merge_sort_block_merge_config_selectorIxNS0_10empty_typeEEEZZNS1_27merge_sort_block_merge_implIS3_N6thrust23THRUST_200600_302600_NS6detail15normal_iteratorINS9_10device_ptrIxEEEEPS5_m11less_div_10IxEEE10hipError_tT0_T1_T2_jT3_P12ihipStream_tbPNSt15iterator_traitsISJ_E10value_typeEPNSP_ISK_E10value_typeEPSL_NS1_7vsmem_tEENKUlT_SJ_SK_SL_E_clISE_PxSF_SF_EESI_SY_SJ_SK_SL_EUlSY_E1_NS1_11comp_targetILNS1_3genE5ELNS1_11target_archE942ELNS1_3gpuE9ELNS1_3repE0EEENS1_36merge_oddeven_config_static_selectorELNS0_4arch9wavefront6targetE0EEEvSK_,"axG",@progbits,_ZN7rocprim17ROCPRIM_400000_NS6detail17trampoline_kernelINS0_14default_configENS1_38merge_sort_block_merge_config_selectorIxNS0_10empty_typeEEEZZNS1_27merge_sort_block_merge_implIS3_N6thrust23THRUST_200600_302600_NS6detail15normal_iteratorINS9_10device_ptrIxEEEEPS5_m11less_div_10IxEEE10hipError_tT0_T1_T2_jT3_P12ihipStream_tbPNSt15iterator_traitsISJ_E10value_typeEPNSP_ISK_E10value_typeEPSL_NS1_7vsmem_tEENKUlT_SJ_SK_SL_E_clISE_PxSF_SF_EESI_SY_SJ_SK_SL_EUlSY_E1_NS1_11comp_targetILNS1_3genE5ELNS1_11target_archE942ELNS1_3gpuE9ELNS1_3repE0EEENS1_36merge_oddeven_config_static_selectorELNS0_4arch9wavefront6targetE0EEEvSK_,comdat
.Lfunc_end378:
	.size	_ZN7rocprim17ROCPRIM_400000_NS6detail17trampoline_kernelINS0_14default_configENS1_38merge_sort_block_merge_config_selectorIxNS0_10empty_typeEEEZZNS1_27merge_sort_block_merge_implIS3_N6thrust23THRUST_200600_302600_NS6detail15normal_iteratorINS9_10device_ptrIxEEEEPS5_m11less_div_10IxEEE10hipError_tT0_T1_T2_jT3_P12ihipStream_tbPNSt15iterator_traitsISJ_E10value_typeEPNSP_ISK_E10value_typeEPSL_NS1_7vsmem_tEENKUlT_SJ_SK_SL_E_clISE_PxSF_SF_EESI_SY_SJ_SK_SL_EUlSY_E1_NS1_11comp_targetILNS1_3genE5ELNS1_11target_archE942ELNS1_3gpuE9ELNS1_3repE0EEENS1_36merge_oddeven_config_static_selectorELNS0_4arch9wavefront6targetE0EEEvSK_, .Lfunc_end378-_ZN7rocprim17ROCPRIM_400000_NS6detail17trampoline_kernelINS0_14default_configENS1_38merge_sort_block_merge_config_selectorIxNS0_10empty_typeEEEZZNS1_27merge_sort_block_merge_implIS3_N6thrust23THRUST_200600_302600_NS6detail15normal_iteratorINS9_10device_ptrIxEEEEPS5_m11less_div_10IxEEE10hipError_tT0_T1_T2_jT3_P12ihipStream_tbPNSt15iterator_traitsISJ_E10value_typeEPNSP_ISK_E10value_typeEPSL_NS1_7vsmem_tEENKUlT_SJ_SK_SL_E_clISE_PxSF_SF_EESI_SY_SJ_SK_SL_EUlSY_E1_NS1_11comp_targetILNS1_3genE5ELNS1_11target_archE942ELNS1_3gpuE9ELNS1_3repE0EEENS1_36merge_oddeven_config_static_selectorELNS0_4arch9wavefront6targetE0EEEvSK_
                                        ; -- End function
	.set _ZN7rocprim17ROCPRIM_400000_NS6detail17trampoline_kernelINS0_14default_configENS1_38merge_sort_block_merge_config_selectorIxNS0_10empty_typeEEEZZNS1_27merge_sort_block_merge_implIS3_N6thrust23THRUST_200600_302600_NS6detail15normal_iteratorINS9_10device_ptrIxEEEEPS5_m11less_div_10IxEEE10hipError_tT0_T1_T2_jT3_P12ihipStream_tbPNSt15iterator_traitsISJ_E10value_typeEPNSP_ISK_E10value_typeEPSL_NS1_7vsmem_tEENKUlT_SJ_SK_SL_E_clISE_PxSF_SF_EESI_SY_SJ_SK_SL_EUlSY_E1_NS1_11comp_targetILNS1_3genE5ELNS1_11target_archE942ELNS1_3gpuE9ELNS1_3repE0EEENS1_36merge_oddeven_config_static_selectorELNS0_4arch9wavefront6targetE0EEEvSK_.num_vgpr, 0
	.set _ZN7rocprim17ROCPRIM_400000_NS6detail17trampoline_kernelINS0_14default_configENS1_38merge_sort_block_merge_config_selectorIxNS0_10empty_typeEEEZZNS1_27merge_sort_block_merge_implIS3_N6thrust23THRUST_200600_302600_NS6detail15normal_iteratorINS9_10device_ptrIxEEEEPS5_m11less_div_10IxEEE10hipError_tT0_T1_T2_jT3_P12ihipStream_tbPNSt15iterator_traitsISJ_E10value_typeEPNSP_ISK_E10value_typeEPSL_NS1_7vsmem_tEENKUlT_SJ_SK_SL_E_clISE_PxSF_SF_EESI_SY_SJ_SK_SL_EUlSY_E1_NS1_11comp_targetILNS1_3genE5ELNS1_11target_archE942ELNS1_3gpuE9ELNS1_3repE0EEENS1_36merge_oddeven_config_static_selectorELNS0_4arch9wavefront6targetE0EEEvSK_.num_agpr, 0
	.set _ZN7rocprim17ROCPRIM_400000_NS6detail17trampoline_kernelINS0_14default_configENS1_38merge_sort_block_merge_config_selectorIxNS0_10empty_typeEEEZZNS1_27merge_sort_block_merge_implIS3_N6thrust23THRUST_200600_302600_NS6detail15normal_iteratorINS9_10device_ptrIxEEEEPS5_m11less_div_10IxEEE10hipError_tT0_T1_T2_jT3_P12ihipStream_tbPNSt15iterator_traitsISJ_E10value_typeEPNSP_ISK_E10value_typeEPSL_NS1_7vsmem_tEENKUlT_SJ_SK_SL_E_clISE_PxSF_SF_EESI_SY_SJ_SK_SL_EUlSY_E1_NS1_11comp_targetILNS1_3genE5ELNS1_11target_archE942ELNS1_3gpuE9ELNS1_3repE0EEENS1_36merge_oddeven_config_static_selectorELNS0_4arch9wavefront6targetE0EEEvSK_.numbered_sgpr, 0
	.set _ZN7rocprim17ROCPRIM_400000_NS6detail17trampoline_kernelINS0_14default_configENS1_38merge_sort_block_merge_config_selectorIxNS0_10empty_typeEEEZZNS1_27merge_sort_block_merge_implIS3_N6thrust23THRUST_200600_302600_NS6detail15normal_iteratorINS9_10device_ptrIxEEEEPS5_m11less_div_10IxEEE10hipError_tT0_T1_T2_jT3_P12ihipStream_tbPNSt15iterator_traitsISJ_E10value_typeEPNSP_ISK_E10value_typeEPSL_NS1_7vsmem_tEENKUlT_SJ_SK_SL_E_clISE_PxSF_SF_EESI_SY_SJ_SK_SL_EUlSY_E1_NS1_11comp_targetILNS1_3genE5ELNS1_11target_archE942ELNS1_3gpuE9ELNS1_3repE0EEENS1_36merge_oddeven_config_static_selectorELNS0_4arch9wavefront6targetE0EEEvSK_.num_named_barrier, 0
	.set _ZN7rocprim17ROCPRIM_400000_NS6detail17trampoline_kernelINS0_14default_configENS1_38merge_sort_block_merge_config_selectorIxNS0_10empty_typeEEEZZNS1_27merge_sort_block_merge_implIS3_N6thrust23THRUST_200600_302600_NS6detail15normal_iteratorINS9_10device_ptrIxEEEEPS5_m11less_div_10IxEEE10hipError_tT0_T1_T2_jT3_P12ihipStream_tbPNSt15iterator_traitsISJ_E10value_typeEPNSP_ISK_E10value_typeEPSL_NS1_7vsmem_tEENKUlT_SJ_SK_SL_E_clISE_PxSF_SF_EESI_SY_SJ_SK_SL_EUlSY_E1_NS1_11comp_targetILNS1_3genE5ELNS1_11target_archE942ELNS1_3gpuE9ELNS1_3repE0EEENS1_36merge_oddeven_config_static_selectorELNS0_4arch9wavefront6targetE0EEEvSK_.private_seg_size, 0
	.set _ZN7rocprim17ROCPRIM_400000_NS6detail17trampoline_kernelINS0_14default_configENS1_38merge_sort_block_merge_config_selectorIxNS0_10empty_typeEEEZZNS1_27merge_sort_block_merge_implIS3_N6thrust23THRUST_200600_302600_NS6detail15normal_iteratorINS9_10device_ptrIxEEEEPS5_m11less_div_10IxEEE10hipError_tT0_T1_T2_jT3_P12ihipStream_tbPNSt15iterator_traitsISJ_E10value_typeEPNSP_ISK_E10value_typeEPSL_NS1_7vsmem_tEENKUlT_SJ_SK_SL_E_clISE_PxSF_SF_EESI_SY_SJ_SK_SL_EUlSY_E1_NS1_11comp_targetILNS1_3genE5ELNS1_11target_archE942ELNS1_3gpuE9ELNS1_3repE0EEENS1_36merge_oddeven_config_static_selectorELNS0_4arch9wavefront6targetE0EEEvSK_.uses_vcc, 0
	.set _ZN7rocprim17ROCPRIM_400000_NS6detail17trampoline_kernelINS0_14default_configENS1_38merge_sort_block_merge_config_selectorIxNS0_10empty_typeEEEZZNS1_27merge_sort_block_merge_implIS3_N6thrust23THRUST_200600_302600_NS6detail15normal_iteratorINS9_10device_ptrIxEEEEPS5_m11less_div_10IxEEE10hipError_tT0_T1_T2_jT3_P12ihipStream_tbPNSt15iterator_traitsISJ_E10value_typeEPNSP_ISK_E10value_typeEPSL_NS1_7vsmem_tEENKUlT_SJ_SK_SL_E_clISE_PxSF_SF_EESI_SY_SJ_SK_SL_EUlSY_E1_NS1_11comp_targetILNS1_3genE5ELNS1_11target_archE942ELNS1_3gpuE9ELNS1_3repE0EEENS1_36merge_oddeven_config_static_selectorELNS0_4arch9wavefront6targetE0EEEvSK_.uses_flat_scratch, 0
	.set _ZN7rocprim17ROCPRIM_400000_NS6detail17trampoline_kernelINS0_14default_configENS1_38merge_sort_block_merge_config_selectorIxNS0_10empty_typeEEEZZNS1_27merge_sort_block_merge_implIS3_N6thrust23THRUST_200600_302600_NS6detail15normal_iteratorINS9_10device_ptrIxEEEEPS5_m11less_div_10IxEEE10hipError_tT0_T1_T2_jT3_P12ihipStream_tbPNSt15iterator_traitsISJ_E10value_typeEPNSP_ISK_E10value_typeEPSL_NS1_7vsmem_tEENKUlT_SJ_SK_SL_E_clISE_PxSF_SF_EESI_SY_SJ_SK_SL_EUlSY_E1_NS1_11comp_targetILNS1_3genE5ELNS1_11target_archE942ELNS1_3gpuE9ELNS1_3repE0EEENS1_36merge_oddeven_config_static_selectorELNS0_4arch9wavefront6targetE0EEEvSK_.has_dyn_sized_stack, 0
	.set _ZN7rocprim17ROCPRIM_400000_NS6detail17trampoline_kernelINS0_14default_configENS1_38merge_sort_block_merge_config_selectorIxNS0_10empty_typeEEEZZNS1_27merge_sort_block_merge_implIS3_N6thrust23THRUST_200600_302600_NS6detail15normal_iteratorINS9_10device_ptrIxEEEEPS5_m11less_div_10IxEEE10hipError_tT0_T1_T2_jT3_P12ihipStream_tbPNSt15iterator_traitsISJ_E10value_typeEPNSP_ISK_E10value_typeEPSL_NS1_7vsmem_tEENKUlT_SJ_SK_SL_E_clISE_PxSF_SF_EESI_SY_SJ_SK_SL_EUlSY_E1_NS1_11comp_targetILNS1_3genE5ELNS1_11target_archE942ELNS1_3gpuE9ELNS1_3repE0EEENS1_36merge_oddeven_config_static_selectorELNS0_4arch9wavefront6targetE0EEEvSK_.has_recursion, 0
	.set _ZN7rocprim17ROCPRIM_400000_NS6detail17trampoline_kernelINS0_14default_configENS1_38merge_sort_block_merge_config_selectorIxNS0_10empty_typeEEEZZNS1_27merge_sort_block_merge_implIS3_N6thrust23THRUST_200600_302600_NS6detail15normal_iteratorINS9_10device_ptrIxEEEEPS5_m11less_div_10IxEEE10hipError_tT0_T1_T2_jT3_P12ihipStream_tbPNSt15iterator_traitsISJ_E10value_typeEPNSP_ISK_E10value_typeEPSL_NS1_7vsmem_tEENKUlT_SJ_SK_SL_E_clISE_PxSF_SF_EESI_SY_SJ_SK_SL_EUlSY_E1_NS1_11comp_targetILNS1_3genE5ELNS1_11target_archE942ELNS1_3gpuE9ELNS1_3repE0EEENS1_36merge_oddeven_config_static_selectorELNS0_4arch9wavefront6targetE0EEEvSK_.has_indirect_call, 0
	.section	.AMDGPU.csdata,"",@progbits
; Kernel info:
; codeLenInByte = 0
; TotalNumSgprs: 0
; NumVgprs: 0
; ScratchSize: 0
; MemoryBound: 0
; FloatMode: 240
; IeeeMode: 1
; LDSByteSize: 0 bytes/workgroup (compile time only)
; SGPRBlocks: 0
; VGPRBlocks: 0
; NumSGPRsForWavesPerEU: 1
; NumVGPRsForWavesPerEU: 1
; Occupancy: 16
; WaveLimiterHint : 0
; COMPUTE_PGM_RSRC2:SCRATCH_EN: 0
; COMPUTE_PGM_RSRC2:USER_SGPR: 6
; COMPUTE_PGM_RSRC2:TRAP_HANDLER: 0
; COMPUTE_PGM_RSRC2:TGID_X_EN: 1
; COMPUTE_PGM_RSRC2:TGID_Y_EN: 0
; COMPUTE_PGM_RSRC2:TGID_Z_EN: 0
; COMPUTE_PGM_RSRC2:TIDIG_COMP_CNT: 0
	.section	.text._ZN7rocprim17ROCPRIM_400000_NS6detail17trampoline_kernelINS0_14default_configENS1_38merge_sort_block_merge_config_selectorIxNS0_10empty_typeEEEZZNS1_27merge_sort_block_merge_implIS3_N6thrust23THRUST_200600_302600_NS6detail15normal_iteratorINS9_10device_ptrIxEEEEPS5_m11less_div_10IxEEE10hipError_tT0_T1_T2_jT3_P12ihipStream_tbPNSt15iterator_traitsISJ_E10value_typeEPNSP_ISK_E10value_typeEPSL_NS1_7vsmem_tEENKUlT_SJ_SK_SL_E_clISE_PxSF_SF_EESI_SY_SJ_SK_SL_EUlSY_E1_NS1_11comp_targetILNS1_3genE4ELNS1_11target_archE910ELNS1_3gpuE8ELNS1_3repE0EEENS1_36merge_oddeven_config_static_selectorELNS0_4arch9wavefront6targetE0EEEvSK_,"axG",@progbits,_ZN7rocprim17ROCPRIM_400000_NS6detail17trampoline_kernelINS0_14default_configENS1_38merge_sort_block_merge_config_selectorIxNS0_10empty_typeEEEZZNS1_27merge_sort_block_merge_implIS3_N6thrust23THRUST_200600_302600_NS6detail15normal_iteratorINS9_10device_ptrIxEEEEPS5_m11less_div_10IxEEE10hipError_tT0_T1_T2_jT3_P12ihipStream_tbPNSt15iterator_traitsISJ_E10value_typeEPNSP_ISK_E10value_typeEPSL_NS1_7vsmem_tEENKUlT_SJ_SK_SL_E_clISE_PxSF_SF_EESI_SY_SJ_SK_SL_EUlSY_E1_NS1_11comp_targetILNS1_3genE4ELNS1_11target_archE910ELNS1_3gpuE8ELNS1_3repE0EEENS1_36merge_oddeven_config_static_selectorELNS0_4arch9wavefront6targetE0EEEvSK_,comdat
	.protected	_ZN7rocprim17ROCPRIM_400000_NS6detail17trampoline_kernelINS0_14default_configENS1_38merge_sort_block_merge_config_selectorIxNS0_10empty_typeEEEZZNS1_27merge_sort_block_merge_implIS3_N6thrust23THRUST_200600_302600_NS6detail15normal_iteratorINS9_10device_ptrIxEEEEPS5_m11less_div_10IxEEE10hipError_tT0_T1_T2_jT3_P12ihipStream_tbPNSt15iterator_traitsISJ_E10value_typeEPNSP_ISK_E10value_typeEPSL_NS1_7vsmem_tEENKUlT_SJ_SK_SL_E_clISE_PxSF_SF_EESI_SY_SJ_SK_SL_EUlSY_E1_NS1_11comp_targetILNS1_3genE4ELNS1_11target_archE910ELNS1_3gpuE8ELNS1_3repE0EEENS1_36merge_oddeven_config_static_selectorELNS0_4arch9wavefront6targetE0EEEvSK_ ; -- Begin function _ZN7rocprim17ROCPRIM_400000_NS6detail17trampoline_kernelINS0_14default_configENS1_38merge_sort_block_merge_config_selectorIxNS0_10empty_typeEEEZZNS1_27merge_sort_block_merge_implIS3_N6thrust23THRUST_200600_302600_NS6detail15normal_iteratorINS9_10device_ptrIxEEEEPS5_m11less_div_10IxEEE10hipError_tT0_T1_T2_jT3_P12ihipStream_tbPNSt15iterator_traitsISJ_E10value_typeEPNSP_ISK_E10value_typeEPSL_NS1_7vsmem_tEENKUlT_SJ_SK_SL_E_clISE_PxSF_SF_EESI_SY_SJ_SK_SL_EUlSY_E1_NS1_11comp_targetILNS1_3genE4ELNS1_11target_archE910ELNS1_3gpuE8ELNS1_3repE0EEENS1_36merge_oddeven_config_static_selectorELNS0_4arch9wavefront6targetE0EEEvSK_
	.globl	_ZN7rocprim17ROCPRIM_400000_NS6detail17trampoline_kernelINS0_14default_configENS1_38merge_sort_block_merge_config_selectorIxNS0_10empty_typeEEEZZNS1_27merge_sort_block_merge_implIS3_N6thrust23THRUST_200600_302600_NS6detail15normal_iteratorINS9_10device_ptrIxEEEEPS5_m11less_div_10IxEEE10hipError_tT0_T1_T2_jT3_P12ihipStream_tbPNSt15iterator_traitsISJ_E10value_typeEPNSP_ISK_E10value_typeEPSL_NS1_7vsmem_tEENKUlT_SJ_SK_SL_E_clISE_PxSF_SF_EESI_SY_SJ_SK_SL_EUlSY_E1_NS1_11comp_targetILNS1_3genE4ELNS1_11target_archE910ELNS1_3gpuE8ELNS1_3repE0EEENS1_36merge_oddeven_config_static_selectorELNS0_4arch9wavefront6targetE0EEEvSK_
	.p2align	8
	.type	_ZN7rocprim17ROCPRIM_400000_NS6detail17trampoline_kernelINS0_14default_configENS1_38merge_sort_block_merge_config_selectorIxNS0_10empty_typeEEEZZNS1_27merge_sort_block_merge_implIS3_N6thrust23THRUST_200600_302600_NS6detail15normal_iteratorINS9_10device_ptrIxEEEEPS5_m11less_div_10IxEEE10hipError_tT0_T1_T2_jT3_P12ihipStream_tbPNSt15iterator_traitsISJ_E10value_typeEPNSP_ISK_E10value_typeEPSL_NS1_7vsmem_tEENKUlT_SJ_SK_SL_E_clISE_PxSF_SF_EESI_SY_SJ_SK_SL_EUlSY_E1_NS1_11comp_targetILNS1_3genE4ELNS1_11target_archE910ELNS1_3gpuE8ELNS1_3repE0EEENS1_36merge_oddeven_config_static_selectorELNS0_4arch9wavefront6targetE0EEEvSK_,@function
_ZN7rocprim17ROCPRIM_400000_NS6detail17trampoline_kernelINS0_14default_configENS1_38merge_sort_block_merge_config_selectorIxNS0_10empty_typeEEEZZNS1_27merge_sort_block_merge_implIS3_N6thrust23THRUST_200600_302600_NS6detail15normal_iteratorINS9_10device_ptrIxEEEEPS5_m11less_div_10IxEEE10hipError_tT0_T1_T2_jT3_P12ihipStream_tbPNSt15iterator_traitsISJ_E10value_typeEPNSP_ISK_E10value_typeEPSL_NS1_7vsmem_tEENKUlT_SJ_SK_SL_E_clISE_PxSF_SF_EESI_SY_SJ_SK_SL_EUlSY_E1_NS1_11comp_targetILNS1_3genE4ELNS1_11target_archE910ELNS1_3gpuE8ELNS1_3repE0EEENS1_36merge_oddeven_config_static_selectorELNS0_4arch9wavefront6targetE0EEEvSK_: ; @_ZN7rocprim17ROCPRIM_400000_NS6detail17trampoline_kernelINS0_14default_configENS1_38merge_sort_block_merge_config_selectorIxNS0_10empty_typeEEEZZNS1_27merge_sort_block_merge_implIS3_N6thrust23THRUST_200600_302600_NS6detail15normal_iteratorINS9_10device_ptrIxEEEEPS5_m11less_div_10IxEEE10hipError_tT0_T1_T2_jT3_P12ihipStream_tbPNSt15iterator_traitsISJ_E10value_typeEPNSP_ISK_E10value_typeEPSL_NS1_7vsmem_tEENKUlT_SJ_SK_SL_E_clISE_PxSF_SF_EESI_SY_SJ_SK_SL_EUlSY_E1_NS1_11comp_targetILNS1_3genE4ELNS1_11target_archE910ELNS1_3gpuE8ELNS1_3repE0EEENS1_36merge_oddeven_config_static_selectorELNS0_4arch9wavefront6targetE0EEEvSK_
; %bb.0:
	.section	.rodata,"a",@progbits
	.p2align	6, 0x0
	.amdhsa_kernel _ZN7rocprim17ROCPRIM_400000_NS6detail17trampoline_kernelINS0_14default_configENS1_38merge_sort_block_merge_config_selectorIxNS0_10empty_typeEEEZZNS1_27merge_sort_block_merge_implIS3_N6thrust23THRUST_200600_302600_NS6detail15normal_iteratorINS9_10device_ptrIxEEEEPS5_m11less_div_10IxEEE10hipError_tT0_T1_T2_jT3_P12ihipStream_tbPNSt15iterator_traitsISJ_E10value_typeEPNSP_ISK_E10value_typeEPSL_NS1_7vsmem_tEENKUlT_SJ_SK_SL_E_clISE_PxSF_SF_EESI_SY_SJ_SK_SL_EUlSY_E1_NS1_11comp_targetILNS1_3genE4ELNS1_11target_archE910ELNS1_3gpuE8ELNS1_3repE0EEENS1_36merge_oddeven_config_static_selectorELNS0_4arch9wavefront6targetE0EEEvSK_
		.amdhsa_group_segment_fixed_size 0
		.amdhsa_private_segment_fixed_size 0
		.amdhsa_kernarg_size 56
		.amdhsa_user_sgpr_count 6
		.amdhsa_user_sgpr_private_segment_buffer 1
		.amdhsa_user_sgpr_dispatch_ptr 0
		.amdhsa_user_sgpr_queue_ptr 0
		.amdhsa_user_sgpr_kernarg_segment_ptr 1
		.amdhsa_user_sgpr_dispatch_id 0
		.amdhsa_user_sgpr_flat_scratch_init 0
		.amdhsa_user_sgpr_private_segment_size 0
		.amdhsa_wavefront_size32 1
		.amdhsa_uses_dynamic_stack 0
		.amdhsa_system_sgpr_private_segment_wavefront_offset 0
		.amdhsa_system_sgpr_workgroup_id_x 1
		.amdhsa_system_sgpr_workgroup_id_y 0
		.amdhsa_system_sgpr_workgroup_id_z 0
		.amdhsa_system_sgpr_workgroup_info 0
		.amdhsa_system_vgpr_workitem_id 0
		.amdhsa_next_free_vgpr 1
		.amdhsa_next_free_sgpr 1
		.amdhsa_reserve_vcc 0
		.amdhsa_reserve_flat_scratch 0
		.amdhsa_float_round_mode_32 0
		.amdhsa_float_round_mode_16_64 0
		.amdhsa_float_denorm_mode_32 3
		.amdhsa_float_denorm_mode_16_64 3
		.amdhsa_dx10_clamp 1
		.amdhsa_ieee_mode 1
		.amdhsa_fp16_overflow 0
		.amdhsa_workgroup_processor_mode 1
		.amdhsa_memory_ordered 1
		.amdhsa_forward_progress 1
		.amdhsa_shared_vgpr_count 0
		.amdhsa_exception_fp_ieee_invalid_op 0
		.amdhsa_exception_fp_denorm_src 0
		.amdhsa_exception_fp_ieee_div_zero 0
		.amdhsa_exception_fp_ieee_overflow 0
		.amdhsa_exception_fp_ieee_underflow 0
		.amdhsa_exception_fp_ieee_inexact 0
		.amdhsa_exception_int_div_zero 0
	.end_amdhsa_kernel
	.section	.text._ZN7rocprim17ROCPRIM_400000_NS6detail17trampoline_kernelINS0_14default_configENS1_38merge_sort_block_merge_config_selectorIxNS0_10empty_typeEEEZZNS1_27merge_sort_block_merge_implIS3_N6thrust23THRUST_200600_302600_NS6detail15normal_iteratorINS9_10device_ptrIxEEEEPS5_m11less_div_10IxEEE10hipError_tT0_T1_T2_jT3_P12ihipStream_tbPNSt15iterator_traitsISJ_E10value_typeEPNSP_ISK_E10value_typeEPSL_NS1_7vsmem_tEENKUlT_SJ_SK_SL_E_clISE_PxSF_SF_EESI_SY_SJ_SK_SL_EUlSY_E1_NS1_11comp_targetILNS1_3genE4ELNS1_11target_archE910ELNS1_3gpuE8ELNS1_3repE0EEENS1_36merge_oddeven_config_static_selectorELNS0_4arch9wavefront6targetE0EEEvSK_,"axG",@progbits,_ZN7rocprim17ROCPRIM_400000_NS6detail17trampoline_kernelINS0_14default_configENS1_38merge_sort_block_merge_config_selectorIxNS0_10empty_typeEEEZZNS1_27merge_sort_block_merge_implIS3_N6thrust23THRUST_200600_302600_NS6detail15normal_iteratorINS9_10device_ptrIxEEEEPS5_m11less_div_10IxEEE10hipError_tT0_T1_T2_jT3_P12ihipStream_tbPNSt15iterator_traitsISJ_E10value_typeEPNSP_ISK_E10value_typeEPSL_NS1_7vsmem_tEENKUlT_SJ_SK_SL_E_clISE_PxSF_SF_EESI_SY_SJ_SK_SL_EUlSY_E1_NS1_11comp_targetILNS1_3genE4ELNS1_11target_archE910ELNS1_3gpuE8ELNS1_3repE0EEENS1_36merge_oddeven_config_static_selectorELNS0_4arch9wavefront6targetE0EEEvSK_,comdat
.Lfunc_end379:
	.size	_ZN7rocprim17ROCPRIM_400000_NS6detail17trampoline_kernelINS0_14default_configENS1_38merge_sort_block_merge_config_selectorIxNS0_10empty_typeEEEZZNS1_27merge_sort_block_merge_implIS3_N6thrust23THRUST_200600_302600_NS6detail15normal_iteratorINS9_10device_ptrIxEEEEPS5_m11less_div_10IxEEE10hipError_tT0_T1_T2_jT3_P12ihipStream_tbPNSt15iterator_traitsISJ_E10value_typeEPNSP_ISK_E10value_typeEPSL_NS1_7vsmem_tEENKUlT_SJ_SK_SL_E_clISE_PxSF_SF_EESI_SY_SJ_SK_SL_EUlSY_E1_NS1_11comp_targetILNS1_3genE4ELNS1_11target_archE910ELNS1_3gpuE8ELNS1_3repE0EEENS1_36merge_oddeven_config_static_selectorELNS0_4arch9wavefront6targetE0EEEvSK_, .Lfunc_end379-_ZN7rocprim17ROCPRIM_400000_NS6detail17trampoline_kernelINS0_14default_configENS1_38merge_sort_block_merge_config_selectorIxNS0_10empty_typeEEEZZNS1_27merge_sort_block_merge_implIS3_N6thrust23THRUST_200600_302600_NS6detail15normal_iteratorINS9_10device_ptrIxEEEEPS5_m11less_div_10IxEEE10hipError_tT0_T1_T2_jT3_P12ihipStream_tbPNSt15iterator_traitsISJ_E10value_typeEPNSP_ISK_E10value_typeEPSL_NS1_7vsmem_tEENKUlT_SJ_SK_SL_E_clISE_PxSF_SF_EESI_SY_SJ_SK_SL_EUlSY_E1_NS1_11comp_targetILNS1_3genE4ELNS1_11target_archE910ELNS1_3gpuE8ELNS1_3repE0EEENS1_36merge_oddeven_config_static_selectorELNS0_4arch9wavefront6targetE0EEEvSK_
                                        ; -- End function
	.set _ZN7rocprim17ROCPRIM_400000_NS6detail17trampoline_kernelINS0_14default_configENS1_38merge_sort_block_merge_config_selectorIxNS0_10empty_typeEEEZZNS1_27merge_sort_block_merge_implIS3_N6thrust23THRUST_200600_302600_NS6detail15normal_iteratorINS9_10device_ptrIxEEEEPS5_m11less_div_10IxEEE10hipError_tT0_T1_T2_jT3_P12ihipStream_tbPNSt15iterator_traitsISJ_E10value_typeEPNSP_ISK_E10value_typeEPSL_NS1_7vsmem_tEENKUlT_SJ_SK_SL_E_clISE_PxSF_SF_EESI_SY_SJ_SK_SL_EUlSY_E1_NS1_11comp_targetILNS1_3genE4ELNS1_11target_archE910ELNS1_3gpuE8ELNS1_3repE0EEENS1_36merge_oddeven_config_static_selectorELNS0_4arch9wavefront6targetE0EEEvSK_.num_vgpr, 0
	.set _ZN7rocprim17ROCPRIM_400000_NS6detail17trampoline_kernelINS0_14default_configENS1_38merge_sort_block_merge_config_selectorIxNS0_10empty_typeEEEZZNS1_27merge_sort_block_merge_implIS3_N6thrust23THRUST_200600_302600_NS6detail15normal_iteratorINS9_10device_ptrIxEEEEPS5_m11less_div_10IxEEE10hipError_tT0_T1_T2_jT3_P12ihipStream_tbPNSt15iterator_traitsISJ_E10value_typeEPNSP_ISK_E10value_typeEPSL_NS1_7vsmem_tEENKUlT_SJ_SK_SL_E_clISE_PxSF_SF_EESI_SY_SJ_SK_SL_EUlSY_E1_NS1_11comp_targetILNS1_3genE4ELNS1_11target_archE910ELNS1_3gpuE8ELNS1_3repE0EEENS1_36merge_oddeven_config_static_selectorELNS0_4arch9wavefront6targetE0EEEvSK_.num_agpr, 0
	.set _ZN7rocprim17ROCPRIM_400000_NS6detail17trampoline_kernelINS0_14default_configENS1_38merge_sort_block_merge_config_selectorIxNS0_10empty_typeEEEZZNS1_27merge_sort_block_merge_implIS3_N6thrust23THRUST_200600_302600_NS6detail15normal_iteratorINS9_10device_ptrIxEEEEPS5_m11less_div_10IxEEE10hipError_tT0_T1_T2_jT3_P12ihipStream_tbPNSt15iterator_traitsISJ_E10value_typeEPNSP_ISK_E10value_typeEPSL_NS1_7vsmem_tEENKUlT_SJ_SK_SL_E_clISE_PxSF_SF_EESI_SY_SJ_SK_SL_EUlSY_E1_NS1_11comp_targetILNS1_3genE4ELNS1_11target_archE910ELNS1_3gpuE8ELNS1_3repE0EEENS1_36merge_oddeven_config_static_selectorELNS0_4arch9wavefront6targetE0EEEvSK_.numbered_sgpr, 0
	.set _ZN7rocprim17ROCPRIM_400000_NS6detail17trampoline_kernelINS0_14default_configENS1_38merge_sort_block_merge_config_selectorIxNS0_10empty_typeEEEZZNS1_27merge_sort_block_merge_implIS3_N6thrust23THRUST_200600_302600_NS6detail15normal_iteratorINS9_10device_ptrIxEEEEPS5_m11less_div_10IxEEE10hipError_tT0_T1_T2_jT3_P12ihipStream_tbPNSt15iterator_traitsISJ_E10value_typeEPNSP_ISK_E10value_typeEPSL_NS1_7vsmem_tEENKUlT_SJ_SK_SL_E_clISE_PxSF_SF_EESI_SY_SJ_SK_SL_EUlSY_E1_NS1_11comp_targetILNS1_3genE4ELNS1_11target_archE910ELNS1_3gpuE8ELNS1_3repE0EEENS1_36merge_oddeven_config_static_selectorELNS0_4arch9wavefront6targetE0EEEvSK_.num_named_barrier, 0
	.set _ZN7rocprim17ROCPRIM_400000_NS6detail17trampoline_kernelINS0_14default_configENS1_38merge_sort_block_merge_config_selectorIxNS0_10empty_typeEEEZZNS1_27merge_sort_block_merge_implIS3_N6thrust23THRUST_200600_302600_NS6detail15normal_iteratorINS9_10device_ptrIxEEEEPS5_m11less_div_10IxEEE10hipError_tT0_T1_T2_jT3_P12ihipStream_tbPNSt15iterator_traitsISJ_E10value_typeEPNSP_ISK_E10value_typeEPSL_NS1_7vsmem_tEENKUlT_SJ_SK_SL_E_clISE_PxSF_SF_EESI_SY_SJ_SK_SL_EUlSY_E1_NS1_11comp_targetILNS1_3genE4ELNS1_11target_archE910ELNS1_3gpuE8ELNS1_3repE0EEENS1_36merge_oddeven_config_static_selectorELNS0_4arch9wavefront6targetE0EEEvSK_.private_seg_size, 0
	.set _ZN7rocprim17ROCPRIM_400000_NS6detail17trampoline_kernelINS0_14default_configENS1_38merge_sort_block_merge_config_selectorIxNS0_10empty_typeEEEZZNS1_27merge_sort_block_merge_implIS3_N6thrust23THRUST_200600_302600_NS6detail15normal_iteratorINS9_10device_ptrIxEEEEPS5_m11less_div_10IxEEE10hipError_tT0_T1_T2_jT3_P12ihipStream_tbPNSt15iterator_traitsISJ_E10value_typeEPNSP_ISK_E10value_typeEPSL_NS1_7vsmem_tEENKUlT_SJ_SK_SL_E_clISE_PxSF_SF_EESI_SY_SJ_SK_SL_EUlSY_E1_NS1_11comp_targetILNS1_3genE4ELNS1_11target_archE910ELNS1_3gpuE8ELNS1_3repE0EEENS1_36merge_oddeven_config_static_selectorELNS0_4arch9wavefront6targetE0EEEvSK_.uses_vcc, 0
	.set _ZN7rocprim17ROCPRIM_400000_NS6detail17trampoline_kernelINS0_14default_configENS1_38merge_sort_block_merge_config_selectorIxNS0_10empty_typeEEEZZNS1_27merge_sort_block_merge_implIS3_N6thrust23THRUST_200600_302600_NS6detail15normal_iteratorINS9_10device_ptrIxEEEEPS5_m11less_div_10IxEEE10hipError_tT0_T1_T2_jT3_P12ihipStream_tbPNSt15iterator_traitsISJ_E10value_typeEPNSP_ISK_E10value_typeEPSL_NS1_7vsmem_tEENKUlT_SJ_SK_SL_E_clISE_PxSF_SF_EESI_SY_SJ_SK_SL_EUlSY_E1_NS1_11comp_targetILNS1_3genE4ELNS1_11target_archE910ELNS1_3gpuE8ELNS1_3repE0EEENS1_36merge_oddeven_config_static_selectorELNS0_4arch9wavefront6targetE0EEEvSK_.uses_flat_scratch, 0
	.set _ZN7rocprim17ROCPRIM_400000_NS6detail17trampoline_kernelINS0_14default_configENS1_38merge_sort_block_merge_config_selectorIxNS0_10empty_typeEEEZZNS1_27merge_sort_block_merge_implIS3_N6thrust23THRUST_200600_302600_NS6detail15normal_iteratorINS9_10device_ptrIxEEEEPS5_m11less_div_10IxEEE10hipError_tT0_T1_T2_jT3_P12ihipStream_tbPNSt15iterator_traitsISJ_E10value_typeEPNSP_ISK_E10value_typeEPSL_NS1_7vsmem_tEENKUlT_SJ_SK_SL_E_clISE_PxSF_SF_EESI_SY_SJ_SK_SL_EUlSY_E1_NS1_11comp_targetILNS1_3genE4ELNS1_11target_archE910ELNS1_3gpuE8ELNS1_3repE0EEENS1_36merge_oddeven_config_static_selectorELNS0_4arch9wavefront6targetE0EEEvSK_.has_dyn_sized_stack, 0
	.set _ZN7rocprim17ROCPRIM_400000_NS6detail17trampoline_kernelINS0_14default_configENS1_38merge_sort_block_merge_config_selectorIxNS0_10empty_typeEEEZZNS1_27merge_sort_block_merge_implIS3_N6thrust23THRUST_200600_302600_NS6detail15normal_iteratorINS9_10device_ptrIxEEEEPS5_m11less_div_10IxEEE10hipError_tT0_T1_T2_jT3_P12ihipStream_tbPNSt15iterator_traitsISJ_E10value_typeEPNSP_ISK_E10value_typeEPSL_NS1_7vsmem_tEENKUlT_SJ_SK_SL_E_clISE_PxSF_SF_EESI_SY_SJ_SK_SL_EUlSY_E1_NS1_11comp_targetILNS1_3genE4ELNS1_11target_archE910ELNS1_3gpuE8ELNS1_3repE0EEENS1_36merge_oddeven_config_static_selectorELNS0_4arch9wavefront6targetE0EEEvSK_.has_recursion, 0
	.set _ZN7rocprim17ROCPRIM_400000_NS6detail17trampoline_kernelINS0_14default_configENS1_38merge_sort_block_merge_config_selectorIxNS0_10empty_typeEEEZZNS1_27merge_sort_block_merge_implIS3_N6thrust23THRUST_200600_302600_NS6detail15normal_iteratorINS9_10device_ptrIxEEEEPS5_m11less_div_10IxEEE10hipError_tT0_T1_T2_jT3_P12ihipStream_tbPNSt15iterator_traitsISJ_E10value_typeEPNSP_ISK_E10value_typeEPSL_NS1_7vsmem_tEENKUlT_SJ_SK_SL_E_clISE_PxSF_SF_EESI_SY_SJ_SK_SL_EUlSY_E1_NS1_11comp_targetILNS1_3genE4ELNS1_11target_archE910ELNS1_3gpuE8ELNS1_3repE0EEENS1_36merge_oddeven_config_static_selectorELNS0_4arch9wavefront6targetE0EEEvSK_.has_indirect_call, 0
	.section	.AMDGPU.csdata,"",@progbits
; Kernel info:
; codeLenInByte = 0
; TotalNumSgprs: 0
; NumVgprs: 0
; ScratchSize: 0
; MemoryBound: 0
; FloatMode: 240
; IeeeMode: 1
; LDSByteSize: 0 bytes/workgroup (compile time only)
; SGPRBlocks: 0
; VGPRBlocks: 0
; NumSGPRsForWavesPerEU: 1
; NumVGPRsForWavesPerEU: 1
; Occupancy: 16
; WaveLimiterHint : 0
; COMPUTE_PGM_RSRC2:SCRATCH_EN: 0
; COMPUTE_PGM_RSRC2:USER_SGPR: 6
; COMPUTE_PGM_RSRC2:TRAP_HANDLER: 0
; COMPUTE_PGM_RSRC2:TGID_X_EN: 1
; COMPUTE_PGM_RSRC2:TGID_Y_EN: 0
; COMPUTE_PGM_RSRC2:TGID_Z_EN: 0
; COMPUTE_PGM_RSRC2:TIDIG_COMP_CNT: 0
	.section	.text._ZN7rocprim17ROCPRIM_400000_NS6detail17trampoline_kernelINS0_14default_configENS1_38merge_sort_block_merge_config_selectorIxNS0_10empty_typeEEEZZNS1_27merge_sort_block_merge_implIS3_N6thrust23THRUST_200600_302600_NS6detail15normal_iteratorINS9_10device_ptrIxEEEEPS5_m11less_div_10IxEEE10hipError_tT0_T1_T2_jT3_P12ihipStream_tbPNSt15iterator_traitsISJ_E10value_typeEPNSP_ISK_E10value_typeEPSL_NS1_7vsmem_tEENKUlT_SJ_SK_SL_E_clISE_PxSF_SF_EESI_SY_SJ_SK_SL_EUlSY_E1_NS1_11comp_targetILNS1_3genE3ELNS1_11target_archE908ELNS1_3gpuE7ELNS1_3repE0EEENS1_36merge_oddeven_config_static_selectorELNS0_4arch9wavefront6targetE0EEEvSK_,"axG",@progbits,_ZN7rocprim17ROCPRIM_400000_NS6detail17trampoline_kernelINS0_14default_configENS1_38merge_sort_block_merge_config_selectorIxNS0_10empty_typeEEEZZNS1_27merge_sort_block_merge_implIS3_N6thrust23THRUST_200600_302600_NS6detail15normal_iteratorINS9_10device_ptrIxEEEEPS5_m11less_div_10IxEEE10hipError_tT0_T1_T2_jT3_P12ihipStream_tbPNSt15iterator_traitsISJ_E10value_typeEPNSP_ISK_E10value_typeEPSL_NS1_7vsmem_tEENKUlT_SJ_SK_SL_E_clISE_PxSF_SF_EESI_SY_SJ_SK_SL_EUlSY_E1_NS1_11comp_targetILNS1_3genE3ELNS1_11target_archE908ELNS1_3gpuE7ELNS1_3repE0EEENS1_36merge_oddeven_config_static_selectorELNS0_4arch9wavefront6targetE0EEEvSK_,comdat
	.protected	_ZN7rocprim17ROCPRIM_400000_NS6detail17trampoline_kernelINS0_14default_configENS1_38merge_sort_block_merge_config_selectorIxNS0_10empty_typeEEEZZNS1_27merge_sort_block_merge_implIS3_N6thrust23THRUST_200600_302600_NS6detail15normal_iteratorINS9_10device_ptrIxEEEEPS5_m11less_div_10IxEEE10hipError_tT0_T1_T2_jT3_P12ihipStream_tbPNSt15iterator_traitsISJ_E10value_typeEPNSP_ISK_E10value_typeEPSL_NS1_7vsmem_tEENKUlT_SJ_SK_SL_E_clISE_PxSF_SF_EESI_SY_SJ_SK_SL_EUlSY_E1_NS1_11comp_targetILNS1_3genE3ELNS1_11target_archE908ELNS1_3gpuE7ELNS1_3repE0EEENS1_36merge_oddeven_config_static_selectorELNS0_4arch9wavefront6targetE0EEEvSK_ ; -- Begin function _ZN7rocprim17ROCPRIM_400000_NS6detail17trampoline_kernelINS0_14default_configENS1_38merge_sort_block_merge_config_selectorIxNS0_10empty_typeEEEZZNS1_27merge_sort_block_merge_implIS3_N6thrust23THRUST_200600_302600_NS6detail15normal_iteratorINS9_10device_ptrIxEEEEPS5_m11less_div_10IxEEE10hipError_tT0_T1_T2_jT3_P12ihipStream_tbPNSt15iterator_traitsISJ_E10value_typeEPNSP_ISK_E10value_typeEPSL_NS1_7vsmem_tEENKUlT_SJ_SK_SL_E_clISE_PxSF_SF_EESI_SY_SJ_SK_SL_EUlSY_E1_NS1_11comp_targetILNS1_3genE3ELNS1_11target_archE908ELNS1_3gpuE7ELNS1_3repE0EEENS1_36merge_oddeven_config_static_selectorELNS0_4arch9wavefront6targetE0EEEvSK_
	.globl	_ZN7rocprim17ROCPRIM_400000_NS6detail17trampoline_kernelINS0_14default_configENS1_38merge_sort_block_merge_config_selectorIxNS0_10empty_typeEEEZZNS1_27merge_sort_block_merge_implIS3_N6thrust23THRUST_200600_302600_NS6detail15normal_iteratorINS9_10device_ptrIxEEEEPS5_m11less_div_10IxEEE10hipError_tT0_T1_T2_jT3_P12ihipStream_tbPNSt15iterator_traitsISJ_E10value_typeEPNSP_ISK_E10value_typeEPSL_NS1_7vsmem_tEENKUlT_SJ_SK_SL_E_clISE_PxSF_SF_EESI_SY_SJ_SK_SL_EUlSY_E1_NS1_11comp_targetILNS1_3genE3ELNS1_11target_archE908ELNS1_3gpuE7ELNS1_3repE0EEENS1_36merge_oddeven_config_static_selectorELNS0_4arch9wavefront6targetE0EEEvSK_
	.p2align	8
	.type	_ZN7rocprim17ROCPRIM_400000_NS6detail17trampoline_kernelINS0_14default_configENS1_38merge_sort_block_merge_config_selectorIxNS0_10empty_typeEEEZZNS1_27merge_sort_block_merge_implIS3_N6thrust23THRUST_200600_302600_NS6detail15normal_iteratorINS9_10device_ptrIxEEEEPS5_m11less_div_10IxEEE10hipError_tT0_T1_T2_jT3_P12ihipStream_tbPNSt15iterator_traitsISJ_E10value_typeEPNSP_ISK_E10value_typeEPSL_NS1_7vsmem_tEENKUlT_SJ_SK_SL_E_clISE_PxSF_SF_EESI_SY_SJ_SK_SL_EUlSY_E1_NS1_11comp_targetILNS1_3genE3ELNS1_11target_archE908ELNS1_3gpuE7ELNS1_3repE0EEENS1_36merge_oddeven_config_static_selectorELNS0_4arch9wavefront6targetE0EEEvSK_,@function
_ZN7rocprim17ROCPRIM_400000_NS6detail17trampoline_kernelINS0_14default_configENS1_38merge_sort_block_merge_config_selectorIxNS0_10empty_typeEEEZZNS1_27merge_sort_block_merge_implIS3_N6thrust23THRUST_200600_302600_NS6detail15normal_iteratorINS9_10device_ptrIxEEEEPS5_m11less_div_10IxEEE10hipError_tT0_T1_T2_jT3_P12ihipStream_tbPNSt15iterator_traitsISJ_E10value_typeEPNSP_ISK_E10value_typeEPSL_NS1_7vsmem_tEENKUlT_SJ_SK_SL_E_clISE_PxSF_SF_EESI_SY_SJ_SK_SL_EUlSY_E1_NS1_11comp_targetILNS1_3genE3ELNS1_11target_archE908ELNS1_3gpuE7ELNS1_3repE0EEENS1_36merge_oddeven_config_static_selectorELNS0_4arch9wavefront6targetE0EEEvSK_: ; @_ZN7rocprim17ROCPRIM_400000_NS6detail17trampoline_kernelINS0_14default_configENS1_38merge_sort_block_merge_config_selectorIxNS0_10empty_typeEEEZZNS1_27merge_sort_block_merge_implIS3_N6thrust23THRUST_200600_302600_NS6detail15normal_iteratorINS9_10device_ptrIxEEEEPS5_m11less_div_10IxEEE10hipError_tT0_T1_T2_jT3_P12ihipStream_tbPNSt15iterator_traitsISJ_E10value_typeEPNSP_ISK_E10value_typeEPSL_NS1_7vsmem_tEENKUlT_SJ_SK_SL_E_clISE_PxSF_SF_EESI_SY_SJ_SK_SL_EUlSY_E1_NS1_11comp_targetILNS1_3genE3ELNS1_11target_archE908ELNS1_3gpuE7ELNS1_3repE0EEENS1_36merge_oddeven_config_static_selectorELNS0_4arch9wavefront6targetE0EEEvSK_
; %bb.0:
	.section	.rodata,"a",@progbits
	.p2align	6, 0x0
	.amdhsa_kernel _ZN7rocprim17ROCPRIM_400000_NS6detail17trampoline_kernelINS0_14default_configENS1_38merge_sort_block_merge_config_selectorIxNS0_10empty_typeEEEZZNS1_27merge_sort_block_merge_implIS3_N6thrust23THRUST_200600_302600_NS6detail15normal_iteratorINS9_10device_ptrIxEEEEPS5_m11less_div_10IxEEE10hipError_tT0_T1_T2_jT3_P12ihipStream_tbPNSt15iterator_traitsISJ_E10value_typeEPNSP_ISK_E10value_typeEPSL_NS1_7vsmem_tEENKUlT_SJ_SK_SL_E_clISE_PxSF_SF_EESI_SY_SJ_SK_SL_EUlSY_E1_NS1_11comp_targetILNS1_3genE3ELNS1_11target_archE908ELNS1_3gpuE7ELNS1_3repE0EEENS1_36merge_oddeven_config_static_selectorELNS0_4arch9wavefront6targetE0EEEvSK_
		.amdhsa_group_segment_fixed_size 0
		.amdhsa_private_segment_fixed_size 0
		.amdhsa_kernarg_size 56
		.amdhsa_user_sgpr_count 6
		.amdhsa_user_sgpr_private_segment_buffer 1
		.amdhsa_user_sgpr_dispatch_ptr 0
		.amdhsa_user_sgpr_queue_ptr 0
		.amdhsa_user_sgpr_kernarg_segment_ptr 1
		.amdhsa_user_sgpr_dispatch_id 0
		.amdhsa_user_sgpr_flat_scratch_init 0
		.amdhsa_user_sgpr_private_segment_size 0
		.amdhsa_wavefront_size32 1
		.amdhsa_uses_dynamic_stack 0
		.amdhsa_system_sgpr_private_segment_wavefront_offset 0
		.amdhsa_system_sgpr_workgroup_id_x 1
		.amdhsa_system_sgpr_workgroup_id_y 0
		.amdhsa_system_sgpr_workgroup_id_z 0
		.amdhsa_system_sgpr_workgroup_info 0
		.amdhsa_system_vgpr_workitem_id 0
		.amdhsa_next_free_vgpr 1
		.amdhsa_next_free_sgpr 1
		.amdhsa_reserve_vcc 0
		.amdhsa_reserve_flat_scratch 0
		.amdhsa_float_round_mode_32 0
		.amdhsa_float_round_mode_16_64 0
		.amdhsa_float_denorm_mode_32 3
		.amdhsa_float_denorm_mode_16_64 3
		.amdhsa_dx10_clamp 1
		.amdhsa_ieee_mode 1
		.amdhsa_fp16_overflow 0
		.amdhsa_workgroup_processor_mode 1
		.amdhsa_memory_ordered 1
		.amdhsa_forward_progress 1
		.amdhsa_shared_vgpr_count 0
		.amdhsa_exception_fp_ieee_invalid_op 0
		.amdhsa_exception_fp_denorm_src 0
		.amdhsa_exception_fp_ieee_div_zero 0
		.amdhsa_exception_fp_ieee_overflow 0
		.amdhsa_exception_fp_ieee_underflow 0
		.amdhsa_exception_fp_ieee_inexact 0
		.amdhsa_exception_int_div_zero 0
	.end_amdhsa_kernel
	.section	.text._ZN7rocprim17ROCPRIM_400000_NS6detail17trampoline_kernelINS0_14default_configENS1_38merge_sort_block_merge_config_selectorIxNS0_10empty_typeEEEZZNS1_27merge_sort_block_merge_implIS3_N6thrust23THRUST_200600_302600_NS6detail15normal_iteratorINS9_10device_ptrIxEEEEPS5_m11less_div_10IxEEE10hipError_tT0_T1_T2_jT3_P12ihipStream_tbPNSt15iterator_traitsISJ_E10value_typeEPNSP_ISK_E10value_typeEPSL_NS1_7vsmem_tEENKUlT_SJ_SK_SL_E_clISE_PxSF_SF_EESI_SY_SJ_SK_SL_EUlSY_E1_NS1_11comp_targetILNS1_3genE3ELNS1_11target_archE908ELNS1_3gpuE7ELNS1_3repE0EEENS1_36merge_oddeven_config_static_selectorELNS0_4arch9wavefront6targetE0EEEvSK_,"axG",@progbits,_ZN7rocprim17ROCPRIM_400000_NS6detail17trampoline_kernelINS0_14default_configENS1_38merge_sort_block_merge_config_selectorIxNS0_10empty_typeEEEZZNS1_27merge_sort_block_merge_implIS3_N6thrust23THRUST_200600_302600_NS6detail15normal_iteratorINS9_10device_ptrIxEEEEPS5_m11less_div_10IxEEE10hipError_tT0_T1_T2_jT3_P12ihipStream_tbPNSt15iterator_traitsISJ_E10value_typeEPNSP_ISK_E10value_typeEPSL_NS1_7vsmem_tEENKUlT_SJ_SK_SL_E_clISE_PxSF_SF_EESI_SY_SJ_SK_SL_EUlSY_E1_NS1_11comp_targetILNS1_3genE3ELNS1_11target_archE908ELNS1_3gpuE7ELNS1_3repE0EEENS1_36merge_oddeven_config_static_selectorELNS0_4arch9wavefront6targetE0EEEvSK_,comdat
.Lfunc_end380:
	.size	_ZN7rocprim17ROCPRIM_400000_NS6detail17trampoline_kernelINS0_14default_configENS1_38merge_sort_block_merge_config_selectorIxNS0_10empty_typeEEEZZNS1_27merge_sort_block_merge_implIS3_N6thrust23THRUST_200600_302600_NS6detail15normal_iteratorINS9_10device_ptrIxEEEEPS5_m11less_div_10IxEEE10hipError_tT0_T1_T2_jT3_P12ihipStream_tbPNSt15iterator_traitsISJ_E10value_typeEPNSP_ISK_E10value_typeEPSL_NS1_7vsmem_tEENKUlT_SJ_SK_SL_E_clISE_PxSF_SF_EESI_SY_SJ_SK_SL_EUlSY_E1_NS1_11comp_targetILNS1_3genE3ELNS1_11target_archE908ELNS1_3gpuE7ELNS1_3repE0EEENS1_36merge_oddeven_config_static_selectorELNS0_4arch9wavefront6targetE0EEEvSK_, .Lfunc_end380-_ZN7rocprim17ROCPRIM_400000_NS6detail17trampoline_kernelINS0_14default_configENS1_38merge_sort_block_merge_config_selectorIxNS0_10empty_typeEEEZZNS1_27merge_sort_block_merge_implIS3_N6thrust23THRUST_200600_302600_NS6detail15normal_iteratorINS9_10device_ptrIxEEEEPS5_m11less_div_10IxEEE10hipError_tT0_T1_T2_jT3_P12ihipStream_tbPNSt15iterator_traitsISJ_E10value_typeEPNSP_ISK_E10value_typeEPSL_NS1_7vsmem_tEENKUlT_SJ_SK_SL_E_clISE_PxSF_SF_EESI_SY_SJ_SK_SL_EUlSY_E1_NS1_11comp_targetILNS1_3genE3ELNS1_11target_archE908ELNS1_3gpuE7ELNS1_3repE0EEENS1_36merge_oddeven_config_static_selectorELNS0_4arch9wavefront6targetE0EEEvSK_
                                        ; -- End function
	.set _ZN7rocprim17ROCPRIM_400000_NS6detail17trampoline_kernelINS0_14default_configENS1_38merge_sort_block_merge_config_selectorIxNS0_10empty_typeEEEZZNS1_27merge_sort_block_merge_implIS3_N6thrust23THRUST_200600_302600_NS6detail15normal_iteratorINS9_10device_ptrIxEEEEPS5_m11less_div_10IxEEE10hipError_tT0_T1_T2_jT3_P12ihipStream_tbPNSt15iterator_traitsISJ_E10value_typeEPNSP_ISK_E10value_typeEPSL_NS1_7vsmem_tEENKUlT_SJ_SK_SL_E_clISE_PxSF_SF_EESI_SY_SJ_SK_SL_EUlSY_E1_NS1_11comp_targetILNS1_3genE3ELNS1_11target_archE908ELNS1_3gpuE7ELNS1_3repE0EEENS1_36merge_oddeven_config_static_selectorELNS0_4arch9wavefront6targetE0EEEvSK_.num_vgpr, 0
	.set _ZN7rocprim17ROCPRIM_400000_NS6detail17trampoline_kernelINS0_14default_configENS1_38merge_sort_block_merge_config_selectorIxNS0_10empty_typeEEEZZNS1_27merge_sort_block_merge_implIS3_N6thrust23THRUST_200600_302600_NS6detail15normal_iteratorINS9_10device_ptrIxEEEEPS5_m11less_div_10IxEEE10hipError_tT0_T1_T2_jT3_P12ihipStream_tbPNSt15iterator_traitsISJ_E10value_typeEPNSP_ISK_E10value_typeEPSL_NS1_7vsmem_tEENKUlT_SJ_SK_SL_E_clISE_PxSF_SF_EESI_SY_SJ_SK_SL_EUlSY_E1_NS1_11comp_targetILNS1_3genE3ELNS1_11target_archE908ELNS1_3gpuE7ELNS1_3repE0EEENS1_36merge_oddeven_config_static_selectorELNS0_4arch9wavefront6targetE0EEEvSK_.num_agpr, 0
	.set _ZN7rocprim17ROCPRIM_400000_NS6detail17trampoline_kernelINS0_14default_configENS1_38merge_sort_block_merge_config_selectorIxNS0_10empty_typeEEEZZNS1_27merge_sort_block_merge_implIS3_N6thrust23THRUST_200600_302600_NS6detail15normal_iteratorINS9_10device_ptrIxEEEEPS5_m11less_div_10IxEEE10hipError_tT0_T1_T2_jT3_P12ihipStream_tbPNSt15iterator_traitsISJ_E10value_typeEPNSP_ISK_E10value_typeEPSL_NS1_7vsmem_tEENKUlT_SJ_SK_SL_E_clISE_PxSF_SF_EESI_SY_SJ_SK_SL_EUlSY_E1_NS1_11comp_targetILNS1_3genE3ELNS1_11target_archE908ELNS1_3gpuE7ELNS1_3repE0EEENS1_36merge_oddeven_config_static_selectorELNS0_4arch9wavefront6targetE0EEEvSK_.numbered_sgpr, 0
	.set _ZN7rocprim17ROCPRIM_400000_NS6detail17trampoline_kernelINS0_14default_configENS1_38merge_sort_block_merge_config_selectorIxNS0_10empty_typeEEEZZNS1_27merge_sort_block_merge_implIS3_N6thrust23THRUST_200600_302600_NS6detail15normal_iteratorINS9_10device_ptrIxEEEEPS5_m11less_div_10IxEEE10hipError_tT0_T1_T2_jT3_P12ihipStream_tbPNSt15iterator_traitsISJ_E10value_typeEPNSP_ISK_E10value_typeEPSL_NS1_7vsmem_tEENKUlT_SJ_SK_SL_E_clISE_PxSF_SF_EESI_SY_SJ_SK_SL_EUlSY_E1_NS1_11comp_targetILNS1_3genE3ELNS1_11target_archE908ELNS1_3gpuE7ELNS1_3repE0EEENS1_36merge_oddeven_config_static_selectorELNS0_4arch9wavefront6targetE0EEEvSK_.num_named_barrier, 0
	.set _ZN7rocprim17ROCPRIM_400000_NS6detail17trampoline_kernelINS0_14default_configENS1_38merge_sort_block_merge_config_selectorIxNS0_10empty_typeEEEZZNS1_27merge_sort_block_merge_implIS3_N6thrust23THRUST_200600_302600_NS6detail15normal_iteratorINS9_10device_ptrIxEEEEPS5_m11less_div_10IxEEE10hipError_tT0_T1_T2_jT3_P12ihipStream_tbPNSt15iterator_traitsISJ_E10value_typeEPNSP_ISK_E10value_typeEPSL_NS1_7vsmem_tEENKUlT_SJ_SK_SL_E_clISE_PxSF_SF_EESI_SY_SJ_SK_SL_EUlSY_E1_NS1_11comp_targetILNS1_3genE3ELNS1_11target_archE908ELNS1_3gpuE7ELNS1_3repE0EEENS1_36merge_oddeven_config_static_selectorELNS0_4arch9wavefront6targetE0EEEvSK_.private_seg_size, 0
	.set _ZN7rocprim17ROCPRIM_400000_NS6detail17trampoline_kernelINS0_14default_configENS1_38merge_sort_block_merge_config_selectorIxNS0_10empty_typeEEEZZNS1_27merge_sort_block_merge_implIS3_N6thrust23THRUST_200600_302600_NS6detail15normal_iteratorINS9_10device_ptrIxEEEEPS5_m11less_div_10IxEEE10hipError_tT0_T1_T2_jT3_P12ihipStream_tbPNSt15iterator_traitsISJ_E10value_typeEPNSP_ISK_E10value_typeEPSL_NS1_7vsmem_tEENKUlT_SJ_SK_SL_E_clISE_PxSF_SF_EESI_SY_SJ_SK_SL_EUlSY_E1_NS1_11comp_targetILNS1_3genE3ELNS1_11target_archE908ELNS1_3gpuE7ELNS1_3repE0EEENS1_36merge_oddeven_config_static_selectorELNS0_4arch9wavefront6targetE0EEEvSK_.uses_vcc, 0
	.set _ZN7rocprim17ROCPRIM_400000_NS6detail17trampoline_kernelINS0_14default_configENS1_38merge_sort_block_merge_config_selectorIxNS0_10empty_typeEEEZZNS1_27merge_sort_block_merge_implIS3_N6thrust23THRUST_200600_302600_NS6detail15normal_iteratorINS9_10device_ptrIxEEEEPS5_m11less_div_10IxEEE10hipError_tT0_T1_T2_jT3_P12ihipStream_tbPNSt15iterator_traitsISJ_E10value_typeEPNSP_ISK_E10value_typeEPSL_NS1_7vsmem_tEENKUlT_SJ_SK_SL_E_clISE_PxSF_SF_EESI_SY_SJ_SK_SL_EUlSY_E1_NS1_11comp_targetILNS1_3genE3ELNS1_11target_archE908ELNS1_3gpuE7ELNS1_3repE0EEENS1_36merge_oddeven_config_static_selectorELNS0_4arch9wavefront6targetE0EEEvSK_.uses_flat_scratch, 0
	.set _ZN7rocprim17ROCPRIM_400000_NS6detail17trampoline_kernelINS0_14default_configENS1_38merge_sort_block_merge_config_selectorIxNS0_10empty_typeEEEZZNS1_27merge_sort_block_merge_implIS3_N6thrust23THRUST_200600_302600_NS6detail15normal_iteratorINS9_10device_ptrIxEEEEPS5_m11less_div_10IxEEE10hipError_tT0_T1_T2_jT3_P12ihipStream_tbPNSt15iterator_traitsISJ_E10value_typeEPNSP_ISK_E10value_typeEPSL_NS1_7vsmem_tEENKUlT_SJ_SK_SL_E_clISE_PxSF_SF_EESI_SY_SJ_SK_SL_EUlSY_E1_NS1_11comp_targetILNS1_3genE3ELNS1_11target_archE908ELNS1_3gpuE7ELNS1_3repE0EEENS1_36merge_oddeven_config_static_selectorELNS0_4arch9wavefront6targetE0EEEvSK_.has_dyn_sized_stack, 0
	.set _ZN7rocprim17ROCPRIM_400000_NS6detail17trampoline_kernelINS0_14default_configENS1_38merge_sort_block_merge_config_selectorIxNS0_10empty_typeEEEZZNS1_27merge_sort_block_merge_implIS3_N6thrust23THRUST_200600_302600_NS6detail15normal_iteratorINS9_10device_ptrIxEEEEPS5_m11less_div_10IxEEE10hipError_tT0_T1_T2_jT3_P12ihipStream_tbPNSt15iterator_traitsISJ_E10value_typeEPNSP_ISK_E10value_typeEPSL_NS1_7vsmem_tEENKUlT_SJ_SK_SL_E_clISE_PxSF_SF_EESI_SY_SJ_SK_SL_EUlSY_E1_NS1_11comp_targetILNS1_3genE3ELNS1_11target_archE908ELNS1_3gpuE7ELNS1_3repE0EEENS1_36merge_oddeven_config_static_selectorELNS0_4arch9wavefront6targetE0EEEvSK_.has_recursion, 0
	.set _ZN7rocprim17ROCPRIM_400000_NS6detail17trampoline_kernelINS0_14default_configENS1_38merge_sort_block_merge_config_selectorIxNS0_10empty_typeEEEZZNS1_27merge_sort_block_merge_implIS3_N6thrust23THRUST_200600_302600_NS6detail15normal_iteratorINS9_10device_ptrIxEEEEPS5_m11less_div_10IxEEE10hipError_tT0_T1_T2_jT3_P12ihipStream_tbPNSt15iterator_traitsISJ_E10value_typeEPNSP_ISK_E10value_typeEPSL_NS1_7vsmem_tEENKUlT_SJ_SK_SL_E_clISE_PxSF_SF_EESI_SY_SJ_SK_SL_EUlSY_E1_NS1_11comp_targetILNS1_3genE3ELNS1_11target_archE908ELNS1_3gpuE7ELNS1_3repE0EEENS1_36merge_oddeven_config_static_selectorELNS0_4arch9wavefront6targetE0EEEvSK_.has_indirect_call, 0
	.section	.AMDGPU.csdata,"",@progbits
; Kernel info:
; codeLenInByte = 0
; TotalNumSgprs: 0
; NumVgprs: 0
; ScratchSize: 0
; MemoryBound: 0
; FloatMode: 240
; IeeeMode: 1
; LDSByteSize: 0 bytes/workgroup (compile time only)
; SGPRBlocks: 0
; VGPRBlocks: 0
; NumSGPRsForWavesPerEU: 1
; NumVGPRsForWavesPerEU: 1
; Occupancy: 16
; WaveLimiterHint : 0
; COMPUTE_PGM_RSRC2:SCRATCH_EN: 0
; COMPUTE_PGM_RSRC2:USER_SGPR: 6
; COMPUTE_PGM_RSRC2:TRAP_HANDLER: 0
; COMPUTE_PGM_RSRC2:TGID_X_EN: 1
; COMPUTE_PGM_RSRC2:TGID_Y_EN: 0
; COMPUTE_PGM_RSRC2:TGID_Z_EN: 0
; COMPUTE_PGM_RSRC2:TIDIG_COMP_CNT: 0
	.section	.text._ZN7rocprim17ROCPRIM_400000_NS6detail17trampoline_kernelINS0_14default_configENS1_38merge_sort_block_merge_config_selectorIxNS0_10empty_typeEEEZZNS1_27merge_sort_block_merge_implIS3_N6thrust23THRUST_200600_302600_NS6detail15normal_iteratorINS9_10device_ptrIxEEEEPS5_m11less_div_10IxEEE10hipError_tT0_T1_T2_jT3_P12ihipStream_tbPNSt15iterator_traitsISJ_E10value_typeEPNSP_ISK_E10value_typeEPSL_NS1_7vsmem_tEENKUlT_SJ_SK_SL_E_clISE_PxSF_SF_EESI_SY_SJ_SK_SL_EUlSY_E1_NS1_11comp_targetILNS1_3genE2ELNS1_11target_archE906ELNS1_3gpuE6ELNS1_3repE0EEENS1_36merge_oddeven_config_static_selectorELNS0_4arch9wavefront6targetE0EEEvSK_,"axG",@progbits,_ZN7rocprim17ROCPRIM_400000_NS6detail17trampoline_kernelINS0_14default_configENS1_38merge_sort_block_merge_config_selectorIxNS0_10empty_typeEEEZZNS1_27merge_sort_block_merge_implIS3_N6thrust23THRUST_200600_302600_NS6detail15normal_iteratorINS9_10device_ptrIxEEEEPS5_m11less_div_10IxEEE10hipError_tT0_T1_T2_jT3_P12ihipStream_tbPNSt15iterator_traitsISJ_E10value_typeEPNSP_ISK_E10value_typeEPSL_NS1_7vsmem_tEENKUlT_SJ_SK_SL_E_clISE_PxSF_SF_EESI_SY_SJ_SK_SL_EUlSY_E1_NS1_11comp_targetILNS1_3genE2ELNS1_11target_archE906ELNS1_3gpuE6ELNS1_3repE0EEENS1_36merge_oddeven_config_static_selectorELNS0_4arch9wavefront6targetE0EEEvSK_,comdat
	.protected	_ZN7rocprim17ROCPRIM_400000_NS6detail17trampoline_kernelINS0_14default_configENS1_38merge_sort_block_merge_config_selectorIxNS0_10empty_typeEEEZZNS1_27merge_sort_block_merge_implIS3_N6thrust23THRUST_200600_302600_NS6detail15normal_iteratorINS9_10device_ptrIxEEEEPS5_m11less_div_10IxEEE10hipError_tT0_T1_T2_jT3_P12ihipStream_tbPNSt15iterator_traitsISJ_E10value_typeEPNSP_ISK_E10value_typeEPSL_NS1_7vsmem_tEENKUlT_SJ_SK_SL_E_clISE_PxSF_SF_EESI_SY_SJ_SK_SL_EUlSY_E1_NS1_11comp_targetILNS1_3genE2ELNS1_11target_archE906ELNS1_3gpuE6ELNS1_3repE0EEENS1_36merge_oddeven_config_static_selectorELNS0_4arch9wavefront6targetE0EEEvSK_ ; -- Begin function _ZN7rocprim17ROCPRIM_400000_NS6detail17trampoline_kernelINS0_14default_configENS1_38merge_sort_block_merge_config_selectorIxNS0_10empty_typeEEEZZNS1_27merge_sort_block_merge_implIS3_N6thrust23THRUST_200600_302600_NS6detail15normal_iteratorINS9_10device_ptrIxEEEEPS5_m11less_div_10IxEEE10hipError_tT0_T1_T2_jT3_P12ihipStream_tbPNSt15iterator_traitsISJ_E10value_typeEPNSP_ISK_E10value_typeEPSL_NS1_7vsmem_tEENKUlT_SJ_SK_SL_E_clISE_PxSF_SF_EESI_SY_SJ_SK_SL_EUlSY_E1_NS1_11comp_targetILNS1_3genE2ELNS1_11target_archE906ELNS1_3gpuE6ELNS1_3repE0EEENS1_36merge_oddeven_config_static_selectorELNS0_4arch9wavefront6targetE0EEEvSK_
	.globl	_ZN7rocprim17ROCPRIM_400000_NS6detail17trampoline_kernelINS0_14default_configENS1_38merge_sort_block_merge_config_selectorIxNS0_10empty_typeEEEZZNS1_27merge_sort_block_merge_implIS3_N6thrust23THRUST_200600_302600_NS6detail15normal_iteratorINS9_10device_ptrIxEEEEPS5_m11less_div_10IxEEE10hipError_tT0_T1_T2_jT3_P12ihipStream_tbPNSt15iterator_traitsISJ_E10value_typeEPNSP_ISK_E10value_typeEPSL_NS1_7vsmem_tEENKUlT_SJ_SK_SL_E_clISE_PxSF_SF_EESI_SY_SJ_SK_SL_EUlSY_E1_NS1_11comp_targetILNS1_3genE2ELNS1_11target_archE906ELNS1_3gpuE6ELNS1_3repE0EEENS1_36merge_oddeven_config_static_selectorELNS0_4arch9wavefront6targetE0EEEvSK_
	.p2align	8
	.type	_ZN7rocprim17ROCPRIM_400000_NS6detail17trampoline_kernelINS0_14default_configENS1_38merge_sort_block_merge_config_selectorIxNS0_10empty_typeEEEZZNS1_27merge_sort_block_merge_implIS3_N6thrust23THRUST_200600_302600_NS6detail15normal_iteratorINS9_10device_ptrIxEEEEPS5_m11less_div_10IxEEE10hipError_tT0_T1_T2_jT3_P12ihipStream_tbPNSt15iterator_traitsISJ_E10value_typeEPNSP_ISK_E10value_typeEPSL_NS1_7vsmem_tEENKUlT_SJ_SK_SL_E_clISE_PxSF_SF_EESI_SY_SJ_SK_SL_EUlSY_E1_NS1_11comp_targetILNS1_3genE2ELNS1_11target_archE906ELNS1_3gpuE6ELNS1_3repE0EEENS1_36merge_oddeven_config_static_selectorELNS0_4arch9wavefront6targetE0EEEvSK_,@function
_ZN7rocprim17ROCPRIM_400000_NS6detail17trampoline_kernelINS0_14default_configENS1_38merge_sort_block_merge_config_selectorIxNS0_10empty_typeEEEZZNS1_27merge_sort_block_merge_implIS3_N6thrust23THRUST_200600_302600_NS6detail15normal_iteratorINS9_10device_ptrIxEEEEPS5_m11less_div_10IxEEE10hipError_tT0_T1_T2_jT3_P12ihipStream_tbPNSt15iterator_traitsISJ_E10value_typeEPNSP_ISK_E10value_typeEPSL_NS1_7vsmem_tEENKUlT_SJ_SK_SL_E_clISE_PxSF_SF_EESI_SY_SJ_SK_SL_EUlSY_E1_NS1_11comp_targetILNS1_3genE2ELNS1_11target_archE906ELNS1_3gpuE6ELNS1_3repE0EEENS1_36merge_oddeven_config_static_selectorELNS0_4arch9wavefront6targetE0EEEvSK_: ; @_ZN7rocprim17ROCPRIM_400000_NS6detail17trampoline_kernelINS0_14default_configENS1_38merge_sort_block_merge_config_selectorIxNS0_10empty_typeEEEZZNS1_27merge_sort_block_merge_implIS3_N6thrust23THRUST_200600_302600_NS6detail15normal_iteratorINS9_10device_ptrIxEEEEPS5_m11less_div_10IxEEE10hipError_tT0_T1_T2_jT3_P12ihipStream_tbPNSt15iterator_traitsISJ_E10value_typeEPNSP_ISK_E10value_typeEPSL_NS1_7vsmem_tEENKUlT_SJ_SK_SL_E_clISE_PxSF_SF_EESI_SY_SJ_SK_SL_EUlSY_E1_NS1_11comp_targetILNS1_3genE2ELNS1_11target_archE906ELNS1_3gpuE6ELNS1_3repE0EEENS1_36merge_oddeven_config_static_selectorELNS0_4arch9wavefront6targetE0EEEvSK_
; %bb.0:
	.section	.rodata,"a",@progbits
	.p2align	6, 0x0
	.amdhsa_kernel _ZN7rocprim17ROCPRIM_400000_NS6detail17trampoline_kernelINS0_14default_configENS1_38merge_sort_block_merge_config_selectorIxNS0_10empty_typeEEEZZNS1_27merge_sort_block_merge_implIS3_N6thrust23THRUST_200600_302600_NS6detail15normal_iteratorINS9_10device_ptrIxEEEEPS5_m11less_div_10IxEEE10hipError_tT0_T1_T2_jT3_P12ihipStream_tbPNSt15iterator_traitsISJ_E10value_typeEPNSP_ISK_E10value_typeEPSL_NS1_7vsmem_tEENKUlT_SJ_SK_SL_E_clISE_PxSF_SF_EESI_SY_SJ_SK_SL_EUlSY_E1_NS1_11comp_targetILNS1_3genE2ELNS1_11target_archE906ELNS1_3gpuE6ELNS1_3repE0EEENS1_36merge_oddeven_config_static_selectorELNS0_4arch9wavefront6targetE0EEEvSK_
		.amdhsa_group_segment_fixed_size 0
		.amdhsa_private_segment_fixed_size 0
		.amdhsa_kernarg_size 56
		.amdhsa_user_sgpr_count 6
		.amdhsa_user_sgpr_private_segment_buffer 1
		.amdhsa_user_sgpr_dispatch_ptr 0
		.amdhsa_user_sgpr_queue_ptr 0
		.amdhsa_user_sgpr_kernarg_segment_ptr 1
		.amdhsa_user_sgpr_dispatch_id 0
		.amdhsa_user_sgpr_flat_scratch_init 0
		.amdhsa_user_sgpr_private_segment_size 0
		.amdhsa_wavefront_size32 1
		.amdhsa_uses_dynamic_stack 0
		.amdhsa_system_sgpr_private_segment_wavefront_offset 0
		.amdhsa_system_sgpr_workgroup_id_x 1
		.amdhsa_system_sgpr_workgroup_id_y 0
		.amdhsa_system_sgpr_workgroup_id_z 0
		.amdhsa_system_sgpr_workgroup_info 0
		.amdhsa_system_vgpr_workitem_id 0
		.amdhsa_next_free_vgpr 1
		.amdhsa_next_free_sgpr 1
		.amdhsa_reserve_vcc 0
		.amdhsa_reserve_flat_scratch 0
		.amdhsa_float_round_mode_32 0
		.amdhsa_float_round_mode_16_64 0
		.amdhsa_float_denorm_mode_32 3
		.amdhsa_float_denorm_mode_16_64 3
		.amdhsa_dx10_clamp 1
		.amdhsa_ieee_mode 1
		.amdhsa_fp16_overflow 0
		.amdhsa_workgroup_processor_mode 1
		.amdhsa_memory_ordered 1
		.amdhsa_forward_progress 1
		.amdhsa_shared_vgpr_count 0
		.amdhsa_exception_fp_ieee_invalid_op 0
		.amdhsa_exception_fp_denorm_src 0
		.amdhsa_exception_fp_ieee_div_zero 0
		.amdhsa_exception_fp_ieee_overflow 0
		.amdhsa_exception_fp_ieee_underflow 0
		.amdhsa_exception_fp_ieee_inexact 0
		.amdhsa_exception_int_div_zero 0
	.end_amdhsa_kernel
	.section	.text._ZN7rocprim17ROCPRIM_400000_NS6detail17trampoline_kernelINS0_14default_configENS1_38merge_sort_block_merge_config_selectorIxNS0_10empty_typeEEEZZNS1_27merge_sort_block_merge_implIS3_N6thrust23THRUST_200600_302600_NS6detail15normal_iteratorINS9_10device_ptrIxEEEEPS5_m11less_div_10IxEEE10hipError_tT0_T1_T2_jT3_P12ihipStream_tbPNSt15iterator_traitsISJ_E10value_typeEPNSP_ISK_E10value_typeEPSL_NS1_7vsmem_tEENKUlT_SJ_SK_SL_E_clISE_PxSF_SF_EESI_SY_SJ_SK_SL_EUlSY_E1_NS1_11comp_targetILNS1_3genE2ELNS1_11target_archE906ELNS1_3gpuE6ELNS1_3repE0EEENS1_36merge_oddeven_config_static_selectorELNS0_4arch9wavefront6targetE0EEEvSK_,"axG",@progbits,_ZN7rocprim17ROCPRIM_400000_NS6detail17trampoline_kernelINS0_14default_configENS1_38merge_sort_block_merge_config_selectorIxNS0_10empty_typeEEEZZNS1_27merge_sort_block_merge_implIS3_N6thrust23THRUST_200600_302600_NS6detail15normal_iteratorINS9_10device_ptrIxEEEEPS5_m11less_div_10IxEEE10hipError_tT0_T1_T2_jT3_P12ihipStream_tbPNSt15iterator_traitsISJ_E10value_typeEPNSP_ISK_E10value_typeEPSL_NS1_7vsmem_tEENKUlT_SJ_SK_SL_E_clISE_PxSF_SF_EESI_SY_SJ_SK_SL_EUlSY_E1_NS1_11comp_targetILNS1_3genE2ELNS1_11target_archE906ELNS1_3gpuE6ELNS1_3repE0EEENS1_36merge_oddeven_config_static_selectorELNS0_4arch9wavefront6targetE0EEEvSK_,comdat
.Lfunc_end381:
	.size	_ZN7rocprim17ROCPRIM_400000_NS6detail17trampoline_kernelINS0_14default_configENS1_38merge_sort_block_merge_config_selectorIxNS0_10empty_typeEEEZZNS1_27merge_sort_block_merge_implIS3_N6thrust23THRUST_200600_302600_NS6detail15normal_iteratorINS9_10device_ptrIxEEEEPS5_m11less_div_10IxEEE10hipError_tT0_T1_T2_jT3_P12ihipStream_tbPNSt15iterator_traitsISJ_E10value_typeEPNSP_ISK_E10value_typeEPSL_NS1_7vsmem_tEENKUlT_SJ_SK_SL_E_clISE_PxSF_SF_EESI_SY_SJ_SK_SL_EUlSY_E1_NS1_11comp_targetILNS1_3genE2ELNS1_11target_archE906ELNS1_3gpuE6ELNS1_3repE0EEENS1_36merge_oddeven_config_static_selectorELNS0_4arch9wavefront6targetE0EEEvSK_, .Lfunc_end381-_ZN7rocprim17ROCPRIM_400000_NS6detail17trampoline_kernelINS0_14default_configENS1_38merge_sort_block_merge_config_selectorIxNS0_10empty_typeEEEZZNS1_27merge_sort_block_merge_implIS3_N6thrust23THRUST_200600_302600_NS6detail15normal_iteratorINS9_10device_ptrIxEEEEPS5_m11less_div_10IxEEE10hipError_tT0_T1_T2_jT3_P12ihipStream_tbPNSt15iterator_traitsISJ_E10value_typeEPNSP_ISK_E10value_typeEPSL_NS1_7vsmem_tEENKUlT_SJ_SK_SL_E_clISE_PxSF_SF_EESI_SY_SJ_SK_SL_EUlSY_E1_NS1_11comp_targetILNS1_3genE2ELNS1_11target_archE906ELNS1_3gpuE6ELNS1_3repE0EEENS1_36merge_oddeven_config_static_selectorELNS0_4arch9wavefront6targetE0EEEvSK_
                                        ; -- End function
	.set _ZN7rocprim17ROCPRIM_400000_NS6detail17trampoline_kernelINS0_14default_configENS1_38merge_sort_block_merge_config_selectorIxNS0_10empty_typeEEEZZNS1_27merge_sort_block_merge_implIS3_N6thrust23THRUST_200600_302600_NS6detail15normal_iteratorINS9_10device_ptrIxEEEEPS5_m11less_div_10IxEEE10hipError_tT0_T1_T2_jT3_P12ihipStream_tbPNSt15iterator_traitsISJ_E10value_typeEPNSP_ISK_E10value_typeEPSL_NS1_7vsmem_tEENKUlT_SJ_SK_SL_E_clISE_PxSF_SF_EESI_SY_SJ_SK_SL_EUlSY_E1_NS1_11comp_targetILNS1_3genE2ELNS1_11target_archE906ELNS1_3gpuE6ELNS1_3repE0EEENS1_36merge_oddeven_config_static_selectorELNS0_4arch9wavefront6targetE0EEEvSK_.num_vgpr, 0
	.set _ZN7rocprim17ROCPRIM_400000_NS6detail17trampoline_kernelINS0_14default_configENS1_38merge_sort_block_merge_config_selectorIxNS0_10empty_typeEEEZZNS1_27merge_sort_block_merge_implIS3_N6thrust23THRUST_200600_302600_NS6detail15normal_iteratorINS9_10device_ptrIxEEEEPS5_m11less_div_10IxEEE10hipError_tT0_T1_T2_jT3_P12ihipStream_tbPNSt15iterator_traitsISJ_E10value_typeEPNSP_ISK_E10value_typeEPSL_NS1_7vsmem_tEENKUlT_SJ_SK_SL_E_clISE_PxSF_SF_EESI_SY_SJ_SK_SL_EUlSY_E1_NS1_11comp_targetILNS1_3genE2ELNS1_11target_archE906ELNS1_3gpuE6ELNS1_3repE0EEENS1_36merge_oddeven_config_static_selectorELNS0_4arch9wavefront6targetE0EEEvSK_.num_agpr, 0
	.set _ZN7rocprim17ROCPRIM_400000_NS6detail17trampoline_kernelINS0_14default_configENS1_38merge_sort_block_merge_config_selectorIxNS0_10empty_typeEEEZZNS1_27merge_sort_block_merge_implIS3_N6thrust23THRUST_200600_302600_NS6detail15normal_iteratorINS9_10device_ptrIxEEEEPS5_m11less_div_10IxEEE10hipError_tT0_T1_T2_jT3_P12ihipStream_tbPNSt15iterator_traitsISJ_E10value_typeEPNSP_ISK_E10value_typeEPSL_NS1_7vsmem_tEENKUlT_SJ_SK_SL_E_clISE_PxSF_SF_EESI_SY_SJ_SK_SL_EUlSY_E1_NS1_11comp_targetILNS1_3genE2ELNS1_11target_archE906ELNS1_3gpuE6ELNS1_3repE0EEENS1_36merge_oddeven_config_static_selectorELNS0_4arch9wavefront6targetE0EEEvSK_.numbered_sgpr, 0
	.set _ZN7rocprim17ROCPRIM_400000_NS6detail17trampoline_kernelINS0_14default_configENS1_38merge_sort_block_merge_config_selectorIxNS0_10empty_typeEEEZZNS1_27merge_sort_block_merge_implIS3_N6thrust23THRUST_200600_302600_NS6detail15normal_iteratorINS9_10device_ptrIxEEEEPS5_m11less_div_10IxEEE10hipError_tT0_T1_T2_jT3_P12ihipStream_tbPNSt15iterator_traitsISJ_E10value_typeEPNSP_ISK_E10value_typeEPSL_NS1_7vsmem_tEENKUlT_SJ_SK_SL_E_clISE_PxSF_SF_EESI_SY_SJ_SK_SL_EUlSY_E1_NS1_11comp_targetILNS1_3genE2ELNS1_11target_archE906ELNS1_3gpuE6ELNS1_3repE0EEENS1_36merge_oddeven_config_static_selectorELNS0_4arch9wavefront6targetE0EEEvSK_.num_named_barrier, 0
	.set _ZN7rocprim17ROCPRIM_400000_NS6detail17trampoline_kernelINS0_14default_configENS1_38merge_sort_block_merge_config_selectorIxNS0_10empty_typeEEEZZNS1_27merge_sort_block_merge_implIS3_N6thrust23THRUST_200600_302600_NS6detail15normal_iteratorINS9_10device_ptrIxEEEEPS5_m11less_div_10IxEEE10hipError_tT0_T1_T2_jT3_P12ihipStream_tbPNSt15iterator_traitsISJ_E10value_typeEPNSP_ISK_E10value_typeEPSL_NS1_7vsmem_tEENKUlT_SJ_SK_SL_E_clISE_PxSF_SF_EESI_SY_SJ_SK_SL_EUlSY_E1_NS1_11comp_targetILNS1_3genE2ELNS1_11target_archE906ELNS1_3gpuE6ELNS1_3repE0EEENS1_36merge_oddeven_config_static_selectorELNS0_4arch9wavefront6targetE0EEEvSK_.private_seg_size, 0
	.set _ZN7rocprim17ROCPRIM_400000_NS6detail17trampoline_kernelINS0_14default_configENS1_38merge_sort_block_merge_config_selectorIxNS0_10empty_typeEEEZZNS1_27merge_sort_block_merge_implIS3_N6thrust23THRUST_200600_302600_NS6detail15normal_iteratorINS9_10device_ptrIxEEEEPS5_m11less_div_10IxEEE10hipError_tT0_T1_T2_jT3_P12ihipStream_tbPNSt15iterator_traitsISJ_E10value_typeEPNSP_ISK_E10value_typeEPSL_NS1_7vsmem_tEENKUlT_SJ_SK_SL_E_clISE_PxSF_SF_EESI_SY_SJ_SK_SL_EUlSY_E1_NS1_11comp_targetILNS1_3genE2ELNS1_11target_archE906ELNS1_3gpuE6ELNS1_3repE0EEENS1_36merge_oddeven_config_static_selectorELNS0_4arch9wavefront6targetE0EEEvSK_.uses_vcc, 0
	.set _ZN7rocprim17ROCPRIM_400000_NS6detail17trampoline_kernelINS0_14default_configENS1_38merge_sort_block_merge_config_selectorIxNS0_10empty_typeEEEZZNS1_27merge_sort_block_merge_implIS3_N6thrust23THRUST_200600_302600_NS6detail15normal_iteratorINS9_10device_ptrIxEEEEPS5_m11less_div_10IxEEE10hipError_tT0_T1_T2_jT3_P12ihipStream_tbPNSt15iterator_traitsISJ_E10value_typeEPNSP_ISK_E10value_typeEPSL_NS1_7vsmem_tEENKUlT_SJ_SK_SL_E_clISE_PxSF_SF_EESI_SY_SJ_SK_SL_EUlSY_E1_NS1_11comp_targetILNS1_3genE2ELNS1_11target_archE906ELNS1_3gpuE6ELNS1_3repE0EEENS1_36merge_oddeven_config_static_selectorELNS0_4arch9wavefront6targetE0EEEvSK_.uses_flat_scratch, 0
	.set _ZN7rocprim17ROCPRIM_400000_NS6detail17trampoline_kernelINS0_14default_configENS1_38merge_sort_block_merge_config_selectorIxNS0_10empty_typeEEEZZNS1_27merge_sort_block_merge_implIS3_N6thrust23THRUST_200600_302600_NS6detail15normal_iteratorINS9_10device_ptrIxEEEEPS5_m11less_div_10IxEEE10hipError_tT0_T1_T2_jT3_P12ihipStream_tbPNSt15iterator_traitsISJ_E10value_typeEPNSP_ISK_E10value_typeEPSL_NS1_7vsmem_tEENKUlT_SJ_SK_SL_E_clISE_PxSF_SF_EESI_SY_SJ_SK_SL_EUlSY_E1_NS1_11comp_targetILNS1_3genE2ELNS1_11target_archE906ELNS1_3gpuE6ELNS1_3repE0EEENS1_36merge_oddeven_config_static_selectorELNS0_4arch9wavefront6targetE0EEEvSK_.has_dyn_sized_stack, 0
	.set _ZN7rocprim17ROCPRIM_400000_NS6detail17trampoline_kernelINS0_14default_configENS1_38merge_sort_block_merge_config_selectorIxNS0_10empty_typeEEEZZNS1_27merge_sort_block_merge_implIS3_N6thrust23THRUST_200600_302600_NS6detail15normal_iteratorINS9_10device_ptrIxEEEEPS5_m11less_div_10IxEEE10hipError_tT0_T1_T2_jT3_P12ihipStream_tbPNSt15iterator_traitsISJ_E10value_typeEPNSP_ISK_E10value_typeEPSL_NS1_7vsmem_tEENKUlT_SJ_SK_SL_E_clISE_PxSF_SF_EESI_SY_SJ_SK_SL_EUlSY_E1_NS1_11comp_targetILNS1_3genE2ELNS1_11target_archE906ELNS1_3gpuE6ELNS1_3repE0EEENS1_36merge_oddeven_config_static_selectorELNS0_4arch9wavefront6targetE0EEEvSK_.has_recursion, 0
	.set _ZN7rocprim17ROCPRIM_400000_NS6detail17trampoline_kernelINS0_14default_configENS1_38merge_sort_block_merge_config_selectorIxNS0_10empty_typeEEEZZNS1_27merge_sort_block_merge_implIS3_N6thrust23THRUST_200600_302600_NS6detail15normal_iteratorINS9_10device_ptrIxEEEEPS5_m11less_div_10IxEEE10hipError_tT0_T1_T2_jT3_P12ihipStream_tbPNSt15iterator_traitsISJ_E10value_typeEPNSP_ISK_E10value_typeEPSL_NS1_7vsmem_tEENKUlT_SJ_SK_SL_E_clISE_PxSF_SF_EESI_SY_SJ_SK_SL_EUlSY_E1_NS1_11comp_targetILNS1_3genE2ELNS1_11target_archE906ELNS1_3gpuE6ELNS1_3repE0EEENS1_36merge_oddeven_config_static_selectorELNS0_4arch9wavefront6targetE0EEEvSK_.has_indirect_call, 0
	.section	.AMDGPU.csdata,"",@progbits
; Kernel info:
; codeLenInByte = 0
; TotalNumSgprs: 0
; NumVgprs: 0
; ScratchSize: 0
; MemoryBound: 0
; FloatMode: 240
; IeeeMode: 1
; LDSByteSize: 0 bytes/workgroup (compile time only)
; SGPRBlocks: 0
; VGPRBlocks: 0
; NumSGPRsForWavesPerEU: 1
; NumVGPRsForWavesPerEU: 1
; Occupancy: 16
; WaveLimiterHint : 0
; COMPUTE_PGM_RSRC2:SCRATCH_EN: 0
; COMPUTE_PGM_RSRC2:USER_SGPR: 6
; COMPUTE_PGM_RSRC2:TRAP_HANDLER: 0
; COMPUTE_PGM_RSRC2:TGID_X_EN: 1
; COMPUTE_PGM_RSRC2:TGID_Y_EN: 0
; COMPUTE_PGM_RSRC2:TGID_Z_EN: 0
; COMPUTE_PGM_RSRC2:TIDIG_COMP_CNT: 0
	.section	.text._ZN7rocprim17ROCPRIM_400000_NS6detail17trampoline_kernelINS0_14default_configENS1_38merge_sort_block_merge_config_selectorIxNS0_10empty_typeEEEZZNS1_27merge_sort_block_merge_implIS3_N6thrust23THRUST_200600_302600_NS6detail15normal_iteratorINS9_10device_ptrIxEEEEPS5_m11less_div_10IxEEE10hipError_tT0_T1_T2_jT3_P12ihipStream_tbPNSt15iterator_traitsISJ_E10value_typeEPNSP_ISK_E10value_typeEPSL_NS1_7vsmem_tEENKUlT_SJ_SK_SL_E_clISE_PxSF_SF_EESI_SY_SJ_SK_SL_EUlSY_E1_NS1_11comp_targetILNS1_3genE9ELNS1_11target_archE1100ELNS1_3gpuE3ELNS1_3repE0EEENS1_36merge_oddeven_config_static_selectorELNS0_4arch9wavefront6targetE0EEEvSK_,"axG",@progbits,_ZN7rocprim17ROCPRIM_400000_NS6detail17trampoline_kernelINS0_14default_configENS1_38merge_sort_block_merge_config_selectorIxNS0_10empty_typeEEEZZNS1_27merge_sort_block_merge_implIS3_N6thrust23THRUST_200600_302600_NS6detail15normal_iteratorINS9_10device_ptrIxEEEEPS5_m11less_div_10IxEEE10hipError_tT0_T1_T2_jT3_P12ihipStream_tbPNSt15iterator_traitsISJ_E10value_typeEPNSP_ISK_E10value_typeEPSL_NS1_7vsmem_tEENKUlT_SJ_SK_SL_E_clISE_PxSF_SF_EESI_SY_SJ_SK_SL_EUlSY_E1_NS1_11comp_targetILNS1_3genE9ELNS1_11target_archE1100ELNS1_3gpuE3ELNS1_3repE0EEENS1_36merge_oddeven_config_static_selectorELNS0_4arch9wavefront6targetE0EEEvSK_,comdat
	.protected	_ZN7rocprim17ROCPRIM_400000_NS6detail17trampoline_kernelINS0_14default_configENS1_38merge_sort_block_merge_config_selectorIxNS0_10empty_typeEEEZZNS1_27merge_sort_block_merge_implIS3_N6thrust23THRUST_200600_302600_NS6detail15normal_iteratorINS9_10device_ptrIxEEEEPS5_m11less_div_10IxEEE10hipError_tT0_T1_T2_jT3_P12ihipStream_tbPNSt15iterator_traitsISJ_E10value_typeEPNSP_ISK_E10value_typeEPSL_NS1_7vsmem_tEENKUlT_SJ_SK_SL_E_clISE_PxSF_SF_EESI_SY_SJ_SK_SL_EUlSY_E1_NS1_11comp_targetILNS1_3genE9ELNS1_11target_archE1100ELNS1_3gpuE3ELNS1_3repE0EEENS1_36merge_oddeven_config_static_selectorELNS0_4arch9wavefront6targetE0EEEvSK_ ; -- Begin function _ZN7rocprim17ROCPRIM_400000_NS6detail17trampoline_kernelINS0_14default_configENS1_38merge_sort_block_merge_config_selectorIxNS0_10empty_typeEEEZZNS1_27merge_sort_block_merge_implIS3_N6thrust23THRUST_200600_302600_NS6detail15normal_iteratorINS9_10device_ptrIxEEEEPS5_m11less_div_10IxEEE10hipError_tT0_T1_T2_jT3_P12ihipStream_tbPNSt15iterator_traitsISJ_E10value_typeEPNSP_ISK_E10value_typeEPSL_NS1_7vsmem_tEENKUlT_SJ_SK_SL_E_clISE_PxSF_SF_EESI_SY_SJ_SK_SL_EUlSY_E1_NS1_11comp_targetILNS1_3genE9ELNS1_11target_archE1100ELNS1_3gpuE3ELNS1_3repE0EEENS1_36merge_oddeven_config_static_selectorELNS0_4arch9wavefront6targetE0EEEvSK_
	.globl	_ZN7rocprim17ROCPRIM_400000_NS6detail17trampoline_kernelINS0_14default_configENS1_38merge_sort_block_merge_config_selectorIxNS0_10empty_typeEEEZZNS1_27merge_sort_block_merge_implIS3_N6thrust23THRUST_200600_302600_NS6detail15normal_iteratorINS9_10device_ptrIxEEEEPS5_m11less_div_10IxEEE10hipError_tT0_T1_T2_jT3_P12ihipStream_tbPNSt15iterator_traitsISJ_E10value_typeEPNSP_ISK_E10value_typeEPSL_NS1_7vsmem_tEENKUlT_SJ_SK_SL_E_clISE_PxSF_SF_EESI_SY_SJ_SK_SL_EUlSY_E1_NS1_11comp_targetILNS1_3genE9ELNS1_11target_archE1100ELNS1_3gpuE3ELNS1_3repE0EEENS1_36merge_oddeven_config_static_selectorELNS0_4arch9wavefront6targetE0EEEvSK_
	.p2align	8
	.type	_ZN7rocprim17ROCPRIM_400000_NS6detail17trampoline_kernelINS0_14default_configENS1_38merge_sort_block_merge_config_selectorIxNS0_10empty_typeEEEZZNS1_27merge_sort_block_merge_implIS3_N6thrust23THRUST_200600_302600_NS6detail15normal_iteratorINS9_10device_ptrIxEEEEPS5_m11less_div_10IxEEE10hipError_tT0_T1_T2_jT3_P12ihipStream_tbPNSt15iterator_traitsISJ_E10value_typeEPNSP_ISK_E10value_typeEPSL_NS1_7vsmem_tEENKUlT_SJ_SK_SL_E_clISE_PxSF_SF_EESI_SY_SJ_SK_SL_EUlSY_E1_NS1_11comp_targetILNS1_3genE9ELNS1_11target_archE1100ELNS1_3gpuE3ELNS1_3repE0EEENS1_36merge_oddeven_config_static_selectorELNS0_4arch9wavefront6targetE0EEEvSK_,@function
_ZN7rocprim17ROCPRIM_400000_NS6detail17trampoline_kernelINS0_14default_configENS1_38merge_sort_block_merge_config_selectorIxNS0_10empty_typeEEEZZNS1_27merge_sort_block_merge_implIS3_N6thrust23THRUST_200600_302600_NS6detail15normal_iteratorINS9_10device_ptrIxEEEEPS5_m11less_div_10IxEEE10hipError_tT0_T1_T2_jT3_P12ihipStream_tbPNSt15iterator_traitsISJ_E10value_typeEPNSP_ISK_E10value_typeEPSL_NS1_7vsmem_tEENKUlT_SJ_SK_SL_E_clISE_PxSF_SF_EESI_SY_SJ_SK_SL_EUlSY_E1_NS1_11comp_targetILNS1_3genE9ELNS1_11target_archE1100ELNS1_3gpuE3ELNS1_3repE0EEENS1_36merge_oddeven_config_static_selectorELNS0_4arch9wavefront6targetE0EEEvSK_: ; @_ZN7rocprim17ROCPRIM_400000_NS6detail17trampoline_kernelINS0_14default_configENS1_38merge_sort_block_merge_config_selectorIxNS0_10empty_typeEEEZZNS1_27merge_sort_block_merge_implIS3_N6thrust23THRUST_200600_302600_NS6detail15normal_iteratorINS9_10device_ptrIxEEEEPS5_m11less_div_10IxEEE10hipError_tT0_T1_T2_jT3_P12ihipStream_tbPNSt15iterator_traitsISJ_E10value_typeEPNSP_ISK_E10value_typeEPSL_NS1_7vsmem_tEENKUlT_SJ_SK_SL_E_clISE_PxSF_SF_EESI_SY_SJ_SK_SL_EUlSY_E1_NS1_11comp_targetILNS1_3genE9ELNS1_11target_archE1100ELNS1_3gpuE3ELNS1_3repE0EEENS1_36merge_oddeven_config_static_selectorELNS0_4arch9wavefront6targetE0EEEvSK_
; %bb.0:
	.section	.rodata,"a",@progbits
	.p2align	6, 0x0
	.amdhsa_kernel _ZN7rocprim17ROCPRIM_400000_NS6detail17trampoline_kernelINS0_14default_configENS1_38merge_sort_block_merge_config_selectorIxNS0_10empty_typeEEEZZNS1_27merge_sort_block_merge_implIS3_N6thrust23THRUST_200600_302600_NS6detail15normal_iteratorINS9_10device_ptrIxEEEEPS5_m11less_div_10IxEEE10hipError_tT0_T1_T2_jT3_P12ihipStream_tbPNSt15iterator_traitsISJ_E10value_typeEPNSP_ISK_E10value_typeEPSL_NS1_7vsmem_tEENKUlT_SJ_SK_SL_E_clISE_PxSF_SF_EESI_SY_SJ_SK_SL_EUlSY_E1_NS1_11comp_targetILNS1_3genE9ELNS1_11target_archE1100ELNS1_3gpuE3ELNS1_3repE0EEENS1_36merge_oddeven_config_static_selectorELNS0_4arch9wavefront6targetE0EEEvSK_
		.amdhsa_group_segment_fixed_size 0
		.amdhsa_private_segment_fixed_size 0
		.amdhsa_kernarg_size 56
		.amdhsa_user_sgpr_count 6
		.amdhsa_user_sgpr_private_segment_buffer 1
		.amdhsa_user_sgpr_dispatch_ptr 0
		.amdhsa_user_sgpr_queue_ptr 0
		.amdhsa_user_sgpr_kernarg_segment_ptr 1
		.amdhsa_user_sgpr_dispatch_id 0
		.amdhsa_user_sgpr_flat_scratch_init 0
		.amdhsa_user_sgpr_private_segment_size 0
		.amdhsa_wavefront_size32 1
		.amdhsa_uses_dynamic_stack 0
		.amdhsa_system_sgpr_private_segment_wavefront_offset 0
		.amdhsa_system_sgpr_workgroup_id_x 1
		.amdhsa_system_sgpr_workgroup_id_y 0
		.amdhsa_system_sgpr_workgroup_id_z 0
		.amdhsa_system_sgpr_workgroup_info 0
		.amdhsa_system_vgpr_workitem_id 0
		.amdhsa_next_free_vgpr 1
		.amdhsa_next_free_sgpr 1
		.amdhsa_reserve_vcc 0
		.amdhsa_reserve_flat_scratch 0
		.amdhsa_float_round_mode_32 0
		.amdhsa_float_round_mode_16_64 0
		.amdhsa_float_denorm_mode_32 3
		.amdhsa_float_denorm_mode_16_64 3
		.amdhsa_dx10_clamp 1
		.amdhsa_ieee_mode 1
		.amdhsa_fp16_overflow 0
		.amdhsa_workgroup_processor_mode 1
		.amdhsa_memory_ordered 1
		.amdhsa_forward_progress 1
		.amdhsa_shared_vgpr_count 0
		.amdhsa_exception_fp_ieee_invalid_op 0
		.amdhsa_exception_fp_denorm_src 0
		.amdhsa_exception_fp_ieee_div_zero 0
		.amdhsa_exception_fp_ieee_overflow 0
		.amdhsa_exception_fp_ieee_underflow 0
		.amdhsa_exception_fp_ieee_inexact 0
		.amdhsa_exception_int_div_zero 0
	.end_amdhsa_kernel
	.section	.text._ZN7rocprim17ROCPRIM_400000_NS6detail17trampoline_kernelINS0_14default_configENS1_38merge_sort_block_merge_config_selectorIxNS0_10empty_typeEEEZZNS1_27merge_sort_block_merge_implIS3_N6thrust23THRUST_200600_302600_NS6detail15normal_iteratorINS9_10device_ptrIxEEEEPS5_m11less_div_10IxEEE10hipError_tT0_T1_T2_jT3_P12ihipStream_tbPNSt15iterator_traitsISJ_E10value_typeEPNSP_ISK_E10value_typeEPSL_NS1_7vsmem_tEENKUlT_SJ_SK_SL_E_clISE_PxSF_SF_EESI_SY_SJ_SK_SL_EUlSY_E1_NS1_11comp_targetILNS1_3genE9ELNS1_11target_archE1100ELNS1_3gpuE3ELNS1_3repE0EEENS1_36merge_oddeven_config_static_selectorELNS0_4arch9wavefront6targetE0EEEvSK_,"axG",@progbits,_ZN7rocprim17ROCPRIM_400000_NS6detail17trampoline_kernelINS0_14default_configENS1_38merge_sort_block_merge_config_selectorIxNS0_10empty_typeEEEZZNS1_27merge_sort_block_merge_implIS3_N6thrust23THRUST_200600_302600_NS6detail15normal_iteratorINS9_10device_ptrIxEEEEPS5_m11less_div_10IxEEE10hipError_tT0_T1_T2_jT3_P12ihipStream_tbPNSt15iterator_traitsISJ_E10value_typeEPNSP_ISK_E10value_typeEPSL_NS1_7vsmem_tEENKUlT_SJ_SK_SL_E_clISE_PxSF_SF_EESI_SY_SJ_SK_SL_EUlSY_E1_NS1_11comp_targetILNS1_3genE9ELNS1_11target_archE1100ELNS1_3gpuE3ELNS1_3repE0EEENS1_36merge_oddeven_config_static_selectorELNS0_4arch9wavefront6targetE0EEEvSK_,comdat
.Lfunc_end382:
	.size	_ZN7rocprim17ROCPRIM_400000_NS6detail17trampoline_kernelINS0_14default_configENS1_38merge_sort_block_merge_config_selectorIxNS0_10empty_typeEEEZZNS1_27merge_sort_block_merge_implIS3_N6thrust23THRUST_200600_302600_NS6detail15normal_iteratorINS9_10device_ptrIxEEEEPS5_m11less_div_10IxEEE10hipError_tT0_T1_T2_jT3_P12ihipStream_tbPNSt15iterator_traitsISJ_E10value_typeEPNSP_ISK_E10value_typeEPSL_NS1_7vsmem_tEENKUlT_SJ_SK_SL_E_clISE_PxSF_SF_EESI_SY_SJ_SK_SL_EUlSY_E1_NS1_11comp_targetILNS1_3genE9ELNS1_11target_archE1100ELNS1_3gpuE3ELNS1_3repE0EEENS1_36merge_oddeven_config_static_selectorELNS0_4arch9wavefront6targetE0EEEvSK_, .Lfunc_end382-_ZN7rocprim17ROCPRIM_400000_NS6detail17trampoline_kernelINS0_14default_configENS1_38merge_sort_block_merge_config_selectorIxNS0_10empty_typeEEEZZNS1_27merge_sort_block_merge_implIS3_N6thrust23THRUST_200600_302600_NS6detail15normal_iteratorINS9_10device_ptrIxEEEEPS5_m11less_div_10IxEEE10hipError_tT0_T1_T2_jT3_P12ihipStream_tbPNSt15iterator_traitsISJ_E10value_typeEPNSP_ISK_E10value_typeEPSL_NS1_7vsmem_tEENKUlT_SJ_SK_SL_E_clISE_PxSF_SF_EESI_SY_SJ_SK_SL_EUlSY_E1_NS1_11comp_targetILNS1_3genE9ELNS1_11target_archE1100ELNS1_3gpuE3ELNS1_3repE0EEENS1_36merge_oddeven_config_static_selectorELNS0_4arch9wavefront6targetE0EEEvSK_
                                        ; -- End function
	.set _ZN7rocprim17ROCPRIM_400000_NS6detail17trampoline_kernelINS0_14default_configENS1_38merge_sort_block_merge_config_selectorIxNS0_10empty_typeEEEZZNS1_27merge_sort_block_merge_implIS3_N6thrust23THRUST_200600_302600_NS6detail15normal_iteratorINS9_10device_ptrIxEEEEPS5_m11less_div_10IxEEE10hipError_tT0_T1_T2_jT3_P12ihipStream_tbPNSt15iterator_traitsISJ_E10value_typeEPNSP_ISK_E10value_typeEPSL_NS1_7vsmem_tEENKUlT_SJ_SK_SL_E_clISE_PxSF_SF_EESI_SY_SJ_SK_SL_EUlSY_E1_NS1_11comp_targetILNS1_3genE9ELNS1_11target_archE1100ELNS1_3gpuE3ELNS1_3repE0EEENS1_36merge_oddeven_config_static_selectorELNS0_4arch9wavefront6targetE0EEEvSK_.num_vgpr, 0
	.set _ZN7rocprim17ROCPRIM_400000_NS6detail17trampoline_kernelINS0_14default_configENS1_38merge_sort_block_merge_config_selectorIxNS0_10empty_typeEEEZZNS1_27merge_sort_block_merge_implIS3_N6thrust23THRUST_200600_302600_NS6detail15normal_iteratorINS9_10device_ptrIxEEEEPS5_m11less_div_10IxEEE10hipError_tT0_T1_T2_jT3_P12ihipStream_tbPNSt15iterator_traitsISJ_E10value_typeEPNSP_ISK_E10value_typeEPSL_NS1_7vsmem_tEENKUlT_SJ_SK_SL_E_clISE_PxSF_SF_EESI_SY_SJ_SK_SL_EUlSY_E1_NS1_11comp_targetILNS1_3genE9ELNS1_11target_archE1100ELNS1_3gpuE3ELNS1_3repE0EEENS1_36merge_oddeven_config_static_selectorELNS0_4arch9wavefront6targetE0EEEvSK_.num_agpr, 0
	.set _ZN7rocprim17ROCPRIM_400000_NS6detail17trampoline_kernelINS0_14default_configENS1_38merge_sort_block_merge_config_selectorIxNS0_10empty_typeEEEZZNS1_27merge_sort_block_merge_implIS3_N6thrust23THRUST_200600_302600_NS6detail15normal_iteratorINS9_10device_ptrIxEEEEPS5_m11less_div_10IxEEE10hipError_tT0_T1_T2_jT3_P12ihipStream_tbPNSt15iterator_traitsISJ_E10value_typeEPNSP_ISK_E10value_typeEPSL_NS1_7vsmem_tEENKUlT_SJ_SK_SL_E_clISE_PxSF_SF_EESI_SY_SJ_SK_SL_EUlSY_E1_NS1_11comp_targetILNS1_3genE9ELNS1_11target_archE1100ELNS1_3gpuE3ELNS1_3repE0EEENS1_36merge_oddeven_config_static_selectorELNS0_4arch9wavefront6targetE0EEEvSK_.numbered_sgpr, 0
	.set _ZN7rocprim17ROCPRIM_400000_NS6detail17trampoline_kernelINS0_14default_configENS1_38merge_sort_block_merge_config_selectorIxNS0_10empty_typeEEEZZNS1_27merge_sort_block_merge_implIS3_N6thrust23THRUST_200600_302600_NS6detail15normal_iteratorINS9_10device_ptrIxEEEEPS5_m11less_div_10IxEEE10hipError_tT0_T1_T2_jT3_P12ihipStream_tbPNSt15iterator_traitsISJ_E10value_typeEPNSP_ISK_E10value_typeEPSL_NS1_7vsmem_tEENKUlT_SJ_SK_SL_E_clISE_PxSF_SF_EESI_SY_SJ_SK_SL_EUlSY_E1_NS1_11comp_targetILNS1_3genE9ELNS1_11target_archE1100ELNS1_3gpuE3ELNS1_3repE0EEENS1_36merge_oddeven_config_static_selectorELNS0_4arch9wavefront6targetE0EEEvSK_.num_named_barrier, 0
	.set _ZN7rocprim17ROCPRIM_400000_NS6detail17trampoline_kernelINS0_14default_configENS1_38merge_sort_block_merge_config_selectorIxNS0_10empty_typeEEEZZNS1_27merge_sort_block_merge_implIS3_N6thrust23THRUST_200600_302600_NS6detail15normal_iteratorINS9_10device_ptrIxEEEEPS5_m11less_div_10IxEEE10hipError_tT0_T1_T2_jT3_P12ihipStream_tbPNSt15iterator_traitsISJ_E10value_typeEPNSP_ISK_E10value_typeEPSL_NS1_7vsmem_tEENKUlT_SJ_SK_SL_E_clISE_PxSF_SF_EESI_SY_SJ_SK_SL_EUlSY_E1_NS1_11comp_targetILNS1_3genE9ELNS1_11target_archE1100ELNS1_3gpuE3ELNS1_3repE0EEENS1_36merge_oddeven_config_static_selectorELNS0_4arch9wavefront6targetE0EEEvSK_.private_seg_size, 0
	.set _ZN7rocprim17ROCPRIM_400000_NS6detail17trampoline_kernelINS0_14default_configENS1_38merge_sort_block_merge_config_selectorIxNS0_10empty_typeEEEZZNS1_27merge_sort_block_merge_implIS3_N6thrust23THRUST_200600_302600_NS6detail15normal_iteratorINS9_10device_ptrIxEEEEPS5_m11less_div_10IxEEE10hipError_tT0_T1_T2_jT3_P12ihipStream_tbPNSt15iterator_traitsISJ_E10value_typeEPNSP_ISK_E10value_typeEPSL_NS1_7vsmem_tEENKUlT_SJ_SK_SL_E_clISE_PxSF_SF_EESI_SY_SJ_SK_SL_EUlSY_E1_NS1_11comp_targetILNS1_3genE9ELNS1_11target_archE1100ELNS1_3gpuE3ELNS1_3repE0EEENS1_36merge_oddeven_config_static_selectorELNS0_4arch9wavefront6targetE0EEEvSK_.uses_vcc, 0
	.set _ZN7rocprim17ROCPRIM_400000_NS6detail17trampoline_kernelINS0_14default_configENS1_38merge_sort_block_merge_config_selectorIxNS0_10empty_typeEEEZZNS1_27merge_sort_block_merge_implIS3_N6thrust23THRUST_200600_302600_NS6detail15normal_iteratorINS9_10device_ptrIxEEEEPS5_m11less_div_10IxEEE10hipError_tT0_T1_T2_jT3_P12ihipStream_tbPNSt15iterator_traitsISJ_E10value_typeEPNSP_ISK_E10value_typeEPSL_NS1_7vsmem_tEENKUlT_SJ_SK_SL_E_clISE_PxSF_SF_EESI_SY_SJ_SK_SL_EUlSY_E1_NS1_11comp_targetILNS1_3genE9ELNS1_11target_archE1100ELNS1_3gpuE3ELNS1_3repE0EEENS1_36merge_oddeven_config_static_selectorELNS0_4arch9wavefront6targetE0EEEvSK_.uses_flat_scratch, 0
	.set _ZN7rocprim17ROCPRIM_400000_NS6detail17trampoline_kernelINS0_14default_configENS1_38merge_sort_block_merge_config_selectorIxNS0_10empty_typeEEEZZNS1_27merge_sort_block_merge_implIS3_N6thrust23THRUST_200600_302600_NS6detail15normal_iteratorINS9_10device_ptrIxEEEEPS5_m11less_div_10IxEEE10hipError_tT0_T1_T2_jT3_P12ihipStream_tbPNSt15iterator_traitsISJ_E10value_typeEPNSP_ISK_E10value_typeEPSL_NS1_7vsmem_tEENKUlT_SJ_SK_SL_E_clISE_PxSF_SF_EESI_SY_SJ_SK_SL_EUlSY_E1_NS1_11comp_targetILNS1_3genE9ELNS1_11target_archE1100ELNS1_3gpuE3ELNS1_3repE0EEENS1_36merge_oddeven_config_static_selectorELNS0_4arch9wavefront6targetE0EEEvSK_.has_dyn_sized_stack, 0
	.set _ZN7rocprim17ROCPRIM_400000_NS6detail17trampoline_kernelINS0_14default_configENS1_38merge_sort_block_merge_config_selectorIxNS0_10empty_typeEEEZZNS1_27merge_sort_block_merge_implIS3_N6thrust23THRUST_200600_302600_NS6detail15normal_iteratorINS9_10device_ptrIxEEEEPS5_m11less_div_10IxEEE10hipError_tT0_T1_T2_jT3_P12ihipStream_tbPNSt15iterator_traitsISJ_E10value_typeEPNSP_ISK_E10value_typeEPSL_NS1_7vsmem_tEENKUlT_SJ_SK_SL_E_clISE_PxSF_SF_EESI_SY_SJ_SK_SL_EUlSY_E1_NS1_11comp_targetILNS1_3genE9ELNS1_11target_archE1100ELNS1_3gpuE3ELNS1_3repE0EEENS1_36merge_oddeven_config_static_selectorELNS0_4arch9wavefront6targetE0EEEvSK_.has_recursion, 0
	.set _ZN7rocprim17ROCPRIM_400000_NS6detail17trampoline_kernelINS0_14default_configENS1_38merge_sort_block_merge_config_selectorIxNS0_10empty_typeEEEZZNS1_27merge_sort_block_merge_implIS3_N6thrust23THRUST_200600_302600_NS6detail15normal_iteratorINS9_10device_ptrIxEEEEPS5_m11less_div_10IxEEE10hipError_tT0_T1_T2_jT3_P12ihipStream_tbPNSt15iterator_traitsISJ_E10value_typeEPNSP_ISK_E10value_typeEPSL_NS1_7vsmem_tEENKUlT_SJ_SK_SL_E_clISE_PxSF_SF_EESI_SY_SJ_SK_SL_EUlSY_E1_NS1_11comp_targetILNS1_3genE9ELNS1_11target_archE1100ELNS1_3gpuE3ELNS1_3repE0EEENS1_36merge_oddeven_config_static_selectorELNS0_4arch9wavefront6targetE0EEEvSK_.has_indirect_call, 0
	.section	.AMDGPU.csdata,"",@progbits
; Kernel info:
; codeLenInByte = 0
; TotalNumSgprs: 0
; NumVgprs: 0
; ScratchSize: 0
; MemoryBound: 0
; FloatMode: 240
; IeeeMode: 1
; LDSByteSize: 0 bytes/workgroup (compile time only)
; SGPRBlocks: 0
; VGPRBlocks: 0
; NumSGPRsForWavesPerEU: 1
; NumVGPRsForWavesPerEU: 1
; Occupancy: 16
; WaveLimiterHint : 0
; COMPUTE_PGM_RSRC2:SCRATCH_EN: 0
; COMPUTE_PGM_RSRC2:USER_SGPR: 6
; COMPUTE_PGM_RSRC2:TRAP_HANDLER: 0
; COMPUTE_PGM_RSRC2:TGID_X_EN: 1
; COMPUTE_PGM_RSRC2:TGID_Y_EN: 0
; COMPUTE_PGM_RSRC2:TGID_Z_EN: 0
; COMPUTE_PGM_RSRC2:TIDIG_COMP_CNT: 0
	.section	.text._ZN7rocprim17ROCPRIM_400000_NS6detail17trampoline_kernelINS0_14default_configENS1_38merge_sort_block_merge_config_selectorIxNS0_10empty_typeEEEZZNS1_27merge_sort_block_merge_implIS3_N6thrust23THRUST_200600_302600_NS6detail15normal_iteratorINS9_10device_ptrIxEEEEPS5_m11less_div_10IxEEE10hipError_tT0_T1_T2_jT3_P12ihipStream_tbPNSt15iterator_traitsISJ_E10value_typeEPNSP_ISK_E10value_typeEPSL_NS1_7vsmem_tEENKUlT_SJ_SK_SL_E_clISE_PxSF_SF_EESI_SY_SJ_SK_SL_EUlSY_E1_NS1_11comp_targetILNS1_3genE8ELNS1_11target_archE1030ELNS1_3gpuE2ELNS1_3repE0EEENS1_36merge_oddeven_config_static_selectorELNS0_4arch9wavefront6targetE0EEEvSK_,"axG",@progbits,_ZN7rocprim17ROCPRIM_400000_NS6detail17trampoline_kernelINS0_14default_configENS1_38merge_sort_block_merge_config_selectorIxNS0_10empty_typeEEEZZNS1_27merge_sort_block_merge_implIS3_N6thrust23THRUST_200600_302600_NS6detail15normal_iteratorINS9_10device_ptrIxEEEEPS5_m11less_div_10IxEEE10hipError_tT0_T1_T2_jT3_P12ihipStream_tbPNSt15iterator_traitsISJ_E10value_typeEPNSP_ISK_E10value_typeEPSL_NS1_7vsmem_tEENKUlT_SJ_SK_SL_E_clISE_PxSF_SF_EESI_SY_SJ_SK_SL_EUlSY_E1_NS1_11comp_targetILNS1_3genE8ELNS1_11target_archE1030ELNS1_3gpuE2ELNS1_3repE0EEENS1_36merge_oddeven_config_static_selectorELNS0_4arch9wavefront6targetE0EEEvSK_,comdat
	.protected	_ZN7rocprim17ROCPRIM_400000_NS6detail17trampoline_kernelINS0_14default_configENS1_38merge_sort_block_merge_config_selectorIxNS0_10empty_typeEEEZZNS1_27merge_sort_block_merge_implIS3_N6thrust23THRUST_200600_302600_NS6detail15normal_iteratorINS9_10device_ptrIxEEEEPS5_m11less_div_10IxEEE10hipError_tT0_T1_T2_jT3_P12ihipStream_tbPNSt15iterator_traitsISJ_E10value_typeEPNSP_ISK_E10value_typeEPSL_NS1_7vsmem_tEENKUlT_SJ_SK_SL_E_clISE_PxSF_SF_EESI_SY_SJ_SK_SL_EUlSY_E1_NS1_11comp_targetILNS1_3genE8ELNS1_11target_archE1030ELNS1_3gpuE2ELNS1_3repE0EEENS1_36merge_oddeven_config_static_selectorELNS0_4arch9wavefront6targetE0EEEvSK_ ; -- Begin function _ZN7rocprim17ROCPRIM_400000_NS6detail17trampoline_kernelINS0_14default_configENS1_38merge_sort_block_merge_config_selectorIxNS0_10empty_typeEEEZZNS1_27merge_sort_block_merge_implIS3_N6thrust23THRUST_200600_302600_NS6detail15normal_iteratorINS9_10device_ptrIxEEEEPS5_m11less_div_10IxEEE10hipError_tT0_T1_T2_jT3_P12ihipStream_tbPNSt15iterator_traitsISJ_E10value_typeEPNSP_ISK_E10value_typeEPSL_NS1_7vsmem_tEENKUlT_SJ_SK_SL_E_clISE_PxSF_SF_EESI_SY_SJ_SK_SL_EUlSY_E1_NS1_11comp_targetILNS1_3genE8ELNS1_11target_archE1030ELNS1_3gpuE2ELNS1_3repE0EEENS1_36merge_oddeven_config_static_selectorELNS0_4arch9wavefront6targetE0EEEvSK_
	.globl	_ZN7rocprim17ROCPRIM_400000_NS6detail17trampoline_kernelINS0_14default_configENS1_38merge_sort_block_merge_config_selectorIxNS0_10empty_typeEEEZZNS1_27merge_sort_block_merge_implIS3_N6thrust23THRUST_200600_302600_NS6detail15normal_iteratorINS9_10device_ptrIxEEEEPS5_m11less_div_10IxEEE10hipError_tT0_T1_T2_jT3_P12ihipStream_tbPNSt15iterator_traitsISJ_E10value_typeEPNSP_ISK_E10value_typeEPSL_NS1_7vsmem_tEENKUlT_SJ_SK_SL_E_clISE_PxSF_SF_EESI_SY_SJ_SK_SL_EUlSY_E1_NS1_11comp_targetILNS1_3genE8ELNS1_11target_archE1030ELNS1_3gpuE2ELNS1_3repE0EEENS1_36merge_oddeven_config_static_selectorELNS0_4arch9wavefront6targetE0EEEvSK_
	.p2align	8
	.type	_ZN7rocprim17ROCPRIM_400000_NS6detail17trampoline_kernelINS0_14default_configENS1_38merge_sort_block_merge_config_selectorIxNS0_10empty_typeEEEZZNS1_27merge_sort_block_merge_implIS3_N6thrust23THRUST_200600_302600_NS6detail15normal_iteratorINS9_10device_ptrIxEEEEPS5_m11less_div_10IxEEE10hipError_tT0_T1_T2_jT3_P12ihipStream_tbPNSt15iterator_traitsISJ_E10value_typeEPNSP_ISK_E10value_typeEPSL_NS1_7vsmem_tEENKUlT_SJ_SK_SL_E_clISE_PxSF_SF_EESI_SY_SJ_SK_SL_EUlSY_E1_NS1_11comp_targetILNS1_3genE8ELNS1_11target_archE1030ELNS1_3gpuE2ELNS1_3repE0EEENS1_36merge_oddeven_config_static_selectorELNS0_4arch9wavefront6targetE0EEEvSK_,@function
_ZN7rocprim17ROCPRIM_400000_NS6detail17trampoline_kernelINS0_14default_configENS1_38merge_sort_block_merge_config_selectorIxNS0_10empty_typeEEEZZNS1_27merge_sort_block_merge_implIS3_N6thrust23THRUST_200600_302600_NS6detail15normal_iteratorINS9_10device_ptrIxEEEEPS5_m11less_div_10IxEEE10hipError_tT0_T1_T2_jT3_P12ihipStream_tbPNSt15iterator_traitsISJ_E10value_typeEPNSP_ISK_E10value_typeEPSL_NS1_7vsmem_tEENKUlT_SJ_SK_SL_E_clISE_PxSF_SF_EESI_SY_SJ_SK_SL_EUlSY_E1_NS1_11comp_targetILNS1_3genE8ELNS1_11target_archE1030ELNS1_3gpuE2ELNS1_3repE0EEENS1_36merge_oddeven_config_static_selectorELNS0_4arch9wavefront6targetE0EEEvSK_: ; @_ZN7rocprim17ROCPRIM_400000_NS6detail17trampoline_kernelINS0_14default_configENS1_38merge_sort_block_merge_config_selectorIxNS0_10empty_typeEEEZZNS1_27merge_sort_block_merge_implIS3_N6thrust23THRUST_200600_302600_NS6detail15normal_iteratorINS9_10device_ptrIxEEEEPS5_m11less_div_10IxEEE10hipError_tT0_T1_T2_jT3_P12ihipStream_tbPNSt15iterator_traitsISJ_E10value_typeEPNSP_ISK_E10value_typeEPSL_NS1_7vsmem_tEENKUlT_SJ_SK_SL_E_clISE_PxSF_SF_EESI_SY_SJ_SK_SL_EUlSY_E1_NS1_11comp_targetILNS1_3genE8ELNS1_11target_archE1030ELNS1_3gpuE2ELNS1_3repE0EEENS1_36merge_oddeven_config_static_selectorELNS0_4arch9wavefront6targetE0EEEvSK_
; %bb.0:
	s_load_dword s7, s[4:5], 0x20
	s_waitcnt lgkmcnt(0)
	s_lshr_b32 s0, s7, 8
	s_cmp_lg_u32 s6, s0
	s_cselect_b32 s13, -1, 0
	s_cmp_eq_u32 s6, s0
	s_cselect_b32 s12, -1, 0
	s_lshl_b32 s2, s6, 8
	s_sub_i32 s0, s7, s2
	v_cmp_gt_u32_e64 s1, s0, v0
	s_or_b32 s0, s13, s1
	s_and_saveexec_b32 s3, s0
	s_cbranch_execz .LBB383_20
; %bb.1:
	s_load_dwordx4 s[8:11], s[4:5], 0x0
	s_mov_b32 s3, 0
	v_lshlrev_b32_e32 v1, 3, v0
	s_lshl_b64 s[14:15], s[2:3], 3
	s_load_dword s5, s[4:5], 0x28
	v_add_nc_u32_e32 v3, s2, v0
	s_waitcnt lgkmcnt(0)
	s_add_u32 s14, s8, s14
	s_addc_u32 s15, s9, s15
	global_load_dwordx2 v[1:2], v1, s[14:15]
	s_lshr_b32 s0, s5, 8
	s_sub_i32 s4, 0, s0
	s_and_b32 s4, s6, s4
	s_and_b32 s0, s4, s0
	s_lshl_b32 s6, s4, 8
	s_sub_i32 s4, 0, s5
	s_cmp_eq_u32 s0, 0
	s_cselect_b32 s0, -1, 0
	s_and_b32 s14, s0, exec_lo
	s_cselect_b32 s4, s5, s4
	s_add_i32 s4, s4, s6
	s_cmp_lt_u32 s4, s7
	s_cbranch_scc1 .LBB383_3
; %bb.2:
	v_cmp_gt_u32_e32 vcc_lo, s7, v3
	s_or_b32 s3, vcc_lo, s13
	s_and_b32 s3, s3, exec_lo
	s_cbranch_execz .LBB383_4
	s_branch .LBB383_18
.LBB383_3:
.LBB383_4:
	s_waitcnt vmcnt(0)
	v_mul_hi_i32 v0, 0x66666667, v1
	s_min_u32 s2, s4, s7
	s_and_b32 vcc_lo, exec_lo, s12
	s_add_i32 s13, s6, s2
	s_min_u32 s6, s6, s2
	v_subrev_nc_u32_e32 v3, s13, v3
	s_add_i32 s5, s2, s5
	s_min_u32 s5, s5, s7
	v_lshrrev_b32_e32 v4, 31, v0
	v_ashrrev_i32_e32 v5, 2, v0
	v_add_nc_u32_e32 v0, s6, v3
	v_add_nc_u32_e32 v5, v5, v4
	s_cbranch_vccz .LBB383_12
; %bb.5:
                                        ; implicit-def: $vgpr3
	s_and_saveexec_b32 s6, s1
	s_cbranch_execz .LBB383_11
; %bb.6:
	v_mov_b32_e32 v6, s2
	s_cmp_ge_u32 s4, s5
	s_cbranch_scc1 .LBB383_10
; %bb.7:
	v_mov_b32_e32 v7, s5
	v_mov_b32_e32 v6, s2
	;; [unrolled: 1-line block ×3, first 2 shown]
	s_mov_b32 s1, 0
	s_inst_prefetch 0x1
	.p2align	6
.LBB383_8:                              ; =>This Inner Loop Header: Depth=1
	v_add_nc_u32_e32 v3, v6, v7
	v_lshrrev_b32_e32 v3, 1, v3
	v_lshlrev_b64 v[8:9], 3, v[3:4]
	v_add_co_u32 v8, vcc_lo, s8, v8
	v_add_co_ci_u32_e64 v9, null, s9, v9, vcc_lo
	global_load_dword v8, v[8:9], off
	s_waitcnt vmcnt(0)
	v_mul_hi_i32 v8, 0x66666667, v8
	v_lshrrev_b32_e32 v9, 31, v8
	v_ashrrev_i32_e32 v8, 2, v8
	v_add_nc_u32_e32 v8, v8, v9
	v_cmp_lt_i32_e32 vcc_lo, v8, v5
	v_cndmask_b32_e64 v9, 0, 1, vcc_lo
	v_cmp_ge_i32_e32 vcc_lo, v5, v8
	v_cndmask_b32_e64 v8, 0, 1, vcc_lo
	v_cndmask_b32_e64 v8, v8, v9, s0
	v_add_nc_u32_e32 v9, 1, v3
	v_and_b32_e32 v8, 1, v8
	v_cmp_eq_u32_e32 vcc_lo, 1, v8
	v_cndmask_b32_e32 v7, v3, v7, vcc_lo
	v_cndmask_b32_e32 v6, v6, v9, vcc_lo
	v_cmp_ge_u32_e32 vcc_lo, v6, v7
	s_or_b32 s1, vcc_lo, s1
	s_andn2_b32 exec_lo, exec_lo, s1
	s_cbranch_execnz .LBB383_8
; %bb.9:
	s_inst_prefetch 0x2
	s_or_b32 exec_lo, exec_lo, s1
.LBB383_10:
	v_add_nc_u32_e32 v3, v6, v0
	s_or_b32 s3, s3, exec_lo
.LBB383_11:
	s_or_b32 exec_lo, exec_lo, s6
	s_branch .LBB383_18
.LBB383_12:
                                        ; implicit-def: $vgpr3
	s_cbranch_execz .LBB383_18
; %bb.13:
	v_mov_b32_e32 v6, s2
	s_cmp_ge_u32 s4, s5
	s_cbranch_scc1 .LBB383_17
; %bb.14:
	v_mov_b32_e32 v7, s5
	v_mov_b32_e32 v6, s2
	;; [unrolled: 1-line block ×3, first 2 shown]
	s_mov_b32 s1, 0
	s_inst_prefetch 0x1
	.p2align	6
.LBB383_15:                             ; =>This Inner Loop Header: Depth=1
	v_add_nc_u32_e32 v3, v6, v7
	v_lshrrev_b32_e32 v3, 1, v3
	v_lshlrev_b64 v[8:9], 3, v[3:4]
	v_add_co_u32 v8, vcc_lo, s8, v8
	v_add_co_ci_u32_e64 v9, null, s9, v9, vcc_lo
	global_load_dword v8, v[8:9], off
	s_waitcnt vmcnt(0)
	v_mul_hi_i32 v8, 0x66666667, v8
	v_lshrrev_b32_e32 v9, 31, v8
	v_ashrrev_i32_e32 v8, 2, v8
	v_add_nc_u32_e32 v8, v8, v9
	v_cmp_lt_i32_e32 vcc_lo, v8, v5
	v_cndmask_b32_e64 v9, 0, 1, vcc_lo
	v_cmp_ge_i32_e32 vcc_lo, v5, v8
	v_cndmask_b32_e64 v8, 0, 1, vcc_lo
	v_cndmask_b32_e64 v8, v8, v9, s0
	v_add_nc_u32_e32 v9, 1, v3
	v_and_b32_e32 v8, 1, v8
	v_cmp_eq_u32_e32 vcc_lo, 1, v8
	v_cndmask_b32_e32 v7, v3, v7, vcc_lo
	v_cndmask_b32_e32 v6, v6, v9, vcc_lo
	v_cmp_ge_u32_e32 vcc_lo, v6, v7
	s_or_b32 s1, vcc_lo, s1
	s_andn2_b32 exec_lo, exec_lo, s1
	s_cbranch_execnz .LBB383_15
; %bb.16:
	s_inst_prefetch 0x2
	s_or_b32 exec_lo, exec_lo, s1
.LBB383_17:
	v_add_nc_u32_e32 v3, v6, v0
	s_mov_b32 s3, -1
.LBB383_18:
	s_and_b32 exec_lo, exec_lo, s3
	s_cbranch_execz .LBB383_20
; %bb.19:
	v_mov_b32_e32 v4, 0
	v_lshlrev_b64 v[3:4], 3, v[3:4]
	v_add_co_u32 v3, vcc_lo, s10, v3
	v_add_co_ci_u32_e64 v4, null, s11, v4, vcc_lo
	s_waitcnt vmcnt(0)
	global_store_dwordx2 v[3:4], v[1:2], off
.LBB383_20:
	s_endpgm
	.section	.rodata,"a",@progbits
	.p2align	6, 0x0
	.amdhsa_kernel _ZN7rocprim17ROCPRIM_400000_NS6detail17trampoline_kernelINS0_14default_configENS1_38merge_sort_block_merge_config_selectorIxNS0_10empty_typeEEEZZNS1_27merge_sort_block_merge_implIS3_N6thrust23THRUST_200600_302600_NS6detail15normal_iteratorINS9_10device_ptrIxEEEEPS5_m11less_div_10IxEEE10hipError_tT0_T1_T2_jT3_P12ihipStream_tbPNSt15iterator_traitsISJ_E10value_typeEPNSP_ISK_E10value_typeEPSL_NS1_7vsmem_tEENKUlT_SJ_SK_SL_E_clISE_PxSF_SF_EESI_SY_SJ_SK_SL_EUlSY_E1_NS1_11comp_targetILNS1_3genE8ELNS1_11target_archE1030ELNS1_3gpuE2ELNS1_3repE0EEENS1_36merge_oddeven_config_static_selectorELNS0_4arch9wavefront6targetE0EEEvSK_
		.amdhsa_group_segment_fixed_size 0
		.amdhsa_private_segment_fixed_size 0
		.amdhsa_kernarg_size 56
		.amdhsa_user_sgpr_count 6
		.amdhsa_user_sgpr_private_segment_buffer 1
		.amdhsa_user_sgpr_dispatch_ptr 0
		.amdhsa_user_sgpr_queue_ptr 0
		.amdhsa_user_sgpr_kernarg_segment_ptr 1
		.amdhsa_user_sgpr_dispatch_id 0
		.amdhsa_user_sgpr_flat_scratch_init 0
		.amdhsa_user_sgpr_private_segment_size 0
		.amdhsa_wavefront_size32 1
		.amdhsa_uses_dynamic_stack 0
		.amdhsa_system_sgpr_private_segment_wavefront_offset 0
		.amdhsa_system_sgpr_workgroup_id_x 1
		.amdhsa_system_sgpr_workgroup_id_y 0
		.amdhsa_system_sgpr_workgroup_id_z 0
		.amdhsa_system_sgpr_workgroup_info 0
		.amdhsa_system_vgpr_workitem_id 0
		.amdhsa_next_free_vgpr 10
		.amdhsa_next_free_sgpr 16
		.amdhsa_reserve_vcc 1
		.amdhsa_reserve_flat_scratch 0
		.amdhsa_float_round_mode_32 0
		.amdhsa_float_round_mode_16_64 0
		.amdhsa_float_denorm_mode_32 3
		.amdhsa_float_denorm_mode_16_64 3
		.amdhsa_dx10_clamp 1
		.amdhsa_ieee_mode 1
		.amdhsa_fp16_overflow 0
		.amdhsa_workgroup_processor_mode 1
		.amdhsa_memory_ordered 1
		.amdhsa_forward_progress 1
		.amdhsa_shared_vgpr_count 0
		.amdhsa_exception_fp_ieee_invalid_op 0
		.amdhsa_exception_fp_denorm_src 0
		.amdhsa_exception_fp_ieee_div_zero 0
		.amdhsa_exception_fp_ieee_overflow 0
		.amdhsa_exception_fp_ieee_underflow 0
		.amdhsa_exception_fp_ieee_inexact 0
		.amdhsa_exception_int_div_zero 0
	.end_amdhsa_kernel
	.section	.text._ZN7rocprim17ROCPRIM_400000_NS6detail17trampoline_kernelINS0_14default_configENS1_38merge_sort_block_merge_config_selectorIxNS0_10empty_typeEEEZZNS1_27merge_sort_block_merge_implIS3_N6thrust23THRUST_200600_302600_NS6detail15normal_iteratorINS9_10device_ptrIxEEEEPS5_m11less_div_10IxEEE10hipError_tT0_T1_T2_jT3_P12ihipStream_tbPNSt15iterator_traitsISJ_E10value_typeEPNSP_ISK_E10value_typeEPSL_NS1_7vsmem_tEENKUlT_SJ_SK_SL_E_clISE_PxSF_SF_EESI_SY_SJ_SK_SL_EUlSY_E1_NS1_11comp_targetILNS1_3genE8ELNS1_11target_archE1030ELNS1_3gpuE2ELNS1_3repE0EEENS1_36merge_oddeven_config_static_selectorELNS0_4arch9wavefront6targetE0EEEvSK_,"axG",@progbits,_ZN7rocprim17ROCPRIM_400000_NS6detail17trampoline_kernelINS0_14default_configENS1_38merge_sort_block_merge_config_selectorIxNS0_10empty_typeEEEZZNS1_27merge_sort_block_merge_implIS3_N6thrust23THRUST_200600_302600_NS6detail15normal_iteratorINS9_10device_ptrIxEEEEPS5_m11less_div_10IxEEE10hipError_tT0_T1_T2_jT3_P12ihipStream_tbPNSt15iterator_traitsISJ_E10value_typeEPNSP_ISK_E10value_typeEPSL_NS1_7vsmem_tEENKUlT_SJ_SK_SL_E_clISE_PxSF_SF_EESI_SY_SJ_SK_SL_EUlSY_E1_NS1_11comp_targetILNS1_3genE8ELNS1_11target_archE1030ELNS1_3gpuE2ELNS1_3repE0EEENS1_36merge_oddeven_config_static_selectorELNS0_4arch9wavefront6targetE0EEEvSK_,comdat
.Lfunc_end383:
	.size	_ZN7rocprim17ROCPRIM_400000_NS6detail17trampoline_kernelINS0_14default_configENS1_38merge_sort_block_merge_config_selectorIxNS0_10empty_typeEEEZZNS1_27merge_sort_block_merge_implIS3_N6thrust23THRUST_200600_302600_NS6detail15normal_iteratorINS9_10device_ptrIxEEEEPS5_m11less_div_10IxEEE10hipError_tT0_T1_T2_jT3_P12ihipStream_tbPNSt15iterator_traitsISJ_E10value_typeEPNSP_ISK_E10value_typeEPSL_NS1_7vsmem_tEENKUlT_SJ_SK_SL_E_clISE_PxSF_SF_EESI_SY_SJ_SK_SL_EUlSY_E1_NS1_11comp_targetILNS1_3genE8ELNS1_11target_archE1030ELNS1_3gpuE2ELNS1_3repE0EEENS1_36merge_oddeven_config_static_selectorELNS0_4arch9wavefront6targetE0EEEvSK_, .Lfunc_end383-_ZN7rocprim17ROCPRIM_400000_NS6detail17trampoline_kernelINS0_14default_configENS1_38merge_sort_block_merge_config_selectorIxNS0_10empty_typeEEEZZNS1_27merge_sort_block_merge_implIS3_N6thrust23THRUST_200600_302600_NS6detail15normal_iteratorINS9_10device_ptrIxEEEEPS5_m11less_div_10IxEEE10hipError_tT0_T1_T2_jT3_P12ihipStream_tbPNSt15iterator_traitsISJ_E10value_typeEPNSP_ISK_E10value_typeEPSL_NS1_7vsmem_tEENKUlT_SJ_SK_SL_E_clISE_PxSF_SF_EESI_SY_SJ_SK_SL_EUlSY_E1_NS1_11comp_targetILNS1_3genE8ELNS1_11target_archE1030ELNS1_3gpuE2ELNS1_3repE0EEENS1_36merge_oddeven_config_static_selectorELNS0_4arch9wavefront6targetE0EEEvSK_
                                        ; -- End function
	.set _ZN7rocprim17ROCPRIM_400000_NS6detail17trampoline_kernelINS0_14default_configENS1_38merge_sort_block_merge_config_selectorIxNS0_10empty_typeEEEZZNS1_27merge_sort_block_merge_implIS3_N6thrust23THRUST_200600_302600_NS6detail15normal_iteratorINS9_10device_ptrIxEEEEPS5_m11less_div_10IxEEE10hipError_tT0_T1_T2_jT3_P12ihipStream_tbPNSt15iterator_traitsISJ_E10value_typeEPNSP_ISK_E10value_typeEPSL_NS1_7vsmem_tEENKUlT_SJ_SK_SL_E_clISE_PxSF_SF_EESI_SY_SJ_SK_SL_EUlSY_E1_NS1_11comp_targetILNS1_3genE8ELNS1_11target_archE1030ELNS1_3gpuE2ELNS1_3repE0EEENS1_36merge_oddeven_config_static_selectorELNS0_4arch9wavefront6targetE0EEEvSK_.num_vgpr, 10
	.set _ZN7rocprim17ROCPRIM_400000_NS6detail17trampoline_kernelINS0_14default_configENS1_38merge_sort_block_merge_config_selectorIxNS0_10empty_typeEEEZZNS1_27merge_sort_block_merge_implIS3_N6thrust23THRUST_200600_302600_NS6detail15normal_iteratorINS9_10device_ptrIxEEEEPS5_m11less_div_10IxEEE10hipError_tT0_T1_T2_jT3_P12ihipStream_tbPNSt15iterator_traitsISJ_E10value_typeEPNSP_ISK_E10value_typeEPSL_NS1_7vsmem_tEENKUlT_SJ_SK_SL_E_clISE_PxSF_SF_EESI_SY_SJ_SK_SL_EUlSY_E1_NS1_11comp_targetILNS1_3genE8ELNS1_11target_archE1030ELNS1_3gpuE2ELNS1_3repE0EEENS1_36merge_oddeven_config_static_selectorELNS0_4arch9wavefront6targetE0EEEvSK_.num_agpr, 0
	.set _ZN7rocprim17ROCPRIM_400000_NS6detail17trampoline_kernelINS0_14default_configENS1_38merge_sort_block_merge_config_selectorIxNS0_10empty_typeEEEZZNS1_27merge_sort_block_merge_implIS3_N6thrust23THRUST_200600_302600_NS6detail15normal_iteratorINS9_10device_ptrIxEEEEPS5_m11less_div_10IxEEE10hipError_tT0_T1_T2_jT3_P12ihipStream_tbPNSt15iterator_traitsISJ_E10value_typeEPNSP_ISK_E10value_typeEPSL_NS1_7vsmem_tEENKUlT_SJ_SK_SL_E_clISE_PxSF_SF_EESI_SY_SJ_SK_SL_EUlSY_E1_NS1_11comp_targetILNS1_3genE8ELNS1_11target_archE1030ELNS1_3gpuE2ELNS1_3repE0EEENS1_36merge_oddeven_config_static_selectorELNS0_4arch9wavefront6targetE0EEEvSK_.numbered_sgpr, 16
	.set _ZN7rocprim17ROCPRIM_400000_NS6detail17trampoline_kernelINS0_14default_configENS1_38merge_sort_block_merge_config_selectorIxNS0_10empty_typeEEEZZNS1_27merge_sort_block_merge_implIS3_N6thrust23THRUST_200600_302600_NS6detail15normal_iteratorINS9_10device_ptrIxEEEEPS5_m11less_div_10IxEEE10hipError_tT0_T1_T2_jT3_P12ihipStream_tbPNSt15iterator_traitsISJ_E10value_typeEPNSP_ISK_E10value_typeEPSL_NS1_7vsmem_tEENKUlT_SJ_SK_SL_E_clISE_PxSF_SF_EESI_SY_SJ_SK_SL_EUlSY_E1_NS1_11comp_targetILNS1_3genE8ELNS1_11target_archE1030ELNS1_3gpuE2ELNS1_3repE0EEENS1_36merge_oddeven_config_static_selectorELNS0_4arch9wavefront6targetE0EEEvSK_.num_named_barrier, 0
	.set _ZN7rocprim17ROCPRIM_400000_NS6detail17trampoline_kernelINS0_14default_configENS1_38merge_sort_block_merge_config_selectorIxNS0_10empty_typeEEEZZNS1_27merge_sort_block_merge_implIS3_N6thrust23THRUST_200600_302600_NS6detail15normal_iteratorINS9_10device_ptrIxEEEEPS5_m11less_div_10IxEEE10hipError_tT0_T1_T2_jT3_P12ihipStream_tbPNSt15iterator_traitsISJ_E10value_typeEPNSP_ISK_E10value_typeEPSL_NS1_7vsmem_tEENKUlT_SJ_SK_SL_E_clISE_PxSF_SF_EESI_SY_SJ_SK_SL_EUlSY_E1_NS1_11comp_targetILNS1_3genE8ELNS1_11target_archE1030ELNS1_3gpuE2ELNS1_3repE0EEENS1_36merge_oddeven_config_static_selectorELNS0_4arch9wavefront6targetE0EEEvSK_.private_seg_size, 0
	.set _ZN7rocprim17ROCPRIM_400000_NS6detail17trampoline_kernelINS0_14default_configENS1_38merge_sort_block_merge_config_selectorIxNS0_10empty_typeEEEZZNS1_27merge_sort_block_merge_implIS3_N6thrust23THRUST_200600_302600_NS6detail15normal_iteratorINS9_10device_ptrIxEEEEPS5_m11less_div_10IxEEE10hipError_tT0_T1_T2_jT3_P12ihipStream_tbPNSt15iterator_traitsISJ_E10value_typeEPNSP_ISK_E10value_typeEPSL_NS1_7vsmem_tEENKUlT_SJ_SK_SL_E_clISE_PxSF_SF_EESI_SY_SJ_SK_SL_EUlSY_E1_NS1_11comp_targetILNS1_3genE8ELNS1_11target_archE1030ELNS1_3gpuE2ELNS1_3repE0EEENS1_36merge_oddeven_config_static_selectorELNS0_4arch9wavefront6targetE0EEEvSK_.uses_vcc, 1
	.set _ZN7rocprim17ROCPRIM_400000_NS6detail17trampoline_kernelINS0_14default_configENS1_38merge_sort_block_merge_config_selectorIxNS0_10empty_typeEEEZZNS1_27merge_sort_block_merge_implIS3_N6thrust23THRUST_200600_302600_NS6detail15normal_iteratorINS9_10device_ptrIxEEEEPS5_m11less_div_10IxEEE10hipError_tT0_T1_T2_jT3_P12ihipStream_tbPNSt15iterator_traitsISJ_E10value_typeEPNSP_ISK_E10value_typeEPSL_NS1_7vsmem_tEENKUlT_SJ_SK_SL_E_clISE_PxSF_SF_EESI_SY_SJ_SK_SL_EUlSY_E1_NS1_11comp_targetILNS1_3genE8ELNS1_11target_archE1030ELNS1_3gpuE2ELNS1_3repE0EEENS1_36merge_oddeven_config_static_selectorELNS0_4arch9wavefront6targetE0EEEvSK_.uses_flat_scratch, 0
	.set _ZN7rocprim17ROCPRIM_400000_NS6detail17trampoline_kernelINS0_14default_configENS1_38merge_sort_block_merge_config_selectorIxNS0_10empty_typeEEEZZNS1_27merge_sort_block_merge_implIS3_N6thrust23THRUST_200600_302600_NS6detail15normal_iteratorINS9_10device_ptrIxEEEEPS5_m11less_div_10IxEEE10hipError_tT0_T1_T2_jT3_P12ihipStream_tbPNSt15iterator_traitsISJ_E10value_typeEPNSP_ISK_E10value_typeEPSL_NS1_7vsmem_tEENKUlT_SJ_SK_SL_E_clISE_PxSF_SF_EESI_SY_SJ_SK_SL_EUlSY_E1_NS1_11comp_targetILNS1_3genE8ELNS1_11target_archE1030ELNS1_3gpuE2ELNS1_3repE0EEENS1_36merge_oddeven_config_static_selectorELNS0_4arch9wavefront6targetE0EEEvSK_.has_dyn_sized_stack, 0
	.set _ZN7rocprim17ROCPRIM_400000_NS6detail17trampoline_kernelINS0_14default_configENS1_38merge_sort_block_merge_config_selectorIxNS0_10empty_typeEEEZZNS1_27merge_sort_block_merge_implIS3_N6thrust23THRUST_200600_302600_NS6detail15normal_iteratorINS9_10device_ptrIxEEEEPS5_m11less_div_10IxEEE10hipError_tT0_T1_T2_jT3_P12ihipStream_tbPNSt15iterator_traitsISJ_E10value_typeEPNSP_ISK_E10value_typeEPSL_NS1_7vsmem_tEENKUlT_SJ_SK_SL_E_clISE_PxSF_SF_EESI_SY_SJ_SK_SL_EUlSY_E1_NS1_11comp_targetILNS1_3genE8ELNS1_11target_archE1030ELNS1_3gpuE2ELNS1_3repE0EEENS1_36merge_oddeven_config_static_selectorELNS0_4arch9wavefront6targetE0EEEvSK_.has_recursion, 0
	.set _ZN7rocprim17ROCPRIM_400000_NS6detail17trampoline_kernelINS0_14default_configENS1_38merge_sort_block_merge_config_selectorIxNS0_10empty_typeEEEZZNS1_27merge_sort_block_merge_implIS3_N6thrust23THRUST_200600_302600_NS6detail15normal_iteratorINS9_10device_ptrIxEEEEPS5_m11less_div_10IxEEE10hipError_tT0_T1_T2_jT3_P12ihipStream_tbPNSt15iterator_traitsISJ_E10value_typeEPNSP_ISK_E10value_typeEPSL_NS1_7vsmem_tEENKUlT_SJ_SK_SL_E_clISE_PxSF_SF_EESI_SY_SJ_SK_SL_EUlSY_E1_NS1_11comp_targetILNS1_3genE8ELNS1_11target_archE1030ELNS1_3gpuE2ELNS1_3repE0EEENS1_36merge_oddeven_config_static_selectorELNS0_4arch9wavefront6targetE0EEEvSK_.has_indirect_call, 0
	.section	.AMDGPU.csdata,"",@progbits
; Kernel info:
; codeLenInByte = 780
; TotalNumSgprs: 18
; NumVgprs: 10
; ScratchSize: 0
; MemoryBound: 0
; FloatMode: 240
; IeeeMode: 1
; LDSByteSize: 0 bytes/workgroup (compile time only)
; SGPRBlocks: 0
; VGPRBlocks: 1
; NumSGPRsForWavesPerEU: 18
; NumVGPRsForWavesPerEU: 10
; Occupancy: 16
; WaveLimiterHint : 0
; COMPUTE_PGM_RSRC2:SCRATCH_EN: 0
; COMPUTE_PGM_RSRC2:USER_SGPR: 6
; COMPUTE_PGM_RSRC2:TRAP_HANDLER: 0
; COMPUTE_PGM_RSRC2:TGID_X_EN: 1
; COMPUTE_PGM_RSRC2:TGID_Y_EN: 0
; COMPUTE_PGM_RSRC2:TGID_Z_EN: 0
; COMPUTE_PGM_RSRC2:TIDIG_COMP_CNT: 0
	.section	.text._ZN7rocprim17ROCPRIM_400000_NS6detail17trampoline_kernelINS0_14default_configENS1_25transform_config_selectorIxLb0EEEZNS1_14transform_implILb0ES3_S5_PxN6thrust23THRUST_200600_302600_NS6detail15normal_iteratorINS9_10device_ptrIxEEEENS0_8identityIxEEEE10hipError_tT2_T3_mT4_P12ihipStream_tbEUlT_E_NS1_11comp_targetILNS1_3genE0ELNS1_11target_archE4294967295ELNS1_3gpuE0ELNS1_3repE0EEENS1_30default_config_static_selectorELNS0_4arch9wavefront6targetE0EEEvT1_,"axG",@progbits,_ZN7rocprim17ROCPRIM_400000_NS6detail17trampoline_kernelINS0_14default_configENS1_25transform_config_selectorIxLb0EEEZNS1_14transform_implILb0ES3_S5_PxN6thrust23THRUST_200600_302600_NS6detail15normal_iteratorINS9_10device_ptrIxEEEENS0_8identityIxEEEE10hipError_tT2_T3_mT4_P12ihipStream_tbEUlT_E_NS1_11comp_targetILNS1_3genE0ELNS1_11target_archE4294967295ELNS1_3gpuE0ELNS1_3repE0EEENS1_30default_config_static_selectorELNS0_4arch9wavefront6targetE0EEEvT1_,comdat
	.protected	_ZN7rocprim17ROCPRIM_400000_NS6detail17trampoline_kernelINS0_14default_configENS1_25transform_config_selectorIxLb0EEEZNS1_14transform_implILb0ES3_S5_PxN6thrust23THRUST_200600_302600_NS6detail15normal_iteratorINS9_10device_ptrIxEEEENS0_8identityIxEEEE10hipError_tT2_T3_mT4_P12ihipStream_tbEUlT_E_NS1_11comp_targetILNS1_3genE0ELNS1_11target_archE4294967295ELNS1_3gpuE0ELNS1_3repE0EEENS1_30default_config_static_selectorELNS0_4arch9wavefront6targetE0EEEvT1_ ; -- Begin function _ZN7rocprim17ROCPRIM_400000_NS6detail17trampoline_kernelINS0_14default_configENS1_25transform_config_selectorIxLb0EEEZNS1_14transform_implILb0ES3_S5_PxN6thrust23THRUST_200600_302600_NS6detail15normal_iteratorINS9_10device_ptrIxEEEENS0_8identityIxEEEE10hipError_tT2_T3_mT4_P12ihipStream_tbEUlT_E_NS1_11comp_targetILNS1_3genE0ELNS1_11target_archE4294967295ELNS1_3gpuE0ELNS1_3repE0EEENS1_30default_config_static_selectorELNS0_4arch9wavefront6targetE0EEEvT1_
	.globl	_ZN7rocprim17ROCPRIM_400000_NS6detail17trampoline_kernelINS0_14default_configENS1_25transform_config_selectorIxLb0EEEZNS1_14transform_implILb0ES3_S5_PxN6thrust23THRUST_200600_302600_NS6detail15normal_iteratorINS9_10device_ptrIxEEEENS0_8identityIxEEEE10hipError_tT2_T3_mT4_P12ihipStream_tbEUlT_E_NS1_11comp_targetILNS1_3genE0ELNS1_11target_archE4294967295ELNS1_3gpuE0ELNS1_3repE0EEENS1_30default_config_static_selectorELNS0_4arch9wavefront6targetE0EEEvT1_
	.p2align	8
	.type	_ZN7rocprim17ROCPRIM_400000_NS6detail17trampoline_kernelINS0_14default_configENS1_25transform_config_selectorIxLb0EEEZNS1_14transform_implILb0ES3_S5_PxN6thrust23THRUST_200600_302600_NS6detail15normal_iteratorINS9_10device_ptrIxEEEENS0_8identityIxEEEE10hipError_tT2_T3_mT4_P12ihipStream_tbEUlT_E_NS1_11comp_targetILNS1_3genE0ELNS1_11target_archE4294967295ELNS1_3gpuE0ELNS1_3repE0EEENS1_30default_config_static_selectorELNS0_4arch9wavefront6targetE0EEEvT1_,@function
_ZN7rocprim17ROCPRIM_400000_NS6detail17trampoline_kernelINS0_14default_configENS1_25transform_config_selectorIxLb0EEEZNS1_14transform_implILb0ES3_S5_PxN6thrust23THRUST_200600_302600_NS6detail15normal_iteratorINS9_10device_ptrIxEEEENS0_8identityIxEEEE10hipError_tT2_T3_mT4_P12ihipStream_tbEUlT_E_NS1_11comp_targetILNS1_3genE0ELNS1_11target_archE4294967295ELNS1_3gpuE0ELNS1_3repE0EEENS1_30default_config_static_selectorELNS0_4arch9wavefront6targetE0EEEvT1_: ; @_ZN7rocprim17ROCPRIM_400000_NS6detail17trampoline_kernelINS0_14default_configENS1_25transform_config_selectorIxLb0EEEZNS1_14transform_implILb0ES3_S5_PxN6thrust23THRUST_200600_302600_NS6detail15normal_iteratorINS9_10device_ptrIxEEEENS0_8identityIxEEEE10hipError_tT2_T3_mT4_P12ihipStream_tbEUlT_E_NS1_11comp_targetILNS1_3genE0ELNS1_11target_archE4294967295ELNS1_3gpuE0ELNS1_3repE0EEENS1_30default_config_static_selectorELNS0_4arch9wavefront6targetE0EEEvT1_
; %bb.0:
	.section	.rodata,"a",@progbits
	.p2align	6, 0x0
	.amdhsa_kernel _ZN7rocprim17ROCPRIM_400000_NS6detail17trampoline_kernelINS0_14default_configENS1_25transform_config_selectorIxLb0EEEZNS1_14transform_implILb0ES3_S5_PxN6thrust23THRUST_200600_302600_NS6detail15normal_iteratorINS9_10device_ptrIxEEEENS0_8identityIxEEEE10hipError_tT2_T3_mT4_P12ihipStream_tbEUlT_E_NS1_11comp_targetILNS1_3genE0ELNS1_11target_archE4294967295ELNS1_3gpuE0ELNS1_3repE0EEENS1_30default_config_static_selectorELNS0_4arch9wavefront6targetE0EEEvT1_
		.amdhsa_group_segment_fixed_size 0
		.amdhsa_private_segment_fixed_size 0
		.amdhsa_kernarg_size 40
		.amdhsa_user_sgpr_count 6
		.amdhsa_user_sgpr_private_segment_buffer 1
		.amdhsa_user_sgpr_dispatch_ptr 0
		.amdhsa_user_sgpr_queue_ptr 0
		.amdhsa_user_sgpr_kernarg_segment_ptr 1
		.amdhsa_user_sgpr_dispatch_id 0
		.amdhsa_user_sgpr_flat_scratch_init 0
		.amdhsa_user_sgpr_private_segment_size 0
		.amdhsa_wavefront_size32 1
		.amdhsa_uses_dynamic_stack 0
		.amdhsa_system_sgpr_private_segment_wavefront_offset 0
		.amdhsa_system_sgpr_workgroup_id_x 1
		.amdhsa_system_sgpr_workgroup_id_y 0
		.amdhsa_system_sgpr_workgroup_id_z 0
		.amdhsa_system_sgpr_workgroup_info 0
		.amdhsa_system_vgpr_workitem_id 0
		.amdhsa_next_free_vgpr 1
		.amdhsa_next_free_sgpr 1
		.amdhsa_reserve_vcc 0
		.amdhsa_reserve_flat_scratch 0
		.amdhsa_float_round_mode_32 0
		.amdhsa_float_round_mode_16_64 0
		.amdhsa_float_denorm_mode_32 3
		.amdhsa_float_denorm_mode_16_64 3
		.amdhsa_dx10_clamp 1
		.amdhsa_ieee_mode 1
		.amdhsa_fp16_overflow 0
		.amdhsa_workgroup_processor_mode 1
		.amdhsa_memory_ordered 1
		.amdhsa_forward_progress 1
		.amdhsa_shared_vgpr_count 0
		.amdhsa_exception_fp_ieee_invalid_op 0
		.amdhsa_exception_fp_denorm_src 0
		.amdhsa_exception_fp_ieee_div_zero 0
		.amdhsa_exception_fp_ieee_overflow 0
		.amdhsa_exception_fp_ieee_underflow 0
		.amdhsa_exception_fp_ieee_inexact 0
		.amdhsa_exception_int_div_zero 0
	.end_amdhsa_kernel
	.section	.text._ZN7rocprim17ROCPRIM_400000_NS6detail17trampoline_kernelINS0_14default_configENS1_25transform_config_selectorIxLb0EEEZNS1_14transform_implILb0ES3_S5_PxN6thrust23THRUST_200600_302600_NS6detail15normal_iteratorINS9_10device_ptrIxEEEENS0_8identityIxEEEE10hipError_tT2_T3_mT4_P12ihipStream_tbEUlT_E_NS1_11comp_targetILNS1_3genE0ELNS1_11target_archE4294967295ELNS1_3gpuE0ELNS1_3repE0EEENS1_30default_config_static_selectorELNS0_4arch9wavefront6targetE0EEEvT1_,"axG",@progbits,_ZN7rocprim17ROCPRIM_400000_NS6detail17trampoline_kernelINS0_14default_configENS1_25transform_config_selectorIxLb0EEEZNS1_14transform_implILb0ES3_S5_PxN6thrust23THRUST_200600_302600_NS6detail15normal_iteratorINS9_10device_ptrIxEEEENS0_8identityIxEEEE10hipError_tT2_T3_mT4_P12ihipStream_tbEUlT_E_NS1_11comp_targetILNS1_3genE0ELNS1_11target_archE4294967295ELNS1_3gpuE0ELNS1_3repE0EEENS1_30default_config_static_selectorELNS0_4arch9wavefront6targetE0EEEvT1_,comdat
.Lfunc_end384:
	.size	_ZN7rocprim17ROCPRIM_400000_NS6detail17trampoline_kernelINS0_14default_configENS1_25transform_config_selectorIxLb0EEEZNS1_14transform_implILb0ES3_S5_PxN6thrust23THRUST_200600_302600_NS6detail15normal_iteratorINS9_10device_ptrIxEEEENS0_8identityIxEEEE10hipError_tT2_T3_mT4_P12ihipStream_tbEUlT_E_NS1_11comp_targetILNS1_3genE0ELNS1_11target_archE4294967295ELNS1_3gpuE0ELNS1_3repE0EEENS1_30default_config_static_selectorELNS0_4arch9wavefront6targetE0EEEvT1_, .Lfunc_end384-_ZN7rocprim17ROCPRIM_400000_NS6detail17trampoline_kernelINS0_14default_configENS1_25transform_config_selectorIxLb0EEEZNS1_14transform_implILb0ES3_S5_PxN6thrust23THRUST_200600_302600_NS6detail15normal_iteratorINS9_10device_ptrIxEEEENS0_8identityIxEEEE10hipError_tT2_T3_mT4_P12ihipStream_tbEUlT_E_NS1_11comp_targetILNS1_3genE0ELNS1_11target_archE4294967295ELNS1_3gpuE0ELNS1_3repE0EEENS1_30default_config_static_selectorELNS0_4arch9wavefront6targetE0EEEvT1_
                                        ; -- End function
	.set _ZN7rocprim17ROCPRIM_400000_NS6detail17trampoline_kernelINS0_14default_configENS1_25transform_config_selectorIxLb0EEEZNS1_14transform_implILb0ES3_S5_PxN6thrust23THRUST_200600_302600_NS6detail15normal_iteratorINS9_10device_ptrIxEEEENS0_8identityIxEEEE10hipError_tT2_T3_mT4_P12ihipStream_tbEUlT_E_NS1_11comp_targetILNS1_3genE0ELNS1_11target_archE4294967295ELNS1_3gpuE0ELNS1_3repE0EEENS1_30default_config_static_selectorELNS0_4arch9wavefront6targetE0EEEvT1_.num_vgpr, 0
	.set _ZN7rocprim17ROCPRIM_400000_NS6detail17trampoline_kernelINS0_14default_configENS1_25transform_config_selectorIxLb0EEEZNS1_14transform_implILb0ES3_S5_PxN6thrust23THRUST_200600_302600_NS6detail15normal_iteratorINS9_10device_ptrIxEEEENS0_8identityIxEEEE10hipError_tT2_T3_mT4_P12ihipStream_tbEUlT_E_NS1_11comp_targetILNS1_3genE0ELNS1_11target_archE4294967295ELNS1_3gpuE0ELNS1_3repE0EEENS1_30default_config_static_selectorELNS0_4arch9wavefront6targetE0EEEvT1_.num_agpr, 0
	.set _ZN7rocprim17ROCPRIM_400000_NS6detail17trampoline_kernelINS0_14default_configENS1_25transform_config_selectorIxLb0EEEZNS1_14transform_implILb0ES3_S5_PxN6thrust23THRUST_200600_302600_NS6detail15normal_iteratorINS9_10device_ptrIxEEEENS0_8identityIxEEEE10hipError_tT2_T3_mT4_P12ihipStream_tbEUlT_E_NS1_11comp_targetILNS1_3genE0ELNS1_11target_archE4294967295ELNS1_3gpuE0ELNS1_3repE0EEENS1_30default_config_static_selectorELNS0_4arch9wavefront6targetE0EEEvT1_.numbered_sgpr, 0
	.set _ZN7rocprim17ROCPRIM_400000_NS6detail17trampoline_kernelINS0_14default_configENS1_25transform_config_selectorIxLb0EEEZNS1_14transform_implILb0ES3_S5_PxN6thrust23THRUST_200600_302600_NS6detail15normal_iteratorINS9_10device_ptrIxEEEENS0_8identityIxEEEE10hipError_tT2_T3_mT4_P12ihipStream_tbEUlT_E_NS1_11comp_targetILNS1_3genE0ELNS1_11target_archE4294967295ELNS1_3gpuE0ELNS1_3repE0EEENS1_30default_config_static_selectorELNS0_4arch9wavefront6targetE0EEEvT1_.num_named_barrier, 0
	.set _ZN7rocprim17ROCPRIM_400000_NS6detail17trampoline_kernelINS0_14default_configENS1_25transform_config_selectorIxLb0EEEZNS1_14transform_implILb0ES3_S5_PxN6thrust23THRUST_200600_302600_NS6detail15normal_iteratorINS9_10device_ptrIxEEEENS0_8identityIxEEEE10hipError_tT2_T3_mT4_P12ihipStream_tbEUlT_E_NS1_11comp_targetILNS1_3genE0ELNS1_11target_archE4294967295ELNS1_3gpuE0ELNS1_3repE0EEENS1_30default_config_static_selectorELNS0_4arch9wavefront6targetE0EEEvT1_.private_seg_size, 0
	.set _ZN7rocprim17ROCPRIM_400000_NS6detail17trampoline_kernelINS0_14default_configENS1_25transform_config_selectorIxLb0EEEZNS1_14transform_implILb0ES3_S5_PxN6thrust23THRUST_200600_302600_NS6detail15normal_iteratorINS9_10device_ptrIxEEEENS0_8identityIxEEEE10hipError_tT2_T3_mT4_P12ihipStream_tbEUlT_E_NS1_11comp_targetILNS1_3genE0ELNS1_11target_archE4294967295ELNS1_3gpuE0ELNS1_3repE0EEENS1_30default_config_static_selectorELNS0_4arch9wavefront6targetE0EEEvT1_.uses_vcc, 0
	.set _ZN7rocprim17ROCPRIM_400000_NS6detail17trampoline_kernelINS0_14default_configENS1_25transform_config_selectorIxLb0EEEZNS1_14transform_implILb0ES3_S5_PxN6thrust23THRUST_200600_302600_NS6detail15normal_iteratorINS9_10device_ptrIxEEEENS0_8identityIxEEEE10hipError_tT2_T3_mT4_P12ihipStream_tbEUlT_E_NS1_11comp_targetILNS1_3genE0ELNS1_11target_archE4294967295ELNS1_3gpuE0ELNS1_3repE0EEENS1_30default_config_static_selectorELNS0_4arch9wavefront6targetE0EEEvT1_.uses_flat_scratch, 0
	.set _ZN7rocprim17ROCPRIM_400000_NS6detail17trampoline_kernelINS0_14default_configENS1_25transform_config_selectorIxLb0EEEZNS1_14transform_implILb0ES3_S5_PxN6thrust23THRUST_200600_302600_NS6detail15normal_iteratorINS9_10device_ptrIxEEEENS0_8identityIxEEEE10hipError_tT2_T3_mT4_P12ihipStream_tbEUlT_E_NS1_11comp_targetILNS1_3genE0ELNS1_11target_archE4294967295ELNS1_3gpuE0ELNS1_3repE0EEENS1_30default_config_static_selectorELNS0_4arch9wavefront6targetE0EEEvT1_.has_dyn_sized_stack, 0
	.set _ZN7rocprim17ROCPRIM_400000_NS6detail17trampoline_kernelINS0_14default_configENS1_25transform_config_selectorIxLb0EEEZNS1_14transform_implILb0ES3_S5_PxN6thrust23THRUST_200600_302600_NS6detail15normal_iteratorINS9_10device_ptrIxEEEENS0_8identityIxEEEE10hipError_tT2_T3_mT4_P12ihipStream_tbEUlT_E_NS1_11comp_targetILNS1_3genE0ELNS1_11target_archE4294967295ELNS1_3gpuE0ELNS1_3repE0EEENS1_30default_config_static_selectorELNS0_4arch9wavefront6targetE0EEEvT1_.has_recursion, 0
	.set _ZN7rocprim17ROCPRIM_400000_NS6detail17trampoline_kernelINS0_14default_configENS1_25transform_config_selectorIxLb0EEEZNS1_14transform_implILb0ES3_S5_PxN6thrust23THRUST_200600_302600_NS6detail15normal_iteratorINS9_10device_ptrIxEEEENS0_8identityIxEEEE10hipError_tT2_T3_mT4_P12ihipStream_tbEUlT_E_NS1_11comp_targetILNS1_3genE0ELNS1_11target_archE4294967295ELNS1_3gpuE0ELNS1_3repE0EEENS1_30default_config_static_selectorELNS0_4arch9wavefront6targetE0EEEvT1_.has_indirect_call, 0
	.section	.AMDGPU.csdata,"",@progbits
; Kernel info:
; codeLenInByte = 0
; TotalNumSgprs: 0
; NumVgprs: 0
; ScratchSize: 0
; MemoryBound: 0
; FloatMode: 240
; IeeeMode: 1
; LDSByteSize: 0 bytes/workgroup (compile time only)
; SGPRBlocks: 0
; VGPRBlocks: 0
; NumSGPRsForWavesPerEU: 1
; NumVGPRsForWavesPerEU: 1
; Occupancy: 16
; WaveLimiterHint : 0
; COMPUTE_PGM_RSRC2:SCRATCH_EN: 0
; COMPUTE_PGM_RSRC2:USER_SGPR: 6
; COMPUTE_PGM_RSRC2:TRAP_HANDLER: 0
; COMPUTE_PGM_RSRC2:TGID_X_EN: 1
; COMPUTE_PGM_RSRC2:TGID_Y_EN: 0
; COMPUTE_PGM_RSRC2:TGID_Z_EN: 0
; COMPUTE_PGM_RSRC2:TIDIG_COMP_CNT: 0
	.section	.text._ZN7rocprim17ROCPRIM_400000_NS6detail17trampoline_kernelINS0_14default_configENS1_25transform_config_selectorIxLb0EEEZNS1_14transform_implILb0ES3_S5_PxN6thrust23THRUST_200600_302600_NS6detail15normal_iteratorINS9_10device_ptrIxEEEENS0_8identityIxEEEE10hipError_tT2_T3_mT4_P12ihipStream_tbEUlT_E_NS1_11comp_targetILNS1_3genE5ELNS1_11target_archE942ELNS1_3gpuE9ELNS1_3repE0EEENS1_30default_config_static_selectorELNS0_4arch9wavefront6targetE0EEEvT1_,"axG",@progbits,_ZN7rocprim17ROCPRIM_400000_NS6detail17trampoline_kernelINS0_14default_configENS1_25transform_config_selectorIxLb0EEEZNS1_14transform_implILb0ES3_S5_PxN6thrust23THRUST_200600_302600_NS6detail15normal_iteratorINS9_10device_ptrIxEEEENS0_8identityIxEEEE10hipError_tT2_T3_mT4_P12ihipStream_tbEUlT_E_NS1_11comp_targetILNS1_3genE5ELNS1_11target_archE942ELNS1_3gpuE9ELNS1_3repE0EEENS1_30default_config_static_selectorELNS0_4arch9wavefront6targetE0EEEvT1_,comdat
	.protected	_ZN7rocprim17ROCPRIM_400000_NS6detail17trampoline_kernelINS0_14default_configENS1_25transform_config_selectorIxLb0EEEZNS1_14transform_implILb0ES3_S5_PxN6thrust23THRUST_200600_302600_NS6detail15normal_iteratorINS9_10device_ptrIxEEEENS0_8identityIxEEEE10hipError_tT2_T3_mT4_P12ihipStream_tbEUlT_E_NS1_11comp_targetILNS1_3genE5ELNS1_11target_archE942ELNS1_3gpuE9ELNS1_3repE0EEENS1_30default_config_static_selectorELNS0_4arch9wavefront6targetE0EEEvT1_ ; -- Begin function _ZN7rocprim17ROCPRIM_400000_NS6detail17trampoline_kernelINS0_14default_configENS1_25transform_config_selectorIxLb0EEEZNS1_14transform_implILb0ES3_S5_PxN6thrust23THRUST_200600_302600_NS6detail15normal_iteratorINS9_10device_ptrIxEEEENS0_8identityIxEEEE10hipError_tT2_T3_mT4_P12ihipStream_tbEUlT_E_NS1_11comp_targetILNS1_3genE5ELNS1_11target_archE942ELNS1_3gpuE9ELNS1_3repE0EEENS1_30default_config_static_selectorELNS0_4arch9wavefront6targetE0EEEvT1_
	.globl	_ZN7rocprim17ROCPRIM_400000_NS6detail17trampoline_kernelINS0_14default_configENS1_25transform_config_selectorIxLb0EEEZNS1_14transform_implILb0ES3_S5_PxN6thrust23THRUST_200600_302600_NS6detail15normal_iteratorINS9_10device_ptrIxEEEENS0_8identityIxEEEE10hipError_tT2_T3_mT4_P12ihipStream_tbEUlT_E_NS1_11comp_targetILNS1_3genE5ELNS1_11target_archE942ELNS1_3gpuE9ELNS1_3repE0EEENS1_30default_config_static_selectorELNS0_4arch9wavefront6targetE0EEEvT1_
	.p2align	8
	.type	_ZN7rocprim17ROCPRIM_400000_NS6detail17trampoline_kernelINS0_14default_configENS1_25transform_config_selectorIxLb0EEEZNS1_14transform_implILb0ES3_S5_PxN6thrust23THRUST_200600_302600_NS6detail15normal_iteratorINS9_10device_ptrIxEEEENS0_8identityIxEEEE10hipError_tT2_T3_mT4_P12ihipStream_tbEUlT_E_NS1_11comp_targetILNS1_3genE5ELNS1_11target_archE942ELNS1_3gpuE9ELNS1_3repE0EEENS1_30default_config_static_selectorELNS0_4arch9wavefront6targetE0EEEvT1_,@function
_ZN7rocprim17ROCPRIM_400000_NS6detail17trampoline_kernelINS0_14default_configENS1_25transform_config_selectorIxLb0EEEZNS1_14transform_implILb0ES3_S5_PxN6thrust23THRUST_200600_302600_NS6detail15normal_iteratorINS9_10device_ptrIxEEEENS0_8identityIxEEEE10hipError_tT2_T3_mT4_P12ihipStream_tbEUlT_E_NS1_11comp_targetILNS1_3genE5ELNS1_11target_archE942ELNS1_3gpuE9ELNS1_3repE0EEENS1_30default_config_static_selectorELNS0_4arch9wavefront6targetE0EEEvT1_: ; @_ZN7rocprim17ROCPRIM_400000_NS6detail17trampoline_kernelINS0_14default_configENS1_25transform_config_selectorIxLb0EEEZNS1_14transform_implILb0ES3_S5_PxN6thrust23THRUST_200600_302600_NS6detail15normal_iteratorINS9_10device_ptrIxEEEENS0_8identityIxEEEE10hipError_tT2_T3_mT4_P12ihipStream_tbEUlT_E_NS1_11comp_targetILNS1_3genE5ELNS1_11target_archE942ELNS1_3gpuE9ELNS1_3repE0EEENS1_30default_config_static_selectorELNS0_4arch9wavefront6targetE0EEEvT1_
; %bb.0:
	.section	.rodata,"a",@progbits
	.p2align	6, 0x0
	.amdhsa_kernel _ZN7rocprim17ROCPRIM_400000_NS6detail17trampoline_kernelINS0_14default_configENS1_25transform_config_selectorIxLb0EEEZNS1_14transform_implILb0ES3_S5_PxN6thrust23THRUST_200600_302600_NS6detail15normal_iteratorINS9_10device_ptrIxEEEENS0_8identityIxEEEE10hipError_tT2_T3_mT4_P12ihipStream_tbEUlT_E_NS1_11comp_targetILNS1_3genE5ELNS1_11target_archE942ELNS1_3gpuE9ELNS1_3repE0EEENS1_30default_config_static_selectorELNS0_4arch9wavefront6targetE0EEEvT1_
		.amdhsa_group_segment_fixed_size 0
		.amdhsa_private_segment_fixed_size 0
		.amdhsa_kernarg_size 40
		.amdhsa_user_sgpr_count 6
		.amdhsa_user_sgpr_private_segment_buffer 1
		.amdhsa_user_sgpr_dispatch_ptr 0
		.amdhsa_user_sgpr_queue_ptr 0
		.amdhsa_user_sgpr_kernarg_segment_ptr 1
		.amdhsa_user_sgpr_dispatch_id 0
		.amdhsa_user_sgpr_flat_scratch_init 0
		.amdhsa_user_sgpr_private_segment_size 0
		.amdhsa_wavefront_size32 1
		.amdhsa_uses_dynamic_stack 0
		.amdhsa_system_sgpr_private_segment_wavefront_offset 0
		.amdhsa_system_sgpr_workgroup_id_x 1
		.amdhsa_system_sgpr_workgroup_id_y 0
		.amdhsa_system_sgpr_workgroup_id_z 0
		.amdhsa_system_sgpr_workgroup_info 0
		.amdhsa_system_vgpr_workitem_id 0
		.amdhsa_next_free_vgpr 1
		.amdhsa_next_free_sgpr 1
		.amdhsa_reserve_vcc 0
		.amdhsa_reserve_flat_scratch 0
		.amdhsa_float_round_mode_32 0
		.amdhsa_float_round_mode_16_64 0
		.amdhsa_float_denorm_mode_32 3
		.amdhsa_float_denorm_mode_16_64 3
		.amdhsa_dx10_clamp 1
		.amdhsa_ieee_mode 1
		.amdhsa_fp16_overflow 0
		.amdhsa_workgroup_processor_mode 1
		.amdhsa_memory_ordered 1
		.amdhsa_forward_progress 1
		.amdhsa_shared_vgpr_count 0
		.amdhsa_exception_fp_ieee_invalid_op 0
		.amdhsa_exception_fp_denorm_src 0
		.amdhsa_exception_fp_ieee_div_zero 0
		.amdhsa_exception_fp_ieee_overflow 0
		.amdhsa_exception_fp_ieee_underflow 0
		.amdhsa_exception_fp_ieee_inexact 0
		.amdhsa_exception_int_div_zero 0
	.end_amdhsa_kernel
	.section	.text._ZN7rocprim17ROCPRIM_400000_NS6detail17trampoline_kernelINS0_14default_configENS1_25transform_config_selectorIxLb0EEEZNS1_14transform_implILb0ES3_S5_PxN6thrust23THRUST_200600_302600_NS6detail15normal_iteratorINS9_10device_ptrIxEEEENS0_8identityIxEEEE10hipError_tT2_T3_mT4_P12ihipStream_tbEUlT_E_NS1_11comp_targetILNS1_3genE5ELNS1_11target_archE942ELNS1_3gpuE9ELNS1_3repE0EEENS1_30default_config_static_selectorELNS0_4arch9wavefront6targetE0EEEvT1_,"axG",@progbits,_ZN7rocprim17ROCPRIM_400000_NS6detail17trampoline_kernelINS0_14default_configENS1_25transform_config_selectorIxLb0EEEZNS1_14transform_implILb0ES3_S5_PxN6thrust23THRUST_200600_302600_NS6detail15normal_iteratorINS9_10device_ptrIxEEEENS0_8identityIxEEEE10hipError_tT2_T3_mT4_P12ihipStream_tbEUlT_E_NS1_11comp_targetILNS1_3genE5ELNS1_11target_archE942ELNS1_3gpuE9ELNS1_3repE0EEENS1_30default_config_static_selectorELNS0_4arch9wavefront6targetE0EEEvT1_,comdat
.Lfunc_end385:
	.size	_ZN7rocprim17ROCPRIM_400000_NS6detail17trampoline_kernelINS0_14default_configENS1_25transform_config_selectorIxLb0EEEZNS1_14transform_implILb0ES3_S5_PxN6thrust23THRUST_200600_302600_NS6detail15normal_iteratorINS9_10device_ptrIxEEEENS0_8identityIxEEEE10hipError_tT2_T3_mT4_P12ihipStream_tbEUlT_E_NS1_11comp_targetILNS1_3genE5ELNS1_11target_archE942ELNS1_3gpuE9ELNS1_3repE0EEENS1_30default_config_static_selectorELNS0_4arch9wavefront6targetE0EEEvT1_, .Lfunc_end385-_ZN7rocprim17ROCPRIM_400000_NS6detail17trampoline_kernelINS0_14default_configENS1_25transform_config_selectorIxLb0EEEZNS1_14transform_implILb0ES3_S5_PxN6thrust23THRUST_200600_302600_NS6detail15normal_iteratorINS9_10device_ptrIxEEEENS0_8identityIxEEEE10hipError_tT2_T3_mT4_P12ihipStream_tbEUlT_E_NS1_11comp_targetILNS1_3genE5ELNS1_11target_archE942ELNS1_3gpuE9ELNS1_3repE0EEENS1_30default_config_static_selectorELNS0_4arch9wavefront6targetE0EEEvT1_
                                        ; -- End function
	.set _ZN7rocprim17ROCPRIM_400000_NS6detail17trampoline_kernelINS0_14default_configENS1_25transform_config_selectorIxLb0EEEZNS1_14transform_implILb0ES3_S5_PxN6thrust23THRUST_200600_302600_NS6detail15normal_iteratorINS9_10device_ptrIxEEEENS0_8identityIxEEEE10hipError_tT2_T3_mT4_P12ihipStream_tbEUlT_E_NS1_11comp_targetILNS1_3genE5ELNS1_11target_archE942ELNS1_3gpuE9ELNS1_3repE0EEENS1_30default_config_static_selectorELNS0_4arch9wavefront6targetE0EEEvT1_.num_vgpr, 0
	.set _ZN7rocprim17ROCPRIM_400000_NS6detail17trampoline_kernelINS0_14default_configENS1_25transform_config_selectorIxLb0EEEZNS1_14transform_implILb0ES3_S5_PxN6thrust23THRUST_200600_302600_NS6detail15normal_iteratorINS9_10device_ptrIxEEEENS0_8identityIxEEEE10hipError_tT2_T3_mT4_P12ihipStream_tbEUlT_E_NS1_11comp_targetILNS1_3genE5ELNS1_11target_archE942ELNS1_3gpuE9ELNS1_3repE0EEENS1_30default_config_static_selectorELNS0_4arch9wavefront6targetE0EEEvT1_.num_agpr, 0
	.set _ZN7rocprim17ROCPRIM_400000_NS6detail17trampoline_kernelINS0_14default_configENS1_25transform_config_selectorIxLb0EEEZNS1_14transform_implILb0ES3_S5_PxN6thrust23THRUST_200600_302600_NS6detail15normal_iteratorINS9_10device_ptrIxEEEENS0_8identityIxEEEE10hipError_tT2_T3_mT4_P12ihipStream_tbEUlT_E_NS1_11comp_targetILNS1_3genE5ELNS1_11target_archE942ELNS1_3gpuE9ELNS1_3repE0EEENS1_30default_config_static_selectorELNS0_4arch9wavefront6targetE0EEEvT1_.numbered_sgpr, 0
	.set _ZN7rocprim17ROCPRIM_400000_NS6detail17trampoline_kernelINS0_14default_configENS1_25transform_config_selectorIxLb0EEEZNS1_14transform_implILb0ES3_S5_PxN6thrust23THRUST_200600_302600_NS6detail15normal_iteratorINS9_10device_ptrIxEEEENS0_8identityIxEEEE10hipError_tT2_T3_mT4_P12ihipStream_tbEUlT_E_NS1_11comp_targetILNS1_3genE5ELNS1_11target_archE942ELNS1_3gpuE9ELNS1_3repE0EEENS1_30default_config_static_selectorELNS0_4arch9wavefront6targetE0EEEvT1_.num_named_barrier, 0
	.set _ZN7rocprim17ROCPRIM_400000_NS6detail17trampoline_kernelINS0_14default_configENS1_25transform_config_selectorIxLb0EEEZNS1_14transform_implILb0ES3_S5_PxN6thrust23THRUST_200600_302600_NS6detail15normal_iteratorINS9_10device_ptrIxEEEENS0_8identityIxEEEE10hipError_tT2_T3_mT4_P12ihipStream_tbEUlT_E_NS1_11comp_targetILNS1_3genE5ELNS1_11target_archE942ELNS1_3gpuE9ELNS1_3repE0EEENS1_30default_config_static_selectorELNS0_4arch9wavefront6targetE0EEEvT1_.private_seg_size, 0
	.set _ZN7rocprim17ROCPRIM_400000_NS6detail17trampoline_kernelINS0_14default_configENS1_25transform_config_selectorIxLb0EEEZNS1_14transform_implILb0ES3_S5_PxN6thrust23THRUST_200600_302600_NS6detail15normal_iteratorINS9_10device_ptrIxEEEENS0_8identityIxEEEE10hipError_tT2_T3_mT4_P12ihipStream_tbEUlT_E_NS1_11comp_targetILNS1_3genE5ELNS1_11target_archE942ELNS1_3gpuE9ELNS1_3repE0EEENS1_30default_config_static_selectorELNS0_4arch9wavefront6targetE0EEEvT1_.uses_vcc, 0
	.set _ZN7rocprim17ROCPRIM_400000_NS6detail17trampoline_kernelINS0_14default_configENS1_25transform_config_selectorIxLb0EEEZNS1_14transform_implILb0ES3_S5_PxN6thrust23THRUST_200600_302600_NS6detail15normal_iteratorINS9_10device_ptrIxEEEENS0_8identityIxEEEE10hipError_tT2_T3_mT4_P12ihipStream_tbEUlT_E_NS1_11comp_targetILNS1_3genE5ELNS1_11target_archE942ELNS1_3gpuE9ELNS1_3repE0EEENS1_30default_config_static_selectorELNS0_4arch9wavefront6targetE0EEEvT1_.uses_flat_scratch, 0
	.set _ZN7rocprim17ROCPRIM_400000_NS6detail17trampoline_kernelINS0_14default_configENS1_25transform_config_selectorIxLb0EEEZNS1_14transform_implILb0ES3_S5_PxN6thrust23THRUST_200600_302600_NS6detail15normal_iteratorINS9_10device_ptrIxEEEENS0_8identityIxEEEE10hipError_tT2_T3_mT4_P12ihipStream_tbEUlT_E_NS1_11comp_targetILNS1_3genE5ELNS1_11target_archE942ELNS1_3gpuE9ELNS1_3repE0EEENS1_30default_config_static_selectorELNS0_4arch9wavefront6targetE0EEEvT1_.has_dyn_sized_stack, 0
	.set _ZN7rocprim17ROCPRIM_400000_NS6detail17trampoline_kernelINS0_14default_configENS1_25transform_config_selectorIxLb0EEEZNS1_14transform_implILb0ES3_S5_PxN6thrust23THRUST_200600_302600_NS6detail15normal_iteratorINS9_10device_ptrIxEEEENS0_8identityIxEEEE10hipError_tT2_T3_mT4_P12ihipStream_tbEUlT_E_NS1_11comp_targetILNS1_3genE5ELNS1_11target_archE942ELNS1_3gpuE9ELNS1_3repE0EEENS1_30default_config_static_selectorELNS0_4arch9wavefront6targetE0EEEvT1_.has_recursion, 0
	.set _ZN7rocprim17ROCPRIM_400000_NS6detail17trampoline_kernelINS0_14default_configENS1_25transform_config_selectorIxLb0EEEZNS1_14transform_implILb0ES3_S5_PxN6thrust23THRUST_200600_302600_NS6detail15normal_iteratorINS9_10device_ptrIxEEEENS0_8identityIxEEEE10hipError_tT2_T3_mT4_P12ihipStream_tbEUlT_E_NS1_11comp_targetILNS1_3genE5ELNS1_11target_archE942ELNS1_3gpuE9ELNS1_3repE0EEENS1_30default_config_static_selectorELNS0_4arch9wavefront6targetE0EEEvT1_.has_indirect_call, 0
	.section	.AMDGPU.csdata,"",@progbits
; Kernel info:
; codeLenInByte = 0
; TotalNumSgprs: 0
; NumVgprs: 0
; ScratchSize: 0
; MemoryBound: 0
; FloatMode: 240
; IeeeMode: 1
; LDSByteSize: 0 bytes/workgroup (compile time only)
; SGPRBlocks: 0
; VGPRBlocks: 0
; NumSGPRsForWavesPerEU: 1
; NumVGPRsForWavesPerEU: 1
; Occupancy: 16
; WaveLimiterHint : 0
; COMPUTE_PGM_RSRC2:SCRATCH_EN: 0
; COMPUTE_PGM_RSRC2:USER_SGPR: 6
; COMPUTE_PGM_RSRC2:TRAP_HANDLER: 0
; COMPUTE_PGM_RSRC2:TGID_X_EN: 1
; COMPUTE_PGM_RSRC2:TGID_Y_EN: 0
; COMPUTE_PGM_RSRC2:TGID_Z_EN: 0
; COMPUTE_PGM_RSRC2:TIDIG_COMP_CNT: 0
	.section	.text._ZN7rocprim17ROCPRIM_400000_NS6detail17trampoline_kernelINS0_14default_configENS1_25transform_config_selectorIxLb0EEEZNS1_14transform_implILb0ES3_S5_PxN6thrust23THRUST_200600_302600_NS6detail15normal_iteratorINS9_10device_ptrIxEEEENS0_8identityIxEEEE10hipError_tT2_T3_mT4_P12ihipStream_tbEUlT_E_NS1_11comp_targetILNS1_3genE4ELNS1_11target_archE910ELNS1_3gpuE8ELNS1_3repE0EEENS1_30default_config_static_selectorELNS0_4arch9wavefront6targetE0EEEvT1_,"axG",@progbits,_ZN7rocprim17ROCPRIM_400000_NS6detail17trampoline_kernelINS0_14default_configENS1_25transform_config_selectorIxLb0EEEZNS1_14transform_implILb0ES3_S5_PxN6thrust23THRUST_200600_302600_NS6detail15normal_iteratorINS9_10device_ptrIxEEEENS0_8identityIxEEEE10hipError_tT2_T3_mT4_P12ihipStream_tbEUlT_E_NS1_11comp_targetILNS1_3genE4ELNS1_11target_archE910ELNS1_3gpuE8ELNS1_3repE0EEENS1_30default_config_static_selectorELNS0_4arch9wavefront6targetE0EEEvT1_,comdat
	.protected	_ZN7rocprim17ROCPRIM_400000_NS6detail17trampoline_kernelINS0_14default_configENS1_25transform_config_selectorIxLb0EEEZNS1_14transform_implILb0ES3_S5_PxN6thrust23THRUST_200600_302600_NS6detail15normal_iteratorINS9_10device_ptrIxEEEENS0_8identityIxEEEE10hipError_tT2_T3_mT4_P12ihipStream_tbEUlT_E_NS1_11comp_targetILNS1_3genE4ELNS1_11target_archE910ELNS1_3gpuE8ELNS1_3repE0EEENS1_30default_config_static_selectorELNS0_4arch9wavefront6targetE0EEEvT1_ ; -- Begin function _ZN7rocprim17ROCPRIM_400000_NS6detail17trampoline_kernelINS0_14default_configENS1_25transform_config_selectorIxLb0EEEZNS1_14transform_implILb0ES3_S5_PxN6thrust23THRUST_200600_302600_NS6detail15normal_iteratorINS9_10device_ptrIxEEEENS0_8identityIxEEEE10hipError_tT2_T3_mT4_P12ihipStream_tbEUlT_E_NS1_11comp_targetILNS1_3genE4ELNS1_11target_archE910ELNS1_3gpuE8ELNS1_3repE0EEENS1_30default_config_static_selectorELNS0_4arch9wavefront6targetE0EEEvT1_
	.globl	_ZN7rocprim17ROCPRIM_400000_NS6detail17trampoline_kernelINS0_14default_configENS1_25transform_config_selectorIxLb0EEEZNS1_14transform_implILb0ES3_S5_PxN6thrust23THRUST_200600_302600_NS6detail15normal_iteratorINS9_10device_ptrIxEEEENS0_8identityIxEEEE10hipError_tT2_T3_mT4_P12ihipStream_tbEUlT_E_NS1_11comp_targetILNS1_3genE4ELNS1_11target_archE910ELNS1_3gpuE8ELNS1_3repE0EEENS1_30default_config_static_selectorELNS0_4arch9wavefront6targetE0EEEvT1_
	.p2align	8
	.type	_ZN7rocprim17ROCPRIM_400000_NS6detail17trampoline_kernelINS0_14default_configENS1_25transform_config_selectorIxLb0EEEZNS1_14transform_implILb0ES3_S5_PxN6thrust23THRUST_200600_302600_NS6detail15normal_iteratorINS9_10device_ptrIxEEEENS0_8identityIxEEEE10hipError_tT2_T3_mT4_P12ihipStream_tbEUlT_E_NS1_11comp_targetILNS1_3genE4ELNS1_11target_archE910ELNS1_3gpuE8ELNS1_3repE0EEENS1_30default_config_static_selectorELNS0_4arch9wavefront6targetE0EEEvT1_,@function
_ZN7rocprim17ROCPRIM_400000_NS6detail17trampoline_kernelINS0_14default_configENS1_25transform_config_selectorIxLb0EEEZNS1_14transform_implILb0ES3_S5_PxN6thrust23THRUST_200600_302600_NS6detail15normal_iteratorINS9_10device_ptrIxEEEENS0_8identityIxEEEE10hipError_tT2_T3_mT4_P12ihipStream_tbEUlT_E_NS1_11comp_targetILNS1_3genE4ELNS1_11target_archE910ELNS1_3gpuE8ELNS1_3repE0EEENS1_30default_config_static_selectorELNS0_4arch9wavefront6targetE0EEEvT1_: ; @_ZN7rocprim17ROCPRIM_400000_NS6detail17trampoline_kernelINS0_14default_configENS1_25transform_config_selectorIxLb0EEEZNS1_14transform_implILb0ES3_S5_PxN6thrust23THRUST_200600_302600_NS6detail15normal_iteratorINS9_10device_ptrIxEEEENS0_8identityIxEEEE10hipError_tT2_T3_mT4_P12ihipStream_tbEUlT_E_NS1_11comp_targetILNS1_3genE4ELNS1_11target_archE910ELNS1_3gpuE8ELNS1_3repE0EEENS1_30default_config_static_selectorELNS0_4arch9wavefront6targetE0EEEvT1_
; %bb.0:
	.section	.rodata,"a",@progbits
	.p2align	6, 0x0
	.amdhsa_kernel _ZN7rocprim17ROCPRIM_400000_NS6detail17trampoline_kernelINS0_14default_configENS1_25transform_config_selectorIxLb0EEEZNS1_14transform_implILb0ES3_S5_PxN6thrust23THRUST_200600_302600_NS6detail15normal_iteratorINS9_10device_ptrIxEEEENS0_8identityIxEEEE10hipError_tT2_T3_mT4_P12ihipStream_tbEUlT_E_NS1_11comp_targetILNS1_3genE4ELNS1_11target_archE910ELNS1_3gpuE8ELNS1_3repE0EEENS1_30default_config_static_selectorELNS0_4arch9wavefront6targetE0EEEvT1_
		.amdhsa_group_segment_fixed_size 0
		.amdhsa_private_segment_fixed_size 0
		.amdhsa_kernarg_size 40
		.amdhsa_user_sgpr_count 6
		.amdhsa_user_sgpr_private_segment_buffer 1
		.amdhsa_user_sgpr_dispatch_ptr 0
		.amdhsa_user_sgpr_queue_ptr 0
		.amdhsa_user_sgpr_kernarg_segment_ptr 1
		.amdhsa_user_sgpr_dispatch_id 0
		.amdhsa_user_sgpr_flat_scratch_init 0
		.amdhsa_user_sgpr_private_segment_size 0
		.amdhsa_wavefront_size32 1
		.amdhsa_uses_dynamic_stack 0
		.amdhsa_system_sgpr_private_segment_wavefront_offset 0
		.amdhsa_system_sgpr_workgroup_id_x 1
		.amdhsa_system_sgpr_workgroup_id_y 0
		.amdhsa_system_sgpr_workgroup_id_z 0
		.amdhsa_system_sgpr_workgroup_info 0
		.amdhsa_system_vgpr_workitem_id 0
		.amdhsa_next_free_vgpr 1
		.amdhsa_next_free_sgpr 1
		.amdhsa_reserve_vcc 0
		.amdhsa_reserve_flat_scratch 0
		.amdhsa_float_round_mode_32 0
		.amdhsa_float_round_mode_16_64 0
		.amdhsa_float_denorm_mode_32 3
		.amdhsa_float_denorm_mode_16_64 3
		.amdhsa_dx10_clamp 1
		.amdhsa_ieee_mode 1
		.amdhsa_fp16_overflow 0
		.amdhsa_workgroup_processor_mode 1
		.amdhsa_memory_ordered 1
		.amdhsa_forward_progress 1
		.amdhsa_shared_vgpr_count 0
		.amdhsa_exception_fp_ieee_invalid_op 0
		.amdhsa_exception_fp_denorm_src 0
		.amdhsa_exception_fp_ieee_div_zero 0
		.amdhsa_exception_fp_ieee_overflow 0
		.amdhsa_exception_fp_ieee_underflow 0
		.amdhsa_exception_fp_ieee_inexact 0
		.amdhsa_exception_int_div_zero 0
	.end_amdhsa_kernel
	.section	.text._ZN7rocprim17ROCPRIM_400000_NS6detail17trampoline_kernelINS0_14default_configENS1_25transform_config_selectorIxLb0EEEZNS1_14transform_implILb0ES3_S5_PxN6thrust23THRUST_200600_302600_NS6detail15normal_iteratorINS9_10device_ptrIxEEEENS0_8identityIxEEEE10hipError_tT2_T3_mT4_P12ihipStream_tbEUlT_E_NS1_11comp_targetILNS1_3genE4ELNS1_11target_archE910ELNS1_3gpuE8ELNS1_3repE0EEENS1_30default_config_static_selectorELNS0_4arch9wavefront6targetE0EEEvT1_,"axG",@progbits,_ZN7rocprim17ROCPRIM_400000_NS6detail17trampoline_kernelINS0_14default_configENS1_25transform_config_selectorIxLb0EEEZNS1_14transform_implILb0ES3_S5_PxN6thrust23THRUST_200600_302600_NS6detail15normal_iteratorINS9_10device_ptrIxEEEENS0_8identityIxEEEE10hipError_tT2_T3_mT4_P12ihipStream_tbEUlT_E_NS1_11comp_targetILNS1_3genE4ELNS1_11target_archE910ELNS1_3gpuE8ELNS1_3repE0EEENS1_30default_config_static_selectorELNS0_4arch9wavefront6targetE0EEEvT1_,comdat
.Lfunc_end386:
	.size	_ZN7rocprim17ROCPRIM_400000_NS6detail17trampoline_kernelINS0_14default_configENS1_25transform_config_selectorIxLb0EEEZNS1_14transform_implILb0ES3_S5_PxN6thrust23THRUST_200600_302600_NS6detail15normal_iteratorINS9_10device_ptrIxEEEENS0_8identityIxEEEE10hipError_tT2_T3_mT4_P12ihipStream_tbEUlT_E_NS1_11comp_targetILNS1_3genE4ELNS1_11target_archE910ELNS1_3gpuE8ELNS1_3repE0EEENS1_30default_config_static_selectorELNS0_4arch9wavefront6targetE0EEEvT1_, .Lfunc_end386-_ZN7rocprim17ROCPRIM_400000_NS6detail17trampoline_kernelINS0_14default_configENS1_25transform_config_selectorIxLb0EEEZNS1_14transform_implILb0ES3_S5_PxN6thrust23THRUST_200600_302600_NS6detail15normal_iteratorINS9_10device_ptrIxEEEENS0_8identityIxEEEE10hipError_tT2_T3_mT4_P12ihipStream_tbEUlT_E_NS1_11comp_targetILNS1_3genE4ELNS1_11target_archE910ELNS1_3gpuE8ELNS1_3repE0EEENS1_30default_config_static_selectorELNS0_4arch9wavefront6targetE0EEEvT1_
                                        ; -- End function
	.set _ZN7rocprim17ROCPRIM_400000_NS6detail17trampoline_kernelINS0_14default_configENS1_25transform_config_selectorIxLb0EEEZNS1_14transform_implILb0ES3_S5_PxN6thrust23THRUST_200600_302600_NS6detail15normal_iteratorINS9_10device_ptrIxEEEENS0_8identityIxEEEE10hipError_tT2_T3_mT4_P12ihipStream_tbEUlT_E_NS1_11comp_targetILNS1_3genE4ELNS1_11target_archE910ELNS1_3gpuE8ELNS1_3repE0EEENS1_30default_config_static_selectorELNS0_4arch9wavefront6targetE0EEEvT1_.num_vgpr, 0
	.set _ZN7rocprim17ROCPRIM_400000_NS6detail17trampoline_kernelINS0_14default_configENS1_25transform_config_selectorIxLb0EEEZNS1_14transform_implILb0ES3_S5_PxN6thrust23THRUST_200600_302600_NS6detail15normal_iteratorINS9_10device_ptrIxEEEENS0_8identityIxEEEE10hipError_tT2_T3_mT4_P12ihipStream_tbEUlT_E_NS1_11comp_targetILNS1_3genE4ELNS1_11target_archE910ELNS1_3gpuE8ELNS1_3repE0EEENS1_30default_config_static_selectorELNS0_4arch9wavefront6targetE0EEEvT1_.num_agpr, 0
	.set _ZN7rocprim17ROCPRIM_400000_NS6detail17trampoline_kernelINS0_14default_configENS1_25transform_config_selectorIxLb0EEEZNS1_14transform_implILb0ES3_S5_PxN6thrust23THRUST_200600_302600_NS6detail15normal_iteratorINS9_10device_ptrIxEEEENS0_8identityIxEEEE10hipError_tT2_T3_mT4_P12ihipStream_tbEUlT_E_NS1_11comp_targetILNS1_3genE4ELNS1_11target_archE910ELNS1_3gpuE8ELNS1_3repE0EEENS1_30default_config_static_selectorELNS0_4arch9wavefront6targetE0EEEvT1_.numbered_sgpr, 0
	.set _ZN7rocprim17ROCPRIM_400000_NS6detail17trampoline_kernelINS0_14default_configENS1_25transform_config_selectorIxLb0EEEZNS1_14transform_implILb0ES3_S5_PxN6thrust23THRUST_200600_302600_NS6detail15normal_iteratorINS9_10device_ptrIxEEEENS0_8identityIxEEEE10hipError_tT2_T3_mT4_P12ihipStream_tbEUlT_E_NS1_11comp_targetILNS1_3genE4ELNS1_11target_archE910ELNS1_3gpuE8ELNS1_3repE0EEENS1_30default_config_static_selectorELNS0_4arch9wavefront6targetE0EEEvT1_.num_named_barrier, 0
	.set _ZN7rocprim17ROCPRIM_400000_NS6detail17trampoline_kernelINS0_14default_configENS1_25transform_config_selectorIxLb0EEEZNS1_14transform_implILb0ES3_S5_PxN6thrust23THRUST_200600_302600_NS6detail15normal_iteratorINS9_10device_ptrIxEEEENS0_8identityIxEEEE10hipError_tT2_T3_mT4_P12ihipStream_tbEUlT_E_NS1_11comp_targetILNS1_3genE4ELNS1_11target_archE910ELNS1_3gpuE8ELNS1_3repE0EEENS1_30default_config_static_selectorELNS0_4arch9wavefront6targetE0EEEvT1_.private_seg_size, 0
	.set _ZN7rocprim17ROCPRIM_400000_NS6detail17trampoline_kernelINS0_14default_configENS1_25transform_config_selectorIxLb0EEEZNS1_14transform_implILb0ES3_S5_PxN6thrust23THRUST_200600_302600_NS6detail15normal_iteratorINS9_10device_ptrIxEEEENS0_8identityIxEEEE10hipError_tT2_T3_mT4_P12ihipStream_tbEUlT_E_NS1_11comp_targetILNS1_3genE4ELNS1_11target_archE910ELNS1_3gpuE8ELNS1_3repE0EEENS1_30default_config_static_selectorELNS0_4arch9wavefront6targetE0EEEvT1_.uses_vcc, 0
	.set _ZN7rocprim17ROCPRIM_400000_NS6detail17trampoline_kernelINS0_14default_configENS1_25transform_config_selectorIxLb0EEEZNS1_14transform_implILb0ES3_S5_PxN6thrust23THRUST_200600_302600_NS6detail15normal_iteratorINS9_10device_ptrIxEEEENS0_8identityIxEEEE10hipError_tT2_T3_mT4_P12ihipStream_tbEUlT_E_NS1_11comp_targetILNS1_3genE4ELNS1_11target_archE910ELNS1_3gpuE8ELNS1_3repE0EEENS1_30default_config_static_selectorELNS0_4arch9wavefront6targetE0EEEvT1_.uses_flat_scratch, 0
	.set _ZN7rocprim17ROCPRIM_400000_NS6detail17trampoline_kernelINS0_14default_configENS1_25transform_config_selectorIxLb0EEEZNS1_14transform_implILb0ES3_S5_PxN6thrust23THRUST_200600_302600_NS6detail15normal_iteratorINS9_10device_ptrIxEEEENS0_8identityIxEEEE10hipError_tT2_T3_mT4_P12ihipStream_tbEUlT_E_NS1_11comp_targetILNS1_3genE4ELNS1_11target_archE910ELNS1_3gpuE8ELNS1_3repE0EEENS1_30default_config_static_selectorELNS0_4arch9wavefront6targetE0EEEvT1_.has_dyn_sized_stack, 0
	.set _ZN7rocprim17ROCPRIM_400000_NS6detail17trampoline_kernelINS0_14default_configENS1_25transform_config_selectorIxLb0EEEZNS1_14transform_implILb0ES3_S5_PxN6thrust23THRUST_200600_302600_NS6detail15normal_iteratorINS9_10device_ptrIxEEEENS0_8identityIxEEEE10hipError_tT2_T3_mT4_P12ihipStream_tbEUlT_E_NS1_11comp_targetILNS1_3genE4ELNS1_11target_archE910ELNS1_3gpuE8ELNS1_3repE0EEENS1_30default_config_static_selectorELNS0_4arch9wavefront6targetE0EEEvT1_.has_recursion, 0
	.set _ZN7rocprim17ROCPRIM_400000_NS6detail17trampoline_kernelINS0_14default_configENS1_25transform_config_selectorIxLb0EEEZNS1_14transform_implILb0ES3_S5_PxN6thrust23THRUST_200600_302600_NS6detail15normal_iteratorINS9_10device_ptrIxEEEENS0_8identityIxEEEE10hipError_tT2_T3_mT4_P12ihipStream_tbEUlT_E_NS1_11comp_targetILNS1_3genE4ELNS1_11target_archE910ELNS1_3gpuE8ELNS1_3repE0EEENS1_30default_config_static_selectorELNS0_4arch9wavefront6targetE0EEEvT1_.has_indirect_call, 0
	.section	.AMDGPU.csdata,"",@progbits
; Kernel info:
; codeLenInByte = 0
; TotalNumSgprs: 0
; NumVgprs: 0
; ScratchSize: 0
; MemoryBound: 0
; FloatMode: 240
; IeeeMode: 1
; LDSByteSize: 0 bytes/workgroup (compile time only)
; SGPRBlocks: 0
; VGPRBlocks: 0
; NumSGPRsForWavesPerEU: 1
; NumVGPRsForWavesPerEU: 1
; Occupancy: 16
; WaveLimiterHint : 0
; COMPUTE_PGM_RSRC2:SCRATCH_EN: 0
; COMPUTE_PGM_RSRC2:USER_SGPR: 6
; COMPUTE_PGM_RSRC2:TRAP_HANDLER: 0
; COMPUTE_PGM_RSRC2:TGID_X_EN: 1
; COMPUTE_PGM_RSRC2:TGID_Y_EN: 0
; COMPUTE_PGM_RSRC2:TGID_Z_EN: 0
; COMPUTE_PGM_RSRC2:TIDIG_COMP_CNT: 0
	.section	.text._ZN7rocprim17ROCPRIM_400000_NS6detail17trampoline_kernelINS0_14default_configENS1_25transform_config_selectorIxLb0EEEZNS1_14transform_implILb0ES3_S5_PxN6thrust23THRUST_200600_302600_NS6detail15normal_iteratorINS9_10device_ptrIxEEEENS0_8identityIxEEEE10hipError_tT2_T3_mT4_P12ihipStream_tbEUlT_E_NS1_11comp_targetILNS1_3genE3ELNS1_11target_archE908ELNS1_3gpuE7ELNS1_3repE0EEENS1_30default_config_static_selectorELNS0_4arch9wavefront6targetE0EEEvT1_,"axG",@progbits,_ZN7rocprim17ROCPRIM_400000_NS6detail17trampoline_kernelINS0_14default_configENS1_25transform_config_selectorIxLb0EEEZNS1_14transform_implILb0ES3_S5_PxN6thrust23THRUST_200600_302600_NS6detail15normal_iteratorINS9_10device_ptrIxEEEENS0_8identityIxEEEE10hipError_tT2_T3_mT4_P12ihipStream_tbEUlT_E_NS1_11comp_targetILNS1_3genE3ELNS1_11target_archE908ELNS1_3gpuE7ELNS1_3repE0EEENS1_30default_config_static_selectorELNS0_4arch9wavefront6targetE0EEEvT1_,comdat
	.protected	_ZN7rocprim17ROCPRIM_400000_NS6detail17trampoline_kernelINS0_14default_configENS1_25transform_config_selectorIxLb0EEEZNS1_14transform_implILb0ES3_S5_PxN6thrust23THRUST_200600_302600_NS6detail15normal_iteratorINS9_10device_ptrIxEEEENS0_8identityIxEEEE10hipError_tT2_T3_mT4_P12ihipStream_tbEUlT_E_NS1_11comp_targetILNS1_3genE3ELNS1_11target_archE908ELNS1_3gpuE7ELNS1_3repE0EEENS1_30default_config_static_selectorELNS0_4arch9wavefront6targetE0EEEvT1_ ; -- Begin function _ZN7rocprim17ROCPRIM_400000_NS6detail17trampoline_kernelINS0_14default_configENS1_25transform_config_selectorIxLb0EEEZNS1_14transform_implILb0ES3_S5_PxN6thrust23THRUST_200600_302600_NS6detail15normal_iteratorINS9_10device_ptrIxEEEENS0_8identityIxEEEE10hipError_tT2_T3_mT4_P12ihipStream_tbEUlT_E_NS1_11comp_targetILNS1_3genE3ELNS1_11target_archE908ELNS1_3gpuE7ELNS1_3repE0EEENS1_30default_config_static_selectorELNS0_4arch9wavefront6targetE0EEEvT1_
	.globl	_ZN7rocprim17ROCPRIM_400000_NS6detail17trampoline_kernelINS0_14default_configENS1_25transform_config_selectorIxLb0EEEZNS1_14transform_implILb0ES3_S5_PxN6thrust23THRUST_200600_302600_NS6detail15normal_iteratorINS9_10device_ptrIxEEEENS0_8identityIxEEEE10hipError_tT2_T3_mT4_P12ihipStream_tbEUlT_E_NS1_11comp_targetILNS1_3genE3ELNS1_11target_archE908ELNS1_3gpuE7ELNS1_3repE0EEENS1_30default_config_static_selectorELNS0_4arch9wavefront6targetE0EEEvT1_
	.p2align	8
	.type	_ZN7rocprim17ROCPRIM_400000_NS6detail17trampoline_kernelINS0_14default_configENS1_25transform_config_selectorIxLb0EEEZNS1_14transform_implILb0ES3_S5_PxN6thrust23THRUST_200600_302600_NS6detail15normal_iteratorINS9_10device_ptrIxEEEENS0_8identityIxEEEE10hipError_tT2_T3_mT4_P12ihipStream_tbEUlT_E_NS1_11comp_targetILNS1_3genE3ELNS1_11target_archE908ELNS1_3gpuE7ELNS1_3repE0EEENS1_30default_config_static_selectorELNS0_4arch9wavefront6targetE0EEEvT1_,@function
_ZN7rocprim17ROCPRIM_400000_NS6detail17trampoline_kernelINS0_14default_configENS1_25transform_config_selectorIxLb0EEEZNS1_14transform_implILb0ES3_S5_PxN6thrust23THRUST_200600_302600_NS6detail15normal_iteratorINS9_10device_ptrIxEEEENS0_8identityIxEEEE10hipError_tT2_T3_mT4_P12ihipStream_tbEUlT_E_NS1_11comp_targetILNS1_3genE3ELNS1_11target_archE908ELNS1_3gpuE7ELNS1_3repE0EEENS1_30default_config_static_selectorELNS0_4arch9wavefront6targetE0EEEvT1_: ; @_ZN7rocprim17ROCPRIM_400000_NS6detail17trampoline_kernelINS0_14default_configENS1_25transform_config_selectorIxLb0EEEZNS1_14transform_implILb0ES3_S5_PxN6thrust23THRUST_200600_302600_NS6detail15normal_iteratorINS9_10device_ptrIxEEEENS0_8identityIxEEEE10hipError_tT2_T3_mT4_P12ihipStream_tbEUlT_E_NS1_11comp_targetILNS1_3genE3ELNS1_11target_archE908ELNS1_3gpuE7ELNS1_3repE0EEENS1_30default_config_static_selectorELNS0_4arch9wavefront6targetE0EEEvT1_
; %bb.0:
	.section	.rodata,"a",@progbits
	.p2align	6, 0x0
	.amdhsa_kernel _ZN7rocprim17ROCPRIM_400000_NS6detail17trampoline_kernelINS0_14default_configENS1_25transform_config_selectorIxLb0EEEZNS1_14transform_implILb0ES3_S5_PxN6thrust23THRUST_200600_302600_NS6detail15normal_iteratorINS9_10device_ptrIxEEEENS0_8identityIxEEEE10hipError_tT2_T3_mT4_P12ihipStream_tbEUlT_E_NS1_11comp_targetILNS1_3genE3ELNS1_11target_archE908ELNS1_3gpuE7ELNS1_3repE0EEENS1_30default_config_static_selectorELNS0_4arch9wavefront6targetE0EEEvT1_
		.amdhsa_group_segment_fixed_size 0
		.amdhsa_private_segment_fixed_size 0
		.amdhsa_kernarg_size 40
		.amdhsa_user_sgpr_count 6
		.amdhsa_user_sgpr_private_segment_buffer 1
		.amdhsa_user_sgpr_dispatch_ptr 0
		.amdhsa_user_sgpr_queue_ptr 0
		.amdhsa_user_sgpr_kernarg_segment_ptr 1
		.amdhsa_user_sgpr_dispatch_id 0
		.amdhsa_user_sgpr_flat_scratch_init 0
		.amdhsa_user_sgpr_private_segment_size 0
		.amdhsa_wavefront_size32 1
		.amdhsa_uses_dynamic_stack 0
		.amdhsa_system_sgpr_private_segment_wavefront_offset 0
		.amdhsa_system_sgpr_workgroup_id_x 1
		.amdhsa_system_sgpr_workgroup_id_y 0
		.amdhsa_system_sgpr_workgroup_id_z 0
		.amdhsa_system_sgpr_workgroup_info 0
		.amdhsa_system_vgpr_workitem_id 0
		.amdhsa_next_free_vgpr 1
		.amdhsa_next_free_sgpr 1
		.amdhsa_reserve_vcc 0
		.amdhsa_reserve_flat_scratch 0
		.amdhsa_float_round_mode_32 0
		.amdhsa_float_round_mode_16_64 0
		.amdhsa_float_denorm_mode_32 3
		.amdhsa_float_denorm_mode_16_64 3
		.amdhsa_dx10_clamp 1
		.amdhsa_ieee_mode 1
		.amdhsa_fp16_overflow 0
		.amdhsa_workgroup_processor_mode 1
		.amdhsa_memory_ordered 1
		.amdhsa_forward_progress 1
		.amdhsa_shared_vgpr_count 0
		.amdhsa_exception_fp_ieee_invalid_op 0
		.amdhsa_exception_fp_denorm_src 0
		.amdhsa_exception_fp_ieee_div_zero 0
		.amdhsa_exception_fp_ieee_overflow 0
		.amdhsa_exception_fp_ieee_underflow 0
		.amdhsa_exception_fp_ieee_inexact 0
		.amdhsa_exception_int_div_zero 0
	.end_amdhsa_kernel
	.section	.text._ZN7rocprim17ROCPRIM_400000_NS6detail17trampoline_kernelINS0_14default_configENS1_25transform_config_selectorIxLb0EEEZNS1_14transform_implILb0ES3_S5_PxN6thrust23THRUST_200600_302600_NS6detail15normal_iteratorINS9_10device_ptrIxEEEENS0_8identityIxEEEE10hipError_tT2_T3_mT4_P12ihipStream_tbEUlT_E_NS1_11comp_targetILNS1_3genE3ELNS1_11target_archE908ELNS1_3gpuE7ELNS1_3repE0EEENS1_30default_config_static_selectorELNS0_4arch9wavefront6targetE0EEEvT1_,"axG",@progbits,_ZN7rocprim17ROCPRIM_400000_NS6detail17trampoline_kernelINS0_14default_configENS1_25transform_config_selectorIxLb0EEEZNS1_14transform_implILb0ES3_S5_PxN6thrust23THRUST_200600_302600_NS6detail15normal_iteratorINS9_10device_ptrIxEEEENS0_8identityIxEEEE10hipError_tT2_T3_mT4_P12ihipStream_tbEUlT_E_NS1_11comp_targetILNS1_3genE3ELNS1_11target_archE908ELNS1_3gpuE7ELNS1_3repE0EEENS1_30default_config_static_selectorELNS0_4arch9wavefront6targetE0EEEvT1_,comdat
.Lfunc_end387:
	.size	_ZN7rocprim17ROCPRIM_400000_NS6detail17trampoline_kernelINS0_14default_configENS1_25transform_config_selectorIxLb0EEEZNS1_14transform_implILb0ES3_S5_PxN6thrust23THRUST_200600_302600_NS6detail15normal_iteratorINS9_10device_ptrIxEEEENS0_8identityIxEEEE10hipError_tT2_T3_mT4_P12ihipStream_tbEUlT_E_NS1_11comp_targetILNS1_3genE3ELNS1_11target_archE908ELNS1_3gpuE7ELNS1_3repE0EEENS1_30default_config_static_selectorELNS0_4arch9wavefront6targetE0EEEvT1_, .Lfunc_end387-_ZN7rocprim17ROCPRIM_400000_NS6detail17trampoline_kernelINS0_14default_configENS1_25transform_config_selectorIxLb0EEEZNS1_14transform_implILb0ES3_S5_PxN6thrust23THRUST_200600_302600_NS6detail15normal_iteratorINS9_10device_ptrIxEEEENS0_8identityIxEEEE10hipError_tT2_T3_mT4_P12ihipStream_tbEUlT_E_NS1_11comp_targetILNS1_3genE3ELNS1_11target_archE908ELNS1_3gpuE7ELNS1_3repE0EEENS1_30default_config_static_selectorELNS0_4arch9wavefront6targetE0EEEvT1_
                                        ; -- End function
	.set _ZN7rocprim17ROCPRIM_400000_NS6detail17trampoline_kernelINS0_14default_configENS1_25transform_config_selectorIxLb0EEEZNS1_14transform_implILb0ES3_S5_PxN6thrust23THRUST_200600_302600_NS6detail15normal_iteratorINS9_10device_ptrIxEEEENS0_8identityIxEEEE10hipError_tT2_T3_mT4_P12ihipStream_tbEUlT_E_NS1_11comp_targetILNS1_3genE3ELNS1_11target_archE908ELNS1_3gpuE7ELNS1_3repE0EEENS1_30default_config_static_selectorELNS0_4arch9wavefront6targetE0EEEvT1_.num_vgpr, 0
	.set _ZN7rocprim17ROCPRIM_400000_NS6detail17trampoline_kernelINS0_14default_configENS1_25transform_config_selectorIxLb0EEEZNS1_14transform_implILb0ES3_S5_PxN6thrust23THRUST_200600_302600_NS6detail15normal_iteratorINS9_10device_ptrIxEEEENS0_8identityIxEEEE10hipError_tT2_T3_mT4_P12ihipStream_tbEUlT_E_NS1_11comp_targetILNS1_3genE3ELNS1_11target_archE908ELNS1_3gpuE7ELNS1_3repE0EEENS1_30default_config_static_selectorELNS0_4arch9wavefront6targetE0EEEvT1_.num_agpr, 0
	.set _ZN7rocprim17ROCPRIM_400000_NS6detail17trampoline_kernelINS0_14default_configENS1_25transform_config_selectorIxLb0EEEZNS1_14transform_implILb0ES3_S5_PxN6thrust23THRUST_200600_302600_NS6detail15normal_iteratorINS9_10device_ptrIxEEEENS0_8identityIxEEEE10hipError_tT2_T3_mT4_P12ihipStream_tbEUlT_E_NS1_11comp_targetILNS1_3genE3ELNS1_11target_archE908ELNS1_3gpuE7ELNS1_3repE0EEENS1_30default_config_static_selectorELNS0_4arch9wavefront6targetE0EEEvT1_.numbered_sgpr, 0
	.set _ZN7rocprim17ROCPRIM_400000_NS6detail17trampoline_kernelINS0_14default_configENS1_25transform_config_selectorIxLb0EEEZNS1_14transform_implILb0ES3_S5_PxN6thrust23THRUST_200600_302600_NS6detail15normal_iteratorINS9_10device_ptrIxEEEENS0_8identityIxEEEE10hipError_tT2_T3_mT4_P12ihipStream_tbEUlT_E_NS1_11comp_targetILNS1_3genE3ELNS1_11target_archE908ELNS1_3gpuE7ELNS1_3repE0EEENS1_30default_config_static_selectorELNS0_4arch9wavefront6targetE0EEEvT1_.num_named_barrier, 0
	.set _ZN7rocprim17ROCPRIM_400000_NS6detail17trampoline_kernelINS0_14default_configENS1_25transform_config_selectorIxLb0EEEZNS1_14transform_implILb0ES3_S5_PxN6thrust23THRUST_200600_302600_NS6detail15normal_iteratorINS9_10device_ptrIxEEEENS0_8identityIxEEEE10hipError_tT2_T3_mT4_P12ihipStream_tbEUlT_E_NS1_11comp_targetILNS1_3genE3ELNS1_11target_archE908ELNS1_3gpuE7ELNS1_3repE0EEENS1_30default_config_static_selectorELNS0_4arch9wavefront6targetE0EEEvT1_.private_seg_size, 0
	.set _ZN7rocprim17ROCPRIM_400000_NS6detail17trampoline_kernelINS0_14default_configENS1_25transform_config_selectorIxLb0EEEZNS1_14transform_implILb0ES3_S5_PxN6thrust23THRUST_200600_302600_NS6detail15normal_iteratorINS9_10device_ptrIxEEEENS0_8identityIxEEEE10hipError_tT2_T3_mT4_P12ihipStream_tbEUlT_E_NS1_11comp_targetILNS1_3genE3ELNS1_11target_archE908ELNS1_3gpuE7ELNS1_3repE0EEENS1_30default_config_static_selectorELNS0_4arch9wavefront6targetE0EEEvT1_.uses_vcc, 0
	.set _ZN7rocprim17ROCPRIM_400000_NS6detail17trampoline_kernelINS0_14default_configENS1_25transform_config_selectorIxLb0EEEZNS1_14transform_implILb0ES3_S5_PxN6thrust23THRUST_200600_302600_NS6detail15normal_iteratorINS9_10device_ptrIxEEEENS0_8identityIxEEEE10hipError_tT2_T3_mT4_P12ihipStream_tbEUlT_E_NS1_11comp_targetILNS1_3genE3ELNS1_11target_archE908ELNS1_3gpuE7ELNS1_3repE0EEENS1_30default_config_static_selectorELNS0_4arch9wavefront6targetE0EEEvT1_.uses_flat_scratch, 0
	.set _ZN7rocprim17ROCPRIM_400000_NS6detail17trampoline_kernelINS0_14default_configENS1_25transform_config_selectorIxLb0EEEZNS1_14transform_implILb0ES3_S5_PxN6thrust23THRUST_200600_302600_NS6detail15normal_iteratorINS9_10device_ptrIxEEEENS0_8identityIxEEEE10hipError_tT2_T3_mT4_P12ihipStream_tbEUlT_E_NS1_11comp_targetILNS1_3genE3ELNS1_11target_archE908ELNS1_3gpuE7ELNS1_3repE0EEENS1_30default_config_static_selectorELNS0_4arch9wavefront6targetE0EEEvT1_.has_dyn_sized_stack, 0
	.set _ZN7rocprim17ROCPRIM_400000_NS6detail17trampoline_kernelINS0_14default_configENS1_25transform_config_selectorIxLb0EEEZNS1_14transform_implILb0ES3_S5_PxN6thrust23THRUST_200600_302600_NS6detail15normal_iteratorINS9_10device_ptrIxEEEENS0_8identityIxEEEE10hipError_tT2_T3_mT4_P12ihipStream_tbEUlT_E_NS1_11comp_targetILNS1_3genE3ELNS1_11target_archE908ELNS1_3gpuE7ELNS1_3repE0EEENS1_30default_config_static_selectorELNS0_4arch9wavefront6targetE0EEEvT1_.has_recursion, 0
	.set _ZN7rocprim17ROCPRIM_400000_NS6detail17trampoline_kernelINS0_14default_configENS1_25transform_config_selectorIxLb0EEEZNS1_14transform_implILb0ES3_S5_PxN6thrust23THRUST_200600_302600_NS6detail15normal_iteratorINS9_10device_ptrIxEEEENS0_8identityIxEEEE10hipError_tT2_T3_mT4_P12ihipStream_tbEUlT_E_NS1_11comp_targetILNS1_3genE3ELNS1_11target_archE908ELNS1_3gpuE7ELNS1_3repE0EEENS1_30default_config_static_selectorELNS0_4arch9wavefront6targetE0EEEvT1_.has_indirect_call, 0
	.section	.AMDGPU.csdata,"",@progbits
; Kernel info:
; codeLenInByte = 0
; TotalNumSgprs: 0
; NumVgprs: 0
; ScratchSize: 0
; MemoryBound: 0
; FloatMode: 240
; IeeeMode: 1
; LDSByteSize: 0 bytes/workgroup (compile time only)
; SGPRBlocks: 0
; VGPRBlocks: 0
; NumSGPRsForWavesPerEU: 1
; NumVGPRsForWavesPerEU: 1
; Occupancy: 16
; WaveLimiterHint : 0
; COMPUTE_PGM_RSRC2:SCRATCH_EN: 0
; COMPUTE_PGM_RSRC2:USER_SGPR: 6
; COMPUTE_PGM_RSRC2:TRAP_HANDLER: 0
; COMPUTE_PGM_RSRC2:TGID_X_EN: 1
; COMPUTE_PGM_RSRC2:TGID_Y_EN: 0
; COMPUTE_PGM_RSRC2:TGID_Z_EN: 0
; COMPUTE_PGM_RSRC2:TIDIG_COMP_CNT: 0
	.section	.text._ZN7rocprim17ROCPRIM_400000_NS6detail17trampoline_kernelINS0_14default_configENS1_25transform_config_selectorIxLb0EEEZNS1_14transform_implILb0ES3_S5_PxN6thrust23THRUST_200600_302600_NS6detail15normal_iteratorINS9_10device_ptrIxEEEENS0_8identityIxEEEE10hipError_tT2_T3_mT4_P12ihipStream_tbEUlT_E_NS1_11comp_targetILNS1_3genE2ELNS1_11target_archE906ELNS1_3gpuE6ELNS1_3repE0EEENS1_30default_config_static_selectorELNS0_4arch9wavefront6targetE0EEEvT1_,"axG",@progbits,_ZN7rocprim17ROCPRIM_400000_NS6detail17trampoline_kernelINS0_14default_configENS1_25transform_config_selectorIxLb0EEEZNS1_14transform_implILb0ES3_S5_PxN6thrust23THRUST_200600_302600_NS6detail15normal_iteratorINS9_10device_ptrIxEEEENS0_8identityIxEEEE10hipError_tT2_T3_mT4_P12ihipStream_tbEUlT_E_NS1_11comp_targetILNS1_3genE2ELNS1_11target_archE906ELNS1_3gpuE6ELNS1_3repE0EEENS1_30default_config_static_selectorELNS0_4arch9wavefront6targetE0EEEvT1_,comdat
	.protected	_ZN7rocprim17ROCPRIM_400000_NS6detail17trampoline_kernelINS0_14default_configENS1_25transform_config_selectorIxLb0EEEZNS1_14transform_implILb0ES3_S5_PxN6thrust23THRUST_200600_302600_NS6detail15normal_iteratorINS9_10device_ptrIxEEEENS0_8identityIxEEEE10hipError_tT2_T3_mT4_P12ihipStream_tbEUlT_E_NS1_11comp_targetILNS1_3genE2ELNS1_11target_archE906ELNS1_3gpuE6ELNS1_3repE0EEENS1_30default_config_static_selectorELNS0_4arch9wavefront6targetE0EEEvT1_ ; -- Begin function _ZN7rocprim17ROCPRIM_400000_NS6detail17trampoline_kernelINS0_14default_configENS1_25transform_config_selectorIxLb0EEEZNS1_14transform_implILb0ES3_S5_PxN6thrust23THRUST_200600_302600_NS6detail15normal_iteratorINS9_10device_ptrIxEEEENS0_8identityIxEEEE10hipError_tT2_T3_mT4_P12ihipStream_tbEUlT_E_NS1_11comp_targetILNS1_3genE2ELNS1_11target_archE906ELNS1_3gpuE6ELNS1_3repE0EEENS1_30default_config_static_selectorELNS0_4arch9wavefront6targetE0EEEvT1_
	.globl	_ZN7rocprim17ROCPRIM_400000_NS6detail17trampoline_kernelINS0_14default_configENS1_25transform_config_selectorIxLb0EEEZNS1_14transform_implILb0ES3_S5_PxN6thrust23THRUST_200600_302600_NS6detail15normal_iteratorINS9_10device_ptrIxEEEENS0_8identityIxEEEE10hipError_tT2_T3_mT4_P12ihipStream_tbEUlT_E_NS1_11comp_targetILNS1_3genE2ELNS1_11target_archE906ELNS1_3gpuE6ELNS1_3repE0EEENS1_30default_config_static_selectorELNS0_4arch9wavefront6targetE0EEEvT1_
	.p2align	8
	.type	_ZN7rocprim17ROCPRIM_400000_NS6detail17trampoline_kernelINS0_14default_configENS1_25transform_config_selectorIxLb0EEEZNS1_14transform_implILb0ES3_S5_PxN6thrust23THRUST_200600_302600_NS6detail15normal_iteratorINS9_10device_ptrIxEEEENS0_8identityIxEEEE10hipError_tT2_T3_mT4_P12ihipStream_tbEUlT_E_NS1_11comp_targetILNS1_3genE2ELNS1_11target_archE906ELNS1_3gpuE6ELNS1_3repE0EEENS1_30default_config_static_selectorELNS0_4arch9wavefront6targetE0EEEvT1_,@function
_ZN7rocprim17ROCPRIM_400000_NS6detail17trampoline_kernelINS0_14default_configENS1_25transform_config_selectorIxLb0EEEZNS1_14transform_implILb0ES3_S5_PxN6thrust23THRUST_200600_302600_NS6detail15normal_iteratorINS9_10device_ptrIxEEEENS0_8identityIxEEEE10hipError_tT2_T3_mT4_P12ihipStream_tbEUlT_E_NS1_11comp_targetILNS1_3genE2ELNS1_11target_archE906ELNS1_3gpuE6ELNS1_3repE0EEENS1_30default_config_static_selectorELNS0_4arch9wavefront6targetE0EEEvT1_: ; @_ZN7rocprim17ROCPRIM_400000_NS6detail17trampoline_kernelINS0_14default_configENS1_25transform_config_selectorIxLb0EEEZNS1_14transform_implILb0ES3_S5_PxN6thrust23THRUST_200600_302600_NS6detail15normal_iteratorINS9_10device_ptrIxEEEENS0_8identityIxEEEE10hipError_tT2_T3_mT4_P12ihipStream_tbEUlT_E_NS1_11comp_targetILNS1_3genE2ELNS1_11target_archE906ELNS1_3gpuE6ELNS1_3repE0EEENS1_30default_config_static_selectorELNS0_4arch9wavefront6targetE0EEEvT1_
; %bb.0:
	.section	.rodata,"a",@progbits
	.p2align	6, 0x0
	.amdhsa_kernel _ZN7rocprim17ROCPRIM_400000_NS6detail17trampoline_kernelINS0_14default_configENS1_25transform_config_selectorIxLb0EEEZNS1_14transform_implILb0ES3_S5_PxN6thrust23THRUST_200600_302600_NS6detail15normal_iteratorINS9_10device_ptrIxEEEENS0_8identityIxEEEE10hipError_tT2_T3_mT4_P12ihipStream_tbEUlT_E_NS1_11comp_targetILNS1_3genE2ELNS1_11target_archE906ELNS1_3gpuE6ELNS1_3repE0EEENS1_30default_config_static_selectorELNS0_4arch9wavefront6targetE0EEEvT1_
		.amdhsa_group_segment_fixed_size 0
		.amdhsa_private_segment_fixed_size 0
		.amdhsa_kernarg_size 40
		.amdhsa_user_sgpr_count 6
		.amdhsa_user_sgpr_private_segment_buffer 1
		.amdhsa_user_sgpr_dispatch_ptr 0
		.amdhsa_user_sgpr_queue_ptr 0
		.amdhsa_user_sgpr_kernarg_segment_ptr 1
		.amdhsa_user_sgpr_dispatch_id 0
		.amdhsa_user_sgpr_flat_scratch_init 0
		.amdhsa_user_sgpr_private_segment_size 0
		.amdhsa_wavefront_size32 1
		.amdhsa_uses_dynamic_stack 0
		.amdhsa_system_sgpr_private_segment_wavefront_offset 0
		.amdhsa_system_sgpr_workgroup_id_x 1
		.amdhsa_system_sgpr_workgroup_id_y 0
		.amdhsa_system_sgpr_workgroup_id_z 0
		.amdhsa_system_sgpr_workgroup_info 0
		.amdhsa_system_vgpr_workitem_id 0
		.amdhsa_next_free_vgpr 1
		.amdhsa_next_free_sgpr 1
		.amdhsa_reserve_vcc 0
		.amdhsa_reserve_flat_scratch 0
		.amdhsa_float_round_mode_32 0
		.amdhsa_float_round_mode_16_64 0
		.amdhsa_float_denorm_mode_32 3
		.amdhsa_float_denorm_mode_16_64 3
		.amdhsa_dx10_clamp 1
		.amdhsa_ieee_mode 1
		.amdhsa_fp16_overflow 0
		.amdhsa_workgroup_processor_mode 1
		.amdhsa_memory_ordered 1
		.amdhsa_forward_progress 1
		.amdhsa_shared_vgpr_count 0
		.amdhsa_exception_fp_ieee_invalid_op 0
		.amdhsa_exception_fp_denorm_src 0
		.amdhsa_exception_fp_ieee_div_zero 0
		.amdhsa_exception_fp_ieee_overflow 0
		.amdhsa_exception_fp_ieee_underflow 0
		.amdhsa_exception_fp_ieee_inexact 0
		.amdhsa_exception_int_div_zero 0
	.end_amdhsa_kernel
	.section	.text._ZN7rocprim17ROCPRIM_400000_NS6detail17trampoline_kernelINS0_14default_configENS1_25transform_config_selectorIxLb0EEEZNS1_14transform_implILb0ES3_S5_PxN6thrust23THRUST_200600_302600_NS6detail15normal_iteratorINS9_10device_ptrIxEEEENS0_8identityIxEEEE10hipError_tT2_T3_mT4_P12ihipStream_tbEUlT_E_NS1_11comp_targetILNS1_3genE2ELNS1_11target_archE906ELNS1_3gpuE6ELNS1_3repE0EEENS1_30default_config_static_selectorELNS0_4arch9wavefront6targetE0EEEvT1_,"axG",@progbits,_ZN7rocprim17ROCPRIM_400000_NS6detail17trampoline_kernelINS0_14default_configENS1_25transform_config_selectorIxLb0EEEZNS1_14transform_implILb0ES3_S5_PxN6thrust23THRUST_200600_302600_NS6detail15normal_iteratorINS9_10device_ptrIxEEEENS0_8identityIxEEEE10hipError_tT2_T3_mT4_P12ihipStream_tbEUlT_E_NS1_11comp_targetILNS1_3genE2ELNS1_11target_archE906ELNS1_3gpuE6ELNS1_3repE0EEENS1_30default_config_static_selectorELNS0_4arch9wavefront6targetE0EEEvT1_,comdat
.Lfunc_end388:
	.size	_ZN7rocprim17ROCPRIM_400000_NS6detail17trampoline_kernelINS0_14default_configENS1_25transform_config_selectorIxLb0EEEZNS1_14transform_implILb0ES3_S5_PxN6thrust23THRUST_200600_302600_NS6detail15normal_iteratorINS9_10device_ptrIxEEEENS0_8identityIxEEEE10hipError_tT2_T3_mT4_P12ihipStream_tbEUlT_E_NS1_11comp_targetILNS1_3genE2ELNS1_11target_archE906ELNS1_3gpuE6ELNS1_3repE0EEENS1_30default_config_static_selectorELNS0_4arch9wavefront6targetE0EEEvT1_, .Lfunc_end388-_ZN7rocprim17ROCPRIM_400000_NS6detail17trampoline_kernelINS0_14default_configENS1_25transform_config_selectorIxLb0EEEZNS1_14transform_implILb0ES3_S5_PxN6thrust23THRUST_200600_302600_NS6detail15normal_iteratorINS9_10device_ptrIxEEEENS0_8identityIxEEEE10hipError_tT2_T3_mT4_P12ihipStream_tbEUlT_E_NS1_11comp_targetILNS1_3genE2ELNS1_11target_archE906ELNS1_3gpuE6ELNS1_3repE0EEENS1_30default_config_static_selectorELNS0_4arch9wavefront6targetE0EEEvT1_
                                        ; -- End function
	.set _ZN7rocprim17ROCPRIM_400000_NS6detail17trampoline_kernelINS0_14default_configENS1_25transform_config_selectorIxLb0EEEZNS1_14transform_implILb0ES3_S5_PxN6thrust23THRUST_200600_302600_NS6detail15normal_iteratorINS9_10device_ptrIxEEEENS0_8identityIxEEEE10hipError_tT2_T3_mT4_P12ihipStream_tbEUlT_E_NS1_11comp_targetILNS1_3genE2ELNS1_11target_archE906ELNS1_3gpuE6ELNS1_3repE0EEENS1_30default_config_static_selectorELNS0_4arch9wavefront6targetE0EEEvT1_.num_vgpr, 0
	.set _ZN7rocprim17ROCPRIM_400000_NS6detail17trampoline_kernelINS0_14default_configENS1_25transform_config_selectorIxLb0EEEZNS1_14transform_implILb0ES3_S5_PxN6thrust23THRUST_200600_302600_NS6detail15normal_iteratorINS9_10device_ptrIxEEEENS0_8identityIxEEEE10hipError_tT2_T3_mT4_P12ihipStream_tbEUlT_E_NS1_11comp_targetILNS1_3genE2ELNS1_11target_archE906ELNS1_3gpuE6ELNS1_3repE0EEENS1_30default_config_static_selectorELNS0_4arch9wavefront6targetE0EEEvT1_.num_agpr, 0
	.set _ZN7rocprim17ROCPRIM_400000_NS6detail17trampoline_kernelINS0_14default_configENS1_25transform_config_selectorIxLb0EEEZNS1_14transform_implILb0ES3_S5_PxN6thrust23THRUST_200600_302600_NS6detail15normal_iteratorINS9_10device_ptrIxEEEENS0_8identityIxEEEE10hipError_tT2_T3_mT4_P12ihipStream_tbEUlT_E_NS1_11comp_targetILNS1_3genE2ELNS1_11target_archE906ELNS1_3gpuE6ELNS1_3repE0EEENS1_30default_config_static_selectorELNS0_4arch9wavefront6targetE0EEEvT1_.numbered_sgpr, 0
	.set _ZN7rocprim17ROCPRIM_400000_NS6detail17trampoline_kernelINS0_14default_configENS1_25transform_config_selectorIxLb0EEEZNS1_14transform_implILb0ES3_S5_PxN6thrust23THRUST_200600_302600_NS6detail15normal_iteratorINS9_10device_ptrIxEEEENS0_8identityIxEEEE10hipError_tT2_T3_mT4_P12ihipStream_tbEUlT_E_NS1_11comp_targetILNS1_3genE2ELNS1_11target_archE906ELNS1_3gpuE6ELNS1_3repE0EEENS1_30default_config_static_selectorELNS0_4arch9wavefront6targetE0EEEvT1_.num_named_barrier, 0
	.set _ZN7rocprim17ROCPRIM_400000_NS6detail17trampoline_kernelINS0_14default_configENS1_25transform_config_selectorIxLb0EEEZNS1_14transform_implILb0ES3_S5_PxN6thrust23THRUST_200600_302600_NS6detail15normal_iteratorINS9_10device_ptrIxEEEENS0_8identityIxEEEE10hipError_tT2_T3_mT4_P12ihipStream_tbEUlT_E_NS1_11comp_targetILNS1_3genE2ELNS1_11target_archE906ELNS1_3gpuE6ELNS1_3repE0EEENS1_30default_config_static_selectorELNS0_4arch9wavefront6targetE0EEEvT1_.private_seg_size, 0
	.set _ZN7rocprim17ROCPRIM_400000_NS6detail17trampoline_kernelINS0_14default_configENS1_25transform_config_selectorIxLb0EEEZNS1_14transform_implILb0ES3_S5_PxN6thrust23THRUST_200600_302600_NS6detail15normal_iteratorINS9_10device_ptrIxEEEENS0_8identityIxEEEE10hipError_tT2_T3_mT4_P12ihipStream_tbEUlT_E_NS1_11comp_targetILNS1_3genE2ELNS1_11target_archE906ELNS1_3gpuE6ELNS1_3repE0EEENS1_30default_config_static_selectorELNS0_4arch9wavefront6targetE0EEEvT1_.uses_vcc, 0
	.set _ZN7rocprim17ROCPRIM_400000_NS6detail17trampoline_kernelINS0_14default_configENS1_25transform_config_selectorIxLb0EEEZNS1_14transform_implILb0ES3_S5_PxN6thrust23THRUST_200600_302600_NS6detail15normal_iteratorINS9_10device_ptrIxEEEENS0_8identityIxEEEE10hipError_tT2_T3_mT4_P12ihipStream_tbEUlT_E_NS1_11comp_targetILNS1_3genE2ELNS1_11target_archE906ELNS1_3gpuE6ELNS1_3repE0EEENS1_30default_config_static_selectorELNS0_4arch9wavefront6targetE0EEEvT1_.uses_flat_scratch, 0
	.set _ZN7rocprim17ROCPRIM_400000_NS6detail17trampoline_kernelINS0_14default_configENS1_25transform_config_selectorIxLb0EEEZNS1_14transform_implILb0ES3_S5_PxN6thrust23THRUST_200600_302600_NS6detail15normal_iteratorINS9_10device_ptrIxEEEENS0_8identityIxEEEE10hipError_tT2_T3_mT4_P12ihipStream_tbEUlT_E_NS1_11comp_targetILNS1_3genE2ELNS1_11target_archE906ELNS1_3gpuE6ELNS1_3repE0EEENS1_30default_config_static_selectorELNS0_4arch9wavefront6targetE0EEEvT1_.has_dyn_sized_stack, 0
	.set _ZN7rocprim17ROCPRIM_400000_NS6detail17trampoline_kernelINS0_14default_configENS1_25transform_config_selectorIxLb0EEEZNS1_14transform_implILb0ES3_S5_PxN6thrust23THRUST_200600_302600_NS6detail15normal_iteratorINS9_10device_ptrIxEEEENS0_8identityIxEEEE10hipError_tT2_T3_mT4_P12ihipStream_tbEUlT_E_NS1_11comp_targetILNS1_3genE2ELNS1_11target_archE906ELNS1_3gpuE6ELNS1_3repE0EEENS1_30default_config_static_selectorELNS0_4arch9wavefront6targetE0EEEvT1_.has_recursion, 0
	.set _ZN7rocprim17ROCPRIM_400000_NS6detail17trampoline_kernelINS0_14default_configENS1_25transform_config_selectorIxLb0EEEZNS1_14transform_implILb0ES3_S5_PxN6thrust23THRUST_200600_302600_NS6detail15normal_iteratorINS9_10device_ptrIxEEEENS0_8identityIxEEEE10hipError_tT2_T3_mT4_P12ihipStream_tbEUlT_E_NS1_11comp_targetILNS1_3genE2ELNS1_11target_archE906ELNS1_3gpuE6ELNS1_3repE0EEENS1_30default_config_static_selectorELNS0_4arch9wavefront6targetE0EEEvT1_.has_indirect_call, 0
	.section	.AMDGPU.csdata,"",@progbits
; Kernel info:
; codeLenInByte = 0
; TotalNumSgprs: 0
; NumVgprs: 0
; ScratchSize: 0
; MemoryBound: 0
; FloatMode: 240
; IeeeMode: 1
; LDSByteSize: 0 bytes/workgroup (compile time only)
; SGPRBlocks: 0
; VGPRBlocks: 0
; NumSGPRsForWavesPerEU: 1
; NumVGPRsForWavesPerEU: 1
; Occupancy: 16
; WaveLimiterHint : 0
; COMPUTE_PGM_RSRC2:SCRATCH_EN: 0
; COMPUTE_PGM_RSRC2:USER_SGPR: 6
; COMPUTE_PGM_RSRC2:TRAP_HANDLER: 0
; COMPUTE_PGM_RSRC2:TGID_X_EN: 1
; COMPUTE_PGM_RSRC2:TGID_Y_EN: 0
; COMPUTE_PGM_RSRC2:TGID_Z_EN: 0
; COMPUTE_PGM_RSRC2:TIDIG_COMP_CNT: 0
	.section	.text._ZN7rocprim17ROCPRIM_400000_NS6detail17trampoline_kernelINS0_14default_configENS1_25transform_config_selectorIxLb0EEEZNS1_14transform_implILb0ES3_S5_PxN6thrust23THRUST_200600_302600_NS6detail15normal_iteratorINS9_10device_ptrIxEEEENS0_8identityIxEEEE10hipError_tT2_T3_mT4_P12ihipStream_tbEUlT_E_NS1_11comp_targetILNS1_3genE10ELNS1_11target_archE1201ELNS1_3gpuE5ELNS1_3repE0EEENS1_30default_config_static_selectorELNS0_4arch9wavefront6targetE0EEEvT1_,"axG",@progbits,_ZN7rocprim17ROCPRIM_400000_NS6detail17trampoline_kernelINS0_14default_configENS1_25transform_config_selectorIxLb0EEEZNS1_14transform_implILb0ES3_S5_PxN6thrust23THRUST_200600_302600_NS6detail15normal_iteratorINS9_10device_ptrIxEEEENS0_8identityIxEEEE10hipError_tT2_T3_mT4_P12ihipStream_tbEUlT_E_NS1_11comp_targetILNS1_3genE10ELNS1_11target_archE1201ELNS1_3gpuE5ELNS1_3repE0EEENS1_30default_config_static_selectorELNS0_4arch9wavefront6targetE0EEEvT1_,comdat
	.protected	_ZN7rocprim17ROCPRIM_400000_NS6detail17trampoline_kernelINS0_14default_configENS1_25transform_config_selectorIxLb0EEEZNS1_14transform_implILb0ES3_S5_PxN6thrust23THRUST_200600_302600_NS6detail15normal_iteratorINS9_10device_ptrIxEEEENS0_8identityIxEEEE10hipError_tT2_T3_mT4_P12ihipStream_tbEUlT_E_NS1_11comp_targetILNS1_3genE10ELNS1_11target_archE1201ELNS1_3gpuE5ELNS1_3repE0EEENS1_30default_config_static_selectorELNS0_4arch9wavefront6targetE0EEEvT1_ ; -- Begin function _ZN7rocprim17ROCPRIM_400000_NS6detail17trampoline_kernelINS0_14default_configENS1_25transform_config_selectorIxLb0EEEZNS1_14transform_implILb0ES3_S5_PxN6thrust23THRUST_200600_302600_NS6detail15normal_iteratorINS9_10device_ptrIxEEEENS0_8identityIxEEEE10hipError_tT2_T3_mT4_P12ihipStream_tbEUlT_E_NS1_11comp_targetILNS1_3genE10ELNS1_11target_archE1201ELNS1_3gpuE5ELNS1_3repE0EEENS1_30default_config_static_selectorELNS0_4arch9wavefront6targetE0EEEvT1_
	.globl	_ZN7rocprim17ROCPRIM_400000_NS6detail17trampoline_kernelINS0_14default_configENS1_25transform_config_selectorIxLb0EEEZNS1_14transform_implILb0ES3_S5_PxN6thrust23THRUST_200600_302600_NS6detail15normal_iteratorINS9_10device_ptrIxEEEENS0_8identityIxEEEE10hipError_tT2_T3_mT4_P12ihipStream_tbEUlT_E_NS1_11comp_targetILNS1_3genE10ELNS1_11target_archE1201ELNS1_3gpuE5ELNS1_3repE0EEENS1_30default_config_static_selectorELNS0_4arch9wavefront6targetE0EEEvT1_
	.p2align	8
	.type	_ZN7rocprim17ROCPRIM_400000_NS6detail17trampoline_kernelINS0_14default_configENS1_25transform_config_selectorIxLb0EEEZNS1_14transform_implILb0ES3_S5_PxN6thrust23THRUST_200600_302600_NS6detail15normal_iteratorINS9_10device_ptrIxEEEENS0_8identityIxEEEE10hipError_tT2_T3_mT4_P12ihipStream_tbEUlT_E_NS1_11comp_targetILNS1_3genE10ELNS1_11target_archE1201ELNS1_3gpuE5ELNS1_3repE0EEENS1_30default_config_static_selectorELNS0_4arch9wavefront6targetE0EEEvT1_,@function
_ZN7rocprim17ROCPRIM_400000_NS6detail17trampoline_kernelINS0_14default_configENS1_25transform_config_selectorIxLb0EEEZNS1_14transform_implILb0ES3_S5_PxN6thrust23THRUST_200600_302600_NS6detail15normal_iteratorINS9_10device_ptrIxEEEENS0_8identityIxEEEE10hipError_tT2_T3_mT4_P12ihipStream_tbEUlT_E_NS1_11comp_targetILNS1_3genE10ELNS1_11target_archE1201ELNS1_3gpuE5ELNS1_3repE0EEENS1_30default_config_static_selectorELNS0_4arch9wavefront6targetE0EEEvT1_: ; @_ZN7rocprim17ROCPRIM_400000_NS6detail17trampoline_kernelINS0_14default_configENS1_25transform_config_selectorIxLb0EEEZNS1_14transform_implILb0ES3_S5_PxN6thrust23THRUST_200600_302600_NS6detail15normal_iteratorINS9_10device_ptrIxEEEENS0_8identityIxEEEE10hipError_tT2_T3_mT4_P12ihipStream_tbEUlT_E_NS1_11comp_targetILNS1_3genE10ELNS1_11target_archE1201ELNS1_3gpuE5ELNS1_3repE0EEENS1_30default_config_static_selectorELNS0_4arch9wavefront6targetE0EEEvT1_
; %bb.0:
	.section	.rodata,"a",@progbits
	.p2align	6, 0x0
	.amdhsa_kernel _ZN7rocprim17ROCPRIM_400000_NS6detail17trampoline_kernelINS0_14default_configENS1_25transform_config_selectorIxLb0EEEZNS1_14transform_implILb0ES3_S5_PxN6thrust23THRUST_200600_302600_NS6detail15normal_iteratorINS9_10device_ptrIxEEEENS0_8identityIxEEEE10hipError_tT2_T3_mT4_P12ihipStream_tbEUlT_E_NS1_11comp_targetILNS1_3genE10ELNS1_11target_archE1201ELNS1_3gpuE5ELNS1_3repE0EEENS1_30default_config_static_selectorELNS0_4arch9wavefront6targetE0EEEvT1_
		.amdhsa_group_segment_fixed_size 0
		.amdhsa_private_segment_fixed_size 0
		.amdhsa_kernarg_size 40
		.amdhsa_user_sgpr_count 6
		.amdhsa_user_sgpr_private_segment_buffer 1
		.amdhsa_user_sgpr_dispatch_ptr 0
		.amdhsa_user_sgpr_queue_ptr 0
		.amdhsa_user_sgpr_kernarg_segment_ptr 1
		.amdhsa_user_sgpr_dispatch_id 0
		.amdhsa_user_sgpr_flat_scratch_init 0
		.amdhsa_user_sgpr_private_segment_size 0
		.amdhsa_wavefront_size32 1
		.amdhsa_uses_dynamic_stack 0
		.amdhsa_system_sgpr_private_segment_wavefront_offset 0
		.amdhsa_system_sgpr_workgroup_id_x 1
		.amdhsa_system_sgpr_workgroup_id_y 0
		.amdhsa_system_sgpr_workgroup_id_z 0
		.amdhsa_system_sgpr_workgroup_info 0
		.amdhsa_system_vgpr_workitem_id 0
		.amdhsa_next_free_vgpr 1
		.amdhsa_next_free_sgpr 1
		.amdhsa_reserve_vcc 0
		.amdhsa_reserve_flat_scratch 0
		.amdhsa_float_round_mode_32 0
		.amdhsa_float_round_mode_16_64 0
		.amdhsa_float_denorm_mode_32 3
		.amdhsa_float_denorm_mode_16_64 3
		.amdhsa_dx10_clamp 1
		.amdhsa_ieee_mode 1
		.amdhsa_fp16_overflow 0
		.amdhsa_workgroup_processor_mode 1
		.amdhsa_memory_ordered 1
		.amdhsa_forward_progress 1
		.amdhsa_shared_vgpr_count 0
		.amdhsa_exception_fp_ieee_invalid_op 0
		.amdhsa_exception_fp_denorm_src 0
		.amdhsa_exception_fp_ieee_div_zero 0
		.amdhsa_exception_fp_ieee_overflow 0
		.amdhsa_exception_fp_ieee_underflow 0
		.amdhsa_exception_fp_ieee_inexact 0
		.amdhsa_exception_int_div_zero 0
	.end_amdhsa_kernel
	.section	.text._ZN7rocprim17ROCPRIM_400000_NS6detail17trampoline_kernelINS0_14default_configENS1_25transform_config_selectorIxLb0EEEZNS1_14transform_implILb0ES3_S5_PxN6thrust23THRUST_200600_302600_NS6detail15normal_iteratorINS9_10device_ptrIxEEEENS0_8identityIxEEEE10hipError_tT2_T3_mT4_P12ihipStream_tbEUlT_E_NS1_11comp_targetILNS1_3genE10ELNS1_11target_archE1201ELNS1_3gpuE5ELNS1_3repE0EEENS1_30default_config_static_selectorELNS0_4arch9wavefront6targetE0EEEvT1_,"axG",@progbits,_ZN7rocprim17ROCPRIM_400000_NS6detail17trampoline_kernelINS0_14default_configENS1_25transform_config_selectorIxLb0EEEZNS1_14transform_implILb0ES3_S5_PxN6thrust23THRUST_200600_302600_NS6detail15normal_iteratorINS9_10device_ptrIxEEEENS0_8identityIxEEEE10hipError_tT2_T3_mT4_P12ihipStream_tbEUlT_E_NS1_11comp_targetILNS1_3genE10ELNS1_11target_archE1201ELNS1_3gpuE5ELNS1_3repE0EEENS1_30default_config_static_selectorELNS0_4arch9wavefront6targetE0EEEvT1_,comdat
.Lfunc_end389:
	.size	_ZN7rocprim17ROCPRIM_400000_NS6detail17trampoline_kernelINS0_14default_configENS1_25transform_config_selectorIxLb0EEEZNS1_14transform_implILb0ES3_S5_PxN6thrust23THRUST_200600_302600_NS6detail15normal_iteratorINS9_10device_ptrIxEEEENS0_8identityIxEEEE10hipError_tT2_T3_mT4_P12ihipStream_tbEUlT_E_NS1_11comp_targetILNS1_3genE10ELNS1_11target_archE1201ELNS1_3gpuE5ELNS1_3repE0EEENS1_30default_config_static_selectorELNS0_4arch9wavefront6targetE0EEEvT1_, .Lfunc_end389-_ZN7rocprim17ROCPRIM_400000_NS6detail17trampoline_kernelINS0_14default_configENS1_25transform_config_selectorIxLb0EEEZNS1_14transform_implILb0ES3_S5_PxN6thrust23THRUST_200600_302600_NS6detail15normal_iteratorINS9_10device_ptrIxEEEENS0_8identityIxEEEE10hipError_tT2_T3_mT4_P12ihipStream_tbEUlT_E_NS1_11comp_targetILNS1_3genE10ELNS1_11target_archE1201ELNS1_3gpuE5ELNS1_3repE0EEENS1_30default_config_static_selectorELNS0_4arch9wavefront6targetE0EEEvT1_
                                        ; -- End function
	.set _ZN7rocprim17ROCPRIM_400000_NS6detail17trampoline_kernelINS0_14default_configENS1_25transform_config_selectorIxLb0EEEZNS1_14transform_implILb0ES3_S5_PxN6thrust23THRUST_200600_302600_NS6detail15normal_iteratorINS9_10device_ptrIxEEEENS0_8identityIxEEEE10hipError_tT2_T3_mT4_P12ihipStream_tbEUlT_E_NS1_11comp_targetILNS1_3genE10ELNS1_11target_archE1201ELNS1_3gpuE5ELNS1_3repE0EEENS1_30default_config_static_selectorELNS0_4arch9wavefront6targetE0EEEvT1_.num_vgpr, 0
	.set _ZN7rocprim17ROCPRIM_400000_NS6detail17trampoline_kernelINS0_14default_configENS1_25transform_config_selectorIxLb0EEEZNS1_14transform_implILb0ES3_S5_PxN6thrust23THRUST_200600_302600_NS6detail15normal_iteratorINS9_10device_ptrIxEEEENS0_8identityIxEEEE10hipError_tT2_T3_mT4_P12ihipStream_tbEUlT_E_NS1_11comp_targetILNS1_3genE10ELNS1_11target_archE1201ELNS1_3gpuE5ELNS1_3repE0EEENS1_30default_config_static_selectorELNS0_4arch9wavefront6targetE0EEEvT1_.num_agpr, 0
	.set _ZN7rocprim17ROCPRIM_400000_NS6detail17trampoline_kernelINS0_14default_configENS1_25transform_config_selectorIxLb0EEEZNS1_14transform_implILb0ES3_S5_PxN6thrust23THRUST_200600_302600_NS6detail15normal_iteratorINS9_10device_ptrIxEEEENS0_8identityIxEEEE10hipError_tT2_T3_mT4_P12ihipStream_tbEUlT_E_NS1_11comp_targetILNS1_3genE10ELNS1_11target_archE1201ELNS1_3gpuE5ELNS1_3repE0EEENS1_30default_config_static_selectorELNS0_4arch9wavefront6targetE0EEEvT1_.numbered_sgpr, 0
	.set _ZN7rocprim17ROCPRIM_400000_NS6detail17trampoline_kernelINS0_14default_configENS1_25transform_config_selectorIxLb0EEEZNS1_14transform_implILb0ES3_S5_PxN6thrust23THRUST_200600_302600_NS6detail15normal_iteratorINS9_10device_ptrIxEEEENS0_8identityIxEEEE10hipError_tT2_T3_mT4_P12ihipStream_tbEUlT_E_NS1_11comp_targetILNS1_3genE10ELNS1_11target_archE1201ELNS1_3gpuE5ELNS1_3repE0EEENS1_30default_config_static_selectorELNS0_4arch9wavefront6targetE0EEEvT1_.num_named_barrier, 0
	.set _ZN7rocprim17ROCPRIM_400000_NS6detail17trampoline_kernelINS0_14default_configENS1_25transform_config_selectorIxLb0EEEZNS1_14transform_implILb0ES3_S5_PxN6thrust23THRUST_200600_302600_NS6detail15normal_iteratorINS9_10device_ptrIxEEEENS0_8identityIxEEEE10hipError_tT2_T3_mT4_P12ihipStream_tbEUlT_E_NS1_11comp_targetILNS1_3genE10ELNS1_11target_archE1201ELNS1_3gpuE5ELNS1_3repE0EEENS1_30default_config_static_selectorELNS0_4arch9wavefront6targetE0EEEvT1_.private_seg_size, 0
	.set _ZN7rocprim17ROCPRIM_400000_NS6detail17trampoline_kernelINS0_14default_configENS1_25transform_config_selectorIxLb0EEEZNS1_14transform_implILb0ES3_S5_PxN6thrust23THRUST_200600_302600_NS6detail15normal_iteratorINS9_10device_ptrIxEEEENS0_8identityIxEEEE10hipError_tT2_T3_mT4_P12ihipStream_tbEUlT_E_NS1_11comp_targetILNS1_3genE10ELNS1_11target_archE1201ELNS1_3gpuE5ELNS1_3repE0EEENS1_30default_config_static_selectorELNS0_4arch9wavefront6targetE0EEEvT1_.uses_vcc, 0
	.set _ZN7rocprim17ROCPRIM_400000_NS6detail17trampoline_kernelINS0_14default_configENS1_25transform_config_selectorIxLb0EEEZNS1_14transform_implILb0ES3_S5_PxN6thrust23THRUST_200600_302600_NS6detail15normal_iteratorINS9_10device_ptrIxEEEENS0_8identityIxEEEE10hipError_tT2_T3_mT4_P12ihipStream_tbEUlT_E_NS1_11comp_targetILNS1_3genE10ELNS1_11target_archE1201ELNS1_3gpuE5ELNS1_3repE0EEENS1_30default_config_static_selectorELNS0_4arch9wavefront6targetE0EEEvT1_.uses_flat_scratch, 0
	.set _ZN7rocprim17ROCPRIM_400000_NS6detail17trampoline_kernelINS0_14default_configENS1_25transform_config_selectorIxLb0EEEZNS1_14transform_implILb0ES3_S5_PxN6thrust23THRUST_200600_302600_NS6detail15normal_iteratorINS9_10device_ptrIxEEEENS0_8identityIxEEEE10hipError_tT2_T3_mT4_P12ihipStream_tbEUlT_E_NS1_11comp_targetILNS1_3genE10ELNS1_11target_archE1201ELNS1_3gpuE5ELNS1_3repE0EEENS1_30default_config_static_selectorELNS0_4arch9wavefront6targetE0EEEvT1_.has_dyn_sized_stack, 0
	.set _ZN7rocprim17ROCPRIM_400000_NS6detail17trampoline_kernelINS0_14default_configENS1_25transform_config_selectorIxLb0EEEZNS1_14transform_implILb0ES3_S5_PxN6thrust23THRUST_200600_302600_NS6detail15normal_iteratorINS9_10device_ptrIxEEEENS0_8identityIxEEEE10hipError_tT2_T3_mT4_P12ihipStream_tbEUlT_E_NS1_11comp_targetILNS1_3genE10ELNS1_11target_archE1201ELNS1_3gpuE5ELNS1_3repE0EEENS1_30default_config_static_selectorELNS0_4arch9wavefront6targetE0EEEvT1_.has_recursion, 0
	.set _ZN7rocprim17ROCPRIM_400000_NS6detail17trampoline_kernelINS0_14default_configENS1_25transform_config_selectorIxLb0EEEZNS1_14transform_implILb0ES3_S5_PxN6thrust23THRUST_200600_302600_NS6detail15normal_iteratorINS9_10device_ptrIxEEEENS0_8identityIxEEEE10hipError_tT2_T3_mT4_P12ihipStream_tbEUlT_E_NS1_11comp_targetILNS1_3genE10ELNS1_11target_archE1201ELNS1_3gpuE5ELNS1_3repE0EEENS1_30default_config_static_selectorELNS0_4arch9wavefront6targetE0EEEvT1_.has_indirect_call, 0
	.section	.AMDGPU.csdata,"",@progbits
; Kernel info:
; codeLenInByte = 0
; TotalNumSgprs: 0
; NumVgprs: 0
; ScratchSize: 0
; MemoryBound: 0
; FloatMode: 240
; IeeeMode: 1
; LDSByteSize: 0 bytes/workgroup (compile time only)
; SGPRBlocks: 0
; VGPRBlocks: 0
; NumSGPRsForWavesPerEU: 1
; NumVGPRsForWavesPerEU: 1
; Occupancy: 16
; WaveLimiterHint : 0
; COMPUTE_PGM_RSRC2:SCRATCH_EN: 0
; COMPUTE_PGM_RSRC2:USER_SGPR: 6
; COMPUTE_PGM_RSRC2:TRAP_HANDLER: 0
; COMPUTE_PGM_RSRC2:TGID_X_EN: 1
; COMPUTE_PGM_RSRC2:TGID_Y_EN: 0
; COMPUTE_PGM_RSRC2:TGID_Z_EN: 0
; COMPUTE_PGM_RSRC2:TIDIG_COMP_CNT: 0
	.section	.text._ZN7rocprim17ROCPRIM_400000_NS6detail17trampoline_kernelINS0_14default_configENS1_25transform_config_selectorIxLb0EEEZNS1_14transform_implILb0ES3_S5_PxN6thrust23THRUST_200600_302600_NS6detail15normal_iteratorINS9_10device_ptrIxEEEENS0_8identityIxEEEE10hipError_tT2_T3_mT4_P12ihipStream_tbEUlT_E_NS1_11comp_targetILNS1_3genE10ELNS1_11target_archE1200ELNS1_3gpuE4ELNS1_3repE0EEENS1_30default_config_static_selectorELNS0_4arch9wavefront6targetE0EEEvT1_,"axG",@progbits,_ZN7rocprim17ROCPRIM_400000_NS6detail17trampoline_kernelINS0_14default_configENS1_25transform_config_selectorIxLb0EEEZNS1_14transform_implILb0ES3_S5_PxN6thrust23THRUST_200600_302600_NS6detail15normal_iteratorINS9_10device_ptrIxEEEENS0_8identityIxEEEE10hipError_tT2_T3_mT4_P12ihipStream_tbEUlT_E_NS1_11comp_targetILNS1_3genE10ELNS1_11target_archE1200ELNS1_3gpuE4ELNS1_3repE0EEENS1_30default_config_static_selectorELNS0_4arch9wavefront6targetE0EEEvT1_,comdat
	.protected	_ZN7rocprim17ROCPRIM_400000_NS6detail17trampoline_kernelINS0_14default_configENS1_25transform_config_selectorIxLb0EEEZNS1_14transform_implILb0ES3_S5_PxN6thrust23THRUST_200600_302600_NS6detail15normal_iteratorINS9_10device_ptrIxEEEENS0_8identityIxEEEE10hipError_tT2_T3_mT4_P12ihipStream_tbEUlT_E_NS1_11comp_targetILNS1_3genE10ELNS1_11target_archE1200ELNS1_3gpuE4ELNS1_3repE0EEENS1_30default_config_static_selectorELNS0_4arch9wavefront6targetE0EEEvT1_ ; -- Begin function _ZN7rocprim17ROCPRIM_400000_NS6detail17trampoline_kernelINS0_14default_configENS1_25transform_config_selectorIxLb0EEEZNS1_14transform_implILb0ES3_S5_PxN6thrust23THRUST_200600_302600_NS6detail15normal_iteratorINS9_10device_ptrIxEEEENS0_8identityIxEEEE10hipError_tT2_T3_mT4_P12ihipStream_tbEUlT_E_NS1_11comp_targetILNS1_3genE10ELNS1_11target_archE1200ELNS1_3gpuE4ELNS1_3repE0EEENS1_30default_config_static_selectorELNS0_4arch9wavefront6targetE0EEEvT1_
	.globl	_ZN7rocprim17ROCPRIM_400000_NS6detail17trampoline_kernelINS0_14default_configENS1_25transform_config_selectorIxLb0EEEZNS1_14transform_implILb0ES3_S5_PxN6thrust23THRUST_200600_302600_NS6detail15normal_iteratorINS9_10device_ptrIxEEEENS0_8identityIxEEEE10hipError_tT2_T3_mT4_P12ihipStream_tbEUlT_E_NS1_11comp_targetILNS1_3genE10ELNS1_11target_archE1200ELNS1_3gpuE4ELNS1_3repE0EEENS1_30default_config_static_selectorELNS0_4arch9wavefront6targetE0EEEvT1_
	.p2align	8
	.type	_ZN7rocprim17ROCPRIM_400000_NS6detail17trampoline_kernelINS0_14default_configENS1_25transform_config_selectorIxLb0EEEZNS1_14transform_implILb0ES3_S5_PxN6thrust23THRUST_200600_302600_NS6detail15normal_iteratorINS9_10device_ptrIxEEEENS0_8identityIxEEEE10hipError_tT2_T3_mT4_P12ihipStream_tbEUlT_E_NS1_11comp_targetILNS1_3genE10ELNS1_11target_archE1200ELNS1_3gpuE4ELNS1_3repE0EEENS1_30default_config_static_selectorELNS0_4arch9wavefront6targetE0EEEvT1_,@function
_ZN7rocprim17ROCPRIM_400000_NS6detail17trampoline_kernelINS0_14default_configENS1_25transform_config_selectorIxLb0EEEZNS1_14transform_implILb0ES3_S5_PxN6thrust23THRUST_200600_302600_NS6detail15normal_iteratorINS9_10device_ptrIxEEEENS0_8identityIxEEEE10hipError_tT2_T3_mT4_P12ihipStream_tbEUlT_E_NS1_11comp_targetILNS1_3genE10ELNS1_11target_archE1200ELNS1_3gpuE4ELNS1_3repE0EEENS1_30default_config_static_selectorELNS0_4arch9wavefront6targetE0EEEvT1_: ; @_ZN7rocprim17ROCPRIM_400000_NS6detail17trampoline_kernelINS0_14default_configENS1_25transform_config_selectorIxLb0EEEZNS1_14transform_implILb0ES3_S5_PxN6thrust23THRUST_200600_302600_NS6detail15normal_iteratorINS9_10device_ptrIxEEEENS0_8identityIxEEEE10hipError_tT2_T3_mT4_P12ihipStream_tbEUlT_E_NS1_11comp_targetILNS1_3genE10ELNS1_11target_archE1200ELNS1_3gpuE4ELNS1_3repE0EEENS1_30default_config_static_selectorELNS0_4arch9wavefront6targetE0EEEvT1_
; %bb.0:
	.section	.rodata,"a",@progbits
	.p2align	6, 0x0
	.amdhsa_kernel _ZN7rocprim17ROCPRIM_400000_NS6detail17trampoline_kernelINS0_14default_configENS1_25transform_config_selectorIxLb0EEEZNS1_14transform_implILb0ES3_S5_PxN6thrust23THRUST_200600_302600_NS6detail15normal_iteratorINS9_10device_ptrIxEEEENS0_8identityIxEEEE10hipError_tT2_T3_mT4_P12ihipStream_tbEUlT_E_NS1_11comp_targetILNS1_3genE10ELNS1_11target_archE1200ELNS1_3gpuE4ELNS1_3repE0EEENS1_30default_config_static_selectorELNS0_4arch9wavefront6targetE0EEEvT1_
		.amdhsa_group_segment_fixed_size 0
		.amdhsa_private_segment_fixed_size 0
		.amdhsa_kernarg_size 40
		.amdhsa_user_sgpr_count 6
		.amdhsa_user_sgpr_private_segment_buffer 1
		.amdhsa_user_sgpr_dispatch_ptr 0
		.amdhsa_user_sgpr_queue_ptr 0
		.amdhsa_user_sgpr_kernarg_segment_ptr 1
		.amdhsa_user_sgpr_dispatch_id 0
		.amdhsa_user_sgpr_flat_scratch_init 0
		.amdhsa_user_sgpr_private_segment_size 0
		.amdhsa_wavefront_size32 1
		.amdhsa_uses_dynamic_stack 0
		.amdhsa_system_sgpr_private_segment_wavefront_offset 0
		.amdhsa_system_sgpr_workgroup_id_x 1
		.amdhsa_system_sgpr_workgroup_id_y 0
		.amdhsa_system_sgpr_workgroup_id_z 0
		.amdhsa_system_sgpr_workgroup_info 0
		.amdhsa_system_vgpr_workitem_id 0
		.amdhsa_next_free_vgpr 1
		.amdhsa_next_free_sgpr 1
		.amdhsa_reserve_vcc 0
		.amdhsa_reserve_flat_scratch 0
		.amdhsa_float_round_mode_32 0
		.amdhsa_float_round_mode_16_64 0
		.amdhsa_float_denorm_mode_32 3
		.amdhsa_float_denorm_mode_16_64 3
		.amdhsa_dx10_clamp 1
		.amdhsa_ieee_mode 1
		.amdhsa_fp16_overflow 0
		.amdhsa_workgroup_processor_mode 1
		.amdhsa_memory_ordered 1
		.amdhsa_forward_progress 1
		.amdhsa_shared_vgpr_count 0
		.amdhsa_exception_fp_ieee_invalid_op 0
		.amdhsa_exception_fp_denorm_src 0
		.amdhsa_exception_fp_ieee_div_zero 0
		.amdhsa_exception_fp_ieee_overflow 0
		.amdhsa_exception_fp_ieee_underflow 0
		.amdhsa_exception_fp_ieee_inexact 0
		.amdhsa_exception_int_div_zero 0
	.end_amdhsa_kernel
	.section	.text._ZN7rocprim17ROCPRIM_400000_NS6detail17trampoline_kernelINS0_14default_configENS1_25transform_config_selectorIxLb0EEEZNS1_14transform_implILb0ES3_S5_PxN6thrust23THRUST_200600_302600_NS6detail15normal_iteratorINS9_10device_ptrIxEEEENS0_8identityIxEEEE10hipError_tT2_T3_mT4_P12ihipStream_tbEUlT_E_NS1_11comp_targetILNS1_3genE10ELNS1_11target_archE1200ELNS1_3gpuE4ELNS1_3repE0EEENS1_30default_config_static_selectorELNS0_4arch9wavefront6targetE0EEEvT1_,"axG",@progbits,_ZN7rocprim17ROCPRIM_400000_NS6detail17trampoline_kernelINS0_14default_configENS1_25transform_config_selectorIxLb0EEEZNS1_14transform_implILb0ES3_S5_PxN6thrust23THRUST_200600_302600_NS6detail15normal_iteratorINS9_10device_ptrIxEEEENS0_8identityIxEEEE10hipError_tT2_T3_mT4_P12ihipStream_tbEUlT_E_NS1_11comp_targetILNS1_3genE10ELNS1_11target_archE1200ELNS1_3gpuE4ELNS1_3repE0EEENS1_30default_config_static_selectorELNS0_4arch9wavefront6targetE0EEEvT1_,comdat
.Lfunc_end390:
	.size	_ZN7rocprim17ROCPRIM_400000_NS6detail17trampoline_kernelINS0_14default_configENS1_25transform_config_selectorIxLb0EEEZNS1_14transform_implILb0ES3_S5_PxN6thrust23THRUST_200600_302600_NS6detail15normal_iteratorINS9_10device_ptrIxEEEENS0_8identityIxEEEE10hipError_tT2_T3_mT4_P12ihipStream_tbEUlT_E_NS1_11comp_targetILNS1_3genE10ELNS1_11target_archE1200ELNS1_3gpuE4ELNS1_3repE0EEENS1_30default_config_static_selectorELNS0_4arch9wavefront6targetE0EEEvT1_, .Lfunc_end390-_ZN7rocprim17ROCPRIM_400000_NS6detail17trampoline_kernelINS0_14default_configENS1_25transform_config_selectorIxLb0EEEZNS1_14transform_implILb0ES3_S5_PxN6thrust23THRUST_200600_302600_NS6detail15normal_iteratorINS9_10device_ptrIxEEEENS0_8identityIxEEEE10hipError_tT2_T3_mT4_P12ihipStream_tbEUlT_E_NS1_11comp_targetILNS1_3genE10ELNS1_11target_archE1200ELNS1_3gpuE4ELNS1_3repE0EEENS1_30default_config_static_selectorELNS0_4arch9wavefront6targetE0EEEvT1_
                                        ; -- End function
	.set _ZN7rocprim17ROCPRIM_400000_NS6detail17trampoline_kernelINS0_14default_configENS1_25transform_config_selectorIxLb0EEEZNS1_14transform_implILb0ES3_S5_PxN6thrust23THRUST_200600_302600_NS6detail15normal_iteratorINS9_10device_ptrIxEEEENS0_8identityIxEEEE10hipError_tT2_T3_mT4_P12ihipStream_tbEUlT_E_NS1_11comp_targetILNS1_3genE10ELNS1_11target_archE1200ELNS1_3gpuE4ELNS1_3repE0EEENS1_30default_config_static_selectorELNS0_4arch9wavefront6targetE0EEEvT1_.num_vgpr, 0
	.set _ZN7rocprim17ROCPRIM_400000_NS6detail17trampoline_kernelINS0_14default_configENS1_25transform_config_selectorIxLb0EEEZNS1_14transform_implILb0ES3_S5_PxN6thrust23THRUST_200600_302600_NS6detail15normal_iteratorINS9_10device_ptrIxEEEENS0_8identityIxEEEE10hipError_tT2_T3_mT4_P12ihipStream_tbEUlT_E_NS1_11comp_targetILNS1_3genE10ELNS1_11target_archE1200ELNS1_3gpuE4ELNS1_3repE0EEENS1_30default_config_static_selectorELNS0_4arch9wavefront6targetE0EEEvT1_.num_agpr, 0
	.set _ZN7rocprim17ROCPRIM_400000_NS6detail17trampoline_kernelINS0_14default_configENS1_25transform_config_selectorIxLb0EEEZNS1_14transform_implILb0ES3_S5_PxN6thrust23THRUST_200600_302600_NS6detail15normal_iteratorINS9_10device_ptrIxEEEENS0_8identityIxEEEE10hipError_tT2_T3_mT4_P12ihipStream_tbEUlT_E_NS1_11comp_targetILNS1_3genE10ELNS1_11target_archE1200ELNS1_3gpuE4ELNS1_3repE0EEENS1_30default_config_static_selectorELNS0_4arch9wavefront6targetE0EEEvT1_.numbered_sgpr, 0
	.set _ZN7rocprim17ROCPRIM_400000_NS6detail17trampoline_kernelINS0_14default_configENS1_25transform_config_selectorIxLb0EEEZNS1_14transform_implILb0ES3_S5_PxN6thrust23THRUST_200600_302600_NS6detail15normal_iteratorINS9_10device_ptrIxEEEENS0_8identityIxEEEE10hipError_tT2_T3_mT4_P12ihipStream_tbEUlT_E_NS1_11comp_targetILNS1_3genE10ELNS1_11target_archE1200ELNS1_3gpuE4ELNS1_3repE0EEENS1_30default_config_static_selectorELNS0_4arch9wavefront6targetE0EEEvT1_.num_named_barrier, 0
	.set _ZN7rocprim17ROCPRIM_400000_NS6detail17trampoline_kernelINS0_14default_configENS1_25transform_config_selectorIxLb0EEEZNS1_14transform_implILb0ES3_S5_PxN6thrust23THRUST_200600_302600_NS6detail15normal_iteratorINS9_10device_ptrIxEEEENS0_8identityIxEEEE10hipError_tT2_T3_mT4_P12ihipStream_tbEUlT_E_NS1_11comp_targetILNS1_3genE10ELNS1_11target_archE1200ELNS1_3gpuE4ELNS1_3repE0EEENS1_30default_config_static_selectorELNS0_4arch9wavefront6targetE0EEEvT1_.private_seg_size, 0
	.set _ZN7rocprim17ROCPRIM_400000_NS6detail17trampoline_kernelINS0_14default_configENS1_25transform_config_selectorIxLb0EEEZNS1_14transform_implILb0ES3_S5_PxN6thrust23THRUST_200600_302600_NS6detail15normal_iteratorINS9_10device_ptrIxEEEENS0_8identityIxEEEE10hipError_tT2_T3_mT4_P12ihipStream_tbEUlT_E_NS1_11comp_targetILNS1_3genE10ELNS1_11target_archE1200ELNS1_3gpuE4ELNS1_3repE0EEENS1_30default_config_static_selectorELNS0_4arch9wavefront6targetE0EEEvT1_.uses_vcc, 0
	.set _ZN7rocprim17ROCPRIM_400000_NS6detail17trampoline_kernelINS0_14default_configENS1_25transform_config_selectorIxLb0EEEZNS1_14transform_implILb0ES3_S5_PxN6thrust23THRUST_200600_302600_NS6detail15normal_iteratorINS9_10device_ptrIxEEEENS0_8identityIxEEEE10hipError_tT2_T3_mT4_P12ihipStream_tbEUlT_E_NS1_11comp_targetILNS1_3genE10ELNS1_11target_archE1200ELNS1_3gpuE4ELNS1_3repE0EEENS1_30default_config_static_selectorELNS0_4arch9wavefront6targetE0EEEvT1_.uses_flat_scratch, 0
	.set _ZN7rocprim17ROCPRIM_400000_NS6detail17trampoline_kernelINS0_14default_configENS1_25transform_config_selectorIxLb0EEEZNS1_14transform_implILb0ES3_S5_PxN6thrust23THRUST_200600_302600_NS6detail15normal_iteratorINS9_10device_ptrIxEEEENS0_8identityIxEEEE10hipError_tT2_T3_mT4_P12ihipStream_tbEUlT_E_NS1_11comp_targetILNS1_3genE10ELNS1_11target_archE1200ELNS1_3gpuE4ELNS1_3repE0EEENS1_30default_config_static_selectorELNS0_4arch9wavefront6targetE0EEEvT1_.has_dyn_sized_stack, 0
	.set _ZN7rocprim17ROCPRIM_400000_NS6detail17trampoline_kernelINS0_14default_configENS1_25transform_config_selectorIxLb0EEEZNS1_14transform_implILb0ES3_S5_PxN6thrust23THRUST_200600_302600_NS6detail15normal_iteratorINS9_10device_ptrIxEEEENS0_8identityIxEEEE10hipError_tT2_T3_mT4_P12ihipStream_tbEUlT_E_NS1_11comp_targetILNS1_3genE10ELNS1_11target_archE1200ELNS1_3gpuE4ELNS1_3repE0EEENS1_30default_config_static_selectorELNS0_4arch9wavefront6targetE0EEEvT1_.has_recursion, 0
	.set _ZN7rocprim17ROCPRIM_400000_NS6detail17trampoline_kernelINS0_14default_configENS1_25transform_config_selectorIxLb0EEEZNS1_14transform_implILb0ES3_S5_PxN6thrust23THRUST_200600_302600_NS6detail15normal_iteratorINS9_10device_ptrIxEEEENS0_8identityIxEEEE10hipError_tT2_T3_mT4_P12ihipStream_tbEUlT_E_NS1_11comp_targetILNS1_3genE10ELNS1_11target_archE1200ELNS1_3gpuE4ELNS1_3repE0EEENS1_30default_config_static_selectorELNS0_4arch9wavefront6targetE0EEEvT1_.has_indirect_call, 0
	.section	.AMDGPU.csdata,"",@progbits
; Kernel info:
; codeLenInByte = 0
; TotalNumSgprs: 0
; NumVgprs: 0
; ScratchSize: 0
; MemoryBound: 0
; FloatMode: 240
; IeeeMode: 1
; LDSByteSize: 0 bytes/workgroup (compile time only)
; SGPRBlocks: 0
; VGPRBlocks: 0
; NumSGPRsForWavesPerEU: 1
; NumVGPRsForWavesPerEU: 1
; Occupancy: 16
; WaveLimiterHint : 0
; COMPUTE_PGM_RSRC2:SCRATCH_EN: 0
; COMPUTE_PGM_RSRC2:USER_SGPR: 6
; COMPUTE_PGM_RSRC2:TRAP_HANDLER: 0
; COMPUTE_PGM_RSRC2:TGID_X_EN: 1
; COMPUTE_PGM_RSRC2:TGID_Y_EN: 0
; COMPUTE_PGM_RSRC2:TGID_Z_EN: 0
; COMPUTE_PGM_RSRC2:TIDIG_COMP_CNT: 0
	.section	.text._ZN7rocprim17ROCPRIM_400000_NS6detail17trampoline_kernelINS0_14default_configENS1_25transform_config_selectorIxLb0EEEZNS1_14transform_implILb0ES3_S5_PxN6thrust23THRUST_200600_302600_NS6detail15normal_iteratorINS9_10device_ptrIxEEEENS0_8identityIxEEEE10hipError_tT2_T3_mT4_P12ihipStream_tbEUlT_E_NS1_11comp_targetILNS1_3genE9ELNS1_11target_archE1100ELNS1_3gpuE3ELNS1_3repE0EEENS1_30default_config_static_selectorELNS0_4arch9wavefront6targetE0EEEvT1_,"axG",@progbits,_ZN7rocprim17ROCPRIM_400000_NS6detail17trampoline_kernelINS0_14default_configENS1_25transform_config_selectorIxLb0EEEZNS1_14transform_implILb0ES3_S5_PxN6thrust23THRUST_200600_302600_NS6detail15normal_iteratorINS9_10device_ptrIxEEEENS0_8identityIxEEEE10hipError_tT2_T3_mT4_P12ihipStream_tbEUlT_E_NS1_11comp_targetILNS1_3genE9ELNS1_11target_archE1100ELNS1_3gpuE3ELNS1_3repE0EEENS1_30default_config_static_selectorELNS0_4arch9wavefront6targetE0EEEvT1_,comdat
	.protected	_ZN7rocprim17ROCPRIM_400000_NS6detail17trampoline_kernelINS0_14default_configENS1_25transform_config_selectorIxLb0EEEZNS1_14transform_implILb0ES3_S5_PxN6thrust23THRUST_200600_302600_NS6detail15normal_iteratorINS9_10device_ptrIxEEEENS0_8identityIxEEEE10hipError_tT2_T3_mT4_P12ihipStream_tbEUlT_E_NS1_11comp_targetILNS1_3genE9ELNS1_11target_archE1100ELNS1_3gpuE3ELNS1_3repE0EEENS1_30default_config_static_selectorELNS0_4arch9wavefront6targetE0EEEvT1_ ; -- Begin function _ZN7rocprim17ROCPRIM_400000_NS6detail17trampoline_kernelINS0_14default_configENS1_25transform_config_selectorIxLb0EEEZNS1_14transform_implILb0ES3_S5_PxN6thrust23THRUST_200600_302600_NS6detail15normal_iteratorINS9_10device_ptrIxEEEENS0_8identityIxEEEE10hipError_tT2_T3_mT4_P12ihipStream_tbEUlT_E_NS1_11comp_targetILNS1_3genE9ELNS1_11target_archE1100ELNS1_3gpuE3ELNS1_3repE0EEENS1_30default_config_static_selectorELNS0_4arch9wavefront6targetE0EEEvT1_
	.globl	_ZN7rocprim17ROCPRIM_400000_NS6detail17trampoline_kernelINS0_14default_configENS1_25transform_config_selectorIxLb0EEEZNS1_14transform_implILb0ES3_S5_PxN6thrust23THRUST_200600_302600_NS6detail15normal_iteratorINS9_10device_ptrIxEEEENS0_8identityIxEEEE10hipError_tT2_T3_mT4_P12ihipStream_tbEUlT_E_NS1_11comp_targetILNS1_3genE9ELNS1_11target_archE1100ELNS1_3gpuE3ELNS1_3repE0EEENS1_30default_config_static_selectorELNS0_4arch9wavefront6targetE0EEEvT1_
	.p2align	8
	.type	_ZN7rocprim17ROCPRIM_400000_NS6detail17trampoline_kernelINS0_14default_configENS1_25transform_config_selectorIxLb0EEEZNS1_14transform_implILb0ES3_S5_PxN6thrust23THRUST_200600_302600_NS6detail15normal_iteratorINS9_10device_ptrIxEEEENS0_8identityIxEEEE10hipError_tT2_T3_mT4_P12ihipStream_tbEUlT_E_NS1_11comp_targetILNS1_3genE9ELNS1_11target_archE1100ELNS1_3gpuE3ELNS1_3repE0EEENS1_30default_config_static_selectorELNS0_4arch9wavefront6targetE0EEEvT1_,@function
_ZN7rocprim17ROCPRIM_400000_NS6detail17trampoline_kernelINS0_14default_configENS1_25transform_config_selectorIxLb0EEEZNS1_14transform_implILb0ES3_S5_PxN6thrust23THRUST_200600_302600_NS6detail15normal_iteratorINS9_10device_ptrIxEEEENS0_8identityIxEEEE10hipError_tT2_T3_mT4_P12ihipStream_tbEUlT_E_NS1_11comp_targetILNS1_3genE9ELNS1_11target_archE1100ELNS1_3gpuE3ELNS1_3repE0EEENS1_30default_config_static_selectorELNS0_4arch9wavefront6targetE0EEEvT1_: ; @_ZN7rocprim17ROCPRIM_400000_NS6detail17trampoline_kernelINS0_14default_configENS1_25transform_config_selectorIxLb0EEEZNS1_14transform_implILb0ES3_S5_PxN6thrust23THRUST_200600_302600_NS6detail15normal_iteratorINS9_10device_ptrIxEEEENS0_8identityIxEEEE10hipError_tT2_T3_mT4_P12ihipStream_tbEUlT_E_NS1_11comp_targetILNS1_3genE9ELNS1_11target_archE1100ELNS1_3gpuE3ELNS1_3repE0EEENS1_30default_config_static_selectorELNS0_4arch9wavefront6targetE0EEEvT1_
; %bb.0:
	.section	.rodata,"a",@progbits
	.p2align	6, 0x0
	.amdhsa_kernel _ZN7rocprim17ROCPRIM_400000_NS6detail17trampoline_kernelINS0_14default_configENS1_25transform_config_selectorIxLb0EEEZNS1_14transform_implILb0ES3_S5_PxN6thrust23THRUST_200600_302600_NS6detail15normal_iteratorINS9_10device_ptrIxEEEENS0_8identityIxEEEE10hipError_tT2_T3_mT4_P12ihipStream_tbEUlT_E_NS1_11comp_targetILNS1_3genE9ELNS1_11target_archE1100ELNS1_3gpuE3ELNS1_3repE0EEENS1_30default_config_static_selectorELNS0_4arch9wavefront6targetE0EEEvT1_
		.amdhsa_group_segment_fixed_size 0
		.amdhsa_private_segment_fixed_size 0
		.amdhsa_kernarg_size 40
		.amdhsa_user_sgpr_count 6
		.amdhsa_user_sgpr_private_segment_buffer 1
		.amdhsa_user_sgpr_dispatch_ptr 0
		.amdhsa_user_sgpr_queue_ptr 0
		.amdhsa_user_sgpr_kernarg_segment_ptr 1
		.amdhsa_user_sgpr_dispatch_id 0
		.amdhsa_user_sgpr_flat_scratch_init 0
		.amdhsa_user_sgpr_private_segment_size 0
		.amdhsa_wavefront_size32 1
		.amdhsa_uses_dynamic_stack 0
		.amdhsa_system_sgpr_private_segment_wavefront_offset 0
		.amdhsa_system_sgpr_workgroup_id_x 1
		.amdhsa_system_sgpr_workgroup_id_y 0
		.amdhsa_system_sgpr_workgroup_id_z 0
		.amdhsa_system_sgpr_workgroup_info 0
		.amdhsa_system_vgpr_workitem_id 0
		.amdhsa_next_free_vgpr 1
		.amdhsa_next_free_sgpr 1
		.amdhsa_reserve_vcc 0
		.amdhsa_reserve_flat_scratch 0
		.amdhsa_float_round_mode_32 0
		.amdhsa_float_round_mode_16_64 0
		.amdhsa_float_denorm_mode_32 3
		.amdhsa_float_denorm_mode_16_64 3
		.amdhsa_dx10_clamp 1
		.amdhsa_ieee_mode 1
		.amdhsa_fp16_overflow 0
		.amdhsa_workgroup_processor_mode 1
		.amdhsa_memory_ordered 1
		.amdhsa_forward_progress 1
		.amdhsa_shared_vgpr_count 0
		.amdhsa_exception_fp_ieee_invalid_op 0
		.amdhsa_exception_fp_denorm_src 0
		.amdhsa_exception_fp_ieee_div_zero 0
		.amdhsa_exception_fp_ieee_overflow 0
		.amdhsa_exception_fp_ieee_underflow 0
		.amdhsa_exception_fp_ieee_inexact 0
		.amdhsa_exception_int_div_zero 0
	.end_amdhsa_kernel
	.section	.text._ZN7rocprim17ROCPRIM_400000_NS6detail17trampoline_kernelINS0_14default_configENS1_25transform_config_selectorIxLb0EEEZNS1_14transform_implILb0ES3_S5_PxN6thrust23THRUST_200600_302600_NS6detail15normal_iteratorINS9_10device_ptrIxEEEENS0_8identityIxEEEE10hipError_tT2_T3_mT4_P12ihipStream_tbEUlT_E_NS1_11comp_targetILNS1_3genE9ELNS1_11target_archE1100ELNS1_3gpuE3ELNS1_3repE0EEENS1_30default_config_static_selectorELNS0_4arch9wavefront6targetE0EEEvT1_,"axG",@progbits,_ZN7rocprim17ROCPRIM_400000_NS6detail17trampoline_kernelINS0_14default_configENS1_25transform_config_selectorIxLb0EEEZNS1_14transform_implILb0ES3_S5_PxN6thrust23THRUST_200600_302600_NS6detail15normal_iteratorINS9_10device_ptrIxEEEENS0_8identityIxEEEE10hipError_tT2_T3_mT4_P12ihipStream_tbEUlT_E_NS1_11comp_targetILNS1_3genE9ELNS1_11target_archE1100ELNS1_3gpuE3ELNS1_3repE0EEENS1_30default_config_static_selectorELNS0_4arch9wavefront6targetE0EEEvT1_,comdat
.Lfunc_end391:
	.size	_ZN7rocprim17ROCPRIM_400000_NS6detail17trampoline_kernelINS0_14default_configENS1_25transform_config_selectorIxLb0EEEZNS1_14transform_implILb0ES3_S5_PxN6thrust23THRUST_200600_302600_NS6detail15normal_iteratorINS9_10device_ptrIxEEEENS0_8identityIxEEEE10hipError_tT2_T3_mT4_P12ihipStream_tbEUlT_E_NS1_11comp_targetILNS1_3genE9ELNS1_11target_archE1100ELNS1_3gpuE3ELNS1_3repE0EEENS1_30default_config_static_selectorELNS0_4arch9wavefront6targetE0EEEvT1_, .Lfunc_end391-_ZN7rocprim17ROCPRIM_400000_NS6detail17trampoline_kernelINS0_14default_configENS1_25transform_config_selectorIxLb0EEEZNS1_14transform_implILb0ES3_S5_PxN6thrust23THRUST_200600_302600_NS6detail15normal_iteratorINS9_10device_ptrIxEEEENS0_8identityIxEEEE10hipError_tT2_T3_mT4_P12ihipStream_tbEUlT_E_NS1_11comp_targetILNS1_3genE9ELNS1_11target_archE1100ELNS1_3gpuE3ELNS1_3repE0EEENS1_30default_config_static_selectorELNS0_4arch9wavefront6targetE0EEEvT1_
                                        ; -- End function
	.set _ZN7rocprim17ROCPRIM_400000_NS6detail17trampoline_kernelINS0_14default_configENS1_25transform_config_selectorIxLb0EEEZNS1_14transform_implILb0ES3_S5_PxN6thrust23THRUST_200600_302600_NS6detail15normal_iteratorINS9_10device_ptrIxEEEENS0_8identityIxEEEE10hipError_tT2_T3_mT4_P12ihipStream_tbEUlT_E_NS1_11comp_targetILNS1_3genE9ELNS1_11target_archE1100ELNS1_3gpuE3ELNS1_3repE0EEENS1_30default_config_static_selectorELNS0_4arch9wavefront6targetE0EEEvT1_.num_vgpr, 0
	.set _ZN7rocprim17ROCPRIM_400000_NS6detail17trampoline_kernelINS0_14default_configENS1_25transform_config_selectorIxLb0EEEZNS1_14transform_implILb0ES3_S5_PxN6thrust23THRUST_200600_302600_NS6detail15normal_iteratorINS9_10device_ptrIxEEEENS0_8identityIxEEEE10hipError_tT2_T3_mT4_P12ihipStream_tbEUlT_E_NS1_11comp_targetILNS1_3genE9ELNS1_11target_archE1100ELNS1_3gpuE3ELNS1_3repE0EEENS1_30default_config_static_selectorELNS0_4arch9wavefront6targetE0EEEvT1_.num_agpr, 0
	.set _ZN7rocprim17ROCPRIM_400000_NS6detail17trampoline_kernelINS0_14default_configENS1_25transform_config_selectorIxLb0EEEZNS1_14transform_implILb0ES3_S5_PxN6thrust23THRUST_200600_302600_NS6detail15normal_iteratorINS9_10device_ptrIxEEEENS0_8identityIxEEEE10hipError_tT2_T3_mT4_P12ihipStream_tbEUlT_E_NS1_11comp_targetILNS1_3genE9ELNS1_11target_archE1100ELNS1_3gpuE3ELNS1_3repE0EEENS1_30default_config_static_selectorELNS0_4arch9wavefront6targetE0EEEvT1_.numbered_sgpr, 0
	.set _ZN7rocprim17ROCPRIM_400000_NS6detail17trampoline_kernelINS0_14default_configENS1_25transform_config_selectorIxLb0EEEZNS1_14transform_implILb0ES3_S5_PxN6thrust23THRUST_200600_302600_NS6detail15normal_iteratorINS9_10device_ptrIxEEEENS0_8identityIxEEEE10hipError_tT2_T3_mT4_P12ihipStream_tbEUlT_E_NS1_11comp_targetILNS1_3genE9ELNS1_11target_archE1100ELNS1_3gpuE3ELNS1_3repE0EEENS1_30default_config_static_selectorELNS0_4arch9wavefront6targetE0EEEvT1_.num_named_barrier, 0
	.set _ZN7rocprim17ROCPRIM_400000_NS6detail17trampoline_kernelINS0_14default_configENS1_25transform_config_selectorIxLb0EEEZNS1_14transform_implILb0ES3_S5_PxN6thrust23THRUST_200600_302600_NS6detail15normal_iteratorINS9_10device_ptrIxEEEENS0_8identityIxEEEE10hipError_tT2_T3_mT4_P12ihipStream_tbEUlT_E_NS1_11comp_targetILNS1_3genE9ELNS1_11target_archE1100ELNS1_3gpuE3ELNS1_3repE0EEENS1_30default_config_static_selectorELNS0_4arch9wavefront6targetE0EEEvT1_.private_seg_size, 0
	.set _ZN7rocprim17ROCPRIM_400000_NS6detail17trampoline_kernelINS0_14default_configENS1_25transform_config_selectorIxLb0EEEZNS1_14transform_implILb0ES3_S5_PxN6thrust23THRUST_200600_302600_NS6detail15normal_iteratorINS9_10device_ptrIxEEEENS0_8identityIxEEEE10hipError_tT2_T3_mT4_P12ihipStream_tbEUlT_E_NS1_11comp_targetILNS1_3genE9ELNS1_11target_archE1100ELNS1_3gpuE3ELNS1_3repE0EEENS1_30default_config_static_selectorELNS0_4arch9wavefront6targetE0EEEvT1_.uses_vcc, 0
	.set _ZN7rocprim17ROCPRIM_400000_NS6detail17trampoline_kernelINS0_14default_configENS1_25transform_config_selectorIxLb0EEEZNS1_14transform_implILb0ES3_S5_PxN6thrust23THRUST_200600_302600_NS6detail15normal_iteratorINS9_10device_ptrIxEEEENS0_8identityIxEEEE10hipError_tT2_T3_mT4_P12ihipStream_tbEUlT_E_NS1_11comp_targetILNS1_3genE9ELNS1_11target_archE1100ELNS1_3gpuE3ELNS1_3repE0EEENS1_30default_config_static_selectorELNS0_4arch9wavefront6targetE0EEEvT1_.uses_flat_scratch, 0
	.set _ZN7rocprim17ROCPRIM_400000_NS6detail17trampoline_kernelINS0_14default_configENS1_25transform_config_selectorIxLb0EEEZNS1_14transform_implILb0ES3_S5_PxN6thrust23THRUST_200600_302600_NS6detail15normal_iteratorINS9_10device_ptrIxEEEENS0_8identityIxEEEE10hipError_tT2_T3_mT4_P12ihipStream_tbEUlT_E_NS1_11comp_targetILNS1_3genE9ELNS1_11target_archE1100ELNS1_3gpuE3ELNS1_3repE0EEENS1_30default_config_static_selectorELNS0_4arch9wavefront6targetE0EEEvT1_.has_dyn_sized_stack, 0
	.set _ZN7rocprim17ROCPRIM_400000_NS6detail17trampoline_kernelINS0_14default_configENS1_25transform_config_selectorIxLb0EEEZNS1_14transform_implILb0ES3_S5_PxN6thrust23THRUST_200600_302600_NS6detail15normal_iteratorINS9_10device_ptrIxEEEENS0_8identityIxEEEE10hipError_tT2_T3_mT4_P12ihipStream_tbEUlT_E_NS1_11comp_targetILNS1_3genE9ELNS1_11target_archE1100ELNS1_3gpuE3ELNS1_3repE0EEENS1_30default_config_static_selectorELNS0_4arch9wavefront6targetE0EEEvT1_.has_recursion, 0
	.set _ZN7rocprim17ROCPRIM_400000_NS6detail17trampoline_kernelINS0_14default_configENS1_25transform_config_selectorIxLb0EEEZNS1_14transform_implILb0ES3_S5_PxN6thrust23THRUST_200600_302600_NS6detail15normal_iteratorINS9_10device_ptrIxEEEENS0_8identityIxEEEE10hipError_tT2_T3_mT4_P12ihipStream_tbEUlT_E_NS1_11comp_targetILNS1_3genE9ELNS1_11target_archE1100ELNS1_3gpuE3ELNS1_3repE0EEENS1_30default_config_static_selectorELNS0_4arch9wavefront6targetE0EEEvT1_.has_indirect_call, 0
	.section	.AMDGPU.csdata,"",@progbits
; Kernel info:
; codeLenInByte = 0
; TotalNumSgprs: 0
; NumVgprs: 0
; ScratchSize: 0
; MemoryBound: 0
; FloatMode: 240
; IeeeMode: 1
; LDSByteSize: 0 bytes/workgroup (compile time only)
; SGPRBlocks: 0
; VGPRBlocks: 0
; NumSGPRsForWavesPerEU: 1
; NumVGPRsForWavesPerEU: 1
; Occupancy: 16
; WaveLimiterHint : 0
; COMPUTE_PGM_RSRC2:SCRATCH_EN: 0
; COMPUTE_PGM_RSRC2:USER_SGPR: 6
; COMPUTE_PGM_RSRC2:TRAP_HANDLER: 0
; COMPUTE_PGM_RSRC2:TGID_X_EN: 1
; COMPUTE_PGM_RSRC2:TGID_Y_EN: 0
; COMPUTE_PGM_RSRC2:TGID_Z_EN: 0
; COMPUTE_PGM_RSRC2:TIDIG_COMP_CNT: 0
	.section	.text._ZN7rocprim17ROCPRIM_400000_NS6detail17trampoline_kernelINS0_14default_configENS1_25transform_config_selectorIxLb0EEEZNS1_14transform_implILb0ES3_S5_PxN6thrust23THRUST_200600_302600_NS6detail15normal_iteratorINS9_10device_ptrIxEEEENS0_8identityIxEEEE10hipError_tT2_T3_mT4_P12ihipStream_tbEUlT_E_NS1_11comp_targetILNS1_3genE8ELNS1_11target_archE1030ELNS1_3gpuE2ELNS1_3repE0EEENS1_30default_config_static_selectorELNS0_4arch9wavefront6targetE0EEEvT1_,"axG",@progbits,_ZN7rocprim17ROCPRIM_400000_NS6detail17trampoline_kernelINS0_14default_configENS1_25transform_config_selectorIxLb0EEEZNS1_14transform_implILb0ES3_S5_PxN6thrust23THRUST_200600_302600_NS6detail15normal_iteratorINS9_10device_ptrIxEEEENS0_8identityIxEEEE10hipError_tT2_T3_mT4_P12ihipStream_tbEUlT_E_NS1_11comp_targetILNS1_3genE8ELNS1_11target_archE1030ELNS1_3gpuE2ELNS1_3repE0EEENS1_30default_config_static_selectorELNS0_4arch9wavefront6targetE0EEEvT1_,comdat
	.protected	_ZN7rocprim17ROCPRIM_400000_NS6detail17trampoline_kernelINS0_14default_configENS1_25transform_config_selectorIxLb0EEEZNS1_14transform_implILb0ES3_S5_PxN6thrust23THRUST_200600_302600_NS6detail15normal_iteratorINS9_10device_ptrIxEEEENS0_8identityIxEEEE10hipError_tT2_T3_mT4_P12ihipStream_tbEUlT_E_NS1_11comp_targetILNS1_3genE8ELNS1_11target_archE1030ELNS1_3gpuE2ELNS1_3repE0EEENS1_30default_config_static_selectorELNS0_4arch9wavefront6targetE0EEEvT1_ ; -- Begin function _ZN7rocprim17ROCPRIM_400000_NS6detail17trampoline_kernelINS0_14default_configENS1_25transform_config_selectorIxLb0EEEZNS1_14transform_implILb0ES3_S5_PxN6thrust23THRUST_200600_302600_NS6detail15normal_iteratorINS9_10device_ptrIxEEEENS0_8identityIxEEEE10hipError_tT2_T3_mT4_P12ihipStream_tbEUlT_E_NS1_11comp_targetILNS1_3genE8ELNS1_11target_archE1030ELNS1_3gpuE2ELNS1_3repE0EEENS1_30default_config_static_selectorELNS0_4arch9wavefront6targetE0EEEvT1_
	.globl	_ZN7rocprim17ROCPRIM_400000_NS6detail17trampoline_kernelINS0_14default_configENS1_25transform_config_selectorIxLb0EEEZNS1_14transform_implILb0ES3_S5_PxN6thrust23THRUST_200600_302600_NS6detail15normal_iteratorINS9_10device_ptrIxEEEENS0_8identityIxEEEE10hipError_tT2_T3_mT4_P12ihipStream_tbEUlT_E_NS1_11comp_targetILNS1_3genE8ELNS1_11target_archE1030ELNS1_3gpuE2ELNS1_3repE0EEENS1_30default_config_static_selectorELNS0_4arch9wavefront6targetE0EEEvT1_
	.p2align	8
	.type	_ZN7rocprim17ROCPRIM_400000_NS6detail17trampoline_kernelINS0_14default_configENS1_25transform_config_selectorIxLb0EEEZNS1_14transform_implILb0ES3_S5_PxN6thrust23THRUST_200600_302600_NS6detail15normal_iteratorINS9_10device_ptrIxEEEENS0_8identityIxEEEE10hipError_tT2_T3_mT4_P12ihipStream_tbEUlT_E_NS1_11comp_targetILNS1_3genE8ELNS1_11target_archE1030ELNS1_3gpuE2ELNS1_3repE0EEENS1_30default_config_static_selectorELNS0_4arch9wavefront6targetE0EEEvT1_,@function
_ZN7rocprim17ROCPRIM_400000_NS6detail17trampoline_kernelINS0_14default_configENS1_25transform_config_selectorIxLb0EEEZNS1_14transform_implILb0ES3_S5_PxN6thrust23THRUST_200600_302600_NS6detail15normal_iteratorINS9_10device_ptrIxEEEENS0_8identityIxEEEE10hipError_tT2_T3_mT4_P12ihipStream_tbEUlT_E_NS1_11comp_targetILNS1_3genE8ELNS1_11target_archE1030ELNS1_3gpuE2ELNS1_3repE0EEENS1_30default_config_static_selectorELNS0_4arch9wavefront6targetE0EEEvT1_: ; @_ZN7rocprim17ROCPRIM_400000_NS6detail17trampoline_kernelINS0_14default_configENS1_25transform_config_selectorIxLb0EEEZNS1_14transform_implILb0ES3_S5_PxN6thrust23THRUST_200600_302600_NS6detail15normal_iteratorINS9_10device_ptrIxEEEENS0_8identityIxEEEE10hipError_tT2_T3_mT4_P12ihipStream_tbEUlT_E_NS1_11comp_targetILNS1_3genE8ELNS1_11target_archE1030ELNS1_3gpuE2ELNS1_3repE0EEENS1_30default_config_static_selectorELNS0_4arch9wavefront6targetE0EEEvT1_
; %bb.0:
	s_clause 0x1
	s_load_dwordx8 s[8:15], s[4:5], 0x0
	s_load_dword s4, s[4:5], 0x28
	s_mov_b32 s1, 0
	v_lshlrev_b32_e32 v7, 3, v0
	s_waitcnt lgkmcnt(0)
	s_lshl_b64 s[2:3], s[10:11], 3
	s_add_u32 s5, s8, s2
	s_addc_u32 s9, s9, s3
	s_add_u32 s7, s14, s2
	s_addc_u32 s8, s15, s3
	s_lshl_b32 s0, s6, 10
	s_add_i32 s10, s4, -1
	s_lshl_b64 s[2:3], s[0:1], 3
	s_add_u32 s4, s5, s2
	s_addc_u32 s5, s9, s3
	s_cmp_lg_u32 s6, s10
	s_mov_b32 s6, -1
	s_cbranch_scc0 .LBB392_2
; %bb.1:
	v_add_co_u32 v1, s1, s4, v7
	v_add_co_ci_u32_e64 v2, null, s5, 0, s1
	s_add_u32 s1, s7, s2
	v_add_co_u32 v1, vcc_lo, 0x1000, v1
	v_add_co_ci_u32_e64 v2, null, 0, v2, vcc_lo
	s_addc_u32 s6, s8, s3
	s_clause 0x1
	global_load_dwordx2 v[3:4], v7, s[4:5]
	global_load_dwordx2 v[5:6], v[1:2], off
	v_add_co_u32 v1, s1, s1, v7
	v_add_co_ci_u32_e64 v2, null, s6, 0, s1
	s_mov_b32 s1, -1
	s_waitcnt vmcnt(1)
	flat_store_dwordx2 v[1:2], v[3:4]
	s_cbranch_execz .LBB392_3
	s_branch .LBB392_12
.LBB392_2:
                                        ; implicit-def: $vgpr5_vgpr6
                                        ; implicit-def: $vgpr1_vgpr2
	s_andn2_b32 vcc_lo, exec_lo, s6
	s_cbranch_vccnz .LBB392_12
.LBB392_3:
	v_mov_b32_e32 v1, 0
	s_sub_i32 s0, s12, s0
	v_cmp_gt_u32_e32 vcc_lo, s0, v0
	v_mov_b32_e32 v2, v1
	v_mov_b32_e32 v3, v1
	;; [unrolled: 1-line block ×3, first 2 shown]
	s_and_saveexec_b32 s6, vcc_lo
	s_cbranch_execz .LBB392_5
; %bb.4:
	global_load_dwordx2 v[2:3], v7, s[4:5]
	s_waitcnt vmcnt(1)
	v_mov_b32_e32 v5, v1
	v_mov_b32_e32 v4, v1
	s_waitcnt vmcnt(0)
	v_mov_b32_e32 v1, v2
	v_mov_b32_e32 v2, v3
	;; [unrolled: 1-line block ×4, first 2 shown]
.LBB392_5:
	s_or_b32 exec_lo, exec_lo, s6
	v_or_b32_e32 v0, 0x200, v0
	v_cmp_gt_u32_e64 s0, s0, v0
	s_and_saveexec_b32 s6, s0
	s_cbranch_execz .LBB392_7
; %bb.6:
	v_lshlrev_b32_e32 v0, 3, v0
	global_load_dwordx2 v[3:4], v0, s[4:5]
.LBB392_7:
	s_or_b32 exec_lo, exec_lo, s6
	s_add_u32 s2, s7, s2
	s_waitcnt vmcnt(0)
	v_cndmask_b32_e32 v5, 0, v1, vcc_lo
	s_addc_u32 s3, s8, s3
	v_add_co_u32 v1, s2, s2, v7
	v_cndmask_b32_e32 v6, 0, v2, vcc_lo
	v_add_co_ci_u32_e64 v2, null, s3, 0, s2
	s_and_saveexec_b32 s2, vcc_lo
	s_cbranch_execz .LBB392_9
; %bb.8:
	flat_store_dwordx2 v[1:2], v[5:6]
.LBB392_9:
	s_or_b32 exec_lo, exec_lo, s2
                                        ; implicit-def: $vgpr5_vgpr6
	s_and_saveexec_b32 s2, s0
; %bb.10:
	v_cndmask_b32_e64 v6, 0, v4, s0
	v_cndmask_b32_e64 v5, 0, v3, s0
	s_or_b32 s1, s1, exec_lo
; %bb.11:
	s_or_b32 exec_lo, exec_lo, s2
.LBB392_12:
	s_and_saveexec_b32 s0, s1
	s_cbranch_execnz .LBB392_14
; %bb.13:
	s_endpgm
.LBB392_14:
	v_add_co_u32 v0, vcc_lo, 0x1000, v1
	v_add_co_ci_u32_e64 v1, null, 0, v2, vcc_lo
	s_waitcnt vmcnt(0)
	flat_store_dwordx2 v[0:1], v[5:6]
	s_endpgm
	.section	.rodata,"a",@progbits
	.p2align	6, 0x0
	.amdhsa_kernel _ZN7rocprim17ROCPRIM_400000_NS6detail17trampoline_kernelINS0_14default_configENS1_25transform_config_selectorIxLb0EEEZNS1_14transform_implILb0ES3_S5_PxN6thrust23THRUST_200600_302600_NS6detail15normal_iteratorINS9_10device_ptrIxEEEENS0_8identityIxEEEE10hipError_tT2_T3_mT4_P12ihipStream_tbEUlT_E_NS1_11comp_targetILNS1_3genE8ELNS1_11target_archE1030ELNS1_3gpuE2ELNS1_3repE0EEENS1_30default_config_static_selectorELNS0_4arch9wavefront6targetE0EEEvT1_
		.amdhsa_group_segment_fixed_size 0
		.amdhsa_private_segment_fixed_size 0
		.amdhsa_kernarg_size 296
		.amdhsa_user_sgpr_count 6
		.amdhsa_user_sgpr_private_segment_buffer 1
		.amdhsa_user_sgpr_dispatch_ptr 0
		.amdhsa_user_sgpr_queue_ptr 0
		.amdhsa_user_sgpr_kernarg_segment_ptr 1
		.amdhsa_user_sgpr_dispatch_id 0
		.amdhsa_user_sgpr_flat_scratch_init 0
		.amdhsa_user_sgpr_private_segment_size 0
		.amdhsa_wavefront_size32 1
		.amdhsa_uses_dynamic_stack 0
		.amdhsa_system_sgpr_private_segment_wavefront_offset 0
		.amdhsa_system_sgpr_workgroup_id_x 1
		.amdhsa_system_sgpr_workgroup_id_y 0
		.amdhsa_system_sgpr_workgroup_id_z 0
		.amdhsa_system_sgpr_workgroup_info 0
		.amdhsa_system_vgpr_workitem_id 0
		.amdhsa_next_free_vgpr 8
		.amdhsa_next_free_sgpr 16
		.amdhsa_reserve_vcc 1
		.amdhsa_reserve_flat_scratch 0
		.amdhsa_float_round_mode_32 0
		.amdhsa_float_round_mode_16_64 0
		.amdhsa_float_denorm_mode_32 3
		.amdhsa_float_denorm_mode_16_64 3
		.amdhsa_dx10_clamp 1
		.amdhsa_ieee_mode 1
		.amdhsa_fp16_overflow 0
		.amdhsa_workgroup_processor_mode 1
		.amdhsa_memory_ordered 1
		.amdhsa_forward_progress 1
		.amdhsa_shared_vgpr_count 0
		.amdhsa_exception_fp_ieee_invalid_op 0
		.amdhsa_exception_fp_denorm_src 0
		.amdhsa_exception_fp_ieee_div_zero 0
		.amdhsa_exception_fp_ieee_overflow 0
		.amdhsa_exception_fp_ieee_underflow 0
		.amdhsa_exception_fp_ieee_inexact 0
		.amdhsa_exception_int_div_zero 0
	.end_amdhsa_kernel
	.section	.text._ZN7rocprim17ROCPRIM_400000_NS6detail17trampoline_kernelINS0_14default_configENS1_25transform_config_selectorIxLb0EEEZNS1_14transform_implILb0ES3_S5_PxN6thrust23THRUST_200600_302600_NS6detail15normal_iteratorINS9_10device_ptrIxEEEENS0_8identityIxEEEE10hipError_tT2_T3_mT4_P12ihipStream_tbEUlT_E_NS1_11comp_targetILNS1_3genE8ELNS1_11target_archE1030ELNS1_3gpuE2ELNS1_3repE0EEENS1_30default_config_static_selectorELNS0_4arch9wavefront6targetE0EEEvT1_,"axG",@progbits,_ZN7rocprim17ROCPRIM_400000_NS6detail17trampoline_kernelINS0_14default_configENS1_25transform_config_selectorIxLb0EEEZNS1_14transform_implILb0ES3_S5_PxN6thrust23THRUST_200600_302600_NS6detail15normal_iteratorINS9_10device_ptrIxEEEENS0_8identityIxEEEE10hipError_tT2_T3_mT4_P12ihipStream_tbEUlT_E_NS1_11comp_targetILNS1_3genE8ELNS1_11target_archE1030ELNS1_3gpuE2ELNS1_3repE0EEENS1_30default_config_static_selectorELNS0_4arch9wavefront6targetE0EEEvT1_,comdat
.Lfunc_end392:
	.size	_ZN7rocprim17ROCPRIM_400000_NS6detail17trampoline_kernelINS0_14default_configENS1_25transform_config_selectorIxLb0EEEZNS1_14transform_implILb0ES3_S5_PxN6thrust23THRUST_200600_302600_NS6detail15normal_iteratorINS9_10device_ptrIxEEEENS0_8identityIxEEEE10hipError_tT2_T3_mT4_P12ihipStream_tbEUlT_E_NS1_11comp_targetILNS1_3genE8ELNS1_11target_archE1030ELNS1_3gpuE2ELNS1_3repE0EEENS1_30default_config_static_selectorELNS0_4arch9wavefront6targetE0EEEvT1_, .Lfunc_end392-_ZN7rocprim17ROCPRIM_400000_NS6detail17trampoline_kernelINS0_14default_configENS1_25transform_config_selectorIxLb0EEEZNS1_14transform_implILb0ES3_S5_PxN6thrust23THRUST_200600_302600_NS6detail15normal_iteratorINS9_10device_ptrIxEEEENS0_8identityIxEEEE10hipError_tT2_T3_mT4_P12ihipStream_tbEUlT_E_NS1_11comp_targetILNS1_3genE8ELNS1_11target_archE1030ELNS1_3gpuE2ELNS1_3repE0EEENS1_30default_config_static_selectorELNS0_4arch9wavefront6targetE0EEEvT1_
                                        ; -- End function
	.set _ZN7rocprim17ROCPRIM_400000_NS6detail17trampoline_kernelINS0_14default_configENS1_25transform_config_selectorIxLb0EEEZNS1_14transform_implILb0ES3_S5_PxN6thrust23THRUST_200600_302600_NS6detail15normal_iteratorINS9_10device_ptrIxEEEENS0_8identityIxEEEE10hipError_tT2_T3_mT4_P12ihipStream_tbEUlT_E_NS1_11comp_targetILNS1_3genE8ELNS1_11target_archE1030ELNS1_3gpuE2ELNS1_3repE0EEENS1_30default_config_static_selectorELNS0_4arch9wavefront6targetE0EEEvT1_.num_vgpr, 8
	.set _ZN7rocprim17ROCPRIM_400000_NS6detail17trampoline_kernelINS0_14default_configENS1_25transform_config_selectorIxLb0EEEZNS1_14transform_implILb0ES3_S5_PxN6thrust23THRUST_200600_302600_NS6detail15normal_iteratorINS9_10device_ptrIxEEEENS0_8identityIxEEEE10hipError_tT2_T3_mT4_P12ihipStream_tbEUlT_E_NS1_11comp_targetILNS1_3genE8ELNS1_11target_archE1030ELNS1_3gpuE2ELNS1_3repE0EEENS1_30default_config_static_selectorELNS0_4arch9wavefront6targetE0EEEvT1_.num_agpr, 0
	.set _ZN7rocprim17ROCPRIM_400000_NS6detail17trampoline_kernelINS0_14default_configENS1_25transform_config_selectorIxLb0EEEZNS1_14transform_implILb0ES3_S5_PxN6thrust23THRUST_200600_302600_NS6detail15normal_iteratorINS9_10device_ptrIxEEEENS0_8identityIxEEEE10hipError_tT2_T3_mT4_P12ihipStream_tbEUlT_E_NS1_11comp_targetILNS1_3genE8ELNS1_11target_archE1030ELNS1_3gpuE2ELNS1_3repE0EEENS1_30default_config_static_selectorELNS0_4arch9wavefront6targetE0EEEvT1_.numbered_sgpr, 16
	.set _ZN7rocprim17ROCPRIM_400000_NS6detail17trampoline_kernelINS0_14default_configENS1_25transform_config_selectorIxLb0EEEZNS1_14transform_implILb0ES3_S5_PxN6thrust23THRUST_200600_302600_NS6detail15normal_iteratorINS9_10device_ptrIxEEEENS0_8identityIxEEEE10hipError_tT2_T3_mT4_P12ihipStream_tbEUlT_E_NS1_11comp_targetILNS1_3genE8ELNS1_11target_archE1030ELNS1_3gpuE2ELNS1_3repE0EEENS1_30default_config_static_selectorELNS0_4arch9wavefront6targetE0EEEvT1_.num_named_barrier, 0
	.set _ZN7rocprim17ROCPRIM_400000_NS6detail17trampoline_kernelINS0_14default_configENS1_25transform_config_selectorIxLb0EEEZNS1_14transform_implILb0ES3_S5_PxN6thrust23THRUST_200600_302600_NS6detail15normal_iteratorINS9_10device_ptrIxEEEENS0_8identityIxEEEE10hipError_tT2_T3_mT4_P12ihipStream_tbEUlT_E_NS1_11comp_targetILNS1_3genE8ELNS1_11target_archE1030ELNS1_3gpuE2ELNS1_3repE0EEENS1_30default_config_static_selectorELNS0_4arch9wavefront6targetE0EEEvT1_.private_seg_size, 0
	.set _ZN7rocprim17ROCPRIM_400000_NS6detail17trampoline_kernelINS0_14default_configENS1_25transform_config_selectorIxLb0EEEZNS1_14transform_implILb0ES3_S5_PxN6thrust23THRUST_200600_302600_NS6detail15normal_iteratorINS9_10device_ptrIxEEEENS0_8identityIxEEEE10hipError_tT2_T3_mT4_P12ihipStream_tbEUlT_E_NS1_11comp_targetILNS1_3genE8ELNS1_11target_archE1030ELNS1_3gpuE2ELNS1_3repE0EEENS1_30default_config_static_selectorELNS0_4arch9wavefront6targetE0EEEvT1_.uses_vcc, 1
	.set _ZN7rocprim17ROCPRIM_400000_NS6detail17trampoline_kernelINS0_14default_configENS1_25transform_config_selectorIxLb0EEEZNS1_14transform_implILb0ES3_S5_PxN6thrust23THRUST_200600_302600_NS6detail15normal_iteratorINS9_10device_ptrIxEEEENS0_8identityIxEEEE10hipError_tT2_T3_mT4_P12ihipStream_tbEUlT_E_NS1_11comp_targetILNS1_3genE8ELNS1_11target_archE1030ELNS1_3gpuE2ELNS1_3repE0EEENS1_30default_config_static_selectorELNS0_4arch9wavefront6targetE0EEEvT1_.uses_flat_scratch, 0
	.set _ZN7rocprim17ROCPRIM_400000_NS6detail17trampoline_kernelINS0_14default_configENS1_25transform_config_selectorIxLb0EEEZNS1_14transform_implILb0ES3_S5_PxN6thrust23THRUST_200600_302600_NS6detail15normal_iteratorINS9_10device_ptrIxEEEENS0_8identityIxEEEE10hipError_tT2_T3_mT4_P12ihipStream_tbEUlT_E_NS1_11comp_targetILNS1_3genE8ELNS1_11target_archE1030ELNS1_3gpuE2ELNS1_3repE0EEENS1_30default_config_static_selectorELNS0_4arch9wavefront6targetE0EEEvT1_.has_dyn_sized_stack, 0
	.set _ZN7rocprim17ROCPRIM_400000_NS6detail17trampoline_kernelINS0_14default_configENS1_25transform_config_selectorIxLb0EEEZNS1_14transform_implILb0ES3_S5_PxN6thrust23THRUST_200600_302600_NS6detail15normal_iteratorINS9_10device_ptrIxEEEENS0_8identityIxEEEE10hipError_tT2_T3_mT4_P12ihipStream_tbEUlT_E_NS1_11comp_targetILNS1_3genE8ELNS1_11target_archE1030ELNS1_3gpuE2ELNS1_3repE0EEENS1_30default_config_static_selectorELNS0_4arch9wavefront6targetE0EEEvT1_.has_recursion, 0
	.set _ZN7rocprim17ROCPRIM_400000_NS6detail17trampoline_kernelINS0_14default_configENS1_25transform_config_selectorIxLb0EEEZNS1_14transform_implILb0ES3_S5_PxN6thrust23THRUST_200600_302600_NS6detail15normal_iteratorINS9_10device_ptrIxEEEENS0_8identityIxEEEE10hipError_tT2_T3_mT4_P12ihipStream_tbEUlT_E_NS1_11comp_targetILNS1_3genE8ELNS1_11target_archE1030ELNS1_3gpuE2ELNS1_3repE0EEENS1_30default_config_static_selectorELNS0_4arch9wavefront6targetE0EEEvT1_.has_indirect_call, 0
	.section	.AMDGPU.csdata,"",@progbits
; Kernel info:
; codeLenInByte = 444
; TotalNumSgprs: 18
; NumVgprs: 8
; ScratchSize: 0
; MemoryBound: 0
; FloatMode: 240
; IeeeMode: 1
; LDSByteSize: 0 bytes/workgroup (compile time only)
; SGPRBlocks: 0
; VGPRBlocks: 0
; NumSGPRsForWavesPerEU: 18
; NumVGPRsForWavesPerEU: 8
; Occupancy: 16
; WaveLimiterHint : 1
; COMPUTE_PGM_RSRC2:SCRATCH_EN: 0
; COMPUTE_PGM_RSRC2:USER_SGPR: 6
; COMPUTE_PGM_RSRC2:TRAP_HANDLER: 0
; COMPUTE_PGM_RSRC2:TGID_X_EN: 1
; COMPUTE_PGM_RSRC2:TGID_Y_EN: 0
; COMPUTE_PGM_RSRC2:TGID_Z_EN: 0
; COMPUTE_PGM_RSRC2:TIDIG_COMP_CNT: 0
	.section	.text._ZN7rocprim17ROCPRIM_400000_NS6detail17trampoline_kernelINS0_14default_configENS1_22reduce_config_selectorIN6thrust23THRUST_200600_302600_NS5tupleIblNS6_9null_typeES8_S8_S8_S8_S8_S8_S8_EEEEZNS1_11reduce_implILb1ES3_NS6_12zip_iteratorINS7_INS6_11hip_rocprim26transform_input_iterator_tIbNSD_35transform_pair_of_input_iterators_tIbNS6_6detail15normal_iteratorINS6_10device_ptrIKxEEEESL_NS6_8equal_toIxEEEENSG_9not_fun_tINSD_8identityEEEEENSD_19counting_iterator_tIlEES8_S8_S8_S8_S8_S8_S8_S8_EEEEPS9_S9_NSD_9__find_if7functorIS9_EEEE10hipError_tPvRmT1_T2_T3_mT4_P12ihipStream_tbEUlT_E0_NS1_11comp_targetILNS1_3genE0ELNS1_11target_archE4294967295ELNS1_3gpuE0ELNS1_3repE0EEENS1_30default_config_static_selectorELNS0_4arch9wavefront6targetE0EEEvS14_,"axG",@progbits,_ZN7rocprim17ROCPRIM_400000_NS6detail17trampoline_kernelINS0_14default_configENS1_22reduce_config_selectorIN6thrust23THRUST_200600_302600_NS5tupleIblNS6_9null_typeES8_S8_S8_S8_S8_S8_S8_EEEEZNS1_11reduce_implILb1ES3_NS6_12zip_iteratorINS7_INS6_11hip_rocprim26transform_input_iterator_tIbNSD_35transform_pair_of_input_iterators_tIbNS6_6detail15normal_iteratorINS6_10device_ptrIKxEEEESL_NS6_8equal_toIxEEEENSG_9not_fun_tINSD_8identityEEEEENSD_19counting_iterator_tIlEES8_S8_S8_S8_S8_S8_S8_S8_EEEEPS9_S9_NSD_9__find_if7functorIS9_EEEE10hipError_tPvRmT1_T2_T3_mT4_P12ihipStream_tbEUlT_E0_NS1_11comp_targetILNS1_3genE0ELNS1_11target_archE4294967295ELNS1_3gpuE0ELNS1_3repE0EEENS1_30default_config_static_selectorELNS0_4arch9wavefront6targetE0EEEvS14_,comdat
	.protected	_ZN7rocprim17ROCPRIM_400000_NS6detail17trampoline_kernelINS0_14default_configENS1_22reduce_config_selectorIN6thrust23THRUST_200600_302600_NS5tupleIblNS6_9null_typeES8_S8_S8_S8_S8_S8_S8_EEEEZNS1_11reduce_implILb1ES3_NS6_12zip_iteratorINS7_INS6_11hip_rocprim26transform_input_iterator_tIbNSD_35transform_pair_of_input_iterators_tIbNS6_6detail15normal_iteratorINS6_10device_ptrIKxEEEESL_NS6_8equal_toIxEEEENSG_9not_fun_tINSD_8identityEEEEENSD_19counting_iterator_tIlEES8_S8_S8_S8_S8_S8_S8_S8_EEEEPS9_S9_NSD_9__find_if7functorIS9_EEEE10hipError_tPvRmT1_T2_T3_mT4_P12ihipStream_tbEUlT_E0_NS1_11comp_targetILNS1_3genE0ELNS1_11target_archE4294967295ELNS1_3gpuE0ELNS1_3repE0EEENS1_30default_config_static_selectorELNS0_4arch9wavefront6targetE0EEEvS14_ ; -- Begin function _ZN7rocprim17ROCPRIM_400000_NS6detail17trampoline_kernelINS0_14default_configENS1_22reduce_config_selectorIN6thrust23THRUST_200600_302600_NS5tupleIblNS6_9null_typeES8_S8_S8_S8_S8_S8_S8_EEEEZNS1_11reduce_implILb1ES3_NS6_12zip_iteratorINS7_INS6_11hip_rocprim26transform_input_iterator_tIbNSD_35transform_pair_of_input_iterators_tIbNS6_6detail15normal_iteratorINS6_10device_ptrIKxEEEESL_NS6_8equal_toIxEEEENSG_9not_fun_tINSD_8identityEEEEENSD_19counting_iterator_tIlEES8_S8_S8_S8_S8_S8_S8_S8_EEEEPS9_S9_NSD_9__find_if7functorIS9_EEEE10hipError_tPvRmT1_T2_T3_mT4_P12ihipStream_tbEUlT_E0_NS1_11comp_targetILNS1_3genE0ELNS1_11target_archE4294967295ELNS1_3gpuE0ELNS1_3repE0EEENS1_30default_config_static_selectorELNS0_4arch9wavefront6targetE0EEEvS14_
	.globl	_ZN7rocprim17ROCPRIM_400000_NS6detail17trampoline_kernelINS0_14default_configENS1_22reduce_config_selectorIN6thrust23THRUST_200600_302600_NS5tupleIblNS6_9null_typeES8_S8_S8_S8_S8_S8_S8_EEEEZNS1_11reduce_implILb1ES3_NS6_12zip_iteratorINS7_INS6_11hip_rocprim26transform_input_iterator_tIbNSD_35transform_pair_of_input_iterators_tIbNS6_6detail15normal_iteratorINS6_10device_ptrIKxEEEESL_NS6_8equal_toIxEEEENSG_9not_fun_tINSD_8identityEEEEENSD_19counting_iterator_tIlEES8_S8_S8_S8_S8_S8_S8_S8_EEEEPS9_S9_NSD_9__find_if7functorIS9_EEEE10hipError_tPvRmT1_T2_T3_mT4_P12ihipStream_tbEUlT_E0_NS1_11comp_targetILNS1_3genE0ELNS1_11target_archE4294967295ELNS1_3gpuE0ELNS1_3repE0EEENS1_30default_config_static_selectorELNS0_4arch9wavefront6targetE0EEEvS14_
	.p2align	8
	.type	_ZN7rocprim17ROCPRIM_400000_NS6detail17trampoline_kernelINS0_14default_configENS1_22reduce_config_selectorIN6thrust23THRUST_200600_302600_NS5tupleIblNS6_9null_typeES8_S8_S8_S8_S8_S8_S8_EEEEZNS1_11reduce_implILb1ES3_NS6_12zip_iteratorINS7_INS6_11hip_rocprim26transform_input_iterator_tIbNSD_35transform_pair_of_input_iterators_tIbNS6_6detail15normal_iteratorINS6_10device_ptrIKxEEEESL_NS6_8equal_toIxEEEENSG_9not_fun_tINSD_8identityEEEEENSD_19counting_iterator_tIlEES8_S8_S8_S8_S8_S8_S8_S8_EEEEPS9_S9_NSD_9__find_if7functorIS9_EEEE10hipError_tPvRmT1_T2_T3_mT4_P12ihipStream_tbEUlT_E0_NS1_11comp_targetILNS1_3genE0ELNS1_11target_archE4294967295ELNS1_3gpuE0ELNS1_3repE0EEENS1_30default_config_static_selectorELNS0_4arch9wavefront6targetE0EEEvS14_,@function
_ZN7rocprim17ROCPRIM_400000_NS6detail17trampoline_kernelINS0_14default_configENS1_22reduce_config_selectorIN6thrust23THRUST_200600_302600_NS5tupleIblNS6_9null_typeES8_S8_S8_S8_S8_S8_S8_EEEEZNS1_11reduce_implILb1ES3_NS6_12zip_iteratorINS7_INS6_11hip_rocprim26transform_input_iterator_tIbNSD_35transform_pair_of_input_iterators_tIbNS6_6detail15normal_iteratorINS6_10device_ptrIKxEEEESL_NS6_8equal_toIxEEEENSG_9not_fun_tINSD_8identityEEEEENSD_19counting_iterator_tIlEES8_S8_S8_S8_S8_S8_S8_S8_EEEEPS9_S9_NSD_9__find_if7functorIS9_EEEE10hipError_tPvRmT1_T2_T3_mT4_P12ihipStream_tbEUlT_E0_NS1_11comp_targetILNS1_3genE0ELNS1_11target_archE4294967295ELNS1_3gpuE0ELNS1_3repE0EEENS1_30default_config_static_selectorELNS0_4arch9wavefront6targetE0EEEvS14_: ; @_ZN7rocprim17ROCPRIM_400000_NS6detail17trampoline_kernelINS0_14default_configENS1_22reduce_config_selectorIN6thrust23THRUST_200600_302600_NS5tupleIblNS6_9null_typeES8_S8_S8_S8_S8_S8_S8_EEEEZNS1_11reduce_implILb1ES3_NS6_12zip_iteratorINS7_INS6_11hip_rocprim26transform_input_iterator_tIbNSD_35transform_pair_of_input_iterators_tIbNS6_6detail15normal_iteratorINS6_10device_ptrIKxEEEESL_NS6_8equal_toIxEEEENSG_9not_fun_tINSD_8identityEEEEENSD_19counting_iterator_tIlEES8_S8_S8_S8_S8_S8_S8_S8_EEEEPS9_S9_NSD_9__find_if7functorIS9_EEEE10hipError_tPvRmT1_T2_T3_mT4_P12ihipStream_tbEUlT_E0_NS1_11comp_targetILNS1_3genE0ELNS1_11target_archE4294967295ELNS1_3gpuE0ELNS1_3repE0EEENS1_30default_config_static_selectorELNS0_4arch9wavefront6targetE0EEEvS14_
; %bb.0:
	.section	.rodata,"a",@progbits
	.p2align	6, 0x0
	.amdhsa_kernel _ZN7rocprim17ROCPRIM_400000_NS6detail17trampoline_kernelINS0_14default_configENS1_22reduce_config_selectorIN6thrust23THRUST_200600_302600_NS5tupleIblNS6_9null_typeES8_S8_S8_S8_S8_S8_S8_EEEEZNS1_11reduce_implILb1ES3_NS6_12zip_iteratorINS7_INS6_11hip_rocprim26transform_input_iterator_tIbNSD_35transform_pair_of_input_iterators_tIbNS6_6detail15normal_iteratorINS6_10device_ptrIKxEEEESL_NS6_8equal_toIxEEEENSG_9not_fun_tINSD_8identityEEEEENSD_19counting_iterator_tIlEES8_S8_S8_S8_S8_S8_S8_S8_EEEEPS9_S9_NSD_9__find_if7functorIS9_EEEE10hipError_tPvRmT1_T2_T3_mT4_P12ihipStream_tbEUlT_E0_NS1_11comp_targetILNS1_3genE0ELNS1_11target_archE4294967295ELNS1_3gpuE0ELNS1_3repE0EEENS1_30default_config_static_selectorELNS0_4arch9wavefront6targetE0EEEvS14_
		.amdhsa_group_segment_fixed_size 0
		.amdhsa_private_segment_fixed_size 0
		.amdhsa_kernarg_size 104
		.amdhsa_user_sgpr_count 6
		.amdhsa_user_sgpr_private_segment_buffer 1
		.amdhsa_user_sgpr_dispatch_ptr 0
		.amdhsa_user_sgpr_queue_ptr 0
		.amdhsa_user_sgpr_kernarg_segment_ptr 1
		.amdhsa_user_sgpr_dispatch_id 0
		.amdhsa_user_sgpr_flat_scratch_init 0
		.amdhsa_user_sgpr_private_segment_size 0
		.amdhsa_wavefront_size32 1
		.amdhsa_uses_dynamic_stack 0
		.amdhsa_system_sgpr_private_segment_wavefront_offset 0
		.amdhsa_system_sgpr_workgroup_id_x 1
		.amdhsa_system_sgpr_workgroup_id_y 0
		.amdhsa_system_sgpr_workgroup_id_z 0
		.amdhsa_system_sgpr_workgroup_info 0
		.amdhsa_system_vgpr_workitem_id 0
		.amdhsa_next_free_vgpr 1
		.amdhsa_next_free_sgpr 1
		.amdhsa_reserve_vcc 0
		.amdhsa_reserve_flat_scratch 0
		.amdhsa_float_round_mode_32 0
		.amdhsa_float_round_mode_16_64 0
		.amdhsa_float_denorm_mode_32 3
		.amdhsa_float_denorm_mode_16_64 3
		.amdhsa_dx10_clamp 1
		.amdhsa_ieee_mode 1
		.amdhsa_fp16_overflow 0
		.amdhsa_workgroup_processor_mode 1
		.amdhsa_memory_ordered 1
		.amdhsa_forward_progress 1
		.amdhsa_shared_vgpr_count 0
		.amdhsa_exception_fp_ieee_invalid_op 0
		.amdhsa_exception_fp_denorm_src 0
		.amdhsa_exception_fp_ieee_div_zero 0
		.amdhsa_exception_fp_ieee_overflow 0
		.amdhsa_exception_fp_ieee_underflow 0
		.amdhsa_exception_fp_ieee_inexact 0
		.amdhsa_exception_int_div_zero 0
	.end_amdhsa_kernel
	.section	.text._ZN7rocprim17ROCPRIM_400000_NS6detail17trampoline_kernelINS0_14default_configENS1_22reduce_config_selectorIN6thrust23THRUST_200600_302600_NS5tupleIblNS6_9null_typeES8_S8_S8_S8_S8_S8_S8_EEEEZNS1_11reduce_implILb1ES3_NS6_12zip_iteratorINS7_INS6_11hip_rocprim26transform_input_iterator_tIbNSD_35transform_pair_of_input_iterators_tIbNS6_6detail15normal_iteratorINS6_10device_ptrIKxEEEESL_NS6_8equal_toIxEEEENSG_9not_fun_tINSD_8identityEEEEENSD_19counting_iterator_tIlEES8_S8_S8_S8_S8_S8_S8_S8_EEEEPS9_S9_NSD_9__find_if7functorIS9_EEEE10hipError_tPvRmT1_T2_T3_mT4_P12ihipStream_tbEUlT_E0_NS1_11comp_targetILNS1_3genE0ELNS1_11target_archE4294967295ELNS1_3gpuE0ELNS1_3repE0EEENS1_30default_config_static_selectorELNS0_4arch9wavefront6targetE0EEEvS14_,"axG",@progbits,_ZN7rocprim17ROCPRIM_400000_NS6detail17trampoline_kernelINS0_14default_configENS1_22reduce_config_selectorIN6thrust23THRUST_200600_302600_NS5tupleIblNS6_9null_typeES8_S8_S8_S8_S8_S8_S8_EEEEZNS1_11reduce_implILb1ES3_NS6_12zip_iteratorINS7_INS6_11hip_rocprim26transform_input_iterator_tIbNSD_35transform_pair_of_input_iterators_tIbNS6_6detail15normal_iteratorINS6_10device_ptrIKxEEEESL_NS6_8equal_toIxEEEENSG_9not_fun_tINSD_8identityEEEEENSD_19counting_iterator_tIlEES8_S8_S8_S8_S8_S8_S8_S8_EEEEPS9_S9_NSD_9__find_if7functorIS9_EEEE10hipError_tPvRmT1_T2_T3_mT4_P12ihipStream_tbEUlT_E0_NS1_11comp_targetILNS1_3genE0ELNS1_11target_archE4294967295ELNS1_3gpuE0ELNS1_3repE0EEENS1_30default_config_static_selectorELNS0_4arch9wavefront6targetE0EEEvS14_,comdat
.Lfunc_end393:
	.size	_ZN7rocprim17ROCPRIM_400000_NS6detail17trampoline_kernelINS0_14default_configENS1_22reduce_config_selectorIN6thrust23THRUST_200600_302600_NS5tupleIblNS6_9null_typeES8_S8_S8_S8_S8_S8_S8_EEEEZNS1_11reduce_implILb1ES3_NS6_12zip_iteratorINS7_INS6_11hip_rocprim26transform_input_iterator_tIbNSD_35transform_pair_of_input_iterators_tIbNS6_6detail15normal_iteratorINS6_10device_ptrIKxEEEESL_NS6_8equal_toIxEEEENSG_9not_fun_tINSD_8identityEEEEENSD_19counting_iterator_tIlEES8_S8_S8_S8_S8_S8_S8_S8_EEEEPS9_S9_NSD_9__find_if7functorIS9_EEEE10hipError_tPvRmT1_T2_T3_mT4_P12ihipStream_tbEUlT_E0_NS1_11comp_targetILNS1_3genE0ELNS1_11target_archE4294967295ELNS1_3gpuE0ELNS1_3repE0EEENS1_30default_config_static_selectorELNS0_4arch9wavefront6targetE0EEEvS14_, .Lfunc_end393-_ZN7rocprim17ROCPRIM_400000_NS6detail17trampoline_kernelINS0_14default_configENS1_22reduce_config_selectorIN6thrust23THRUST_200600_302600_NS5tupleIblNS6_9null_typeES8_S8_S8_S8_S8_S8_S8_EEEEZNS1_11reduce_implILb1ES3_NS6_12zip_iteratorINS7_INS6_11hip_rocprim26transform_input_iterator_tIbNSD_35transform_pair_of_input_iterators_tIbNS6_6detail15normal_iteratorINS6_10device_ptrIKxEEEESL_NS6_8equal_toIxEEEENSG_9not_fun_tINSD_8identityEEEEENSD_19counting_iterator_tIlEES8_S8_S8_S8_S8_S8_S8_S8_EEEEPS9_S9_NSD_9__find_if7functorIS9_EEEE10hipError_tPvRmT1_T2_T3_mT4_P12ihipStream_tbEUlT_E0_NS1_11comp_targetILNS1_3genE0ELNS1_11target_archE4294967295ELNS1_3gpuE0ELNS1_3repE0EEENS1_30default_config_static_selectorELNS0_4arch9wavefront6targetE0EEEvS14_
                                        ; -- End function
	.set _ZN7rocprim17ROCPRIM_400000_NS6detail17trampoline_kernelINS0_14default_configENS1_22reduce_config_selectorIN6thrust23THRUST_200600_302600_NS5tupleIblNS6_9null_typeES8_S8_S8_S8_S8_S8_S8_EEEEZNS1_11reduce_implILb1ES3_NS6_12zip_iteratorINS7_INS6_11hip_rocprim26transform_input_iterator_tIbNSD_35transform_pair_of_input_iterators_tIbNS6_6detail15normal_iteratorINS6_10device_ptrIKxEEEESL_NS6_8equal_toIxEEEENSG_9not_fun_tINSD_8identityEEEEENSD_19counting_iterator_tIlEES8_S8_S8_S8_S8_S8_S8_S8_EEEEPS9_S9_NSD_9__find_if7functorIS9_EEEE10hipError_tPvRmT1_T2_T3_mT4_P12ihipStream_tbEUlT_E0_NS1_11comp_targetILNS1_3genE0ELNS1_11target_archE4294967295ELNS1_3gpuE0ELNS1_3repE0EEENS1_30default_config_static_selectorELNS0_4arch9wavefront6targetE0EEEvS14_.num_vgpr, 0
	.set _ZN7rocprim17ROCPRIM_400000_NS6detail17trampoline_kernelINS0_14default_configENS1_22reduce_config_selectorIN6thrust23THRUST_200600_302600_NS5tupleIblNS6_9null_typeES8_S8_S8_S8_S8_S8_S8_EEEEZNS1_11reduce_implILb1ES3_NS6_12zip_iteratorINS7_INS6_11hip_rocprim26transform_input_iterator_tIbNSD_35transform_pair_of_input_iterators_tIbNS6_6detail15normal_iteratorINS6_10device_ptrIKxEEEESL_NS6_8equal_toIxEEEENSG_9not_fun_tINSD_8identityEEEEENSD_19counting_iterator_tIlEES8_S8_S8_S8_S8_S8_S8_S8_EEEEPS9_S9_NSD_9__find_if7functorIS9_EEEE10hipError_tPvRmT1_T2_T3_mT4_P12ihipStream_tbEUlT_E0_NS1_11comp_targetILNS1_3genE0ELNS1_11target_archE4294967295ELNS1_3gpuE0ELNS1_3repE0EEENS1_30default_config_static_selectorELNS0_4arch9wavefront6targetE0EEEvS14_.num_agpr, 0
	.set _ZN7rocprim17ROCPRIM_400000_NS6detail17trampoline_kernelINS0_14default_configENS1_22reduce_config_selectorIN6thrust23THRUST_200600_302600_NS5tupleIblNS6_9null_typeES8_S8_S8_S8_S8_S8_S8_EEEEZNS1_11reduce_implILb1ES3_NS6_12zip_iteratorINS7_INS6_11hip_rocprim26transform_input_iterator_tIbNSD_35transform_pair_of_input_iterators_tIbNS6_6detail15normal_iteratorINS6_10device_ptrIKxEEEESL_NS6_8equal_toIxEEEENSG_9not_fun_tINSD_8identityEEEEENSD_19counting_iterator_tIlEES8_S8_S8_S8_S8_S8_S8_S8_EEEEPS9_S9_NSD_9__find_if7functorIS9_EEEE10hipError_tPvRmT1_T2_T3_mT4_P12ihipStream_tbEUlT_E0_NS1_11comp_targetILNS1_3genE0ELNS1_11target_archE4294967295ELNS1_3gpuE0ELNS1_3repE0EEENS1_30default_config_static_selectorELNS0_4arch9wavefront6targetE0EEEvS14_.numbered_sgpr, 0
	.set _ZN7rocprim17ROCPRIM_400000_NS6detail17trampoline_kernelINS0_14default_configENS1_22reduce_config_selectorIN6thrust23THRUST_200600_302600_NS5tupleIblNS6_9null_typeES8_S8_S8_S8_S8_S8_S8_EEEEZNS1_11reduce_implILb1ES3_NS6_12zip_iteratorINS7_INS6_11hip_rocprim26transform_input_iterator_tIbNSD_35transform_pair_of_input_iterators_tIbNS6_6detail15normal_iteratorINS6_10device_ptrIKxEEEESL_NS6_8equal_toIxEEEENSG_9not_fun_tINSD_8identityEEEEENSD_19counting_iterator_tIlEES8_S8_S8_S8_S8_S8_S8_S8_EEEEPS9_S9_NSD_9__find_if7functorIS9_EEEE10hipError_tPvRmT1_T2_T3_mT4_P12ihipStream_tbEUlT_E0_NS1_11comp_targetILNS1_3genE0ELNS1_11target_archE4294967295ELNS1_3gpuE0ELNS1_3repE0EEENS1_30default_config_static_selectorELNS0_4arch9wavefront6targetE0EEEvS14_.num_named_barrier, 0
	.set _ZN7rocprim17ROCPRIM_400000_NS6detail17trampoline_kernelINS0_14default_configENS1_22reduce_config_selectorIN6thrust23THRUST_200600_302600_NS5tupleIblNS6_9null_typeES8_S8_S8_S8_S8_S8_S8_EEEEZNS1_11reduce_implILb1ES3_NS6_12zip_iteratorINS7_INS6_11hip_rocprim26transform_input_iterator_tIbNSD_35transform_pair_of_input_iterators_tIbNS6_6detail15normal_iteratorINS6_10device_ptrIKxEEEESL_NS6_8equal_toIxEEEENSG_9not_fun_tINSD_8identityEEEEENSD_19counting_iterator_tIlEES8_S8_S8_S8_S8_S8_S8_S8_EEEEPS9_S9_NSD_9__find_if7functorIS9_EEEE10hipError_tPvRmT1_T2_T3_mT4_P12ihipStream_tbEUlT_E0_NS1_11comp_targetILNS1_3genE0ELNS1_11target_archE4294967295ELNS1_3gpuE0ELNS1_3repE0EEENS1_30default_config_static_selectorELNS0_4arch9wavefront6targetE0EEEvS14_.private_seg_size, 0
	.set _ZN7rocprim17ROCPRIM_400000_NS6detail17trampoline_kernelINS0_14default_configENS1_22reduce_config_selectorIN6thrust23THRUST_200600_302600_NS5tupleIblNS6_9null_typeES8_S8_S8_S8_S8_S8_S8_EEEEZNS1_11reduce_implILb1ES3_NS6_12zip_iteratorINS7_INS6_11hip_rocprim26transform_input_iterator_tIbNSD_35transform_pair_of_input_iterators_tIbNS6_6detail15normal_iteratorINS6_10device_ptrIKxEEEESL_NS6_8equal_toIxEEEENSG_9not_fun_tINSD_8identityEEEEENSD_19counting_iterator_tIlEES8_S8_S8_S8_S8_S8_S8_S8_EEEEPS9_S9_NSD_9__find_if7functorIS9_EEEE10hipError_tPvRmT1_T2_T3_mT4_P12ihipStream_tbEUlT_E0_NS1_11comp_targetILNS1_3genE0ELNS1_11target_archE4294967295ELNS1_3gpuE0ELNS1_3repE0EEENS1_30default_config_static_selectorELNS0_4arch9wavefront6targetE0EEEvS14_.uses_vcc, 0
	.set _ZN7rocprim17ROCPRIM_400000_NS6detail17trampoline_kernelINS0_14default_configENS1_22reduce_config_selectorIN6thrust23THRUST_200600_302600_NS5tupleIblNS6_9null_typeES8_S8_S8_S8_S8_S8_S8_EEEEZNS1_11reduce_implILb1ES3_NS6_12zip_iteratorINS7_INS6_11hip_rocprim26transform_input_iterator_tIbNSD_35transform_pair_of_input_iterators_tIbNS6_6detail15normal_iteratorINS6_10device_ptrIKxEEEESL_NS6_8equal_toIxEEEENSG_9not_fun_tINSD_8identityEEEEENSD_19counting_iterator_tIlEES8_S8_S8_S8_S8_S8_S8_S8_EEEEPS9_S9_NSD_9__find_if7functorIS9_EEEE10hipError_tPvRmT1_T2_T3_mT4_P12ihipStream_tbEUlT_E0_NS1_11comp_targetILNS1_3genE0ELNS1_11target_archE4294967295ELNS1_3gpuE0ELNS1_3repE0EEENS1_30default_config_static_selectorELNS0_4arch9wavefront6targetE0EEEvS14_.uses_flat_scratch, 0
	.set _ZN7rocprim17ROCPRIM_400000_NS6detail17trampoline_kernelINS0_14default_configENS1_22reduce_config_selectorIN6thrust23THRUST_200600_302600_NS5tupleIblNS6_9null_typeES8_S8_S8_S8_S8_S8_S8_EEEEZNS1_11reduce_implILb1ES3_NS6_12zip_iteratorINS7_INS6_11hip_rocprim26transform_input_iterator_tIbNSD_35transform_pair_of_input_iterators_tIbNS6_6detail15normal_iteratorINS6_10device_ptrIKxEEEESL_NS6_8equal_toIxEEEENSG_9not_fun_tINSD_8identityEEEEENSD_19counting_iterator_tIlEES8_S8_S8_S8_S8_S8_S8_S8_EEEEPS9_S9_NSD_9__find_if7functorIS9_EEEE10hipError_tPvRmT1_T2_T3_mT4_P12ihipStream_tbEUlT_E0_NS1_11comp_targetILNS1_3genE0ELNS1_11target_archE4294967295ELNS1_3gpuE0ELNS1_3repE0EEENS1_30default_config_static_selectorELNS0_4arch9wavefront6targetE0EEEvS14_.has_dyn_sized_stack, 0
	.set _ZN7rocprim17ROCPRIM_400000_NS6detail17trampoline_kernelINS0_14default_configENS1_22reduce_config_selectorIN6thrust23THRUST_200600_302600_NS5tupleIblNS6_9null_typeES8_S8_S8_S8_S8_S8_S8_EEEEZNS1_11reduce_implILb1ES3_NS6_12zip_iteratorINS7_INS6_11hip_rocprim26transform_input_iterator_tIbNSD_35transform_pair_of_input_iterators_tIbNS6_6detail15normal_iteratorINS6_10device_ptrIKxEEEESL_NS6_8equal_toIxEEEENSG_9not_fun_tINSD_8identityEEEEENSD_19counting_iterator_tIlEES8_S8_S8_S8_S8_S8_S8_S8_EEEEPS9_S9_NSD_9__find_if7functorIS9_EEEE10hipError_tPvRmT1_T2_T3_mT4_P12ihipStream_tbEUlT_E0_NS1_11comp_targetILNS1_3genE0ELNS1_11target_archE4294967295ELNS1_3gpuE0ELNS1_3repE0EEENS1_30default_config_static_selectorELNS0_4arch9wavefront6targetE0EEEvS14_.has_recursion, 0
	.set _ZN7rocprim17ROCPRIM_400000_NS6detail17trampoline_kernelINS0_14default_configENS1_22reduce_config_selectorIN6thrust23THRUST_200600_302600_NS5tupleIblNS6_9null_typeES8_S8_S8_S8_S8_S8_S8_EEEEZNS1_11reduce_implILb1ES3_NS6_12zip_iteratorINS7_INS6_11hip_rocprim26transform_input_iterator_tIbNSD_35transform_pair_of_input_iterators_tIbNS6_6detail15normal_iteratorINS6_10device_ptrIKxEEEESL_NS6_8equal_toIxEEEENSG_9not_fun_tINSD_8identityEEEEENSD_19counting_iterator_tIlEES8_S8_S8_S8_S8_S8_S8_S8_EEEEPS9_S9_NSD_9__find_if7functorIS9_EEEE10hipError_tPvRmT1_T2_T3_mT4_P12ihipStream_tbEUlT_E0_NS1_11comp_targetILNS1_3genE0ELNS1_11target_archE4294967295ELNS1_3gpuE0ELNS1_3repE0EEENS1_30default_config_static_selectorELNS0_4arch9wavefront6targetE0EEEvS14_.has_indirect_call, 0
	.section	.AMDGPU.csdata,"",@progbits
; Kernel info:
; codeLenInByte = 0
; TotalNumSgprs: 0
; NumVgprs: 0
; ScratchSize: 0
; MemoryBound: 0
; FloatMode: 240
; IeeeMode: 1
; LDSByteSize: 0 bytes/workgroup (compile time only)
; SGPRBlocks: 0
; VGPRBlocks: 0
; NumSGPRsForWavesPerEU: 1
; NumVGPRsForWavesPerEU: 1
; Occupancy: 16
; WaveLimiterHint : 0
; COMPUTE_PGM_RSRC2:SCRATCH_EN: 0
; COMPUTE_PGM_RSRC2:USER_SGPR: 6
; COMPUTE_PGM_RSRC2:TRAP_HANDLER: 0
; COMPUTE_PGM_RSRC2:TGID_X_EN: 1
; COMPUTE_PGM_RSRC2:TGID_Y_EN: 0
; COMPUTE_PGM_RSRC2:TGID_Z_EN: 0
; COMPUTE_PGM_RSRC2:TIDIG_COMP_CNT: 0
	.section	.text._ZN7rocprim17ROCPRIM_400000_NS6detail17trampoline_kernelINS0_14default_configENS1_22reduce_config_selectorIN6thrust23THRUST_200600_302600_NS5tupleIblNS6_9null_typeES8_S8_S8_S8_S8_S8_S8_EEEEZNS1_11reduce_implILb1ES3_NS6_12zip_iteratorINS7_INS6_11hip_rocprim26transform_input_iterator_tIbNSD_35transform_pair_of_input_iterators_tIbNS6_6detail15normal_iteratorINS6_10device_ptrIKxEEEESL_NS6_8equal_toIxEEEENSG_9not_fun_tINSD_8identityEEEEENSD_19counting_iterator_tIlEES8_S8_S8_S8_S8_S8_S8_S8_EEEEPS9_S9_NSD_9__find_if7functorIS9_EEEE10hipError_tPvRmT1_T2_T3_mT4_P12ihipStream_tbEUlT_E0_NS1_11comp_targetILNS1_3genE5ELNS1_11target_archE942ELNS1_3gpuE9ELNS1_3repE0EEENS1_30default_config_static_selectorELNS0_4arch9wavefront6targetE0EEEvS14_,"axG",@progbits,_ZN7rocprim17ROCPRIM_400000_NS6detail17trampoline_kernelINS0_14default_configENS1_22reduce_config_selectorIN6thrust23THRUST_200600_302600_NS5tupleIblNS6_9null_typeES8_S8_S8_S8_S8_S8_S8_EEEEZNS1_11reduce_implILb1ES3_NS6_12zip_iteratorINS7_INS6_11hip_rocprim26transform_input_iterator_tIbNSD_35transform_pair_of_input_iterators_tIbNS6_6detail15normal_iteratorINS6_10device_ptrIKxEEEESL_NS6_8equal_toIxEEEENSG_9not_fun_tINSD_8identityEEEEENSD_19counting_iterator_tIlEES8_S8_S8_S8_S8_S8_S8_S8_EEEEPS9_S9_NSD_9__find_if7functorIS9_EEEE10hipError_tPvRmT1_T2_T3_mT4_P12ihipStream_tbEUlT_E0_NS1_11comp_targetILNS1_3genE5ELNS1_11target_archE942ELNS1_3gpuE9ELNS1_3repE0EEENS1_30default_config_static_selectorELNS0_4arch9wavefront6targetE0EEEvS14_,comdat
	.protected	_ZN7rocprim17ROCPRIM_400000_NS6detail17trampoline_kernelINS0_14default_configENS1_22reduce_config_selectorIN6thrust23THRUST_200600_302600_NS5tupleIblNS6_9null_typeES8_S8_S8_S8_S8_S8_S8_EEEEZNS1_11reduce_implILb1ES3_NS6_12zip_iteratorINS7_INS6_11hip_rocprim26transform_input_iterator_tIbNSD_35transform_pair_of_input_iterators_tIbNS6_6detail15normal_iteratorINS6_10device_ptrIKxEEEESL_NS6_8equal_toIxEEEENSG_9not_fun_tINSD_8identityEEEEENSD_19counting_iterator_tIlEES8_S8_S8_S8_S8_S8_S8_S8_EEEEPS9_S9_NSD_9__find_if7functorIS9_EEEE10hipError_tPvRmT1_T2_T3_mT4_P12ihipStream_tbEUlT_E0_NS1_11comp_targetILNS1_3genE5ELNS1_11target_archE942ELNS1_3gpuE9ELNS1_3repE0EEENS1_30default_config_static_selectorELNS0_4arch9wavefront6targetE0EEEvS14_ ; -- Begin function _ZN7rocprim17ROCPRIM_400000_NS6detail17trampoline_kernelINS0_14default_configENS1_22reduce_config_selectorIN6thrust23THRUST_200600_302600_NS5tupleIblNS6_9null_typeES8_S8_S8_S8_S8_S8_S8_EEEEZNS1_11reduce_implILb1ES3_NS6_12zip_iteratorINS7_INS6_11hip_rocprim26transform_input_iterator_tIbNSD_35transform_pair_of_input_iterators_tIbNS6_6detail15normal_iteratorINS6_10device_ptrIKxEEEESL_NS6_8equal_toIxEEEENSG_9not_fun_tINSD_8identityEEEEENSD_19counting_iterator_tIlEES8_S8_S8_S8_S8_S8_S8_S8_EEEEPS9_S9_NSD_9__find_if7functorIS9_EEEE10hipError_tPvRmT1_T2_T3_mT4_P12ihipStream_tbEUlT_E0_NS1_11comp_targetILNS1_3genE5ELNS1_11target_archE942ELNS1_3gpuE9ELNS1_3repE0EEENS1_30default_config_static_selectorELNS0_4arch9wavefront6targetE0EEEvS14_
	.globl	_ZN7rocprim17ROCPRIM_400000_NS6detail17trampoline_kernelINS0_14default_configENS1_22reduce_config_selectorIN6thrust23THRUST_200600_302600_NS5tupleIblNS6_9null_typeES8_S8_S8_S8_S8_S8_S8_EEEEZNS1_11reduce_implILb1ES3_NS6_12zip_iteratorINS7_INS6_11hip_rocprim26transform_input_iterator_tIbNSD_35transform_pair_of_input_iterators_tIbNS6_6detail15normal_iteratorINS6_10device_ptrIKxEEEESL_NS6_8equal_toIxEEEENSG_9not_fun_tINSD_8identityEEEEENSD_19counting_iterator_tIlEES8_S8_S8_S8_S8_S8_S8_S8_EEEEPS9_S9_NSD_9__find_if7functorIS9_EEEE10hipError_tPvRmT1_T2_T3_mT4_P12ihipStream_tbEUlT_E0_NS1_11comp_targetILNS1_3genE5ELNS1_11target_archE942ELNS1_3gpuE9ELNS1_3repE0EEENS1_30default_config_static_selectorELNS0_4arch9wavefront6targetE0EEEvS14_
	.p2align	8
	.type	_ZN7rocprim17ROCPRIM_400000_NS6detail17trampoline_kernelINS0_14default_configENS1_22reduce_config_selectorIN6thrust23THRUST_200600_302600_NS5tupleIblNS6_9null_typeES8_S8_S8_S8_S8_S8_S8_EEEEZNS1_11reduce_implILb1ES3_NS6_12zip_iteratorINS7_INS6_11hip_rocprim26transform_input_iterator_tIbNSD_35transform_pair_of_input_iterators_tIbNS6_6detail15normal_iteratorINS6_10device_ptrIKxEEEESL_NS6_8equal_toIxEEEENSG_9not_fun_tINSD_8identityEEEEENSD_19counting_iterator_tIlEES8_S8_S8_S8_S8_S8_S8_S8_EEEEPS9_S9_NSD_9__find_if7functorIS9_EEEE10hipError_tPvRmT1_T2_T3_mT4_P12ihipStream_tbEUlT_E0_NS1_11comp_targetILNS1_3genE5ELNS1_11target_archE942ELNS1_3gpuE9ELNS1_3repE0EEENS1_30default_config_static_selectorELNS0_4arch9wavefront6targetE0EEEvS14_,@function
_ZN7rocprim17ROCPRIM_400000_NS6detail17trampoline_kernelINS0_14default_configENS1_22reduce_config_selectorIN6thrust23THRUST_200600_302600_NS5tupleIblNS6_9null_typeES8_S8_S8_S8_S8_S8_S8_EEEEZNS1_11reduce_implILb1ES3_NS6_12zip_iteratorINS7_INS6_11hip_rocprim26transform_input_iterator_tIbNSD_35transform_pair_of_input_iterators_tIbNS6_6detail15normal_iteratorINS6_10device_ptrIKxEEEESL_NS6_8equal_toIxEEEENSG_9not_fun_tINSD_8identityEEEEENSD_19counting_iterator_tIlEES8_S8_S8_S8_S8_S8_S8_S8_EEEEPS9_S9_NSD_9__find_if7functorIS9_EEEE10hipError_tPvRmT1_T2_T3_mT4_P12ihipStream_tbEUlT_E0_NS1_11comp_targetILNS1_3genE5ELNS1_11target_archE942ELNS1_3gpuE9ELNS1_3repE0EEENS1_30default_config_static_selectorELNS0_4arch9wavefront6targetE0EEEvS14_: ; @_ZN7rocprim17ROCPRIM_400000_NS6detail17trampoline_kernelINS0_14default_configENS1_22reduce_config_selectorIN6thrust23THRUST_200600_302600_NS5tupleIblNS6_9null_typeES8_S8_S8_S8_S8_S8_S8_EEEEZNS1_11reduce_implILb1ES3_NS6_12zip_iteratorINS7_INS6_11hip_rocprim26transform_input_iterator_tIbNSD_35transform_pair_of_input_iterators_tIbNS6_6detail15normal_iteratorINS6_10device_ptrIKxEEEESL_NS6_8equal_toIxEEEENSG_9not_fun_tINSD_8identityEEEEENSD_19counting_iterator_tIlEES8_S8_S8_S8_S8_S8_S8_S8_EEEEPS9_S9_NSD_9__find_if7functorIS9_EEEE10hipError_tPvRmT1_T2_T3_mT4_P12ihipStream_tbEUlT_E0_NS1_11comp_targetILNS1_3genE5ELNS1_11target_archE942ELNS1_3gpuE9ELNS1_3repE0EEENS1_30default_config_static_selectorELNS0_4arch9wavefront6targetE0EEEvS14_
; %bb.0:
	.section	.rodata,"a",@progbits
	.p2align	6, 0x0
	.amdhsa_kernel _ZN7rocprim17ROCPRIM_400000_NS6detail17trampoline_kernelINS0_14default_configENS1_22reduce_config_selectorIN6thrust23THRUST_200600_302600_NS5tupleIblNS6_9null_typeES8_S8_S8_S8_S8_S8_S8_EEEEZNS1_11reduce_implILb1ES3_NS6_12zip_iteratorINS7_INS6_11hip_rocprim26transform_input_iterator_tIbNSD_35transform_pair_of_input_iterators_tIbNS6_6detail15normal_iteratorINS6_10device_ptrIKxEEEESL_NS6_8equal_toIxEEEENSG_9not_fun_tINSD_8identityEEEEENSD_19counting_iterator_tIlEES8_S8_S8_S8_S8_S8_S8_S8_EEEEPS9_S9_NSD_9__find_if7functorIS9_EEEE10hipError_tPvRmT1_T2_T3_mT4_P12ihipStream_tbEUlT_E0_NS1_11comp_targetILNS1_3genE5ELNS1_11target_archE942ELNS1_3gpuE9ELNS1_3repE0EEENS1_30default_config_static_selectorELNS0_4arch9wavefront6targetE0EEEvS14_
		.amdhsa_group_segment_fixed_size 0
		.amdhsa_private_segment_fixed_size 0
		.amdhsa_kernarg_size 104
		.amdhsa_user_sgpr_count 6
		.amdhsa_user_sgpr_private_segment_buffer 1
		.amdhsa_user_sgpr_dispatch_ptr 0
		.amdhsa_user_sgpr_queue_ptr 0
		.amdhsa_user_sgpr_kernarg_segment_ptr 1
		.amdhsa_user_sgpr_dispatch_id 0
		.amdhsa_user_sgpr_flat_scratch_init 0
		.amdhsa_user_sgpr_private_segment_size 0
		.amdhsa_wavefront_size32 1
		.amdhsa_uses_dynamic_stack 0
		.amdhsa_system_sgpr_private_segment_wavefront_offset 0
		.amdhsa_system_sgpr_workgroup_id_x 1
		.amdhsa_system_sgpr_workgroup_id_y 0
		.amdhsa_system_sgpr_workgroup_id_z 0
		.amdhsa_system_sgpr_workgroup_info 0
		.amdhsa_system_vgpr_workitem_id 0
		.amdhsa_next_free_vgpr 1
		.amdhsa_next_free_sgpr 1
		.amdhsa_reserve_vcc 0
		.amdhsa_reserve_flat_scratch 0
		.amdhsa_float_round_mode_32 0
		.amdhsa_float_round_mode_16_64 0
		.amdhsa_float_denorm_mode_32 3
		.amdhsa_float_denorm_mode_16_64 3
		.amdhsa_dx10_clamp 1
		.amdhsa_ieee_mode 1
		.amdhsa_fp16_overflow 0
		.amdhsa_workgroup_processor_mode 1
		.amdhsa_memory_ordered 1
		.amdhsa_forward_progress 1
		.amdhsa_shared_vgpr_count 0
		.amdhsa_exception_fp_ieee_invalid_op 0
		.amdhsa_exception_fp_denorm_src 0
		.amdhsa_exception_fp_ieee_div_zero 0
		.amdhsa_exception_fp_ieee_overflow 0
		.amdhsa_exception_fp_ieee_underflow 0
		.amdhsa_exception_fp_ieee_inexact 0
		.amdhsa_exception_int_div_zero 0
	.end_amdhsa_kernel
	.section	.text._ZN7rocprim17ROCPRIM_400000_NS6detail17trampoline_kernelINS0_14default_configENS1_22reduce_config_selectorIN6thrust23THRUST_200600_302600_NS5tupleIblNS6_9null_typeES8_S8_S8_S8_S8_S8_S8_EEEEZNS1_11reduce_implILb1ES3_NS6_12zip_iteratorINS7_INS6_11hip_rocprim26transform_input_iterator_tIbNSD_35transform_pair_of_input_iterators_tIbNS6_6detail15normal_iteratorINS6_10device_ptrIKxEEEESL_NS6_8equal_toIxEEEENSG_9not_fun_tINSD_8identityEEEEENSD_19counting_iterator_tIlEES8_S8_S8_S8_S8_S8_S8_S8_EEEEPS9_S9_NSD_9__find_if7functorIS9_EEEE10hipError_tPvRmT1_T2_T3_mT4_P12ihipStream_tbEUlT_E0_NS1_11comp_targetILNS1_3genE5ELNS1_11target_archE942ELNS1_3gpuE9ELNS1_3repE0EEENS1_30default_config_static_selectorELNS0_4arch9wavefront6targetE0EEEvS14_,"axG",@progbits,_ZN7rocprim17ROCPRIM_400000_NS6detail17trampoline_kernelINS0_14default_configENS1_22reduce_config_selectorIN6thrust23THRUST_200600_302600_NS5tupleIblNS6_9null_typeES8_S8_S8_S8_S8_S8_S8_EEEEZNS1_11reduce_implILb1ES3_NS6_12zip_iteratorINS7_INS6_11hip_rocprim26transform_input_iterator_tIbNSD_35transform_pair_of_input_iterators_tIbNS6_6detail15normal_iteratorINS6_10device_ptrIKxEEEESL_NS6_8equal_toIxEEEENSG_9not_fun_tINSD_8identityEEEEENSD_19counting_iterator_tIlEES8_S8_S8_S8_S8_S8_S8_S8_EEEEPS9_S9_NSD_9__find_if7functorIS9_EEEE10hipError_tPvRmT1_T2_T3_mT4_P12ihipStream_tbEUlT_E0_NS1_11comp_targetILNS1_3genE5ELNS1_11target_archE942ELNS1_3gpuE9ELNS1_3repE0EEENS1_30default_config_static_selectorELNS0_4arch9wavefront6targetE0EEEvS14_,comdat
.Lfunc_end394:
	.size	_ZN7rocprim17ROCPRIM_400000_NS6detail17trampoline_kernelINS0_14default_configENS1_22reduce_config_selectorIN6thrust23THRUST_200600_302600_NS5tupleIblNS6_9null_typeES8_S8_S8_S8_S8_S8_S8_EEEEZNS1_11reduce_implILb1ES3_NS6_12zip_iteratorINS7_INS6_11hip_rocprim26transform_input_iterator_tIbNSD_35transform_pair_of_input_iterators_tIbNS6_6detail15normal_iteratorINS6_10device_ptrIKxEEEESL_NS6_8equal_toIxEEEENSG_9not_fun_tINSD_8identityEEEEENSD_19counting_iterator_tIlEES8_S8_S8_S8_S8_S8_S8_S8_EEEEPS9_S9_NSD_9__find_if7functorIS9_EEEE10hipError_tPvRmT1_T2_T3_mT4_P12ihipStream_tbEUlT_E0_NS1_11comp_targetILNS1_3genE5ELNS1_11target_archE942ELNS1_3gpuE9ELNS1_3repE0EEENS1_30default_config_static_selectorELNS0_4arch9wavefront6targetE0EEEvS14_, .Lfunc_end394-_ZN7rocprim17ROCPRIM_400000_NS6detail17trampoline_kernelINS0_14default_configENS1_22reduce_config_selectorIN6thrust23THRUST_200600_302600_NS5tupleIblNS6_9null_typeES8_S8_S8_S8_S8_S8_S8_EEEEZNS1_11reduce_implILb1ES3_NS6_12zip_iteratorINS7_INS6_11hip_rocprim26transform_input_iterator_tIbNSD_35transform_pair_of_input_iterators_tIbNS6_6detail15normal_iteratorINS6_10device_ptrIKxEEEESL_NS6_8equal_toIxEEEENSG_9not_fun_tINSD_8identityEEEEENSD_19counting_iterator_tIlEES8_S8_S8_S8_S8_S8_S8_S8_EEEEPS9_S9_NSD_9__find_if7functorIS9_EEEE10hipError_tPvRmT1_T2_T3_mT4_P12ihipStream_tbEUlT_E0_NS1_11comp_targetILNS1_3genE5ELNS1_11target_archE942ELNS1_3gpuE9ELNS1_3repE0EEENS1_30default_config_static_selectorELNS0_4arch9wavefront6targetE0EEEvS14_
                                        ; -- End function
	.set _ZN7rocprim17ROCPRIM_400000_NS6detail17trampoline_kernelINS0_14default_configENS1_22reduce_config_selectorIN6thrust23THRUST_200600_302600_NS5tupleIblNS6_9null_typeES8_S8_S8_S8_S8_S8_S8_EEEEZNS1_11reduce_implILb1ES3_NS6_12zip_iteratorINS7_INS6_11hip_rocprim26transform_input_iterator_tIbNSD_35transform_pair_of_input_iterators_tIbNS6_6detail15normal_iteratorINS6_10device_ptrIKxEEEESL_NS6_8equal_toIxEEEENSG_9not_fun_tINSD_8identityEEEEENSD_19counting_iterator_tIlEES8_S8_S8_S8_S8_S8_S8_S8_EEEEPS9_S9_NSD_9__find_if7functorIS9_EEEE10hipError_tPvRmT1_T2_T3_mT4_P12ihipStream_tbEUlT_E0_NS1_11comp_targetILNS1_3genE5ELNS1_11target_archE942ELNS1_3gpuE9ELNS1_3repE0EEENS1_30default_config_static_selectorELNS0_4arch9wavefront6targetE0EEEvS14_.num_vgpr, 0
	.set _ZN7rocprim17ROCPRIM_400000_NS6detail17trampoline_kernelINS0_14default_configENS1_22reduce_config_selectorIN6thrust23THRUST_200600_302600_NS5tupleIblNS6_9null_typeES8_S8_S8_S8_S8_S8_S8_EEEEZNS1_11reduce_implILb1ES3_NS6_12zip_iteratorINS7_INS6_11hip_rocprim26transform_input_iterator_tIbNSD_35transform_pair_of_input_iterators_tIbNS6_6detail15normal_iteratorINS6_10device_ptrIKxEEEESL_NS6_8equal_toIxEEEENSG_9not_fun_tINSD_8identityEEEEENSD_19counting_iterator_tIlEES8_S8_S8_S8_S8_S8_S8_S8_EEEEPS9_S9_NSD_9__find_if7functorIS9_EEEE10hipError_tPvRmT1_T2_T3_mT4_P12ihipStream_tbEUlT_E0_NS1_11comp_targetILNS1_3genE5ELNS1_11target_archE942ELNS1_3gpuE9ELNS1_3repE0EEENS1_30default_config_static_selectorELNS0_4arch9wavefront6targetE0EEEvS14_.num_agpr, 0
	.set _ZN7rocprim17ROCPRIM_400000_NS6detail17trampoline_kernelINS0_14default_configENS1_22reduce_config_selectorIN6thrust23THRUST_200600_302600_NS5tupleIblNS6_9null_typeES8_S8_S8_S8_S8_S8_S8_EEEEZNS1_11reduce_implILb1ES3_NS6_12zip_iteratorINS7_INS6_11hip_rocprim26transform_input_iterator_tIbNSD_35transform_pair_of_input_iterators_tIbNS6_6detail15normal_iteratorINS6_10device_ptrIKxEEEESL_NS6_8equal_toIxEEEENSG_9not_fun_tINSD_8identityEEEEENSD_19counting_iterator_tIlEES8_S8_S8_S8_S8_S8_S8_S8_EEEEPS9_S9_NSD_9__find_if7functorIS9_EEEE10hipError_tPvRmT1_T2_T3_mT4_P12ihipStream_tbEUlT_E0_NS1_11comp_targetILNS1_3genE5ELNS1_11target_archE942ELNS1_3gpuE9ELNS1_3repE0EEENS1_30default_config_static_selectorELNS0_4arch9wavefront6targetE0EEEvS14_.numbered_sgpr, 0
	.set _ZN7rocprim17ROCPRIM_400000_NS6detail17trampoline_kernelINS0_14default_configENS1_22reduce_config_selectorIN6thrust23THRUST_200600_302600_NS5tupleIblNS6_9null_typeES8_S8_S8_S8_S8_S8_S8_EEEEZNS1_11reduce_implILb1ES3_NS6_12zip_iteratorINS7_INS6_11hip_rocprim26transform_input_iterator_tIbNSD_35transform_pair_of_input_iterators_tIbNS6_6detail15normal_iteratorINS6_10device_ptrIKxEEEESL_NS6_8equal_toIxEEEENSG_9not_fun_tINSD_8identityEEEEENSD_19counting_iterator_tIlEES8_S8_S8_S8_S8_S8_S8_S8_EEEEPS9_S9_NSD_9__find_if7functorIS9_EEEE10hipError_tPvRmT1_T2_T3_mT4_P12ihipStream_tbEUlT_E0_NS1_11comp_targetILNS1_3genE5ELNS1_11target_archE942ELNS1_3gpuE9ELNS1_3repE0EEENS1_30default_config_static_selectorELNS0_4arch9wavefront6targetE0EEEvS14_.num_named_barrier, 0
	.set _ZN7rocprim17ROCPRIM_400000_NS6detail17trampoline_kernelINS0_14default_configENS1_22reduce_config_selectorIN6thrust23THRUST_200600_302600_NS5tupleIblNS6_9null_typeES8_S8_S8_S8_S8_S8_S8_EEEEZNS1_11reduce_implILb1ES3_NS6_12zip_iteratorINS7_INS6_11hip_rocprim26transform_input_iterator_tIbNSD_35transform_pair_of_input_iterators_tIbNS6_6detail15normal_iteratorINS6_10device_ptrIKxEEEESL_NS6_8equal_toIxEEEENSG_9not_fun_tINSD_8identityEEEEENSD_19counting_iterator_tIlEES8_S8_S8_S8_S8_S8_S8_S8_EEEEPS9_S9_NSD_9__find_if7functorIS9_EEEE10hipError_tPvRmT1_T2_T3_mT4_P12ihipStream_tbEUlT_E0_NS1_11comp_targetILNS1_3genE5ELNS1_11target_archE942ELNS1_3gpuE9ELNS1_3repE0EEENS1_30default_config_static_selectorELNS0_4arch9wavefront6targetE0EEEvS14_.private_seg_size, 0
	.set _ZN7rocprim17ROCPRIM_400000_NS6detail17trampoline_kernelINS0_14default_configENS1_22reduce_config_selectorIN6thrust23THRUST_200600_302600_NS5tupleIblNS6_9null_typeES8_S8_S8_S8_S8_S8_S8_EEEEZNS1_11reduce_implILb1ES3_NS6_12zip_iteratorINS7_INS6_11hip_rocprim26transform_input_iterator_tIbNSD_35transform_pair_of_input_iterators_tIbNS6_6detail15normal_iteratorINS6_10device_ptrIKxEEEESL_NS6_8equal_toIxEEEENSG_9not_fun_tINSD_8identityEEEEENSD_19counting_iterator_tIlEES8_S8_S8_S8_S8_S8_S8_S8_EEEEPS9_S9_NSD_9__find_if7functorIS9_EEEE10hipError_tPvRmT1_T2_T3_mT4_P12ihipStream_tbEUlT_E0_NS1_11comp_targetILNS1_3genE5ELNS1_11target_archE942ELNS1_3gpuE9ELNS1_3repE0EEENS1_30default_config_static_selectorELNS0_4arch9wavefront6targetE0EEEvS14_.uses_vcc, 0
	.set _ZN7rocprim17ROCPRIM_400000_NS6detail17trampoline_kernelINS0_14default_configENS1_22reduce_config_selectorIN6thrust23THRUST_200600_302600_NS5tupleIblNS6_9null_typeES8_S8_S8_S8_S8_S8_S8_EEEEZNS1_11reduce_implILb1ES3_NS6_12zip_iteratorINS7_INS6_11hip_rocprim26transform_input_iterator_tIbNSD_35transform_pair_of_input_iterators_tIbNS6_6detail15normal_iteratorINS6_10device_ptrIKxEEEESL_NS6_8equal_toIxEEEENSG_9not_fun_tINSD_8identityEEEEENSD_19counting_iterator_tIlEES8_S8_S8_S8_S8_S8_S8_S8_EEEEPS9_S9_NSD_9__find_if7functorIS9_EEEE10hipError_tPvRmT1_T2_T3_mT4_P12ihipStream_tbEUlT_E0_NS1_11comp_targetILNS1_3genE5ELNS1_11target_archE942ELNS1_3gpuE9ELNS1_3repE0EEENS1_30default_config_static_selectorELNS0_4arch9wavefront6targetE0EEEvS14_.uses_flat_scratch, 0
	.set _ZN7rocprim17ROCPRIM_400000_NS6detail17trampoline_kernelINS0_14default_configENS1_22reduce_config_selectorIN6thrust23THRUST_200600_302600_NS5tupleIblNS6_9null_typeES8_S8_S8_S8_S8_S8_S8_EEEEZNS1_11reduce_implILb1ES3_NS6_12zip_iteratorINS7_INS6_11hip_rocprim26transform_input_iterator_tIbNSD_35transform_pair_of_input_iterators_tIbNS6_6detail15normal_iteratorINS6_10device_ptrIKxEEEESL_NS6_8equal_toIxEEEENSG_9not_fun_tINSD_8identityEEEEENSD_19counting_iterator_tIlEES8_S8_S8_S8_S8_S8_S8_S8_EEEEPS9_S9_NSD_9__find_if7functorIS9_EEEE10hipError_tPvRmT1_T2_T3_mT4_P12ihipStream_tbEUlT_E0_NS1_11comp_targetILNS1_3genE5ELNS1_11target_archE942ELNS1_3gpuE9ELNS1_3repE0EEENS1_30default_config_static_selectorELNS0_4arch9wavefront6targetE0EEEvS14_.has_dyn_sized_stack, 0
	.set _ZN7rocprim17ROCPRIM_400000_NS6detail17trampoline_kernelINS0_14default_configENS1_22reduce_config_selectorIN6thrust23THRUST_200600_302600_NS5tupleIblNS6_9null_typeES8_S8_S8_S8_S8_S8_S8_EEEEZNS1_11reduce_implILb1ES3_NS6_12zip_iteratorINS7_INS6_11hip_rocprim26transform_input_iterator_tIbNSD_35transform_pair_of_input_iterators_tIbNS6_6detail15normal_iteratorINS6_10device_ptrIKxEEEESL_NS6_8equal_toIxEEEENSG_9not_fun_tINSD_8identityEEEEENSD_19counting_iterator_tIlEES8_S8_S8_S8_S8_S8_S8_S8_EEEEPS9_S9_NSD_9__find_if7functorIS9_EEEE10hipError_tPvRmT1_T2_T3_mT4_P12ihipStream_tbEUlT_E0_NS1_11comp_targetILNS1_3genE5ELNS1_11target_archE942ELNS1_3gpuE9ELNS1_3repE0EEENS1_30default_config_static_selectorELNS0_4arch9wavefront6targetE0EEEvS14_.has_recursion, 0
	.set _ZN7rocprim17ROCPRIM_400000_NS6detail17trampoline_kernelINS0_14default_configENS1_22reduce_config_selectorIN6thrust23THRUST_200600_302600_NS5tupleIblNS6_9null_typeES8_S8_S8_S8_S8_S8_S8_EEEEZNS1_11reduce_implILb1ES3_NS6_12zip_iteratorINS7_INS6_11hip_rocprim26transform_input_iterator_tIbNSD_35transform_pair_of_input_iterators_tIbNS6_6detail15normal_iteratorINS6_10device_ptrIKxEEEESL_NS6_8equal_toIxEEEENSG_9not_fun_tINSD_8identityEEEEENSD_19counting_iterator_tIlEES8_S8_S8_S8_S8_S8_S8_S8_EEEEPS9_S9_NSD_9__find_if7functorIS9_EEEE10hipError_tPvRmT1_T2_T3_mT4_P12ihipStream_tbEUlT_E0_NS1_11comp_targetILNS1_3genE5ELNS1_11target_archE942ELNS1_3gpuE9ELNS1_3repE0EEENS1_30default_config_static_selectorELNS0_4arch9wavefront6targetE0EEEvS14_.has_indirect_call, 0
	.section	.AMDGPU.csdata,"",@progbits
; Kernel info:
; codeLenInByte = 0
; TotalNumSgprs: 0
; NumVgprs: 0
; ScratchSize: 0
; MemoryBound: 0
; FloatMode: 240
; IeeeMode: 1
; LDSByteSize: 0 bytes/workgroup (compile time only)
; SGPRBlocks: 0
; VGPRBlocks: 0
; NumSGPRsForWavesPerEU: 1
; NumVGPRsForWavesPerEU: 1
; Occupancy: 16
; WaveLimiterHint : 0
; COMPUTE_PGM_RSRC2:SCRATCH_EN: 0
; COMPUTE_PGM_RSRC2:USER_SGPR: 6
; COMPUTE_PGM_RSRC2:TRAP_HANDLER: 0
; COMPUTE_PGM_RSRC2:TGID_X_EN: 1
; COMPUTE_PGM_RSRC2:TGID_Y_EN: 0
; COMPUTE_PGM_RSRC2:TGID_Z_EN: 0
; COMPUTE_PGM_RSRC2:TIDIG_COMP_CNT: 0
	.section	.text._ZN7rocprim17ROCPRIM_400000_NS6detail17trampoline_kernelINS0_14default_configENS1_22reduce_config_selectorIN6thrust23THRUST_200600_302600_NS5tupleIblNS6_9null_typeES8_S8_S8_S8_S8_S8_S8_EEEEZNS1_11reduce_implILb1ES3_NS6_12zip_iteratorINS7_INS6_11hip_rocprim26transform_input_iterator_tIbNSD_35transform_pair_of_input_iterators_tIbNS6_6detail15normal_iteratorINS6_10device_ptrIKxEEEESL_NS6_8equal_toIxEEEENSG_9not_fun_tINSD_8identityEEEEENSD_19counting_iterator_tIlEES8_S8_S8_S8_S8_S8_S8_S8_EEEEPS9_S9_NSD_9__find_if7functorIS9_EEEE10hipError_tPvRmT1_T2_T3_mT4_P12ihipStream_tbEUlT_E0_NS1_11comp_targetILNS1_3genE4ELNS1_11target_archE910ELNS1_3gpuE8ELNS1_3repE0EEENS1_30default_config_static_selectorELNS0_4arch9wavefront6targetE0EEEvS14_,"axG",@progbits,_ZN7rocprim17ROCPRIM_400000_NS6detail17trampoline_kernelINS0_14default_configENS1_22reduce_config_selectorIN6thrust23THRUST_200600_302600_NS5tupleIblNS6_9null_typeES8_S8_S8_S8_S8_S8_S8_EEEEZNS1_11reduce_implILb1ES3_NS6_12zip_iteratorINS7_INS6_11hip_rocprim26transform_input_iterator_tIbNSD_35transform_pair_of_input_iterators_tIbNS6_6detail15normal_iteratorINS6_10device_ptrIKxEEEESL_NS6_8equal_toIxEEEENSG_9not_fun_tINSD_8identityEEEEENSD_19counting_iterator_tIlEES8_S8_S8_S8_S8_S8_S8_S8_EEEEPS9_S9_NSD_9__find_if7functorIS9_EEEE10hipError_tPvRmT1_T2_T3_mT4_P12ihipStream_tbEUlT_E0_NS1_11comp_targetILNS1_3genE4ELNS1_11target_archE910ELNS1_3gpuE8ELNS1_3repE0EEENS1_30default_config_static_selectorELNS0_4arch9wavefront6targetE0EEEvS14_,comdat
	.protected	_ZN7rocprim17ROCPRIM_400000_NS6detail17trampoline_kernelINS0_14default_configENS1_22reduce_config_selectorIN6thrust23THRUST_200600_302600_NS5tupleIblNS6_9null_typeES8_S8_S8_S8_S8_S8_S8_EEEEZNS1_11reduce_implILb1ES3_NS6_12zip_iteratorINS7_INS6_11hip_rocprim26transform_input_iterator_tIbNSD_35transform_pair_of_input_iterators_tIbNS6_6detail15normal_iteratorINS6_10device_ptrIKxEEEESL_NS6_8equal_toIxEEEENSG_9not_fun_tINSD_8identityEEEEENSD_19counting_iterator_tIlEES8_S8_S8_S8_S8_S8_S8_S8_EEEEPS9_S9_NSD_9__find_if7functorIS9_EEEE10hipError_tPvRmT1_T2_T3_mT4_P12ihipStream_tbEUlT_E0_NS1_11comp_targetILNS1_3genE4ELNS1_11target_archE910ELNS1_3gpuE8ELNS1_3repE0EEENS1_30default_config_static_selectorELNS0_4arch9wavefront6targetE0EEEvS14_ ; -- Begin function _ZN7rocprim17ROCPRIM_400000_NS6detail17trampoline_kernelINS0_14default_configENS1_22reduce_config_selectorIN6thrust23THRUST_200600_302600_NS5tupleIblNS6_9null_typeES8_S8_S8_S8_S8_S8_S8_EEEEZNS1_11reduce_implILb1ES3_NS6_12zip_iteratorINS7_INS6_11hip_rocprim26transform_input_iterator_tIbNSD_35transform_pair_of_input_iterators_tIbNS6_6detail15normal_iteratorINS6_10device_ptrIKxEEEESL_NS6_8equal_toIxEEEENSG_9not_fun_tINSD_8identityEEEEENSD_19counting_iterator_tIlEES8_S8_S8_S8_S8_S8_S8_S8_EEEEPS9_S9_NSD_9__find_if7functorIS9_EEEE10hipError_tPvRmT1_T2_T3_mT4_P12ihipStream_tbEUlT_E0_NS1_11comp_targetILNS1_3genE4ELNS1_11target_archE910ELNS1_3gpuE8ELNS1_3repE0EEENS1_30default_config_static_selectorELNS0_4arch9wavefront6targetE0EEEvS14_
	.globl	_ZN7rocprim17ROCPRIM_400000_NS6detail17trampoline_kernelINS0_14default_configENS1_22reduce_config_selectorIN6thrust23THRUST_200600_302600_NS5tupleIblNS6_9null_typeES8_S8_S8_S8_S8_S8_S8_EEEEZNS1_11reduce_implILb1ES3_NS6_12zip_iteratorINS7_INS6_11hip_rocprim26transform_input_iterator_tIbNSD_35transform_pair_of_input_iterators_tIbNS6_6detail15normal_iteratorINS6_10device_ptrIKxEEEESL_NS6_8equal_toIxEEEENSG_9not_fun_tINSD_8identityEEEEENSD_19counting_iterator_tIlEES8_S8_S8_S8_S8_S8_S8_S8_EEEEPS9_S9_NSD_9__find_if7functorIS9_EEEE10hipError_tPvRmT1_T2_T3_mT4_P12ihipStream_tbEUlT_E0_NS1_11comp_targetILNS1_3genE4ELNS1_11target_archE910ELNS1_3gpuE8ELNS1_3repE0EEENS1_30default_config_static_selectorELNS0_4arch9wavefront6targetE0EEEvS14_
	.p2align	8
	.type	_ZN7rocprim17ROCPRIM_400000_NS6detail17trampoline_kernelINS0_14default_configENS1_22reduce_config_selectorIN6thrust23THRUST_200600_302600_NS5tupleIblNS6_9null_typeES8_S8_S8_S8_S8_S8_S8_EEEEZNS1_11reduce_implILb1ES3_NS6_12zip_iteratorINS7_INS6_11hip_rocprim26transform_input_iterator_tIbNSD_35transform_pair_of_input_iterators_tIbNS6_6detail15normal_iteratorINS6_10device_ptrIKxEEEESL_NS6_8equal_toIxEEEENSG_9not_fun_tINSD_8identityEEEEENSD_19counting_iterator_tIlEES8_S8_S8_S8_S8_S8_S8_S8_EEEEPS9_S9_NSD_9__find_if7functorIS9_EEEE10hipError_tPvRmT1_T2_T3_mT4_P12ihipStream_tbEUlT_E0_NS1_11comp_targetILNS1_3genE4ELNS1_11target_archE910ELNS1_3gpuE8ELNS1_3repE0EEENS1_30default_config_static_selectorELNS0_4arch9wavefront6targetE0EEEvS14_,@function
_ZN7rocprim17ROCPRIM_400000_NS6detail17trampoline_kernelINS0_14default_configENS1_22reduce_config_selectorIN6thrust23THRUST_200600_302600_NS5tupleIblNS6_9null_typeES8_S8_S8_S8_S8_S8_S8_EEEEZNS1_11reduce_implILb1ES3_NS6_12zip_iteratorINS7_INS6_11hip_rocprim26transform_input_iterator_tIbNSD_35transform_pair_of_input_iterators_tIbNS6_6detail15normal_iteratorINS6_10device_ptrIKxEEEESL_NS6_8equal_toIxEEEENSG_9not_fun_tINSD_8identityEEEEENSD_19counting_iterator_tIlEES8_S8_S8_S8_S8_S8_S8_S8_EEEEPS9_S9_NSD_9__find_if7functorIS9_EEEE10hipError_tPvRmT1_T2_T3_mT4_P12ihipStream_tbEUlT_E0_NS1_11comp_targetILNS1_3genE4ELNS1_11target_archE910ELNS1_3gpuE8ELNS1_3repE0EEENS1_30default_config_static_selectorELNS0_4arch9wavefront6targetE0EEEvS14_: ; @_ZN7rocprim17ROCPRIM_400000_NS6detail17trampoline_kernelINS0_14default_configENS1_22reduce_config_selectorIN6thrust23THRUST_200600_302600_NS5tupleIblNS6_9null_typeES8_S8_S8_S8_S8_S8_S8_EEEEZNS1_11reduce_implILb1ES3_NS6_12zip_iteratorINS7_INS6_11hip_rocprim26transform_input_iterator_tIbNSD_35transform_pair_of_input_iterators_tIbNS6_6detail15normal_iteratorINS6_10device_ptrIKxEEEESL_NS6_8equal_toIxEEEENSG_9not_fun_tINSD_8identityEEEEENSD_19counting_iterator_tIlEES8_S8_S8_S8_S8_S8_S8_S8_EEEEPS9_S9_NSD_9__find_if7functorIS9_EEEE10hipError_tPvRmT1_T2_T3_mT4_P12ihipStream_tbEUlT_E0_NS1_11comp_targetILNS1_3genE4ELNS1_11target_archE910ELNS1_3gpuE8ELNS1_3repE0EEENS1_30default_config_static_selectorELNS0_4arch9wavefront6targetE0EEEvS14_
; %bb.0:
	.section	.rodata,"a",@progbits
	.p2align	6, 0x0
	.amdhsa_kernel _ZN7rocprim17ROCPRIM_400000_NS6detail17trampoline_kernelINS0_14default_configENS1_22reduce_config_selectorIN6thrust23THRUST_200600_302600_NS5tupleIblNS6_9null_typeES8_S8_S8_S8_S8_S8_S8_EEEEZNS1_11reduce_implILb1ES3_NS6_12zip_iteratorINS7_INS6_11hip_rocprim26transform_input_iterator_tIbNSD_35transform_pair_of_input_iterators_tIbNS6_6detail15normal_iteratorINS6_10device_ptrIKxEEEESL_NS6_8equal_toIxEEEENSG_9not_fun_tINSD_8identityEEEEENSD_19counting_iterator_tIlEES8_S8_S8_S8_S8_S8_S8_S8_EEEEPS9_S9_NSD_9__find_if7functorIS9_EEEE10hipError_tPvRmT1_T2_T3_mT4_P12ihipStream_tbEUlT_E0_NS1_11comp_targetILNS1_3genE4ELNS1_11target_archE910ELNS1_3gpuE8ELNS1_3repE0EEENS1_30default_config_static_selectorELNS0_4arch9wavefront6targetE0EEEvS14_
		.amdhsa_group_segment_fixed_size 0
		.amdhsa_private_segment_fixed_size 0
		.amdhsa_kernarg_size 104
		.amdhsa_user_sgpr_count 6
		.amdhsa_user_sgpr_private_segment_buffer 1
		.amdhsa_user_sgpr_dispatch_ptr 0
		.amdhsa_user_sgpr_queue_ptr 0
		.amdhsa_user_sgpr_kernarg_segment_ptr 1
		.amdhsa_user_sgpr_dispatch_id 0
		.amdhsa_user_sgpr_flat_scratch_init 0
		.amdhsa_user_sgpr_private_segment_size 0
		.amdhsa_wavefront_size32 1
		.amdhsa_uses_dynamic_stack 0
		.amdhsa_system_sgpr_private_segment_wavefront_offset 0
		.amdhsa_system_sgpr_workgroup_id_x 1
		.amdhsa_system_sgpr_workgroup_id_y 0
		.amdhsa_system_sgpr_workgroup_id_z 0
		.amdhsa_system_sgpr_workgroup_info 0
		.amdhsa_system_vgpr_workitem_id 0
		.amdhsa_next_free_vgpr 1
		.amdhsa_next_free_sgpr 1
		.amdhsa_reserve_vcc 0
		.amdhsa_reserve_flat_scratch 0
		.amdhsa_float_round_mode_32 0
		.amdhsa_float_round_mode_16_64 0
		.amdhsa_float_denorm_mode_32 3
		.amdhsa_float_denorm_mode_16_64 3
		.amdhsa_dx10_clamp 1
		.amdhsa_ieee_mode 1
		.amdhsa_fp16_overflow 0
		.amdhsa_workgroup_processor_mode 1
		.amdhsa_memory_ordered 1
		.amdhsa_forward_progress 1
		.amdhsa_shared_vgpr_count 0
		.amdhsa_exception_fp_ieee_invalid_op 0
		.amdhsa_exception_fp_denorm_src 0
		.amdhsa_exception_fp_ieee_div_zero 0
		.amdhsa_exception_fp_ieee_overflow 0
		.amdhsa_exception_fp_ieee_underflow 0
		.amdhsa_exception_fp_ieee_inexact 0
		.amdhsa_exception_int_div_zero 0
	.end_amdhsa_kernel
	.section	.text._ZN7rocprim17ROCPRIM_400000_NS6detail17trampoline_kernelINS0_14default_configENS1_22reduce_config_selectorIN6thrust23THRUST_200600_302600_NS5tupleIblNS6_9null_typeES8_S8_S8_S8_S8_S8_S8_EEEEZNS1_11reduce_implILb1ES3_NS6_12zip_iteratorINS7_INS6_11hip_rocprim26transform_input_iterator_tIbNSD_35transform_pair_of_input_iterators_tIbNS6_6detail15normal_iteratorINS6_10device_ptrIKxEEEESL_NS6_8equal_toIxEEEENSG_9not_fun_tINSD_8identityEEEEENSD_19counting_iterator_tIlEES8_S8_S8_S8_S8_S8_S8_S8_EEEEPS9_S9_NSD_9__find_if7functorIS9_EEEE10hipError_tPvRmT1_T2_T3_mT4_P12ihipStream_tbEUlT_E0_NS1_11comp_targetILNS1_3genE4ELNS1_11target_archE910ELNS1_3gpuE8ELNS1_3repE0EEENS1_30default_config_static_selectorELNS0_4arch9wavefront6targetE0EEEvS14_,"axG",@progbits,_ZN7rocprim17ROCPRIM_400000_NS6detail17trampoline_kernelINS0_14default_configENS1_22reduce_config_selectorIN6thrust23THRUST_200600_302600_NS5tupleIblNS6_9null_typeES8_S8_S8_S8_S8_S8_S8_EEEEZNS1_11reduce_implILb1ES3_NS6_12zip_iteratorINS7_INS6_11hip_rocprim26transform_input_iterator_tIbNSD_35transform_pair_of_input_iterators_tIbNS6_6detail15normal_iteratorINS6_10device_ptrIKxEEEESL_NS6_8equal_toIxEEEENSG_9not_fun_tINSD_8identityEEEEENSD_19counting_iterator_tIlEES8_S8_S8_S8_S8_S8_S8_S8_EEEEPS9_S9_NSD_9__find_if7functorIS9_EEEE10hipError_tPvRmT1_T2_T3_mT4_P12ihipStream_tbEUlT_E0_NS1_11comp_targetILNS1_3genE4ELNS1_11target_archE910ELNS1_3gpuE8ELNS1_3repE0EEENS1_30default_config_static_selectorELNS0_4arch9wavefront6targetE0EEEvS14_,comdat
.Lfunc_end395:
	.size	_ZN7rocprim17ROCPRIM_400000_NS6detail17trampoline_kernelINS0_14default_configENS1_22reduce_config_selectorIN6thrust23THRUST_200600_302600_NS5tupleIblNS6_9null_typeES8_S8_S8_S8_S8_S8_S8_EEEEZNS1_11reduce_implILb1ES3_NS6_12zip_iteratorINS7_INS6_11hip_rocprim26transform_input_iterator_tIbNSD_35transform_pair_of_input_iterators_tIbNS6_6detail15normal_iteratorINS6_10device_ptrIKxEEEESL_NS6_8equal_toIxEEEENSG_9not_fun_tINSD_8identityEEEEENSD_19counting_iterator_tIlEES8_S8_S8_S8_S8_S8_S8_S8_EEEEPS9_S9_NSD_9__find_if7functorIS9_EEEE10hipError_tPvRmT1_T2_T3_mT4_P12ihipStream_tbEUlT_E0_NS1_11comp_targetILNS1_3genE4ELNS1_11target_archE910ELNS1_3gpuE8ELNS1_3repE0EEENS1_30default_config_static_selectorELNS0_4arch9wavefront6targetE0EEEvS14_, .Lfunc_end395-_ZN7rocprim17ROCPRIM_400000_NS6detail17trampoline_kernelINS0_14default_configENS1_22reduce_config_selectorIN6thrust23THRUST_200600_302600_NS5tupleIblNS6_9null_typeES8_S8_S8_S8_S8_S8_S8_EEEEZNS1_11reduce_implILb1ES3_NS6_12zip_iteratorINS7_INS6_11hip_rocprim26transform_input_iterator_tIbNSD_35transform_pair_of_input_iterators_tIbNS6_6detail15normal_iteratorINS6_10device_ptrIKxEEEESL_NS6_8equal_toIxEEEENSG_9not_fun_tINSD_8identityEEEEENSD_19counting_iterator_tIlEES8_S8_S8_S8_S8_S8_S8_S8_EEEEPS9_S9_NSD_9__find_if7functorIS9_EEEE10hipError_tPvRmT1_T2_T3_mT4_P12ihipStream_tbEUlT_E0_NS1_11comp_targetILNS1_3genE4ELNS1_11target_archE910ELNS1_3gpuE8ELNS1_3repE0EEENS1_30default_config_static_selectorELNS0_4arch9wavefront6targetE0EEEvS14_
                                        ; -- End function
	.set _ZN7rocprim17ROCPRIM_400000_NS6detail17trampoline_kernelINS0_14default_configENS1_22reduce_config_selectorIN6thrust23THRUST_200600_302600_NS5tupleIblNS6_9null_typeES8_S8_S8_S8_S8_S8_S8_EEEEZNS1_11reduce_implILb1ES3_NS6_12zip_iteratorINS7_INS6_11hip_rocprim26transform_input_iterator_tIbNSD_35transform_pair_of_input_iterators_tIbNS6_6detail15normal_iteratorINS6_10device_ptrIKxEEEESL_NS6_8equal_toIxEEEENSG_9not_fun_tINSD_8identityEEEEENSD_19counting_iterator_tIlEES8_S8_S8_S8_S8_S8_S8_S8_EEEEPS9_S9_NSD_9__find_if7functorIS9_EEEE10hipError_tPvRmT1_T2_T3_mT4_P12ihipStream_tbEUlT_E0_NS1_11comp_targetILNS1_3genE4ELNS1_11target_archE910ELNS1_3gpuE8ELNS1_3repE0EEENS1_30default_config_static_selectorELNS0_4arch9wavefront6targetE0EEEvS14_.num_vgpr, 0
	.set _ZN7rocprim17ROCPRIM_400000_NS6detail17trampoline_kernelINS0_14default_configENS1_22reduce_config_selectorIN6thrust23THRUST_200600_302600_NS5tupleIblNS6_9null_typeES8_S8_S8_S8_S8_S8_S8_EEEEZNS1_11reduce_implILb1ES3_NS6_12zip_iteratorINS7_INS6_11hip_rocprim26transform_input_iterator_tIbNSD_35transform_pair_of_input_iterators_tIbNS6_6detail15normal_iteratorINS6_10device_ptrIKxEEEESL_NS6_8equal_toIxEEEENSG_9not_fun_tINSD_8identityEEEEENSD_19counting_iterator_tIlEES8_S8_S8_S8_S8_S8_S8_S8_EEEEPS9_S9_NSD_9__find_if7functorIS9_EEEE10hipError_tPvRmT1_T2_T3_mT4_P12ihipStream_tbEUlT_E0_NS1_11comp_targetILNS1_3genE4ELNS1_11target_archE910ELNS1_3gpuE8ELNS1_3repE0EEENS1_30default_config_static_selectorELNS0_4arch9wavefront6targetE0EEEvS14_.num_agpr, 0
	.set _ZN7rocprim17ROCPRIM_400000_NS6detail17trampoline_kernelINS0_14default_configENS1_22reduce_config_selectorIN6thrust23THRUST_200600_302600_NS5tupleIblNS6_9null_typeES8_S8_S8_S8_S8_S8_S8_EEEEZNS1_11reduce_implILb1ES3_NS6_12zip_iteratorINS7_INS6_11hip_rocprim26transform_input_iterator_tIbNSD_35transform_pair_of_input_iterators_tIbNS6_6detail15normal_iteratorINS6_10device_ptrIKxEEEESL_NS6_8equal_toIxEEEENSG_9not_fun_tINSD_8identityEEEEENSD_19counting_iterator_tIlEES8_S8_S8_S8_S8_S8_S8_S8_EEEEPS9_S9_NSD_9__find_if7functorIS9_EEEE10hipError_tPvRmT1_T2_T3_mT4_P12ihipStream_tbEUlT_E0_NS1_11comp_targetILNS1_3genE4ELNS1_11target_archE910ELNS1_3gpuE8ELNS1_3repE0EEENS1_30default_config_static_selectorELNS0_4arch9wavefront6targetE0EEEvS14_.numbered_sgpr, 0
	.set _ZN7rocprim17ROCPRIM_400000_NS6detail17trampoline_kernelINS0_14default_configENS1_22reduce_config_selectorIN6thrust23THRUST_200600_302600_NS5tupleIblNS6_9null_typeES8_S8_S8_S8_S8_S8_S8_EEEEZNS1_11reduce_implILb1ES3_NS6_12zip_iteratorINS7_INS6_11hip_rocprim26transform_input_iterator_tIbNSD_35transform_pair_of_input_iterators_tIbNS6_6detail15normal_iteratorINS6_10device_ptrIKxEEEESL_NS6_8equal_toIxEEEENSG_9not_fun_tINSD_8identityEEEEENSD_19counting_iterator_tIlEES8_S8_S8_S8_S8_S8_S8_S8_EEEEPS9_S9_NSD_9__find_if7functorIS9_EEEE10hipError_tPvRmT1_T2_T3_mT4_P12ihipStream_tbEUlT_E0_NS1_11comp_targetILNS1_3genE4ELNS1_11target_archE910ELNS1_3gpuE8ELNS1_3repE0EEENS1_30default_config_static_selectorELNS0_4arch9wavefront6targetE0EEEvS14_.num_named_barrier, 0
	.set _ZN7rocprim17ROCPRIM_400000_NS6detail17trampoline_kernelINS0_14default_configENS1_22reduce_config_selectorIN6thrust23THRUST_200600_302600_NS5tupleIblNS6_9null_typeES8_S8_S8_S8_S8_S8_S8_EEEEZNS1_11reduce_implILb1ES3_NS6_12zip_iteratorINS7_INS6_11hip_rocprim26transform_input_iterator_tIbNSD_35transform_pair_of_input_iterators_tIbNS6_6detail15normal_iteratorINS6_10device_ptrIKxEEEESL_NS6_8equal_toIxEEEENSG_9not_fun_tINSD_8identityEEEEENSD_19counting_iterator_tIlEES8_S8_S8_S8_S8_S8_S8_S8_EEEEPS9_S9_NSD_9__find_if7functorIS9_EEEE10hipError_tPvRmT1_T2_T3_mT4_P12ihipStream_tbEUlT_E0_NS1_11comp_targetILNS1_3genE4ELNS1_11target_archE910ELNS1_3gpuE8ELNS1_3repE0EEENS1_30default_config_static_selectorELNS0_4arch9wavefront6targetE0EEEvS14_.private_seg_size, 0
	.set _ZN7rocprim17ROCPRIM_400000_NS6detail17trampoline_kernelINS0_14default_configENS1_22reduce_config_selectorIN6thrust23THRUST_200600_302600_NS5tupleIblNS6_9null_typeES8_S8_S8_S8_S8_S8_S8_EEEEZNS1_11reduce_implILb1ES3_NS6_12zip_iteratorINS7_INS6_11hip_rocprim26transform_input_iterator_tIbNSD_35transform_pair_of_input_iterators_tIbNS6_6detail15normal_iteratorINS6_10device_ptrIKxEEEESL_NS6_8equal_toIxEEEENSG_9not_fun_tINSD_8identityEEEEENSD_19counting_iterator_tIlEES8_S8_S8_S8_S8_S8_S8_S8_EEEEPS9_S9_NSD_9__find_if7functorIS9_EEEE10hipError_tPvRmT1_T2_T3_mT4_P12ihipStream_tbEUlT_E0_NS1_11comp_targetILNS1_3genE4ELNS1_11target_archE910ELNS1_3gpuE8ELNS1_3repE0EEENS1_30default_config_static_selectorELNS0_4arch9wavefront6targetE0EEEvS14_.uses_vcc, 0
	.set _ZN7rocprim17ROCPRIM_400000_NS6detail17trampoline_kernelINS0_14default_configENS1_22reduce_config_selectorIN6thrust23THRUST_200600_302600_NS5tupleIblNS6_9null_typeES8_S8_S8_S8_S8_S8_S8_EEEEZNS1_11reduce_implILb1ES3_NS6_12zip_iteratorINS7_INS6_11hip_rocprim26transform_input_iterator_tIbNSD_35transform_pair_of_input_iterators_tIbNS6_6detail15normal_iteratorINS6_10device_ptrIKxEEEESL_NS6_8equal_toIxEEEENSG_9not_fun_tINSD_8identityEEEEENSD_19counting_iterator_tIlEES8_S8_S8_S8_S8_S8_S8_S8_EEEEPS9_S9_NSD_9__find_if7functorIS9_EEEE10hipError_tPvRmT1_T2_T3_mT4_P12ihipStream_tbEUlT_E0_NS1_11comp_targetILNS1_3genE4ELNS1_11target_archE910ELNS1_3gpuE8ELNS1_3repE0EEENS1_30default_config_static_selectorELNS0_4arch9wavefront6targetE0EEEvS14_.uses_flat_scratch, 0
	.set _ZN7rocprim17ROCPRIM_400000_NS6detail17trampoline_kernelINS0_14default_configENS1_22reduce_config_selectorIN6thrust23THRUST_200600_302600_NS5tupleIblNS6_9null_typeES8_S8_S8_S8_S8_S8_S8_EEEEZNS1_11reduce_implILb1ES3_NS6_12zip_iteratorINS7_INS6_11hip_rocprim26transform_input_iterator_tIbNSD_35transform_pair_of_input_iterators_tIbNS6_6detail15normal_iteratorINS6_10device_ptrIKxEEEESL_NS6_8equal_toIxEEEENSG_9not_fun_tINSD_8identityEEEEENSD_19counting_iterator_tIlEES8_S8_S8_S8_S8_S8_S8_S8_EEEEPS9_S9_NSD_9__find_if7functorIS9_EEEE10hipError_tPvRmT1_T2_T3_mT4_P12ihipStream_tbEUlT_E0_NS1_11comp_targetILNS1_3genE4ELNS1_11target_archE910ELNS1_3gpuE8ELNS1_3repE0EEENS1_30default_config_static_selectorELNS0_4arch9wavefront6targetE0EEEvS14_.has_dyn_sized_stack, 0
	.set _ZN7rocprim17ROCPRIM_400000_NS6detail17trampoline_kernelINS0_14default_configENS1_22reduce_config_selectorIN6thrust23THRUST_200600_302600_NS5tupleIblNS6_9null_typeES8_S8_S8_S8_S8_S8_S8_EEEEZNS1_11reduce_implILb1ES3_NS6_12zip_iteratorINS7_INS6_11hip_rocprim26transform_input_iterator_tIbNSD_35transform_pair_of_input_iterators_tIbNS6_6detail15normal_iteratorINS6_10device_ptrIKxEEEESL_NS6_8equal_toIxEEEENSG_9not_fun_tINSD_8identityEEEEENSD_19counting_iterator_tIlEES8_S8_S8_S8_S8_S8_S8_S8_EEEEPS9_S9_NSD_9__find_if7functorIS9_EEEE10hipError_tPvRmT1_T2_T3_mT4_P12ihipStream_tbEUlT_E0_NS1_11comp_targetILNS1_3genE4ELNS1_11target_archE910ELNS1_3gpuE8ELNS1_3repE0EEENS1_30default_config_static_selectorELNS0_4arch9wavefront6targetE0EEEvS14_.has_recursion, 0
	.set _ZN7rocprim17ROCPRIM_400000_NS6detail17trampoline_kernelINS0_14default_configENS1_22reduce_config_selectorIN6thrust23THRUST_200600_302600_NS5tupleIblNS6_9null_typeES8_S8_S8_S8_S8_S8_S8_EEEEZNS1_11reduce_implILb1ES3_NS6_12zip_iteratorINS7_INS6_11hip_rocprim26transform_input_iterator_tIbNSD_35transform_pair_of_input_iterators_tIbNS6_6detail15normal_iteratorINS6_10device_ptrIKxEEEESL_NS6_8equal_toIxEEEENSG_9not_fun_tINSD_8identityEEEEENSD_19counting_iterator_tIlEES8_S8_S8_S8_S8_S8_S8_S8_EEEEPS9_S9_NSD_9__find_if7functorIS9_EEEE10hipError_tPvRmT1_T2_T3_mT4_P12ihipStream_tbEUlT_E0_NS1_11comp_targetILNS1_3genE4ELNS1_11target_archE910ELNS1_3gpuE8ELNS1_3repE0EEENS1_30default_config_static_selectorELNS0_4arch9wavefront6targetE0EEEvS14_.has_indirect_call, 0
	.section	.AMDGPU.csdata,"",@progbits
; Kernel info:
; codeLenInByte = 0
; TotalNumSgprs: 0
; NumVgprs: 0
; ScratchSize: 0
; MemoryBound: 0
; FloatMode: 240
; IeeeMode: 1
; LDSByteSize: 0 bytes/workgroup (compile time only)
; SGPRBlocks: 0
; VGPRBlocks: 0
; NumSGPRsForWavesPerEU: 1
; NumVGPRsForWavesPerEU: 1
; Occupancy: 16
; WaveLimiterHint : 0
; COMPUTE_PGM_RSRC2:SCRATCH_EN: 0
; COMPUTE_PGM_RSRC2:USER_SGPR: 6
; COMPUTE_PGM_RSRC2:TRAP_HANDLER: 0
; COMPUTE_PGM_RSRC2:TGID_X_EN: 1
; COMPUTE_PGM_RSRC2:TGID_Y_EN: 0
; COMPUTE_PGM_RSRC2:TGID_Z_EN: 0
; COMPUTE_PGM_RSRC2:TIDIG_COMP_CNT: 0
	.section	.text._ZN7rocprim17ROCPRIM_400000_NS6detail17trampoline_kernelINS0_14default_configENS1_22reduce_config_selectorIN6thrust23THRUST_200600_302600_NS5tupleIblNS6_9null_typeES8_S8_S8_S8_S8_S8_S8_EEEEZNS1_11reduce_implILb1ES3_NS6_12zip_iteratorINS7_INS6_11hip_rocprim26transform_input_iterator_tIbNSD_35transform_pair_of_input_iterators_tIbNS6_6detail15normal_iteratorINS6_10device_ptrIKxEEEESL_NS6_8equal_toIxEEEENSG_9not_fun_tINSD_8identityEEEEENSD_19counting_iterator_tIlEES8_S8_S8_S8_S8_S8_S8_S8_EEEEPS9_S9_NSD_9__find_if7functorIS9_EEEE10hipError_tPvRmT1_T2_T3_mT4_P12ihipStream_tbEUlT_E0_NS1_11comp_targetILNS1_3genE3ELNS1_11target_archE908ELNS1_3gpuE7ELNS1_3repE0EEENS1_30default_config_static_selectorELNS0_4arch9wavefront6targetE0EEEvS14_,"axG",@progbits,_ZN7rocprim17ROCPRIM_400000_NS6detail17trampoline_kernelINS0_14default_configENS1_22reduce_config_selectorIN6thrust23THRUST_200600_302600_NS5tupleIblNS6_9null_typeES8_S8_S8_S8_S8_S8_S8_EEEEZNS1_11reduce_implILb1ES3_NS6_12zip_iteratorINS7_INS6_11hip_rocprim26transform_input_iterator_tIbNSD_35transform_pair_of_input_iterators_tIbNS6_6detail15normal_iteratorINS6_10device_ptrIKxEEEESL_NS6_8equal_toIxEEEENSG_9not_fun_tINSD_8identityEEEEENSD_19counting_iterator_tIlEES8_S8_S8_S8_S8_S8_S8_S8_EEEEPS9_S9_NSD_9__find_if7functorIS9_EEEE10hipError_tPvRmT1_T2_T3_mT4_P12ihipStream_tbEUlT_E0_NS1_11comp_targetILNS1_3genE3ELNS1_11target_archE908ELNS1_3gpuE7ELNS1_3repE0EEENS1_30default_config_static_selectorELNS0_4arch9wavefront6targetE0EEEvS14_,comdat
	.protected	_ZN7rocprim17ROCPRIM_400000_NS6detail17trampoline_kernelINS0_14default_configENS1_22reduce_config_selectorIN6thrust23THRUST_200600_302600_NS5tupleIblNS6_9null_typeES8_S8_S8_S8_S8_S8_S8_EEEEZNS1_11reduce_implILb1ES3_NS6_12zip_iteratorINS7_INS6_11hip_rocprim26transform_input_iterator_tIbNSD_35transform_pair_of_input_iterators_tIbNS6_6detail15normal_iteratorINS6_10device_ptrIKxEEEESL_NS6_8equal_toIxEEEENSG_9not_fun_tINSD_8identityEEEEENSD_19counting_iterator_tIlEES8_S8_S8_S8_S8_S8_S8_S8_EEEEPS9_S9_NSD_9__find_if7functorIS9_EEEE10hipError_tPvRmT1_T2_T3_mT4_P12ihipStream_tbEUlT_E0_NS1_11comp_targetILNS1_3genE3ELNS1_11target_archE908ELNS1_3gpuE7ELNS1_3repE0EEENS1_30default_config_static_selectorELNS0_4arch9wavefront6targetE0EEEvS14_ ; -- Begin function _ZN7rocprim17ROCPRIM_400000_NS6detail17trampoline_kernelINS0_14default_configENS1_22reduce_config_selectorIN6thrust23THRUST_200600_302600_NS5tupleIblNS6_9null_typeES8_S8_S8_S8_S8_S8_S8_EEEEZNS1_11reduce_implILb1ES3_NS6_12zip_iteratorINS7_INS6_11hip_rocprim26transform_input_iterator_tIbNSD_35transform_pair_of_input_iterators_tIbNS6_6detail15normal_iteratorINS6_10device_ptrIKxEEEESL_NS6_8equal_toIxEEEENSG_9not_fun_tINSD_8identityEEEEENSD_19counting_iterator_tIlEES8_S8_S8_S8_S8_S8_S8_S8_EEEEPS9_S9_NSD_9__find_if7functorIS9_EEEE10hipError_tPvRmT1_T2_T3_mT4_P12ihipStream_tbEUlT_E0_NS1_11comp_targetILNS1_3genE3ELNS1_11target_archE908ELNS1_3gpuE7ELNS1_3repE0EEENS1_30default_config_static_selectorELNS0_4arch9wavefront6targetE0EEEvS14_
	.globl	_ZN7rocprim17ROCPRIM_400000_NS6detail17trampoline_kernelINS0_14default_configENS1_22reduce_config_selectorIN6thrust23THRUST_200600_302600_NS5tupleIblNS6_9null_typeES8_S8_S8_S8_S8_S8_S8_EEEEZNS1_11reduce_implILb1ES3_NS6_12zip_iteratorINS7_INS6_11hip_rocprim26transform_input_iterator_tIbNSD_35transform_pair_of_input_iterators_tIbNS6_6detail15normal_iteratorINS6_10device_ptrIKxEEEESL_NS6_8equal_toIxEEEENSG_9not_fun_tINSD_8identityEEEEENSD_19counting_iterator_tIlEES8_S8_S8_S8_S8_S8_S8_S8_EEEEPS9_S9_NSD_9__find_if7functorIS9_EEEE10hipError_tPvRmT1_T2_T3_mT4_P12ihipStream_tbEUlT_E0_NS1_11comp_targetILNS1_3genE3ELNS1_11target_archE908ELNS1_3gpuE7ELNS1_3repE0EEENS1_30default_config_static_selectorELNS0_4arch9wavefront6targetE0EEEvS14_
	.p2align	8
	.type	_ZN7rocprim17ROCPRIM_400000_NS6detail17trampoline_kernelINS0_14default_configENS1_22reduce_config_selectorIN6thrust23THRUST_200600_302600_NS5tupleIblNS6_9null_typeES8_S8_S8_S8_S8_S8_S8_EEEEZNS1_11reduce_implILb1ES3_NS6_12zip_iteratorINS7_INS6_11hip_rocprim26transform_input_iterator_tIbNSD_35transform_pair_of_input_iterators_tIbNS6_6detail15normal_iteratorINS6_10device_ptrIKxEEEESL_NS6_8equal_toIxEEEENSG_9not_fun_tINSD_8identityEEEEENSD_19counting_iterator_tIlEES8_S8_S8_S8_S8_S8_S8_S8_EEEEPS9_S9_NSD_9__find_if7functorIS9_EEEE10hipError_tPvRmT1_T2_T3_mT4_P12ihipStream_tbEUlT_E0_NS1_11comp_targetILNS1_3genE3ELNS1_11target_archE908ELNS1_3gpuE7ELNS1_3repE0EEENS1_30default_config_static_selectorELNS0_4arch9wavefront6targetE0EEEvS14_,@function
_ZN7rocprim17ROCPRIM_400000_NS6detail17trampoline_kernelINS0_14default_configENS1_22reduce_config_selectorIN6thrust23THRUST_200600_302600_NS5tupleIblNS6_9null_typeES8_S8_S8_S8_S8_S8_S8_EEEEZNS1_11reduce_implILb1ES3_NS6_12zip_iteratorINS7_INS6_11hip_rocprim26transform_input_iterator_tIbNSD_35transform_pair_of_input_iterators_tIbNS6_6detail15normal_iteratorINS6_10device_ptrIKxEEEESL_NS6_8equal_toIxEEEENSG_9not_fun_tINSD_8identityEEEEENSD_19counting_iterator_tIlEES8_S8_S8_S8_S8_S8_S8_S8_EEEEPS9_S9_NSD_9__find_if7functorIS9_EEEE10hipError_tPvRmT1_T2_T3_mT4_P12ihipStream_tbEUlT_E0_NS1_11comp_targetILNS1_3genE3ELNS1_11target_archE908ELNS1_3gpuE7ELNS1_3repE0EEENS1_30default_config_static_selectorELNS0_4arch9wavefront6targetE0EEEvS14_: ; @_ZN7rocprim17ROCPRIM_400000_NS6detail17trampoline_kernelINS0_14default_configENS1_22reduce_config_selectorIN6thrust23THRUST_200600_302600_NS5tupleIblNS6_9null_typeES8_S8_S8_S8_S8_S8_S8_EEEEZNS1_11reduce_implILb1ES3_NS6_12zip_iteratorINS7_INS6_11hip_rocprim26transform_input_iterator_tIbNSD_35transform_pair_of_input_iterators_tIbNS6_6detail15normal_iteratorINS6_10device_ptrIKxEEEESL_NS6_8equal_toIxEEEENSG_9not_fun_tINSD_8identityEEEEENSD_19counting_iterator_tIlEES8_S8_S8_S8_S8_S8_S8_S8_EEEEPS9_S9_NSD_9__find_if7functorIS9_EEEE10hipError_tPvRmT1_T2_T3_mT4_P12ihipStream_tbEUlT_E0_NS1_11comp_targetILNS1_3genE3ELNS1_11target_archE908ELNS1_3gpuE7ELNS1_3repE0EEENS1_30default_config_static_selectorELNS0_4arch9wavefront6targetE0EEEvS14_
; %bb.0:
	.section	.rodata,"a",@progbits
	.p2align	6, 0x0
	.amdhsa_kernel _ZN7rocprim17ROCPRIM_400000_NS6detail17trampoline_kernelINS0_14default_configENS1_22reduce_config_selectorIN6thrust23THRUST_200600_302600_NS5tupleIblNS6_9null_typeES8_S8_S8_S8_S8_S8_S8_EEEEZNS1_11reduce_implILb1ES3_NS6_12zip_iteratorINS7_INS6_11hip_rocprim26transform_input_iterator_tIbNSD_35transform_pair_of_input_iterators_tIbNS6_6detail15normal_iteratorINS6_10device_ptrIKxEEEESL_NS6_8equal_toIxEEEENSG_9not_fun_tINSD_8identityEEEEENSD_19counting_iterator_tIlEES8_S8_S8_S8_S8_S8_S8_S8_EEEEPS9_S9_NSD_9__find_if7functorIS9_EEEE10hipError_tPvRmT1_T2_T3_mT4_P12ihipStream_tbEUlT_E0_NS1_11comp_targetILNS1_3genE3ELNS1_11target_archE908ELNS1_3gpuE7ELNS1_3repE0EEENS1_30default_config_static_selectorELNS0_4arch9wavefront6targetE0EEEvS14_
		.amdhsa_group_segment_fixed_size 0
		.amdhsa_private_segment_fixed_size 0
		.amdhsa_kernarg_size 104
		.amdhsa_user_sgpr_count 6
		.amdhsa_user_sgpr_private_segment_buffer 1
		.amdhsa_user_sgpr_dispatch_ptr 0
		.amdhsa_user_sgpr_queue_ptr 0
		.amdhsa_user_sgpr_kernarg_segment_ptr 1
		.amdhsa_user_sgpr_dispatch_id 0
		.amdhsa_user_sgpr_flat_scratch_init 0
		.amdhsa_user_sgpr_private_segment_size 0
		.amdhsa_wavefront_size32 1
		.amdhsa_uses_dynamic_stack 0
		.amdhsa_system_sgpr_private_segment_wavefront_offset 0
		.amdhsa_system_sgpr_workgroup_id_x 1
		.amdhsa_system_sgpr_workgroup_id_y 0
		.amdhsa_system_sgpr_workgroup_id_z 0
		.amdhsa_system_sgpr_workgroup_info 0
		.amdhsa_system_vgpr_workitem_id 0
		.amdhsa_next_free_vgpr 1
		.amdhsa_next_free_sgpr 1
		.amdhsa_reserve_vcc 0
		.amdhsa_reserve_flat_scratch 0
		.amdhsa_float_round_mode_32 0
		.amdhsa_float_round_mode_16_64 0
		.amdhsa_float_denorm_mode_32 3
		.amdhsa_float_denorm_mode_16_64 3
		.amdhsa_dx10_clamp 1
		.amdhsa_ieee_mode 1
		.amdhsa_fp16_overflow 0
		.amdhsa_workgroup_processor_mode 1
		.amdhsa_memory_ordered 1
		.amdhsa_forward_progress 1
		.amdhsa_shared_vgpr_count 0
		.amdhsa_exception_fp_ieee_invalid_op 0
		.amdhsa_exception_fp_denorm_src 0
		.amdhsa_exception_fp_ieee_div_zero 0
		.amdhsa_exception_fp_ieee_overflow 0
		.amdhsa_exception_fp_ieee_underflow 0
		.amdhsa_exception_fp_ieee_inexact 0
		.amdhsa_exception_int_div_zero 0
	.end_amdhsa_kernel
	.section	.text._ZN7rocprim17ROCPRIM_400000_NS6detail17trampoline_kernelINS0_14default_configENS1_22reduce_config_selectorIN6thrust23THRUST_200600_302600_NS5tupleIblNS6_9null_typeES8_S8_S8_S8_S8_S8_S8_EEEEZNS1_11reduce_implILb1ES3_NS6_12zip_iteratorINS7_INS6_11hip_rocprim26transform_input_iterator_tIbNSD_35transform_pair_of_input_iterators_tIbNS6_6detail15normal_iteratorINS6_10device_ptrIKxEEEESL_NS6_8equal_toIxEEEENSG_9not_fun_tINSD_8identityEEEEENSD_19counting_iterator_tIlEES8_S8_S8_S8_S8_S8_S8_S8_EEEEPS9_S9_NSD_9__find_if7functorIS9_EEEE10hipError_tPvRmT1_T2_T3_mT4_P12ihipStream_tbEUlT_E0_NS1_11comp_targetILNS1_3genE3ELNS1_11target_archE908ELNS1_3gpuE7ELNS1_3repE0EEENS1_30default_config_static_selectorELNS0_4arch9wavefront6targetE0EEEvS14_,"axG",@progbits,_ZN7rocprim17ROCPRIM_400000_NS6detail17trampoline_kernelINS0_14default_configENS1_22reduce_config_selectorIN6thrust23THRUST_200600_302600_NS5tupleIblNS6_9null_typeES8_S8_S8_S8_S8_S8_S8_EEEEZNS1_11reduce_implILb1ES3_NS6_12zip_iteratorINS7_INS6_11hip_rocprim26transform_input_iterator_tIbNSD_35transform_pair_of_input_iterators_tIbNS6_6detail15normal_iteratorINS6_10device_ptrIKxEEEESL_NS6_8equal_toIxEEEENSG_9not_fun_tINSD_8identityEEEEENSD_19counting_iterator_tIlEES8_S8_S8_S8_S8_S8_S8_S8_EEEEPS9_S9_NSD_9__find_if7functorIS9_EEEE10hipError_tPvRmT1_T2_T3_mT4_P12ihipStream_tbEUlT_E0_NS1_11comp_targetILNS1_3genE3ELNS1_11target_archE908ELNS1_3gpuE7ELNS1_3repE0EEENS1_30default_config_static_selectorELNS0_4arch9wavefront6targetE0EEEvS14_,comdat
.Lfunc_end396:
	.size	_ZN7rocprim17ROCPRIM_400000_NS6detail17trampoline_kernelINS0_14default_configENS1_22reduce_config_selectorIN6thrust23THRUST_200600_302600_NS5tupleIblNS6_9null_typeES8_S8_S8_S8_S8_S8_S8_EEEEZNS1_11reduce_implILb1ES3_NS6_12zip_iteratorINS7_INS6_11hip_rocprim26transform_input_iterator_tIbNSD_35transform_pair_of_input_iterators_tIbNS6_6detail15normal_iteratorINS6_10device_ptrIKxEEEESL_NS6_8equal_toIxEEEENSG_9not_fun_tINSD_8identityEEEEENSD_19counting_iterator_tIlEES8_S8_S8_S8_S8_S8_S8_S8_EEEEPS9_S9_NSD_9__find_if7functorIS9_EEEE10hipError_tPvRmT1_T2_T3_mT4_P12ihipStream_tbEUlT_E0_NS1_11comp_targetILNS1_3genE3ELNS1_11target_archE908ELNS1_3gpuE7ELNS1_3repE0EEENS1_30default_config_static_selectorELNS0_4arch9wavefront6targetE0EEEvS14_, .Lfunc_end396-_ZN7rocprim17ROCPRIM_400000_NS6detail17trampoline_kernelINS0_14default_configENS1_22reduce_config_selectorIN6thrust23THRUST_200600_302600_NS5tupleIblNS6_9null_typeES8_S8_S8_S8_S8_S8_S8_EEEEZNS1_11reduce_implILb1ES3_NS6_12zip_iteratorINS7_INS6_11hip_rocprim26transform_input_iterator_tIbNSD_35transform_pair_of_input_iterators_tIbNS6_6detail15normal_iteratorINS6_10device_ptrIKxEEEESL_NS6_8equal_toIxEEEENSG_9not_fun_tINSD_8identityEEEEENSD_19counting_iterator_tIlEES8_S8_S8_S8_S8_S8_S8_S8_EEEEPS9_S9_NSD_9__find_if7functorIS9_EEEE10hipError_tPvRmT1_T2_T3_mT4_P12ihipStream_tbEUlT_E0_NS1_11comp_targetILNS1_3genE3ELNS1_11target_archE908ELNS1_3gpuE7ELNS1_3repE0EEENS1_30default_config_static_selectorELNS0_4arch9wavefront6targetE0EEEvS14_
                                        ; -- End function
	.set _ZN7rocprim17ROCPRIM_400000_NS6detail17trampoline_kernelINS0_14default_configENS1_22reduce_config_selectorIN6thrust23THRUST_200600_302600_NS5tupleIblNS6_9null_typeES8_S8_S8_S8_S8_S8_S8_EEEEZNS1_11reduce_implILb1ES3_NS6_12zip_iteratorINS7_INS6_11hip_rocprim26transform_input_iterator_tIbNSD_35transform_pair_of_input_iterators_tIbNS6_6detail15normal_iteratorINS6_10device_ptrIKxEEEESL_NS6_8equal_toIxEEEENSG_9not_fun_tINSD_8identityEEEEENSD_19counting_iterator_tIlEES8_S8_S8_S8_S8_S8_S8_S8_EEEEPS9_S9_NSD_9__find_if7functorIS9_EEEE10hipError_tPvRmT1_T2_T3_mT4_P12ihipStream_tbEUlT_E0_NS1_11comp_targetILNS1_3genE3ELNS1_11target_archE908ELNS1_3gpuE7ELNS1_3repE0EEENS1_30default_config_static_selectorELNS0_4arch9wavefront6targetE0EEEvS14_.num_vgpr, 0
	.set _ZN7rocprim17ROCPRIM_400000_NS6detail17trampoline_kernelINS0_14default_configENS1_22reduce_config_selectorIN6thrust23THRUST_200600_302600_NS5tupleIblNS6_9null_typeES8_S8_S8_S8_S8_S8_S8_EEEEZNS1_11reduce_implILb1ES3_NS6_12zip_iteratorINS7_INS6_11hip_rocprim26transform_input_iterator_tIbNSD_35transform_pair_of_input_iterators_tIbNS6_6detail15normal_iteratorINS6_10device_ptrIKxEEEESL_NS6_8equal_toIxEEEENSG_9not_fun_tINSD_8identityEEEEENSD_19counting_iterator_tIlEES8_S8_S8_S8_S8_S8_S8_S8_EEEEPS9_S9_NSD_9__find_if7functorIS9_EEEE10hipError_tPvRmT1_T2_T3_mT4_P12ihipStream_tbEUlT_E0_NS1_11comp_targetILNS1_3genE3ELNS1_11target_archE908ELNS1_3gpuE7ELNS1_3repE0EEENS1_30default_config_static_selectorELNS0_4arch9wavefront6targetE0EEEvS14_.num_agpr, 0
	.set _ZN7rocprim17ROCPRIM_400000_NS6detail17trampoline_kernelINS0_14default_configENS1_22reduce_config_selectorIN6thrust23THRUST_200600_302600_NS5tupleIblNS6_9null_typeES8_S8_S8_S8_S8_S8_S8_EEEEZNS1_11reduce_implILb1ES3_NS6_12zip_iteratorINS7_INS6_11hip_rocprim26transform_input_iterator_tIbNSD_35transform_pair_of_input_iterators_tIbNS6_6detail15normal_iteratorINS6_10device_ptrIKxEEEESL_NS6_8equal_toIxEEEENSG_9not_fun_tINSD_8identityEEEEENSD_19counting_iterator_tIlEES8_S8_S8_S8_S8_S8_S8_S8_EEEEPS9_S9_NSD_9__find_if7functorIS9_EEEE10hipError_tPvRmT1_T2_T3_mT4_P12ihipStream_tbEUlT_E0_NS1_11comp_targetILNS1_3genE3ELNS1_11target_archE908ELNS1_3gpuE7ELNS1_3repE0EEENS1_30default_config_static_selectorELNS0_4arch9wavefront6targetE0EEEvS14_.numbered_sgpr, 0
	.set _ZN7rocprim17ROCPRIM_400000_NS6detail17trampoline_kernelINS0_14default_configENS1_22reduce_config_selectorIN6thrust23THRUST_200600_302600_NS5tupleIblNS6_9null_typeES8_S8_S8_S8_S8_S8_S8_EEEEZNS1_11reduce_implILb1ES3_NS6_12zip_iteratorINS7_INS6_11hip_rocprim26transform_input_iterator_tIbNSD_35transform_pair_of_input_iterators_tIbNS6_6detail15normal_iteratorINS6_10device_ptrIKxEEEESL_NS6_8equal_toIxEEEENSG_9not_fun_tINSD_8identityEEEEENSD_19counting_iterator_tIlEES8_S8_S8_S8_S8_S8_S8_S8_EEEEPS9_S9_NSD_9__find_if7functorIS9_EEEE10hipError_tPvRmT1_T2_T3_mT4_P12ihipStream_tbEUlT_E0_NS1_11comp_targetILNS1_3genE3ELNS1_11target_archE908ELNS1_3gpuE7ELNS1_3repE0EEENS1_30default_config_static_selectorELNS0_4arch9wavefront6targetE0EEEvS14_.num_named_barrier, 0
	.set _ZN7rocprim17ROCPRIM_400000_NS6detail17trampoline_kernelINS0_14default_configENS1_22reduce_config_selectorIN6thrust23THRUST_200600_302600_NS5tupleIblNS6_9null_typeES8_S8_S8_S8_S8_S8_S8_EEEEZNS1_11reduce_implILb1ES3_NS6_12zip_iteratorINS7_INS6_11hip_rocprim26transform_input_iterator_tIbNSD_35transform_pair_of_input_iterators_tIbNS6_6detail15normal_iteratorINS6_10device_ptrIKxEEEESL_NS6_8equal_toIxEEEENSG_9not_fun_tINSD_8identityEEEEENSD_19counting_iterator_tIlEES8_S8_S8_S8_S8_S8_S8_S8_EEEEPS9_S9_NSD_9__find_if7functorIS9_EEEE10hipError_tPvRmT1_T2_T3_mT4_P12ihipStream_tbEUlT_E0_NS1_11comp_targetILNS1_3genE3ELNS1_11target_archE908ELNS1_3gpuE7ELNS1_3repE0EEENS1_30default_config_static_selectorELNS0_4arch9wavefront6targetE0EEEvS14_.private_seg_size, 0
	.set _ZN7rocprim17ROCPRIM_400000_NS6detail17trampoline_kernelINS0_14default_configENS1_22reduce_config_selectorIN6thrust23THRUST_200600_302600_NS5tupleIblNS6_9null_typeES8_S8_S8_S8_S8_S8_S8_EEEEZNS1_11reduce_implILb1ES3_NS6_12zip_iteratorINS7_INS6_11hip_rocprim26transform_input_iterator_tIbNSD_35transform_pair_of_input_iterators_tIbNS6_6detail15normal_iteratorINS6_10device_ptrIKxEEEESL_NS6_8equal_toIxEEEENSG_9not_fun_tINSD_8identityEEEEENSD_19counting_iterator_tIlEES8_S8_S8_S8_S8_S8_S8_S8_EEEEPS9_S9_NSD_9__find_if7functorIS9_EEEE10hipError_tPvRmT1_T2_T3_mT4_P12ihipStream_tbEUlT_E0_NS1_11comp_targetILNS1_3genE3ELNS1_11target_archE908ELNS1_3gpuE7ELNS1_3repE0EEENS1_30default_config_static_selectorELNS0_4arch9wavefront6targetE0EEEvS14_.uses_vcc, 0
	.set _ZN7rocprim17ROCPRIM_400000_NS6detail17trampoline_kernelINS0_14default_configENS1_22reduce_config_selectorIN6thrust23THRUST_200600_302600_NS5tupleIblNS6_9null_typeES8_S8_S8_S8_S8_S8_S8_EEEEZNS1_11reduce_implILb1ES3_NS6_12zip_iteratorINS7_INS6_11hip_rocprim26transform_input_iterator_tIbNSD_35transform_pair_of_input_iterators_tIbNS6_6detail15normal_iteratorINS6_10device_ptrIKxEEEESL_NS6_8equal_toIxEEEENSG_9not_fun_tINSD_8identityEEEEENSD_19counting_iterator_tIlEES8_S8_S8_S8_S8_S8_S8_S8_EEEEPS9_S9_NSD_9__find_if7functorIS9_EEEE10hipError_tPvRmT1_T2_T3_mT4_P12ihipStream_tbEUlT_E0_NS1_11comp_targetILNS1_3genE3ELNS1_11target_archE908ELNS1_3gpuE7ELNS1_3repE0EEENS1_30default_config_static_selectorELNS0_4arch9wavefront6targetE0EEEvS14_.uses_flat_scratch, 0
	.set _ZN7rocprim17ROCPRIM_400000_NS6detail17trampoline_kernelINS0_14default_configENS1_22reduce_config_selectorIN6thrust23THRUST_200600_302600_NS5tupleIblNS6_9null_typeES8_S8_S8_S8_S8_S8_S8_EEEEZNS1_11reduce_implILb1ES3_NS6_12zip_iteratorINS7_INS6_11hip_rocprim26transform_input_iterator_tIbNSD_35transform_pair_of_input_iterators_tIbNS6_6detail15normal_iteratorINS6_10device_ptrIKxEEEESL_NS6_8equal_toIxEEEENSG_9not_fun_tINSD_8identityEEEEENSD_19counting_iterator_tIlEES8_S8_S8_S8_S8_S8_S8_S8_EEEEPS9_S9_NSD_9__find_if7functorIS9_EEEE10hipError_tPvRmT1_T2_T3_mT4_P12ihipStream_tbEUlT_E0_NS1_11comp_targetILNS1_3genE3ELNS1_11target_archE908ELNS1_3gpuE7ELNS1_3repE0EEENS1_30default_config_static_selectorELNS0_4arch9wavefront6targetE0EEEvS14_.has_dyn_sized_stack, 0
	.set _ZN7rocprim17ROCPRIM_400000_NS6detail17trampoline_kernelINS0_14default_configENS1_22reduce_config_selectorIN6thrust23THRUST_200600_302600_NS5tupleIblNS6_9null_typeES8_S8_S8_S8_S8_S8_S8_EEEEZNS1_11reduce_implILb1ES3_NS6_12zip_iteratorINS7_INS6_11hip_rocprim26transform_input_iterator_tIbNSD_35transform_pair_of_input_iterators_tIbNS6_6detail15normal_iteratorINS6_10device_ptrIKxEEEESL_NS6_8equal_toIxEEEENSG_9not_fun_tINSD_8identityEEEEENSD_19counting_iterator_tIlEES8_S8_S8_S8_S8_S8_S8_S8_EEEEPS9_S9_NSD_9__find_if7functorIS9_EEEE10hipError_tPvRmT1_T2_T3_mT4_P12ihipStream_tbEUlT_E0_NS1_11comp_targetILNS1_3genE3ELNS1_11target_archE908ELNS1_3gpuE7ELNS1_3repE0EEENS1_30default_config_static_selectorELNS0_4arch9wavefront6targetE0EEEvS14_.has_recursion, 0
	.set _ZN7rocprim17ROCPRIM_400000_NS6detail17trampoline_kernelINS0_14default_configENS1_22reduce_config_selectorIN6thrust23THRUST_200600_302600_NS5tupleIblNS6_9null_typeES8_S8_S8_S8_S8_S8_S8_EEEEZNS1_11reduce_implILb1ES3_NS6_12zip_iteratorINS7_INS6_11hip_rocprim26transform_input_iterator_tIbNSD_35transform_pair_of_input_iterators_tIbNS6_6detail15normal_iteratorINS6_10device_ptrIKxEEEESL_NS6_8equal_toIxEEEENSG_9not_fun_tINSD_8identityEEEEENSD_19counting_iterator_tIlEES8_S8_S8_S8_S8_S8_S8_S8_EEEEPS9_S9_NSD_9__find_if7functorIS9_EEEE10hipError_tPvRmT1_T2_T3_mT4_P12ihipStream_tbEUlT_E0_NS1_11comp_targetILNS1_3genE3ELNS1_11target_archE908ELNS1_3gpuE7ELNS1_3repE0EEENS1_30default_config_static_selectorELNS0_4arch9wavefront6targetE0EEEvS14_.has_indirect_call, 0
	.section	.AMDGPU.csdata,"",@progbits
; Kernel info:
; codeLenInByte = 0
; TotalNumSgprs: 0
; NumVgprs: 0
; ScratchSize: 0
; MemoryBound: 0
; FloatMode: 240
; IeeeMode: 1
; LDSByteSize: 0 bytes/workgroup (compile time only)
; SGPRBlocks: 0
; VGPRBlocks: 0
; NumSGPRsForWavesPerEU: 1
; NumVGPRsForWavesPerEU: 1
; Occupancy: 16
; WaveLimiterHint : 0
; COMPUTE_PGM_RSRC2:SCRATCH_EN: 0
; COMPUTE_PGM_RSRC2:USER_SGPR: 6
; COMPUTE_PGM_RSRC2:TRAP_HANDLER: 0
; COMPUTE_PGM_RSRC2:TGID_X_EN: 1
; COMPUTE_PGM_RSRC2:TGID_Y_EN: 0
; COMPUTE_PGM_RSRC2:TGID_Z_EN: 0
; COMPUTE_PGM_RSRC2:TIDIG_COMP_CNT: 0
	.section	.text._ZN7rocprim17ROCPRIM_400000_NS6detail17trampoline_kernelINS0_14default_configENS1_22reduce_config_selectorIN6thrust23THRUST_200600_302600_NS5tupleIblNS6_9null_typeES8_S8_S8_S8_S8_S8_S8_EEEEZNS1_11reduce_implILb1ES3_NS6_12zip_iteratorINS7_INS6_11hip_rocprim26transform_input_iterator_tIbNSD_35transform_pair_of_input_iterators_tIbNS6_6detail15normal_iteratorINS6_10device_ptrIKxEEEESL_NS6_8equal_toIxEEEENSG_9not_fun_tINSD_8identityEEEEENSD_19counting_iterator_tIlEES8_S8_S8_S8_S8_S8_S8_S8_EEEEPS9_S9_NSD_9__find_if7functorIS9_EEEE10hipError_tPvRmT1_T2_T3_mT4_P12ihipStream_tbEUlT_E0_NS1_11comp_targetILNS1_3genE2ELNS1_11target_archE906ELNS1_3gpuE6ELNS1_3repE0EEENS1_30default_config_static_selectorELNS0_4arch9wavefront6targetE0EEEvS14_,"axG",@progbits,_ZN7rocprim17ROCPRIM_400000_NS6detail17trampoline_kernelINS0_14default_configENS1_22reduce_config_selectorIN6thrust23THRUST_200600_302600_NS5tupleIblNS6_9null_typeES8_S8_S8_S8_S8_S8_S8_EEEEZNS1_11reduce_implILb1ES3_NS6_12zip_iteratorINS7_INS6_11hip_rocprim26transform_input_iterator_tIbNSD_35transform_pair_of_input_iterators_tIbNS6_6detail15normal_iteratorINS6_10device_ptrIKxEEEESL_NS6_8equal_toIxEEEENSG_9not_fun_tINSD_8identityEEEEENSD_19counting_iterator_tIlEES8_S8_S8_S8_S8_S8_S8_S8_EEEEPS9_S9_NSD_9__find_if7functorIS9_EEEE10hipError_tPvRmT1_T2_T3_mT4_P12ihipStream_tbEUlT_E0_NS1_11comp_targetILNS1_3genE2ELNS1_11target_archE906ELNS1_3gpuE6ELNS1_3repE0EEENS1_30default_config_static_selectorELNS0_4arch9wavefront6targetE0EEEvS14_,comdat
	.protected	_ZN7rocprim17ROCPRIM_400000_NS6detail17trampoline_kernelINS0_14default_configENS1_22reduce_config_selectorIN6thrust23THRUST_200600_302600_NS5tupleIblNS6_9null_typeES8_S8_S8_S8_S8_S8_S8_EEEEZNS1_11reduce_implILb1ES3_NS6_12zip_iteratorINS7_INS6_11hip_rocprim26transform_input_iterator_tIbNSD_35transform_pair_of_input_iterators_tIbNS6_6detail15normal_iteratorINS6_10device_ptrIKxEEEESL_NS6_8equal_toIxEEEENSG_9not_fun_tINSD_8identityEEEEENSD_19counting_iterator_tIlEES8_S8_S8_S8_S8_S8_S8_S8_EEEEPS9_S9_NSD_9__find_if7functorIS9_EEEE10hipError_tPvRmT1_T2_T3_mT4_P12ihipStream_tbEUlT_E0_NS1_11comp_targetILNS1_3genE2ELNS1_11target_archE906ELNS1_3gpuE6ELNS1_3repE0EEENS1_30default_config_static_selectorELNS0_4arch9wavefront6targetE0EEEvS14_ ; -- Begin function _ZN7rocprim17ROCPRIM_400000_NS6detail17trampoline_kernelINS0_14default_configENS1_22reduce_config_selectorIN6thrust23THRUST_200600_302600_NS5tupleIblNS6_9null_typeES8_S8_S8_S8_S8_S8_S8_EEEEZNS1_11reduce_implILb1ES3_NS6_12zip_iteratorINS7_INS6_11hip_rocprim26transform_input_iterator_tIbNSD_35transform_pair_of_input_iterators_tIbNS6_6detail15normal_iteratorINS6_10device_ptrIKxEEEESL_NS6_8equal_toIxEEEENSG_9not_fun_tINSD_8identityEEEEENSD_19counting_iterator_tIlEES8_S8_S8_S8_S8_S8_S8_S8_EEEEPS9_S9_NSD_9__find_if7functorIS9_EEEE10hipError_tPvRmT1_T2_T3_mT4_P12ihipStream_tbEUlT_E0_NS1_11comp_targetILNS1_3genE2ELNS1_11target_archE906ELNS1_3gpuE6ELNS1_3repE0EEENS1_30default_config_static_selectorELNS0_4arch9wavefront6targetE0EEEvS14_
	.globl	_ZN7rocprim17ROCPRIM_400000_NS6detail17trampoline_kernelINS0_14default_configENS1_22reduce_config_selectorIN6thrust23THRUST_200600_302600_NS5tupleIblNS6_9null_typeES8_S8_S8_S8_S8_S8_S8_EEEEZNS1_11reduce_implILb1ES3_NS6_12zip_iteratorINS7_INS6_11hip_rocprim26transform_input_iterator_tIbNSD_35transform_pair_of_input_iterators_tIbNS6_6detail15normal_iteratorINS6_10device_ptrIKxEEEESL_NS6_8equal_toIxEEEENSG_9not_fun_tINSD_8identityEEEEENSD_19counting_iterator_tIlEES8_S8_S8_S8_S8_S8_S8_S8_EEEEPS9_S9_NSD_9__find_if7functorIS9_EEEE10hipError_tPvRmT1_T2_T3_mT4_P12ihipStream_tbEUlT_E0_NS1_11comp_targetILNS1_3genE2ELNS1_11target_archE906ELNS1_3gpuE6ELNS1_3repE0EEENS1_30default_config_static_selectorELNS0_4arch9wavefront6targetE0EEEvS14_
	.p2align	8
	.type	_ZN7rocprim17ROCPRIM_400000_NS6detail17trampoline_kernelINS0_14default_configENS1_22reduce_config_selectorIN6thrust23THRUST_200600_302600_NS5tupleIblNS6_9null_typeES8_S8_S8_S8_S8_S8_S8_EEEEZNS1_11reduce_implILb1ES3_NS6_12zip_iteratorINS7_INS6_11hip_rocprim26transform_input_iterator_tIbNSD_35transform_pair_of_input_iterators_tIbNS6_6detail15normal_iteratorINS6_10device_ptrIKxEEEESL_NS6_8equal_toIxEEEENSG_9not_fun_tINSD_8identityEEEEENSD_19counting_iterator_tIlEES8_S8_S8_S8_S8_S8_S8_S8_EEEEPS9_S9_NSD_9__find_if7functorIS9_EEEE10hipError_tPvRmT1_T2_T3_mT4_P12ihipStream_tbEUlT_E0_NS1_11comp_targetILNS1_3genE2ELNS1_11target_archE906ELNS1_3gpuE6ELNS1_3repE0EEENS1_30default_config_static_selectorELNS0_4arch9wavefront6targetE0EEEvS14_,@function
_ZN7rocprim17ROCPRIM_400000_NS6detail17trampoline_kernelINS0_14default_configENS1_22reduce_config_selectorIN6thrust23THRUST_200600_302600_NS5tupleIblNS6_9null_typeES8_S8_S8_S8_S8_S8_S8_EEEEZNS1_11reduce_implILb1ES3_NS6_12zip_iteratorINS7_INS6_11hip_rocprim26transform_input_iterator_tIbNSD_35transform_pair_of_input_iterators_tIbNS6_6detail15normal_iteratorINS6_10device_ptrIKxEEEESL_NS6_8equal_toIxEEEENSG_9not_fun_tINSD_8identityEEEEENSD_19counting_iterator_tIlEES8_S8_S8_S8_S8_S8_S8_S8_EEEEPS9_S9_NSD_9__find_if7functorIS9_EEEE10hipError_tPvRmT1_T2_T3_mT4_P12ihipStream_tbEUlT_E0_NS1_11comp_targetILNS1_3genE2ELNS1_11target_archE906ELNS1_3gpuE6ELNS1_3repE0EEENS1_30default_config_static_selectorELNS0_4arch9wavefront6targetE0EEEvS14_: ; @_ZN7rocprim17ROCPRIM_400000_NS6detail17trampoline_kernelINS0_14default_configENS1_22reduce_config_selectorIN6thrust23THRUST_200600_302600_NS5tupleIblNS6_9null_typeES8_S8_S8_S8_S8_S8_S8_EEEEZNS1_11reduce_implILb1ES3_NS6_12zip_iteratorINS7_INS6_11hip_rocprim26transform_input_iterator_tIbNSD_35transform_pair_of_input_iterators_tIbNS6_6detail15normal_iteratorINS6_10device_ptrIKxEEEESL_NS6_8equal_toIxEEEENSG_9not_fun_tINSD_8identityEEEEENSD_19counting_iterator_tIlEES8_S8_S8_S8_S8_S8_S8_S8_EEEEPS9_S9_NSD_9__find_if7functorIS9_EEEE10hipError_tPvRmT1_T2_T3_mT4_P12ihipStream_tbEUlT_E0_NS1_11comp_targetILNS1_3genE2ELNS1_11target_archE906ELNS1_3gpuE6ELNS1_3repE0EEENS1_30default_config_static_selectorELNS0_4arch9wavefront6targetE0EEEvS14_
; %bb.0:
	.section	.rodata,"a",@progbits
	.p2align	6, 0x0
	.amdhsa_kernel _ZN7rocprim17ROCPRIM_400000_NS6detail17trampoline_kernelINS0_14default_configENS1_22reduce_config_selectorIN6thrust23THRUST_200600_302600_NS5tupleIblNS6_9null_typeES8_S8_S8_S8_S8_S8_S8_EEEEZNS1_11reduce_implILb1ES3_NS6_12zip_iteratorINS7_INS6_11hip_rocprim26transform_input_iterator_tIbNSD_35transform_pair_of_input_iterators_tIbNS6_6detail15normal_iteratorINS6_10device_ptrIKxEEEESL_NS6_8equal_toIxEEEENSG_9not_fun_tINSD_8identityEEEEENSD_19counting_iterator_tIlEES8_S8_S8_S8_S8_S8_S8_S8_EEEEPS9_S9_NSD_9__find_if7functorIS9_EEEE10hipError_tPvRmT1_T2_T3_mT4_P12ihipStream_tbEUlT_E0_NS1_11comp_targetILNS1_3genE2ELNS1_11target_archE906ELNS1_3gpuE6ELNS1_3repE0EEENS1_30default_config_static_selectorELNS0_4arch9wavefront6targetE0EEEvS14_
		.amdhsa_group_segment_fixed_size 0
		.amdhsa_private_segment_fixed_size 0
		.amdhsa_kernarg_size 104
		.amdhsa_user_sgpr_count 6
		.amdhsa_user_sgpr_private_segment_buffer 1
		.amdhsa_user_sgpr_dispatch_ptr 0
		.amdhsa_user_sgpr_queue_ptr 0
		.amdhsa_user_sgpr_kernarg_segment_ptr 1
		.amdhsa_user_sgpr_dispatch_id 0
		.amdhsa_user_sgpr_flat_scratch_init 0
		.amdhsa_user_sgpr_private_segment_size 0
		.amdhsa_wavefront_size32 1
		.amdhsa_uses_dynamic_stack 0
		.amdhsa_system_sgpr_private_segment_wavefront_offset 0
		.amdhsa_system_sgpr_workgroup_id_x 1
		.amdhsa_system_sgpr_workgroup_id_y 0
		.amdhsa_system_sgpr_workgroup_id_z 0
		.amdhsa_system_sgpr_workgroup_info 0
		.amdhsa_system_vgpr_workitem_id 0
		.amdhsa_next_free_vgpr 1
		.amdhsa_next_free_sgpr 1
		.amdhsa_reserve_vcc 0
		.amdhsa_reserve_flat_scratch 0
		.amdhsa_float_round_mode_32 0
		.amdhsa_float_round_mode_16_64 0
		.amdhsa_float_denorm_mode_32 3
		.amdhsa_float_denorm_mode_16_64 3
		.amdhsa_dx10_clamp 1
		.amdhsa_ieee_mode 1
		.amdhsa_fp16_overflow 0
		.amdhsa_workgroup_processor_mode 1
		.amdhsa_memory_ordered 1
		.amdhsa_forward_progress 1
		.amdhsa_shared_vgpr_count 0
		.amdhsa_exception_fp_ieee_invalid_op 0
		.amdhsa_exception_fp_denorm_src 0
		.amdhsa_exception_fp_ieee_div_zero 0
		.amdhsa_exception_fp_ieee_overflow 0
		.amdhsa_exception_fp_ieee_underflow 0
		.amdhsa_exception_fp_ieee_inexact 0
		.amdhsa_exception_int_div_zero 0
	.end_amdhsa_kernel
	.section	.text._ZN7rocprim17ROCPRIM_400000_NS6detail17trampoline_kernelINS0_14default_configENS1_22reduce_config_selectorIN6thrust23THRUST_200600_302600_NS5tupleIblNS6_9null_typeES8_S8_S8_S8_S8_S8_S8_EEEEZNS1_11reduce_implILb1ES3_NS6_12zip_iteratorINS7_INS6_11hip_rocprim26transform_input_iterator_tIbNSD_35transform_pair_of_input_iterators_tIbNS6_6detail15normal_iteratorINS6_10device_ptrIKxEEEESL_NS6_8equal_toIxEEEENSG_9not_fun_tINSD_8identityEEEEENSD_19counting_iterator_tIlEES8_S8_S8_S8_S8_S8_S8_S8_EEEEPS9_S9_NSD_9__find_if7functorIS9_EEEE10hipError_tPvRmT1_T2_T3_mT4_P12ihipStream_tbEUlT_E0_NS1_11comp_targetILNS1_3genE2ELNS1_11target_archE906ELNS1_3gpuE6ELNS1_3repE0EEENS1_30default_config_static_selectorELNS0_4arch9wavefront6targetE0EEEvS14_,"axG",@progbits,_ZN7rocprim17ROCPRIM_400000_NS6detail17trampoline_kernelINS0_14default_configENS1_22reduce_config_selectorIN6thrust23THRUST_200600_302600_NS5tupleIblNS6_9null_typeES8_S8_S8_S8_S8_S8_S8_EEEEZNS1_11reduce_implILb1ES3_NS6_12zip_iteratorINS7_INS6_11hip_rocprim26transform_input_iterator_tIbNSD_35transform_pair_of_input_iterators_tIbNS6_6detail15normal_iteratorINS6_10device_ptrIKxEEEESL_NS6_8equal_toIxEEEENSG_9not_fun_tINSD_8identityEEEEENSD_19counting_iterator_tIlEES8_S8_S8_S8_S8_S8_S8_S8_EEEEPS9_S9_NSD_9__find_if7functorIS9_EEEE10hipError_tPvRmT1_T2_T3_mT4_P12ihipStream_tbEUlT_E0_NS1_11comp_targetILNS1_3genE2ELNS1_11target_archE906ELNS1_3gpuE6ELNS1_3repE0EEENS1_30default_config_static_selectorELNS0_4arch9wavefront6targetE0EEEvS14_,comdat
.Lfunc_end397:
	.size	_ZN7rocprim17ROCPRIM_400000_NS6detail17trampoline_kernelINS0_14default_configENS1_22reduce_config_selectorIN6thrust23THRUST_200600_302600_NS5tupleIblNS6_9null_typeES8_S8_S8_S8_S8_S8_S8_EEEEZNS1_11reduce_implILb1ES3_NS6_12zip_iteratorINS7_INS6_11hip_rocprim26transform_input_iterator_tIbNSD_35transform_pair_of_input_iterators_tIbNS6_6detail15normal_iteratorINS6_10device_ptrIKxEEEESL_NS6_8equal_toIxEEEENSG_9not_fun_tINSD_8identityEEEEENSD_19counting_iterator_tIlEES8_S8_S8_S8_S8_S8_S8_S8_EEEEPS9_S9_NSD_9__find_if7functorIS9_EEEE10hipError_tPvRmT1_T2_T3_mT4_P12ihipStream_tbEUlT_E0_NS1_11comp_targetILNS1_3genE2ELNS1_11target_archE906ELNS1_3gpuE6ELNS1_3repE0EEENS1_30default_config_static_selectorELNS0_4arch9wavefront6targetE0EEEvS14_, .Lfunc_end397-_ZN7rocprim17ROCPRIM_400000_NS6detail17trampoline_kernelINS0_14default_configENS1_22reduce_config_selectorIN6thrust23THRUST_200600_302600_NS5tupleIblNS6_9null_typeES8_S8_S8_S8_S8_S8_S8_EEEEZNS1_11reduce_implILb1ES3_NS6_12zip_iteratorINS7_INS6_11hip_rocprim26transform_input_iterator_tIbNSD_35transform_pair_of_input_iterators_tIbNS6_6detail15normal_iteratorINS6_10device_ptrIKxEEEESL_NS6_8equal_toIxEEEENSG_9not_fun_tINSD_8identityEEEEENSD_19counting_iterator_tIlEES8_S8_S8_S8_S8_S8_S8_S8_EEEEPS9_S9_NSD_9__find_if7functorIS9_EEEE10hipError_tPvRmT1_T2_T3_mT4_P12ihipStream_tbEUlT_E0_NS1_11comp_targetILNS1_3genE2ELNS1_11target_archE906ELNS1_3gpuE6ELNS1_3repE0EEENS1_30default_config_static_selectorELNS0_4arch9wavefront6targetE0EEEvS14_
                                        ; -- End function
	.set _ZN7rocprim17ROCPRIM_400000_NS6detail17trampoline_kernelINS0_14default_configENS1_22reduce_config_selectorIN6thrust23THRUST_200600_302600_NS5tupleIblNS6_9null_typeES8_S8_S8_S8_S8_S8_S8_EEEEZNS1_11reduce_implILb1ES3_NS6_12zip_iteratorINS7_INS6_11hip_rocprim26transform_input_iterator_tIbNSD_35transform_pair_of_input_iterators_tIbNS6_6detail15normal_iteratorINS6_10device_ptrIKxEEEESL_NS6_8equal_toIxEEEENSG_9not_fun_tINSD_8identityEEEEENSD_19counting_iterator_tIlEES8_S8_S8_S8_S8_S8_S8_S8_EEEEPS9_S9_NSD_9__find_if7functorIS9_EEEE10hipError_tPvRmT1_T2_T3_mT4_P12ihipStream_tbEUlT_E0_NS1_11comp_targetILNS1_3genE2ELNS1_11target_archE906ELNS1_3gpuE6ELNS1_3repE0EEENS1_30default_config_static_selectorELNS0_4arch9wavefront6targetE0EEEvS14_.num_vgpr, 0
	.set _ZN7rocprim17ROCPRIM_400000_NS6detail17trampoline_kernelINS0_14default_configENS1_22reduce_config_selectorIN6thrust23THRUST_200600_302600_NS5tupleIblNS6_9null_typeES8_S8_S8_S8_S8_S8_S8_EEEEZNS1_11reduce_implILb1ES3_NS6_12zip_iteratorINS7_INS6_11hip_rocprim26transform_input_iterator_tIbNSD_35transform_pair_of_input_iterators_tIbNS6_6detail15normal_iteratorINS6_10device_ptrIKxEEEESL_NS6_8equal_toIxEEEENSG_9not_fun_tINSD_8identityEEEEENSD_19counting_iterator_tIlEES8_S8_S8_S8_S8_S8_S8_S8_EEEEPS9_S9_NSD_9__find_if7functorIS9_EEEE10hipError_tPvRmT1_T2_T3_mT4_P12ihipStream_tbEUlT_E0_NS1_11comp_targetILNS1_3genE2ELNS1_11target_archE906ELNS1_3gpuE6ELNS1_3repE0EEENS1_30default_config_static_selectorELNS0_4arch9wavefront6targetE0EEEvS14_.num_agpr, 0
	.set _ZN7rocprim17ROCPRIM_400000_NS6detail17trampoline_kernelINS0_14default_configENS1_22reduce_config_selectorIN6thrust23THRUST_200600_302600_NS5tupleIblNS6_9null_typeES8_S8_S8_S8_S8_S8_S8_EEEEZNS1_11reduce_implILb1ES3_NS6_12zip_iteratorINS7_INS6_11hip_rocprim26transform_input_iterator_tIbNSD_35transform_pair_of_input_iterators_tIbNS6_6detail15normal_iteratorINS6_10device_ptrIKxEEEESL_NS6_8equal_toIxEEEENSG_9not_fun_tINSD_8identityEEEEENSD_19counting_iterator_tIlEES8_S8_S8_S8_S8_S8_S8_S8_EEEEPS9_S9_NSD_9__find_if7functorIS9_EEEE10hipError_tPvRmT1_T2_T3_mT4_P12ihipStream_tbEUlT_E0_NS1_11comp_targetILNS1_3genE2ELNS1_11target_archE906ELNS1_3gpuE6ELNS1_3repE0EEENS1_30default_config_static_selectorELNS0_4arch9wavefront6targetE0EEEvS14_.numbered_sgpr, 0
	.set _ZN7rocprim17ROCPRIM_400000_NS6detail17trampoline_kernelINS0_14default_configENS1_22reduce_config_selectorIN6thrust23THRUST_200600_302600_NS5tupleIblNS6_9null_typeES8_S8_S8_S8_S8_S8_S8_EEEEZNS1_11reduce_implILb1ES3_NS6_12zip_iteratorINS7_INS6_11hip_rocprim26transform_input_iterator_tIbNSD_35transform_pair_of_input_iterators_tIbNS6_6detail15normal_iteratorINS6_10device_ptrIKxEEEESL_NS6_8equal_toIxEEEENSG_9not_fun_tINSD_8identityEEEEENSD_19counting_iterator_tIlEES8_S8_S8_S8_S8_S8_S8_S8_EEEEPS9_S9_NSD_9__find_if7functorIS9_EEEE10hipError_tPvRmT1_T2_T3_mT4_P12ihipStream_tbEUlT_E0_NS1_11comp_targetILNS1_3genE2ELNS1_11target_archE906ELNS1_3gpuE6ELNS1_3repE0EEENS1_30default_config_static_selectorELNS0_4arch9wavefront6targetE0EEEvS14_.num_named_barrier, 0
	.set _ZN7rocprim17ROCPRIM_400000_NS6detail17trampoline_kernelINS0_14default_configENS1_22reduce_config_selectorIN6thrust23THRUST_200600_302600_NS5tupleIblNS6_9null_typeES8_S8_S8_S8_S8_S8_S8_EEEEZNS1_11reduce_implILb1ES3_NS6_12zip_iteratorINS7_INS6_11hip_rocprim26transform_input_iterator_tIbNSD_35transform_pair_of_input_iterators_tIbNS6_6detail15normal_iteratorINS6_10device_ptrIKxEEEESL_NS6_8equal_toIxEEEENSG_9not_fun_tINSD_8identityEEEEENSD_19counting_iterator_tIlEES8_S8_S8_S8_S8_S8_S8_S8_EEEEPS9_S9_NSD_9__find_if7functorIS9_EEEE10hipError_tPvRmT1_T2_T3_mT4_P12ihipStream_tbEUlT_E0_NS1_11comp_targetILNS1_3genE2ELNS1_11target_archE906ELNS1_3gpuE6ELNS1_3repE0EEENS1_30default_config_static_selectorELNS0_4arch9wavefront6targetE0EEEvS14_.private_seg_size, 0
	.set _ZN7rocprim17ROCPRIM_400000_NS6detail17trampoline_kernelINS0_14default_configENS1_22reduce_config_selectorIN6thrust23THRUST_200600_302600_NS5tupleIblNS6_9null_typeES8_S8_S8_S8_S8_S8_S8_EEEEZNS1_11reduce_implILb1ES3_NS6_12zip_iteratorINS7_INS6_11hip_rocprim26transform_input_iterator_tIbNSD_35transform_pair_of_input_iterators_tIbNS6_6detail15normal_iteratorINS6_10device_ptrIKxEEEESL_NS6_8equal_toIxEEEENSG_9not_fun_tINSD_8identityEEEEENSD_19counting_iterator_tIlEES8_S8_S8_S8_S8_S8_S8_S8_EEEEPS9_S9_NSD_9__find_if7functorIS9_EEEE10hipError_tPvRmT1_T2_T3_mT4_P12ihipStream_tbEUlT_E0_NS1_11comp_targetILNS1_3genE2ELNS1_11target_archE906ELNS1_3gpuE6ELNS1_3repE0EEENS1_30default_config_static_selectorELNS0_4arch9wavefront6targetE0EEEvS14_.uses_vcc, 0
	.set _ZN7rocprim17ROCPRIM_400000_NS6detail17trampoline_kernelINS0_14default_configENS1_22reduce_config_selectorIN6thrust23THRUST_200600_302600_NS5tupleIblNS6_9null_typeES8_S8_S8_S8_S8_S8_S8_EEEEZNS1_11reduce_implILb1ES3_NS6_12zip_iteratorINS7_INS6_11hip_rocprim26transform_input_iterator_tIbNSD_35transform_pair_of_input_iterators_tIbNS6_6detail15normal_iteratorINS6_10device_ptrIKxEEEESL_NS6_8equal_toIxEEEENSG_9not_fun_tINSD_8identityEEEEENSD_19counting_iterator_tIlEES8_S8_S8_S8_S8_S8_S8_S8_EEEEPS9_S9_NSD_9__find_if7functorIS9_EEEE10hipError_tPvRmT1_T2_T3_mT4_P12ihipStream_tbEUlT_E0_NS1_11comp_targetILNS1_3genE2ELNS1_11target_archE906ELNS1_3gpuE6ELNS1_3repE0EEENS1_30default_config_static_selectorELNS0_4arch9wavefront6targetE0EEEvS14_.uses_flat_scratch, 0
	.set _ZN7rocprim17ROCPRIM_400000_NS6detail17trampoline_kernelINS0_14default_configENS1_22reduce_config_selectorIN6thrust23THRUST_200600_302600_NS5tupleIblNS6_9null_typeES8_S8_S8_S8_S8_S8_S8_EEEEZNS1_11reduce_implILb1ES3_NS6_12zip_iteratorINS7_INS6_11hip_rocprim26transform_input_iterator_tIbNSD_35transform_pair_of_input_iterators_tIbNS6_6detail15normal_iteratorINS6_10device_ptrIKxEEEESL_NS6_8equal_toIxEEEENSG_9not_fun_tINSD_8identityEEEEENSD_19counting_iterator_tIlEES8_S8_S8_S8_S8_S8_S8_S8_EEEEPS9_S9_NSD_9__find_if7functorIS9_EEEE10hipError_tPvRmT1_T2_T3_mT4_P12ihipStream_tbEUlT_E0_NS1_11comp_targetILNS1_3genE2ELNS1_11target_archE906ELNS1_3gpuE6ELNS1_3repE0EEENS1_30default_config_static_selectorELNS0_4arch9wavefront6targetE0EEEvS14_.has_dyn_sized_stack, 0
	.set _ZN7rocprim17ROCPRIM_400000_NS6detail17trampoline_kernelINS0_14default_configENS1_22reduce_config_selectorIN6thrust23THRUST_200600_302600_NS5tupleIblNS6_9null_typeES8_S8_S8_S8_S8_S8_S8_EEEEZNS1_11reduce_implILb1ES3_NS6_12zip_iteratorINS7_INS6_11hip_rocprim26transform_input_iterator_tIbNSD_35transform_pair_of_input_iterators_tIbNS6_6detail15normal_iteratorINS6_10device_ptrIKxEEEESL_NS6_8equal_toIxEEEENSG_9not_fun_tINSD_8identityEEEEENSD_19counting_iterator_tIlEES8_S8_S8_S8_S8_S8_S8_S8_EEEEPS9_S9_NSD_9__find_if7functorIS9_EEEE10hipError_tPvRmT1_T2_T3_mT4_P12ihipStream_tbEUlT_E0_NS1_11comp_targetILNS1_3genE2ELNS1_11target_archE906ELNS1_3gpuE6ELNS1_3repE0EEENS1_30default_config_static_selectorELNS0_4arch9wavefront6targetE0EEEvS14_.has_recursion, 0
	.set _ZN7rocprim17ROCPRIM_400000_NS6detail17trampoline_kernelINS0_14default_configENS1_22reduce_config_selectorIN6thrust23THRUST_200600_302600_NS5tupleIblNS6_9null_typeES8_S8_S8_S8_S8_S8_S8_EEEEZNS1_11reduce_implILb1ES3_NS6_12zip_iteratorINS7_INS6_11hip_rocprim26transform_input_iterator_tIbNSD_35transform_pair_of_input_iterators_tIbNS6_6detail15normal_iteratorINS6_10device_ptrIKxEEEESL_NS6_8equal_toIxEEEENSG_9not_fun_tINSD_8identityEEEEENSD_19counting_iterator_tIlEES8_S8_S8_S8_S8_S8_S8_S8_EEEEPS9_S9_NSD_9__find_if7functorIS9_EEEE10hipError_tPvRmT1_T2_T3_mT4_P12ihipStream_tbEUlT_E0_NS1_11comp_targetILNS1_3genE2ELNS1_11target_archE906ELNS1_3gpuE6ELNS1_3repE0EEENS1_30default_config_static_selectorELNS0_4arch9wavefront6targetE0EEEvS14_.has_indirect_call, 0
	.section	.AMDGPU.csdata,"",@progbits
; Kernel info:
; codeLenInByte = 0
; TotalNumSgprs: 0
; NumVgprs: 0
; ScratchSize: 0
; MemoryBound: 0
; FloatMode: 240
; IeeeMode: 1
; LDSByteSize: 0 bytes/workgroup (compile time only)
; SGPRBlocks: 0
; VGPRBlocks: 0
; NumSGPRsForWavesPerEU: 1
; NumVGPRsForWavesPerEU: 1
; Occupancy: 16
; WaveLimiterHint : 0
; COMPUTE_PGM_RSRC2:SCRATCH_EN: 0
; COMPUTE_PGM_RSRC2:USER_SGPR: 6
; COMPUTE_PGM_RSRC2:TRAP_HANDLER: 0
; COMPUTE_PGM_RSRC2:TGID_X_EN: 1
; COMPUTE_PGM_RSRC2:TGID_Y_EN: 0
; COMPUTE_PGM_RSRC2:TGID_Z_EN: 0
; COMPUTE_PGM_RSRC2:TIDIG_COMP_CNT: 0
	.section	.text._ZN7rocprim17ROCPRIM_400000_NS6detail17trampoline_kernelINS0_14default_configENS1_22reduce_config_selectorIN6thrust23THRUST_200600_302600_NS5tupleIblNS6_9null_typeES8_S8_S8_S8_S8_S8_S8_EEEEZNS1_11reduce_implILb1ES3_NS6_12zip_iteratorINS7_INS6_11hip_rocprim26transform_input_iterator_tIbNSD_35transform_pair_of_input_iterators_tIbNS6_6detail15normal_iteratorINS6_10device_ptrIKxEEEESL_NS6_8equal_toIxEEEENSG_9not_fun_tINSD_8identityEEEEENSD_19counting_iterator_tIlEES8_S8_S8_S8_S8_S8_S8_S8_EEEEPS9_S9_NSD_9__find_if7functorIS9_EEEE10hipError_tPvRmT1_T2_T3_mT4_P12ihipStream_tbEUlT_E0_NS1_11comp_targetILNS1_3genE10ELNS1_11target_archE1201ELNS1_3gpuE5ELNS1_3repE0EEENS1_30default_config_static_selectorELNS0_4arch9wavefront6targetE0EEEvS14_,"axG",@progbits,_ZN7rocprim17ROCPRIM_400000_NS6detail17trampoline_kernelINS0_14default_configENS1_22reduce_config_selectorIN6thrust23THRUST_200600_302600_NS5tupleIblNS6_9null_typeES8_S8_S8_S8_S8_S8_S8_EEEEZNS1_11reduce_implILb1ES3_NS6_12zip_iteratorINS7_INS6_11hip_rocprim26transform_input_iterator_tIbNSD_35transform_pair_of_input_iterators_tIbNS6_6detail15normal_iteratorINS6_10device_ptrIKxEEEESL_NS6_8equal_toIxEEEENSG_9not_fun_tINSD_8identityEEEEENSD_19counting_iterator_tIlEES8_S8_S8_S8_S8_S8_S8_S8_EEEEPS9_S9_NSD_9__find_if7functorIS9_EEEE10hipError_tPvRmT1_T2_T3_mT4_P12ihipStream_tbEUlT_E0_NS1_11comp_targetILNS1_3genE10ELNS1_11target_archE1201ELNS1_3gpuE5ELNS1_3repE0EEENS1_30default_config_static_selectorELNS0_4arch9wavefront6targetE0EEEvS14_,comdat
	.protected	_ZN7rocprim17ROCPRIM_400000_NS6detail17trampoline_kernelINS0_14default_configENS1_22reduce_config_selectorIN6thrust23THRUST_200600_302600_NS5tupleIblNS6_9null_typeES8_S8_S8_S8_S8_S8_S8_EEEEZNS1_11reduce_implILb1ES3_NS6_12zip_iteratorINS7_INS6_11hip_rocprim26transform_input_iterator_tIbNSD_35transform_pair_of_input_iterators_tIbNS6_6detail15normal_iteratorINS6_10device_ptrIKxEEEESL_NS6_8equal_toIxEEEENSG_9not_fun_tINSD_8identityEEEEENSD_19counting_iterator_tIlEES8_S8_S8_S8_S8_S8_S8_S8_EEEEPS9_S9_NSD_9__find_if7functorIS9_EEEE10hipError_tPvRmT1_T2_T3_mT4_P12ihipStream_tbEUlT_E0_NS1_11comp_targetILNS1_3genE10ELNS1_11target_archE1201ELNS1_3gpuE5ELNS1_3repE0EEENS1_30default_config_static_selectorELNS0_4arch9wavefront6targetE0EEEvS14_ ; -- Begin function _ZN7rocprim17ROCPRIM_400000_NS6detail17trampoline_kernelINS0_14default_configENS1_22reduce_config_selectorIN6thrust23THRUST_200600_302600_NS5tupleIblNS6_9null_typeES8_S8_S8_S8_S8_S8_S8_EEEEZNS1_11reduce_implILb1ES3_NS6_12zip_iteratorINS7_INS6_11hip_rocprim26transform_input_iterator_tIbNSD_35transform_pair_of_input_iterators_tIbNS6_6detail15normal_iteratorINS6_10device_ptrIKxEEEESL_NS6_8equal_toIxEEEENSG_9not_fun_tINSD_8identityEEEEENSD_19counting_iterator_tIlEES8_S8_S8_S8_S8_S8_S8_S8_EEEEPS9_S9_NSD_9__find_if7functorIS9_EEEE10hipError_tPvRmT1_T2_T3_mT4_P12ihipStream_tbEUlT_E0_NS1_11comp_targetILNS1_3genE10ELNS1_11target_archE1201ELNS1_3gpuE5ELNS1_3repE0EEENS1_30default_config_static_selectorELNS0_4arch9wavefront6targetE0EEEvS14_
	.globl	_ZN7rocprim17ROCPRIM_400000_NS6detail17trampoline_kernelINS0_14default_configENS1_22reduce_config_selectorIN6thrust23THRUST_200600_302600_NS5tupleIblNS6_9null_typeES8_S8_S8_S8_S8_S8_S8_EEEEZNS1_11reduce_implILb1ES3_NS6_12zip_iteratorINS7_INS6_11hip_rocprim26transform_input_iterator_tIbNSD_35transform_pair_of_input_iterators_tIbNS6_6detail15normal_iteratorINS6_10device_ptrIKxEEEESL_NS6_8equal_toIxEEEENSG_9not_fun_tINSD_8identityEEEEENSD_19counting_iterator_tIlEES8_S8_S8_S8_S8_S8_S8_S8_EEEEPS9_S9_NSD_9__find_if7functorIS9_EEEE10hipError_tPvRmT1_T2_T3_mT4_P12ihipStream_tbEUlT_E0_NS1_11comp_targetILNS1_3genE10ELNS1_11target_archE1201ELNS1_3gpuE5ELNS1_3repE0EEENS1_30default_config_static_selectorELNS0_4arch9wavefront6targetE0EEEvS14_
	.p2align	8
	.type	_ZN7rocprim17ROCPRIM_400000_NS6detail17trampoline_kernelINS0_14default_configENS1_22reduce_config_selectorIN6thrust23THRUST_200600_302600_NS5tupleIblNS6_9null_typeES8_S8_S8_S8_S8_S8_S8_EEEEZNS1_11reduce_implILb1ES3_NS6_12zip_iteratorINS7_INS6_11hip_rocprim26transform_input_iterator_tIbNSD_35transform_pair_of_input_iterators_tIbNS6_6detail15normal_iteratorINS6_10device_ptrIKxEEEESL_NS6_8equal_toIxEEEENSG_9not_fun_tINSD_8identityEEEEENSD_19counting_iterator_tIlEES8_S8_S8_S8_S8_S8_S8_S8_EEEEPS9_S9_NSD_9__find_if7functorIS9_EEEE10hipError_tPvRmT1_T2_T3_mT4_P12ihipStream_tbEUlT_E0_NS1_11comp_targetILNS1_3genE10ELNS1_11target_archE1201ELNS1_3gpuE5ELNS1_3repE0EEENS1_30default_config_static_selectorELNS0_4arch9wavefront6targetE0EEEvS14_,@function
_ZN7rocprim17ROCPRIM_400000_NS6detail17trampoline_kernelINS0_14default_configENS1_22reduce_config_selectorIN6thrust23THRUST_200600_302600_NS5tupleIblNS6_9null_typeES8_S8_S8_S8_S8_S8_S8_EEEEZNS1_11reduce_implILb1ES3_NS6_12zip_iteratorINS7_INS6_11hip_rocprim26transform_input_iterator_tIbNSD_35transform_pair_of_input_iterators_tIbNS6_6detail15normal_iteratorINS6_10device_ptrIKxEEEESL_NS6_8equal_toIxEEEENSG_9not_fun_tINSD_8identityEEEEENSD_19counting_iterator_tIlEES8_S8_S8_S8_S8_S8_S8_S8_EEEEPS9_S9_NSD_9__find_if7functorIS9_EEEE10hipError_tPvRmT1_T2_T3_mT4_P12ihipStream_tbEUlT_E0_NS1_11comp_targetILNS1_3genE10ELNS1_11target_archE1201ELNS1_3gpuE5ELNS1_3repE0EEENS1_30default_config_static_selectorELNS0_4arch9wavefront6targetE0EEEvS14_: ; @_ZN7rocprim17ROCPRIM_400000_NS6detail17trampoline_kernelINS0_14default_configENS1_22reduce_config_selectorIN6thrust23THRUST_200600_302600_NS5tupleIblNS6_9null_typeES8_S8_S8_S8_S8_S8_S8_EEEEZNS1_11reduce_implILb1ES3_NS6_12zip_iteratorINS7_INS6_11hip_rocprim26transform_input_iterator_tIbNSD_35transform_pair_of_input_iterators_tIbNS6_6detail15normal_iteratorINS6_10device_ptrIKxEEEESL_NS6_8equal_toIxEEEENSG_9not_fun_tINSD_8identityEEEEENSD_19counting_iterator_tIlEES8_S8_S8_S8_S8_S8_S8_S8_EEEEPS9_S9_NSD_9__find_if7functorIS9_EEEE10hipError_tPvRmT1_T2_T3_mT4_P12ihipStream_tbEUlT_E0_NS1_11comp_targetILNS1_3genE10ELNS1_11target_archE1201ELNS1_3gpuE5ELNS1_3repE0EEENS1_30default_config_static_selectorELNS0_4arch9wavefront6targetE0EEEvS14_
; %bb.0:
	.section	.rodata,"a",@progbits
	.p2align	6, 0x0
	.amdhsa_kernel _ZN7rocprim17ROCPRIM_400000_NS6detail17trampoline_kernelINS0_14default_configENS1_22reduce_config_selectorIN6thrust23THRUST_200600_302600_NS5tupleIblNS6_9null_typeES8_S8_S8_S8_S8_S8_S8_EEEEZNS1_11reduce_implILb1ES3_NS6_12zip_iteratorINS7_INS6_11hip_rocprim26transform_input_iterator_tIbNSD_35transform_pair_of_input_iterators_tIbNS6_6detail15normal_iteratorINS6_10device_ptrIKxEEEESL_NS6_8equal_toIxEEEENSG_9not_fun_tINSD_8identityEEEEENSD_19counting_iterator_tIlEES8_S8_S8_S8_S8_S8_S8_S8_EEEEPS9_S9_NSD_9__find_if7functorIS9_EEEE10hipError_tPvRmT1_T2_T3_mT4_P12ihipStream_tbEUlT_E0_NS1_11comp_targetILNS1_3genE10ELNS1_11target_archE1201ELNS1_3gpuE5ELNS1_3repE0EEENS1_30default_config_static_selectorELNS0_4arch9wavefront6targetE0EEEvS14_
		.amdhsa_group_segment_fixed_size 0
		.amdhsa_private_segment_fixed_size 0
		.amdhsa_kernarg_size 104
		.amdhsa_user_sgpr_count 6
		.amdhsa_user_sgpr_private_segment_buffer 1
		.amdhsa_user_sgpr_dispatch_ptr 0
		.amdhsa_user_sgpr_queue_ptr 0
		.amdhsa_user_sgpr_kernarg_segment_ptr 1
		.amdhsa_user_sgpr_dispatch_id 0
		.amdhsa_user_sgpr_flat_scratch_init 0
		.amdhsa_user_sgpr_private_segment_size 0
		.amdhsa_wavefront_size32 1
		.amdhsa_uses_dynamic_stack 0
		.amdhsa_system_sgpr_private_segment_wavefront_offset 0
		.amdhsa_system_sgpr_workgroup_id_x 1
		.amdhsa_system_sgpr_workgroup_id_y 0
		.amdhsa_system_sgpr_workgroup_id_z 0
		.amdhsa_system_sgpr_workgroup_info 0
		.amdhsa_system_vgpr_workitem_id 0
		.amdhsa_next_free_vgpr 1
		.amdhsa_next_free_sgpr 1
		.amdhsa_reserve_vcc 0
		.amdhsa_reserve_flat_scratch 0
		.amdhsa_float_round_mode_32 0
		.amdhsa_float_round_mode_16_64 0
		.amdhsa_float_denorm_mode_32 3
		.amdhsa_float_denorm_mode_16_64 3
		.amdhsa_dx10_clamp 1
		.amdhsa_ieee_mode 1
		.amdhsa_fp16_overflow 0
		.amdhsa_workgroup_processor_mode 1
		.amdhsa_memory_ordered 1
		.amdhsa_forward_progress 1
		.amdhsa_shared_vgpr_count 0
		.amdhsa_exception_fp_ieee_invalid_op 0
		.amdhsa_exception_fp_denorm_src 0
		.amdhsa_exception_fp_ieee_div_zero 0
		.amdhsa_exception_fp_ieee_overflow 0
		.amdhsa_exception_fp_ieee_underflow 0
		.amdhsa_exception_fp_ieee_inexact 0
		.amdhsa_exception_int_div_zero 0
	.end_amdhsa_kernel
	.section	.text._ZN7rocprim17ROCPRIM_400000_NS6detail17trampoline_kernelINS0_14default_configENS1_22reduce_config_selectorIN6thrust23THRUST_200600_302600_NS5tupleIblNS6_9null_typeES8_S8_S8_S8_S8_S8_S8_EEEEZNS1_11reduce_implILb1ES3_NS6_12zip_iteratorINS7_INS6_11hip_rocprim26transform_input_iterator_tIbNSD_35transform_pair_of_input_iterators_tIbNS6_6detail15normal_iteratorINS6_10device_ptrIKxEEEESL_NS6_8equal_toIxEEEENSG_9not_fun_tINSD_8identityEEEEENSD_19counting_iterator_tIlEES8_S8_S8_S8_S8_S8_S8_S8_EEEEPS9_S9_NSD_9__find_if7functorIS9_EEEE10hipError_tPvRmT1_T2_T3_mT4_P12ihipStream_tbEUlT_E0_NS1_11comp_targetILNS1_3genE10ELNS1_11target_archE1201ELNS1_3gpuE5ELNS1_3repE0EEENS1_30default_config_static_selectorELNS0_4arch9wavefront6targetE0EEEvS14_,"axG",@progbits,_ZN7rocprim17ROCPRIM_400000_NS6detail17trampoline_kernelINS0_14default_configENS1_22reduce_config_selectorIN6thrust23THRUST_200600_302600_NS5tupleIblNS6_9null_typeES8_S8_S8_S8_S8_S8_S8_EEEEZNS1_11reduce_implILb1ES3_NS6_12zip_iteratorINS7_INS6_11hip_rocprim26transform_input_iterator_tIbNSD_35transform_pair_of_input_iterators_tIbNS6_6detail15normal_iteratorINS6_10device_ptrIKxEEEESL_NS6_8equal_toIxEEEENSG_9not_fun_tINSD_8identityEEEEENSD_19counting_iterator_tIlEES8_S8_S8_S8_S8_S8_S8_S8_EEEEPS9_S9_NSD_9__find_if7functorIS9_EEEE10hipError_tPvRmT1_T2_T3_mT4_P12ihipStream_tbEUlT_E0_NS1_11comp_targetILNS1_3genE10ELNS1_11target_archE1201ELNS1_3gpuE5ELNS1_3repE0EEENS1_30default_config_static_selectorELNS0_4arch9wavefront6targetE0EEEvS14_,comdat
.Lfunc_end398:
	.size	_ZN7rocprim17ROCPRIM_400000_NS6detail17trampoline_kernelINS0_14default_configENS1_22reduce_config_selectorIN6thrust23THRUST_200600_302600_NS5tupleIblNS6_9null_typeES8_S8_S8_S8_S8_S8_S8_EEEEZNS1_11reduce_implILb1ES3_NS6_12zip_iteratorINS7_INS6_11hip_rocprim26transform_input_iterator_tIbNSD_35transform_pair_of_input_iterators_tIbNS6_6detail15normal_iteratorINS6_10device_ptrIKxEEEESL_NS6_8equal_toIxEEEENSG_9not_fun_tINSD_8identityEEEEENSD_19counting_iterator_tIlEES8_S8_S8_S8_S8_S8_S8_S8_EEEEPS9_S9_NSD_9__find_if7functorIS9_EEEE10hipError_tPvRmT1_T2_T3_mT4_P12ihipStream_tbEUlT_E0_NS1_11comp_targetILNS1_3genE10ELNS1_11target_archE1201ELNS1_3gpuE5ELNS1_3repE0EEENS1_30default_config_static_selectorELNS0_4arch9wavefront6targetE0EEEvS14_, .Lfunc_end398-_ZN7rocprim17ROCPRIM_400000_NS6detail17trampoline_kernelINS0_14default_configENS1_22reduce_config_selectorIN6thrust23THRUST_200600_302600_NS5tupleIblNS6_9null_typeES8_S8_S8_S8_S8_S8_S8_EEEEZNS1_11reduce_implILb1ES3_NS6_12zip_iteratorINS7_INS6_11hip_rocprim26transform_input_iterator_tIbNSD_35transform_pair_of_input_iterators_tIbNS6_6detail15normal_iteratorINS6_10device_ptrIKxEEEESL_NS6_8equal_toIxEEEENSG_9not_fun_tINSD_8identityEEEEENSD_19counting_iterator_tIlEES8_S8_S8_S8_S8_S8_S8_S8_EEEEPS9_S9_NSD_9__find_if7functorIS9_EEEE10hipError_tPvRmT1_T2_T3_mT4_P12ihipStream_tbEUlT_E0_NS1_11comp_targetILNS1_3genE10ELNS1_11target_archE1201ELNS1_3gpuE5ELNS1_3repE0EEENS1_30default_config_static_selectorELNS0_4arch9wavefront6targetE0EEEvS14_
                                        ; -- End function
	.set _ZN7rocprim17ROCPRIM_400000_NS6detail17trampoline_kernelINS0_14default_configENS1_22reduce_config_selectorIN6thrust23THRUST_200600_302600_NS5tupleIblNS6_9null_typeES8_S8_S8_S8_S8_S8_S8_EEEEZNS1_11reduce_implILb1ES3_NS6_12zip_iteratorINS7_INS6_11hip_rocprim26transform_input_iterator_tIbNSD_35transform_pair_of_input_iterators_tIbNS6_6detail15normal_iteratorINS6_10device_ptrIKxEEEESL_NS6_8equal_toIxEEEENSG_9not_fun_tINSD_8identityEEEEENSD_19counting_iterator_tIlEES8_S8_S8_S8_S8_S8_S8_S8_EEEEPS9_S9_NSD_9__find_if7functorIS9_EEEE10hipError_tPvRmT1_T2_T3_mT4_P12ihipStream_tbEUlT_E0_NS1_11comp_targetILNS1_3genE10ELNS1_11target_archE1201ELNS1_3gpuE5ELNS1_3repE0EEENS1_30default_config_static_selectorELNS0_4arch9wavefront6targetE0EEEvS14_.num_vgpr, 0
	.set _ZN7rocprim17ROCPRIM_400000_NS6detail17trampoline_kernelINS0_14default_configENS1_22reduce_config_selectorIN6thrust23THRUST_200600_302600_NS5tupleIblNS6_9null_typeES8_S8_S8_S8_S8_S8_S8_EEEEZNS1_11reduce_implILb1ES3_NS6_12zip_iteratorINS7_INS6_11hip_rocprim26transform_input_iterator_tIbNSD_35transform_pair_of_input_iterators_tIbNS6_6detail15normal_iteratorINS6_10device_ptrIKxEEEESL_NS6_8equal_toIxEEEENSG_9not_fun_tINSD_8identityEEEEENSD_19counting_iterator_tIlEES8_S8_S8_S8_S8_S8_S8_S8_EEEEPS9_S9_NSD_9__find_if7functorIS9_EEEE10hipError_tPvRmT1_T2_T3_mT4_P12ihipStream_tbEUlT_E0_NS1_11comp_targetILNS1_3genE10ELNS1_11target_archE1201ELNS1_3gpuE5ELNS1_3repE0EEENS1_30default_config_static_selectorELNS0_4arch9wavefront6targetE0EEEvS14_.num_agpr, 0
	.set _ZN7rocprim17ROCPRIM_400000_NS6detail17trampoline_kernelINS0_14default_configENS1_22reduce_config_selectorIN6thrust23THRUST_200600_302600_NS5tupleIblNS6_9null_typeES8_S8_S8_S8_S8_S8_S8_EEEEZNS1_11reduce_implILb1ES3_NS6_12zip_iteratorINS7_INS6_11hip_rocprim26transform_input_iterator_tIbNSD_35transform_pair_of_input_iterators_tIbNS6_6detail15normal_iteratorINS6_10device_ptrIKxEEEESL_NS6_8equal_toIxEEEENSG_9not_fun_tINSD_8identityEEEEENSD_19counting_iterator_tIlEES8_S8_S8_S8_S8_S8_S8_S8_EEEEPS9_S9_NSD_9__find_if7functorIS9_EEEE10hipError_tPvRmT1_T2_T3_mT4_P12ihipStream_tbEUlT_E0_NS1_11comp_targetILNS1_3genE10ELNS1_11target_archE1201ELNS1_3gpuE5ELNS1_3repE0EEENS1_30default_config_static_selectorELNS0_4arch9wavefront6targetE0EEEvS14_.numbered_sgpr, 0
	.set _ZN7rocprim17ROCPRIM_400000_NS6detail17trampoline_kernelINS0_14default_configENS1_22reduce_config_selectorIN6thrust23THRUST_200600_302600_NS5tupleIblNS6_9null_typeES8_S8_S8_S8_S8_S8_S8_EEEEZNS1_11reduce_implILb1ES3_NS6_12zip_iteratorINS7_INS6_11hip_rocprim26transform_input_iterator_tIbNSD_35transform_pair_of_input_iterators_tIbNS6_6detail15normal_iteratorINS6_10device_ptrIKxEEEESL_NS6_8equal_toIxEEEENSG_9not_fun_tINSD_8identityEEEEENSD_19counting_iterator_tIlEES8_S8_S8_S8_S8_S8_S8_S8_EEEEPS9_S9_NSD_9__find_if7functorIS9_EEEE10hipError_tPvRmT1_T2_T3_mT4_P12ihipStream_tbEUlT_E0_NS1_11comp_targetILNS1_3genE10ELNS1_11target_archE1201ELNS1_3gpuE5ELNS1_3repE0EEENS1_30default_config_static_selectorELNS0_4arch9wavefront6targetE0EEEvS14_.num_named_barrier, 0
	.set _ZN7rocprim17ROCPRIM_400000_NS6detail17trampoline_kernelINS0_14default_configENS1_22reduce_config_selectorIN6thrust23THRUST_200600_302600_NS5tupleIblNS6_9null_typeES8_S8_S8_S8_S8_S8_S8_EEEEZNS1_11reduce_implILb1ES3_NS6_12zip_iteratorINS7_INS6_11hip_rocprim26transform_input_iterator_tIbNSD_35transform_pair_of_input_iterators_tIbNS6_6detail15normal_iteratorINS6_10device_ptrIKxEEEESL_NS6_8equal_toIxEEEENSG_9not_fun_tINSD_8identityEEEEENSD_19counting_iterator_tIlEES8_S8_S8_S8_S8_S8_S8_S8_EEEEPS9_S9_NSD_9__find_if7functorIS9_EEEE10hipError_tPvRmT1_T2_T3_mT4_P12ihipStream_tbEUlT_E0_NS1_11comp_targetILNS1_3genE10ELNS1_11target_archE1201ELNS1_3gpuE5ELNS1_3repE0EEENS1_30default_config_static_selectorELNS0_4arch9wavefront6targetE0EEEvS14_.private_seg_size, 0
	.set _ZN7rocprim17ROCPRIM_400000_NS6detail17trampoline_kernelINS0_14default_configENS1_22reduce_config_selectorIN6thrust23THRUST_200600_302600_NS5tupleIblNS6_9null_typeES8_S8_S8_S8_S8_S8_S8_EEEEZNS1_11reduce_implILb1ES3_NS6_12zip_iteratorINS7_INS6_11hip_rocprim26transform_input_iterator_tIbNSD_35transform_pair_of_input_iterators_tIbNS6_6detail15normal_iteratorINS6_10device_ptrIKxEEEESL_NS6_8equal_toIxEEEENSG_9not_fun_tINSD_8identityEEEEENSD_19counting_iterator_tIlEES8_S8_S8_S8_S8_S8_S8_S8_EEEEPS9_S9_NSD_9__find_if7functorIS9_EEEE10hipError_tPvRmT1_T2_T3_mT4_P12ihipStream_tbEUlT_E0_NS1_11comp_targetILNS1_3genE10ELNS1_11target_archE1201ELNS1_3gpuE5ELNS1_3repE0EEENS1_30default_config_static_selectorELNS0_4arch9wavefront6targetE0EEEvS14_.uses_vcc, 0
	.set _ZN7rocprim17ROCPRIM_400000_NS6detail17trampoline_kernelINS0_14default_configENS1_22reduce_config_selectorIN6thrust23THRUST_200600_302600_NS5tupleIblNS6_9null_typeES8_S8_S8_S8_S8_S8_S8_EEEEZNS1_11reduce_implILb1ES3_NS6_12zip_iteratorINS7_INS6_11hip_rocprim26transform_input_iterator_tIbNSD_35transform_pair_of_input_iterators_tIbNS6_6detail15normal_iteratorINS6_10device_ptrIKxEEEESL_NS6_8equal_toIxEEEENSG_9not_fun_tINSD_8identityEEEEENSD_19counting_iterator_tIlEES8_S8_S8_S8_S8_S8_S8_S8_EEEEPS9_S9_NSD_9__find_if7functorIS9_EEEE10hipError_tPvRmT1_T2_T3_mT4_P12ihipStream_tbEUlT_E0_NS1_11comp_targetILNS1_3genE10ELNS1_11target_archE1201ELNS1_3gpuE5ELNS1_3repE0EEENS1_30default_config_static_selectorELNS0_4arch9wavefront6targetE0EEEvS14_.uses_flat_scratch, 0
	.set _ZN7rocprim17ROCPRIM_400000_NS6detail17trampoline_kernelINS0_14default_configENS1_22reduce_config_selectorIN6thrust23THRUST_200600_302600_NS5tupleIblNS6_9null_typeES8_S8_S8_S8_S8_S8_S8_EEEEZNS1_11reduce_implILb1ES3_NS6_12zip_iteratorINS7_INS6_11hip_rocprim26transform_input_iterator_tIbNSD_35transform_pair_of_input_iterators_tIbNS6_6detail15normal_iteratorINS6_10device_ptrIKxEEEESL_NS6_8equal_toIxEEEENSG_9not_fun_tINSD_8identityEEEEENSD_19counting_iterator_tIlEES8_S8_S8_S8_S8_S8_S8_S8_EEEEPS9_S9_NSD_9__find_if7functorIS9_EEEE10hipError_tPvRmT1_T2_T3_mT4_P12ihipStream_tbEUlT_E0_NS1_11comp_targetILNS1_3genE10ELNS1_11target_archE1201ELNS1_3gpuE5ELNS1_3repE0EEENS1_30default_config_static_selectorELNS0_4arch9wavefront6targetE0EEEvS14_.has_dyn_sized_stack, 0
	.set _ZN7rocprim17ROCPRIM_400000_NS6detail17trampoline_kernelINS0_14default_configENS1_22reduce_config_selectorIN6thrust23THRUST_200600_302600_NS5tupleIblNS6_9null_typeES8_S8_S8_S8_S8_S8_S8_EEEEZNS1_11reduce_implILb1ES3_NS6_12zip_iteratorINS7_INS6_11hip_rocprim26transform_input_iterator_tIbNSD_35transform_pair_of_input_iterators_tIbNS6_6detail15normal_iteratorINS6_10device_ptrIKxEEEESL_NS6_8equal_toIxEEEENSG_9not_fun_tINSD_8identityEEEEENSD_19counting_iterator_tIlEES8_S8_S8_S8_S8_S8_S8_S8_EEEEPS9_S9_NSD_9__find_if7functorIS9_EEEE10hipError_tPvRmT1_T2_T3_mT4_P12ihipStream_tbEUlT_E0_NS1_11comp_targetILNS1_3genE10ELNS1_11target_archE1201ELNS1_3gpuE5ELNS1_3repE0EEENS1_30default_config_static_selectorELNS0_4arch9wavefront6targetE0EEEvS14_.has_recursion, 0
	.set _ZN7rocprim17ROCPRIM_400000_NS6detail17trampoline_kernelINS0_14default_configENS1_22reduce_config_selectorIN6thrust23THRUST_200600_302600_NS5tupleIblNS6_9null_typeES8_S8_S8_S8_S8_S8_S8_EEEEZNS1_11reduce_implILb1ES3_NS6_12zip_iteratorINS7_INS6_11hip_rocprim26transform_input_iterator_tIbNSD_35transform_pair_of_input_iterators_tIbNS6_6detail15normal_iteratorINS6_10device_ptrIKxEEEESL_NS6_8equal_toIxEEEENSG_9not_fun_tINSD_8identityEEEEENSD_19counting_iterator_tIlEES8_S8_S8_S8_S8_S8_S8_S8_EEEEPS9_S9_NSD_9__find_if7functorIS9_EEEE10hipError_tPvRmT1_T2_T3_mT4_P12ihipStream_tbEUlT_E0_NS1_11comp_targetILNS1_3genE10ELNS1_11target_archE1201ELNS1_3gpuE5ELNS1_3repE0EEENS1_30default_config_static_selectorELNS0_4arch9wavefront6targetE0EEEvS14_.has_indirect_call, 0
	.section	.AMDGPU.csdata,"",@progbits
; Kernel info:
; codeLenInByte = 0
; TotalNumSgprs: 0
; NumVgprs: 0
; ScratchSize: 0
; MemoryBound: 0
; FloatMode: 240
; IeeeMode: 1
; LDSByteSize: 0 bytes/workgroup (compile time only)
; SGPRBlocks: 0
; VGPRBlocks: 0
; NumSGPRsForWavesPerEU: 1
; NumVGPRsForWavesPerEU: 1
; Occupancy: 16
; WaveLimiterHint : 0
; COMPUTE_PGM_RSRC2:SCRATCH_EN: 0
; COMPUTE_PGM_RSRC2:USER_SGPR: 6
; COMPUTE_PGM_RSRC2:TRAP_HANDLER: 0
; COMPUTE_PGM_RSRC2:TGID_X_EN: 1
; COMPUTE_PGM_RSRC2:TGID_Y_EN: 0
; COMPUTE_PGM_RSRC2:TGID_Z_EN: 0
; COMPUTE_PGM_RSRC2:TIDIG_COMP_CNT: 0
	.section	.text._ZN7rocprim17ROCPRIM_400000_NS6detail17trampoline_kernelINS0_14default_configENS1_22reduce_config_selectorIN6thrust23THRUST_200600_302600_NS5tupleIblNS6_9null_typeES8_S8_S8_S8_S8_S8_S8_EEEEZNS1_11reduce_implILb1ES3_NS6_12zip_iteratorINS7_INS6_11hip_rocprim26transform_input_iterator_tIbNSD_35transform_pair_of_input_iterators_tIbNS6_6detail15normal_iteratorINS6_10device_ptrIKxEEEESL_NS6_8equal_toIxEEEENSG_9not_fun_tINSD_8identityEEEEENSD_19counting_iterator_tIlEES8_S8_S8_S8_S8_S8_S8_S8_EEEEPS9_S9_NSD_9__find_if7functorIS9_EEEE10hipError_tPvRmT1_T2_T3_mT4_P12ihipStream_tbEUlT_E0_NS1_11comp_targetILNS1_3genE10ELNS1_11target_archE1200ELNS1_3gpuE4ELNS1_3repE0EEENS1_30default_config_static_selectorELNS0_4arch9wavefront6targetE0EEEvS14_,"axG",@progbits,_ZN7rocprim17ROCPRIM_400000_NS6detail17trampoline_kernelINS0_14default_configENS1_22reduce_config_selectorIN6thrust23THRUST_200600_302600_NS5tupleIblNS6_9null_typeES8_S8_S8_S8_S8_S8_S8_EEEEZNS1_11reduce_implILb1ES3_NS6_12zip_iteratorINS7_INS6_11hip_rocprim26transform_input_iterator_tIbNSD_35transform_pair_of_input_iterators_tIbNS6_6detail15normal_iteratorINS6_10device_ptrIKxEEEESL_NS6_8equal_toIxEEEENSG_9not_fun_tINSD_8identityEEEEENSD_19counting_iterator_tIlEES8_S8_S8_S8_S8_S8_S8_S8_EEEEPS9_S9_NSD_9__find_if7functorIS9_EEEE10hipError_tPvRmT1_T2_T3_mT4_P12ihipStream_tbEUlT_E0_NS1_11comp_targetILNS1_3genE10ELNS1_11target_archE1200ELNS1_3gpuE4ELNS1_3repE0EEENS1_30default_config_static_selectorELNS0_4arch9wavefront6targetE0EEEvS14_,comdat
	.protected	_ZN7rocprim17ROCPRIM_400000_NS6detail17trampoline_kernelINS0_14default_configENS1_22reduce_config_selectorIN6thrust23THRUST_200600_302600_NS5tupleIblNS6_9null_typeES8_S8_S8_S8_S8_S8_S8_EEEEZNS1_11reduce_implILb1ES3_NS6_12zip_iteratorINS7_INS6_11hip_rocprim26transform_input_iterator_tIbNSD_35transform_pair_of_input_iterators_tIbNS6_6detail15normal_iteratorINS6_10device_ptrIKxEEEESL_NS6_8equal_toIxEEEENSG_9not_fun_tINSD_8identityEEEEENSD_19counting_iterator_tIlEES8_S8_S8_S8_S8_S8_S8_S8_EEEEPS9_S9_NSD_9__find_if7functorIS9_EEEE10hipError_tPvRmT1_T2_T3_mT4_P12ihipStream_tbEUlT_E0_NS1_11comp_targetILNS1_3genE10ELNS1_11target_archE1200ELNS1_3gpuE4ELNS1_3repE0EEENS1_30default_config_static_selectorELNS0_4arch9wavefront6targetE0EEEvS14_ ; -- Begin function _ZN7rocprim17ROCPRIM_400000_NS6detail17trampoline_kernelINS0_14default_configENS1_22reduce_config_selectorIN6thrust23THRUST_200600_302600_NS5tupleIblNS6_9null_typeES8_S8_S8_S8_S8_S8_S8_EEEEZNS1_11reduce_implILb1ES3_NS6_12zip_iteratorINS7_INS6_11hip_rocprim26transform_input_iterator_tIbNSD_35transform_pair_of_input_iterators_tIbNS6_6detail15normal_iteratorINS6_10device_ptrIKxEEEESL_NS6_8equal_toIxEEEENSG_9not_fun_tINSD_8identityEEEEENSD_19counting_iterator_tIlEES8_S8_S8_S8_S8_S8_S8_S8_EEEEPS9_S9_NSD_9__find_if7functorIS9_EEEE10hipError_tPvRmT1_T2_T3_mT4_P12ihipStream_tbEUlT_E0_NS1_11comp_targetILNS1_3genE10ELNS1_11target_archE1200ELNS1_3gpuE4ELNS1_3repE0EEENS1_30default_config_static_selectorELNS0_4arch9wavefront6targetE0EEEvS14_
	.globl	_ZN7rocprim17ROCPRIM_400000_NS6detail17trampoline_kernelINS0_14default_configENS1_22reduce_config_selectorIN6thrust23THRUST_200600_302600_NS5tupleIblNS6_9null_typeES8_S8_S8_S8_S8_S8_S8_EEEEZNS1_11reduce_implILb1ES3_NS6_12zip_iteratorINS7_INS6_11hip_rocprim26transform_input_iterator_tIbNSD_35transform_pair_of_input_iterators_tIbNS6_6detail15normal_iteratorINS6_10device_ptrIKxEEEESL_NS6_8equal_toIxEEEENSG_9not_fun_tINSD_8identityEEEEENSD_19counting_iterator_tIlEES8_S8_S8_S8_S8_S8_S8_S8_EEEEPS9_S9_NSD_9__find_if7functorIS9_EEEE10hipError_tPvRmT1_T2_T3_mT4_P12ihipStream_tbEUlT_E0_NS1_11comp_targetILNS1_3genE10ELNS1_11target_archE1200ELNS1_3gpuE4ELNS1_3repE0EEENS1_30default_config_static_selectorELNS0_4arch9wavefront6targetE0EEEvS14_
	.p2align	8
	.type	_ZN7rocprim17ROCPRIM_400000_NS6detail17trampoline_kernelINS0_14default_configENS1_22reduce_config_selectorIN6thrust23THRUST_200600_302600_NS5tupleIblNS6_9null_typeES8_S8_S8_S8_S8_S8_S8_EEEEZNS1_11reduce_implILb1ES3_NS6_12zip_iteratorINS7_INS6_11hip_rocprim26transform_input_iterator_tIbNSD_35transform_pair_of_input_iterators_tIbNS6_6detail15normal_iteratorINS6_10device_ptrIKxEEEESL_NS6_8equal_toIxEEEENSG_9not_fun_tINSD_8identityEEEEENSD_19counting_iterator_tIlEES8_S8_S8_S8_S8_S8_S8_S8_EEEEPS9_S9_NSD_9__find_if7functorIS9_EEEE10hipError_tPvRmT1_T2_T3_mT4_P12ihipStream_tbEUlT_E0_NS1_11comp_targetILNS1_3genE10ELNS1_11target_archE1200ELNS1_3gpuE4ELNS1_3repE0EEENS1_30default_config_static_selectorELNS0_4arch9wavefront6targetE0EEEvS14_,@function
_ZN7rocprim17ROCPRIM_400000_NS6detail17trampoline_kernelINS0_14default_configENS1_22reduce_config_selectorIN6thrust23THRUST_200600_302600_NS5tupleIblNS6_9null_typeES8_S8_S8_S8_S8_S8_S8_EEEEZNS1_11reduce_implILb1ES3_NS6_12zip_iteratorINS7_INS6_11hip_rocprim26transform_input_iterator_tIbNSD_35transform_pair_of_input_iterators_tIbNS6_6detail15normal_iteratorINS6_10device_ptrIKxEEEESL_NS6_8equal_toIxEEEENSG_9not_fun_tINSD_8identityEEEEENSD_19counting_iterator_tIlEES8_S8_S8_S8_S8_S8_S8_S8_EEEEPS9_S9_NSD_9__find_if7functorIS9_EEEE10hipError_tPvRmT1_T2_T3_mT4_P12ihipStream_tbEUlT_E0_NS1_11comp_targetILNS1_3genE10ELNS1_11target_archE1200ELNS1_3gpuE4ELNS1_3repE0EEENS1_30default_config_static_selectorELNS0_4arch9wavefront6targetE0EEEvS14_: ; @_ZN7rocprim17ROCPRIM_400000_NS6detail17trampoline_kernelINS0_14default_configENS1_22reduce_config_selectorIN6thrust23THRUST_200600_302600_NS5tupleIblNS6_9null_typeES8_S8_S8_S8_S8_S8_S8_EEEEZNS1_11reduce_implILb1ES3_NS6_12zip_iteratorINS7_INS6_11hip_rocprim26transform_input_iterator_tIbNSD_35transform_pair_of_input_iterators_tIbNS6_6detail15normal_iteratorINS6_10device_ptrIKxEEEESL_NS6_8equal_toIxEEEENSG_9not_fun_tINSD_8identityEEEEENSD_19counting_iterator_tIlEES8_S8_S8_S8_S8_S8_S8_S8_EEEEPS9_S9_NSD_9__find_if7functorIS9_EEEE10hipError_tPvRmT1_T2_T3_mT4_P12ihipStream_tbEUlT_E0_NS1_11comp_targetILNS1_3genE10ELNS1_11target_archE1200ELNS1_3gpuE4ELNS1_3repE0EEENS1_30default_config_static_selectorELNS0_4arch9wavefront6targetE0EEEvS14_
; %bb.0:
	.section	.rodata,"a",@progbits
	.p2align	6, 0x0
	.amdhsa_kernel _ZN7rocprim17ROCPRIM_400000_NS6detail17trampoline_kernelINS0_14default_configENS1_22reduce_config_selectorIN6thrust23THRUST_200600_302600_NS5tupleIblNS6_9null_typeES8_S8_S8_S8_S8_S8_S8_EEEEZNS1_11reduce_implILb1ES3_NS6_12zip_iteratorINS7_INS6_11hip_rocprim26transform_input_iterator_tIbNSD_35transform_pair_of_input_iterators_tIbNS6_6detail15normal_iteratorINS6_10device_ptrIKxEEEESL_NS6_8equal_toIxEEEENSG_9not_fun_tINSD_8identityEEEEENSD_19counting_iterator_tIlEES8_S8_S8_S8_S8_S8_S8_S8_EEEEPS9_S9_NSD_9__find_if7functorIS9_EEEE10hipError_tPvRmT1_T2_T3_mT4_P12ihipStream_tbEUlT_E0_NS1_11comp_targetILNS1_3genE10ELNS1_11target_archE1200ELNS1_3gpuE4ELNS1_3repE0EEENS1_30default_config_static_selectorELNS0_4arch9wavefront6targetE0EEEvS14_
		.amdhsa_group_segment_fixed_size 0
		.amdhsa_private_segment_fixed_size 0
		.amdhsa_kernarg_size 104
		.amdhsa_user_sgpr_count 6
		.amdhsa_user_sgpr_private_segment_buffer 1
		.amdhsa_user_sgpr_dispatch_ptr 0
		.amdhsa_user_sgpr_queue_ptr 0
		.amdhsa_user_sgpr_kernarg_segment_ptr 1
		.amdhsa_user_sgpr_dispatch_id 0
		.amdhsa_user_sgpr_flat_scratch_init 0
		.amdhsa_user_sgpr_private_segment_size 0
		.amdhsa_wavefront_size32 1
		.amdhsa_uses_dynamic_stack 0
		.amdhsa_system_sgpr_private_segment_wavefront_offset 0
		.amdhsa_system_sgpr_workgroup_id_x 1
		.amdhsa_system_sgpr_workgroup_id_y 0
		.amdhsa_system_sgpr_workgroup_id_z 0
		.amdhsa_system_sgpr_workgroup_info 0
		.amdhsa_system_vgpr_workitem_id 0
		.amdhsa_next_free_vgpr 1
		.amdhsa_next_free_sgpr 1
		.amdhsa_reserve_vcc 0
		.amdhsa_reserve_flat_scratch 0
		.amdhsa_float_round_mode_32 0
		.amdhsa_float_round_mode_16_64 0
		.amdhsa_float_denorm_mode_32 3
		.amdhsa_float_denorm_mode_16_64 3
		.amdhsa_dx10_clamp 1
		.amdhsa_ieee_mode 1
		.amdhsa_fp16_overflow 0
		.amdhsa_workgroup_processor_mode 1
		.amdhsa_memory_ordered 1
		.amdhsa_forward_progress 1
		.amdhsa_shared_vgpr_count 0
		.amdhsa_exception_fp_ieee_invalid_op 0
		.amdhsa_exception_fp_denorm_src 0
		.amdhsa_exception_fp_ieee_div_zero 0
		.amdhsa_exception_fp_ieee_overflow 0
		.amdhsa_exception_fp_ieee_underflow 0
		.amdhsa_exception_fp_ieee_inexact 0
		.amdhsa_exception_int_div_zero 0
	.end_amdhsa_kernel
	.section	.text._ZN7rocprim17ROCPRIM_400000_NS6detail17trampoline_kernelINS0_14default_configENS1_22reduce_config_selectorIN6thrust23THRUST_200600_302600_NS5tupleIblNS6_9null_typeES8_S8_S8_S8_S8_S8_S8_EEEEZNS1_11reduce_implILb1ES3_NS6_12zip_iteratorINS7_INS6_11hip_rocprim26transform_input_iterator_tIbNSD_35transform_pair_of_input_iterators_tIbNS6_6detail15normal_iteratorINS6_10device_ptrIKxEEEESL_NS6_8equal_toIxEEEENSG_9not_fun_tINSD_8identityEEEEENSD_19counting_iterator_tIlEES8_S8_S8_S8_S8_S8_S8_S8_EEEEPS9_S9_NSD_9__find_if7functorIS9_EEEE10hipError_tPvRmT1_T2_T3_mT4_P12ihipStream_tbEUlT_E0_NS1_11comp_targetILNS1_3genE10ELNS1_11target_archE1200ELNS1_3gpuE4ELNS1_3repE0EEENS1_30default_config_static_selectorELNS0_4arch9wavefront6targetE0EEEvS14_,"axG",@progbits,_ZN7rocprim17ROCPRIM_400000_NS6detail17trampoline_kernelINS0_14default_configENS1_22reduce_config_selectorIN6thrust23THRUST_200600_302600_NS5tupleIblNS6_9null_typeES8_S8_S8_S8_S8_S8_S8_EEEEZNS1_11reduce_implILb1ES3_NS6_12zip_iteratorINS7_INS6_11hip_rocprim26transform_input_iterator_tIbNSD_35transform_pair_of_input_iterators_tIbNS6_6detail15normal_iteratorINS6_10device_ptrIKxEEEESL_NS6_8equal_toIxEEEENSG_9not_fun_tINSD_8identityEEEEENSD_19counting_iterator_tIlEES8_S8_S8_S8_S8_S8_S8_S8_EEEEPS9_S9_NSD_9__find_if7functorIS9_EEEE10hipError_tPvRmT1_T2_T3_mT4_P12ihipStream_tbEUlT_E0_NS1_11comp_targetILNS1_3genE10ELNS1_11target_archE1200ELNS1_3gpuE4ELNS1_3repE0EEENS1_30default_config_static_selectorELNS0_4arch9wavefront6targetE0EEEvS14_,comdat
.Lfunc_end399:
	.size	_ZN7rocprim17ROCPRIM_400000_NS6detail17trampoline_kernelINS0_14default_configENS1_22reduce_config_selectorIN6thrust23THRUST_200600_302600_NS5tupleIblNS6_9null_typeES8_S8_S8_S8_S8_S8_S8_EEEEZNS1_11reduce_implILb1ES3_NS6_12zip_iteratorINS7_INS6_11hip_rocprim26transform_input_iterator_tIbNSD_35transform_pair_of_input_iterators_tIbNS6_6detail15normal_iteratorINS6_10device_ptrIKxEEEESL_NS6_8equal_toIxEEEENSG_9not_fun_tINSD_8identityEEEEENSD_19counting_iterator_tIlEES8_S8_S8_S8_S8_S8_S8_S8_EEEEPS9_S9_NSD_9__find_if7functorIS9_EEEE10hipError_tPvRmT1_T2_T3_mT4_P12ihipStream_tbEUlT_E0_NS1_11comp_targetILNS1_3genE10ELNS1_11target_archE1200ELNS1_3gpuE4ELNS1_3repE0EEENS1_30default_config_static_selectorELNS0_4arch9wavefront6targetE0EEEvS14_, .Lfunc_end399-_ZN7rocprim17ROCPRIM_400000_NS6detail17trampoline_kernelINS0_14default_configENS1_22reduce_config_selectorIN6thrust23THRUST_200600_302600_NS5tupleIblNS6_9null_typeES8_S8_S8_S8_S8_S8_S8_EEEEZNS1_11reduce_implILb1ES3_NS6_12zip_iteratorINS7_INS6_11hip_rocprim26transform_input_iterator_tIbNSD_35transform_pair_of_input_iterators_tIbNS6_6detail15normal_iteratorINS6_10device_ptrIKxEEEESL_NS6_8equal_toIxEEEENSG_9not_fun_tINSD_8identityEEEEENSD_19counting_iterator_tIlEES8_S8_S8_S8_S8_S8_S8_S8_EEEEPS9_S9_NSD_9__find_if7functorIS9_EEEE10hipError_tPvRmT1_T2_T3_mT4_P12ihipStream_tbEUlT_E0_NS1_11comp_targetILNS1_3genE10ELNS1_11target_archE1200ELNS1_3gpuE4ELNS1_3repE0EEENS1_30default_config_static_selectorELNS0_4arch9wavefront6targetE0EEEvS14_
                                        ; -- End function
	.set _ZN7rocprim17ROCPRIM_400000_NS6detail17trampoline_kernelINS0_14default_configENS1_22reduce_config_selectorIN6thrust23THRUST_200600_302600_NS5tupleIblNS6_9null_typeES8_S8_S8_S8_S8_S8_S8_EEEEZNS1_11reduce_implILb1ES3_NS6_12zip_iteratorINS7_INS6_11hip_rocprim26transform_input_iterator_tIbNSD_35transform_pair_of_input_iterators_tIbNS6_6detail15normal_iteratorINS6_10device_ptrIKxEEEESL_NS6_8equal_toIxEEEENSG_9not_fun_tINSD_8identityEEEEENSD_19counting_iterator_tIlEES8_S8_S8_S8_S8_S8_S8_S8_EEEEPS9_S9_NSD_9__find_if7functorIS9_EEEE10hipError_tPvRmT1_T2_T3_mT4_P12ihipStream_tbEUlT_E0_NS1_11comp_targetILNS1_3genE10ELNS1_11target_archE1200ELNS1_3gpuE4ELNS1_3repE0EEENS1_30default_config_static_selectorELNS0_4arch9wavefront6targetE0EEEvS14_.num_vgpr, 0
	.set _ZN7rocprim17ROCPRIM_400000_NS6detail17trampoline_kernelINS0_14default_configENS1_22reduce_config_selectorIN6thrust23THRUST_200600_302600_NS5tupleIblNS6_9null_typeES8_S8_S8_S8_S8_S8_S8_EEEEZNS1_11reduce_implILb1ES3_NS6_12zip_iteratorINS7_INS6_11hip_rocprim26transform_input_iterator_tIbNSD_35transform_pair_of_input_iterators_tIbNS6_6detail15normal_iteratorINS6_10device_ptrIKxEEEESL_NS6_8equal_toIxEEEENSG_9not_fun_tINSD_8identityEEEEENSD_19counting_iterator_tIlEES8_S8_S8_S8_S8_S8_S8_S8_EEEEPS9_S9_NSD_9__find_if7functorIS9_EEEE10hipError_tPvRmT1_T2_T3_mT4_P12ihipStream_tbEUlT_E0_NS1_11comp_targetILNS1_3genE10ELNS1_11target_archE1200ELNS1_3gpuE4ELNS1_3repE0EEENS1_30default_config_static_selectorELNS0_4arch9wavefront6targetE0EEEvS14_.num_agpr, 0
	.set _ZN7rocprim17ROCPRIM_400000_NS6detail17trampoline_kernelINS0_14default_configENS1_22reduce_config_selectorIN6thrust23THRUST_200600_302600_NS5tupleIblNS6_9null_typeES8_S8_S8_S8_S8_S8_S8_EEEEZNS1_11reduce_implILb1ES3_NS6_12zip_iteratorINS7_INS6_11hip_rocprim26transform_input_iterator_tIbNSD_35transform_pair_of_input_iterators_tIbNS6_6detail15normal_iteratorINS6_10device_ptrIKxEEEESL_NS6_8equal_toIxEEEENSG_9not_fun_tINSD_8identityEEEEENSD_19counting_iterator_tIlEES8_S8_S8_S8_S8_S8_S8_S8_EEEEPS9_S9_NSD_9__find_if7functorIS9_EEEE10hipError_tPvRmT1_T2_T3_mT4_P12ihipStream_tbEUlT_E0_NS1_11comp_targetILNS1_3genE10ELNS1_11target_archE1200ELNS1_3gpuE4ELNS1_3repE0EEENS1_30default_config_static_selectorELNS0_4arch9wavefront6targetE0EEEvS14_.numbered_sgpr, 0
	.set _ZN7rocprim17ROCPRIM_400000_NS6detail17trampoline_kernelINS0_14default_configENS1_22reduce_config_selectorIN6thrust23THRUST_200600_302600_NS5tupleIblNS6_9null_typeES8_S8_S8_S8_S8_S8_S8_EEEEZNS1_11reduce_implILb1ES3_NS6_12zip_iteratorINS7_INS6_11hip_rocprim26transform_input_iterator_tIbNSD_35transform_pair_of_input_iterators_tIbNS6_6detail15normal_iteratorINS6_10device_ptrIKxEEEESL_NS6_8equal_toIxEEEENSG_9not_fun_tINSD_8identityEEEEENSD_19counting_iterator_tIlEES8_S8_S8_S8_S8_S8_S8_S8_EEEEPS9_S9_NSD_9__find_if7functorIS9_EEEE10hipError_tPvRmT1_T2_T3_mT4_P12ihipStream_tbEUlT_E0_NS1_11comp_targetILNS1_3genE10ELNS1_11target_archE1200ELNS1_3gpuE4ELNS1_3repE0EEENS1_30default_config_static_selectorELNS0_4arch9wavefront6targetE0EEEvS14_.num_named_barrier, 0
	.set _ZN7rocprim17ROCPRIM_400000_NS6detail17trampoline_kernelINS0_14default_configENS1_22reduce_config_selectorIN6thrust23THRUST_200600_302600_NS5tupleIblNS6_9null_typeES8_S8_S8_S8_S8_S8_S8_EEEEZNS1_11reduce_implILb1ES3_NS6_12zip_iteratorINS7_INS6_11hip_rocprim26transform_input_iterator_tIbNSD_35transform_pair_of_input_iterators_tIbNS6_6detail15normal_iteratorINS6_10device_ptrIKxEEEESL_NS6_8equal_toIxEEEENSG_9not_fun_tINSD_8identityEEEEENSD_19counting_iterator_tIlEES8_S8_S8_S8_S8_S8_S8_S8_EEEEPS9_S9_NSD_9__find_if7functorIS9_EEEE10hipError_tPvRmT1_T2_T3_mT4_P12ihipStream_tbEUlT_E0_NS1_11comp_targetILNS1_3genE10ELNS1_11target_archE1200ELNS1_3gpuE4ELNS1_3repE0EEENS1_30default_config_static_selectorELNS0_4arch9wavefront6targetE0EEEvS14_.private_seg_size, 0
	.set _ZN7rocprim17ROCPRIM_400000_NS6detail17trampoline_kernelINS0_14default_configENS1_22reduce_config_selectorIN6thrust23THRUST_200600_302600_NS5tupleIblNS6_9null_typeES8_S8_S8_S8_S8_S8_S8_EEEEZNS1_11reduce_implILb1ES3_NS6_12zip_iteratorINS7_INS6_11hip_rocprim26transform_input_iterator_tIbNSD_35transform_pair_of_input_iterators_tIbNS6_6detail15normal_iteratorINS6_10device_ptrIKxEEEESL_NS6_8equal_toIxEEEENSG_9not_fun_tINSD_8identityEEEEENSD_19counting_iterator_tIlEES8_S8_S8_S8_S8_S8_S8_S8_EEEEPS9_S9_NSD_9__find_if7functorIS9_EEEE10hipError_tPvRmT1_T2_T3_mT4_P12ihipStream_tbEUlT_E0_NS1_11comp_targetILNS1_3genE10ELNS1_11target_archE1200ELNS1_3gpuE4ELNS1_3repE0EEENS1_30default_config_static_selectorELNS0_4arch9wavefront6targetE0EEEvS14_.uses_vcc, 0
	.set _ZN7rocprim17ROCPRIM_400000_NS6detail17trampoline_kernelINS0_14default_configENS1_22reduce_config_selectorIN6thrust23THRUST_200600_302600_NS5tupleIblNS6_9null_typeES8_S8_S8_S8_S8_S8_S8_EEEEZNS1_11reduce_implILb1ES3_NS6_12zip_iteratorINS7_INS6_11hip_rocprim26transform_input_iterator_tIbNSD_35transform_pair_of_input_iterators_tIbNS6_6detail15normal_iteratorINS6_10device_ptrIKxEEEESL_NS6_8equal_toIxEEEENSG_9not_fun_tINSD_8identityEEEEENSD_19counting_iterator_tIlEES8_S8_S8_S8_S8_S8_S8_S8_EEEEPS9_S9_NSD_9__find_if7functorIS9_EEEE10hipError_tPvRmT1_T2_T3_mT4_P12ihipStream_tbEUlT_E0_NS1_11comp_targetILNS1_3genE10ELNS1_11target_archE1200ELNS1_3gpuE4ELNS1_3repE0EEENS1_30default_config_static_selectorELNS0_4arch9wavefront6targetE0EEEvS14_.uses_flat_scratch, 0
	.set _ZN7rocprim17ROCPRIM_400000_NS6detail17trampoline_kernelINS0_14default_configENS1_22reduce_config_selectorIN6thrust23THRUST_200600_302600_NS5tupleIblNS6_9null_typeES8_S8_S8_S8_S8_S8_S8_EEEEZNS1_11reduce_implILb1ES3_NS6_12zip_iteratorINS7_INS6_11hip_rocprim26transform_input_iterator_tIbNSD_35transform_pair_of_input_iterators_tIbNS6_6detail15normal_iteratorINS6_10device_ptrIKxEEEESL_NS6_8equal_toIxEEEENSG_9not_fun_tINSD_8identityEEEEENSD_19counting_iterator_tIlEES8_S8_S8_S8_S8_S8_S8_S8_EEEEPS9_S9_NSD_9__find_if7functorIS9_EEEE10hipError_tPvRmT1_T2_T3_mT4_P12ihipStream_tbEUlT_E0_NS1_11comp_targetILNS1_3genE10ELNS1_11target_archE1200ELNS1_3gpuE4ELNS1_3repE0EEENS1_30default_config_static_selectorELNS0_4arch9wavefront6targetE0EEEvS14_.has_dyn_sized_stack, 0
	.set _ZN7rocprim17ROCPRIM_400000_NS6detail17trampoline_kernelINS0_14default_configENS1_22reduce_config_selectorIN6thrust23THRUST_200600_302600_NS5tupleIblNS6_9null_typeES8_S8_S8_S8_S8_S8_S8_EEEEZNS1_11reduce_implILb1ES3_NS6_12zip_iteratorINS7_INS6_11hip_rocprim26transform_input_iterator_tIbNSD_35transform_pair_of_input_iterators_tIbNS6_6detail15normal_iteratorINS6_10device_ptrIKxEEEESL_NS6_8equal_toIxEEEENSG_9not_fun_tINSD_8identityEEEEENSD_19counting_iterator_tIlEES8_S8_S8_S8_S8_S8_S8_S8_EEEEPS9_S9_NSD_9__find_if7functorIS9_EEEE10hipError_tPvRmT1_T2_T3_mT4_P12ihipStream_tbEUlT_E0_NS1_11comp_targetILNS1_3genE10ELNS1_11target_archE1200ELNS1_3gpuE4ELNS1_3repE0EEENS1_30default_config_static_selectorELNS0_4arch9wavefront6targetE0EEEvS14_.has_recursion, 0
	.set _ZN7rocprim17ROCPRIM_400000_NS6detail17trampoline_kernelINS0_14default_configENS1_22reduce_config_selectorIN6thrust23THRUST_200600_302600_NS5tupleIblNS6_9null_typeES8_S8_S8_S8_S8_S8_S8_EEEEZNS1_11reduce_implILb1ES3_NS6_12zip_iteratorINS7_INS6_11hip_rocprim26transform_input_iterator_tIbNSD_35transform_pair_of_input_iterators_tIbNS6_6detail15normal_iteratorINS6_10device_ptrIKxEEEESL_NS6_8equal_toIxEEEENSG_9not_fun_tINSD_8identityEEEEENSD_19counting_iterator_tIlEES8_S8_S8_S8_S8_S8_S8_S8_EEEEPS9_S9_NSD_9__find_if7functorIS9_EEEE10hipError_tPvRmT1_T2_T3_mT4_P12ihipStream_tbEUlT_E0_NS1_11comp_targetILNS1_3genE10ELNS1_11target_archE1200ELNS1_3gpuE4ELNS1_3repE0EEENS1_30default_config_static_selectorELNS0_4arch9wavefront6targetE0EEEvS14_.has_indirect_call, 0
	.section	.AMDGPU.csdata,"",@progbits
; Kernel info:
; codeLenInByte = 0
; TotalNumSgprs: 0
; NumVgprs: 0
; ScratchSize: 0
; MemoryBound: 0
; FloatMode: 240
; IeeeMode: 1
; LDSByteSize: 0 bytes/workgroup (compile time only)
; SGPRBlocks: 0
; VGPRBlocks: 0
; NumSGPRsForWavesPerEU: 1
; NumVGPRsForWavesPerEU: 1
; Occupancy: 16
; WaveLimiterHint : 0
; COMPUTE_PGM_RSRC2:SCRATCH_EN: 0
; COMPUTE_PGM_RSRC2:USER_SGPR: 6
; COMPUTE_PGM_RSRC2:TRAP_HANDLER: 0
; COMPUTE_PGM_RSRC2:TGID_X_EN: 1
; COMPUTE_PGM_RSRC2:TGID_Y_EN: 0
; COMPUTE_PGM_RSRC2:TGID_Z_EN: 0
; COMPUTE_PGM_RSRC2:TIDIG_COMP_CNT: 0
	.section	.text._ZN7rocprim17ROCPRIM_400000_NS6detail17trampoline_kernelINS0_14default_configENS1_22reduce_config_selectorIN6thrust23THRUST_200600_302600_NS5tupleIblNS6_9null_typeES8_S8_S8_S8_S8_S8_S8_EEEEZNS1_11reduce_implILb1ES3_NS6_12zip_iteratorINS7_INS6_11hip_rocprim26transform_input_iterator_tIbNSD_35transform_pair_of_input_iterators_tIbNS6_6detail15normal_iteratorINS6_10device_ptrIKxEEEESL_NS6_8equal_toIxEEEENSG_9not_fun_tINSD_8identityEEEEENSD_19counting_iterator_tIlEES8_S8_S8_S8_S8_S8_S8_S8_EEEEPS9_S9_NSD_9__find_if7functorIS9_EEEE10hipError_tPvRmT1_T2_T3_mT4_P12ihipStream_tbEUlT_E0_NS1_11comp_targetILNS1_3genE9ELNS1_11target_archE1100ELNS1_3gpuE3ELNS1_3repE0EEENS1_30default_config_static_selectorELNS0_4arch9wavefront6targetE0EEEvS14_,"axG",@progbits,_ZN7rocprim17ROCPRIM_400000_NS6detail17trampoline_kernelINS0_14default_configENS1_22reduce_config_selectorIN6thrust23THRUST_200600_302600_NS5tupleIblNS6_9null_typeES8_S8_S8_S8_S8_S8_S8_EEEEZNS1_11reduce_implILb1ES3_NS6_12zip_iteratorINS7_INS6_11hip_rocprim26transform_input_iterator_tIbNSD_35transform_pair_of_input_iterators_tIbNS6_6detail15normal_iteratorINS6_10device_ptrIKxEEEESL_NS6_8equal_toIxEEEENSG_9not_fun_tINSD_8identityEEEEENSD_19counting_iterator_tIlEES8_S8_S8_S8_S8_S8_S8_S8_EEEEPS9_S9_NSD_9__find_if7functorIS9_EEEE10hipError_tPvRmT1_T2_T3_mT4_P12ihipStream_tbEUlT_E0_NS1_11comp_targetILNS1_3genE9ELNS1_11target_archE1100ELNS1_3gpuE3ELNS1_3repE0EEENS1_30default_config_static_selectorELNS0_4arch9wavefront6targetE0EEEvS14_,comdat
	.protected	_ZN7rocprim17ROCPRIM_400000_NS6detail17trampoline_kernelINS0_14default_configENS1_22reduce_config_selectorIN6thrust23THRUST_200600_302600_NS5tupleIblNS6_9null_typeES8_S8_S8_S8_S8_S8_S8_EEEEZNS1_11reduce_implILb1ES3_NS6_12zip_iteratorINS7_INS6_11hip_rocprim26transform_input_iterator_tIbNSD_35transform_pair_of_input_iterators_tIbNS6_6detail15normal_iteratorINS6_10device_ptrIKxEEEESL_NS6_8equal_toIxEEEENSG_9not_fun_tINSD_8identityEEEEENSD_19counting_iterator_tIlEES8_S8_S8_S8_S8_S8_S8_S8_EEEEPS9_S9_NSD_9__find_if7functorIS9_EEEE10hipError_tPvRmT1_T2_T3_mT4_P12ihipStream_tbEUlT_E0_NS1_11comp_targetILNS1_3genE9ELNS1_11target_archE1100ELNS1_3gpuE3ELNS1_3repE0EEENS1_30default_config_static_selectorELNS0_4arch9wavefront6targetE0EEEvS14_ ; -- Begin function _ZN7rocprim17ROCPRIM_400000_NS6detail17trampoline_kernelINS0_14default_configENS1_22reduce_config_selectorIN6thrust23THRUST_200600_302600_NS5tupleIblNS6_9null_typeES8_S8_S8_S8_S8_S8_S8_EEEEZNS1_11reduce_implILb1ES3_NS6_12zip_iteratorINS7_INS6_11hip_rocprim26transform_input_iterator_tIbNSD_35transform_pair_of_input_iterators_tIbNS6_6detail15normal_iteratorINS6_10device_ptrIKxEEEESL_NS6_8equal_toIxEEEENSG_9not_fun_tINSD_8identityEEEEENSD_19counting_iterator_tIlEES8_S8_S8_S8_S8_S8_S8_S8_EEEEPS9_S9_NSD_9__find_if7functorIS9_EEEE10hipError_tPvRmT1_T2_T3_mT4_P12ihipStream_tbEUlT_E0_NS1_11comp_targetILNS1_3genE9ELNS1_11target_archE1100ELNS1_3gpuE3ELNS1_3repE0EEENS1_30default_config_static_selectorELNS0_4arch9wavefront6targetE0EEEvS14_
	.globl	_ZN7rocprim17ROCPRIM_400000_NS6detail17trampoline_kernelINS0_14default_configENS1_22reduce_config_selectorIN6thrust23THRUST_200600_302600_NS5tupleIblNS6_9null_typeES8_S8_S8_S8_S8_S8_S8_EEEEZNS1_11reduce_implILb1ES3_NS6_12zip_iteratorINS7_INS6_11hip_rocprim26transform_input_iterator_tIbNSD_35transform_pair_of_input_iterators_tIbNS6_6detail15normal_iteratorINS6_10device_ptrIKxEEEESL_NS6_8equal_toIxEEEENSG_9not_fun_tINSD_8identityEEEEENSD_19counting_iterator_tIlEES8_S8_S8_S8_S8_S8_S8_S8_EEEEPS9_S9_NSD_9__find_if7functorIS9_EEEE10hipError_tPvRmT1_T2_T3_mT4_P12ihipStream_tbEUlT_E0_NS1_11comp_targetILNS1_3genE9ELNS1_11target_archE1100ELNS1_3gpuE3ELNS1_3repE0EEENS1_30default_config_static_selectorELNS0_4arch9wavefront6targetE0EEEvS14_
	.p2align	8
	.type	_ZN7rocprim17ROCPRIM_400000_NS6detail17trampoline_kernelINS0_14default_configENS1_22reduce_config_selectorIN6thrust23THRUST_200600_302600_NS5tupleIblNS6_9null_typeES8_S8_S8_S8_S8_S8_S8_EEEEZNS1_11reduce_implILb1ES3_NS6_12zip_iteratorINS7_INS6_11hip_rocprim26transform_input_iterator_tIbNSD_35transform_pair_of_input_iterators_tIbNS6_6detail15normal_iteratorINS6_10device_ptrIKxEEEESL_NS6_8equal_toIxEEEENSG_9not_fun_tINSD_8identityEEEEENSD_19counting_iterator_tIlEES8_S8_S8_S8_S8_S8_S8_S8_EEEEPS9_S9_NSD_9__find_if7functorIS9_EEEE10hipError_tPvRmT1_T2_T3_mT4_P12ihipStream_tbEUlT_E0_NS1_11comp_targetILNS1_3genE9ELNS1_11target_archE1100ELNS1_3gpuE3ELNS1_3repE0EEENS1_30default_config_static_selectorELNS0_4arch9wavefront6targetE0EEEvS14_,@function
_ZN7rocprim17ROCPRIM_400000_NS6detail17trampoline_kernelINS0_14default_configENS1_22reduce_config_selectorIN6thrust23THRUST_200600_302600_NS5tupleIblNS6_9null_typeES8_S8_S8_S8_S8_S8_S8_EEEEZNS1_11reduce_implILb1ES3_NS6_12zip_iteratorINS7_INS6_11hip_rocprim26transform_input_iterator_tIbNSD_35transform_pair_of_input_iterators_tIbNS6_6detail15normal_iteratorINS6_10device_ptrIKxEEEESL_NS6_8equal_toIxEEEENSG_9not_fun_tINSD_8identityEEEEENSD_19counting_iterator_tIlEES8_S8_S8_S8_S8_S8_S8_S8_EEEEPS9_S9_NSD_9__find_if7functorIS9_EEEE10hipError_tPvRmT1_T2_T3_mT4_P12ihipStream_tbEUlT_E0_NS1_11comp_targetILNS1_3genE9ELNS1_11target_archE1100ELNS1_3gpuE3ELNS1_3repE0EEENS1_30default_config_static_selectorELNS0_4arch9wavefront6targetE0EEEvS14_: ; @_ZN7rocprim17ROCPRIM_400000_NS6detail17trampoline_kernelINS0_14default_configENS1_22reduce_config_selectorIN6thrust23THRUST_200600_302600_NS5tupleIblNS6_9null_typeES8_S8_S8_S8_S8_S8_S8_EEEEZNS1_11reduce_implILb1ES3_NS6_12zip_iteratorINS7_INS6_11hip_rocprim26transform_input_iterator_tIbNSD_35transform_pair_of_input_iterators_tIbNS6_6detail15normal_iteratorINS6_10device_ptrIKxEEEESL_NS6_8equal_toIxEEEENSG_9not_fun_tINSD_8identityEEEEENSD_19counting_iterator_tIlEES8_S8_S8_S8_S8_S8_S8_S8_EEEEPS9_S9_NSD_9__find_if7functorIS9_EEEE10hipError_tPvRmT1_T2_T3_mT4_P12ihipStream_tbEUlT_E0_NS1_11comp_targetILNS1_3genE9ELNS1_11target_archE1100ELNS1_3gpuE3ELNS1_3repE0EEENS1_30default_config_static_selectorELNS0_4arch9wavefront6targetE0EEEvS14_
; %bb.0:
	.section	.rodata,"a",@progbits
	.p2align	6, 0x0
	.amdhsa_kernel _ZN7rocprim17ROCPRIM_400000_NS6detail17trampoline_kernelINS0_14default_configENS1_22reduce_config_selectorIN6thrust23THRUST_200600_302600_NS5tupleIblNS6_9null_typeES8_S8_S8_S8_S8_S8_S8_EEEEZNS1_11reduce_implILb1ES3_NS6_12zip_iteratorINS7_INS6_11hip_rocprim26transform_input_iterator_tIbNSD_35transform_pair_of_input_iterators_tIbNS6_6detail15normal_iteratorINS6_10device_ptrIKxEEEESL_NS6_8equal_toIxEEEENSG_9not_fun_tINSD_8identityEEEEENSD_19counting_iterator_tIlEES8_S8_S8_S8_S8_S8_S8_S8_EEEEPS9_S9_NSD_9__find_if7functorIS9_EEEE10hipError_tPvRmT1_T2_T3_mT4_P12ihipStream_tbEUlT_E0_NS1_11comp_targetILNS1_3genE9ELNS1_11target_archE1100ELNS1_3gpuE3ELNS1_3repE0EEENS1_30default_config_static_selectorELNS0_4arch9wavefront6targetE0EEEvS14_
		.amdhsa_group_segment_fixed_size 0
		.amdhsa_private_segment_fixed_size 0
		.amdhsa_kernarg_size 104
		.amdhsa_user_sgpr_count 6
		.amdhsa_user_sgpr_private_segment_buffer 1
		.amdhsa_user_sgpr_dispatch_ptr 0
		.amdhsa_user_sgpr_queue_ptr 0
		.amdhsa_user_sgpr_kernarg_segment_ptr 1
		.amdhsa_user_sgpr_dispatch_id 0
		.amdhsa_user_sgpr_flat_scratch_init 0
		.amdhsa_user_sgpr_private_segment_size 0
		.amdhsa_wavefront_size32 1
		.amdhsa_uses_dynamic_stack 0
		.amdhsa_system_sgpr_private_segment_wavefront_offset 0
		.amdhsa_system_sgpr_workgroup_id_x 1
		.amdhsa_system_sgpr_workgroup_id_y 0
		.amdhsa_system_sgpr_workgroup_id_z 0
		.amdhsa_system_sgpr_workgroup_info 0
		.amdhsa_system_vgpr_workitem_id 0
		.amdhsa_next_free_vgpr 1
		.amdhsa_next_free_sgpr 1
		.amdhsa_reserve_vcc 0
		.amdhsa_reserve_flat_scratch 0
		.amdhsa_float_round_mode_32 0
		.amdhsa_float_round_mode_16_64 0
		.amdhsa_float_denorm_mode_32 3
		.amdhsa_float_denorm_mode_16_64 3
		.amdhsa_dx10_clamp 1
		.amdhsa_ieee_mode 1
		.amdhsa_fp16_overflow 0
		.amdhsa_workgroup_processor_mode 1
		.amdhsa_memory_ordered 1
		.amdhsa_forward_progress 1
		.amdhsa_shared_vgpr_count 0
		.amdhsa_exception_fp_ieee_invalid_op 0
		.amdhsa_exception_fp_denorm_src 0
		.amdhsa_exception_fp_ieee_div_zero 0
		.amdhsa_exception_fp_ieee_overflow 0
		.amdhsa_exception_fp_ieee_underflow 0
		.amdhsa_exception_fp_ieee_inexact 0
		.amdhsa_exception_int_div_zero 0
	.end_amdhsa_kernel
	.section	.text._ZN7rocprim17ROCPRIM_400000_NS6detail17trampoline_kernelINS0_14default_configENS1_22reduce_config_selectorIN6thrust23THRUST_200600_302600_NS5tupleIblNS6_9null_typeES8_S8_S8_S8_S8_S8_S8_EEEEZNS1_11reduce_implILb1ES3_NS6_12zip_iteratorINS7_INS6_11hip_rocprim26transform_input_iterator_tIbNSD_35transform_pair_of_input_iterators_tIbNS6_6detail15normal_iteratorINS6_10device_ptrIKxEEEESL_NS6_8equal_toIxEEEENSG_9not_fun_tINSD_8identityEEEEENSD_19counting_iterator_tIlEES8_S8_S8_S8_S8_S8_S8_S8_EEEEPS9_S9_NSD_9__find_if7functorIS9_EEEE10hipError_tPvRmT1_T2_T3_mT4_P12ihipStream_tbEUlT_E0_NS1_11comp_targetILNS1_3genE9ELNS1_11target_archE1100ELNS1_3gpuE3ELNS1_3repE0EEENS1_30default_config_static_selectorELNS0_4arch9wavefront6targetE0EEEvS14_,"axG",@progbits,_ZN7rocprim17ROCPRIM_400000_NS6detail17trampoline_kernelINS0_14default_configENS1_22reduce_config_selectorIN6thrust23THRUST_200600_302600_NS5tupleIblNS6_9null_typeES8_S8_S8_S8_S8_S8_S8_EEEEZNS1_11reduce_implILb1ES3_NS6_12zip_iteratorINS7_INS6_11hip_rocprim26transform_input_iterator_tIbNSD_35transform_pair_of_input_iterators_tIbNS6_6detail15normal_iteratorINS6_10device_ptrIKxEEEESL_NS6_8equal_toIxEEEENSG_9not_fun_tINSD_8identityEEEEENSD_19counting_iterator_tIlEES8_S8_S8_S8_S8_S8_S8_S8_EEEEPS9_S9_NSD_9__find_if7functorIS9_EEEE10hipError_tPvRmT1_T2_T3_mT4_P12ihipStream_tbEUlT_E0_NS1_11comp_targetILNS1_3genE9ELNS1_11target_archE1100ELNS1_3gpuE3ELNS1_3repE0EEENS1_30default_config_static_selectorELNS0_4arch9wavefront6targetE0EEEvS14_,comdat
.Lfunc_end400:
	.size	_ZN7rocprim17ROCPRIM_400000_NS6detail17trampoline_kernelINS0_14default_configENS1_22reduce_config_selectorIN6thrust23THRUST_200600_302600_NS5tupleIblNS6_9null_typeES8_S8_S8_S8_S8_S8_S8_EEEEZNS1_11reduce_implILb1ES3_NS6_12zip_iteratorINS7_INS6_11hip_rocprim26transform_input_iterator_tIbNSD_35transform_pair_of_input_iterators_tIbNS6_6detail15normal_iteratorINS6_10device_ptrIKxEEEESL_NS6_8equal_toIxEEEENSG_9not_fun_tINSD_8identityEEEEENSD_19counting_iterator_tIlEES8_S8_S8_S8_S8_S8_S8_S8_EEEEPS9_S9_NSD_9__find_if7functorIS9_EEEE10hipError_tPvRmT1_T2_T3_mT4_P12ihipStream_tbEUlT_E0_NS1_11comp_targetILNS1_3genE9ELNS1_11target_archE1100ELNS1_3gpuE3ELNS1_3repE0EEENS1_30default_config_static_selectorELNS0_4arch9wavefront6targetE0EEEvS14_, .Lfunc_end400-_ZN7rocprim17ROCPRIM_400000_NS6detail17trampoline_kernelINS0_14default_configENS1_22reduce_config_selectorIN6thrust23THRUST_200600_302600_NS5tupleIblNS6_9null_typeES8_S8_S8_S8_S8_S8_S8_EEEEZNS1_11reduce_implILb1ES3_NS6_12zip_iteratorINS7_INS6_11hip_rocprim26transform_input_iterator_tIbNSD_35transform_pair_of_input_iterators_tIbNS6_6detail15normal_iteratorINS6_10device_ptrIKxEEEESL_NS6_8equal_toIxEEEENSG_9not_fun_tINSD_8identityEEEEENSD_19counting_iterator_tIlEES8_S8_S8_S8_S8_S8_S8_S8_EEEEPS9_S9_NSD_9__find_if7functorIS9_EEEE10hipError_tPvRmT1_T2_T3_mT4_P12ihipStream_tbEUlT_E0_NS1_11comp_targetILNS1_3genE9ELNS1_11target_archE1100ELNS1_3gpuE3ELNS1_3repE0EEENS1_30default_config_static_selectorELNS0_4arch9wavefront6targetE0EEEvS14_
                                        ; -- End function
	.set _ZN7rocprim17ROCPRIM_400000_NS6detail17trampoline_kernelINS0_14default_configENS1_22reduce_config_selectorIN6thrust23THRUST_200600_302600_NS5tupleIblNS6_9null_typeES8_S8_S8_S8_S8_S8_S8_EEEEZNS1_11reduce_implILb1ES3_NS6_12zip_iteratorINS7_INS6_11hip_rocprim26transform_input_iterator_tIbNSD_35transform_pair_of_input_iterators_tIbNS6_6detail15normal_iteratorINS6_10device_ptrIKxEEEESL_NS6_8equal_toIxEEEENSG_9not_fun_tINSD_8identityEEEEENSD_19counting_iterator_tIlEES8_S8_S8_S8_S8_S8_S8_S8_EEEEPS9_S9_NSD_9__find_if7functorIS9_EEEE10hipError_tPvRmT1_T2_T3_mT4_P12ihipStream_tbEUlT_E0_NS1_11comp_targetILNS1_3genE9ELNS1_11target_archE1100ELNS1_3gpuE3ELNS1_3repE0EEENS1_30default_config_static_selectorELNS0_4arch9wavefront6targetE0EEEvS14_.num_vgpr, 0
	.set _ZN7rocprim17ROCPRIM_400000_NS6detail17trampoline_kernelINS0_14default_configENS1_22reduce_config_selectorIN6thrust23THRUST_200600_302600_NS5tupleIblNS6_9null_typeES8_S8_S8_S8_S8_S8_S8_EEEEZNS1_11reduce_implILb1ES3_NS6_12zip_iteratorINS7_INS6_11hip_rocprim26transform_input_iterator_tIbNSD_35transform_pair_of_input_iterators_tIbNS6_6detail15normal_iteratorINS6_10device_ptrIKxEEEESL_NS6_8equal_toIxEEEENSG_9not_fun_tINSD_8identityEEEEENSD_19counting_iterator_tIlEES8_S8_S8_S8_S8_S8_S8_S8_EEEEPS9_S9_NSD_9__find_if7functorIS9_EEEE10hipError_tPvRmT1_T2_T3_mT4_P12ihipStream_tbEUlT_E0_NS1_11comp_targetILNS1_3genE9ELNS1_11target_archE1100ELNS1_3gpuE3ELNS1_3repE0EEENS1_30default_config_static_selectorELNS0_4arch9wavefront6targetE0EEEvS14_.num_agpr, 0
	.set _ZN7rocprim17ROCPRIM_400000_NS6detail17trampoline_kernelINS0_14default_configENS1_22reduce_config_selectorIN6thrust23THRUST_200600_302600_NS5tupleIblNS6_9null_typeES8_S8_S8_S8_S8_S8_S8_EEEEZNS1_11reduce_implILb1ES3_NS6_12zip_iteratorINS7_INS6_11hip_rocprim26transform_input_iterator_tIbNSD_35transform_pair_of_input_iterators_tIbNS6_6detail15normal_iteratorINS6_10device_ptrIKxEEEESL_NS6_8equal_toIxEEEENSG_9not_fun_tINSD_8identityEEEEENSD_19counting_iterator_tIlEES8_S8_S8_S8_S8_S8_S8_S8_EEEEPS9_S9_NSD_9__find_if7functorIS9_EEEE10hipError_tPvRmT1_T2_T3_mT4_P12ihipStream_tbEUlT_E0_NS1_11comp_targetILNS1_3genE9ELNS1_11target_archE1100ELNS1_3gpuE3ELNS1_3repE0EEENS1_30default_config_static_selectorELNS0_4arch9wavefront6targetE0EEEvS14_.numbered_sgpr, 0
	.set _ZN7rocprim17ROCPRIM_400000_NS6detail17trampoline_kernelINS0_14default_configENS1_22reduce_config_selectorIN6thrust23THRUST_200600_302600_NS5tupleIblNS6_9null_typeES8_S8_S8_S8_S8_S8_S8_EEEEZNS1_11reduce_implILb1ES3_NS6_12zip_iteratorINS7_INS6_11hip_rocprim26transform_input_iterator_tIbNSD_35transform_pair_of_input_iterators_tIbNS6_6detail15normal_iteratorINS6_10device_ptrIKxEEEESL_NS6_8equal_toIxEEEENSG_9not_fun_tINSD_8identityEEEEENSD_19counting_iterator_tIlEES8_S8_S8_S8_S8_S8_S8_S8_EEEEPS9_S9_NSD_9__find_if7functorIS9_EEEE10hipError_tPvRmT1_T2_T3_mT4_P12ihipStream_tbEUlT_E0_NS1_11comp_targetILNS1_3genE9ELNS1_11target_archE1100ELNS1_3gpuE3ELNS1_3repE0EEENS1_30default_config_static_selectorELNS0_4arch9wavefront6targetE0EEEvS14_.num_named_barrier, 0
	.set _ZN7rocprim17ROCPRIM_400000_NS6detail17trampoline_kernelINS0_14default_configENS1_22reduce_config_selectorIN6thrust23THRUST_200600_302600_NS5tupleIblNS6_9null_typeES8_S8_S8_S8_S8_S8_S8_EEEEZNS1_11reduce_implILb1ES3_NS6_12zip_iteratorINS7_INS6_11hip_rocprim26transform_input_iterator_tIbNSD_35transform_pair_of_input_iterators_tIbNS6_6detail15normal_iteratorINS6_10device_ptrIKxEEEESL_NS6_8equal_toIxEEEENSG_9not_fun_tINSD_8identityEEEEENSD_19counting_iterator_tIlEES8_S8_S8_S8_S8_S8_S8_S8_EEEEPS9_S9_NSD_9__find_if7functorIS9_EEEE10hipError_tPvRmT1_T2_T3_mT4_P12ihipStream_tbEUlT_E0_NS1_11comp_targetILNS1_3genE9ELNS1_11target_archE1100ELNS1_3gpuE3ELNS1_3repE0EEENS1_30default_config_static_selectorELNS0_4arch9wavefront6targetE0EEEvS14_.private_seg_size, 0
	.set _ZN7rocprim17ROCPRIM_400000_NS6detail17trampoline_kernelINS0_14default_configENS1_22reduce_config_selectorIN6thrust23THRUST_200600_302600_NS5tupleIblNS6_9null_typeES8_S8_S8_S8_S8_S8_S8_EEEEZNS1_11reduce_implILb1ES3_NS6_12zip_iteratorINS7_INS6_11hip_rocprim26transform_input_iterator_tIbNSD_35transform_pair_of_input_iterators_tIbNS6_6detail15normal_iteratorINS6_10device_ptrIKxEEEESL_NS6_8equal_toIxEEEENSG_9not_fun_tINSD_8identityEEEEENSD_19counting_iterator_tIlEES8_S8_S8_S8_S8_S8_S8_S8_EEEEPS9_S9_NSD_9__find_if7functorIS9_EEEE10hipError_tPvRmT1_T2_T3_mT4_P12ihipStream_tbEUlT_E0_NS1_11comp_targetILNS1_3genE9ELNS1_11target_archE1100ELNS1_3gpuE3ELNS1_3repE0EEENS1_30default_config_static_selectorELNS0_4arch9wavefront6targetE0EEEvS14_.uses_vcc, 0
	.set _ZN7rocprim17ROCPRIM_400000_NS6detail17trampoline_kernelINS0_14default_configENS1_22reduce_config_selectorIN6thrust23THRUST_200600_302600_NS5tupleIblNS6_9null_typeES8_S8_S8_S8_S8_S8_S8_EEEEZNS1_11reduce_implILb1ES3_NS6_12zip_iteratorINS7_INS6_11hip_rocprim26transform_input_iterator_tIbNSD_35transform_pair_of_input_iterators_tIbNS6_6detail15normal_iteratorINS6_10device_ptrIKxEEEESL_NS6_8equal_toIxEEEENSG_9not_fun_tINSD_8identityEEEEENSD_19counting_iterator_tIlEES8_S8_S8_S8_S8_S8_S8_S8_EEEEPS9_S9_NSD_9__find_if7functorIS9_EEEE10hipError_tPvRmT1_T2_T3_mT4_P12ihipStream_tbEUlT_E0_NS1_11comp_targetILNS1_3genE9ELNS1_11target_archE1100ELNS1_3gpuE3ELNS1_3repE0EEENS1_30default_config_static_selectorELNS0_4arch9wavefront6targetE0EEEvS14_.uses_flat_scratch, 0
	.set _ZN7rocprim17ROCPRIM_400000_NS6detail17trampoline_kernelINS0_14default_configENS1_22reduce_config_selectorIN6thrust23THRUST_200600_302600_NS5tupleIblNS6_9null_typeES8_S8_S8_S8_S8_S8_S8_EEEEZNS1_11reduce_implILb1ES3_NS6_12zip_iteratorINS7_INS6_11hip_rocprim26transform_input_iterator_tIbNSD_35transform_pair_of_input_iterators_tIbNS6_6detail15normal_iteratorINS6_10device_ptrIKxEEEESL_NS6_8equal_toIxEEEENSG_9not_fun_tINSD_8identityEEEEENSD_19counting_iterator_tIlEES8_S8_S8_S8_S8_S8_S8_S8_EEEEPS9_S9_NSD_9__find_if7functorIS9_EEEE10hipError_tPvRmT1_T2_T3_mT4_P12ihipStream_tbEUlT_E0_NS1_11comp_targetILNS1_3genE9ELNS1_11target_archE1100ELNS1_3gpuE3ELNS1_3repE0EEENS1_30default_config_static_selectorELNS0_4arch9wavefront6targetE0EEEvS14_.has_dyn_sized_stack, 0
	.set _ZN7rocprim17ROCPRIM_400000_NS6detail17trampoline_kernelINS0_14default_configENS1_22reduce_config_selectorIN6thrust23THRUST_200600_302600_NS5tupleIblNS6_9null_typeES8_S8_S8_S8_S8_S8_S8_EEEEZNS1_11reduce_implILb1ES3_NS6_12zip_iteratorINS7_INS6_11hip_rocprim26transform_input_iterator_tIbNSD_35transform_pair_of_input_iterators_tIbNS6_6detail15normal_iteratorINS6_10device_ptrIKxEEEESL_NS6_8equal_toIxEEEENSG_9not_fun_tINSD_8identityEEEEENSD_19counting_iterator_tIlEES8_S8_S8_S8_S8_S8_S8_S8_EEEEPS9_S9_NSD_9__find_if7functorIS9_EEEE10hipError_tPvRmT1_T2_T3_mT4_P12ihipStream_tbEUlT_E0_NS1_11comp_targetILNS1_3genE9ELNS1_11target_archE1100ELNS1_3gpuE3ELNS1_3repE0EEENS1_30default_config_static_selectorELNS0_4arch9wavefront6targetE0EEEvS14_.has_recursion, 0
	.set _ZN7rocprim17ROCPRIM_400000_NS6detail17trampoline_kernelINS0_14default_configENS1_22reduce_config_selectorIN6thrust23THRUST_200600_302600_NS5tupleIblNS6_9null_typeES8_S8_S8_S8_S8_S8_S8_EEEEZNS1_11reduce_implILb1ES3_NS6_12zip_iteratorINS7_INS6_11hip_rocprim26transform_input_iterator_tIbNSD_35transform_pair_of_input_iterators_tIbNS6_6detail15normal_iteratorINS6_10device_ptrIKxEEEESL_NS6_8equal_toIxEEEENSG_9not_fun_tINSD_8identityEEEEENSD_19counting_iterator_tIlEES8_S8_S8_S8_S8_S8_S8_S8_EEEEPS9_S9_NSD_9__find_if7functorIS9_EEEE10hipError_tPvRmT1_T2_T3_mT4_P12ihipStream_tbEUlT_E0_NS1_11comp_targetILNS1_3genE9ELNS1_11target_archE1100ELNS1_3gpuE3ELNS1_3repE0EEENS1_30default_config_static_selectorELNS0_4arch9wavefront6targetE0EEEvS14_.has_indirect_call, 0
	.section	.AMDGPU.csdata,"",@progbits
; Kernel info:
; codeLenInByte = 0
; TotalNumSgprs: 0
; NumVgprs: 0
; ScratchSize: 0
; MemoryBound: 0
; FloatMode: 240
; IeeeMode: 1
; LDSByteSize: 0 bytes/workgroup (compile time only)
; SGPRBlocks: 0
; VGPRBlocks: 0
; NumSGPRsForWavesPerEU: 1
; NumVGPRsForWavesPerEU: 1
; Occupancy: 16
; WaveLimiterHint : 0
; COMPUTE_PGM_RSRC2:SCRATCH_EN: 0
; COMPUTE_PGM_RSRC2:USER_SGPR: 6
; COMPUTE_PGM_RSRC2:TRAP_HANDLER: 0
; COMPUTE_PGM_RSRC2:TGID_X_EN: 1
; COMPUTE_PGM_RSRC2:TGID_Y_EN: 0
; COMPUTE_PGM_RSRC2:TGID_Z_EN: 0
; COMPUTE_PGM_RSRC2:TIDIG_COMP_CNT: 0
	.section	.text._ZN7rocprim17ROCPRIM_400000_NS6detail17trampoline_kernelINS0_14default_configENS1_22reduce_config_selectorIN6thrust23THRUST_200600_302600_NS5tupleIblNS6_9null_typeES8_S8_S8_S8_S8_S8_S8_EEEEZNS1_11reduce_implILb1ES3_NS6_12zip_iteratorINS7_INS6_11hip_rocprim26transform_input_iterator_tIbNSD_35transform_pair_of_input_iterators_tIbNS6_6detail15normal_iteratorINS6_10device_ptrIKxEEEESL_NS6_8equal_toIxEEEENSG_9not_fun_tINSD_8identityEEEEENSD_19counting_iterator_tIlEES8_S8_S8_S8_S8_S8_S8_S8_EEEEPS9_S9_NSD_9__find_if7functorIS9_EEEE10hipError_tPvRmT1_T2_T3_mT4_P12ihipStream_tbEUlT_E0_NS1_11comp_targetILNS1_3genE8ELNS1_11target_archE1030ELNS1_3gpuE2ELNS1_3repE0EEENS1_30default_config_static_selectorELNS0_4arch9wavefront6targetE0EEEvS14_,"axG",@progbits,_ZN7rocprim17ROCPRIM_400000_NS6detail17trampoline_kernelINS0_14default_configENS1_22reduce_config_selectorIN6thrust23THRUST_200600_302600_NS5tupleIblNS6_9null_typeES8_S8_S8_S8_S8_S8_S8_EEEEZNS1_11reduce_implILb1ES3_NS6_12zip_iteratorINS7_INS6_11hip_rocprim26transform_input_iterator_tIbNSD_35transform_pair_of_input_iterators_tIbNS6_6detail15normal_iteratorINS6_10device_ptrIKxEEEESL_NS6_8equal_toIxEEEENSG_9not_fun_tINSD_8identityEEEEENSD_19counting_iterator_tIlEES8_S8_S8_S8_S8_S8_S8_S8_EEEEPS9_S9_NSD_9__find_if7functorIS9_EEEE10hipError_tPvRmT1_T2_T3_mT4_P12ihipStream_tbEUlT_E0_NS1_11comp_targetILNS1_3genE8ELNS1_11target_archE1030ELNS1_3gpuE2ELNS1_3repE0EEENS1_30default_config_static_selectorELNS0_4arch9wavefront6targetE0EEEvS14_,comdat
	.protected	_ZN7rocprim17ROCPRIM_400000_NS6detail17trampoline_kernelINS0_14default_configENS1_22reduce_config_selectorIN6thrust23THRUST_200600_302600_NS5tupleIblNS6_9null_typeES8_S8_S8_S8_S8_S8_S8_EEEEZNS1_11reduce_implILb1ES3_NS6_12zip_iteratorINS7_INS6_11hip_rocprim26transform_input_iterator_tIbNSD_35transform_pair_of_input_iterators_tIbNS6_6detail15normal_iteratorINS6_10device_ptrIKxEEEESL_NS6_8equal_toIxEEEENSG_9not_fun_tINSD_8identityEEEEENSD_19counting_iterator_tIlEES8_S8_S8_S8_S8_S8_S8_S8_EEEEPS9_S9_NSD_9__find_if7functorIS9_EEEE10hipError_tPvRmT1_T2_T3_mT4_P12ihipStream_tbEUlT_E0_NS1_11comp_targetILNS1_3genE8ELNS1_11target_archE1030ELNS1_3gpuE2ELNS1_3repE0EEENS1_30default_config_static_selectorELNS0_4arch9wavefront6targetE0EEEvS14_ ; -- Begin function _ZN7rocprim17ROCPRIM_400000_NS6detail17trampoline_kernelINS0_14default_configENS1_22reduce_config_selectorIN6thrust23THRUST_200600_302600_NS5tupleIblNS6_9null_typeES8_S8_S8_S8_S8_S8_S8_EEEEZNS1_11reduce_implILb1ES3_NS6_12zip_iteratorINS7_INS6_11hip_rocprim26transform_input_iterator_tIbNSD_35transform_pair_of_input_iterators_tIbNS6_6detail15normal_iteratorINS6_10device_ptrIKxEEEESL_NS6_8equal_toIxEEEENSG_9not_fun_tINSD_8identityEEEEENSD_19counting_iterator_tIlEES8_S8_S8_S8_S8_S8_S8_S8_EEEEPS9_S9_NSD_9__find_if7functorIS9_EEEE10hipError_tPvRmT1_T2_T3_mT4_P12ihipStream_tbEUlT_E0_NS1_11comp_targetILNS1_3genE8ELNS1_11target_archE1030ELNS1_3gpuE2ELNS1_3repE0EEENS1_30default_config_static_selectorELNS0_4arch9wavefront6targetE0EEEvS14_
	.globl	_ZN7rocprim17ROCPRIM_400000_NS6detail17trampoline_kernelINS0_14default_configENS1_22reduce_config_selectorIN6thrust23THRUST_200600_302600_NS5tupleIblNS6_9null_typeES8_S8_S8_S8_S8_S8_S8_EEEEZNS1_11reduce_implILb1ES3_NS6_12zip_iteratorINS7_INS6_11hip_rocprim26transform_input_iterator_tIbNSD_35transform_pair_of_input_iterators_tIbNS6_6detail15normal_iteratorINS6_10device_ptrIKxEEEESL_NS6_8equal_toIxEEEENSG_9not_fun_tINSD_8identityEEEEENSD_19counting_iterator_tIlEES8_S8_S8_S8_S8_S8_S8_S8_EEEEPS9_S9_NSD_9__find_if7functorIS9_EEEE10hipError_tPvRmT1_T2_T3_mT4_P12ihipStream_tbEUlT_E0_NS1_11comp_targetILNS1_3genE8ELNS1_11target_archE1030ELNS1_3gpuE2ELNS1_3repE0EEENS1_30default_config_static_selectorELNS0_4arch9wavefront6targetE0EEEvS14_
	.p2align	8
	.type	_ZN7rocprim17ROCPRIM_400000_NS6detail17trampoline_kernelINS0_14default_configENS1_22reduce_config_selectorIN6thrust23THRUST_200600_302600_NS5tupleIblNS6_9null_typeES8_S8_S8_S8_S8_S8_S8_EEEEZNS1_11reduce_implILb1ES3_NS6_12zip_iteratorINS7_INS6_11hip_rocprim26transform_input_iterator_tIbNSD_35transform_pair_of_input_iterators_tIbNS6_6detail15normal_iteratorINS6_10device_ptrIKxEEEESL_NS6_8equal_toIxEEEENSG_9not_fun_tINSD_8identityEEEEENSD_19counting_iterator_tIlEES8_S8_S8_S8_S8_S8_S8_S8_EEEEPS9_S9_NSD_9__find_if7functorIS9_EEEE10hipError_tPvRmT1_T2_T3_mT4_P12ihipStream_tbEUlT_E0_NS1_11comp_targetILNS1_3genE8ELNS1_11target_archE1030ELNS1_3gpuE2ELNS1_3repE0EEENS1_30default_config_static_selectorELNS0_4arch9wavefront6targetE0EEEvS14_,@function
_ZN7rocprim17ROCPRIM_400000_NS6detail17trampoline_kernelINS0_14default_configENS1_22reduce_config_selectorIN6thrust23THRUST_200600_302600_NS5tupleIblNS6_9null_typeES8_S8_S8_S8_S8_S8_S8_EEEEZNS1_11reduce_implILb1ES3_NS6_12zip_iteratorINS7_INS6_11hip_rocprim26transform_input_iterator_tIbNSD_35transform_pair_of_input_iterators_tIbNS6_6detail15normal_iteratorINS6_10device_ptrIKxEEEESL_NS6_8equal_toIxEEEENSG_9not_fun_tINSD_8identityEEEEENSD_19counting_iterator_tIlEES8_S8_S8_S8_S8_S8_S8_S8_EEEEPS9_S9_NSD_9__find_if7functorIS9_EEEE10hipError_tPvRmT1_T2_T3_mT4_P12ihipStream_tbEUlT_E0_NS1_11comp_targetILNS1_3genE8ELNS1_11target_archE1030ELNS1_3gpuE2ELNS1_3repE0EEENS1_30default_config_static_selectorELNS0_4arch9wavefront6targetE0EEEvS14_: ; @_ZN7rocprim17ROCPRIM_400000_NS6detail17trampoline_kernelINS0_14default_configENS1_22reduce_config_selectorIN6thrust23THRUST_200600_302600_NS5tupleIblNS6_9null_typeES8_S8_S8_S8_S8_S8_S8_EEEEZNS1_11reduce_implILb1ES3_NS6_12zip_iteratorINS7_INS6_11hip_rocprim26transform_input_iterator_tIbNSD_35transform_pair_of_input_iterators_tIbNS6_6detail15normal_iteratorINS6_10device_ptrIKxEEEESL_NS6_8equal_toIxEEEENSG_9not_fun_tINSD_8identityEEEEENSD_19counting_iterator_tIlEES8_S8_S8_S8_S8_S8_S8_S8_EEEEPS9_S9_NSD_9__find_if7functorIS9_EEEE10hipError_tPvRmT1_T2_T3_mT4_P12ihipStream_tbEUlT_E0_NS1_11comp_targetILNS1_3genE8ELNS1_11target_archE1030ELNS1_3gpuE2ELNS1_3repE0EEENS1_30default_config_static_selectorELNS0_4arch9wavefront6targetE0EEEvS14_
; %bb.0:
	s_clause 0x2
	s_load_dwordx8 s[8:15], s[4:5], 0x20
	s_load_dwordx4 s[0:3], s[4:5], 0x0
	s_load_dwordx4 s[16:19], s[4:5], 0x40
	s_mov_b32 s23, 0
	v_mbcnt_lo_u32_b32 v7, -1, 0
	s_mov_b32 s7, s23
	s_waitcnt lgkmcnt(0)
	s_lshl_b64 s[20:21], s[10:11], 3
	s_add_u32 s26, s0, s20
	s_addc_u32 s27, s1, s21
	s_add_u32 s20, s2, s20
	s_addc_u32 s21, s3, s21
	s_lshl_b32 s22, s6, 9
	s_lshr_b64 s[24:25], s[12:13], 9
	s_lshl_b64 s[0:1], s[22:23], 3
	s_add_u32 s2, s26, s0
	s_addc_u32 s3, s27, s1
	s_add_u32 s20, s20, s0
	s_addc_u32 s21, s21, s1
	;; [unrolled: 2-line block ×4, first 2 shown]
	s_cmp_lg_u64 s[24:25], s[6:7]
	s_cbranch_scc0 .LBB401_18
; %bb.1:
	v_lshlrev_b32_e32 v8, 3, v0
	v_add_co_u32 v1, s0, s2, v8
	v_add_co_ci_u32_e64 v2, null, s3, 0, s0
	v_add_co_u32 v3, s0, s20, v8
	v_add_co_ci_u32_e64 v4, null, s21, 0, s0
	v_add_co_u32 v1, vcc_lo, 0x800, v1
	v_add_co_ci_u32_e64 v2, null, 0, v2, vcc_lo
	v_add_co_u32 v3, vcc_lo, 0x800, v3
	v_add_co_ci_u32_e64 v4, null, 0, v4, vcc_lo
	s_clause 0x1
	global_load_dwordx2 v[5:6], v8, s[2:3]
	global_load_dwordx2 v[8:9], v8, s[20:21]
	global_load_dwordx2 v[1:2], v[1:2], off
	global_load_dwordx2 v[3:4], v[3:4], off
	v_add_co_u32 v10, s0, s10, v0
	v_add_co_ci_u32_e64 v11, null, s11, 0, s0
	v_add_co_u32 v12, vcc_lo, 0x100, v10
	v_add_co_ci_u32_e64 v13, null, 0, v11, vcc_lo
	s_waitcnt vmcnt(2)
	v_cmp_ne_u64_e32 vcc_lo, v[5:6], v[8:9]
	s_waitcnt vmcnt(0)
	v_cmp_ne_u64_e64 s0, v[1:2], v[3:4]
	v_cndmask_b32_e32 v5, v13, v11, vcc_lo
	v_cndmask_b32_e32 v4, v12, v10, vcc_lo
	s_or_b32 s0, vcc_lo, s0
	v_cndmask_b32_e64 v3, 0, 1, s0
	v_mov_b32_dpp v2, v5 quad_perm:[1,0,3,2] row_mask:0xf bank_mask:0xf
	v_mov_b32_dpp v1, v4 quad_perm:[1,0,3,2] row_mask:0xf bank_mask:0xf
	;; [unrolled: 1-line block ×3, first 2 shown]
	v_cmp_lt_i64_e32 vcc_lo, v[4:5], v[1:2]
	v_and_b32_e32 v6, 1, v6
	s_and_b32 vcc_lo, s0, vcc_lo
	v_cndmask_b32_e32 v1, v1, v4, vcc_lo
	v_cndmask_b32_e32 v2, v2, v5, vcc_lo
	v_cmp_eq_u32_e32 vcc_lo, 1, v6
	v_cndmask_b32_e32 v2, v5, v2, vcc_lo
	v_cndmask_b32_e32 v1, v4, v1, vcc_lo
	v_cndmask_b32_e64 v5, v3, 1, vcc_lo
	v_mov_b32_dpp v4, v2 quad_perm:[2,3,0,1] row_mask:0xf bank_mask:0xf
	v_mov_b32_dpp v3, v1 quad_perm:[2,3,0,1] row_mask:0xf bank_mask:0xf
	v_and_b32_e32 v8, 1, v5
	v_mov_b32_dpp v6, v5 quad_perm:[2,3,0,1] row_mask:0xf bank_mask:0xf
	v_cmp_lt_i64_e32 vcc_lo, v[1:2], v[3:4]
	v_cmp_eq_u32_e64 s0, 1, v8
	v_and_b32_e32 v6, 1, v6
	s_and_b32 vcc_lo, s0, vcc_lo
	v_cmp_eq_u32_e64 s1, 1, v6
	v_cndmask_b32_e32 v3, v3, v1, vcc_lo
	v_cndmask_b32_e32 v4, v4, v2, vcc_lo
	v_cndmask_b32_e64 v5, v5, 1, s1
	v_cndmask_b32_e64 v1, v1, v3, s1
	;; [unrolled: 1-line block ×3, first 2 shown]
	v_and_b32_e32 v8, 1, v5
	v_mov_b32_dpp v3, v1 row_ror:4 row_mask:0xf bank_mask:0xf
	v_mov_b32_dpp v4, v2 row_ror:4 row_mask:0xf bank_mask:0xf
	;; [unrolled: 1-line block ×3, first 2 shown]
	v_cmp_eq_u32_e64 s0, 1, v8
	v_cmp_lt_i64_e32 vcc_lo, v[1:2], v[3:4]
	v_and_b32_e32 v6, 1, v6
	s_and_b32 vcc_lo, s0, vcc_lo
	v_cmp_eq_u32_e64 s1, 1, v6
	v_cndmask_b32_e32 v3, v3, v1, vcc_lo
	v_cndmask_b32_e32 v4, v4, v2, vcc_lo
	v_cndmask_b32_e64 v5, v5, 1, s1
	v_cndmask_b32_e64 v1, v1, v3, s1
	;; [unrolled: 1-line block ×3, first 2 shown]
	v_and_b32_e32 v8, 1, v5
	v_mov_b32_dpp v3, v1 row_ror:8 row_mask:0xf bank_mask:0xf
	v_mov_b32_dpp v4, v2 row_ror:8 row_mask:0xf bank_mask:0xf
	;; [unrolled: 1-line block ×3, first 2 shown]
	v_cmp_eq_u32_e64 s0, 1, v8
	v_cmp_lt_i64_e32 vcc_lo, v[1:2], v[3:4]
	v_and_b32_e32 v6, 1, v6
	s_and_b32 vcc_lo, s0, vcc_lo
	v_cmp_eq_u32_e64 s1, 1, v6
	v_cndmask_b32_e32 v3, v3, v1, vcc_lo
	v_cndmask_b32_e32 v4, v4, v2, vcc_lo
	v_cndmask_b32_e64 v5, v5, 1, s1
	v_cndmask_b32_e64 v1, v1, v3, s1
	;; [unrolled: 1-line block ×3, first 2 shown]
	ds_swizzle_b32 v6, v5 offset:swizzle(BROADCAST,32,15)
	ds_swizzle_b32 v3, v1 offset:swizzle(BROADCAST,32,15)
	;; [unrolled: 1-line block ×3, first 2 shown]
	v_and_b32_e32 v8, 1, v5
	v_cmp_eq_u32_e64 s0, 1, v8
	s_waitcnt lgkmcnt(2)
	v_and_b32_e32 v6, 1, v6
	s_waitcnt lgkmcnt(0)
	v_cmp_lt_i64_e32 vcc_lo, v[1:2], v[3:4]
	v_cmp_eq_u32_e64 s1, 1, v6
	v_mov_b32_e32 v6, 0
	s_and_b32 vcc_lo, s0, vcc_lo
	s_mov_b32 s0, exec_lo
	v_cndmask_b32_e32 v3, v3, v1, vcc_lo
	v_cndmask_b32_e32 v4, v4, v2, vcc_lo
	v_cndmask_b32_e64 v5, v5, 1, s1
	v_cndmask_b32_e64 v1, v1, v3, s1
	;; [unrolled: 1-line block ×3, first 2 shown]
	ds_bpermute_b32 v8, v6, v5 offset:124
	ds_bpermute_b32 v1, v6, v1 offset:124
	;; [unrolled: 1-line block ×3, first 2 shown]
	v_cmpx_eq_u32_e32 0, v7
	s_cbranch_execz .LBB401_3
; %bb.2:
	v_lshrrev_b32_e32 v3, 1, v0
	v_and_b32_e32 v3, 0x70, v3
	s_waitcnt lgkmcnt(2)
	ds_write_b8 v3, v8
	s_waitcnt lgkmcnt(1)
	ds_write_b64 v3, v[1:2] offset:8
.LBB401_3:
	s_or_b32 exec_lo, exec_lo, s0
	s_mov_b32 s0, exec_lo
	s_waitcnt lgkmcnt(0)
	s_barrier
	buffer_gl0_inv
	v_cmpx_gt_u32_e32 32, v0
	s_cbranch_execz .LBB401_17
; %bb.4:
	v_and_b32_e32 v8, 7, v7
	v_lshlrev_b32_e32 v1, 4, v8
	v_cmp_ne_u32_e32 vcc_lo, 7, v8
	ds_read_u8 v10, v1
	ds_read_b64 v[3:4], v1 offset:8
	v_add_co_ci_u32_e64 v2, null, 0, v7, vcc_lo
	v_lshlrev_b32_e32 v2, 2, v2
	s_waitcnt lgkmcnt(1)
	v_and_b32_e32 v1, 0xff, v10
	s_waitcnt lgkmcnt(0)
	ds_bpermute_b32 v5, v2, v3
	ds_bpermute_b32 v6, v2, v4
	;; [unrolled: 1-line block ×3, first 2 shown]
	s_waitcnt lgkmcnt(0)
	v_and_b32_e32 v1, v10, v11
	v_and_b32_e32 v1, 1, v1
	v_cmp_eq_u32_e32 vcc_lo, 1, v1
                                        ; implicit-def: $vgpr1_vgpr2
	s_and_saveexec_b32 s1, vcc_lo
	s_xor_b32 s1, exec_lo, s1
; %bb.5:
	v_cmp_lt_i64_e32 vcc_lo, v[5:6], v[3:4]
                                        ; implicit-def: $vgpr10
                                        ; implicit-def: $vgpr11
	v_cndmask_b32_e32 v2, v4, v6, vcc_lo
	v_cndmask_b32_e32 v1, v3, v5, vcc_lo
                                        ; implicit-def: $vgpr5_vgpr6
                                        ; implicit-def: $vgpr3_vgpr4
; %bb.6:
	s_or_saveexec_b32 s1, s1
	v_mov_b32_e32 v9, 1
	s_xor_b32 exec_lo, exec_lo, s1
; %bb.7:
	v_and_b32_e32 v1, 1, v10
	v_and_b32_e32 v9, 0xff, v11
	v_cmp_eq_u32_e32 vcc_lo, 1, v1
	v_cndmask_b32_e32 v2, v6, v4, vcc_lo
	v_cndmask_b32_e32 v1, v5, v3, vcc_lo
	v_cndmask_b32_e64 v9, v9, 1, vcc_lo
; %bb.8:
	s_or_b32 exec_lo, exec_lo, s1
	v_cmp_gt_u32_e32 vcc_lo, 6, v8
	v_cndmask_b32_e64 v3, 0, 2, vcc_lo
	v_add_lshl_u32 v3, v3, v7, 2
	ds_bpermute_b32 v8, v3, v9
	ds_bpermute_b32 v5, v3, v1
	;; [unrolled: 1-line block ×3, first 2 shown]
	s_waitcnt lgkmcnt(2)
	v_and_b32_e32 v3, v9, v8
	v_and_b32_e32 v3, 1, v3
	v_cmp_eq_u32_e32 vcc_lo, 1, v3
                                        ; implicit-def: $vgpr3_vgpr4
	s_and_saveexec_b32 s1, vcc_lo
	s_xor_b32 s1, exec_lo, s1
	s_cbranch_execz .LBB401_10
; %bb.9:
	s_waitcnt lgkmcnt(0)
	v_cmp_lt_i64_e32 vcc_lo, v[5:6], v[1:2]
                                        ; implicit-def: $vgpr9
                                        ; implicit-def: $vgpr8
	v_cndmask_b32_e32 v4, v2, v6, vcc_lo
	v_cndmask_b32_e32 v3, v1, v5, vcc_lo
                                        ; implicit-def: $vgpr5_vgpr6
                                        ; implicit-def: $vgpr1_vgpr2
.LBB401_10:
	s_or_saveexec_b32 s1, s1
	v_lshlrev_b32_e32 v11, 2, v7
	v_mov_b32_e32 v10, 1
	s_xor_b32 exec_lo, exec_lo, s1
	s_cbranch_execz .LBB401_12
; %bb.11:
	v_and_b32_e32 v3, 1, v9
	v_and_b32_e32 v8, 0xff, v8
	v_cmp_eq_u32_e32 vcc_lo, 1, v3
	s_waitcnt lgkmcnt(0)
	v_cndmask_b32_e32 v4, v6, v2, vcc_lo
	v_cndmask_b32_e32 v3, v5, v1, vcc_lo
	v_cndmask_b32_e64 v10, v8, 1, vcc_lo
.LBB401_12:
	s_or_b32 exec_lo, exec_lo, s1
	v_or_b32_e32 v1, 16, v11
	ds_bpermute_b32 v9, v1, v10
	s_waitcnt lgkmcnt(2)
	ds_bpermute_b32 v5, v1, v3
	s_waitcnt lgkmcnt(2)
	;; [unrolled: 2-line block ×3, first 2 shown]
	v_and_b32_e32 v1, v10, v9
	v_and_b32_e32 v1, 1, v1
	v_cmp_eq_u32_e32 vcc_lo, 1, v1
                                        ; implicit-def: $vgpr1_vgpr2
	s_and_saveexec_b32 s1, vcc_lo
	s_xor_b32 s1, exec_lo, s1
	s_cbranch_execz .LBB401_14
; %bb.13:
	s_waitcnt lgkmcnt(0)
	v_cmp_lt_i64_e32 vcc_lo, v[5:6], v[3:4]
                                        ; implicit-def: $vgpr10
                                        ; implicit-def: $vgpr9
	v_cndmask_b32_e32 v2, v4, v6, vcc_lo
	v_cndmask_b32_e32 v1, v3, v5, vcc_lo
                                        ; implicit-def: $vgpr5_vgpr6
                                        ; implicit-def: $vgpr3_vgpr4
.LBB401_14:
	s_or_saveexec_b32 s1, s1
	v_mov_b32_e32 v8, 1
	s_xor_b32 exec_lo, exec_lo, s1
	s_cbranch_execz .LBB401_16
; %bb.15:
	v_and_b32_e32 v1, 1, v10
	v_cmp_eq_u32_e32 vcc_lo, 1, v1
	s_waitcnt lgkmcnt(0)
	v_cndmask_b32_e32 v2, v6, v4, vcc_lo
	v_cndmask_b32_e32 v1, v5, v3, vcc_lo
	v_cndmask_b32_e64 v8, v9, 1, vcc_lo
.LBB401_16:
	s_or_b32 exec_lo, exec_lo, s1
.LBB401_17:
	s_or_b32 exec_lo, exec_lo, s0
	s_load_dwordx2 s[8:9], s[4:5], 0x58
	s_branch .LBB401_76
.LBB401_18:
                                        ; implicit-def: $vgpr1_vgpr2
                                        ; implicit-def: $vgpr8
	s_load_dwordx2 s[8:9], s[4:5], 0x58
	s_cbranch_execz .LBB401_76
; %bb.19:
	v_mov_b32_e32 v3, 0
	v_mov_b32_e32 v1, 0
	s_waitcnt lgkmcnt(0)
	v_mov_b32_e32 v5, 0
	v_mov_b32_e32 v4, 0
	;; [unrolled: 1-line block ×4, first 2 shown]
	s_sub_i32 s22, s12, s22
	s_mov_b32 s0, exec_lo
	v_cmpx_gt_u32_e64 s22, v0
	s_cbranch_execz .LBB401_21
; %bb.20:
	v_lshlrev_b32_e32 v1, 3, v0
	s_clause 0x1
	global_load_dwordx2 v[8:9], v1, s[2:3]
	global_load_dwordx2 v[10:11], v1, s[20:21]
	v_add_co_u32 v1, s1, s10, v0
	v_add_co_ci_u32_e64 v2, null, s11, 0, s1
	s_waitcnt vmcnt(0)
	v_cmp_ne_u64_e32 vcc_lo, v[8:9], v[10:11]
	v_cndmask_b32_e64 v6, 0, 1, vcc_lo
.LBB401_21:
	s_or_b32 exec_lo, exec_lo, s0
	v_or_b32_e32 v8, 0x100, v0
	v_cmp_gt_u32_e32 vcc_lo, s22, v8
	s_and_saveexec_b32 s1, vcc_lo
	s_cbranch_execz .LBB401_23
; %bb.22:
	v_lshlrev_b32_e32 v3, 3, v8
	s_clause 0x1
	global_load_dwordx2 v[9:10], v3, s[2:3]
	global_load_dwordx2 v[11:12], v3, s[20:21]
	v_add_co_u32 v3, s0, s10, v8
	v_add_co_ci_u32_e64 v4, null, s11, 0, s0
	s_waitcnt vmcnt(0)
	v_cmp_ne_u64_e64 s0, v[9:10], v[11:12]
	v_cndmask_b32_e64 v5, 0, 1, s0
.LBB401_23:
	s_or_b32 exec_lo, exec_lo, s1
	v_and_b32_e32 v8, 1, v5
	v_cmp_lt_i64_e64 s0, v[3:4], v[1:2]
	v_and_b32_e32 v9, 1, v6
	v_and_b32_e32 v5, 0xffff, v5
	v_and_b32_e32 v6, 0xffff, v6
	v_cmp_eq_u32_e64 s1, 1, v8
	v_cmp_eq_u32_e64 s2, 1, v9
	s_and_b32 s0, s1, s0
	s_mov_b32 s1, exec_lo
	v_cndmask_b32_e64 v8, v2, v4, s0
	v_cndmask_b32_e64 v9, v1, v3, s0
	v_cmp_ne_u32_e64 s0, 31, v7
	v_cndmask_b32_e64 v5, v5, 1, s2
	v_cndmask_b32_e64 v4, v4, v8, s2
	;; [unrolled: 1-line block ×3, first 2 shown]
	v_add_co_ci_u32_e64 v10, null, 0, v7, s0
	v_cndmask_b32_e32 v8, v6, v5, vcc_lo
	v_cndmask_b32_e32 v2, v2, v4, vcc_lo
	;; [unrolled: 1-line block ×3, first 2 shown]
	v_lshlrev_b32_e32 v9, 2, v10
	v_and_b32_e32 v5, 0xe0, v0
	s_min_u32 s0, s22, 0x100
	ds_bpermute_b32 v6, v9, v8
	ds_bpermute_b32 v3, v9, v1
	;; [unrolled: 1-line block ×3, first 2 shown]
	v_sub_nc_u32_e64 v5, s0, v5 clamp
	v_add_nc_u32_e32 v9, 1, v7
	v_cmpx_lt_u32_e64 v9, v5
	s_cbranch_execz .LBB401_29
; %bb.24:
	s_waitcnt lgkmcnt(2)
	v_and_b32_e32 v9, v8, v6
	s_mov_b32 s2, exec_lo
	v_cmpx_ne_u32_e32 0, v9
	s_xor_b32 s2, exec_lo, s2
	s_cbranch_execz .LBB401_26
; %bb.25:
	s_waitcnt lgkmcnt(0)
	v_cmp_lt_i64_e32 vcc_lo, v[3:4], v[1:2]
                                        ; implicit-def: $vgpr8
                                        ; implicit-def: $vgpr6
	v_cndmask_b32_e32 v2, v2, v4, vcc_lo
	v_cndmask_b32_e32 v1, v1, v3, vcc_lo
                                        ; implicit-def: $vgpr3_vgpr4
.LBB401_26:
	s_or_saveexec_b32 s2, s2
	v_mov_b32_e32 v9, 1
	s_xor_b32 exec_lo, exec_lo, s2
	s_cbranch_execz .LBB401_28
; %bb.27:
	v_and_b32_e32 v8, 1, v8
	v_and_b32_e32 v6, 0xff, v6
	v_cmp_eq_u32_e32 vcc_lo, 1, v8
	s_waitcnt lgkmcnt(0)
	v_cndmask_b32_e32 v2, v4, v2, vcc_lo
	v_cndmask_b32_e32 v1, v3, v1, vcc_lo
	v_cndmask_b32_e64 v9, v6, 1, vcc_lo
.LBB401_28:
	s_or_b32 exec_lo, exec_lo, s2
	v_mov_b32_e32 v8, v9
.LBB401_29:
	s_or_b32 exec_lo, exec_lo, s1
	v_cmp_gt_u32_e32 vcc_lo, 30, v7
	v_add_nc_u32_e32 v9, 2, v7
	s_mov_b32 s1, exec_lo
	s_waitcnt lgkmcnt(1)
	v_cndmask_b32_e64 v3, 0, 2, vcc_lo
	s_waitcnt lgkmcnt(0)
	v_add_lshl_u32 v4, v3, v7, 2
	ds_bpermute_b32 v6, v4, v8
	ds_bpermute_b32 v3, v4, v1
	ds_bpermute_b32 v4, v4, v2
	v_cmpx_lt_u32_e64 v9, v5
	s_cbranch_execz .LBB401_35
; %bb.30:
	s_waitcnt lgkmcnt(2)
	v_and_b32_e32 v9, v8, v6
	s_mov_b32 s2, exec_lo
	v_and_b32_e32 v9, 1, v9
	v_cmpx_eq_u32_e32 1, v9
	s_xor_b32 s2, exec_lo, s2
	s_cbranch_execz .LBB401_32
; %bb.31:
	s_waitcnt lgkmcnt(0)
	v_cmp_lt_i64_e32 vcc_lo, v[3:4], v[1:2]
                                        ; implicit-def: $vgpr8
                                        ; implicit-def: $vgpr6
	v_cndmask_b32_e32 v2, v2, v4, vcc_lo
	v_cndmask_b32_e32 v1, v1, v3, vcc_lo
                                        ; implicit-def: $vgpr3_vgpr4
.LBB401_32:
	s_or_saveexec_b32 s2, s2
	v_mov_b32_e32 v9, 1
	s_xor_b32 exec_lo, exec_lo, s2
	s_cbranch_execz .LBB401_34
; %bb.33:
	v_and_b32_e32 v8, 1, v8
	v_and_b32_e32 v6, 0xff, v6
	v_cmp_eq_u32_e32 vcc_lo, 1, v8
	s_waitcnt lgkmcnt(0)
	v_cndmask_b32_e32 v2, v4, v2, vcc_lo
	v_cndmask_b32_e32 v1, v3, v1, vcc_lo
	v_cndmask_b32_e64 v9, v6, 1, vcc_lo
.LBB401_34:
	s_or_b32 exec_lo, exec_lo, s2
	v_mov_b32_e32 v8, v9
.LBB401_35:
	s_or_b32 exec_lo, exec_lo, s1
	v_cmp_gt_u32_e32 vcc_lo, 28, v7
	v_add_nc_u32_e32 v9, 4, v7
	s_mov_b32 s1, exec_lo
	s_waitcnt lgkmcnt(1)
	v_cndmask_b32_e64 v3, 0, 4, vcc_lo
	s_waitcnt lgkmcnt(0)
	v_add_lshl_u32 v4, v3, v7, 2
	ds_bpermute_b32 v6, v4, v8
	ds_bpermute_b32 v3, v4, v1
	ds_bpermute_b32 v4, v4, v2
	v_cmpx_lt_u32_e64 v9, v5
	s_cbranch_execz .LBB401_41
; %bb.36:
	s_waitcnt lgkmcnt(2)
	v_and_b32_e32 v9, v8, v6
	s_mov_b32 s2, exec_lo
	v_and_b32_e32 v9, 1, v9
	v_cmpx_eq_u32_e32 1, v9
	s_xor_b32 s2, exec_lo, s2
	s_cbranch_execz .LBB401_38
; %bb.37:
	s_waitcnt lgkmcnt(0)
	v_cmp_lt_i64_e32 vcc_lo, v[3:4], v[1:2]
                                        ; implicit-def: $vgpr8
                                        ; implicit-def: $vgpr6
	v_cndmask_b32_e32 v2, v2, v4, vcc_lo
	v_cndmask_b32_e32 v1, v1, v3, vcc_lo
                                        ; implicit-def: $vgpr3_vgpr4
.LBB401_38:
	s_or_saveexec_b32 s2, s2
	v_mov_b32_e32 v9, 1
	s_xor_b32 exec_lo, exec_lo, s2
	s_cbranch_execz .LBB401_40
; %bb.39:
	v_and_b32_e32 v8, 1, v8
	v_and_b32_e32 v6, 0xff, v6
	v_cmp_eq_u32_e32 vcc_lo, 1, v8
	s_waitcnt lgkmcnt(0)
	v_cndmask_b32_e32 v2, v4, v2, vcc_lo
	v_cndmask_b32_e32 v1, v3, v1, vcc_lo
	v_cndmask_b32_e64 v9, v6, 1, vcc_lo
.LBB401_40:
	s_or_b32 exec_lo, exec_lo, s2
	v_mov_b32_e32 v8, v9
.LBB401_41:
	;; [unrolled: 46-line block ×3, first 2 shown]
	s_or_b32 exec_lo, exec_lo, s1
	s_waitcnt lgkmcnt(2)
	v_lshlrev_b32_e32 v6, 2, v7
	v_add_nc_u32_e32 v10, 16, v7
	s_waitcnt lgkmcnt(0)
	v_or_b32_e32 v4, 64, v6
	v_cmp_lt_u32_e32 vcc_lo, v10, v5
	v_mov_b32_e32 v5, v8
	ds_bpermute_b32 v9, v4, v8
	ds_bpermute_b32 v3, v4, v1
	;; [unrolled: 1-line block ×3, first 2 shown]
	s_and_saveexec_b32 s1, vcc_lo
	s_cbranch_execz .LBB401_53
; %bb.48:
	s_waitcnt lgkmcnt(2)
	v_and_b32_e32 v5, v8, v9
	s_mov_b32 s2, exec_lo
	v_and_b32_e32 v5, 1, v5
	v_cmpx_eq_u32_e32 1, v5
	s_xor_b32 s2, exec_lo, s2
	s_cbranch_execz .LBB401_50
; %bb.49:
	s_waitcnt lgkmcnt(0)
	v_cmp_lt_i64_e32 vcc_lo, v[3:4], v[1:2]
                                        ; implicit-def: $vgpr8
                                        ; implicit-def: $vgpr9
	v_cndmask_b32_e32 v2, v2, v4, vcc_lo
	v_cndmask_b32_e32 v1, v1, v3, vcc_lo
                                        ; implicit-def: $vgpr3_vgpr4
.LBB401_50:
	s_or_saveexec_b32 s2, s2
	v_mov_b32_e32 v5, 1
	s_xor_b32 exec_lo, exec_lo, s2
	s_cbranch_execz .LBB401_52
; %bb.51:
	v_and_b32_e32 v5, 1, v8
	v_cmp_eq_u32_e32 vcc_lo, 1, v5
	v_cndmask_b32_e64 v5, v9, 1, vcc_lo
	s_waitcnt lgkmcnt(0)
	v_cndmask_b32_e32 v2, v4, v2, vcc_lo
	v_cndmask_b32_e32 v1, v3, v1, vcc_lo
.LBB401_52:
	s_or_b32 exec_lo, exec_lo, s2
	v_and_b32_e32 v8, 0xff, v5
.LBB401_53:
	s_or_b32 exec_lo, exec_lo, s1
	s_mov_b32 s1, exec_lo
	v_cmpx_eq_u32_e32 0, v7
	s_cbranch_execz .LBB401_55
; %bb.54:
	s_waitcnt lgkmcnt(1)
	v_lshrrev_b32_e32 v3, 1, v0
	v_and_b32_e32 v3, 0x70, v3
	ds_write_b8 v3, v5 offset:128
	ds_write_b64 v3, v[1:2] offset:136
.LBB401_55:
	s_or_b32 exec_lo, exec_lo, s1
	s_mov_b32 s1, exec_lo
	s_waitcnt lgkmcnt(0)
	s_barrier
	buffer_gl0_inv
	v_cmpx_gt_u32_e32 8, v0
	s_cbranch_execz .LBB401_75
; %bb.56:
	v_lshlrev_b32_e32 v1, 4, v7
	v_and_b32_e32 v5, 7, v7
	s_add_i32 s0, s0, 31
	s_mov_b32 s2, exec_lo
	s_lshr_b32 s0, s0, 5
	ds_read_u8 v9, v1 offset:128
	ds_read_b64 v[1:2], v1 offset:136
	v_cmp_ne_u32_e32 vcc_lo, 7, v5
	v_add_nc_u32_e32 v11, 1, v5
	v_add_co_ci_u32_e64 v3, null, 0, v7, vcc_lo
	v_lshlrev_b32_e32 v4, 2, v3
	s_waitcnt lgkmcnt(1)
	v_and_b32_e32 v8, 0xff, v9
	s_waitcnt lgkmcnt(0)
	ds_bpermute_b32 v3, v4, v1
	ds_bpermute_b32 v10, v4, v8
	;; [unrolled: 1-line block ×3, first 2 shown]
	v_cmpx_gt_u32_e64 s0, v11
	s_cbranch_execz .LBB401_62
; %bb.57:
	s_waitcnt lgkmcnt(1)
	v_and_b32_e32 v8, v8, v10
	s_mov_b32 s3, exec_lo
	v_and_b32_e32 v8, 1, v8
	v_cmpx_eq_u32_e32 1, v8
	s_xor_b32 s3, exec_lo, s3
	s_cbranch_execz .LBB401_59
; %bb.58:
	s_waitcnt lgkmcnt(0)
	v_cmp_lt_i64_e32 vcc_lo, v[3:4], v[1:2]
                                        ; implicit-def: $vgpr9
                                        ; implicit-def: $vgpr10
	v_cndmask_b32_e32 v2, v2, v4, vcc_lo
	v_cndmask_b32_e32 v1, v1, v3, vcc_lo
                                        ; implicit-def: $vgpr3_vgpr4
.LBB401_59:
	s_or_saveexec_b32 s3, s3
	v_mov_b32_e32 v8, 1
	s_xor_b32 exec_lo, exec_lo, s3
	s_cbranch_execz .LBB401_61
; %bb.60:
	v_and_b32_e32 v8, 1, v9
	v_cmp_eq_u32_e32 vcc_lo, 1, v8
	v_and_b32_e32 v8, 0xff, v10
	s_waitcnt lgkmcnt(0)
	v_cndmask_b32_e32 v2, v4, v2, vcc_lo
	v_cndmask_b32_e32 v1, v3, v1, vcc_lo
	v_cndmask_b32_e64 v8, v8, 1, vcc_lo
.LBB401_61:
	s_or_b32 exec_lo, exec_lo, s3
.LBB401_62:
	s_or_b32 exec_lo, exec_lo, s2
	v_cmp_gt_u32_e32 vcc_lo, 6, v5
	v_add_nc_u32_e32 v9, 2, v5
	s_mov_b32 s2, exec_lo
	s_waitcnt lgkmcnt(2)
	v_cndmask_b32_e64 v3, 0, 2, vcc_lo
	s_waitcnt lgkmcnt(0)
	v_add_lshl_u32 v4, v3, v7, 2
	ds_bpermute_b32 v7, v4, v8
	ds_bpermute_b32 v3, v4, v1
	ds_bpermute_b32 v4, v4, v2
	v_cmpx_gt_u32_e64 s0, v9
	s_cbranch_execz .LBB401_68
; %bb.63:
	s_waitcnt lgkmcnt(2)
	v_and_b32_e32 v9, v8, v7
	s_mov_b32 s3, exec_lo
	v_and_b32_e32 v9, 1, v9
	v_cmpx_eq_u32_e32 1, v9
	s_xor_b32 s3, exec_lo, s3
	s_cbranch_execz .LBB401_65
; %bb.64:
	s_waitcnt lgkmcnt(0)
	v_cmp_lt_i64_e32 vcc_lo, v[3:4], v[1:2]
                                        ; implicit-def: $vgpr8
                                        ; implicit-def: $vgpr7
	v_cndmask_b32_e32 v2, v2, v4, vcc_lo
	v_cndmask_b32_e32 v1, v1, v3, vcc_lo
                                        ; implicit-def: $vgpr3_vgpr4
.LBB401_65:
	s_or_saveexec_b32 s3, s3
	v_mov_b32_e32 v9, 1
	s_xor_b32 exec_lo, exec_lo, s3
	s_cbranch_execz .LBB401_67
; %bb.66:
	v_and_b32_e32 v8, 1, v8
	v_and_b32_e32 v7, 0xff, v7
	v_cmp_eq_u32_e32 vcc_lo, 1, v8
	s_waitcnt lgkmcnt(0)
	v_cndmask_b32_e32 v2, v4, v2, vcc_lo
	v_cndmask_b32_e32 v1, v3, v1, vcc_lo
	v_cndmask_b32_e64 v9, v7, 1, vcc_lo
.LBB401_67:
	s_or_b32 exec_lo, exec_lo, s3
	v_mov_b32_e32 v8, v9
.LBB401_68:
	s_or_b32 exec_lo, exec_lo, s2
	s_waitcnt lgkmcnt(0)
	v_or_b32_e32 v4, 16, v6
	v_add_nc_u32_e32 v5, 4, v5
	ds_bpermute_b32 v6, v4, v8
	ds_bpermute_b32 v3, v4, v1
	;; [unrolled: 1-line block ×3, first 2 shown]
	v_cmp_gt_u32_e32 vcc_lo, s0, v5
	s_and_saveexec_b32 s0, vcc_lo
	s_cbranch_execz .LBB401_74
; %bb.69:
	s_waitcnt lgkmcnt(2)
	v_and_b32_e32 v5, v8, v6
	s_mov_b32 s2, exec_lo
	v_and_b32_e32 v5, 1, v5
	v_cmpx_eq_u32_e32 1, v5
	s_xor_b32 s2, exec_lo, s2
	s_cbranch_execz .LBB401_71
; %bb.70:
	s_waitcnt lgkmcnt(0)
	v_cmp_lt_i64_e32 vcc_lo, v[3:4], v[1:2]
                                        ; implicit-def: $vgpr8
                                        ; implicit-def: $vgpr6
	v_cndmask_b32_e32 v2, v2, v4, vcc_lo
	v_cndmask_b32_e32 v1, v1, v3, vcc_lo
                                        ; implicit-def: $vgpr3_vgpr4
.LBB401_71:
	s_or_saveexec_b32 s2, s2
	v_mov_b32_e32 v5, 1
	s_xor_b32 exec_lo, exec_lo, s2
	s_cbranch_execz .LBB401_73
; %bb.72:
	v_and_b32_e32 v5, 1, v8
	v_cmp_eq_u32_e32 vcc_lo, 1, v5
	s_waitcnt lgkmcnt(0)
	v_cndmask_b32_e32 v2, v4, v2, vcc_lo
	v_cndmask_b32_e32 v1, v3, v1, vcc_lo
	v_cndmask_b32_e64 v5, v6, 1, vcc_lo
.LBB401_73:
	s_or_b32 exec_lo, exec_lo, s2
	v_mov_b32_e32 v8, v5
.LBB401_74:
	s_or_b32 exec_lo, exec_lo, s0
.LBB401_75:
	s_or_b32 exec_lo, exec_lo, s1
.LBB401_76:
	s_load_dword s0, s[4:5], 0x50
	s_mov_b32 s1, exec_lo
	v_cmpx_eq_u32_e32 0, v0
	s_cbranch_execz .LBB401_78
; %bb.77:
	s_mul_i32 s1, s18, s17
	s_mul_hi_u32 s2, s18, s16
	s_mul_i32 s3, s19, s16
	s_add_i32 s1, s2, s1
	s_mul_i32 s2, s18, s16
	s_add_i32 s3, s1, s3
	v_mov_b32_e32 v0, 0
	s_lshl_b64 s[2:3], s[2:3], 4
	s_add_u32 s1, s14, s2
	s_addc_u32 s4, s15, s3
	s_cmp_eq_u64 s[12:13], 0
	s_cselect_b32 s5, -1, 0
	s_lshl_b64 s[2:3], s[6:7], 4
	s_waitcnt lgkmcnt(0)
	v_cndmask_b32_e64 v3, v8, s0, s5
	v_cndmask_b32_e64 v2, v2, s9, s5
	;; [unrolled: 1-line block ×3, first 2 shown]
	s_add_u32 s0, s1, s2
	s_addc_u32 s1, s4, s3
	global_store_byte v0, v3, s[0:1]
	global_store_dwordx2 v0, v[1:2], s[0:1] offset:8
.LBB401_78:
	s_endpgm
	.section	.rodata,"a",@progbits
	.p2align	6, 0x0
	.amdhsa_kernel _ZN7rocprim17ROCPRIM_400000_NS6detail17trampoline_kernelINS0_14default_configENS1_22reduce_config_selectorIN6thrust23THRUST_200600_302600_NS5tupleIblNS6_9null_typeES8_S8_S8_S8_S8_S8_S8_EEEEZNS1_11reduce_implILb1ES3_NS6_12zip_iteratorINS7_INS6_11hip_rocprim26transform_input_iterator_tIbNSD_35transform_pair_of_input_iterators_tIbNS6_6detail15normal_iteratorINS6_10device_ptrIKxEEEESL_NS6_8equal_toIxEEEENSG_9not_fun_tINSD_8identityEEEEENSD_19counting_iterator_tIlEES8_S8_S8_S8_S8_S8_S8_S8_EEEEPS9_S9_NSD_9__find_if7functorIS9_EEEE10hipError_tPvRmT1_T2_T3_mT4_P12ihipStream_tbEUlT_E0_NS1_11comp_targetILNS1_3genE8ELNS1_11target_archE1030ELNS1_3gpuE2ELNS1_3repE0EEENS1_30default_config_static_selectorELNS0_4arch9wavefront6targetE0EEEvS14_
		.amdhsa_group_segment_fixed_size 256
		.amdhsa_private_segment_fixed_size 0
		.amdhsa_kernarg_size 104
		.amdhsa_user_sgpr_count 6
		.amdhsa_user_sgpr_private_segment_buffer 1
		.amdhsa_user_sgpr_dispatch_ptr 0
		.amdhsa_user_sgpr_queue_ptr 0
		.amdhsa_user_sgpr_kernarg_segment_ptr 1
		.amdhsa_user_sgpr_dispatch_id 0
		.amdhsa_user_sgpr_flat_scratch_init 0
		.amdhsa_user_sgpr_private_segment_size 0
		.amdhsa_wavefront_size32 1
		.amdhsa_uses_dynamic_stack 0
		.amdhsa_system_sgpr_private_segment_wavefront_offset 0
		.amdhsa_system_sgpr_workgroup_id_x 1
		.amdhsa_system_sgpr_workgroup_id_y 0
		.amdhsa_system_sgpr_workgroup_id_z 0
		.amdhsa_system_sgpr_workgroup_info 0
		.amdhsa_system_vgpr_workitem_id 0
		.amdhsa_next_free_vgpr 14
		.amdhsa_next_free_sgpr 28
		.amdhsa_reserve_vcc 1
		.amdhsa_reserve_flat_scratch 0
		.amdhsa_float_round_mode_32 0
		.amdhsa_float_round_mode_16_64 0
		.amdhsa_float_denorm_mode_32 3
		.amdhsa_float_denorm_mode_16_64 3
		.amdhsa_dx10_clamp 1
		.amdhsa_ieee_mode 1
		.amdhsa_fp16_overflow 0
		.amdhsa_workgroup_processor_mode 1
		.amdhsa_memory_ordered 1
		.amdhsa_forward_progress 1
		.amdhsa_shared_vgpr_count 0
		.amdhsa_exception_fp_ieee_invalid_op 0
		.amdhsa_exception_fp_denorm_src 0
		.amdhsa_exception_fp_ieee_div_zero 0
		.amdhsa_exception_fp_ieee_overflow 0
		.amdhsa_exception_fp_ieee_underflow 0
		.amdhsa_exception_fp_ieee_inexact 0
		.amdhsa_exception_int_div_zero 0
	.end_amdhsa_kernel
	.section	.text._ZN7rocprim17ROCPRIM_400000_NS6detail17trampoline_kernelINS0_14default_configENS1_22reduce_config_selectorIN6thrust23THRUST_200600_302600_NS5tupleIblNS6_9null_typeES8_S8_S8_S8_S8_S8_S8_EEEEZNS1_11reduce_implILb1ES3_NS6_12zip_iteratorINS7_INS6_11hip_rocprim26transform_input_iterator_tIbNSD_35transform_pair_of_input_iterators_tIbNS6_6detail15normal_iteratorINS6_10device_ptrIKxEEEESL_NS6_8equal_toIxEEEENSG_9not_fun_tINSD_8identityEEEEENSD_19counting_iterator_tIlEES8_S8_S8_S8_S8_S8_S8_S8_EEEEPS9_S9_NSD_9__find_if7functorIS9_EEEE10hipError_tPvRmT1_T2_T3_mT4_P12ihipStream_tbEUlT_E0_NS1_11comp_targetILNS1_3genE8ELNS1_11target_archE1030ELNS1_3gpuE2ELNS1_3repE0EEENS1_30default_config_static_selectorELNS0_4arch9wavefront6targetE0EEEvS14_,"axG",@progbits,_ZN7rocprim17ROCPRIM_400000_NS6detail17trampoline_kernelINS0_14default_configENS1_22reduce_config_selectorIN6thrust23THRUST_200600_302600_NS5tupleIblNS6_9null_typeES8_S8_S8_S8_S8_S8_S8_EEEEZNS1_11reduce_implILb1ES3_NS6_12zip_iteratorINS7_INS6_11hip_rocprim26transform_input_iterator_tIbNSD_35transform_pair_of_input_iterators_tIbNS6_6detail15normal_iteratorINS6_10device_ptrIKxEEEESL_NS6_8equal_toIxEEEENSG_9not_fun_tINSD_8identityEEEEENSD_19counting_iterator_tIlEES8_S8_S8_S8_S8_S8_S8_S8_EEEEPS9_S9_NSD_9__find_if7functorIS9_EEEE10hipError_tPvRmT1_T2_T3_mT4_P12ihipStream_tbEUlT_E0_NS1_11comp_targetILNS1_3genE8ELNS1_11target_archE1030ELNS1_3gpuE2ELNS1_3repE0EEENS1_30default_config_static_selectorELNS0_4arch9wavefront6targetE0EEEvS14_,comdat
.Lfunc_end401:
	.size	_ZN7rocprim17ROCPRIM_400000_NS6detail17trampoline_kernelINS0_14default_configENS1_22reduce_config_selectorIN6thrust23THRUST_200600_302600_NS5tupleIblNS6_9null_typeES8_S8_S8_S8_S8_S8_S8_EEEEZNS1_11reduce_implILb1ES3_NS6_12zip_iteratorINS7_INS6_11hip_rocprim26transform_input_iterator_tIbNSD_35transform_pair_of_input_iterators_tIbNS6_6detail15normal_iteratorINS6_10device_ptrIKxEEEESL_NS6_8equal_toIxEEEENSG_9not_fun_tINSD_8identityEEEEENSD_19counting_iterator_tIlEES8_S8_S8_S8_S8_S8_S8_S8_EEEEPS9_S9_NSD_9__find_if7functorIS9_EEEE10hipError_tPvRmT1_T2_T3_mT4_P12ihipStream_tbEUlT_E0_NS1_11comp_targetILNS1_3genE8ELNS1_11target_archE1030ELNS1_3gpuE2ELNS1_3repE0EEENS1_30default_config_static_selectorELNS0_4arch9wavefront6targetE0EEEvS14_, .Lfunc_end401-_ZN7rocprim17ROCPRIM_400000_NS6detail17trampoline_kernelINS0_14default_configENS1_22reduce_config_selectorIN6thrust23THRUST_200600_302600_NS5tupleIblNS6_9null_typeES8_S8_S8_S8_S8_S8_S8_EEEEZNS1_11reduce_implILb1ES3_NS6_12zip_iteratorINS7_INS6_11hip_rocprim26transform_input_iterator_tIbNSD_35transform_pair_of_input_iterators_tIbNS6_6detail15normal_iteratorINS6_10device_ptrIKxEEEESL_NS6_8equal_toIxEEEENSG_9not_fun_tINSD_8identityEEEEENSD_19counting_iterator_tIlEES8_S8_S8_S8_S8_S8_S8_S8_EEEEPS9_S9_NSD_9__find_if7functorIS9_EEEE10hipError_tPvRmT1_T2_T3_mT4_P12ihipStream_tbEUlT_E0_NS1_11comp_targetILNS1_3genE8ELNS1_11target_archE1030ELNS1_3gpuE2ELNS1_3repE0EEENS1_30default_config_static_selectorELNS0_4arch9wavefront6targetE0EEEvS14_
                                        ; -- End function
	.set _ZN7rocprim17ROCPRIM_400000_NS6detail17trampoline_kernelINS0_14default_configENS1_22reduce_config_selectorIN6thrust23THRUST_200600_302600_NS5tupleIblNS6_9null_typeES8_S8_S8_S8_S8_S8_S8_EEEEZNS1_11reduce_implILb1ES3_NS6_12zip_iteratorINS7_INS6_11hip_rocprim26transform_input_iterator_tIbNSD_35transform_pair_of_input_iterators_tIbNS6_6detail15normal_iteratorINS6_10device_ptrIKxEEEESL_NS6_8equal_toIxEEEENSG_9not_fun_tINSD_8identityEEEEENSD_19counting_iterator_tIlEES8_S8_S8_S8_S8_S8_S8_S8_EEEEPS9_S9_NSD_9__find_if7functorIS9_EEEE10hipError_tPvRmT1_T2_T3_mT4_P12ihipStream_tbEUlT_E0_NS1_11comp_targetILNS1_3genE8ELNS1_11target_archE1030ELNS1_3gpuE2ELNS1_3repE0EEENS1_30default_config_static_selectorELNS0_4arch9wavefront6targetE0EEEvS14_.num_vgpr, 14
	.set _ZN7rocprim17ROCPRIM_400000_NS6detail17trampoline_kernelINS0_14default_configENS1_22reduce_config_selectorIN6thrust23THRUST_200600_302600_NS5tupleIblNS6_9null_typeES8_S8_S8_S8_S8_S8_S8_EEEEZNS1_11reduce_implILb1ES3_NS6_12zip_iteratorINS7_INS6_11hip_rocprim26transform_input_iterator_tIbNSD_35transform_pair_of_input_iterators_tIbNS6_6detail15normal_iteratorINS6_10device_ptrIKxEEEESL_NS6_8equal_toIxEEEENSG_9not_fun_tINSD_8identityEEEEENSD_19counting_iterator_tIlEES8_S8_S8_S8_S8_S8_S8_S8_EEEEPS9_S9_NSD_9__find_if7functorIS9_EEEE10hipError_tPvRmT1_T2_T3_mT4_P12ihipStream_tbEUlT_E0_NS1_11comp_targetILNS1_3genE8ELNS1_11target_archE1030ELNS1_3gpuE2ELNS1_3repE0EEENS1_30default_config_static_selectorELNS0_4arch9wavefront6targetE0EEEvS14_.num_agpr, 0
	.set _ZN7rocprim17ROCPRIM_400000_NS6detail17trampoline_kernelINS0_14default_configENS1_22reduce_config_selectorIN6thrust23THRUST_200600_302600_NS5tupleIblNS6_9null_typeES8_S8_S8_S8_S8_S8_S8_EEEEZNS1_11reduce_implILb1ES3_NS6_12zip_iteratorINS7_INS6_11hip_rocprim26transform_input_iterator_tIbNSD_35transform_pair_of_input_iterators_tIbNS6_6detail15normal_iteratorINS6_10device_ptrIKxEEEESL_NS6_8equal_toIxEEEENSG_9not_fun_tINSD_8identityEEEEENSD_19counting_iterator_tIlEES8_S8_S8_S8_S8_S8_S8_S8_EEEEPS9_S9_NSD_9__find_if7functorIS9_EEEE10hipError_tPvRmT1_T2_T3_mT4_P12ihipStream_tbEUlT_E0_NS1_11comp_targetILNS1_3genE8ELNS1_11target_archE1030ELNS1_3gpuE2ELNS1_3repE0EEENS1_30default_config_static_selectorELNS0_4arch9wavefront6targetE0EEEvS14_.numbered_sgpr, 28
	.set _ZN7rocprim17ROCPRIM_400000_NS6detail17trampoline_kernelINS0_14default_configENS1_22reduce_config_selectorIN6thrust23THRUST_200600_302600_NS5tupleIblNS6_9null_typeES8_S8_S8_S8_S8_S8_S8_EEEEZNS1_11reduce_implILb1ES3_NS6_12zip_iteratorINS7_INS6_11hip_rocprim26transform_input_iterator_tIbNSD_35transform_pair_of_input_iterators_tIbNS6_6detail15normal_iteratorINS6_10device_ptrIKxEEEESL_NS6_8equal_toIxEEEENSG_9not_fun_tINSD_8identityEEEEENSD_19counting_iterator_tIlEES8_S8_S8_S8_S8_S8_S8_S8_EEEEPS9_S9_NSD_9__find_if7functorIS9_EEEE10hipError_tPvRmT1_T2_T3_mT4_P12ihipStream_tbEUlT_E0_NS1_11comp_targetILNS1_3genE8ELNS1_11target_archE1030ELNS1_3gpuE2ELNS1_3repE0EEENS1_30default_config_static_selectorELNS0_4arch9wavefront6targetE0EEEvS14_.num_named_barrier, 0
	.set _ZN7rocprim17ROCPRIM_400000_NS6detail17trampoline_kernelINS0_14default_configENS1_22reduce_config_selectorIN6thrust23THRUST_200600_302600_NS5tupleIblNS6_9null_typeES8_S8_S8_S8_S8_S8_S8_EEEEZNS1_11reduce_implILb1ES3_NS6_12zip_iteratorINS7_INS6_11hip_rocprim26transform_input_iterator_tIbNSD_35transform_pair_of_input_iterators_tIbNS6_6detail15normal_iteratorINS6_10device_ptrIKxEEEESL_NS6_8equal_toIxEEEENSG_9not_fun_tINSD_8identityEEEEENSD_19counting_iterator_tIlEES8_S8_S8_S8_S8_S8_S8_S8_EEEEPS9_S9_NSD_9__find_if7functorIS9_EEEE10hipError_tPvRmT1_T2_T3_mT4_P12ihipStream_tbEUlT_E0_NS1_11comp_targetILNS1_3genE8ELNS1_11target_archE1030ELNS1_3gpuE2ELNS1_3repE0EEENS1_30default_config_static_selectorELNS0_4arch9wavefront6targetE0EEEvS14_.private_seg_size, 0
	.set _ZN7rocprim17ROCPRIM_400000_NS6detail17trampoline_kernelINS0_14default_configENS1_22reduce_config_selectorIN6thrust23THRUST_200600_302600_NS5tupleIblNS6_9null_typeES8_S8_S8_S8_S8_S8_S8_EEEEZNS1_11reduce_implILb1ES3_NS6_12zip_iteratorINS7_INS6_11hip_rocprim26transform_input_iterator_tIbNSD_35transform_pair_of_input_iterators_tIbNS6_6detail15normal_iteratorINS6_10device_ptrIKxEEEESL_NS6_8equal_toIxEEEENSG_9not_fun_tINSD_8identityEEEEENSD_19counting_iterator_tIlEES8_S8_S8_S8_S8_S8_S8_S8_EEEEPS9_S9_NSD_9__find_if7functorIS9_EEEE10hipError_tPvRmT1_T2_T3_mT4_P12ihipStream_tbEUlT_E0_NS1_11comp_targetILNS1_3genE8ELNS1_11target_archE1030ELNS1_3gpuE2ELNS1_3repE0EEENS1_30default_config_static_selectorELNS0_4arch9wavefront6targetE0EEEvS14_.uses_vcc, 1
	.set _ZN7rocprim17ROCPRIM_400000_NS6detail17trampoline_kernelINS0_14default_configENS1_22reduce_config_selectorIN6thrust23THRUST_200600_302600_NS5tupleIblNS6_9null_typeES8_S8_S8_S8_S8_S8_S8_EEEEZNS1_11reduce_implILb1ES3_NS6_12zip_iteratorINS7_INS6_11hip_rocprim26transform_input_iterator_tIbNSD_35transform_pair_of_input_iterators_tIbNS6_6detail15normal_iteratorINS6_10device_ptrIKxEEEESL_NS6_8equal_toIxEEEENSG_9not_fun_tINSD_8identityEEEEENSD_19counting_iterator_tIlEES8_S8_S8_S8_S8_S8_S8_S8_EEEEPS9_S9_NSD_9__find_if7functorIS9_EEEE10hipError_tPvRmT1_T2_T3_mT4_P12ihipStream_tbEUlT_E0_NS1_11comp_targetILNS1_3genE8ELNS1_11target_archE1030ELNS1_3gpuE2ELNS1_3repE0EEENS1_30default_config_static_selectorELNS0_4arch9wavefront6targetE0EEEvS14_.uses_flat_scratch, 0
	.set _ZN7rocprim17ROCPRIM_400000_NS6detail17trampoline_kernelINS0_14default_configENS1_22reduce_config_selectorIN6thrust23THRUST_200600_302600_NS5tupleIblNS6_9null_typeES8_S8_S8_S8_S8_S8_S8_EEEEZNS1_11reduce_implILb1ES3_NS6_12zip_iteratorINS7_INS6_11hip_rocprim26transform_input_iterator_tIbNSD_35transform_pair_of_input_iterators_tIbNS6_6detail15normal_iteratorINS6_10device_ptrIKxEEEESL_NS6_8equal_toIxEEEENSG_9not_fun_tINSD_8identityEEEEENSD_19counting_iterator_tIlEES8_S8_S8_S8_S8_S8_S8_S8_EEEEPS9_S9_NSD_9__find_if7functorIS9_EEEE10hipError_tPvRmT1_T2_T3_mT4_P12ihipStream_tbEUlT_E0_NS1_11comp_targetILNS1_3genE8ELNS1_11target_archE1030ELNS1_3gpuE2ELNS1_3repE0EEENS1_30default_config_static_selectorELNS0_4arch9wavefront6targetE0EEEvS14_.has_dyn_sized_stack, 0
	.set _ZN7rocprim17ROCPRIM_400000_NS6detail17trampoline_kernelINS0_14default_configENS1_22reduce_config_selectorIN6thrust23THRUST_200600_302600_NS5tupleIblNS6_9null_typeES8_S8_S8_S8_S8_S8_S8_EEEEZNS1_11reduce_implILb1ES3_NS6_12zip_iteratorINS7_INS6_11hip_rocprim26transform_input_iterator_tIbNSD_35transform_pair_of_input_iterators_tIbNS6_6detail15normal_iteratorINS6_10device_ptrIKxEEEESL_NS6_8equal_toIxEEEENSG_9not_fun_tINSD_8identityEEEEENSD_19counting_iterator_tIlEES8_S8_S8_S8_S8_S8_S8_S8_EEEEPS9_S9_NSD_9__find_if7functorIS9_EEEE10hipError_tPvRmT1_T2_T3_mT4_P12ihipStream_tbEUlT_E0_NS1_11comp_targetILNS1_3genE8ELNS1_11target_archE1030ELNS1_3gpuE2ELNS1_3repE0EEENS1_30default_config_static_selectorELNS0_4arch9wavefront6targetE0EEEvS14_.has_recursion, 0
	.set _ZN7rocprim17ROCPRIM_400000_NS6detail17trampoline_kernelINS0_14default_configENS1_22reduce_config_selectorIN6thrust23THRUST_200600_302600_NS5tupleIblNS6_9null_typeES8_S8_S8_S8_S8_S8_S8_EEEEZNS1_11reduce_implILb1ES3_NS6_12zip_iteratorINS7_INS6_11hip_rocprim26transform_input_iterator_tIbNSD_35transform_pair_of_input_iterators_tIbNS6_6detail15normal_iteratorINS6_10device_ptrIKxEEEESL_NS6_8equal_toIxEEEENSG_9not_fun_tINSD_8identityEEEEENSD_19counting_iterator_tIlEES8_S8_S8_S8_S8_S8_S8_S8_EEEEPS9_S9_NSD_9__find_if7functorIS9_EEEE10hipError_tPvRmT1_T2_T3_mT4_P12ihipStream_tbEUlT_E0_NS1_11comp_targetILNS1_3genE8ELNS1_11target_archE1030ELNS1_3gpuE2ELNS1_3repE0EEENS1_30default_config_static_selectorELNS0_4arch9wavefront6targetE0EEEvS14_.has_indirect_call, 0
	.section	.AMDGPU.csdata,"",@progbits
; Kernel info:
; codeLenInByte = 3248
; TotalNumSgprs: 30
; NumVgprs: 14
; ScratchSize: 0
; MemoryBound: 0
; FloatMode: 240
; IeeeMode: 1
; LDSByteSize: 256 bytes/workgroup (compile time only)
; SGPRBlocks: 0
; VGPRBlocks: 1
; NumSGPRsForWavesPerEU: 30
; NumVGPRsForWavesPerEU: 14
; Occupancy: 16
; WaveLimiterHint : 0
; COMPUTE_PGM_RSRC2:SCRATCH_EN: 0
; COMPUTE_PGM_RSRC2:USER_SGPR: 6
; COMPUTE_PGM_RSRC2:TRAP_HANDLER: 0
; COMPUTE_PGM_RSRC2:TGID_X_EN: 1
; COMPUTE_PGM_RSRC2:TGID_Y_EN: 0
; COMPUTE_PGM_RSRC2:TGID_Z_EN: 0
; COMPUTE_PGM_RSRC2:TIDIG_COMP_CNT: 0
	.section	.text._ZN7rocprim17ROCPRIM_400000_NS6detail17trampoline_kernelINS0_14default_configENS1_22reduce_config_selectorIN6thrust23THRUST_200600_302600_NS5tupleIblNS6_9null_typeES8_S8_S8_S8_S8_S8_S8_EEEEZNS1_11reduce_implILb1ES3_NS6_12zip_iteratorINS7_INS6_11hip_rocprim26transform_input_iterator_tIbNSD_35transform_pair_of_input_iterators_tIbNS6_6detail15normal_iteratorINS6_10device_ptrIKxEEEESL_NS6_8equal_toIxEEEENSG_9not_fun_tINSD_8identityEEEEENSD_19counting_iterator_tIlEES8_S8_S8_S8_S8_S8_S8_S8_EEEEPS9_S9_NSD_9__find_if7functorIS9_EEEE10hipError_tPvRmT1_T2_T3_mT4_P12ihipStream_tbEUlT_E1_NS1_11comp_targetILNS1_3genE0ELNS1_11target_archE4294967295ELNS1_3gpuE0ELNS1_3repE0EEENS1_30default_config_static_selectorELNS0_4arch9wavefront6targetE0EEEvS14_,"axG",@progbits,_ZN7rocprim17ROCPRIM_400000_NS6detail17trampoline_kernelINS0_14default_configENS1_22reduce_config_selectorIN6thrust23THRUST_200600_302600_NS5tupleIblNS6_9null_typeES8_S8_S8_S8_S8_S8_S8_EEEEZNS1_11reduce_implILb1ES3_NS6_12zip_iteratorINS7_INS6_11hip_rocprim26transform_input_iterator_tIbNSD_35transform_pair_of_input_iterators_tIbNS6_6detail15normal_iteratorINS6_10device_ptrIKxEEEESL_NS6_8equal_toIxEEEENSG_9not_fun_tINSD_8identityEEEEENSD_19counting_iterator_tIlEES8_S8_S8_S8_S8_S8_S8_S8_EEEEPS9_S9_NSD_9__find_if7functorIS9_EEEE10hipError_tPvRmT1_T2_T3_mT4_P12ihipStream_tbEUlT_E1_NS1_11comp_targetILNS1_3genE0ELNS1_11target_archE4294967295ELNS1_3gpuE0ELNS1_3repE0EEENS1_30default_config_static_selectorELNS0_4arch9wavefront6targetE0EEEvS14_,comdat
	.protected	_ZN7rocprim17ROCPRIM_400000_NS6detail17trampoline_kernelINS0_14default_configENS1_22reduce_config_selectorIN6thrust23THRUST_200600_302600_NS5tupleIblNS6_9null_typeES8_S8_S8_S8_S8_S8_S8_EEEEZNS1_11reduce_implILb1ES3_NS6_12zip_iteratorINS7_INS6_11hip_rocprim26transform_input_iterator_tIbNSD_35transform_pair_of_input_iterators_tIbNS6_6detail15normal_iteratorINS6_10device_ptrIKxEEEESL_NS6_8equal_toIxEEEENSG_9not_fun_tINSD_8identityEEEEENSD_19counting_iterator_tIlEES8_S8_S8_S8_S8_S8_S8_S8_EEEEPS9_S9_NSD_9__find_if7functorIS9_EEEE10hipError_tPvRmT1_T2_T3_mT4_P12ihipStream_tbEUlT_E1_NS1_11comp_targetILNS1_3genE0ELNS1_11target_archE4294967295ELNS1_3gpuE0ELNS1_3repE0EEENS1_30default_config_static_selectorELNS0_4arch9wavefront6targetE0EEEvS14_ ; -- Begin function _ZN7rocprim17ROCPRIM_400000_NS6detail17trampoline_kernelINS0_14default_configENS1_22reduce_config_selectorIN6thrust23THRUST_200600_302600_NS5tupleIblNS6_9null_typeES8_S8_S8_S8_S8_S8_S8_EEEEZNS1_11reduce_implILb1ES3_NS6_12zip_iteratorINS7_INS6_11hip_rocprim26transform_input_iterator_tIbNSD_35transform_pair_of_input_iterators_tIbNS6_6detail15normal_iteratorINS6_10device_ptrIKxEEEESL_NS6_8equal_toIxEEEENSG_9not_fun_tINSD_8identityEEEEENSD_19counting_iterator_tIlEES8_S8_S8_S8_S8_S8_S8_S8_EEEEPS9_S9_NSD_9__find_if7functorIS9_EEEE10hipError_tPvRmT1_T2_T3_mT4_P12ihipStream_tbEUlT_E1_NS1_11comp_targetILNS1_3genE0ELNS1_11target_archE4294967295ELNS1_3gpuE0ELNS1_3repE0EEENS1_30default_config_static_selectorELNS0_4arch9wavefront6targetE0EEEvS14_
	.globl	_ZN7rocprim17ROCPRIM_400000_NS6detail17trampoline_kernelINS0_14default_configENS1_22reduce_config_selectorIN6thrust23THRUST_200600_302600_NS5tupleIblNS6_9null_typeES8_S8_S8_S8_S8_S8_S8_EEEEZNS1_11reduce_implILb1ES3_NS6_12zip_iteratorINS7_INS6_11hip_rocprim26transform_input_iterator_tIbNSD_35transform_pair_of_input_iterators_tIbNS6_6detail15normal_iteratorINS6_10device_ptrIKxEEEESL_NS6_8equal_toIxEEEENSG_9not_fun_tINSD_8identityEEEEENSD_19counting_iterator_tIlEES8_S8_S8_S8_S8_S8_S8_S8_EEEEPS9_S9_NSD_9__find_if7functorIS9_EEEE10hipError_tPvRmT1_T2_T3_mT4_P12ihipStream_tbEUlT_E1_NS1_11comp_targetILNS1_3genE0ELNS1_11target_archE4294967295ELNS1_3gpuE0ELNS1_3repE0EEENS1_30default_config_static_selectorELNS0_4arch9wavefront6targetE0EEEvS14_
	.p2align	8
	.type	_ZN7rocprim17ROCPRIM_400000_NS6detail17trampoline_kernelINS0_14default_configENS1_22reduce_config_selectorIN6thrust23THRUST_200600_302600_NS5tupleIblNS6_9null_typeES8_S8_S8_S8_S8_S8_S8_EEEEZNS1_11reduce_implILb1ES3_NS6_12zip_iteratorINS7_INS6_11hip_rocprim26transform_input_iterator_tIbNSD_35transform_pair_of_input_iterators_tIbNS6_6detail15normal_iteratorINS6_10device_ptrIKxEEEESL_NS6_8equal_toIxEEEENSG_9not_fun_tINSD_8identityEEEEENSD_19counting_iterator_tIlEES8_S8_S8_S8_S8_S8_S8_S8_EEEEPS9_S9_NSD_9__find_if7functorIS9_EEEE10hipError_tPvRmT1_T2_T3_mT4_P12ihipStream_tbEUlT_E1_NS1_11comp_targetILNS1_3genE0ELNS1_11target_archE4294967295ELNS1_3gpuE0ELNS1_3repE0EEENS1_30default_config_static_selectorELNS0_4arch9wavefront6targetE0EEEvS14_,@function
_ZN7rocprim17ROCPRIM_400000_NS6detail17trampoline_kernelINS0_14default_configENS1_22reduce_config_selectorIN6thrust23THRUST_200600_302600_NS5tupleIblNS6_9null_typeES8_S8_S8_S8_S8_S8_S8_EEEEZNS1_11reduce_implILb1ES3_NS6_12zip_iteratorINS7_INS6_11hip_rocprim26transform_input_iterator_tIbNSD_35transform_pair_of_input_iterators_tIbNS6_6detail15normal_iteratorINS6_10device_ptrIKxEEEESL_NS6_8equal_toIxEEEENSG_9not_fun_tINSD_8identityEEEEENSD_19counting_iterator_tIlEES8_S8_S8_S8_S8_S8_S8_S8_EEEEPS9_S9_NSD_9__find_if7functorIS9_EEEE10hipError_tPvRmT1_T2_T3_mT4_P12ihipStream_tbEUlT_E1_NS1_11comp_targetILNS1_3genE0ELNS1_11target_archE4294967295ELNS1_3gpuE0ELNS1_3repE0EEENS1_30default_config_static_selectorELNS0_4arch9wavefront6targetE0EEEvS14_: ; @_ZN7rocprim17ROCPRIM_400000_NS6detail17trampoline_kernelINS0_14default_configENS1_22reduce_config_selectorIN6thrust23THRUST_200600_302600_NS5tupleIblNS6_9null_typeES8_S8_S8_S8_S8_S8_S8_EEEEZNS1_11reduce_implILb1ES3_NS6_12zip_iteratorINS7_INS6_11hip_rocprim26transform_input_iterator_tIbNSD_35transform_pair_of_input_iterators_tIbNS6_6detail15normal_iteratorINS6_10device_ptrIKxEEEESL_NS6_8equal_toIxEEEENSG_9not_fun_tINSD_8identityEEEEENSD_19counting_iterator_tIlEES8_S8_S8_S8_S8_S8_S8_S8_EEEEPS9_S9_NSD_9__find_if7functorIS9_EEEE10hipError_tPvRmT1_T2_T3_mT4_P12ihipStream_tbEUlT_E1_NS1_11comp_targetILNS1_3genE0ELNS1_11target_archE4294967295ELNS1_3gpuE0ELNS1_3repE0EEENS1_30default_config_static_selectorELNS0_4arch9wavefront6targetE0EEEvS14_
; %bb.0:
	.section	.rodata,"a",@progbits
	.p2align	6, 0x0
	.amdhsa_kernel _ZN7rocprim17ROCPRIM_400000_NS6detail17trampoline_kernelINS0_14default_configENS1_22reduce_config_selectorIN6thrust23THRUST_200600_302600_NS5tupleIblNS6_9null_typeES8_S8_S8_S8_S8_S8_S8_EEEEZNS1_11reduce_implILb1ES3_NS6_12zip_iteratorINS7_INS6_11hip_rocprim26transform_input_iterator_tIbNSD_35transform_pair_of_input_iterators_tIbNS6_6detail15normal_iteratorINS6_10device_ptrIKxEEEESL_NS6_8equal_toIxEEEENSG_9not_fun_tINSD_8identityEEEEENSD_19counting_iterator_tIlEES8_S8_S8_S8_S8_S8_S8_S8_EEEEPS9_S9_NSD_9__find_if7functorIS9_EEEE10hipError_tPvRmT1_T2_T3_mT4_P12ihipStream_tbEUlT_E1_NS1_11comp_targetILNS1_3genE0ELNS1_11target_archE4294967295ELNS1_3gpuE0ELNS1_3repE0EEENS1_30default_config_static_selectorELNS0_4arch9wavefront6targetE0EEEvS14_
		.amdhsa_group_segment_fixed_size 0
		.amdhsa_private_segment_fixed_size 0
		.amdhsa_kernarg_size 88
		.amdhsa_user_sgpr_count 6
		.amdhsa_user_sgpr_private_segment_buffer 1
		.amdhsa_user_sgpr_dispatch_ptr 0
		.amdhsa_user_sgpr_queue_ptr 0
		.amdhsa_user_sgpr_kernarg_segment_ptr 1
		.amdhsa_user_sgpr_dispatch_id 0
		.amdhsa_user_sgpr_flat_scratch_init 0
		.amdhsa_user_sgpr_private_segment_size 0
		.amdhsa_wavefront_size32 1
		.amdhsa_uses_dynamic_stack 0
		.amdhsa_system_sgpr_private_segment_wavefront_offset 0
		.amdhsa_system_sgpr_workgroup_id_x 1
		.amdhsa_system_sgpr_workgroup_id_y 0
		.amdhsa_system_sgpr_workgroup_id_z 0
		.amdhsa_system_sgpr_workgroup_info 0
		.amdhsa_system_vgpr_workitem_id 0
		.amdhsa_next_free_vgpr 1
		.amdhsa_next_free_sgpr 1
		.amdhsa_reserve_vcc 0
		.amdhsa_reserve_flat_scratch 0
		.amdhsa_float_round_mode_32 0
		.amdhsa_float_round_mode_16_64 0
		.amdhsa_float_denorm_mode_32 3
		.amdhsa_float_denorm_mode_16_64 3
		.amdhsa_dx10_clamp 1
		.amdhsa_ieee_mode 1
		.amdhsa_fp16_overflow 0
		.amdhsa_workgroup_processor_mode 1
		.amdhsa_memory_ordered 1
		.amdhsa_forward_progress 1
		.amdhsa_shared_vgpr_count 0
		.amdhsa_exception_fp_ieee_invalid_op 0
		.amdhsa_exception_fp_denorm_src 0
		.amdhsa_exception_fp_ieee_div_zero 0
		.amdhsa_exception_fp_ieee_overflow 0
		.amdhsa_exception_fp_ieee_underflow 0
		.amdhsa_exception_fp_ieee_inexact 0
		.amdhsa_exception_int_div_zero 0
	.end_amdhsa_kernel
	.section	.text._ZN7rocprim17ROCPRIM_400000_NS6detail17trampoline_kernelINS0_14default_configENS1_22reduce_config_selectorIN6thrust23THRUST_200600_302600_NS5tupleIblNS6_9null_typeES8_S8_S8_S8_S8_S8_S8_EEEEZNS1_11reduce_implILb1ES3_NS6_12zip_iteratorINS7_INS6_11hip_rocprim26transform_input_iterator_tIbNSD_35transform_pair_of_input_iterators_tIbNS6_6detail15normal_iteratorINS6_10device_ptrIKxEEEESL_NS6_8equal_toIxEEEENSG_9not_fun_tINSD_8identityEEEEENSD_19counting_iterator_tIlEES8_S8_S8_S8_S8_S8_S8_S8_EEEEPS9_S9_NSD_9__find_if7functorIS9_EEEE10hipError_tPvRmT1_T2_T3_mT4_P12ihipStream_tbEUlT_E1_NS1_11comp_targetILNS1_3genE0ELNS1_11target_archE4294967295ELNS1_3gpuE0ELNS1_3repE0EEENS1_30default_config_static_selectorELNS0_4arch9wavefront6targetE0EEEvS14_,"axG",@progbits,_ZN7rocprim17ROCPRIM_400000_NS6detail17trampoline_kernelINS0_14default_configENS1_22reduce_config_selectorIN6thrust23THRUST_200600_302600_NS5tupleIblNS6_9null_typeES8_S8_S8_S8_S8_S8_S8_EEEEZNS1_11reduce_implILb1ES3_NS6_12zip_iteratorINS7_INS6_11hip_rocprim26transform_input_iterator_tIbNSD_35transform_pair_of_input_iterators_tIbNS6_6detail15normal_iteratorINS6_10device_ptrIKxEEEESL_NS6_8equal_toIxEEEENSG_9not_fun_tINSD_8identityEEEEENSD_19counting_iterator_tIlEES8_S8_S8_S8_S8_S8_S8_S8_EEEEPS9_S9_NSD_9__find_if7functorIS9_EEEE10hipError_tPvRmT1_T2_T3_mT4_P12ihipStream_tbEUlT_E1_NS1_11comp_targetILNS1_3genE0ELNS1_11target_archE4294967295ELNS1_3gpuE0ELNS1_3repE0EEENS1_30default_config_static_selectorELNS0_4arch9wavefront6targetE0EEEvS14_,comdat
.Lfunc_end402:
	.size	_ZN7rocprim17ROCPRIM_400000_NS6detail17trampoline_kernelINS0_14default_configENS1_22reduce_config_selectorIN6thrust23THRUST_200600_302600_NS5tupleIblNS6_9null_typeES8_S8_S8_S8_S8_S8_S8_EEEEZNS1_11reduce_implILb1ES3_NS6_12zip_iteratorINS7_INS6_11hip_rocprim26transform_input_iterator_tIbNSD_35transform_pair_of_input_iterators_tIbNS6_6detail15normal_iteratorINS6_10device_ptrIKxEEEESL_NS6_8equal_toIxEEEENSG_9not_fun_tINSD_8identityEEEEENSD_19counting_iterator_tIlEES8_S8_S8_S8_S8_S8_S8_S8_EEEEPS9_S9_NSD_9__find_if7functorIS9_EEEE10hipError_tPvRmT1_T2_T3_mT4_P12ihipStream_tbEUlT_E1_NS1_11comp_targetILNS1_3genE0ELNS1_11target_archE4294967295ELNS1_3gpuE0ELNS1_3repE0EEENS1_30default_config_static_selectorELNS0_4arch9wavefront6targetE0EEEvS14_, .Lfunc_end402-_ZN7rocprim17ROCPRIM_400000_NS6detail17trampoline_kernelINS0_14default_configENS1_22reduce_config_selectorIN6thrust23THRUST_200600_302600_NS5tupleIblNS6_9null_typeES8_S8_S8_S8_S8_S8_S8_EEEEZNS1_11reduce_implILb1ES3_NS6_12zip_iteratorINS7_INS6_11hip_rocprim26transform_input_iterator_tIbNSD_35transform_pair_of_input_iterators_tIbNS6_6detail15normal_iteratorINS6_10device_ptrIKxEEEESL_NS6_8equal_toIxEEEENSG_9not_fun_tINSD_8identityEEEEENSD_19counting_iterator_tIlEES8_S8_S8_S8_S8_S8_S8_S8_EEEEPS9_S9_NSD_9__find_if7functorIS9_EEEE10hipError_tPvRmT1_T2_T3_mT4_P12ihipStream_tbEUlT_E1_NS1_11comp_targetILNS1_3genE0ELNS1_11target_archE4294967295ELNS1_3gpuE0ELNS1_3repE0EEENS1_30default_config_static_selectorELNS0_4arch9wavefront6targetE0EEEvS14_
                                        ; -- End function
	.set _ZN7rocprim17ROCPRIM_400000_NS6detail17trampoline_kernelINS0_14default_configENS1_22reduce_config_selectorIN6thrust23THRUST_200600_302600_NS5tupleIblNS6_9null_typeES8_S8_S8_S8_S8_S8_S8_EEEEZNS1_11reduce_implILb1ES3_NS6_12zip_iteratorINS7_INS6_11hip_rocprim26transform_input_iterator_tIbNSD_35transform_pair_of_input_iterators_tIbNS6_6detail15normal_iteratorINS6_10device_ptrIKxEEEESL_NS6_8equal_toIxEEEENSG_9not_fun_tINSD_8identityEEEEENSD_19counting_iterator_tIlEES8_S8_S8_S8_S8_S8_S8_S8_EEEEPS9_S9_NSD_9__find_if7functorIS9_EEEE10hipError_tPvRmT1_T2_T3_mT4_P12ihipStream_tbEUlT_E1_NS1_11comp_targetILNS1_3genE0ELNS1_11target_archE4294967295ELNS1_3gpuE0ELNS1_3repE0EEENS1_30default_config_static_selectorELNS0_4arch9wavefront6targetE0EEEvS14_.num_vgpr, 0
	.set _ZN7rocprim17ROCPRIM_400000_NS6detail17trampoline_kernelINS0_14default_configENS1_22reduce_config_selectorIN6thrust23THRUST_200600_302600_NS5tupleIblNS6_9null_typeES8_S8_S8_S8_S8_S8_S8_EEEEZNS1_11reduce_implILb1ES3_NS6_12zip_iteratorINS7_INS6_11hip_rocprim26transform_input_iterator_tIbNSD_35transform_pair_of_input_iterators_tIbNS6_6detail15normal_iteratorINS6_10device_ptrIKxEEEESL_NS6_8equal_toIxEEEENSG_9not_fun_tINSD_8identityEEEEENSD_19counting_iterator_tIlEES8_S8_S8_S8_S8_S8_S8_S8_EEEEPS9_S9_NSD_9__find_if7functorIS9_EEEE10hipError_tPvRmT1_T2_T3_mT4_P12ihipStream_tbEUlT_E1_NS1_11comp_targetILNS1_3genE0ELNS1_11target_archE4294967295ELNS1_3gpuE0ELNS1_3repE0EEENS1_30default_config_static_selectorELNS0_4arch9wavefront6targetE0EEEvS14_.num_agpr, 0
	.set _ZN7rocprim17ROCPRIM_400000_NS6detail17trampoline_kernelINS0_14default_configENS1_22reduce_config_selectorIN6thrust23THRUST_200600_302600_NS5tupleIblNS6_9null_typeES8_S8_S8_S8_S8_S8_S8_EEEEZNS1_11reduce_implILb1ES3_NS6_12zip_iteratorINS7_INS6_11hip_rocprim26transform_input_iterator_tIbNSD_35transform_pair_of_input_iterators_tIbNS6_6detail15normal_iteratorINS6_10device_ptrIKxEEEESL_NS6_8equal_toIxEEEENSG_9not_fun_tINSD_8identityEEEEENSD_19counting_iterator_tIlEES8_S8_S8_S8_S8_S8_S8_S8_EEEEPS9_S9_NSD_9__find_if7functorIS9_EEEE10hipError_tPvRmT1_T2_T3_mT4_P12ihipStream_tbEUlT_E1_NS1_11comp_targetILNS1_3genE0ELNS1_11target_archE4294967295ELNS1_3gpuE0ELNS1_3repE0EEENS1_30default_config_static_selectorELNS0_4arch9wavefront6targetE0EEEvS14_.numbered_sgpr, 0
	.set _ZN7rocprim17ROCPRIM_400000_NS6detail17trampoline_kernelINS0_14default_configENS1_22reduce_config_selectorIN6thrust23THRUST_200600_302600_NS5tupleIblNS6_9null_typeES8_S8_S8_S8_S8_S8_S8_EEEEZNS1_11reduce_implILb1ES3_NS6_12zip_iteratorINS7_INS6_11hip_rocprim26transform_input_iterator_tIbNSD_35transform_pair_of_input_iterators_tIbNS6_6detail15normal_iteratorINS6_10device_ptrIKxEEEESL_NS6_8equal_toIxEEEENSG_9not_fun_tINSD_8identityEEEEENSD_19counting_iterator_tIlEES8_S8_S8_S8_S8_S8_S8_S8_EEEEPS9_S9_NSD_9__find_if7functorIS9_EEEE10hipError_tPvRmT1_T2_T3_mT4_P12ihipStream_tbEUlT_E1_NS1_11comp_targetILNS1_3genE0ELNS1_11target_archE4294967295ELNS1_3gpuE0ELNS1_3repE0EEENS1_30default_config_static_selectorELNS0_4arch9wavefront6targetE0EEEvS14_.num_named_barrier, 0
	.set _ZN7rocprim17ROCPRIM_400000_NS6detail17trampoline_kernelINS0_14default_configENS1_22reduce_config_selectorIN6thrust23THRUST_200600_302600_NS5tupleIblNS6_9null_typeES8_S8_S8_S8_S8_S8_S8_EEEEZNS1_11reduce_implILb1ES3_NS6_12zip_iteratorINS7_INS6_11hip_rocprim26transform_input_iterator_tIbNSD_35transform_pair_of_input_iterators_tIbNS6_6detail15normal_iteratorINS6_10device_ptrIKxEEEESL_NS6_8equal_toIxEEEENSG_9not_fun_tINSD_8identityEEEEENSD_19counting_iterator_tIlEES8_S8_S8_S8_S8_S8_S8_S8_EEEEPS9_S9_NSD_9__find_if7functorIS9_EEEE10hipError_tPvRmT1_T2_T3_mT4_P12ihipStream_tbEUlT_E1_NS1_11comp_targetILNS1_3genE0ELNS1_11target_archE4294967295ELNS1_3gpuE0ELNS1_3repE0EEENS1_30default_config_static_selectorELNS0_4arch9wavefront6targetE0EEEvS14_.private_seg_size, 0
	.set _ZN7rocprim17ROCPRIM_400000_NS6detail17trampoline_kernelINS0_14default_configENS1_22reduce_config_selectorIN6thrust23THRUST_200600_302600_NS5tupleIblNS6_9null_typeES8_S8_S8_S8_S8_S8_S8_EEEEZNS1_11reduce_implILb1ES3_NS6_12zip_iteratorINS7_INS6_11hip_rocprim26transform_input_iterator_tIbNSD_35transform_pair_of_input_iterators_tIbNS6_6detail15normal_iteratorINS6_10device_ptrIKxEEEESL_NS6_8equal_toIxEEEENSG_9not_fun_tINSD_8identityEEEEENSD_19counting_iterator_tIlEES8_S8_S8_S8_S8_S8_S8_S8_EEEEPS9_S9_NSD_9__find_if7functorIS9_EEEE10hipError_tPvRmT1_T2_T3_mT4_P12ihipStream_tbEUlT_E1_NS1_11comp_targetILNS1_3genE0ELNS1_11target_archE4294967295ELNS1_3gpuE0ELNS1_3repE0EEENS1_30default_config_static_selectorELNS0_4arch9wavefront6targetE0EEEvS14_.uses_vcc, 0
	.set _ZN7rocprim17ROCPRIM_400000_NS6detail17trampoline_kernelINS0_14default_configENS1_22reduce_config_selectorIN6thrust23THRUST_200600_302600_NS5tupleIblNS6_9null_typeES8_S8_S8_S8_S8_S8_S8_EEEEZNS1_11reduce_implILb1ES3_NS6_12zip_iteratorINS7_INS6_11hip_rocprim26transform_input_iterator_tIbNSD_35transform_pair_of_input_iterators_tIbNS6_6detail15normal_iteratorINS6_10device_ptrIKxEEEESL_NS6_8equal_toIxEEEENSG_9not_fun_tINSD_8identityEEEEENSD_19counting_iterator_tIlEES8_S8_S8_S8_S8_S8_S8_S8_EEEEPS9_S9_NSD_9__find_if7functorIS9_EEEE10hipError_tPvRmT1_T2_T3_mT4_P12ihipStream_tbEUlT_E1_NS1_11comp_targetILNS1_3genE0ELNS1_11target_archE4294967295ELNS1_3gpuE0ELNS1_3repE0EEENS1_30default_config_static_selectorELNS0_4arch9wavefront6targetE0EEEvS14_.uses_flat_scratch, 0
	.set _ZN7rocprim17ROCPRIM_400000_NS6detail17trampoline_kernelINS0_14default_configENS1_22reduce_config_selectorIN6thrust23THRUST_200600_302600_NS5tupleIblNS6_9null_typeES8_S8_S8_S8_S8_S8_S8_EEEEZNS1_11reduce_implILb1ES3_NS6_12zip_iteratorINS7_INS6_11hip_rocprim26transform_input_iterator_tIbNSD_35transform_pair_of_input_iterators_tIbNS6_6detail15normal_iteratorINS6_10device_ptrIKxEEEESL_NS6_8equal_toIxEEEENSG_9not_fun_tINSD_8identityEEEEENSD_19counting_iterator_tIlEES8_S8_S8_S8_S8_S8_S8_S8_EEEEPS9_S9_NSD_9__find_if7functorIS9_EEEE10hipError_tPvRmT1_T2_T3_mT4_P12ihipStream_tbEUlT_E1_NS1_11comp_targetILNS1_3genE0ELNS1_11target_archE4294967295ELNS1_3gpuE0ELNS1_3repE0EEENS1_30default_config_static_selectorELNS0_4arch9wavefront6targetE0EEEvS14_.has_dyn_sized_stack, 0
	.set _ZN7rocprim17ROCPRIM_400000_NS6detail17trampoline_kernelINS0_14default_configENS1_22reduce_config_selectorIN6thrust23THRUST_200600_302600_NS5tupleIblNS6_9null_typeES8_S8_S8_S8_S8_S8_S8_EEEEZNS1_11reduce_implILb1ES3_NS6_12zip_iteratorINS7_INS6_11hip_rocprim26transform_input_iterator_tIbNSD_35transform_pair_of_input_iterators_tIbNS6_6detail15normal_iteratorINS6_10device_ptrIKxEEEESL_NS6_8equal_toIxEEEENSG_9not_fun_tINSD_8identityEEEEENSD_19counting_iterator_tIlEES8_S8_S8_S8_S8_S8_S8_S8_EEEEPS9_S9_NSD_9__find_if7functorIS9_EEEE10hipError_tPvRmT1_T2_T3_mT4_P12ihipStream_tbEUlT_E1_NS1_11comp_targetILNS1_3genE0ELNS1_11target_archE4294967295ELNS1_3gpuE0ELNS1_3repE0EEENS1_30default_config_static_selectorELNS0_4arch9wavefront6targetE0EEEvS14_.has_recursion, 0
	.set _ZN7rocprim17ROCPRIM_400000_NS6detail17trampoline_kernelINS0_14default_configENS1_22reduce_config_selectorIN6thrust23THRUST_200600_302600_NS5tupleIblNS6_9null_typeES8_S8_S8_S8_S8_S8_S8_EEEEZNS1_11reduce_implILb1ES3_NS6_12zip_iteratorINS7_INS6_11hip_rocprim26transform_input_iterator_tIbNSD_35transform_pair_of_input_iterators_tIbNS6_6detail15normal_iteratorINS6_10device_ptrIKxEEEESL_NS6_8equal_toIxEEEENSG_9not_fun_tINSD_8identityEEEEENSD_19counting_iterator_tIlEES8_S8_S8_S8_S8_S8_S8_S8_EEEEPS9_S9_NSD_9__find_if7functorIS9_EEEE10hipError_tPvRmT1_T2_T3_mT4_P12ihipStream_tbEUlT_E1_NS1_11comp_targetILNS1_3genE0ELNS1_11target_archE4294967295ELNS1_3gpuE0ELNS1_3repE0EEENS1_30default_config_static_selectorELNS0_4arch9wavefront6targetE0EEEvS14_.has_indirect_call, 0
	.section	.AMDGPU.csdata,"",@progbits
; Kernel info:
; codeLenInByte = 0
; TotalNumSgprs: 0
; NumVgprs: 0
; ScratchSize: 0
; MemoryBound: 0
; FloatMode: 240
; IeeeMode: 1
; LDSByteSize: 0 bytes/workgroup (compile time only)
; SGPRBlocks: 0
; VGPRBlocks: 0
; NumSGPRsForWavesPerEU: 1
; NumVGPRsForWavesPerEU: 1
; Occupancy: 16
; WaveLimiterHint : 0
; COMPUTE_PGM_RSRC2:SCRATCH_EN: 0
; COMPUTE_PGM_RSRC2:USER_SGPR: 6
; COMPUTE_PGM_RSRC2:TRAP_HANDLER: 0
; COMPUTE_PGM_RSRC2:TGID_X_EN: 1
; COMPUTE_PGM_RSRC2:TGID_Y_EN: 0
; COMPUTE_PGM_RSRC2:TGID_Z_EN: 0
; COMPUTE_PGM_RSRC2:TIDIG_COMP_CNT: 0
	.section	.text._ZN7rocprim17ROCPRIM_400000_NS6detail17trampoline_kernelINS0_14default_configENS1_22reduce_config_selectorIN6thrust23THRUST_200600_302600_NS5tupleIblNS6_9null_typeES8_S8_S8_S8_S8_S8_S8_EEEEZNS1_11reduce_implILb1ES3_NS6_12zip_iteratorINS7_INS6_11hip_rocprim26transform_input_iterator_tIbNSD_35transform_pair_of_input_iterators_tIbNS6_6detail15normal_iteratorINS6_10device_ptrIKxEEEESL_NS6_8equal_toIxEEEENSG_9not_fun_tINSD_8identityEEEEENSD_19counting_iterator_tIlEES8_S8_S8_S8_S8_S8_S8_S8_EEEEPS9_S9_NSD_9__find_if7functorIS9_EEEE10hipError_tPvRmT1_T2_T3_mT4_P12ihipStream_tbEUlT_E1_NS1_11comp_targetILNS1_3genE5ELNS1_11target_archE942ELNS1_3gpuE9ELNS1_3repE0EEENS1_30default_config_static_selectorELNS0_4arch9wavefront6targetE0EEEvS14_,"axG",@progbits,_ZN7rocprim17ROCPRIM_400000_NS6detail17trampoline_kernelINS0_14default_configENS1_22reduce_config_selectorIN6thrust23THRUST_200600_302600_NS5tupleIblNS6_9null_typeES8_S8_S8_S8_S8_S8_S8_EEEEZNS1_11reduce_implILb1ES3_NS6_12zip_iteratorINS7_INS6_11hip_rocprim26transform_input_iterator_tIbNSD_35transform_pair_of_input_iterators_tIbNS6_6detail15normal_iteratorINS6_10device_ptrIKxEEEESL_NS6_8equal_toIxEEEENSG_9not_fun_tINSD_8identityEEEEENSD_19counting_iterator_tIlEES8_S8_S8_S8_S8_S8_S8_S8_EEEEPS9_S9_NSD_9__find_if7functorIS9_EEEE10hipError_tPvRmT1_T2_T3_mT4_P12ihipStream_tbEUlT_E1_NS1_11comp_targetILNS1_3genE5ELNS1_11target_archE942ELNS1_3gpuE9ELNS1_3repE0EEENS1_30default_config_static_selectorELNS0_4arch9wavefront6targetE0EEEvS14_,comdat
	.protected	_ZN7rocprim17ROCPRIM_400000_NS6detail17trampoline_kernelINS0_14default_configENS1_22reduce_config_selectorIN6thrust23THRUST_200600_302600_NS5tupleIblNS6_9null_typeES8_S8_S8_S8_S8_S8_S8_EEEEZNS1_11reduce_implILb1ES3_NS6_12zip_iteratorINS7_INS6_11hip_rocprim26transform_input_iterator_tIbNSD_35transform_pair_of_input_iterators_tIbNS6_6detail15normal_iteratorINS6_10device_ptrIKxEEEESL_NS6_8equal_toIxEEEENSG_9not_fun_tINSD_8identityEEEEENSD_19counting_iterator_tIlEES8_S8_S8_S8_S8_S8_S8_S8_EEEEPS9_S9_NSD_9__find_if7functorIS9_EEEE10hipError_tPvRmT1_T2_T3_mT4_P12ihipStream_tbEUlT_E1_NS1_11comp_targetILNS1_3genE5ELNS1_11target_archE942ELNS1_3gpuE9ELNS1_3repE0EEENS1_30default_config_static_selectorELNS0_4arch9wavefront6targetE0EEEvS14_ ; -- Begin function _ZN7rocprim17ROCPRIM_400000_NS6detail17trampoline_kernelINS0_14default_configENS1_22reduce_config_selectorIN6thrust23THRUST_200600_302600_NS5tupleIblNS6_9null_typeES8_S8_S8_S8_S8_S8_S8_EEEEZNS1_11reduce_implILb1ES3_NS6_12zip_iteratorINS7_INS6_11hip_rocprim26transform_input_iterator_tIbNSD_35transform_pair_of_input_iterators_tIbNS6_6detail15normal_iteratorINS6_10device_ptrIKxEEEESL_NS6_8equal_toIxEEEENSG_9not_fun_tINSD_8identityEEEEENSD_19counting_iterator_tIlEES8_S8_S8_S8_S8_S8_S8_S8_EEEEPS9_S9_NSD_9__find_if7functorIS9_EEEE10hipError_tPvRmT1_T2_T3_mT4_P12ihipStream_tbEUlT_E1_NS1_11comp_targetILNS1_3genE5ELNS1_11target_archE942ELNS1_3gpuE9ELNS1_3repE0EEENS1_30default_config_static_selectorELNS0_4arch9wavefront6targetE0EEEvS14_
	.globl	_ZN7rocprim17ROCPRIM_400000_NS6detail17trampoline_kernelINS0_14default_configENS1_22reduce_config_selectorIN6thrust23THRUST_200600_302600_NS5tupleIblNS6_9null_typeES8_S8_S8_S8_S8_S8_S8_EEEEZNS1_11reduce_implILb1ES3_NS6_12zip_iteratorINS7_INS6_11hip_rocprim26transform_input_iterator_tIbNSD_35transform_pair_of_input_iterators_tIbNS6_6detail15normal_iteratorINS6_10device_ptrIKxEEEESL_NS6_8equal_toIxEEEENSG_9not_fun_tINSD_8identityEEEEENSD_19counting_iterator_tIlEES8_S8_S8_S8_S8_S8_S8_S8_EEEEPS9_S9_NSD_9__find_if7functorIS9_EEEE10hipError_tPvRmT1_T2_T3_mT4_P12ihipStream_tbEUlT_E1_NS1_11comp_targetILNS1_3genE5ELNS1_11target_archE942ELNS1_3gpuE9ELNS1_3repE0EEENS1_30default_config_static_selectorELNS0_4arch9wavefront6targetE0EEEvS14_
	.p2align	8
	.type	_ZN7rocprim17ROCPRIM_400000_NS6detail17trampoline_kernelINS0_14default_configENS1_22reduce_config_selectorIN6thrust23THRUST_200600_302600_NS5tupleIblNS6_9null_typeES8_S8_S8_S8_S8_S8_S8_EEEEZNS1_11reduce_implILb1ES3_NS6_12zip_iteratorINS7_INS6_11hip_rocprim26transform_input_iterator_tIbNSD_35transform_pair_of_input_iterators_tIbNS6_6detail15normal_iteratorINS6_10device_ptrIKxEEEESL_NS6_8equal_toIxEEEENSG_9not_fun_tINSD_8identityEEEEENSD_19counting_iterator_tIlEES8_S8_S8_S8_S8_S8_S8_S8_EEEEPS9_S9_NSD_9__find_if7functorIS9_EEEE10hipError_tPvRmT1_T2_T3_mT4_P12ihipStream_tbEUlT_E1_NS1_11comp_targetILNS1_3genE5ELNS1_11target_archE942ELNS1_3gpuE9ELNS1_3repE0EEENS1_30default_config_static_selectorELNS0_4arch9wavefront6targetE0EEEvS14_,@function
_ZN7rocprim17ROCPRIM_400000_NS6detail17trampoline_kernelINS0_14default_configENS1_22reduce_config_selectorIN6thrust23THRUST_200600_302600_NS5tupleIblNS6_9null_typeES8_S8_S8_S8_S8_S8_S8_EEEEZNS1_11reduce_implILb1ES3_NS6_12zip_iteratorINS7_INS6_11hip_rocprim26transform_input_iterator_tIbNSD_35transform_pair_of_input_iterators_tIbNS6_6detail15normal_iteratorINS6_10device_ptrIKxEEEESL_NS6_8equal_toIxEEEENSG_9not_fun_tINSD_8identityEEEEENSD_19counting_iterator_tIlEES8_S8_S8_S8_S8_S8_S8_S8_EEEEPS9_S9_NSD_9__find_if7functorIS9_EEEE10hipError_tPvRmT1_T2_T3_mT4_P12ihipStream_tbEUlT_E1_NS1_11comp_targetILNS1_3genE5ELNS1_11target_archE942ELNS1_3gpuE9ELNS1_3repE0EEENS1_30default_config_static_selectorELNS0_4arch9wavefront6targetE0EEEvS14_: ; @_ZN7rocprim17ROCPRIM_400000_NS6detail17trampoline_kernelINS0_14default_configENS1_22reduce_config_selectorIN6thrust23THRUST_200600_302600_NS5tupleIblNS6_9null_typeES8_S8_S8_S8_S8_S8_S8_EEEEZNS1_11reduce_implILb1ES3_NS6_12zip_iteratorINS7_INS6_11hip_rocprim26transform_input_iterator_tIbNSD_35transform_pair_of_input_iterators_tIbNS6_6detail15normal_iteratorINS6_10device_ptrIKxEEEESL_NS6_8equal_toIxEEEENSG_9not_fun_tINSD_8identityEEEEENSD_19counting_iterator_tIlEES8_S8_S8_S8_S8_S8_S8_S8_EEEEPS9_S9_NSD_9__find_if7functorIS9_EEEE10hipError_tPvRmT1_T2_T3_mT4_P12ihipStream_tbEUlT_E1_NS1_11comp_targetILNS1_3genE5ELNS1_11target_archE942ELNS1_3gpuE9ELNS1_3repE0EEENS1_30default_config_static_selectorELNS0_4arch9wavefront6targetE0EEEvS14_
; %bb.0:
	.section	.rodata,"a",@progbits
	.p2align	6, 0x0
	.amdhsa_kernel _ZN7rocprim17ROCPRIM_400000_NS6detail17trampoline_kernelINS0_14default_configENS1_22reduce_config_selectorIN6thrust23THRUST_200600_302600_NS5tupleIblNS6_9null_typeES8_S8_S8_S8_S8_S8_S8_EEEEZNS1_11reduce_implILb1ES3_NS6_12zip_iteratorINS7_INS6_11hip_rocprim26transform_input_iterator_tIbNSD_35transform_pair_of_input_iterators_tIbNS6_6detail15normal_iteratorINS6_10device_ptrIKxEEEESL_NS6_8equal_toIxEEEENSG_9not_fun_tINSD_8identityEEEEENSD_19counting_iterator_tIlEES8_S8_S8_S8_S8_S8_S8_S8_EEEEPS9_S9_NSD_9__find_if7functorIS9_EEEE10hipError_tPvRmT1_T2_T3_mT4_P12ihipStream_tbEUlT_E1_NS1_11comp_targetILNS1_3genE5ELNS1_11target_archE942ELNS1_3gpuE9ELNS1_3repE0EEENS1_30default_config_static_selectorELNS0_4arch9wavefront6targetE0EEEvS14_
		.amdhsa_group_segment_fixed_size 0
		.amdhsa_private_segment_fixed_size 0
		.amdhsa_kernarg_size 88
		.amdhsa_user_sgpr_count 6
		.amdhsa_user_sgpr_private_segment_buffer 1
		.amdhsa_user_sgpr_dispatch_ptr 0
		.amdhsa_user_sgpr_queue_ptr 0
		.amdhsa_user_sgpr_kernarg_segment_ptr 1
		.amdhsa_user_sgpr_dispatch_id 0
		.amdhsa_user_sgpr_flat_scratch_init 0
		.amdhsa_user_sgpr_private_segment_size 0
		.amdhsa_wavefront_size32 1
		.amdhsa_uses_dynamic_stack 0
		.amdhsa_system_sgpr_private_segment_wavefront_offset 0
		.amdhsa_system_sgpr_workgroup_id_x 1
		.amdhsa_system_sgpr_workgroup_id_y 0
		.amdhsa_system_sgpr_workgroup_id_z 0
		.amdhsa_system_sgpr_workgroup_info 0
		.amdhsa_system_vgpr_workitem_id 0
		.amdhsa_next_free_vgpr 1
		.amdhsa_next_free_sgpr 1
		.amdhsa_reserve_vcc 0
		.amdhsa_reserve_flat_scratch 0
		.amdhsa_float_round_mode_32 0
		.amdhsa_float_round_mode_16_64 0
		.amdhsa_float_denorm_mode_32 3
		.amdhsa_float_denorm_mode_16_64 3
		.amdhsa_dx10_clamp 1
		.amdhsa_ieee_mode 1
		.amdhsa_fp16_overflow 0
		.amdhsa_workgroup_processor_mode 1
		.amdhsa_memory_ordered 1
		.amdhsa_forward_progress 1
		.amdhsa_shared_vgpr_count 0
		.amdhsa_exception_fp_ieee_invalid_op 0
		.amdhsa_exception_fp_denorm_src 0
		.amdhsa_exception_fp_ieee_div_zero 0
		.amdhsa_exception_fp_ieee_overflow 0
		.amdhsa_exception_fp_ieee_underflow 0
		.amdhsa_exception_fp_ieee_inexact 0
		.amdhsa_exception_int_div_zero 0
	.end_amdhsa_kernel
	.section	.text._ZN7rocprim17ROCPRIM_400000_NS6detail17trampoline_kernelINS0_14default_configENS1_22reduce_config_selectorIN6thrust23THRUST_200600_302600_NS5tupleIblNS6_9null_typeES8_S8_S8_S8_S8_S8_S8_EEEEZNS1_11reduce_implILb1ES3_NS6_12zip_iteratorINS7_INS6_11hip_rocprim26transform_input_iterator_tIbNSD_35transform_pair_of_input_iterators_tIbNS6_6detail15normal_iteratorINS6_10device_ptrIKxEEEESL_NS6_8equal_toIxEEEENSG_9not_fun_tINSD_8identityEEEEENSD_19counting_iterator_tIlEES8_S8_S8_S8_S8_S8_S8_S8_EEEEPS9_S9_NSD_9__find_if7functorIS9_EEEE10hipError_tPvRmT1_T2_T3_mT4_P12ihipStream_tbEUlT_E1_NS1_11comp_targetILNS1_3genE5ELNS1_11target_archE942ELNS1_3gpuE9ELNS1_3repE0EEENS1_30default_config_static_selectorELNS0_4arch9wavefront6targetE0EEEvS14_,"axG",@progbits,_ZN7rocprim17ROCPRIM_400000_NS6detail17trampoline_kernelINS0_14default_configENS1_22reduce_config_selectorIN6thrust23THRUST_200600_302600_NS5tupleIblNS6_9null_typeES8_S8_S8_S8_S8_S8_S8_EEEEZNS1_11reduce_implILb1ES3_NS6_12zip_iteratorINS7_INS6_11hip_rocprim26transform_input_iterator_tIbNSD_35transform_pair_of_input_iterators_tIbNS6_6detail15normal_iteratorINS6_10device_ptrIKxEEEESL_NS6_8equal_toIxEEEENSG_9not_fun_tINSD_8identityEEEEENSD_19counting_iterator_tIlEES8_S8_S8_S8_S8_S8_S8_S8_EEEEPS9_S9_NSD_9__find_if7functorIS9_EEEE10hipError_tPvRmT1_T2_T3_mT4_P12ihipStream_tbEUlT_E1_NS1_11comp_targetILNS1_3genE5ELNS1_11target_archE942ELNS1_3gpuE9ELNS1_3repE0EEENS1_30default_config_static_selectorELNS0_4arch9wavefront6targetE0EEEvS14_,comdat
.Lfunc_end403:
	.size	_ZN7rocprim17ROCPRIM_400000_NS6detail17trampoline_kernelINS0_14default_configENS1_22reduce_config_selectorIN6thrust23THRUST_200600_302600_NS5tupleIblNS6_9null_typeES8_S8_S8_S8_S8_S8_S8_EEEEZNS1_11reduce_implILb1ES3_NS6_12zip_iteratorINS7_INS6_11hip_rocprim26transform_input_iterator_tIbNSD_35transform_pair_of_input_iterators_tIbNS6_6detail15normal_iteratorINS6_10device_ptrIKxEEEESL_NS6_8equal_toIxEEEENSG_9not_fun_tINSD_8identityEEEEENSD_19counting_iterator_tIlEES8_S8_S8_S8_S8_S8_S8_S8_EEEEPS9_S9_NSD_9__find_if7functorIS9_EEEE10hipError_tPvRmT1_T2_T3_mT4_P12ihipStream_tbEUlT_E1_NS1_11comp_targetILNS1_3genE5ELNS1_11target_archE942ELNS1_3gpuE9ELNS1_3repE0EEENS1_30default_config_static_selectorELNS0_4arch9wavefront6targetE0EEEvS14_, .Lfunc_end403-_ZN7rocprim17ROCPRIM_400000_NS6detail17trampoline_kernelINS0_14default_configENS1_22reduce_config_selectorIN6thrust23THRUST_200600_302600_NS5tupleIblNS6_9null_typeES8_S8_S8_S8_S8_S8_S8_EEEEZNS1_11reduce_implILb1ES3_NS6_12zip_iteratorINS7_INS6_11hip_rocprim26transform_input_iterator_tIbNSD_35transform_pair_of_input_iterators_tIbNS6_6detail15normal_iteratorINS6_10device_ptrIKxEEEESL_NS6_8equal_toIxEEEENSG_9not_fun_tINSD_8identityEEEEENSD_19counting_iterator_tIlEES8_S8_S8_S8_S8_S8_S8_S8_EEEEPS9_S9_NSD_9__find_if7functorIS9_EEEE10hipError_tPvRmT1_T2_T3_mT4_P12ihipStream_tbEUlT_E1_NS1_11comp_targetILNS1_3genE5ELNS1_11target_archE942ELNS1_3gpuE9ELNS1_3repE0EEENS1_30default_config_static_selectorELNS0_4arch9wavefront6targetE0EEEvS14_
                                        ; -- End function
	.set _ZN7rocprim17ROCPRIM_400000_NS6detail17trampoline_kernelINS0_14default_configENS1_22reduce_config_selectorIN6thrust23THRUST_200600_302600_NS5tupleIblNS6_9null_typeES8_S8_S8_S8_S8_S8_S8_EEEEZNS1_11reduce_implILb1ES3_NS6_12zip_iteratorINS7_INS6_11hip_rocprim26transform_input_iterator_tIbNSD_35transform_pair_of_input_iterators_tIbNS6_6detail15normal_iteratorINS6_10device_ptrIKxEEEESL_NS6_8equal_toIxEEEENSG_9not_fun_tINSD_8identityEEEEENSD_19counting_iterator_tIlEES8_S8_S8_S8_S8_S8_S8_S8_EEEEPS9_S9_NSD_9__find_if7functorIS9_EEEE10hipError_tPvRmT1_T2_T3_mT4_P12ihipStream_tbEUlT_E1_NS1_11comp_targetILNS1_3genE5ELNS1_11target_archE942ELNS1_3gpuE9ELNS1_3repE0EEENS1_30default_config_static_selectorELNS0_4arch9wavefront6targetE0EEEvS14_.num_vgpr, 0
	.set _ZN7rocprim17ROCPRIM_400000_NS6detail17trampoline_kernelINS0_14default_configENS1_22reduce_config_selectorIN6thrust23THRUST_200600_302600_NS5tupleIblNS6_9null_typeES8_S8_S8_S8_S8_S8_S8_EEEEZNS1_11reduce_implILb1ES3_NS6_12zip_iteratorINS7_INS6_11hip_rocprim26transform_input_iterator_tIbNSD_35transform_pair_of_input_iterators_tIbNS6_6detail15normal_iteratorINS6_10device_ptrIKxEEEESL_NS6_8equal_toIxEEEENSG_9not_fun_tINSD_8identityEEEEENSD_19counting_iterator_tIlEES8_S8_S8_S8_S8_S8_S8_S8_EEEEPS9_S9_NSD_9__find_if7functorIS9_EEEE10hipError_tPvRmT1_T2_T3_mT4_P12ihipStream_tbEUlT_E1_NS1_11comp_targetILNS1_3genE5ELNS1_11target_archE942ELNS1_3gpuE9ELNS1_3repE0EEENS1_30default_config_static_selectorELNS0_4arch9wavefront6targetE0EEEvS14_.num_agpr, 0
	.set _ZN7rocprim17ROCPRIM_400000_NS6detail17trampoline_kernelINS0_14default_configENS1_22reduce_config_selectorIN6thrust23THRUST_200600_302600_NS5tupleIblNS6_9null_typeES8_S8_S8_S8_S8_S8_S8_EEEEZNS1_11reduce_implILb1ES3_NS6_12zip_iteratorINS7_INS6_11hip_rocprim26transform_input_iterator_tIbNSD_35transform_pair_of_input_iterators_tIbNS6_6detail15normal_iteratorINS6_10device_ptrIKxEEEESL_NS6_8equal_toIxEEEENSG_9not_fun_tINSD_8identityEEEEENSD_19counting_iterator_tIlEES8_S8_S8_S8_S8_S8_S8_S8_EEEEPS9_S9_NSD_9__find_if7functorIS9_EEEE10hipError_tPvRmT1_T2_T3_mT4_P12ihipStream_tbEUlT_E1_NS1_11comp_targetILNS1_3genE5ELNS1_11target_archE942ELNS1_3gpuE9ELNS1_3repE0EEENS1_30default_config_static_selectorELNS0_4arch9wavefront6targetE0EEEvS14_.numbered_sgpr, 0
	.set _ZN7rocprim17ROCPRIM_400000_NS6detail17trampoline_kernelINS0_14default_configENS1_22reduce_config_selectorIN6thrust23THRUST_200600_302600_NS5tupleIblNS6_9null_typeES8_S8_S8_S8_S8_S8_S8_EEEEZNS1_11reduce_implILb1ES3_NS6_12zip_iteratorINS7_INS6_11hip_rocprim26transform_input_iterator_tIbNSD_35transform_pair_of_input_iterators_tIbNS6_6detail15normal_iteratorINS6_10device_ptrIKxEEEESL_NS6_8equal_toIxEEEENSG_9not_fun_tINSD_8identityEEEEENSD_19counting_iterator_tIlEES8_S8_S8_S8_S8_S8_S8_S8_EEEEPS9_S9_NSD_9__find_if7functorIS9_EEEE10hipError_tPvRmT1_T2_T3_mT4_P12ihipStream_tbEUlT_E1_NS1_11comp_targetILNS1_3genE5ELNS1_11target_archE942ELNS1_3gpuE9ELNS1_3repE0EEENS1_30default_config_static_selectorELNS0_4arch9wavefront6targetE0EEEvS14_.num_named_barrier, 0
	.set _ZN7rocprim17ROCPRIM_400000_NS6detail17trampoline_kernelINS0_14default_configENS1_22reduce_config_selectorIN6thrust23THRUST_200600_302600_NS5tupleIblNS6_9null_typeES8_S8_S8_S8_S8_S8_S8_EEEEZNS1_11reduce_implILb1ES3_NS6_12zip_iteratorINS7_INS6_11hip_rocprim26transform_input_iterator_tIbNSD_35transform_pair_of_input_iterators_tIbNS6_6detail15normal_iteratorINS6_10device_ptrIKxEEEESL_NS6_8equal_toIxEEEENSG_9not_fun_tINSD_8identityEEEEENSD_19counting_iterator_tIlEES8_S8_S8_S8_S8_S8_S8_S8_EEEEPS9_S9_NSD_9__find_if7functorIS9_EEEE10hipError_tPvRmT1_T2_T3_mT4_P12ihipStream_tbEUlT_E1_NS1_11comp_targetILNS1_3genE5ELNS1_11target_archE942ELNS1_3gpuE9ELNS1_3repE0EEENS1_30default_config_static_selectorELNS0_4arch9wavefront6targetE0EEEvS14_.private_seg_size, 0
	.set _ZN7rocprim17ROCPRIM_400000_NS6detail17trampoline_kernelINS0_14default_configENS1_22reduce_config_selectorIN6thrust23THRUST_200600_302600_NS5tupleIblNS6_9null_typeES8_S8_S8_S8_S8_S8_S8_EEEEZNS1_11reduce_implILb1ES3_NS6_12zip_iteratorINS7_INS6_11hip_rocprim26transform_input_iterator_tIbNSD_35transform_pair_of_input_iterators_tIbNS6_6detail15normal_iteratorINS6_10device_ptrIKxEEEESL_NS6_8equal_toIxEEEENSG_9not_fun_tINSD_8identityEEEEENSD_19counting_iterator_tIlEES8_S8_S8_S8_S8_S8_S8_S8_EEEEPS9_S9_NSD_9__find_if7functorIS9_EEEE10hipError_tPvRmT1_T2_T3_mT4_P12ihipStream_tbEUlT_E1_NS1_11comp_targetILNS1_3genE5ELNS1_11target_archE942ELNS1_3gpuE9ELNS1_3repE0EEENS1_30default_config_static_selectorELNS0_4arch9wavefront6targetE0EEEvS14_.uses_vcc, 0
	.set _ZN7rocprim17ROCPRIM_400000_NS6detail17trampoline_kernelINS0_14default_configENS1_22reduce_config_selectorIN6thrust23THRUST_200600_302600_NS5tupleIblNS6_9null_typeES8_S8_S8_S8_S8_S8_S8_EEEEZNS1_11reduce_implILb1ES3_NS6_12zip_iteratorINS7_INS6_11hip_rocprim26transform_input_iterator_tIbNSD_35transform_pair_of_input_iterators_tIbNS6_6detail15normal_iteratorINS6_10device_ptrIKxEEEESL_NS6_8equal_toIxEEEENSG_9not_fun_tINSD_8identityEEEEENSD_19counting_iterator_tIlEES8_S8_S8_S8_S8_S8_S8_S8_EEEEPS9_S9_NSD_9__find_if7functorIS9_EEEE10hipError_tPvRmT1_T2_T3_mT4_P12ihipStream_tbEUlT_E1_NS1_11comp_targetILNS1_3genE5ELNS1_11target_archE942ELNS1_3gpuE9ELNS1_3repE0EEENS1_30default_config_static_selectorELNS0_4arch9wavefront6targetE0EEEvS14_.uses_flat_scratch, 0
	.set _ZN7rocprim17ROCPRIM_400000_NS6detail17trampoline_kernelINS0_14default_configENS1_22reduce_config_selectorIN6thrust23THRUST_200600_302600_NS5tupleIblNS6_9null_typeES8_S8_S8_S8_S8_S8_S8_EEEEZNS1_11reduce_implILb1ES3_NS6_12zip_iteratorINS7_INS6_11hip_rocprim26transform_input_iterator_tIbNSD_35transform_pair_of_input_iterators_tIbNS6_6detail15normal_iteratorINS6_10device_ptrIKxEEEESL_NS6_8equal_toIxEEEENSG_9not_fun_tINSD_8identityEEEEENSD_19counting_iterator_tIlEES8_S8_S8_S8_S8_S8_S8_S8_EEEEPS9_S9_NSD_9__find_if7functorIS9_EEEE10hipError_tPvRmT1_T2_T3_mT4_P12ihipStream_tbEUlT_E1_NS1_11comp_targetILNS1_3genE5ELNS1_11target_archE942ELNS1_3gpuE9ELNS1_3repE0EEENS1_30default_config_static_selectorELNS0_4arch9wavefront6targetE0EEEvS14_.has_dyn_sized_stack, 0
	.set _ZN7rocprim17ROCPRIM_400000_NS6detail17trampoline_kernelINS0_14default_configENS1_22reduce_config_selectorIN6thrust23THRUST_200600_302600_NS5tupleIblNS6_9null_typeES8_S8_S8_S8_S8_S8_S8_EEEEZNS1_11reduce_implILb1ES3_NS6_12zip_iteratorINS7_INS6_11hip_rocprim26transform_input_iterator_tIbNSD_35transform_pair_of_input_iterators_tIbNS6_6detail15normal_iteratorINS6_10device_ptrIKxEEEESL_NS6_8equal_toIxEEEENSG_9not_fun_tINSD_8identityEEEEENSD_19counting_iterator_tIlEES8_S8_S8_S8_S8_S8_S8_S8_EEEEPS9_S9_NSD_9__find_if7functorIS9_EEEE10hipError_tPvRmT1_T2_T3_mT4_P12ihipStream_tbEUlT_E1_NS1_11comp_targetILNS1_3genE5ELNS1_11target_archE942ELNS1_3gpuE9ELNS1_3repE0EEENS1_30default_config_static_selectorELNS0_4arch9wavefront6targetE0EEEvS14_.has_recursion, 0
	.set _ZN7rocprim17ROCPRIM_400000_NS6detail17trampoline_kernelINS0_14default_configENS1_22reduce_config_selectorIN6thrust23THRUST_200600_302600_NS5tupleIblNS6_9null_typeES8_S8_S8_S8_S8_S8_S8_EEEEZNS1_11reduce_implILb1ES3_NS6_12zip_iteratorINS7_INS6_11hip_rocprim26transform_input_iterator_tIbNSD_35transform_pair_of_input_iterators_tIbNS6_6detail15normal_iteratorINS6_10device_ptrIKxEEEESL_NS6_8equal_toIxEEEENSG_9not_fun_tINSD_8identityEEEEENSD_19counting_iterator_tIlEES8_S8_S8_S8_S8_S8_S8_S8_EEEEPS9_S9_NSD_9__find_if7functorIS9_EEEE10hipError_tPvRmT1_T2_T3_mT4_P12ihipStream_tbEUlT_E1_NS1_11comp_targetILNS1_3genE5ELNS1_11target_archE942ELNS1_3gpuE9ELNS1_3repE0EEENS1_30default_config_static_selectorELNS0_4arch9wavefront6targetE0EEEvS14_.has_indirect_call, 0
	.section	.AMDGPU.csdata,"",@progbits
; Kernel info:
; codeLenInByte = 0
; TotalNumSgprs: 0
; NumVgprs: 0
; ScratchSize: 0
; MemoryBound: 0
; FloatMode: 240
; IeeeMode: 1
; LDSByteSize: 0 bytes/workgroup (compile time only)
; SGPRBlocks: 0
; VGPRBlocks: 0
; NumSGPRsForWavesPerEU: 1
; NumVGPRsForWavesPerEU: 1
; Occupancy: 16
; WaveLimiterHint : 0
; COMPUTE_PGM_RSRC2:SCRATCH_EN: 0
; COMPUTE_PGM_RSRC2:USER_SGPR: 6
; COMPUTE_PGM_RSRC2:TRAP_HANDLER: 0
; COMPUTE_PGM_RSRC2:TGID_X_EN: 1
; COMPUTE_PGM_RSRC2:TGID_Y_EN: 0
; COMPUTE_PGM_RSRC2:TGID_Z_EN: 0
; COMPUTE_PGM_RSRC2:TIDIG_COMP_CNT: 0
	.section	.text._ZN7rocprim17ROCPRIM_400000_NS6detail17trampoline_kernelINS0_14default_configENS1_22reduce_config_selectorIN6thrust23THRUST_200600_302600_NS5tupleIblNS6_9null_typeES8_S8_S8_S8_S8_S8_S8_EEEEZNS1_11reduce_implILb1ES3_NS6_12zip_iteratorINS7_INS6_11hip_rocprim26transform_input_iterator_tIbNSD_35transform_pair_of_input_iterators_tIbNS6_6detail15normal_iteratorINS6_10device_ptrIKxEEEESL_NS6_8equal_toIxEEEENSG_9not_fun_tINSD_8identityEEEEENSD_19counting_iterator_tIlEES8_S8_S8_S8_S8_S8_S8_S8_EEEEPS9_S9_NSD_9__find_if7functorIS9_EEEE10hipError_tPvRmT1_T2_T3_mT4_P12ihipStream_tbEUlT_E1_NS1_11comp_targetILNS1_3genE4ELNS1_11target_archE910ELNS1_3gpuE8ELNS1_3repE0EEENS1_30default_config_static_selectorELNS0_4arch9wavefront6targetE0EEEvS14_,"axG",@progbits,_ZN7rocprim17ROCPRIM_400000_NS6detail17trampoline_kernelINS0_14default_configENS1_22reduce_config_selectorIN6thrust23THRUST_200600_302600_NS5tupleIblNS6_9null_typeES8_S8_S8_S8_S8_S8_S8_EEEEZNS1_11reduce_implILb1ES3_NS6_12zip_iteratorINS7_INS6_11hip_rocprim26transform_input_iterator_tIbNSD_35transform_pair_of_input_iterators_tIbNS6_6detail15normal_iteratorINS6_10device_ptrIKxEEEESL_NS6_8equal_toIxEEEENSG_9not_fun_tINSD_8identityEEEEENSD_19counting_iterator_tIlEES8_S8_S8_S8_S8_S8_S8_S8_EEEEPS9_S9_NSD_9__find_if7functorIS9_EEEE10hipError_tPvRmT1_T2_T3_mT4_P12ihipStream_tbEUlT_E1_NS1_11comp_targetILNS1_3genE4ELNS1_11target_archE910ELNS1_3gpuE8ELNS1_3repE0EEENS1_30default_config_static_selectorELNS0_4arch9wavefront6targetE0EEEvS14_,comdat
	.protected	_ZN7rocprim17ROCPRIM_400000_NS6detail17trampoline_kernelINS0_14default_configENS1_22reduce_config_selectorIN6thrust23THRUST_200600_302600_NS5tupleIblNS6_9null_typeES8_S8_S8_S8_S8_S8_S8_EEEEZNS1_11reduce_implILb1ES3_NS6_12zip_iteratorINS7_INS6_11hip_rocprim26transform_input_iterator_tIbNSD_35transform_pair_of_input_iterators_tIbNS6_6detail15normal_iteratorINS6_10device_ptrIKxEEEESL_NS6_8equal_toIxEEEENSG_9not_fun_tINSD_8identityEEEEENSD_19counting_iterator_tIlEES8_S8_S8_S8_S8_S8_S8_S8_EEEEPS9_S9_NSD_9__find_if7functorIS9_EEEE10hipError_tPvRmT1_T2_T3_mT4_P12ihipStream_tbEUlT_E1_NS1_11comp_targetILNS1_3genE4ELNS1_11target_archE910ELNS1_3gpuE8ELNS1_3repE0EEENS1_30default_config_static_selectorELNS0_4arch9wavefront6targetE0EEEvS14_ ; -- Begin function _ZN7rocprim17ROCPRIM_400000_NS6detail17trampoline_kernelINS0_14default_configENS1_22reduce_config_selectorIN6thrust23THRUST_200600_302600_NS5tupleIblNS6_9null_typeES8_S8_S8_S8_S8_S8_S8_EEEEZNS1_11reduce_implILb1ES3_NS6_12zip_iteratorINS7_INS6_11hip_rocprim26transform_input_iterator_tIbNSD_35transform_pair_of_input_iterators_tIbNS6_6detail15normal_iteratorINS6_10device_ptrIKxEEEESL_NS6_8equal_toIxEEEENSG_9not_fun_tINSD_8identityEEEEENSD_19counting_iterator_tIlEES8_S8_S8_S8_S8_S8_S8_S8_EEEEPS9_S9_NSD_9__find_if7functorIS9_EEEE10hipError_tPvRmT1_T2_T3_mT4_P12ihipStream_tbEUlT_E1_NS1_11comp_targetILNS1_3genE4ELNS1_11target_archE910ELNS1_3gpuE8ELNS1_3repE0EEENS1_30default_config_static_selectorELNS0_4arch9wavefront6targetE0EEEvS14_
	.globl	_ZN7rocprim17ROCPRIM_400000_NS6detail17trampoline_kernelINS0_14default_configENS1_22reduce_config_selectorIN6thrust23THRUST_200600_302600_NS5tupleIblNS6_9null_typeES8_S8_S8_S8_S8_S8_S8_EEEEZNS1_11reduce_implILb1ES3_NS6_12zip_iteratorINS7_INS6_11hip_rocprim26transform_input_iterator_tIbNSD_35transform_pair_of_input_iterators_tIbNS6_6detail15normal_iteratorINS6_10device_ptrIKxEEEESL_NS6_8equal_toIxEEEENSG_9not_fun_tINSD_8identityEEEEENSD_19counting_iterator_tIlEES8_S8_S8_S8_S8_S8_S8_S8_EEEEPS9_S9_NSD_9__find_if7functorIS9_EEEE10hipError_tPvRmT1_T2_T3_mT4_P12ihipStream_tbEUlT_E1_NS1_11comp_targetILNS1_3genE4ELNS1_11target_archE910ELNS1_3gpuE8ELNS1_3repE0EEENS1_30default_config_static_selectorELNS0_4arch9wavefront6targetE0EEEvS14_
	.p2align	8
	.type	_ZN7rocprim17ROCPRIM_400000_NS6detail17trampoline_kernelINS0_14default_configENS1_22reduce_config_selectorIN6thrust23THRUST_200600_302600_NS5tupleIblNS6_9null_typeES8_S8_S8_S8_S8_S8_S8_EEEEZNS1_11reduce_implILb1ES3_NS6_12zip_iteratorINS7_INS6_11hip_rocprim26transform_input_iterator_tIbNSD_35transform_pair_of_input_iterators_tIbNS6_6detail15normal_iteratorINS6_10device_ptrIKxEEEESL_NS6_8equal_toIxEEEENSG_9not_fun_tINSD_8identityEEEEENSD_19counting_iterator_tIlEES8_S8_S8_S8_S8_S8_S8_S8_EEEEPS9_S9_NSD_9__find_if7functorIS9_EEEE10hipError_tPvRmT1_T2_T3_mT4_P12ihipStream_tbEUlT_E1_NS1_11comp_targetILNS1_3genE4ELNS1_11target_archE910ELNS1_3gpuE8ELNS1_3repE0EEENS1_30default_config_static_selectorELNS0_4arch9wavefront6targetE0EEEvS14_,@function
_ZN7rocprim17ROCPRIM_400000_NS6detail17trampoline_kernelINS0_14default_configENS1_22reduce_config_selectorIN6thrust23THRUST_200600_302600_NS5tupleIblNS6_9null_typeES8_S8_S8_S8_S8_S8_S8_EEEEZNS1_11reduce_implILb1ES3_NS6_12zip_iteratorINS7_INS6_11hip_rocprim26transform_input_iterator_tIbNSD_35transform_pair_of_input_iterators_tIbNS6_6detail15normal_iteratorINS6_10device_ptrIKxEEEESL_NS6_8equal_toIxEEEENSG_9not_fun_tINSD_8identityEEEEENSD_19counting_iterator_tIlEES8_S8_S8_S8_S8_S8_S8_S8_EEEEPS9_S9_NSD_9__find_if7functorIS9_EEEE10hipError_tPvRmT1_T2_T3_mT4_P12ihipStream_tbEUlT_E1_NS1_11comp_targetILNS1_3genE4ELNS1_11target_archE910ELNS1_3gpuE8ELNS1_3repE0EEENS1_30default_config_static_selectorELNS0_4arch9wavefront6targetE0EEEvS14_: ; @_ZN7rocprim17ROCPRIM_400000_NS6detail17trampoline_kernelINS0_14default_configENS1_22reduce_config_selectorIN6thrust23THRUST_200600_302600_NS5tupleIblNS6_9null_typeES8_S8_S8_S8_S8_S8_S8_EEEEZNS1_11reduce_implILb1ES3_NS6_12zip_iteratorINS7_INS6_11hip_rocprim26transform_input_iterator_tIbNSD_35transform_pair_of_input_iterators_tIbNS6_6detail15normal_iteratorINS6_10device_ptrIKxEEEESL_NS6_8equal_toIxEEEENSG_9not_fun_tINSD_8identityEEEEENSD_19counting_iterator_tIlEES8_S8_S8_S8_S8_S8_S8_S8_EEEEPS9_S9_NSD_9__find_if7functorIS9_EEEE10hipError_tPvRmT1_T2_T3_mT4_P12ihipStream_tbEUlT_E1_NS1_11comp_targetILNS1_3genE4ELNS1_11target_archE910ELNS1_3gpuE8ELNS1_3repE0EEENS1_30default_config_static_selectorELNS0_4arch9wavefront6targetE0EEEvS14_
; %bb.0:
	.section	.rodata,"a",@progbits
	.p2align	6, 0x0
	.amdhsa_kernel _ZN7rocprim17ROCPRIM_400000_NS6detail17trampoline_kernelINS0_14default_configENS1_22reduce_config_selectorIN6thrust23THRUST_200600_302600_NS5tupleIblNS6_9null_typeES8_S8_S8_S8_S8_S8_S8_EEEEZNS1_11reduce_implILb1ES3_NS6_12zip_iteratorINS7_INS6_11hip_rocprim26transform_input_iterator_tIbNSD_35transform_pair_of_input_iterators_tIbNS6_6detail15normal_iteratorINS6_10device_ptrIKxEEEESL_NS6_8equal_toIxEEEENSG_9not_fun_tINSD_8identityEEEEENSD_19counting_iterator_tIlEES8_S8_S8_S8_S8_S8_S8_S8_EEEEPS9_S9_NSD_9__find_if7functorIS9_EEEE10hipError_tPvRmT1_T2_T3_mT4_P12ihipStream_tbEUlT_E1_NS1_11comp_targetILNS1_3genE4ELNS1_11target_archE910ELNS1_3gpuE8ELNS1_3repE0EEENS1_30default_config_static_selectorELNS0_4arch9wavefront6targetE0EEEvS14_
		.amdhsa_group_segment_fixed_size 0
		.amdhsa_private_segment_fixed_size 0
		.amdhsa_kernarg_size 88
		.amdhsa_user_sgpr_count 6
		.amdhsa_user_sgpr_private_segment_buffer 1
		.amdhsa_user_sgpr_dispatch_ptr 0
		.amdhsa_user_sgpr_queue_ptr 0
		.amdhsa_user_sgpr_kernarg_segment_ptr 1
		.amdhsa_user_sgpr_dispatch_id 0
		.amdhsa_user_sgpr_flat_scratch_init 0
		.amdhsa_user_sgpr_private_segment_size 0
		.amdhsa_wavefront_size32 1
		.amdhsa_uses_dynamic_stack 0
		.amdhsa_system_sgpr_private_segment_wavefront_offset 0
		.amdhsa_system_sgpr_workgroup_id_x 1
		.amdhsa_system_sgpr_workgroup_id_y 0
		.amdhsa_system_sgpr_workgroup_id_z 0
		.amdhsa_system_sgpr_workgroup_info 0
		.amdhsa_system_vgpr_workitem_id 0
		.amdhsa_next_free_vgpr 1
		.amdhsa_next_free_sgpr 1
		.amdhsa_reserve_vcc 0
		.amdhsa_reserve_flat_scratch 0
		.amdhsa_float_round_mode_32 0
		.amdhsa_float_round_mode_16_64 0
		.amdhsa_float_denorm_mode_32 3
		.amdhsa_float_denorm_mode_16_64 3
		.amdhsa_dx10_clamp 1
		.amdhsa_ieee_mode 1
		.amdhsa_fp16_overflow 0
		.amdhsa_workgroup_processor_mode 1
		.amdhsa_memory_ordered 1
		.amdhsa_forward_progress 1
		.amdhsa_shared_vgpr_count 0
		.amdhsa_exception_fp_ieee_invalid_op 0
		.amdhsa_exception_fp_denorm_src 0
		.amdhsa_exception_fp_ieee_div_zero 0
		.amdhsa_exception_fp_ieee_overflow 0
		.amdhsa_exception_fp_ieee_underflow 0
		.amdhsa_exception_fp_ieee_inexact 0
		.amdhsa_exception_int_div_zero 0
	.end_amdhsa_kernel
	.section	.text._ZN7rocprim17ROCPRIM_400000_NS6detail17trampoline_kernelINS0_14default_configENS1_22reduce_config_selectorIN6thrust23THRUST_200600_302600_NS5tupleIblNS6_9null_typeES8_S8_S8_S8_S8_S8_S8_EEEEZNS1_11reduce_implILb1ES3_NS6_12zip_iteratorINS7_INS6_11hip_rocprim26transform_input_iterator_tIbNSD_35transform_pair_of_input_iterators_tIbNS6_6detail15normal_iteratorINS6_10device_ptrIKxEEEESL_NS6_8equal_toIxEEEENSG_9not_fun_tINSD_8identityEEEEENSD_19counting_iterator_tIlEES8_S8_S8_S8_S8_S8_S8_S8_EEEEPS9_S9_NSD_9__find_if7functorIS9_EEEE10hipError_tPvRmT1_T2_T3_mT4_P12ihipStream_tbEUlT_E1_NS1_11comp_targetILNS1_3genE4ELNS1_11target_archE910ELNS1_3gpuE8ELNS1_3repE0EEENS1_30default_config_static_selectorELNS0_4arch9wavefront6targetE0EEEvS14_,"axG",@progbits,_ZN7rocprim17ROCPRIM_400000_NS6detail17trampoline_kernelINS0_14default_configENS1_22reduce_config_selectorIN6thrust23THRUST_200600_302600_NS5tupleIblNS6_9null_typeES8_S8_S8_S8_S8_S8_S8_EEEEZNS1_11reduce_implILb1ES3_NS6_12zip_iteratorINS7_INS6_11hip_rocprim26transform_input_iterator_tIbNSD_35transform_pair_of_input_iterators_tIbNS6_6detail15normal_iteratorINS6_10device_ptrIKxEEEESL_NS6_8equal_toIxEEEENSG_9not_fun_tINSD_8identityEEEEENSD_19counting_iterator_tIlEES8_S8_S8_S8_S8_S8_S8_S8_EEEEPS9_S9_NSD_9__find_if7functorIS9_EEEE10hipError_tPvRmT1_T2_T3_mT4_P12ihipStream_tbEUlT_E1_NS1_11comp_targetILNS1_3genE4ELNS1_11target_archE910ELNS1_3gpuE8ELNS1_3repE0EEENS1_30default_config_static_selectorELNS0_4arch9wavefront6targetE0EEEvS14_,comdat
.Lfunc_end404:
	.size	_ZN7rocprim17ROCPRIM_400000_NS6detail17trampoline_kernelINS0_14default_configENS1_22reduce_config_selectorIN6thrust23THRUST_200600_302600_NS5tupleIblNS6_9null_typeES8_S8_S8_S8_S8_S8_S8_EEEEZNS1_11reduce_implILb1ES3_NS6_12zip_iteratorINS7_INS6_11hip_rocprim26transform_input_iterator_tIbNSD_35transform_pair_of_input_iterators_tIbNS6_6detail15normal_iteratorINS6_10device_ptrIKxEEEESL_NS6_8equal_toIxEEEENSG_9not_fun_tINSD_8identityEEEEENSD_19counting_iterator_tIlEES8_S8_S8_S8_S8_S8_S8_S8_EEEEPS9_S9_NSD_9__find_if7functorIS9_EEEE10hipError_tPvRmT1_T2_T3_mT4_P12ihipStream_tbEUlT_E1_NS1_11comp_targetILNS1_3genE4ELNS1_11target_archE910ELNS1_3gpuE8ELNS1_3repE0EEENS1_30default_config_static_selectorELNS0_4arch9wavefront6targetE0EEEvS14_, .Lfunc_end404-_ZN7rocprim17ROCPRIM_400000_NS6detail17trampoline_kernelINS0_14default_configENS1_22reduce_config_selectorIN6thrust23THRUST_200600_302600_NS5tupleIblNS6_9null_typeES8_S8_S8_S8_S8_S8_S8_EEEEZNS1_11reduce_implILb1ES3_NS6_12zip_iteratorINS7_INS6_11hip_rocprim26transform_input_iterator_tIbNSD_35transform_pair_of_input_iterators_tIbNS6_6detail15normal_iteratorINS6_10device_ptrIKxEEEESL_NS6_8equal_toIxEEEENSG_9not_fun_tINSD_8identityEEEEENSD_19counting_iterator_tIlEES8_S8_S8_S8_S8_S8_S8_S8_EEEEPS9_S9_NSD_9__find_if7functorIS9_EEEE10hipError_tPvRmT1_T2_T3_mT4_P12ihipStream_tbEUlT_E1_NS1_11comp_targetILNS1_3genE4ELNS1_11target_archE910ELNS1_3gpuE8ELNS1_3repE0EEENS1_30default_config_static_selectorELNS0_4arch9wavefront6targetE0EEEvS14_
                                        ; -- End function
	.set _ZN7rocprim17ROCPRIM_400000_NS6detail17trampoline_kernelINS0_14default_configENS1_22reduce_config_selectorIN6thrust23THRUST_200600_302600_NS5tupleIblNS6_9null_typeES8_S8_S8_S8_S8_S8_S8_EEEEZNS1_11reduce_implILb1ES3_NS6_12zip_iteratorINS7_INS6_11hip_rocprim26transform_input_iterator_tIbNSD_35transform_pair_of_input_iterators_tIbNS6_6detail15normal_iteratorINS6_10device_ptrIKxEEEESL_NS6_8equal_toIxEEEENSG_9not_fun_tINSD_8identityEEEEENSD_19counting_iterator_tIlEES8_S8_S8_S8_S8_S8_S8_S8_EEEEPS9_S9_NSD_9__find_if7functorIS9_EEEE10hipError_tPvRmT1_T2_T3_mT4_P12ihipStream_tbEUlT_E1_NS1_11comp_targetILNS1_3genE4ELNS1_11target_archE910ELNS1_3gpuE8ELNS1_3repE0EEENS1_30default_config_static_selectorELNS0_4arch9wavefront6targetE0EEEvS14_.num_vgpr, 0
	.set _ZN7rocprim17ROCPRIM_400000_NS6detail17trampoline_kernelINS0_14default_configENS1_22reduce_config_selectorIN6thrust23THRUST_200600_302600_NS5tupleIblNS6_9null_typeES8_S8_S8_S8_S8_S8_S8_EEEEZNS1_11reduce_implILb1ES3_NS6_12zip_iteratorINS7_INS6_11hip_rocprim26transform_input_iterator_tIbNSD_35transform_pair_of_input_iterators_tIbNS6_6detail15normal_iteratorINS6_10device_ptrIKxEEEESL_NS6_8equal_toIxEEEENSG_9not_fun_tINSD_8identityEEEEENSD_19counting_iterator_tIlEES8_S8_S8_S8_S8_S8_S8_S8_EEEEPS9_S9_NSD_9__find_if7functorIS9_EEEE10hipError_tPvRmT1_T2_T3_mT4_P12ihipStream_tbEUlT_E1_NS1_11comp_targetILNS1_3genE4ELNS1_11target_archE910ELNS1_3gpuE8ELNS1_3repE0EEENS1_30default_config_static_selectorELNS0_4arch9wavefront6targetE0EEEvS14_.num_agpr, 0
	.set _ZN7rocprim17ROCPRIM_400000_NS6detail17trampoline_kernelINS0_14default_configENS1_22reduce_config_selectorIN6thrust23THRUST_200600_302600_NS5tupleIblNS6_9null_typeES8_S8_S8_S8_S8_S8_S8_EEEEZNS1_11reduce_implILb1ES3_NS6_12zip_iteratorINS7_INS6_11hip_rocprim26transform_input_iterator_tIbNSD_35transform_pair_of_input_iterators_tIbNS6_6detail15normal_iteratorINS6_10device_ptrIKxEEEESL_NS6_8equal_toIxEEEENSG_9not_fun_tINSD_8identityEEEEENSD_19counting_iterator_tIlEES8_S8_S8_S8_S8_S8_S8_S8_EEEEPS9_S9_NSD_9__find_if7functorIS9_EEEE10hipError_tPvRmT1_T2_T3_mT4_P12ihipStream_tbEUlT_E1_NS1_11comp_targetILNS1_3genE4ELNS1_11target_archE910ELNS1_3gpuE8ELNS1_3repE0EEENS1_30default_config_static_selectorELNS0_4arch9wavefront6targetE0EEEvS14_.numbered_sgpr, 0
	.set _ZN7rocprim17ROCPRIM_400000_NS6detail17trampoline_kernelINS0_14default_configENS1_22reduce_config_selectorIN6thrust23THRUST_200600_302600_NS5tupleIblNS6_9null_typeES8_S8_S8_S8_S8_S8_S8_EEEEZNS1_11reduce_implILb1ES3_NS6_12zip_iteratorINS7_INS6_11hip_rocprim26transform_input_iterator_tIbNSD_35transform_pair_of_input_iterators_tIbNS6_6detail15normal_iteratorINS6_10device_ptrIKxEEEESL_NS6_8equal_toIxEEEENSG_9not_fun_tINSD_8identityEEEEENSD_19counting_iterator_tIlEES8_S8_S8_S8_S8_S8_S8_S8_EEEEPS9_S9_NSD_9__find_if7functorIS9_EEEE10hipError_tPvRmT1_T2_T3_mT4_P12ihipStream_tbEUlT_E1_NS1_11comp_targetILNS1_3genE4ELNS1_11target_archE910ELNS1_3gpuE8ELNS1_3repE0EEENS1_30default_config_static_selectorELNS0_4arch9wavefront6targetE0EEEvS14_.num_named_barrier, 0
	.set _ZN7rocprim17ROCPRIM_400000_NS6detail17trampoline_kernelINS0_14default_configENS1_22reduce_config_selectorIN6thrust23THRUST_200600_302600_NS5tupleIblNS6_9null_typeES8_S8_S8_S8_S8_S8_S8_EEEEZNS1_11reduce_implILb1ES3_NS6_12zip_iteratorINS7_INS6_11hip_rocprim26transform_input_iterator_tIbNSD_35transform_pair_of_input_iterators_tIbNS6_6detail15normal_iteratorINS6_10device_ptrIKxEEEESL_NS6_8equal_toIxEEEENSG_9not_fun_tINSD_8identityEEEEENSD_19counting_iterator_tIlEES8_S8_S8_S8_S8_S8_S8_S8_EEEEPS9_S9_NSD_9__find_if7functorIS9_EEEE10hipError_tPvRmT1_T2_T3_mT4_P12ihipStream_tbEUlT_E1_NS1_11comp_targetILNS1_3genE4ELNS1_11target_archE910ELNS1_3gpuE8ELNS1_3repE0EEENS1_30default_config_static_selectorELNS0_4arch9wavefront6targetE0EEEvS14_.private_seg_size, 0
	.set _ZN7rocprim17ROCPRIM_400000_NS6detail17trampoline_kernelINS0_14default_configENS1_22reduce_config_selectorIN6thrust23THRUST_200600_302600_NS5tupleIblNS6_9null_typeES8_S8_S8_S8_S8_S8_S8_EEEEZNS1_11reduce_implILb1ES3_NS6_12zip_iteratorINS7_INS6_11hip_rocprim26transform_input_iterator_tIbNSD_35transform_pair_of_input_iterators_tIbNS6_6detail15normal_iteratorINS6_10device_ptrIKxEEEESL_NS6_8equal_toIxEEEENSG_9not_fun_tINSD_8identityEEEEENSD_19counting_iterator_tIlEES8_S8_S8_S8_S8_S8_S8_S8_EEEEPS9_S9_NSD_9__find_if7functorIS9_EEEE10hipError_tPvRmT1_T2_T3_mT4_P12ihipStream_tbEUlT_E1_NS1_11comp_targetILNS1_3genE4ELNS1_11target_archE910ELNS1_3gpuE8ELNS1_3repE0EEENS1_30default_config_static_selectorELNS0_4arch9wavefront6targetE0EEEvS14_.uses_vcc, 0
	.set _ZN7rocprim17ROCPRIM_400000_NS6detail17trampoline_kernelINS0_14default_configENS1_22reduce_config_selectorIN6thrust23THRUST_200600_302600_NS5tupleIblNS6_9null_typeES8_S8_S8_S8_S8_S8_S8_EEEEZNS1_11reduce_implILb1ES3_NS6_12zip_iteratorINS7_INS6_11hip_rocprim26transform_input_iterator_tIbNSD_35transform_pair_of_input_iterators_tIbNS6_6detail15normal_iteratorINS6_10device_ptrIKxEEEESL_NS6_8equal_toIxEEEENSG_9not_fun_tINSD_8identityEEEEENSD_19counting_iterator_tIlEES8_S8_S8_S8_S8_S8_S8_S8_EEEEPS9_S9_NSD_9__find_if7functorIS9_EEEE10hipError_tPvRmT1_T2_T3_mT4_P12ihipStream_tbEUlT_E1_NS1_11comp_targetILNS1_3genE4ELNS1_11target_archE910ELNS1_3gpuE8ELNS1_3repE0EEENS1_30default_config_static_selectorELNS0_4arch9wavefront6targetE0EEEvS14_.uses_flat_scratch, 0
	.set _ZN7rocprim17ROCPRIM_400000_NS6detail17trampoline_kernelINS0_14default_configENS1_22reduce_config_selectorIN6thrust23THRUST_200600_302600_NS5tupleIblNS6_9null_typeES8_S8_S8_S8_S8_S8_S8_EEEEZNS1_11reduce_implILb1ES3_NS6_12zip_iteratorINS7_INS6_11hip_rocprim26transform_input_iterator_tIbNSD_35transform_pair_of_input_iterators_tIbNS6_6detail15normal_iteratorINS6_10device_ptrIKxEEEESL_NS6_8equal_toIxEEEENSG_9not_fun_tINSD_8identityEEEEENSD_19counting_iterator_tIlEES8_S8_S8_S8_S8_S8_S8_S8_EEEEPS9_S9_NSD_9__find_if7functorIS9_EEEE10hipError_tPvRmT1_T2_T3_mT4_P12ihipStream_tbEUlT_E1_NS1_11comp_targetILNS1_3genE4ELNS1_11target_archE910ELNS1_3gpuE8ELNS1_3repE0EEENS1_30default_config_static_selectorELNS0_4arch9wavefront6targetE0EEEvS14_.has_dyn_sized_stack, 0
	.set _ZN7rocprim17ROCPRIM_400000_NS6detail17trampoline_kernelINS0_14default_configENS1_22reduce_config_selectorIN6thrust23THRUST_200600_302600_NS5tupleIblNS6_9null_typeES8_S8_S8_S8_S8_S8_S8_EEEEZNS1_11reduce_implILb1ES3_NS6_12zip_iteratorINS7_INS6_11hip_rocprim26transform_input_iterator_tIbNSD_35transform_pair_of_input_iterators_tIbNS6_6detail15normal_iteratorINS6_10device_ptrIKxEEEESL_NS6_8equal_toIxEEEENSG_9not_fun_tINSD_8identityEEEEENSD_19counting_iterator_tIlEES8_S8_S8_S8_S8_S8_S8_S8_EEEEPS9_S9_NSD_9__find_if7functorIS9_EEEE10hipError_tPvRmT1_T2_T3_mT4_P12ihipStream_tbEUlT_E1_NS1_11comp_targetILNS1_3genE4ELNS1_11target_archE910ELNS1_3gpuE8ELNS1_3repE0EEENS1_30default_config_static_selectorELNS0_4arch9wavefront6targetE0EEEvS14_.has_recursion, 0
	.set _ZN7rocprim17ROCPRIM_400000_NS6detail17trampoline_kernelINS0_14default_configENS1_22reduce_config_selectorIN6thrust23THRUST_200600_302600_NS5tupleIblNS6_9null_typeES8_S8_S8_S8_S8_S8_S8_EEEEZNS1_11reduce_implILb1ES3_NS6_12zip_iteratorINS7_INS6_11hip_rocprim26transform_input_iterator_tIbNSD_35transform_pair_of_input_iterators_tIbNS6_6detail15normal_iteratorINS6_10device_ptrIKxEEEESL_NS6_8equal_toIxEEEENSG_9not_fun_tINSD_8identityEEEEENSD_19counting_iterator_tIlEES8_S8_S8_S8_S8_S8_S8_S8_EEEEPS9_S9_NSD_9__find_if7functorIS9_EEEE10hipError_tPvRmT1_T2_T3_mT4_P12ihipStream_tbEUlT_E1_NS1_11comp_targetILNS1_3genE4ELNS1_11target_archE910ELNS1_3gpuE8ELNS1_3repE0EEENS1_30default_config_static_selectorELNS0_4arch9wavefront6targetE0EEEvS14_.has_indirect_call, 0
	.section	.AMDGPU.csdata,"",@progbits
; Kernel info:
; codeLenInByte = 0
; TotalNumSgprs: 0
; NumVgprs: 0
; ScratchSize: 0
; MemoryBound: 0
; FloatMode: 240
; IeeeMode: 1
; LDSByteSize: 0 bytes/workgroup (compile time only)
; SGPRBlocks: 0
; VGPRBlocks: 0
; NumSGPRsForWavesPerEU: 1
; NumVGPRsForWavesPerEU: 1
; Occupancy: 16
; WaveLimiterHint : 0
; COMPUTE_PGM_RSRC2:SCRATCH_EN: 0
; COMPUTE_PGM_RSRC2:USER_SGPR: 6
; COMPUTE_PGM_RSRC2:TRAP_HANDLER: 0
; COMPUTE_PGM_RSRC2:TGID_X_EN: 1
; COMPUTE_PGM_RSRC2:TGID_Y_EN: 0
; COMPUTE_PGM_RSRC2:TGID_Z_EN: 0
; COMPUTE_PGM_RSRC2:TIDIG_COMP_CNT: 0
	.section	.text._ZN7rocprim17ROCPRIM_400000_NS6detail17trampoline_kernelINS0_14default_configENS1_22reduce_config_selectorIN6thrust23THRUST_200600_302600_NS5tupleIblNS6_9null_typeES8_S8_S8_S8_S8_S8_S8_EEEEZNS1_11reduce_implILb1ES3_NS6_12zip_iteratorINS7_INS6_11hip_rocprim26transform_input_iterator_tIbNSD_35transform_pair_of_input_iterators_tIbNS6_6detail15normal_iteratorINS6_10device_ptrIKxEEEESL_NS6_8equal_toIxEEEENSG_9not_fun_tINSD_8identityEEEEENSD_19counting_iterator_tIlEES8_S8_S8_S8_S8_S8_S8_S8_EEEEPS9_S9_NSD_9__find_if7functorIS9_EEEE10hipError_tPvRmT1_T2_T3_mT4_P12ihipStream_tbEUlT_E1_NS1_11comp_targetILNS1_3genE3ELNS1_11target_archE908ELNS1_3gpuE7ELNS1_3repE0EEENS1_30default_config_static_selectorELNS0_4arch9wavefront6targetE0EEEvS14_,"axG",@progbits,_ZN7rocprim17ROCPRIM_400000_NS6detail17trampoline_kernelINS0_14default_configENS1_22reduce_config_selectorIN6thrust23THRUST_200600_302600_NS5tupleIblNS6_9null_typeES8_S8_S8_S8_S8_S8_S8_EEEEZNS1_11reduce_implILb1ES3_NS6_12zip_iteratorINS7_INS6_11hip_rocprim26transform_input_iterator_tIbNSD_35transform_pair_of_input_iterators_tIbNS6_6detail15normal_iteratorINS6_10device_ptrIKxEEEESL_NS6_8equal_toIxEEEENSG_9not_fun_tINSD_8identityEEEEENSD_19counting_iterator_tIlEES8_S8_S8_S8_S8_S8_S8_S8_EEEEPS9_S9_NSD_9__find_if7functorIS9_EEEE10hipError_tPvRmT1_T2_T3_mT4_P12ihipStream_tbEUlT_E1_NS1_11comp_targetILNS1_3genE3ELNS1_11target_archE908ELNS1_3gpuE7ELNS1_3repE0EEENS1_30default_config_static_selectorELNS0_4arch9wavefront6targetE0EEEvS14_,comdat
	.protected	_ZN7rocprim17ROCPRIM_400000_NS6detail17trampoline_kernelINS0_14default_configENS1_22reduce_config_selectorIN6thrust23THRUST_200600_302600_NS5tupleIblNS6_9null_typeES8_S8_S8_S8_S8_S8_S8_EEEEZNS1_11reduce_implILb1ES3_NS6_12zip_iteratorINS7_INS6_11hip_rocprim26transform_input_iterator_tIbNSD_35transform_pair_of_input_iterators_tIbNS6_6detail15normal_iteratorINS6_10device_ptrIKxEEEESL_NS6_8equal_toIxEEEENSG_9not_fun_tINSD_8identityEEEEENSD_19counting_iterator_tIlEES8_S8_S8_S8_S8_S8_S8_S8_EEEEPS9_S9_NSD_9__find_if7functorIS9_EEEE10hipError_tPvRmT1_T2_T3_mT4_P12ihipStream_tbEUlT_E1_NS1_11comp_targetILNS1_3genE3ELNS1_11target_archE908ELNS1_3gpuE7ELNS1_3repE0EEENS1_30default_config_static_selectorELNS0_4arch9wavefront6targetE0EEEvS14_ ; -- Begin function _ZN7rocprim17ROCPRIM_400000_NS6detail17trampoline_kernelINS0_14default_configENS1_22reduce_config_selectorIN6thrust23THRUST_200600_302600_NS5tupleIblNS6_9null_typeES8_S8_S8_S8_S8_S8_S8_EEEEZNS1_11reduce_implILb1ES3_NS6_12zip_iteratorINS7_INS6_11hip_rocprim26transform_input_iterator_tIbNSD_35transform_pair_of_input_iterators_tIbNS6_6detail15normal_iteratorINS6_10device_ptrIKxEEEESL_NS6_8equal_toIxEEEENSG_9not_fun_tINSD_8identityEEEEENSD_19counting_iterator_tIlEES8_S8_S8_S8_S8_S8_S8_S8_EEEEPS9_S9_NSD_9__find_if7functorIS9_EEEE10hipError_tPvRmT1_T2_T3_mT4_P12ihipStream_tbEUlT_E1_NS1_11comp_targetILNS1_3genE3ELNS1_11target_archE908ELNS1_3gpuE7ELNS1_3repE0EEENS1_30default_config_static_selectorELNS0_4arch9wavefront6targetE0EEEvS14_
	.globl	_ZN7rocprim17ROCPRIM_400000_NS6detail17trampoline_kernelINS0_14default_configENS1_22reduce_config_selectorIN6thrust23THRUST_200600_302600_NS5tupleIblNS6_9null_typeES8_S8_S8_S8_S8_S8_S8_EEEEZNS1_11reduce_implILb1ES3_NS6_12zip_iteratorINS7_INS6_11hip_rocprim26transform_input_iterator_tIbNSD_35transform_pair_of_input_iterators_tIbNS6_6detail15normal_iteratorINS6_10device_ptrIKxEEEESL_NS6_8equal_toIxEEEENSG_9not_fun_tINSD_8identityEEEEENSD_19counting_iterator_tIlEES8_S8_S8_S8_S8_S8_S8_S8_EEEEPS9_S9_NSD_9__find_if7functorIS9_EEEE10hipError_tPvRmT1_T2_T3_mT4_P12ihipStream_tbEUlT_E1_NS1_11comp_targetILNS1_3genE3ELNS1_11target_archE908ELNS1_3gpuE7ELNS1_3repE0EEENS1_30default_config_static_selectorELNS0_4arch9wavefront6targetE0EEEvS14_
	.p2align	8
	.type	_ZN7rocprim17ROCPRIM_400000_NS6detail17trampoline_kernelINS0_14default_configENS1_22reduce_config_selectorIN6thrust23THRUST_200600_302600_NS5tupleIblNS6_9null_typeES8_S8_S8_S8_S8_S8_S8_EEEEZNS1_11reduce_implILb1ES3_NS6_12zip_iteratorINS7_INS6_11hip_rocprim26transform_input_iterator_tIbNSD_35transform_pair_of_input_iterators_tIbNS6_6detail15normal_iteratorINS6_10device_ptrIKxEEEESL_NS6_8equal_toIxEEEENSG_9not_fun_tINSD_8identityEEEEENSD_19counting_iterator_tIlEES8_S8_S8_S8_S8_S8_S8_S8_EEEEPS9_S9_NSD_9__find_if7functorIS9_EEEE10hipError_tPvRmT1_T2_T3_mT4_P12ihipStream_tbEUlT_E1_NS1_11comp_targetILNS1_3genE3ELNS1_11target_archE908ELNS1_3gpuE7ELNS1_3repE0EEENS1_30default_config_static_selectorELNS0_4arch9wavefront6targetE0EEEvS14_,@function
_ZN7rocprim17ROCPRIM_400000_NS6detail17trampoline_kernelINS0_14default_configENS1_22reduce_config_selectorIN6thrust23THRUST_200600_302600_NS5tupleIblNS6_9null_typeES8_S8_S8_S8_S8_S8_S8_EEEEZNS1_11reduce_implILb1ES3_NS6_12zip_iteratorINS7_INS6_11hip_rocprim26transform_input_iterator_tIbNSD_35transform_pair_of_input_iterators_tIbNS6_6detail15normal_iteratorINS6_10device_ptrIKxEEEESL_NS6_8equal_toIxEEEENSG_9not_fun_tINSD_8identityEEEEENSD_19counting_iterator_tIlEES8_S8_S8_S8_S8_S8_S8_S8_EEEEPS9_S9_NSD_9__find_if7functorIS9_EEEE10hipError_tPvRmT1_T2_T3_mT4_P12ihipStream_tbEUlT_E1_NS1_11comp_targetILNS1_3genE3ELNS1_11target_archE908ELNS1_3gpuE7ELNS1_3repE0EEENS1_30default_config_static_selectorELNS0_4arch9wavefront6targetE0EEEvS14_: ; @_ZN7rocprim17ROCPRIM_400000_NS6detail17trampoline_kernelINS0_14default_configENS1_22reduce_config_selectorIN6thrust23THRUST_200600_302600_NS5tupleIblNS6_9null_typeES8_S8_S8_S8_S8_S8_S8_EEEEZNS1_11reduce_implILb1ES3_NS6_12zip_iteratorINS7_INS6_11hip_rocprim26transform_input_iterator_tIbNSD_35transform_pair_of_input_iterators_tIbNS6_6detail15normal_iteratorINS6_10device_ptrIKxEEEESL_NS6_8equal_toIxEEEENSG_9not_fun_tINSD_8identityEEEEENSD_19counting_iterator_tIlEES8_S8_S8_S8_S8_S8_S8_S8_EEEEPS9_S9_NSD_9__find_if7functorIS9_EEEE10hipError_tPvRmT1_T2_T3_mT4_P12ihipStream_tbEUlT_E1_NS1_11comp_targetILNS1_3genE3ELNS1_11target_archE908ELNS1_3gpuE7ELNS1_3repE0EEENS1_30default_config_static_selectorELNS0_4arch9wavefront6targetE0EEEvS14_
; %bb.0:
	.section	.rodata,"a",@progbits
	.p2align	6, 0x0
	.amdhsa_kernel _ZN7rocprim17ROCPRIM_400000_NS6detail17trampoline_kernelINS0_14default_configENS1_22reduce_config_selectorIN6thrust23THRUST_200600_302600_NS5tupleIblNS6_9null_typeES8_S8_S8_S8_S8_S8_S8_EEEEZNS1_11reduce_implILb1ES3_NS6_12zip_iteratorINS7_INS6_11hip_rocprim26transform_input_iterator_tIbNSD_35transform_pair_of_input_iterators_tIbNS6_6detail15normal_iteratorINS6_10device_ptrIKxEEEESL_NS6_8equal_toIxEEEENSG_9not_fun_tINSD_8identityEEEEENSD_19counting_iterator_tIlEES8_S8_S8_S8_S8_S8_S8_S8_EEEEPS9_S9_NSD_9__find_if7functorIS9_EEEE10hipError_tPvRmT1_T2_T3_mT4_P12ihipStream_tbEUlT_E1_NS1_11comp_targetILNS1_3genE3ELNS1_11target_archE908ELNS1_3gpuE7ELNS1_3repE0EEENS1_30default_config_static_selectorELNS0_4arch9wavefront6targetE0EEEvS14_
		.amdhsa_group_segment_fixed_size 0
		.amdhsa_private_segment_fixed_size 0
		.amdhsa_kernarg_size 88
		.amdhsa_user_sgpr_count 6
		.amdhsa_user_sgpr_private_segment_buffer 1
		.amdhsa_user_sgpr_dispatch_ptr 0
		.amdhsa_user_sgpr_queue_ptr 0
		.amdhsa_user_sgpr_kernarg_segment_ptr 1
		.amdhsa_user_sgpr_dispatch_id 0
		.amdhsa_user_sgpr_flat_scratch_init 0
		.amdhsa_user_sgpr_private_segment_size 0
		.amdhsa_wavefront_size32 1
		.amdhsa_uses_dynamic_stack 0
		.amdhsa_system_sgpr_private_segment_wavefront_offset 0
		.amdhsa_system_sgpr_workgroup_id_x 1
		.amdhsa_system_sgpr_workgroup_id_y 0
		.amdhsa_system_sgpr_workgroup_id_z 0
		.amdhsa_system_sgpr_workgroup_info 0
		.amdhsa_system_vgpr_workitem_id 0
		.amdhsa_next_free_vgpr 1
		.amdhsa_next_free_sgpr 1
		.amdhsa_reserve_vcc 0
		.amdhsa_reserve_flat_scratch 0
		.amdhsa_float_round_mode_32 0
		.amdhsa_float_round_mode_16_64 0
		.amdhsa_float_denorm_mode_32 3
		.amdhsa_float_denorm_mode_16_64 3
		.amdhsa_dx10_clamp 1
		.amdhsa_ieee_mode 1
		.amdhsa_fp16_overflow 0
		.amdhsa_workgroup_processor_mode 1
		.amdhsa_memory_ordered 1
		.amdhsa_forward_progress 1
		.amdhsa_shared_vgpr_count 0
		.amdhsa_exception_fp_ieee_invalid_op 0
		.amdhsa_exception_fp_denorm_src 0
		.amdhsa_exception_fp_ieee_div_zero 0
		.amdhsa_exception_fp_ieee_overflow 0
		.amdhsa_exception_fp_ieee_underflow 0
		.amdhsa_exception_fp_ieee_inexact 0
		.amdhsa_exception_int_div_zero 0
	.end_amdhsa_kernel
	.section	.text._ZN7rocprim17ROCPRIM_400000_NS6detail17trampoline_kernelINS0_14default_configENS1_22reduce_config_selectorIN6thrust23THRUST_200600_302600_NS5tupleIblNS6_9null_typeES8_S8_S8_S8_S8_S8_S8_EEEEZNS1_11reduce_implILb1ES3_NS6_12zip_iteratorINS7_INS6_11hip_rocprim26transform_input_iterator_tIbNSD_35transform_pair_of_input_iterators_tIbNS6_6detail15normal_iteratorINS6_10device_ptrIKxEEEESL_NS6_8equal_toIxEEEENSG_9not_fun_tINSD_8identityEEEEENSD_19counting_iterator_tIlEES8_S8_S8_S8_S8_S8_S8_S8_EEEEPS9_S9_NSD_9__find_if7functorIS9_EEEE10hipError_tPvRmT1_T2_T3_mT4_P12ihipStream_tbEUlT_E1_NS1_11comp_targetILNS1_3genE3ELNS1_11target_archE908ELNS1_3gpuE7ELNS1_3repE0EEENS1_30default_config_static_selectorELNS0_4arch9wavefront6targetE0EEEvS14_,"axG",@progbits,_ZN7rocprim17ROCPRIM_400000_NS6detail17trampoline_kernelINS0_14default_configENS1_22reduce_config_selectorIN6thrust23THRUST_200600_302600_NS5tupleIblNS6_9null_typeES8_S8_S8_S8_S8_S8_S8_EEEEZNS1_11reduce_implILb1ES3_NS6_12zip_iteratorINS7_INS6_11hip_rocprim26transform_input_iterator_tIbNSD_35transform_pair_of_input_iterators_tIbNS6_6detail15normal_iteratorINS6_10device_ptrIKxEEEESL_NS6_8equal_toIxEEEENSG_9not_fun_tINSD_8identityEEEEENSD_19counting_iterator_tIlEES8_S8_S8_S8_S8_S8_S8_S8_EEEEPS9_S9_NSD_9__find_if7functorIS9_EEEE10hipError_tPvRmT1_T2_T3_mT4_P12ihipStream_tbEUlT_E1_NS1_11comp_targetILNS1_3genE3ELNS1_11target_archE908ELNS1_3gpuE7ELNS1_3repE0EEENS1_30default_config_static_selectorELNS0_4arch9wavefront6targetE0EEEvS14_,comdat
.Lfunc_end405:
	.size	_ZN7rocprim17ROCPRIM_400000_NS6detail17trampoline_kernelINS0_14default_configENS1_22reduce_config_selectorIN6thrust23THRUST_200600_302600_NS5tupleIblNS6_9null_typeES8_S8_S8_S8_S8_S8_S8_EEEEZNS1_11reduce_implILb1ES3_NS6_12zip_iteratorINS7_INS6_11hip_rocprim26transform_input_iterator_tIbNSD_35transform_pair_of_input_iterators_tIbNS6_6detail15normal_iteratorINS6_10device_ptrIKxEEEESL_NS6_8equal_toIxEEEENSG_9not_fun_tINSD_8identityEEEEENSD_19counting_iterator_tIlEES8_S8_S8_S8_S8_S8_S8_S8_EEEEPS9_S9_NSD_9__find_if7functorIS9_EEEE10hipError_tPvRmT1_T2_T3_mT4_P12ihipStream_tbEUlT_E1_NS1_11comp_targetILNS1_3genE3ELNS1_11target_archE908ELNS1_3gpuE7ELNS1_3repE0EEENS1_30default_config_static_selectorELNS0_4arch9wavefront6targetE0EEEvS14_, .Lfunc_end405-_ZN7rocprim17ROCPRIM_400000_NS6detail17trampoline_kernelINS0_14default_configENS1_22reduce_config_selectorIN6thrust23THRUST_200600_302600_NS5tupleIblNS6_9null_typeES8_S8_S8_S8_S8_S8_S8_EEEEZNS1_11reduce_implILb1ES3_NS6_12zip_iteratorINS7_INS6_11hip_rocprim26transform_input_iterator_tIbNSD_35transform_pair_of_input_iterators_tIbNS6_6detail15normal_iteratorINS6_10device_ptrIKxEEEESL_NS6_8equal_toIxEEEENSG_9not_fun_tINSD_8identityEEEEENSD_19counting_iterator_tIlEES8_S8_S8_S8_S8_S8_S8_S8_EEEEPS9_S9_NSD_9__find_if7functorIS9_EEEE10hipError_tPvRmT1_T2_T3_mT4_P12ihipStream_tbEUlT_E1_NS1_11comp_targetILNS1_3genE3ELNS1_11target_archE908ELNS1_3gpuE7ELNS1_3repE0EEENS1_30default_config_static_selectorELNS0_4arch9wavefront6targetE0EEEvS14_
                                        ; -- End function
	.set _ZN7rocprim17ROCPRIM_400000_NS6detail17trampoline_kernelINS0_14default_configENS1_22reduce_config_selectorIN6thrust23THRUST_200600_302600_NS5tupleIblNS6_9null_typeES8_S8_S8_S8_S8_S8_S8_EEEEZNS1_11reduce_implILb1ES3_NS6_12zip_iteratorINS7_INS6_11hip_rocprim26transform_input_iterator_tIbNSD_35transform_pair_of_input_iterators_tIbNS6_6detail15normal_iteratorINS6_10device_ptrIKxEEEESL_NS6_8equal_toIxEEEENSG_9not_fun_tINSD_8identityEEEEENSD_19counting_iterator_tIlEES8_S8_S8_S8_S8_S8_S8_S8_EEEEPS9_S9_NSD_9__find_if7functorIS9_EEEE10hipError_tPvRmT1_T2_T3_mT4_P12ihipStream_tbEUlT_E1_NS1_11comp_targetILNS1_3genE3ELNS1_11target_archE908ELNS1_3gpuE7ELNS1_3repE0EEENS1_30default_config_static_selectorELNS0_4arch9wavefront6targetE0EEEvS14_.num_vgpr, 0
	.set _ZN7rocprim17ROCPRIM_400000_NS6detail17trampoline_kernelINS0_14default_configENS1_22reduce_config_selectorIN6thrust23THRUST_200600_302600_NS5tupleIblNS6_9null_typeES8_S8_S8_S8_S8_S8_S8_EEEEZNS1_11reduce_implILb1ES3_NS6_12zip_iteratorINS7_INS6_11hip_rocprim26transform_input_iterator_tIbNSD_35transform_pair_of_input_iterators_tIbNS6_6detail15normal_iteratorINS6_10device_ptrIKxEEEESL_NS6_8equal_toIxEEEENSG_9not_fun_tINSD_8identityEEEEENSD_19counting_iterator_tIlEES8_S8_S8_S8_S8_S8_S8_S8_EEEEPS9_S9_NSD_9__find_if7functorIS9_EEEE10hipError_tPvRmT1_T2_T3_mT4_P12ihipStream_tbEUlT_E1_NS1_11comp_targetILNS1_3genE3ELNS1_11target_archE908ELNS1_3gpuE7ELNS1_3repE0EEENS1_30default_config_static_selectorELNS0_4arch9wavefront6targetE0EEEvS14_.num_agpr, 0
	.set _ZN7rocprim17ROCPRIM_400000_NS6detail17trampoline_kernelINS0_14default_configENS1_22reduce_config_selectorIN6thrust23THRUST_200600_302600_NS5tupleIblNS6_9null_typeES8_S8_S8_S8_S8_S8_S8_EEEEZNS1_11reduce_implILb1ES3_NS6_12zip_iteratorINS7_INS6_11hip_rocprim26transform_input_iterator_tIbNSD_35transform_pair_of_input_iterators_tIbNS6_6detail15normal_iteratorINS6_10device_ptrIKxEEEESL_NS6_8equal_toIxEEEENSG_9not_fun_tINSD_8identityEEEEENSD_19counting_iterator_tIlEES8_S8_S8_S8_S8_S8_S8_S8_EEEEPS9_S9_NSD_9__find_if7functorIS9_EEEE10hipError_tPvRmT1_T2_T3_mT4_P12ihipStream_tbEUlT_E1_NS1_11comp_targetILNS1_3genE3ELNS1_11target_archE908ELNS1_3gpuE7ELNS1_3repE0EEENS1_30default_config_static_selectorELNS0_4arch9wavefront6targetE0EEEvS14_.numbered_sgpr, 0
	.set _ZN7rocprim17ROCPRIM_400000_NS6detail17trampoline_kernelINS0_14default_configENS1_22reduce_config_selectorIN6thrust23THRUST_200600_302600_NS5tupleIblNS6_9null_typeES8_S8_S8_S8_S8_S8_S8_EEEEZNS1_11reduce_implILb1ES3_NS6_12zip_iteratorINS7_INS6_11hip_rocprim26transform_input_iterator_tIbNSD_35transform_pair_of_input_iterators_tIbNS6_6detail15normal_iteratorINS6_10device_ptrIKxEEEESL_NS6_8equal_toIxEEEENSG_9not_fun_tINSD_8identityEEEEENSD_19counting_iterator_tIlEES8_S8_S8_S8_S8_S8_S8_S8_EEEEPS9_S9_NSD_9__find_if7functorIS9_EEEE10hipError_tPvRmT1_T2_T3_mT4_P12ihipStream_tbEUlT_E1_NS1_11comp_targetILNS1_3genE3ELNS1_11target_archE908ELNS1_3gpuE7ELNS1_3repE0EEENS1_30default_config_static_selectorELNS0_4arch9wavefront6targetE0EEEvS14_.num_named_barrier, 0
	.set _ZN7rocprim17ROCPRIM_400000_NS6detail17trampoline_kernelINS0_14default_configENS1_22reduce_config_selectorIN6thrust23THRUST_200600_302600_NS5tupleIblNS6_9null_typeES8_S8_S8_S8_S8_S8_S8_EEEEZNS1_11reduce_implILb1ES3_NS6_12zip_iteratorINS7_INS6_11hip_rocprim26transform_input_iterator_tIbNSD_35transform_pair_of_input_iterators_tIbNS6_6detail15normal_iteratorINS6_10device_ptrIKxEEEESL_NS6_8equal_toIxEEEENSG_9not_fun_tINSD_8identityEEEEENSD_19counting_iterator_tIlEES8_S8_S8_S8_S8_S8_S8_S8_EEEEPS9_S9_NSD_9__find_if7functorIS9_EEEE10hipError_tPvRmT1_T2_T3_mT4_P12ihipStream_tbEUlT_E1_NS1_11comp_targetILNS1_3genE3ELNS1_11target_archE908ELNS1_3gpuE7ELNS1_3repE0EEENS1_30default_config_static_selectorELNS0_4arch9wavefront6targetE0EEEvS14_.private_seg_size, 0
	.set _ZN7rocprim17ROCPRIM_400000_NS6detail17trampoline_kernelINS0_14default_configENS1_22reduce_config_selectorIN6thrust23THRUST_200600_302600_NS5tupleIblNS6_9null_typeES8_S8_S8_S8_S8_S8_S8_EEEEZNS1_11reduce_implILb1ES3_NS6_12zip_iteratorINS7_INS6_11hip_rocprim26transform_input_iterator_tIbNSD_35transform_pair_of_input_iterators_tIbNS6_6detail15normal_iteratorINS6_10device_ptrIKxEEEESL_NS6_8equal_toIxEEEENSG_9not_fun_tINSD_8identityEEEEENSD_19counting_iterator_tIlEES8_S8_S8_S8_S8_S8_S8_S8_EEEEPS9_S9_NSD_9__find_if7functorIS9_EEEE10hipError_tPvRmT1_T2_T3_mT4_P12ihipStream_tbEUlT_E1_NS1_11comp_targetILNS1_3genE3ELNS1_11target_archE908ELNS1_3gpuE7ELNS1_3repE0EEENS1_30default_config_static_selectorELNS0_4arch9wavefront6targetE0EEEvS14_.uses_vcc, 0
	.set _ZN7rocprim17ROCPRIM_400000_NS6detail17trampoline_kernelINS0_14default_configENS1_22reduce_config_selectorIN6thrust23THRUST_200600_302600_NS5tupleIblNS6_9null_typeES8_S8_S8_S8_S8_S8_S8_EEEEZNS1_11reduce_implILb1ES3_NS6_12zip_iteratorINS7_INS6_11hip_rocprim26transform_input_iterator_tIbNSD_35transform_pair_of_input_iterators_tIbNS6_6detail15normal_iteratorINS6_10device_ptrIKxEEEESL_NS6_8equal_toIxEEEENSG_9not_fun_tINSD_8identityEEEEENSD_19counting_iterator_tIlEES8_S8_S8_S8_S8_S8_S8_S8_EEEEPS9_S9_NSD_9__find_if7functorIS9_EEEE10hipError_tPvRmT1_T2_T3_mT4_P12ihipStream_tbEUlT_E1_NS1_11comp_targetILNS1_3genE3ELNS1_11target_archE908ELNS1_3gpuE7ELNS1_3repE0EEENS1_30default_config_static_selectorELNS0_4arch9wavefront6targetE0EEEvS14_.uses_flat_scratch, 0
	.set _ZN7rocprim17ROCPRIM_400000_NS6detail17trampoline_kernelINS0_14default_configENS1_22reduce_config_selectorIN6thrust23THRUST_200600_302600_NS5tupleIblNS6_9null_typeES8_S8_S8_S8_S8_S8_S8_EEEEZNS1_11reduce_implILb1ES3_NS6_12zip_iteratorINS7_INS6_11hip_rocprim26transform_input_iterator_tIbNSD_35transform_pair_of_input_iterators_tIbNS6_6detail15normal_iteratorINS6_10device_ptrIKxEEEESL_NS6_8equal_toIxEEEENSG_9not_fun_tINSD_8identityEEEEENSD_19counting_iterator_tIlEES8_S8_S8_S8_S8_S8_S8_S8_EEEEPS9_S9_NSD_9__find_if7functorIS9_EEEE10hipError_tPvRmT1_T2_T3_mT4_P12ihipStream_tbEUlT_E1_NS1_11comp_targetILNS1_3genE3ELNS1_11target_archE908ELNS1_3gpuE7ELNS1_3repE0EEENS1_30default_config_static_selectorELNS0_4arch9wavefront6targetE0EEEvS14_.has_dyn_sized_stack, 0
	.set _ZN7rocprim17ROCPRIM_400000_NS6detail17trampoline_kernelINS0_14default_configENS1_22reduce_config_selectorIN6thrust23THRUST_200600_302600_NS5tupleIblNS6_9null_typeES8_S8_S8_S8_S8_S8_S8_EEEEZNS1_11reduce_implILb1ES3_NS6_12zip_iteratorINS7_INS6_11hip_rocprim26transform_input_iterator_tIbNSD_35transform_pair_of_input_iterators_tIbNS6_6detail15normal_iteratorINS6_10device_ptrIKxEEEESL_NS6_8equal_toIxEEEENSG_9not_fun_tINSD_8identityEEEEENSD_19counting_iterator_tIlEES8_S8_S8_S8_S8_S8_S8_S8_EEEEPS9_S9_NSD_9__find_if7functorIS9_EEEE10hipError_tPvRmT1_T2_T3_mT4_P12ihipStream_tbEUlT_E1_NS1_11comp_targetILNS1_3genE3ELNS1_11target_archE908ELNS1_3gpuE7ELNS1_3repE0EEENS1_30default_config_static_selectorELNS0_4arch9wavefront6targetE0EEEvS14_.has_recursion, 0
	.set _ZN7rocprim17ROCPRIM_400000_NS6detail17trampoline_kernelINS0_14default_configENS1_22reduce_config_selectorIN6thrust23THRUST_200600_302600_NS5tupleIblNS6_9null_typeES8_S8_S8_S8_S8_S8_S8_EEEEZNS1_11reduce_implILb1ES3_NS6_12zip_iteratorINS7_INS6_11hip_rocprim26transform_input_iterator_tIbNSD_35transform_pair_of_input_iterators_tIbNS6_6detail15normal_iteratorINS6_10device_ptrIKxEEEESL_NS6_8equal_toIxEEEENSG_9not_fun_tINSD_8identityEEEEENSD_19counting_iterator_tIlEES8_S8_S8_S8_S8_S8_S8_S8_EEEEPS9_S9_NSD_9__find_if7functorIS9_EEEE10hipError_tPvRmT1_T2_T3_mT4_P12ihipStream_tbEUlT_E1_NS1_11comp_targetILNS1_3genE3ELNS1_11target_archE908ELNS1_3gpuE7ELNS1_3repE0EEENS1_30default_config_static_selectorELNS0_4arch9wavefront6targetE0EEEvS14_.has_indirect_call, 0
	.section	.AMDGPU.csdata,"",@progbits
; Kernel info:
; codeLenInByte = 0
; TotalNumSgprs: 0
; NumVgprs: 0
; ScratchSize: 0
; MemoryBound: 0
; FloatMode: 240
; IeeeMode: 1
; LDSByteSize: 0 bytes/workgroup (compile time only)
; SGPRBlocks: 0
; VGPRBlocks: 0
; NumSGPRsForWavesPerEU: 1
; NumVGPRsForWavesPerEU: 1
; Occupancy: 16
; WaveLimiterHint : 0
; COMPUTE_PGM_RSRC2:SCRATCH_EN: 0
; COMPUTE_PGM_RSRC2:USER_SGPR: 6
; COMPUTE_PGM_RSRC2:TRAP_HANDLER: 0
; COMPUTE_PGM_RSRC2:TGID_X_EN: 1
; COMPUTE_PGM_RSRC2:TGID_Y_EN: 0
; COMPUTE_PGM_RSRC2:TGID_Z_EN: 0
; COMPUTE_PGM_RSRC2:TIDIG_COMP_CNT: 0
	.section	.text._ZN7rocprim17ROCPRIM_400000_NS6detail17trampoline_kernelINS0_14default_configENS1_22reduce_config_selectorIN6thrust23THRUST_200600_302600_NS5tupleIblNS6_9null_typeES8_S8_S8_S8_S8_S8_S8_EEEEZNS1_11reduce_implILb1ES3_NS6_12zip_iteratorINS7_INS6_11hip_rocprim26transform_input_iterator_tIbNSD_35transform_pair_of_input_iterators_tIbNS6_6detail15normal_iteratorINS6_10device_ptrIKxEEEESL_NS6_8equal_toIxEEEENSG_9not_fun_tINSD_8identityEEEEENSD_19counting_iterator_tIlEES8_S8_S8_S8_S8_S8_S8_S8_EEEEPS9_S9_NSD_9__find_if7functorIS9_EEEE10hipError_tPvRmT1_T2_T3_mT4_P12ihipStream_tbEUlT_E1_NS1_11comp_targetILNS1_3genE2ELNS1_11target_archE906ELNS1_3gpuE6ELNS1_3repE0EEENS1_30default_config_static_selectorELNS0_4arch9wavefront6targetE0EEEvS14_,"axG",@progbits,_ZN7rocprim17ROCPRIM_400000_NS6detail17trampoline_kernelINS0_14default_configENS1_22reduce_config_selectorIN6thrust23THRUST_200600_302600_NS5tupleIblNS6_9null_typeES8_S8_S8_S8_S8_S8_S8_EEEEZNS1_11reduce_implILb1ES3_NS6_12zip_iteratorINS7_INS6_11hip_rocprim26transform_input_iterator_tIbNSD_35transform_pair_of_input_iterators_tIbNS6_6detail15normal_iteratorINS6_10device_ptrIKxEEEESL_NS6_8equal_toIxEEEENSG_9not_fun_tINSD_8identityEEEEENSD_19counting_iterator_tIlEES8_S8_S8_S8_S8_S8_S8_S8_EEEEPS9_S9_NSD_9__find_if7functorIS9_EEEE10hipError_tPvRmT1_T2_T3_mT4_P12ihipStream_tbEUlT_E1_NS1_11comp_targetILNS1_3genE2ELNS1_11target_archE906ELNS1_3gpuE6ELNS1_3repE0EEENS1_30default_config_static_selectorELNS0_4arch9wavefront6targetE0EEEvS14_,comdat
	.protected	_ZN7rocprim17ROCPRIM_400000_NS6detail17trampoline_kernelINS0_14default_configENS1_22reduce_config_selectorIN6thrust23THRUST_200600_302600_NS5tupleIblNS6_9null_typeES8_S8_S8_S8_S8_S8_S8_EEEEZNS1_11reduce_implILb1ES3_NS6_12zip_iteratorINS7_INS6_11hip_rocprim26transform_input_iterator_tIbNSD_35transform_pair_of_input_iterators_tIbNS6_6detail15normal_iteratorINS6_10device_ptrIKxEEEESL_NS6_8equal_toIxEEEENSG_9not_fun_tINSD_8identityEEEEENSD_19counting_iterator_tIlEES8_S8_S8_S8_S8_S8_S8_S8_EEEEPS9_S9_NSD_9__find_if7functorIS9_EEEE10hipError_tPvRmT1_T2_T3_mT4_P12ihipStream_tbEUlT_E1_NS1_11comp_targetILNS1_3genE2ELNS1_11target_archE906ELNS1_3gpuE6ELNS1_3repE0EEENS1_30default_config_static_selectorELNS0_4arch9wavefront6targetE0EEEvS14_ ; -- Begin function _ZN7rocprim17ROCPRIM_400000_NS6detail17trampoline_kernelINS0_14default_configENS1_22reduce_config_selectorIN6thrust23THRUST_200600_302600_NS5tupleIblNS6_9null_typeES8_S8_S8_S8_S8_S8_S8_EEEEZNS1_11reduce_implILb1ES3_NS6_12zip_iteratorINS7_INS6_11hip_rocprim26transform_input_iterator_tIbNSD_35transform_pair_of_input_iterators_tIbNS6_6detail15normal_iteratorINS6_10device_ptrIKxEEEESL_NS6_8equal_toIxEEEENSG_9not_fun_tINSD_8identityEEEEENSD_19counting_iterator_tIlEES8_S8_S8_S8_S8_S8_S8_S8_EEEEPS9_S9_NSD_9__find_if7functorIS9_EEEE10hipError_tPvRmT1_T2_T3_mT4_P12ihipStream_tbEUlT_E1_NS1_11comp_targetILNS1_3genE2ELNS1_11target_archE906ELNS1_3gpuE6ELNS1_3repE0EEENS1_30default_config_static_selectorELNS0_4arch9wavefront6targetE0EEEvS14_
	.globl	_ZN7rocprim17ROCPRIM_400000_NS6detail17trampoline_kernelINS0_14default_configENS1_22reduce_config_selectorIN6thrust23THRUST_200600_302600_NS5tupleIblNS6_9null_typeES8_S8_S8_S8_S8_S8_S8_EEEEZNS1_11reduce_implILb1ES3_NS6_12zip_iteratorINS7_INS6_11hip_rocprim26transform_input_iterator_tIbNSD_35transform_pair_of_input_iterators_tIbNS6_6detail15normal_iteratorINS6_10device_ptrIKxEEEESL_NS6_8equal_toIxEEEENSG_9not_fun_tINSD_8identityEEEEENSD_19counting_iterator_tIlEES8_S8_S8_S8_S8_S8_S8_S8_EEEEPS9_S9_NSD_9__find_if7functorIS9_EEEE10hipError_tPvRmT1_T2_T3_mT4_P12ihipStream_tbEUlT_E1_NS1_11comp_targetILNS1_3genE2ELNS1_11target_archE906ELNS1_3gpuE6ELNS1_3repE0EEENS1_30default_config_static_selectorELNS0_4arch9wavefront6targetE0EEEvS14_
	.p2align	8
	.type	_ZN7rocprim17ROCPRIM_400000_NS6detail17trampoline_kernelINS0_14default_configENS1_22reduce_config_selectorIN6thrust23THRUST_200600_302600_NS5tupleIblNS6_9null_typeES8_S8_S8_S8_S8_S8_S8_EEEEZNS1_11reduce_implILb1ES3_NS6_12zip_iteratorINS7_INS6_11hip_rocprim26transform_input_iterator_tIbNSD_35transform_pair_of_input_iterators_tIbNS6_6detail15normal_iteratorINS6_10device_ptrIKxEEEESL_NS6_8equal_toIxEEEENSG_9not_fun_tINSD_8identityEEEEENSD_19counting_iterator_tIlEES8_S8_S8_S8_S8_S8_S8_S8_EEEEPS9_S9_NSD_9__find_if7functorIS9_EEEE10hipError_tPvRmT1_T2_T3_mT4_P12ihipStream_tbEUlT_E1_NS1_11comp_targetILNS1_3genE2ELNS1_11target_archE906ELNS1_3gpuE6ELNS1_3repE0EEENS1_30default_config_static_selectorELNS0_4arch9wavefront6targetE0EEEvS14_,@function
_ZN7rocprim17ROCPRIM_400000_NS6detail17trampoline_kernelINS0_14default_configENS1_22reduce_config_selectorIN6thrust23THRUST_200600_302600_NS5tupleIblNS6_9null_typeES8_S8_S8_S8_S8_S8_S8_EEEEZNS1_11reduce_implILb1ES3_NS6_12zip_iteratorINS7_INS6_11hip_rocprim26transform_input_iterator_tIbNSD_35transform_pair_of_input_iterators_tIbNS6_6detail15normal_iteratorINS6_10device_ptrIKxEEEESL_NS6_8equal_toIxEEEENSG_9not_fun_tINSD_8identityEEEEENSD_19counting_iterator_tIlEES8_S8_S8_S8_S8_S8_S8_S8_EEEEPS9_S9_NSD_9__find_if7functorIS9_EEEE10hipError_tPvRmT1_T2_T3_mT4_P12ihipStream_tbEUlT_E1_NS1_11comp_targetILNS1_3genE2ELNS1_11target_archE906ELNS1_3gpuE6ELNS1_3repE0EEENS1_30default_config_static_selectorELNS0_4arch9wavefront6targetE0EEEvS14_: ; @_ZN7rocprim17ROCPRIM_400000_NS6detail17trampoline_kernelINS0_14default_configENS1_22reduce_config_selectorIN6thrust23THRUST_200600_302600_NS5tupleIblNS6_9null_typeES8_S8_S8_S8_S8_S8_S8_EEEEZNS1_11reduce_implILb1ES3_NS6_12zip_iteratorINS7_INS6_11hip_rocprim26transform_input_iterator_tIbNSD_35transform_pair_of_input_iterators_tIbNS6_6detail15normal_iteratorINS6_10device_ptrIKxEEEESL_NS6_8equal_toIxEEEENSG_9not_fun_tINSD_8identityEEEEENSD_19counting_iterator_tIlEES8_S8_S8_S8_S8_S8_S8_S8_EEEEPS9_S9_NSD_9__find_if7functorIS9_EEEE10hipError_tPvRmT1_T2_T3_mT4_P12ihipStream_tbEUlT_E1_NS1_11comp_targetILNS1_3genE2ELNS1_11target_archE906ELNS1_3gpuE6ELNS1_3repE0EEENS1_30default_config_static_selectorELNS0_4arch9wavefront6targetE0EEEvS14_
; %bb.0:
	.section	.rodata,"a",@progbits
	.p2align	6, 0x0
	.amdhsa_kernel _ZN7rocprim17ROCPRIM_400000_NS6detail17trampoline_kernelINS0_14default_configENS1_22reduce_config_selectorIN6thrust23THRUST_200600_302600_NS5tupleIblNS6_9null_typeES8_S8_S8_S8_S8_S8_S8_EEEEZNS1_11reduce_implILb1ES3_NS6_12zip_iteratorINS7_INS6_11hip_rocprim26transform_input_iterator_tIbNSD_35transform_pair_of_input_iterators_tIbNS6_6detail15normal_iteratorINS6_10device_ptrIKxEEEESL_NS6_8equal_toIxEEEENSG_9not_fun_tINSD_8identityEEEEENSD_19counting_iterator_tIlEES8_S8_S8_S8_S8_S8_S8_S8_EEEEPS9_S9_NSD_9__find_if7functorIS9_EEEE10hipError_tPvRmT1_T2_T3_mT4_P12ihipStream_tbEUlT_E1_NS1_11comp_targetILNS1_3genE2ELNS1_11target_archE906ELNS1_3gpuE6ELNS1_3repE0EEENS1_30default_config_static_selectorELNS0_4arch9wavefront6targetE0EEEvS14_
		.amdhsa_group_segment_fixed_size 0
		.amdhsa_private_segment_fixed_size 0
		.amdhsa_kernarg_size 88
		.amdhsa_user_sgpr_count 6
		.amdhsa_user_sgpr_private_segment_buffer 1
		.amdhsa_user_sgpr_dispatch_ptr 0
		.amdhsa_user_sgpr_queue_ptr 0
		.amdhsa_user_sgpr_kernarg_segment_ptr 1
		.amdhsa_user_sgpr_dispatch_id 0
		.amdhsa_user_sgpr_flat_scratch_init 0
		.amdhsa_user_sgpr_private_segment_size 0
		.amdhsa_wavefront_size32 1
		.amdhsa_uses_dynamic_stack 0
		.amdhsa_system_sgpr_private_segment_wavefront_offset 0
		.amdhsa_system_sgpr_workgroup_id_x 1
		.amdhsa_system_sgpr_workgroup_id_y 0
		.amdhsa_system_sgpr_workgroup_id_z 0
		.amdhsa_system_sgpr_workgroup_info 0
		.amdhsa_system_vgpr_workitem_id 0
		.amdhsa_next_free_vgpr 1
		.amdhsa_next_free_sgpr 1
		.amdhsa_reserve_vcc 0
		.amdhsa_reserve_flat_scratch 0
		.amdhsa_float_round_mode_32 0
		.amdhsa_float_round_mode_16_64 0
		.amdhsa_float_denorm_mode_32 3
		.amdhsa_float_denorm_mode_16_64 3
		.amdhsa_dx10_clamp 1
		.amdhsa_ieee_mode 1
		.amdhsa_fp16_overflow 0
		.amdhsa_workgroup_processor_mode 1
		.amdhsa_memory_ordered 1
		.amdhsa_forward_progress 1
		.amdhsa_shared_vgpr_count 0
		.amdhsa_exception_fp_ieee_invalid_op 0
		.amdhsa_exception_fp_denorm_src 0
		.amdhsa_exception_fp_ieee_div_zero 0
		.amdhsa_exception_fp_ieee_overflow 0
		.amdhsa_exception_fp_ieee_underflow 0
		.amdhsa_exception_fp_ieee_inexact 0
		.amdhsa_exception_int_div_zero 0
	.end_amdhsa_kernel
	.section	.text._ZN7rocprim17ROCPRIM_400000_NS6detail17trampoline_kernelINS0_14default_configENS1_22reduce_config_selectorIN6thrust23THRUST_200600_302600_NS5tupleIblNS6_9null_typeES8_S8_S8_S8_S8_S8_S8_EEEEZNS1_11reduce_implILb1ES3_NS6_12zip_iteratorINS7_INS6_11hip_rocprim26transform_input_iterator_tIbNSD_35transform_pair_of_input_iterators_tIbNS6_6detail15normal_iteratorINS6_10device_ptrIKxEEEESL_NS6_8equal_toIxEEEENSG_9not_fun_tINSD_8identityEEEEENSD_19counting_iterator_tIlEES8_S8_S8_S8_S8_S8_S8_S8_EEEEPS9_S9_NSD_9__find_if7functorIS9_EEEE10hipError_tPvRmT1_T2_T3_mT4_P12ihipStream_tbEUlT_E1_NS1_11comp_targetILNS1_3genE2ELNS1_11target_archE906ELNS1_3gpuE6ELNS1_3repE0EEENS1_30default_config_static_selectorELNS0_4arch9wavefront6targetE0EEEvS14_,"axG",@progbits,_ZN7rocprim17ROCPRIM_400000_NS6detail17trampoline_kernelINS0_14default_configENS1_22reduce_config_selectorIN6thrust23THRUST_200600_302600_NS5tupleIblNS6_9null_typeES8_S8_S8_S8_S8_S8_S8_EEEEZNS1_11reduce_implILb1ES3_NS6_12zip_iteratorINS7_INS6_11hip_rocprim26transform_input_iterator_tIbNSD_35transform_pair_of_input_iterators_tIbNS6_6detail15normal_iteratorINS6_10device_ptrIKxEEEESL_NS6_8equal_toIxEEEENSG_9not_fun_tINSD_8identityEEEEENSD_19counting_iterator_tIlEES8_S8_S8_S8_S8_S8_S8_S8_EEEEPS9_S9_NSD_9__find_if7functorIS9_EEEE10hipError_tPvRmT1_T2_T3_mT4_P12ihipStream_tbEUlT_E1_NS1_11comp_targetILNS1_3genE2ELNS1_11target_archE906ELNS1_3gpuE6ELNS1_3repE0EEENS1_30default_config_static_selectorELNS0_4arch9wavefront6targetE0EEEvS14_,comdat
.Lfunc_end406:
	.size	_ZN7rocprim17ROCPRIM_400000_NS6detail17trampoline_kernelINS0_14default_configENS1_22reduce_config_selectorIN6thrust23THRUST_200600_302600_NS5tupleIblNS6_9null_typeES8_S8_S8_S8_S8_S8_S8_EEEEZNS1_11reduce_implILb1ES3_NS6_12zip_iteratorINS7_INS6_11hip_rocprim26transform_input_iterator_tIbNSD_35transform_pair_of_input_iterators_tIbNS6_6detail15normal_iteratorINS6_10device_ptrIKxEEEESL_NS6_8equal_toIxEEEENSG_9not_fun_tINSD_8identityEEEEENSD_19counting_iterator_tIlEES8_S8_S8_S8_S8_S8_S8_S8_EEEEPS9_S9_NSD_9__find_if7functorIS9_EEEE10hipError_tPvRmT1_T2_T3_mT4_P12ihipStream_tbEUlT_E1_NS1_11comp_targetILNS1_3genE2ELNS1_11target_archE906ELNS1_3gpuE6ELNS1_3repE0EEENS1_30default_config_static_selectorELNS0_4arch9wavefront6targetE0EEEvS14_, .Lfunc_end406-_ZN7rocprim17ROCPRIM_400000_NS6detail17trampoline_kernelINS0_14default_configENS1_22reduce_config_selectorIN6thrust23THRUST_200600_302600_NS5tupleIblNS6_9null_typeES8_S8_S8_S8_S8_S8_S8_EEEEZNS1_11reduce_implILb1ES3_NS6_12zip_iteratorINS7_INS6_11hip_rocprim26transform_input_iterator_tIbNSD_35transform_pair_of_input_iterators_tIbNS6_6detail15normal_iteratorINS6_10device_ptrIKxEEEESL_NS6_8equal_toIxEEEENSG_9not_fun_tINSD_8identityEEEEENSD_19counting_iterator_tIlEES8_S8_S8_S8_S8_S8_S8_S8_EEEEPS9_S9_NSD_9__find_if7functorIS9_EEEE10hipError_tPvRmT1_T2_T3_mT4_P12ihipStream_tbEUlT_E1_NS1_11comp_targetILNS1_3genE2ELNS1_11target_archE906ELNS1_3gpuE6ELNS1_3repE0EEENS1_30default_config_static_selectorELNS0_4arch9wavefront6targetE0EEEvS14_
                                        ; -- End function
	.set _ZN7rocprim17ROCPRIM_400000_NS6detail17trampoline_kernelINS0_14default_configENS1_22reduce_config_selectorIN6thrust23THRUST_200600_302600_NS5tupleIblNS6_9null_typeES8_S8_S8_S8_S8_S8_S8_EEEEZNS1_11reduce_implILb1ES3_NS6_12zip_iteratorINS7_INS6_11hip_rocprim26transform_input_iterator_tIbNSD_35transform_pair_of_input_iterators_tIbNS6_6detail15normal_iteratorINS6_10device_ptrIKxEEEESL_NS6_8equal_toIxEEEENSG_9not_fun_tINSD_8identityEEEEENSD_19counting_iterator_tIlEES8_S8_S8_S8_S8_S8_S8_S8_EEEEPS9_S9_NSD_9__find_if7functorIS9_EEEE10hipError_tPvRmT1_T2_T3_mT4_P12ihipStream_tbEUlT_E1_NS1_11comp_targetILNS1_3genE2ELNS1_11target_archE906ELNS1_3gpuE6ELNS1_3repE0EEENS1_30default_config_static_selectorELNS0_4arch9wavefront6targetE0EEEvS14_.num_vgpr, 0
	.set _ZN7rocprim17ROCPRIM_400000_NS6detail17trampoline_kernelINS0_14default_configENS1_22reduce_config_selectorIN6thrust23THRUST_200600_302600_NS5tupleIblNS6_9null_typeES8_S8_S8_S8_S8_S8_S8_EEEEZNS1_11reduce_implILb1ES3_NS6_12zip_iteratorINS7_INS6_11hip_rocprim26transform_input_iterator_tIbNSD_35transform_pair_of_input_iterators_tIbNS6_6detail15normal_iteratorINS6_10device_ptrIKxEEEESL_NS6_8equal_toIxEEEENSG_9not_fun_tINSD_8identityEEEEENSD_19counting_iterator_tIlEES8_S8_S8_S8_S8_S8_S8_S8_EEEEPS9_S9_NSD_9__find_if7functorIS9_EEEE10hipError_tPvRmT1_T2_T3_mT4_P12ihipStream_tbEUlT_E1_NS1_11comp_targetILNS1_3genE2ELNS1_11target_archE906ELNS1_3gpuE6ELNS1_3repE0EEENS1_30default_config_static_selectorELNS0_4arch9wavefront6targetE0EEEvS14_.num_agpr, 0
	.set _ZN7rocprim17ROCPRIM_400000_NS6detail17trampoline_kernelINS0_14default_configENS1_22reduce_config_selectorIN6thrust23THRUST_200600_302600_NS5tupleIblNS6_9null_typeES8_S8_S8_S8_S8_S8_S8_EEEEZNS1_11reduce_implILb1ES3_NS6_12zip_iteratorINS7_INS6_11hip_rocprim26transform_input_iterator_tIbNSD_35transform_pair_of_input_iterators_tIbNS6_6detail15normal_iteratorINS6_10device_ptrIKxEEEESL_NS6_8equal_toIxEEEENSG_9not_fun_tINSD_8identityEEEEENSD_19counting_iterator_tIlEES8_S8_S8_S8_S8_S8_S8_S8_EEEEPS9_S9_NSD_9__find_if7functorIS9_EEEE10hipError_tPvRmT1_T2_T3_mT4_P12ihipStream_tbEUlT_E1_NS1_11comp_targetILNS1_3genE2ELNS1_11target_archE906ELNS1_3gpuE6ELNS1_3repE0EEENS1_30default_config_static_selectorELNS0_4arch9wavefront6targetE0EEEvS14_.numbered_sgpr, 0
	.set _ZN7rocprim17ROCPRIM_400000_NS6detail17trampoline_kernelINS0_14default_configENS1_22reduce_config_selectorIN6thrust23THRUST_200600_302600_NS5tupleIblNS6_9null_typeES8_S8_S8_S8_S8_S8_S8_EEEEZNS1_11reduce_implILb1ES3_NS6_12zip_iteratorINS7_INS6_11hip_rocprim26transform_input_iterator_tIbNSD_35transform_pair_of_input_iterators_tIbNS6_6detail15normal_iteratorINS6_10device_ptrIKxEEEESL_NS6_8equal_toIxEEEENSG_9not_fun_tINSD_8identityEEEEENSD_19counting_iterator_tIlEES8_S8_S8_S8_S8_S8_S8_S8_EEEEPS9_S9_NSD_9__find_if7functorIS9_EEEE10hipError_tPvRmT1_T2_T3_mT4_P12ihipStream_tbEUlT_E1_NS1_11comp_targetILNS1_3genE2ELNS1_11target_archE906ELNS1_3gpuE6ELNS1_3repE0EEENS1_30default_config_static_selectorELNS0_4arch9wavefront6targetE0EEEvS14_.num_named_barrier, 0
	.set _ZN7rocprim17ROCPRIM_400000_NS6detail17trampoline_kernelINS0_14default_configENS1_22reduce_config_selectorIN6thrust23THRUST_200600_302600_NS5tupleIblNS6_9null_typeES8_S8_S8_S8_S8_S8_S8_EEEEZNS1_11reduce_implILb1ES3_NS6_12zip_iteratorINS7_INS6_11hip_rocprim26transform_input_iterator_tIbNSD_35transform_pair_of_input_iterators_tIbNS6_6detail15normal_iteratorINS6_10device_ptrIKxEEEESL_NS6_8equal_toIxEEEENSG_9not_fun_tINSD_8identityEEEEENSD_19counting_iterator_tIlEES8_S8_S8_S8_S8_S8_S8_S8_EEEEPS9_S9_NSD_9__find_if7functorIS9_EEEE10hipError_tPvRmT1_T2_T3_mT4_P12ihipStream_tbEUlT_E1_NS1_11comp_targetILNS1_3genE2ELNS1_11target_archE906ELNS1_3gpuE6ELNS1_3repE0EEENS1_30default_config_static_selectorELNS0_4arch9wavefront6targetE0EEEvS14_.private_seg_size, 0
	.set _ZN7rocprim17ROCPRIM_400000_NS6detail17trampoline_kernelINS0_14default_configENS1_22reduce_config_selectorIN6thrust23THRUST_200600_302600_NS5tupleIblNS6_9null_typeES8_S8_S8_S8_S8_S8_S8_EEEEZNS1_11reduce_implILb1ES3_NS6_12zip_iteratorINS7_INS6_11hip_rocprim26transform_input_iterator_tIbNSD_35transform_pair_of_input_iterators_tIbNS6_6detail15normal_iteratorINS6_10device_ptrIKxEEEESL_NS6_8equal_toIxEEEENSG_9not_fun_tINSD_8identityEEEEENSD_19counting_iterator_tIlEES8_S8_S8_S8_S8_S8_S8_S8_EEEEPS9_S9_NSD_9__find_if7functorIS9_EEEE10hipError_tPvRmT1_T2_T3_mT4_P12ihipStream_tbEUlT_E1_NS1_11comp_targetILNS1_3genE2ELNS1_11target_archE906ELNS1_3gpuE6ELNS1_3repE0EEENS1_30default_config_static_selectorELNS0_4arch9wavefront6targetE0EEEvS14_.uses_vcc, 0
	.set _ZN7rocprim17ROCPRIM_400000_NS6detail17trampoline_kernelINS0_14default_configENS1_22reduce_config_selectorIN6thrust23THRUST_200600_302600_NS5tupleIblNS6_9null_typeES8_S8_S8_S8_S8_S8_S8_EEEEZNS1_11reduce_implILb1ES3_NS6_12zip_iteratorINS7_INS6_11hip_rocprim26transform_input_iterator_tIbNSD_35transform_pair_of_input_iterators_tIbNS6_6detail15normal_iteratorINS6_10device_ptrIKxEEEESL_NS6_8equal_toIxEEEENSG_9not_fun_tINSD_8identityEEEEENSD_19counting_iterator_tIlEES8_S8_S8_S8_S8_S8_S8_S8_EEEEPS9_S9_NSD_9__find_if7functorIS9_EEEE10hipError_tPvRmT1_T2_T3_mT4_P12ihipStream_tbEUlT_E1_NS1_11comp_targetILNS1_3genE2ELNS1_11target_archE906ELNS1_3gpuE6ELNS1_3repE0EEENS1_30default_config_static_selectorELNS0_4arch9wavefront6targetE0EEEvS14_.uses_flat_scratch, 0
	.set _ZN7rocprim17ROCPRIM_400000_NS6detail17trampoline_kernelINS0_14default_configENS1_22reduce_config_selectorIN6thrust23THRUST_200600_302600_NS5tupleIblNS6_9null_typeES8_S8_S8_S8_S8_S8_S8_EEEEZNS1_11reduce_implILb1ES3_NS6_12zip_iteratorINS7_INS6_11hip_rocprim26transform_input_iterator_tIbNSD_35transform_pair_of_input_iterators_tIbNS6_6detail15normal_iteratorINS6_10device_ptrIKxEEEESL_NS6_8equal_toIxEEEENSG_9not_fun_tINSD_8identityEEEEENSD_19counting_iterator_tIlEES8_S8_S8_S8_S8_S8_S8_S8_EEEEPS9_S9_NSD_9__find_if7functorIS9_EEEE10hipError_tPvRmT1_T2_T3_mT4_P12ihipStream_tbEUlT_E1_NS1_11comp_targetILNS1_3genE2ELNS1_11target_archE906ELNS1_3gpuE6ELNS1_3repE0EEENS1_30default_config_static_selectorELNS0_4arch9wavefront6targetE0EEEvS14_.has_dyn_sized_stack, 0
	.set _ZN7rocprim17ROCPRIM_400000_NS6detail17trampoline_kernelINS0_14default_configENS1_22reduce_config_selectorIN6thrust23THRUST_200600_302600_NS5tupleIblNS6_9null_typeES8_S8_S8_S8_S8_S8_S8_EEEEZNS1_11reduce_implILb1ES3_NS6_12zip_iteratorINS7_INS6_11hip_rocprim26transform_input_iterator_tIbNSD_35transform_pair_of_input_iterators_tIbNS6_6detail15normal_iteratorINS6_10device_ptrIKxEEEESL_NS6_8equal_toIxEEEENSG_9not_fun_tINSD_8identityEEEEENSD_19counting_iterator_tIlEES8_S8_S8_S8_S8_S8_S8_S8_EEEEPS9_S9_NSD_9__find_if7functorIS9_EEEE10hipError_tPvRmT1_T2_T3_mT4_P12ihipStream_tbEUlT_E1_NS1_11comp_targetILNS1_3genE2ELNS1_11target_archE906ELNS1_3gpuE6ELNS1_3repE0EEENS1_30default_config_static_selectorELNS0_4arch9wavefront6targetE0EEEvS14_.has_recursion, 0
	.set _ZN7rocprim17ROCPRIM_400000_NS6detail17trampoline_kernelINS0_14default_configENS1_22reduce_config_selectorIN6thrust23THRUST_200600_302600_NS5tupleIblNS6_9null_typeES8_S8_S8_S8_S8_S8_S8_EEEEZNS1_11reduce_implILb1ES3_NS6_12zip_iteratorINS7_INS6_11hip_rocprim26transform_input_iterator_tIbNSD_35transform_pair_of_input_iterators_tIbNS6_6detail15normal_iteratorINS6_10device_ptrIKxEEEESL_NS6_8equal_toIxEEEENSG_9not_fun_tINSD_8identityEEEEENSD_19counting_iterator_tIlEES8_S8_S8_S8_S8_S8_S8_S8_EEEEPS9_S9_NSD_9__find_if7functorIS9_EEEE10hipError_tPvRmT1_T2_T3_mT4_P12ihipStream_tbEUlT_E1_NS1_11comp_targetILNS1_3genE2ELNS1_11target_archE906ELNS1_3gpuE6ELNS1_3repE0EEENS1_30default_config_static_selectorELNS0_4arch9wavefront6targetE0EEEvS14_.has_indirect_call, 0
	.section	.AMDGPU.csdata,"",@progbits
; Kernel info:
; codeLenInByte = 0
; TotalNumSgprs: 0
; NumVgprs: 0
; ScratchSize: 0
; MemoryBound: 0
; FloatMode: 240
; IeeeMode: 1
; LDSByteSize: 0 bytes/workgroup (compile time only)
; SGPRBlocks: 0
; VGPRBlocks: 0
; NumSGPRsForWavesPerEU: 1
; NumVGPRsForWavesPerEU: 1
; Occupancy: 16
; WaveLimiterHint : 0
; COMPUTE_PGM_RSRC2:SCRATCH_EN: 0
; COMPUTE_PGM_RSRC2:USER_SGPR: 6
; COMPUTE_PGM_RSRC2:TRAP_HANDLER: 0
; COMPUTE_PGM_RSRC2:TGID_X_EN: 1
; COMPUTE_PGM_RSRC2:TGID_Y_EN: 0
; COMPUTE_PGM_RSRC2:TGID_Z_EN: 0
; COMPUTE_PGM_RSRC2:TIDIG_COMP_CNT: 0
	.section	.text._ZN7rocprim17ROCPRIM_400000_NS6detail17trampoline_kernelINS0_14default_configENS1_22reduce_config_selectorIN6thrust23THRUST_200600_302600_NS5tupleIblNS6_9null_typeES8_S8_S8_S8_S8_S8_S8_EEEEZNS1_11reduce_implILb1ES3_NS6_12zip_iteratorINS7_INS6_11hip_rocprim26transform_input_iterator_tIbNSD_35transform_pair_of_input_iterators_tIbNS6_6detail15normal_iteratorINS6_10device_ptrIKxEEEESL_NS6_8equal_toIxEEEENSG_9not_fun_tINSD_8identityEEEEENSD_19counting_iterator_tIlEES8_S8_S8_S8_S8_S8_S8_S8_EEEEPS9_S9_NSD_9__find_if7functorIS9_EEEE10hipError_tPvRmT1_T2_T3_mT4_P12ihipStream_tbEUlT_E1_NS1_11comp_targetILNS1_3genE10ELNS1_11target_archE1201ELNS1_3gpuE5ELNS1_3repE0EEENS1_30default_config_static_selectorELNS0_4arch9wavefront6targetE0EEEvS14_,"axG",@progbits,_ZN7rocprim17ROCPRIM_400000_NS6detail17trampoline_kernelINS0_14default_configENS1_22reduce_config_selectorIN6thrust23THRUST_200600_302600_NS5tupleIblNS6_9null_typeES8_S8_S8_S8_S8_S8_S8_EEEEZNS1_11reduce_implILb1ES3_NS6_12zip_iteratorINS7_INS6_11hip_rocprim26transform_input_iterator_tIbNSD_35transform_pair_of_input_iterators_tIbNS6_6detail15normal_iteratorINS6_10device_ptrIKxEEEESL_NS6_8equal_toIxEEEENSG_9not_fun_tINSD_8identityEEEEENSD_19counting_iterator_tIlEES8_S8_S8_S8_S8_S8_S8_S8_EEEEPS9_S9_NSD_9__find_if7functorIS9_EEEE10hipError_tPvRmT1_T2_T3_mT4_P12ihipStream_tbEUlT_E1_NS1_11comp_targetILNS1_3genE10ELNS1_11target_archE1201ELNS1_3gpuE5ELNS1_3repE0EEENS1_30default_config_static_selectorELNS0_4arch9wavefront6targetE0EEEvS14_,comdat
	.protected	_ZN7rocprim17ROCPRIM_400000_NS6detail17trampoline_kernelINS0_14default_configENS1_22reduce_config_selectorIN6thrust23THRUST_200600_302600_NS5tupleIblNS6_9null_typeES8_S8_S8_S8_S8_S8_S8_EEEEZNS1_11reduce_implILb1ES3_NS6_12zip_iteratorINS7_INS6_11hip_rocprim26transform_input_iterator_tIbNSD_35transform_pair_of_input_iterators_tIbNS6_6detail15normal_iteratorINS6_10device_ptrIKxEEEESL_NS6_8equal_toIxEEEENSG_9not_fun_tINSD_8identityEEEEENSD_19counting_iterator_tIlEES8_S8_S8_S8_S8_S8_S8_S8_EEEEPS9_S9_NSD_9__find_if7functorIS9_EEEE10hipError_tPvRmT1_T2_T3_mT4_P12ihipStream_tbEUlT_E1_NS1_11comp_targetILNS1_3genE10ELNS1_11target_archE1201ELNS1_3gpuE5ELNS1_3repE0EEENS1_30default_config_static_selectorELNS0_4arch9wavefront6targetE0EEEvS14_ ; -- Begin function _ZN7rocprim17ROCPRIM_400000_NS6detail17trampoline_kernelINS0_14default_configENS1_22reduce_config_selectorIN6thrust23THRUST_200600_302600_NS5tupleIblNS6_9null_typeES8_S8_S8_S8_S8_S8_S8_EEEEZNS1_11reduce_implILb1ES3_NS6_12zip_iteratorINS7_INS6_11hip_rocprim26transform_input_iterator_tIbNSD_35transform_pair_of_input_iterators_tIbNS6_6detail15normal_iteratorINS6_10device_ptrIKxEEEESL_NS6_8equal_toIxEEEENSG_9not_fun_tINSD_8identityEEEEENSD_19counting_iterator_tIlEES8_S8_S8_S8_S8_S8_S8_S8_EEEEPS9_S9_NSD_9__find_if7functorIS9_EEEE10hipError_tPvRmT1_T2_T3_mT4_P12ihipStream_tbEUlT_E1_NS1_11comp_targetILNS1_3genE10ELNS1_11target_archE1201ELNS1_3gpuE5ELNS1_3repE0EEENS1_30default_config_static_selectorELNS0_4arch9wavefront6targetE0EEEvS14_
	.globl	_ZN7rocprim17ROCPRIM_400000_NS6detail17trampoline_kernelINS0_14default_configENS1_22reduce_config_selectorIN6thrust23THRUST_200600_302600_NS5tupleIblNS6_9null_typeES8_S8_S8_S8_S8_S8_S8_EEEEZNS1_11reduce_implILb1ES3_NS6_12zip_iteratorINS7_INS6_11hip_rocprim26transform_input_iterator_tIbNSD_35transform_pair_of_input_iterators_tIbNS6_6detail15normal_iteratorINS6_10device_ptrIKxEEEESL_NS6_8equal_toIxEEEENSG_9not_fun_tINSD_8identityEEEEENSD_19counting_iterator_tIlEES8_S8_S8_S8_S8_S8_S8_S8_EEEEPS9_S9_NSD_9__find_if7functorIS9_EEEE10hipError_tPvRmT1_T2_T3_mT4_P12ihipStream_tbEUlT_E1_NS1_11comp_targetILNS1_3genE10ELNS1_11target_archE1201ELNS1_3gpuE5ELNS1_3repE0EEENS1_30default_config_static_selectorELNS0_4arch9wavefront6targetE0EEEvS14_
	.p2align	8
	.type	_ZN7rocprim17ROCPRIM_400000_NS6detail17trampoline_kernelINS0_14default_configENS1_22reduce_config_selectorIN6thrust23THRUST_200600_302600_NS5tupleIblNS6_9null_typeES8_S8_S8_S8_S8_S8_S8_EEEEZNS1_11reduce_implILb1ES3_NS6_12zip_iteratorINS7_INS6_11hip_rocprim26transform_input_iterator_tIbNSD_35transform_pair_of_input_iterators_tIbNS6_6detail15normal_iteratorINS6_10device_ptrIKxEEEESL_NS6_8equal_toIxEEEENSG_9not_fun_tINSD_8identityEEEEENSD_19counting_iterator_tIlEES8_S8_S8_S8_S8_S8_S8_S8_EEEEPS9_S9_NSD_9__find_if7functorIS9_EEEE10hipError_tPvRmT1_T2_T3_mT4_P12ihipStream_tbEUlT_E1_NS1_11comp_targetILNS1_3genE10ELNS1_11target_archE1201ELNS1_3gpuE5ELNS1_3repE0EEENS1_30default_config_static_selectorELNS0_4arch9wavefront6targetE0EEEvS14_,@function
_ZN7rocprim17ROCPRIM_400000_NS6detail17trampoline_kernelINS0_14default_configENS1_22reduce_config_selectorIN6thrust23THRUST_200600_302600_NS5tupleIblNS6_9null_typeES8_S8_S8_S8_S8_S8_S8_EEEEZNS1_11reduce_implILb1ES3_NS6_12zip_iteratorINS7_INS6_11hip_rocprim26transform_input_iterator_tIbNSD_35transform_pair_of_input_iterators_tIbNS6_6detail15normal_iteratorINS6_10device_ptrIKxEEEESL_NS6_8equal_toIxEEEENSG_9not_fun_tINSD_8identityEEEEENSD_19counting_iterator_tIlEES8_S8_S8_S8_S8_S8_S8_S8_EEEEPS9_S9_NSD_9__find_if7functorIS9_EEEE10hipError_tPvRmT1_T2_T3_mT4_P12ihipStream_tbEUlT_E1_NS1_11comp_targetILNS1_3genE10ELNS1_11target_archE1201ELNS1_3gpuE5ELNS1_3repE0EEENS1_30default_config_static_selectorELNS0_4arch9wavefront6targetE0EEEvS14_: ; @_ZN7rocprim17ROCPRIM_400000_NS6detail17trampoline_kernelINS0_14default_configENS1_22reduce_config_selectorIN6thrust23THRUST_200600_302600_NS5tupleIblNS6_9null_typeES8_S8_S8_S8_S8_S8_S8_EEEEZNS1_11reduce_implILb1ES3_NS6_12zip_iteratorINS7_INS6_11hip_rocprim26transform_input_iterator_tIbNSD_35transform_pair_of_input_iterators_tIbNS6_6detail15normal_iteratorINS6_10device_ptrIKxEEEESL_NS6_8equal_toIxEEEENSG_9not_fun_tINSD_8identityEEEEENSD_19counting_iterator_tIlEES8_S8_S8_S8_S8_S8_S8_S8_EEEEPS9_S9_NSD_9__find_if7functorIS9_EEEE10hipError_tPvRmT1_T2_T3_mT4_P12ihipStream_tbEUlT_E1_NS1_11comp_targetILNS1_3genE10ELNS1_11target_archE1201ELNS1_3gpuE5ELNS1_3repE0EEENS1_30default_config_static_selectorELNS0_4arch9wavefront6targetE0EEEvS14_
; %bb.0:
	.section	.rodata,"a",@progbits
	.p2align	6, 0x0
	.amdhsa_kernel _ZN7rocprim17ROCPRIM_400000_NS6detail17trampoline_kernelINS0_14default_configENS1_22reduce_config_selectorIN6thrust23THRUST_200600_302600_NS5tupleIblNS6_9null_typeES8_S8_S8_S8_S8_S8_S8_EEEEZNS1_11reduce_implILb1ES3_NS6_12zip_iteratorINS7_INS6_11hip_rocprim26transform_input_iterator_tIbNSD_35transform_pair_of_input_iterators_tIbNS6_6detail15normal_iteratorINS6_10device_ptrIKxEEEESL_NS6_8equal_toIxEEEENSG_9not_fun_tINSD_8identityEEEEENSD_19counting_iterator_tIlEES8_S8_S8_S8_S8_S8_S8_S8_EEEEPS9_S9_NSD_9__find_if7functorIS9_EEEE10hipError_tPvRmT1_T2_T3_mT4_P12ihipStream_tbEUlT_E1_NS1_11comp_targetILNS1_3genE10ELNS1_11target_archE1201ELNS1_3gpuE5ELNS1_3repE0EEENS1_30default_config_static_selectorELNS0_4arch9wavefront6targetE0EEEvS14_
		.amdhsa_group_segment_fixed_size 0
		.amdhsa_private_segment_fixed_size 0
		.amdhsa_kernarg_size 88
		.amdhsa_user_sgpr_count 6
		.amdhsa_user_sgpr_private_segment_buffer 1
		.amdhsa_user_sgpr_dispatch_ptr 0
		.amdhsa_user_sgpr_queue_ptr 0
		.amdhsa_user_sgpr_kernarg_segment_ptr 1
		.amdhsa_user_sgpr_dispatch_id 0
		.amdhsa_user_sgpr_flat_scratch_init 0
		.amdhsa_user_sgpr_private_segment_size 0
		.amdhsa_wavefront_size32 1
		.amdhsa_uses_dynamic_stack 0
		.amdhsa_system_sgpr_private_segment_wavefront_offset 0
		.amdhsa_system_sgpr_workgroup_id_x 1
		.amdhsa_system_sgpr_workgroup_id_y 0
		.amdhsa_system_sgpr_workgroup_id_z 0
		.amdhsa_system_sgpr_workgroup_info 0
		.amdhsa_system_vgpr_workitem_id 0
		.amdhsa_next_free_vgpr 1
		.amdhsa_next_free_sgpr 1
		.amdhsa_reserve_vcc 0
		.amdhsa_reserve_flat_scratch 0
		.amdhsa_float_round_mode_32 0
		.amdhsa_float_round_mode_16_64 0
		.amdhsa_float_denorm_mode_32 3
		.amdhsa_float_denorm_mode_16_64 3
		.amdhsa_dx10_clamp 1
		.amdhsa_ieee_mode 1
		.amdhsa_fp16_overflow 0
		.amdhsa_workgroup_processor_mode 1
		.amdhsa_memory_ordered 1
		.amdhsa_forward_progress 1
		.amdhsa_shared_vgpr_count 0
		.amdhsa_exception_fp_ieee_invalid_op 0
		.amdhsa_exception_fp_denorm_src 0
		.amdhsa_exception_fp_ieee_div_zero 0
		.amdhsa_exception_fp_ieee_overflow 0
		.amdhsa_exception_fp_ieee_underflow 0
		.amdhsa_exception_fp_ieee_inexact 0
		.amdhsa_exception_int_div_zero 0
	.end_amdhsa_kernel
	.section	.text._ZN7rocprim17ROCPRIM_400000_NS6detail17trampoline_kernelINS0_14default_configENS1_22reduce_config_selectorIN6thrust23THRUST_200600_302600_NS5tupleIblNS6_9null_typeES8_S8_S8_S8_S8_S8_S8_EEEEZNS1_11reduce_implILb1ES3_NS6_12zip_iteratorINS7_INS6_11hip_rocprim26transform_input_iterator_tIbNSD_35transform_pair_of_input_iterators_tIbNS6_6detail15normal_iteratorINS6_10device_ptrIKxEEEESL_NS6_8equal_toIxEEEENSG_9not_fun_tINSD_8identityEEEEENSD_19counting_iterator_tIlEES8_S8_S8_S8_S8_S8_S8_S8_EEEEPS9_S9_NSD_9__find_if7functorIS9_EEEE10hipError_tPvRmT1_T2_T3_mT4_P12ihipStream_tbEUlT_E1_NS1_11comp_targetILNS1_3genE10ELNS1_11target_archE1201ELNS1_3gpuE5ELNS1_3repE0EEENS1_30default_config_static_selectorELNS0_4arch9wavefront6targetE0EEEvS14_,"axG",@progbits,_ZN7rocprim17ROCPRIM_400000_NS6detail17trampoline_kernelINS0_14default_configENS1_22reduce_config_selectorIN6thrust23THRUST_200600_302600_NS5tupleIblNS6_9null_typeES8_S8_S8_S8_S8_S8_S8_EEEEZNS1_11reduce_implILb1ES3_NS6_12zip_iteratorINS7_INS6_11hip_rocprim26transform_input_iterator_tIbNSD_35transform_pair_of_input_iterators_tIbNS6_6detail15normal_iteratorINS6_10device_ptrIKxEEEESL_NS6_8equal_toIxEEEENSG_9not_fun_tINSD_8identityEEEEENSD_19counting_iterator_tIlEES8_S8_S8_S8_S8_S8_S8_S8_EEEEPS9_S9_NSD_9__find_if7functorIS9_EEEE10hipError_tPvRmT1_T2_T3_mT4_P12ihipStream_tbEUlT_E1_NS1_11comp_targetILNS1_3genE10ELNS1_11target_archE1201ELNS1_3gpuE5ELNS1_3repE0EEENS1_30default_config_static_selectorELNS0_4arch9wavefront6targetE0EEEvS14_,comdat
.Lfunc_end407:
	.size	_ZN7rocprim17ROCPRIM_400000_NS6detail17trampoline_kernelINS0_14default_configENS1_22reduce_config_selectorIN6thrust23THRUST_200600_302600_NS5tupleIblNS6_9null_typeES8_S8_S8_S8_S8_S8_S8_EEEEZNS1_11reduce_implILb1ES3_NS6_12zip_iteratorINS7_INS6_11hip_rocprim26transform_input_iterator_tIbNSD_35transform_pair_of_input_iterators_tIbNS6_6detail15normal_iteratorINS6_10device_ptrIKxEEEESL_NS6_8equal_toIxEEEENSG_9not_fun_tINSD_8identityEEEEENSD_19counting_iterator_tIlEES8_S8_S8_S8_S8_S8_S8_S8_EEEEPS9_S9_NSD_9__find_if7functorIS9_EEEE10hipError_tPvRmT1_T2_T3_mT4_P12ihipStream_tbEUlT_E1_NS1_11comp_targetILNS1_3genE10ELNS1_11target_archE1201ELNS1_3gpuE5ELNS1_3repE0EEENS1_30default_config_static_selectorELNS0_4arch9wavefront6targetE0EEEvS14_, .Lfunc_end407-_ZN7rocprim17ROCPRIM_400000_NS6detail17trampoline_kernelINS0_14default_configENS1_22reduce_config_selectorIN6thrust23THRUST_200600_302600_NS5tupleIblNS6_9null_typeES8_S8_S8_S8_S8_S8_S8_EEEEZNS1_11reduce_implILb1ES3_NS6_12zip_iteratorINS7_INS6_11hip_rocprim26transform_input_iterator_tIbNSD_35transform_pair_of_input_iterators_tIbNS6_6detail15normal_iteratorINS6_10device_ptrIKxEEEESL_NS6_8equal_toIxEEEENSG_9not_fun_tINSD_8identityEEEEENSD_19counting_iterator_tIlEES8_S8_S8_S8_S8_S8_S8_S8_EEEEPS9_S9_NSD_9__find_if7functorIS9_EEEE10hipError_tPvRmT1_T2_T3_mT4_P12ihipStream_tbEUlT_E1_NS1_11comp_targetILNS1_3genE10ELNS1_11target_archE1201ELNS1_3gpuE5ELNS1_3repE0EEENS1_30default_config_static_selectorELNS0_4arch9wavefront6targetE0EEEvS14_
                                        ; -- End function
	.set _ZN7rocprim17ROCPRIM_400000_NS6detail17trampoline_kernelINS0_14default_configENS1_22reduce_config_selectorIN6thrust23THRUST_200600_302600_NS5tupleIblNS6_9null_typeES8_S8_S8_S8_S8_S8_S8_EEEEZNS1_11reduce_implILb1ES3_NS6_12zip_iteratorINS7_INS6_11hip_rocprim26transform_input_iterator_tIbNSD_35transform_pair_of_input_iterators_tIbNS6_6detail15normal_iteratorINS6_10device_ptrIKxEEEESL_NS6_8equal_toIxEEEENSG_9not_fun_tINSD_8identityEEEEENSD_19counting_iterator_tIlEES8_S8_S8_S8_S8_S8_S8_S8_EEEEPS9_S9_NSD_9__find_if7functorIS9_EEEE10hipError_tPvRmT1_T2_T3_mT4_P12ihipStream_tbEUlT_E1_NS1_11comp_targetILNS1_3genE10ELNS1_11target_archE1201ELNS1_3gpuE5ELNS1_3repE0EEENS1_30default_config_static_selectorELNS0_4arch9wavefront6targetE0EEEvS14_.num_vgpr, 0
	.set _ZN7rocprim17ROCPRIM_400000_NS6detail17trampoline_kernelINS0_14default_configENS1_22reduce_config_selectorIN6thrust23THRUST_200600_302600_NS5tupleIblNS6_9null_typeES8_S8_S8_S8_S8_S8_S8_EEEEZNS1_11reduce_implILb1ES3_NS6_12zip_iteratorINS7_INS6_11hip_rocprim26transform_input_iterator_tIbNSD_35transform_pair_of_input_iterators_tIbNS6_6detail15normal_iteratorINS6_10device_ptrIKxEEEESL_NS6_8equal_toIxEEEENSG_9not_fun_tINSD_8identityEEEEENSD_19counting_iterator_tIlEES8_S8_S8_S8_S8_S8_S8_S8_EEEEPS9_S9_NSD_9__find_if7functorIS9_EEEE10hipError_tPvRmT1_T2_T3_mT4_P12ihipStream_tbEUlT_E1_NS1_11comp_targetILNS1_3genE10ELNS1_11target_archE1201ELNS1_3gpuE5ELNS1_3repE0EEENS1_30default_config_static_selectorELNS0_4arch9wavefront6targetE0EEEvS14_.num_agpr, 0
	.set _ZN7rocprim17ROCPRIM_400000_NS6detail17trampoline_kernelINS0_14default_configENS1_22reduce_config_selectorIN6thrust23THRUST_200600_302600_NS5tupleIblNS6_9null_typeES8_S8_S8_S8_S8_S8_S8_EEEEZNS1_11reduce_implILb1ES3_NS6_12zip_iteratorINS7_INS6_11hip_rocprim26transform_input_iterator_tIbNSD_35transform_pair_of_input_iterators_tIbNS6_6detail15normal_iteratorINS6_10device_ptrIKxEEEESL_NS6_8equal_toIxEEEENSG_9not_fun_tINSD_8identityEEEEENSD_19counting_iterator_tIlEES8_S8_S8_S8_S8_S8_S8_S8_EEEEPS9_S9_NSD_9__find_if7functorIS9_EEEE10hipError_tPvRmT1_T2_T3_mT4_P12ihipStream_tbEUlT_E1_NS1_11comp_targetILNS1_3genE10ELNS1_11target_archE1201ELNS1_3gpuE5ELNS1_3repE0EEENS1_30default_config_static_selectorELNS0_4arch9wavefront6targetE0EEEvS14_.numbered_sgpr, 0
	.set _ZN7rocprim17ROCPRIM_400000_NS6detail17trampoline_kernelINS0_14default_configENS1_22reduce_config_selectorIN6thrust23THRUST_200600_302600_NS5tupleIblNS6_9null_typeES8_S8_S8_S8_S8_S8_S8_EEEEZNS1_11reduce_implILb1ES3_NS6_12zip_iteratorINS7_INS6_11hip_rocprim26transform_input_iterator_tIbNSD_35transform_pair_of_input_iterators_tIbNS6_6detail15normal_iteratorINS6_10device_ptrIKxEEEESL_NS6_8equal_toIxEEEENSG_9not_fun_tINSD_8identityEEEEENSD_19counting_iterator_tIlEES8_S8_S8_S8_S8_S8_S8_S8_EEEEPS9_S9_NSD_9__find_if7functorIS9_EEEE10hipError_tPvRmT1_T2_T3_mT4_P12ihipStream_tbEUlT_E1_NS1_11comp_targetILNS1_3genE10ELNS1_11target_archE1201ELNS1_3gpuE5ELNS1_3repE0EEENS1_30default_config_static_selectorELNS0_4arch9wavefront6targetE0EEEvS14_.num_named_barrier, 0
	.set _ZN7rocprim17ROCPRIM_400000_NS6detail17trampoline_kernelINS0_14default_configENS1_22reduce_config_selectorIN6thrust23THRUST_200600_302600_NS5tupleIblNS6_9null_typeES8_S8_S8_S8_S8_S8_S8_EEEEZNS1_11reduce_implILb1ES3_NS6_12zip_iteratorINS7_INS6_11hip_rocprim26transform_input_iterator_tIbNSD_35transform_pair_of_input_iterators_tIbNS6_6detail15normal_iteratorINS6_10device_ptrIKxEEEESL_NS6_8equal_toIxEEEENSG_9not_fun_tINSD_8identityEEEEENSD_19counting_iterator_tIlEES8_S8_S8_S8_S8_S8_S8_S8_EEEEPS9_S9_NSD_9__find_if7functorIS9_EEEE10hipError_tPvRmT1_T2_T3_mT4_P12ihipStream_tbEUlT_E1_NS1_11comp_targetILNS1_3genE10ELNS1_11target_archE1201ELNS1_3gpuE5ELNS1_3repE0EEENS1_30default_config_static_selectorELNS0_4arch9wavefront6targetE0EEEvS14_.private_seg_size, 0
	.set _ZN7rocprim17ROCPRIM_400000_NS6detail17trampoline_kernelINS0_14default_configENS1_22reduce_config_selectorIN6thrust23THRUST_200600_302600_NS5tupleIblNS6_9null_typeES8_S8_S8_S8_S8_S8_S8_EEEEZNS1_11reduce_implILb1ES3_NS6_12zip_iteratorINS7_INS6_11hip_rocprim26transform_input_iterator_tIbNSD_35transform_pair_of_input_iterators_tIbNS6_6detail15normal_iteratorINS6_10device_ptrIKxEEEESL_NS6_8equal_toIxEEEENSG_9not_fun_tINSD_8identityEEEEENSD_19counting_iterator_tIlEES8_S8_S8_S8_S8_S8_S8_S8_EEEEPS9_S9_NSD_9__find_if7functorIS9_EEEE10hipError_tPvRmT1_T2_T3_mT4_P12ihipStream_tbEUlT_E1_NS1_11comp_targetILNS1_3genE10ELNS1_11target_archE1201ELNS1_3gpuE5ELNS1_3repE0EEENS1_30default_config_static_selectorELNS0_4arch9wavefront6targetE0EEEvS14_.uses_vcc, 0
	.set _ZN7rocprim17ROCPRIM_400000_NS6detail17trampoline_kernelINS0_14default_configENS1_22reduce_config_selectorIN6thrust23THRUST_200600_302600_NS5tupleIblNS6_9null_typeES8_S8_S8_S8_S8_S8_S8_EEEEZNS1_11reduce_implILb1ES3_NS6_12zip_iteratorINS7_INS6_11hip_rocprim26transform_input_iterator_tIbNSD_35transform_pair_of_input_iterators_tIbNS6_6detail15normal_iteratorINS6_10device_ptrIKxEEEESL_NS6_8equal_toIxEEEENSG_9not_fun_tINSD_8identityEEEEENSD_19counting_iterator_tIlEES8_S8_S8_S8_S8_S8_S8_S8_EEEEPS9_S9_NSD_9__find_if7functorIS9_EEEE10hipError_tPvRmT1_T2_T3_mT4_P12ihipStream_tbEUlT_E1_NS1_11comp_targetILNS1_3genE10ELNS1_11target_archE1201ELNS1_3gpuE5ELNS1_3repE0EEENS1_30default_config_static_selectorELNS0_4arch9wavefront6targetE0EEEvS14_.uses_flat_scratch, 0
	.set _ZN7rocprim17ROCPRIM_400000_NS6detail17trampoline_kernelINS0_14default_configENS1_22reduce_config_selectorIN6thrust23THRUST_200600_302600_NS5tupleIblNS6_9null_typeES8_S8_S8_S8_S8_S8_S8_EEEEZNS1_11reduce_implILb1ES3_NS6_12zip_iteratorINS7_INS6_11hip_rocprim26transform_input_iterator_tIbNSD_35transform_pair_of_input_iterators_tIbNS6_6detail15normal_iteratorINS6_10device_ptrIKxEEEESL_NS6_8equal_toIxEEEENSG_9not_fun_tINSD_8identityEEEEENSD_19counting_iterator_tIlEES8_S8_S8_S8_S8_S8_S8_S8_EEEEPS9_S9_NSD_9__find_if7functorIS9_EEEE10hipError_tPvRmT1_T2_T3_mT4_P12ihipStream_tbEUlT_E1_NS1_11comp_targetILNS1_3genE10ELNS1_11target_archE1201ELNS1_3gpuE5ELNS1_3repE0EEENS1_30default_config_static_selectorELNS0_4arch9wavefront6targetE0EEEvS14_.has_dyn_sized_stack, 0
	.set _ZN7rocprim17ROCPRIM_400000_NS6detail17trampoline_kernelINS0_14default_configENS1_22reduce_config_selectorIN6thrust23THRUST_200600_302600_NS5tupleIblNS6_9null_typeES8_S8_S8_S8_S8_S8_S8_EEEEZNS1_11reduce_implILb1ES3_NS6_12zip_iteratorINS7_INS6_11hip_rocprim26transform_input_iterator_tIbNSD_35transform_pair_of_input_iterators_tIbNS6_6detail15normal_iteratorINS6_10device_ptrIKxEEEESL_NS6_8equal_toIxEEEENSG_9not_fun_tINSD_8identityEEEEENSD_19counting_iterator_tIlEES8_S8_S8_S8_S8_S8_S8_S8_EEEEPS9_S9_NSD_9__find_if7functorIS9_EEEE10hipError_tPvRmT1_T2_T3_mT4_P12ihipStream_tbEUlT_E1_NS1_11comp_targetILNS1_3genE10ELNS1_11target_archE1201ELNS1_3gpuE5ELNS1_3repE0EEENS1_30default_config_static_selectorELNS0_4arch9wavefront6targetE0EEEvS14_.has_recursion, 0
	.set _ZN7rocprim17ROCPRIM_400000_NS6detail17trampoline_kernelINS0_14default_configENS1_22reduce_config_selectorIN6thrust23THRUST_200600_302600_NS5tupleIblNS6_9null_typeES8_S8_S8_S8_S8_S8_S8_EEEEZNS1_11reduce_implILb1ES3_NS6_12zip_iteratorINS7_INS6_11hip_rocprim26transform_input_iterator_tIbNSD_35transform_pair_of_input_iterators_tIbNS6_6detail15normal_iteratorINS6_10device_ptrIKxEEEESL_NS6_8equal_toIxEEEENSG_9not_fun_tINSD_8identityEEEEENSD_19counting_iterator_tIlEES8_S8_S8_S8_S8_S8_S8_S8_EEEEPS9_S9_NSD_9__find_if7functorIS9_EEEE10hipError_tPvRmT1_T2_T3_mT4_P12ihipStream_tbEUlT_E1_NS1_11comp_targetILNS1_3genE10ELNS1_11target_archE1201ELNS1_3gpuE5ELNS1_3repE0EEENS1_30default_config_static_selectorELNS0_4arch9wavefront6targetE0EEEvS14_.has_indirect_call, 0
	.section	.AMDGPU.csdata,"",@progbits
; Kernel info:
; codeLenInByte = 0
; TotalNumSgprs: 0
; NumVgprs: 0
; ScratchSize: 0
; MemoryBound: 0
; FloatMode: 240
; IeeeMode: 1
; LDSByteSize: 0 bytes/workgroup (compile time only)
; SGPRBlocks: 0
; VGPRBlocks: 0
; NumSGPRsForWavesPerEU: 1
; NumVGPRsForWavesPerEU: 1
; Occupancy: 16
; WaveLimiterHint : 0
; COMPUTE_PGM_RSRC2:SCRATCH_EN: 0
; COMPUTE_PGM_RSRC2:USER_SGPR: 6
; COMPUTE_PGM_RSRC2:TRAP_HANDLER: 0
; COMPUTE_PGM_RSRC2:TGID_X_EN: 1
; COMPUTE_PGM_RSRC2:TGID_Y_EN: 0
; COMPUTE_PGM_RSRC2:TGID_Z_EN: 0
; COMPUTE_PGM_RSRC2:TIDIG_COMP_CNT: 0
	.section	.text._ZN7rocprim17ROCPRIM_400000_NS6detail17trampoline_kernelINS0_14default_configENS1_22reduce_config_selectorIN6thrust23THRUST_200600_302600_NS5tupleIblNS6_9null_typeES8_S8_S8_S8_S8_S8_S8_EEEEZNS1_11reduce_implILb1ES3_NS6_12zip_iteratorINS7_INS6_11hip_rocprim26transform_input_iterator_tIbNSD_35transform_pair_of_input_iterators_tIbNS6_6detail15normal_iteratorINS6_10device_ptrIKxEEEESL_NS6_8equal_toIxEEEENSG_9not_fun_tINSD_8identityEEEEENSD_19counting_iterator_tIlEES8_S8_S8_S8_S8_S8_S8_S8_EEEEPS9_S9_NSD_9__find_if7functorIS9_EEEE10hipError_tPvRmT1_T2_T3_mT4_P12ihipStream_tbEUlT_E1_NS1_11comp_targetILNS1_3genE10ELNS1_11target_archE1200ELNS1_3gpuE4ELNS1_3repE0EEENS1_30default_config_static_selectorELNS0_4arch9wavefront6targetE0EEEvS14_,"axG",@progbits,_ZN7rocprim17ROCPRIM_400000_NS6detail17trampoline_kernelINS0_14default_configENS1_22reduce_config_selectorIN6thrust23THRUST_200600_302600_NS5tupleIblNS6_9null_typeES8_S8_S8_S8_S8_S8_S8_EEEEZNS1_11reduce_implILb1ES3_NS6_12zip_iteratorINS7_INS6_11hip_rocprim26transform_input_iterator_tIbNSD_35transform_pair_of_input_iterators_tIbNS6_6detail15normal_iteratorINS6_10device_ptrIKxEEEESL_NS6_8equal_toIxEEEENSG_9not_fun_tINSD_8identityEEEEENSD_19counting_iterator_tIlEES8_S8_S8_S8_S8_S8_S8_S8_EEEEPS9_S9_NSD_9__find_if7functorIS9_EEEE10hipError_tPvRmT1_T2_T3_mT4_P12ihipStream_tbEUlT_E1_NS1_11comp_targetILNS1_3genE10ELNS1_11target_archE1200ELNS1_3gpuE4ELNS1_3repE0EEENS1_30default_config_static_selectorELNS0_4arch9wavefront6targetE0EEEvS14_,comdat
	.protected	_ZN7rocprim17ROCPRIM_400000_NS6detail17trampoline_kernelINS0_14default_configENS1_22reduce_config_selectorIN6thrust23THRUST_200600_302600_NS5tupleIblNS6_9null_typeES8_S8_S8_S8_S8_S8_S8_EEEEZNS1_11reduce_implILb1ES3_NS6_12zip_iteratorINS7_INS6_11hip_rocprim26transform_input_iterator_tIbNSD_35transform_pair_of_input_iterators_tIbNS6_6detail15normal_iteratorINS6_10device_ptrIKxEEEESL_NS6_8equal_toIxEEEENSG_9not_fun_tINSD_8identityEEEEENSD_19counting_iterator_tIlEES8_S8_S8_S8_S8_S8_S8_S8_EEEEPS9_S9_NSD_9__find_if7functorIS9_EEEE10hipError_tPvRmT1_T2_T3_mT4_P12ihipStream_tbEUlT_E1_NS1_11comp_targetILNS1_3genE10ELNS1_11target_archE1200ELNS1_3gpuE4ELNS1_3repE0EEENS1_30default_config_static_selectorELNS0_4arch9wavefront6targetE0EEEvS14_ ; -- Begin function _ZN7rocprim17ROCPRIM_400000_NS6detail17trampoline_kernelINS0_14default_configENS1_22reduce_config_selectorIN6thrust23THRUST_200600_302600_NS5tupleIblNS6_9null_typeES8_S8_S8_S8_S8_S8_S8_EEEEZNS1_11reduce_implILb1ES3_NS6_12zip_iteratorINS7_INS6_11hip_rocprim26transform_input_iterator_tIbNSD_35transform_pair_of_input_iterators_tIbNS6_6detail15normal_iteratorINS6_10device_ptrIKxEEEESL_NS6_8equal_toIxEEEENSG_9not_fun_tINSD_8identityEEEEENSD_19counting_iterator_tIlEES8_S8_S8_S8_S8_S8_S8_S8_EEEEPS9_S9_NSD_9__find_if7functorIS9_EEEE10hipError_tPvRmT1_T2_T3_mT4_P12ihipStream_tbEUlT_E1_NS1_11comp_targetILNS1_3genE10ELNS1_11target_archE1200ELNS1_3gpuE4ELNS1_3repE0EEENS1_30default_config_static_selectorELNS0_4arch9wavefront6targetE0EEEvS14_
	.globl	_ZN7rocprim17ROCPRIM_400000_NS6detail17trampoline_kernelINS0_14default_configENS1_22reduce_config_selectorIN6thrust23THRUST_200600_302600_NS5tupleIblNS6_9null_typeES8_S8_S8_S8_S8_S8_S8_EEEEZNS1_11reduce_implILb1ES3_NS6_12zip_iteratorINS7_INS6_11hip_rocprim26transform_input_iterator_tIbNSD_35transform_pair_of_input_iterators_tIbNS6_6detail15normal_iteratorINS6_10device_ptrIKxEEEESL_NS6_8equal_toIxEEEENSG_9not_fun_tINSD_8identityEEEEENSD_19counting_iterator_tIlEES8_S8_S8_S8_S8_S8_S8_S8_EEEEPS9_S9_NSD_9__find_if7functorIS9_EEEE10hipError_tPvRmT1_T2_T3_mT4_P12ihipStream_tbEUlT_E1_NS1_11comp_targetILNS1_3genE10ELNS1_11target_archE1200ELNS1_3gpuE4ELNS1_3repE0EEENS1_30default_config_static_selectorELNS0_4arch9wavefront6targetE0EEEvS14_
	.p2align	8
	.type	_ZN7rocprim17ROCPRIM_400000_NS6detail17trampoline_kernelINS0_14default_configENS1_22reduce_config_selectorIN6thrust23THRUST_200600_302600_NS5tupleIblNS6_9null_typeES8_S8_S8_S8_S8_S8_S8_EEEEZNS1_11reduce_implILb1ES3_NS6_12zip_iteratorINS7_INS6_11hip_rocprim26transform_input_iterator_tIbNSD_35transform_pair_of_input_iterators_tIbNS6_6detail15normal_iteratorINS6_10device_ptrIKxEEEESL_NS6_8equal_toIxEEEENSG_9not_fun_tINSD_8identityEEEEENSD_19counting_iterator_tIlEES8_S8_S8_S8_S8_S8_S8_S8_EEEEPS9_S9_NSD_9__find_if7functorIS9_EEEE10hipError_tPvRmT1_T2_T3_mT4_P12ihipStream_tbEUlT_E1_NS1_11comp_targetILNS1_3genE10ELNS1_11target_archE1200ELNS1_3gpuE4ELNS1_3repE0EEENS1_30default_config_static_selectorELNS0_4arch9wavefront6targetE0EEEvS14_,@function
_ZN7rocprim17ROCPRIM_400000_NS6detail17trampoline_kernelINS0_14default_configENS1_22reduce_config_selectorIN6thrust23THRUST_200600_302600_NS5tupleIblNS6_9null_typeES8_S8_S8_S8_S8_S8_S8_EEEEZNS1_11reduce_implILb1ES3_NS6_12zip_iteratorINS7_INS6_11hip_rocprim26transform_input_iterator_tIbNSD_35transform_pair_of_input_iterators_tIbNS6_6detail15normal_iteratorINS6_10device_ptrIKxEEEESL_NS6_8equal_toIxEEEENSG_9not_fun_tINSD_8identityEEEEENSD_19counting_iterator_tIlEES8_S8_S8_S8_S8_S8_S8_S8_EEEEPS9_S9_NSD_9__find_if7functorIS9_EEEE10hipError_tPvRmT1_T2_T3_mT4_P12ihipStream_tbEUlT_E1_NS1_11comp_targetILNS1_3genE10ELNS1_11target_archE1200ELNS1_3gpuE4ELNS1_3repE0EEENS1_30default_config_static_selectorELNS0_4arch9wavefront6targetE0EEEvS14_: ; @_ZN7rocprim17ROCPRIM_400000_NS6detail17trampoline_kernelINS0_14default_configENS1_22reduce_config_selectorIN6thrust23THRUST_200600_302600_NS5tupleIblNS6_9null_typeES8_S8_S8_S8_S8_S8_S8_EEEEZNS1_11reduce_implILb1ES3_NS6_12zip_iteratorINS7_INS6_11hip_rocprim26transform_input_iterator_tIbNSD_35transform_pair_of_input_iterators_tIbNS6_6detail15normal_iteratorINS6_10device_ptrIKxEEEESL_NS6_8equal_toIxEEEENSG_9not_fun_tINSD_8identityEEEEENSD_19counting_iterator_tIlEES8_S8_S8_S8_S8_S8_S8_S8_EEEEPS9_S9_NSD_9__find_if7functorIS9_EEEE10hipError_tPvRmT1_T2_T3_mT4_P12ihipStream_tbEUlT_E1_NS1_11comp_targetILNS1_3genE10ELNS1_11target_archE1200ELNS1_3gpuE4ELNS1_3repE0EEENS1_30default_config_static_selectorELNS0_4arch9wavefront6targetE0EEEvS14_
; %bb.0:
	.section	.rodata,"a",@progbits
	.p2align	6, 0x0
	.amdhsa_kernel _ZN7rocprim17ROCPRIM_400000_NS6detail17trampoline_kernelINS0_14default_configENS1_22reduce_config_selectorIN6thrust23THRUST_200600_302600_NS5tupleIblNS6_9null_typeES8_S8_S8_S8_S8_S8_S8_EEEEZNS1_11reduce_implILb1ES3_NS6_12zip_iteratorINS7_INS6_11hip_rocprim26transform_input_iterator_tIbNSD_35transform_pair_of_input_iterators_tIbNS6_6detail15normal_iteratorINS6_10device_ptrIKxEEEESL_NS6_8equal_toIxEEEENSG_9not_fun_tINSD_8identityEEEEENSD_19counting_iterator_tIlEES8_S8_S8_S8_S8_S8_S8_S8_EEEEPS9_S9_NSD_9__find_if7functorIS9_EEEE10hipError_tPvRmT1_T2_T3_mT4_P12ihipStream_tbEUlT_E1_NS1_11comp_targetILNS1_3genE10ELNS1_11target_archE1200ELNS1_3gpuE4ELNS1_3repE0EEENS1_30default_config_static_selectorELNS0_4arch9wavefront6targetE0EEEvS14_
		.amdhsa_group_segment_fixed_size 0
		.amdhsa_private_segment_fixed_size 0
		.amdhsa_kernarg_size 88
		.amdhsa_user_sgpr_count 6
		.amdhsa_user_sgpr_private_segment_buffer 1
		.amdhsa_user_sgpr_dispatch_ptr 0
		.amdhsa_user_sgpr_queue_ptr 0
		.amdhsa_user_sgpr_kernarg_segment_ptr 1
		.amdhsa_user_sgpr_dispatch_id 0
		.amdhsa_user_sgpr_flat_scratch_init 0
		.amdhsa_user_sgpr_private_segment_size 0
		.amdhsa_wavefront_size32 1
		.amdhsa_uses_dynamic_stack 0
		.amdhsa_system_sgpr_private_segment_wavefront_offset 0
		.amdhsa_system_sgpr_workgroup_id_x 1
		.amdhsa_system_sgpr_workgroup_id_y 0
		.amdhsa_system_sgpr_workgroup_id_z 0
		.amdhsa_system_sgpr_workgroup_info 0
		.amdhsa_system_vgpr_workitem_id 0
		.amdhsa_next_free_vgpr 1
		.amdhsa_next_free_sgpr 1
		.amdhsa_reserve_vcc 0
		.amdhsa_reserve_flat_scratch 0
		.amdhsa_float_round_mode_32 0
		.amdhsa_float_round_mode_16_64 0
		.amdhsa_float_denorm_mode_32 3
		.amdhsa_float_denorm_mode_16_64 3
		.amdhsa_dx10_clamp 1
		.amdhsa_ieee_mode 1
		.amdhsa_fp16_overflow 0
		.amdhsa_workgroup_processor_mode 1
		.amdhsa_memory_ordered 1
		.amdhsa_forward_progress 1
		.amdhsa_shared_vgpr_count 0
		.amdhsa_exception_fp_ieee_invalid_op 0
		.amdhsa_exception_fp_denorm_src 0
		.amdhsa_exception_fp_ieee_div_zero 0
		.amdhsa_exception_fp_ieee_overflow 0
		.amdhsa_exception_fp_ieee_underflow 0
		.amdhsa_exception_fp_ieee_inexact 0
		.amdhsa_exception_int_div_zero 0
	.end_amdhsa_kernel
	.section	.text._ZN7rocprim17ROCPRIM_400000_NS6detail17trampoline_kernelINS0_14default_configENS1_22reduce_config_selectorIN6thrust23THRUST_200600_302600_NS5tupleIblNS6_9null_typeES8_S8_S8_S8_S8_S8_S8_EEEEZNS1_11reduce_implILb1ES3_NS6_12zip_iteratorINS7_INS6_11hip_rocprim26transform_input_iterator_tIbNSD_35transform_pair_of_input_iterators_tIbNS6_6detail15normal_iteratorINS6_10device_ptrIKxEEEESL_NS6_8equal_toIxEEEENSG_9not_fun_tINSD_8identityEEEEENSD_19counting_iterator_tIlEES8_S8_S8_S8_S8_S8_S8_S8_EEEEPS9_S9_NSD_9__find_if7functorIS9_EEEE10hipError_tPvRmT1_T2_T3_mT4_P12ihipStream_tbEUlT_E1_NS1_11comp_targetILNS1_3genE10ELNS1_11target_archE1200ELNS1_3gpuE4ELNS1_3repE0EEENS1_30default_config_static_selectorELNS0_4arch9wavefront6targetE0EEEvS14_,"axG",@progbits,_ZN7rocprim17ROCPRIM_400000_NS6detail17trampoline_kernelINS0_14default_configENS1_22reduce_config_selectorIN6thrust23THRUST_200600_302600_NS5tupleIblNS6_9null_typeES8_S8_S8_S8_S8_S8_S8_EEEEZNS1_11reduce_implILb1ES3_NS6_12zip_iteratorINS7_INS6_11hip_rocprim26transform_input_iterator_tIbNSD_35transform_pair_of_input_iterators_tIbNS6_6detail15normal_iteratorINS6_10device_ptrIKxEEEESL_NS6_8equal_toIxEEEENSG_9not_fun_tINSD_8identityEEEEENSD_19counting_iterator_tIlEES8_S8_S8_S8_S8_S8_S8_S8_EEEEPS9_S9_NSD_9__find_if7functorIS9_EEEE10hipError_tPvRmT1_T2_T3_mT4_P12ihipStream_tbEUlT_E1_NS1_11comp_targetILNS1_3genE10ELNS1_11target_archE1200ELNS1_3gpuE4ELNS1_3repE0EEENS1_30default_config_static_selectorELNS0_4arch9wavefront6targetE0EEEvS14_,comdat
.Lfunc_end408:
	.size	_ZN7rocprim17ROCPRIM_400000_NS6detail17trampoline_kernelINS0_14default_configENS1_22reduce_config_selectorIN6thrust23THRUST_200600_302600_NS5tupleIblNS6_9null_typeES8_S8_S8_S8_S8_S8_S8_EEEEZNS1_11reduce_implILb1ES3_NS6_12zip_iteratorINS7_INS6_11hip_rocprim26transform_input_iterator_tIbNSD_35transform_pair_of_input_iterators_tIbNS6_6detail15normal_iteratorINS6_10device_ptrIKxEEEESL_NS6_8equal_toIxEEEENSG_9not_fun_tINSD_8identityEEEEENSD_19counting_iterator_tIlEES8_S8_S8_S8_S8_S8_S8_S8_EEEEPS9_S9_NSD_9__find_if7functorIS9_EEEE10hipError_tPvRmT1_T2_T3_mT4_P12ihipStream_tbEUlT_E1_NS1_11comp_targetILNS1_3genE10ELNS1_11target_archE1200ELNS1_3gpuE4ELNS1_3repE0EEENS1_30default_config_static_selectorELNS0_4arch9wavefront6targetE0EEEvS14_, .Lfunc_end408-_ZN7rocprim17ROCPRIM_400000_NS6detail17trampoline_kernelINS0_14default_configENS1_22reduce_config_selectorIN6thrust23THRUST_200600_302600_NS5tupleIblNS6_9null_typeES8_S8_S8_S8_S8_S8_S8_EEEEZNS1_11reduce_implILb1ES3_NS6_12zip_iteratorINS7_INS6_11hip_rocprim26transform_input_iterator_tIbNSD_35transform_pair_of_input_iterators_tIbNS6_6detail15normal_iteratorINS6_10device_ptrIKxEEEESL_NS6_8equal_toIxEEEENSG_9not_fun_tINSD_8identityEEEEENSD_19counting_iterator_tIlEES8_S8_S8_S8_S8_S8_S8_S8_EEEEPS9_S9_NSD_9__find_if7functorIS9_EEEE10hipError_tPvRmT1_T2_T3_mT4_P12ihipStream_tbEUlT_E1_NS1_11comp_targetILNS1_3genE10ELNS1_11target_archE1200ELNS1_3gpuE4ELNS1_3repE0EEENS1_30default_config_static_selectorELNS0_4arch9wavefront6targetE0EEEvS14_
                                        ; -- End function
	.set _ZN7rocprim17ROCPRIM_400000_NS6detail17trampoline_kernelINS0_14default_configENS1_22reduce_config_selectorIN6thrust23THRUST_200600_302600_NS5tupleIblNS6_9null_typeES8_S8_S8_S8_S8_S8_S8_EEEEZNS1_11reduce_implILb1ES3_NS6_12zip_iteratorINS7_INS6_11hip_rocprim26transform_input_iterator_tIbNSD_35transform_pair_of_input_iterators_tIbNS6_6detail15normal_iteratorINS6_10device_ptrIKxEEEESL_NS6_8equal_toIxEEEENSG_9not_fun_tINSD_8identityEEEEENSD_19counting_iterator_tIlEES8_S8_S8_S8_S8_S8_S8_S8_EEEEPS9_S9_NSD_9__find_if7functorIS9_EEEE10hipError_tPvRmT1_T2_T3_mT4_P12ihipStream_tbEUlT_E1_NS1_11comp_targetILNS1_3genE10ELNS1_11target_archE1200ELNS1_3gpuE4ELNS1_3repE0EEENS1_30default_config_static_selectorELNS0_4arch9wavefront6targetE0EEEvS14_.num_vgpr, 0
	.set _ZN7rocprim17ROCPRIM_400000_NS6detail17trampoline_kernelINS0_14default_configENS1_22reduce_config_selectorIN6thrust23THRUST_200600_302600_NS5tupleIblNS6_9null_typeES8_S8_S8_S8_S8_S8_S8_EEEEZNS1_11reduce_implILb1ES3_NS6_12zip_iteratorINS7_INS6_11hip_rocprim26transform_input_iterator_tIbNSD_35transform_pair_of_input_iterators_tIbNS6_6detail15normal_iteratorINS6_10device_ptrIKxEEEESL_NS6_8equal_toIxEEEENSG_9not_fun_tINSD_8identityEEEEENSD_19counting_iterator_tIlEES8_S8_S8_S8_S8_S8_S8_S8_EEEEPS9_S9_NSD_9__find_if7functorIS9_EEEE10hipError_tPvRmT1_T2_T3_mT4_P12ihipStream_tbEUlT_E1_NS1_11comp_targetILNS1_3genE10ELNS1_11target_archE1200ELNS1_3gpuE4ELNS1_3repE0EEENS1_30default_config_static_selectorELNS0_4arch9wavefront6targetE0EEEvS14_.num_agpr, 0
	.set _ZN7rocprim17ROCPRIM_400000_NS6detail17trampoline_kernelINS0_14default_configENS1_22reduce_config_selectorIN6thrust23THRUST_200600_302600_NS5tupleIblNS6_9null_typeES8_S8_S8_S8_S8_S8_S8_EEEEZNS1_11reduce_implILb1ES3_NS6_12zip_iteratorINS7_INS6_11hip_rocprim26transform_input_iterator_tIbNSD_35transform_pair_of_input_iterators_tIbNS6_6detail15normal_iteratorINS6_10device_ptrIKxEEEESL_NS6_8equal_toIxEEEENSG_9not_fun_tINSD_8identityEEEEENSD_19counting_iterator_tIlEES8_S8_S8_S8_S8_S8_S8_S8_EEEEPS9_S9_NSD_9__find_if7functorIS9_EEEE10hipError_tPvRmT1_T2_T3_mT4_P12ihipStream_tbEUlT_E1_NS1_11comp_targetILNS1_3genE10ELNS1_11target_archE1200ELNS1_3gpuE4ELNS1_3repE0EEENS1_30default_config_static_selectorELNS0_4arch9wavefront6targetE0EEEvS14_.numbered_sgpr, 0
	.set _ZN7rocprim17ROCPRIM_400000_NS6detail17trampoline_kernelINS0_14default_configENS1_22reduce_config_selectorIN6thrust23THRUST_200600_302600_NS5tupleIblNS6_9null_typeES8_S8_S8_S8_S8_S8_S8_EEEEZNS1_11reduce_implILb1ES3_NS6_12zip_iteratorINS7_INS6_11hip_rocprim26transform_input_iterator_tIbNSD_35transform_pair_of_input_iterators_tIbNS6_6detail15normal_iteratorINS6_10device_ptrIKxEEEESL_NS6_8equal_toIxEEEENSG_9not_fun_tINSD_8identityEEEEENSD_19counting_iterator_tIlEES8_S8_S8_S8_S8_S8_S8_S8_EEEEPS9_S9_NSD_9__find_if7functorIS9_EEEE10hipError_tPvRmT1_T2_T3_mT4_P12ihipStream_tbEUlT_E1_NS1_11comp_targetILNS1_3genE10ELNS1_11target_archE1200ELNS1_3gpuE4ELNS1_3repE0EEENS1_30default_config_static_selectorELNS0_4arch9wavefront6targetE0EEEvS14_.num_named_barrier, 0
	.set _ZN7rocprim17ROCPRIM_400000_NS6detail17trampoline_kernelINS0_14default_configENS1_22reduce_config_selectorIN6thrust23THRUST_200600_302600_NS5tupleIblNS6_9null_typeES8_S8_S8_S8_S8_S8_S8_EEEEZNS1_11reduce_implILb1ES3_NS6_12zip_iteratorINS7_INS6_11hip_rocprim26transform_input_iterator_tIbNSD_35transform_pair_of_input_iterators_tIbNS6_6detail15normal_iteratorINS6_10device_ptrIKxEEEESL_NS6_8equal_toIxEEEENSG_9not_fun_tINSD_8identityEEEEENSD_19counting_iterator_tIlEES8_S8_S8_S8_S8_S8_S8_S8_EEEEPS9_S9_NSD_9__find_if7functorIS9_EEEE10hipError_tPvRmT1_T2_T3_mT4_P12ihipStream_tbEUlT_E1_NS1_11comp_targetILNS1_3genE10ELNS1_11target_archE1200ELNS1_3gpuE4ELNS1_3repE0EEENS1_30default_config_static_selectorELNS0_4arch9wavefront6targetE0EEEvS14_.private_seg_size, 0
	.set _ZN7rocprim17ROCPRIM_400000_NS6detail17trampoline_kernelINS0_14default_configENS1_22reduce_config_selectorIN6thrust23THRUST_200600_302600_NS5tupleIblNS6_9null_typeES8_S8_S8_S8_S8_S8_S8_EEEEZNS1_11reduce_implILb1ES3_NS6_12zip_iteratorINS7_INS6_11hip_rocprim26transform_input_iterator_tIbNSD_35transform_pair_of_input_iterators_tIbNS6_6detail15normal_iteratorINS6_10device_ptrIKxEEEESL_NS6_8equal_toIxEEEENSG_9not_fun_tINSD_8identityEEEEENSD_19counting_iterator_tIlEES8_S8_S8_S8_S8_S8_S8_S8_EEEEPS9_S9_NSD_9__find_if7functorIS9_EEEE10hipError_tPvRmT1_T2_T3_mT4_P12ihipStream_tbEUlT_E1_NS1_11comp_targetILNS1_3genE10ELNS1_11target_archE1200ELNS1_3gpuE4ELNS1_3repE0EEENS1_30default_config_static_selectorELNS0_4arch9wavefront6targetE0EEEvS14_.uses_vcc, 0
	.set _ZN7rocprim17ROCPRIM_400000_NS6detail17trampoline_kernelINS0_14default_configENS1_22reduce_config_selectorIN6thrust23THRUST_200600_302600_NS5tupleIblNS6_9null_typeES8_S8_S8_S8_S8_S8_S8_EEEEZNS1_11reduce_implILb1ES3_NS6_12zip_iteratorINS7_INS6_11hip_rocprim26transform_input_iterator_tIbNSD_35transform_pair_of_input_iterators_tIbNS6_6detail15normal_iteratorINS6_10device_ptrIKxEEEESL_NS6_8equal_toIxEEEENSG_9not_fun_tINSD_8identityEEEEENSD_19counting_iterator_tIlEES8_S8_S8_S8_S8_S8_S8_S8_EEEEPS9_S9_NSD_9__find_if7functorIS9_EEEE10hipError_tPvRmT1_T2_T3_mT4_P12ihipStream_tbEUlT_E1_NS1_11comp_targetILNS1_3genE10ELNS1_11target_archE1200ELNS1_3gpuE4ELNS1_3repE0EEENS1_30default_config_static_selectorELNS0_4arch9wavefront6targetE0EEEvS14_.uses_flat_scratch, 0
	.set _ZN7rocprim17ROCPRIM_400000_NS6detail17trampoline_kernelINS0_14default_configENS1_22reduce_config_selectorIN6thrust23THRUST_200600_302600_NS5tupleIblNS6_9null_typeES8_S8_S8_S8_S8_S8_S8_EEEEZNS1_11reduce_implILb1ES3_NS6_12zip_iteratorINS7_INS6_11hip_rocprim26transform_input_iterator_tIbNSD_35transform_pair_of_input_iterators_tIbNS6_6detail15normal_iteratorINS6_10device_ptrIKxEEEESL_NS6_8equal_toIxEEEENSG_9not_fun_tINSD_8identityEEEEENSD_19counting_iterator_tIlEES8_S8_S8_S8_S8_S8_S8_S8_EEEEPS9_S9_NSD_9__find_if7functorIS9_EEEE10hipError_tPvRmT1_T2_T3_mT4_P12ihipStream_tbEUlT_E1_NS1_11comp_targetILNS1_3genE10ELNS1_11target_archE1200ELNS1_3gpuE4ELNS1_3repE0EEENS1_30default_config_static_selectorELNS0_4arch9wavefront6targetE0EEEvS14_.has_dyn_sized_stack, 0
	.set _ZN7rocprim17ROCPRIM_400000_NS6detail17trampoline_kernelINS0_14default_configENS1_22reduce_config_selectorIN6thrust23THRUST_200600_302600_NS5tupleIblNS6_9null_typeES8_S8_S8_S8_S8_S8_S8_EEEEZNS1_11reduce_implILb1ES3_NS6_12zip_iteratorINS7_INS6_11hip_rocprim26transform_input_iterator_tIbNSD_35transform_pair_of_input_iterators_tIbNS6_6detail15normal_iteratorINS6_10device_ptrIKxEEEESL_NS6_8equal_toIxEEEENSG_9not_fun_tINSD_8identityEEEEENSD_19counting_iterator_tIlEES8_S8_S8_S8_S8_S8_S8_S8_EEEEPS9_S9_NSD_9__find_if7functorIS9_EEEE10hipError_tPvRmT1_T2_T3_mT4_P12ihipStream_tbEUlT_E1_NS1_11comp_targetILNS1_3genE10ELNS1_11target_archE1200ELNS1_3gpuE4ELNS1_3repE0EEENS1_30default_config_static_selectorELNS0_4arch9wavefront6targetE0EEEvS14_.has_recursion, 0
	.set _ZN7rocprim17ROCPRIM_400000_NS6detail17trampoline_kernelINS0_14default_configENS1_22reduce_config_selectorIN6thrust23THRUST_200600_302600_NS5tupleIblNS6_9null_typeES8_S8_S8_S8_S8_S8_S8_EEEEZNS1_11reduce_implILb1ES3_NS6_12zip_iteratorINS7_INS6_11hip_rocprim26transform_input_iterator_tIbNSD_35transform_pair_of_input_iterators_tIbNS6_6detail15normal_iteratorINS6_10device_ptrIKxEEEESL_NS6_8equal_toIxEEEENSG_9not_fun_tINSD_8identityEEEEENSD_19counting_iterator_tIlEES8_S8_S8_S8_S8_S8_S8_S8_EEEEPS9_S9_NSD_9__find_if7functorIS9_EEEE10hipError_tPvRmT1_T2_T3_mT4_P12ihipStream_tbEUlT_E1_NS1_11comp_targetILNS1_3genE10ELNS1_11target_archE1200ELNS1_3gpuE4ELNS1_3repE0EEENS1_30default_config_static_selectorELNS0_4arch9wavefront6targetE0EEEvS14_.has_indirect_call, 0
	.section	.AMDGPU.csdata,"",@progbits
; Kernel info:
; codeLenInByte = 0
; TotalNumSgprs: 0
; NumVgprs: 0
; ScratchSize: 0
; MemoryBound: 0
; FloatMode: 240
; IeeeMode: 1
; LDSByteSize: 0 bytes/workgroup (compile time only)
; SGPRBlocks: 0
; VGPRBlocks: 0
; NumSGPRsForWavesPerEU: 1
; NumVGPRsForWavesPerEU: 1
; Occupancy: 16
; WaveLimiterHint : 0
; COMPUTE_PGM_RSRC2:SCRATCH_EN: 0
; COMPUTE_PGM_RSRC2:USER_SGPR: 6
; COMPUTE_PGM_RSRC2:TRAP_HANDLER: 0
; COMPUTE_PGM_RSRC2:TGID_X_EN: 1
; COMPUTE_PGM_RSRC2:TGID_Y_EN: 0
; COMPUTE_PGM_RSRC2:TGID_Z_EN: 0
; COMPUTE_PGM_RSRC2:TIDIG_COMP_CNT: 0
	.section	.text._ZN7rocprim17ROCPRIM_400000_NS6detail17trampoline_kernelINS0_14default_configENS1_22reduce_config_selectorIN6thrust23THRUST_200600_302600_NS5tupleIblNS6_9null_typeES8_S8_S8_S8_S8_S8_S8_EEEEZNS1_11reduce_implILb1ES3_NS6_12zip_iteratorINS7_INS6_11hip_rocprim26transform_input_iterator_tIbNSD_35transform_pair_of_input_iterators_tIbNS6_6detail15normal_iteratorINS6_10device_ptrIKxEEEESL_NS6_8equal_toIxEEEENSG_9not_fun_tINSD_8identityEEEEENSD_19counting_iterator_tIlEES8_S8_S8_S8_S8_S8_S8_S8_EEEEPS9_S9_NSD_9__find_if7functorIS9_EEEE10hipError_tPvRmT1_T2_T3_mT4_P12ihipStream_tbEUlT_E1_NS1_11comp_targetILNS1_3genE9ELNS1_11target_archE1100ELNS1_3gpuE3ELNS1_3repE0EEENS1_30default_config_static_selectorELNS0_4arch9wavefront6targetE0EEEvS14_,"axG",@progbits,_ZN7rocprim17ROCPRIM_400000_NS6detail17trampoline_kernelINS0_14default_configENS1_22reduce_config_selectorIN6thrust23THRUST_200600_302600_NS5tupleIblNS6_9null_typeES8_S8_S8_S8_S8_S8_S8_EEEEZNS1_11reduce_implILb1ES3_NS6_12zip_iteratorINS7_INS6_11hip_rocprim26transform_input_iterator_tIbNSD_35transform_pair_of_input_iterators_tIbNS6_6detail15normal_iteratorINS6_10device_ptrIKxEEEESL_NS6_8equal_toIxEEEENSG_9not_fun_tINSD_8identityEEEEENSD_19counting_iterator_tIlEES8_S8_S8_S8_S8_S8_S8_S8_EEEEPS9_S9_NSD_9__find_if7functorIS9_EEEE10hipError_tPvRmT1_T2_T3_mT4_P12ihipStream_tbEUlT_E1_NS1_11comp_targetILNS1_3genE9ELNS1_11target_archE1100ELNS1_3gpuE3ELNS1_3repE0EEENS1_30default_config_static_selectorELNS0_4arch9wavefront6targetE0EEEvS14_,comdat
	.protected	_ZN7rocprim17ROCPRIM_400000_NS6detail17trampoline_kernelINS0_14default_configENS1_22reduce_config_selectorIN6thrust23THRUST_200600_302600_NS5tupleIblNS6_9null_typeES8_S8_S8_S8_S8_S8_S8_EEEEZNS1_11reduce_implILb1ES3_NS6_12zip_iteratorINS7_INS6_11hip_rocprim26transform_input_iterator_tIbNSD_35transform_pair_of_input_iterators_tIbNS6_6detail15normal_iteratorINS6_10device_ptrIKxEEEESL_NS6_8equal_toIxEEEENSG_9not_fun_tINSD_8identityEEEEENSD_19counting_iterator_tIlEES8_S8_S8_S8_S8_S8_S8_S8_EEEEPS9_S9_NSD_9__find_if7functorIS9_EEEE10hipError_tPvRmT1_T2_T3_mT4_P12ihipStream_tbEUlT_E1_NS1_11comp_targetILNS1_3genE9ELNS1_11target_archE1100ELNS1_3gpuE3ELNS1_3repE0EEENS1_30default_config_static_selectorELNS0_4arch9wavefront6targetE0EEEvS14_ ; -- Begin function _ZN7rocprim17ROCPRIM_400000_NS6detail17trampoline_kernelINS0_14default_configENS1_22reduce_config_selectorIN6thrust23THRUST_200600_302600_NS5tupleIblNS6_9null_typeES8_S8_S8_S8_S8_S8_S8_EEEEZNS1_11reduce_implILb1ES3_NS6_12zip_iteratorINS7_INS6_11hip_rocprim26transform_input_iterator_tIbNSD_35transform_pair_of_input_iterators_tIbNS6_6detail15normal_iteratorINS6_10device_ptrIKxEEEESL_NS6_8equal_toIxEEEENSG_9not_fun_tINSD_8identityEEEEENSD_19counting_iterator_tIlEES8_S8_S8_S8_S8_S8_S8_S8_EEEEPS9_S9_NSD_9__find_if7functorIS9_EEEE10hipError_tPvRmT1_T2_T3_mT4_P12ihipStream_tbEUlT_E1_NS1_11comp_targetILNS1_3genE9ELNS1_11target_archE1100ELNS1_3gpuE3ELNS1_3repE0EEENS1_30default_config_static_selectorELNS0_4arch9wavefront6targetE0EEEvS14_
	.globl	_ZN7rocprim17ROCPRIM_400000_NS6detail17trampoline_kernelINS0_14default_configENS1_22reduce_config_selectorIN6thrust23THRUST_200600_302600_NS5tupleIblNS6_9null_typeES8_S8_S8_S8_S8_S8_S8_EEEEZNS1_11reduce_implILb1ES3_NS6_12zip_iteratorINS7_INS6_11hip_rocprim26transform_input_iterator_tIbNSD_35transform_pair_of_input_iterators_tIbNS6_6detail15normal_iteratorINS6_10device_ptrIKxEEEESL_NS6_8equal_toIxEEEENSG_9not_fun_tINSD_8identityEEEEENSD_19counting_iterator_tIlEES8_S8_S8_S8_S8_S8_S8_S8_EEEEPS9_S9_NSD_9__find_if7functorIS9_EEEE10hipError_tPvRmT1_T2_T3_mT4_P12ihipStream_tbEUlT_E1_NS1_11comp_targetILNS1_3genE9ELNS1_11target_archE1100ELNS1_3gpuE3ELNS1_3repE0EEENS1_30default_config_static_selectorELNS0_4arch9wavefront6targetE0EEEvS14_
	.p2align	8
	.type	_ZN7rocprim17ROCPRIM_400000_NS6detail17trampoline_kernelINS0_14default_configENS1_22reduce_config_selectorIN6thrust23THRUST_200600_302600_NS5tupleIblNS6_9null_typeES8_S8_S8_S8_S8_S8_S8_EEEEZNS1_11reduce_implILb1ES3_NS6_12zip_iteratorINS7_INS6_11hip_rocprim26transform_input_iterator_tIbNSD_35transform_pair_of_input_iterators_tIbNS6_6detail15normal_iteratorINS6_10device_ptrIKxEEEESL_NS6_8equal_toIxEEEENSG_9not_fun_tINSD_8identityEEEEENSD_19counting_iterator_tIlEES8_S8_S8_S8_S8_S8_S8_S8_EEEEPS9_S9_NSD_9__find_if7functorIS9_EEEE10hipError_tPvRmT1_T2_T3_mT4_P12ihipStream_tbEUlT_E1_NS1_11comp_targetILNS1_3genE9ELNS1_11target_archE1100ELNS1_3gpuE3ELNS1_3repE0EEENS1_30default_config_static_selectorELNS0_4arch9wavefront6targetE0EEEvS14_,@function
_ZN7rocprim17ROCPRIM_400000_NS6detail17trampoline_kernelINS0_14default_configENS1_22reduce_config_selectorIN6thrust23THRUST_200600_302600_NS5tupleIblNS6_9null_typeES8_S8_S8_S8_S8_S8_S8_EEEEZNS1_11reduce_implILb1ES3_NS6_12zip_iteratorINS7_INS6_11hip_rocprim26transform_input_iterator_tIbNSD_35transform_pair_of_input_iterators_tIbNS6_6detail15normal_iteratorINS6_10device_ptrIKxEEEESL_NS6_8equal_toIxEEEENSG_9not_fun_tINSD_8identityEEEEENSD_19counting_iterator_tIlEES8_S8_S8_S8_S8_S8_S8_S8_EEEEPS9_S9_NSD_9__find_if7functorIS9_EEEE10hipError_tPvRmT1_T2_T3_mT4_P12ihipStream_tbEUlT_E1_NS1_11comp_targetILNS1_3genE9ELNS1_11target_archE1100ELNS1_3gpuE3ELNS1_3repE0EEENS1_30default_config_static_selectorELNS0_4arch9wavefront6targetE0EEEvS14_: ; @_ZN7rocprim17ROCPRIM_400000_NS6detail17trampoline_kernelINS0_14default_configENS1_22reduce_config_selectorIN6thrust23THRUST_200600_302600_NS5tupleIblNS6_9null_typeES8_S8_S8_S8_S8_S8_S8_EEEEZNS1_11reduce_implILb1ES3_NS6_12zip_iteratorINS7_INS6_11hip_rocprim26transform_input_iterator_tIbNSD_35transform_pair_of_input_iterators_tIbNS6_6detail15normal_iteratorINS6_10device_ptrIKxEEEESL_NS6_8equal_toIxEEEENSG_9not_fun_tINSD_8identityEEEEENSD_19counting_iterator_tIlEES8_S8_S8_S8_S8_S8_S8_S8_EEEEPS9_S9_NSD_9__find_if7functorIS9_EEEE10hipError_tPvRmT1_T2_T3_mT4_P12ihipStream_tbEUlT_E1_NS1_11comp_targetILNS1_3genE9ELNS1_11target_archE1100ELNS1_3gpuE3ELNS1_3repE0EEENS1_30default_config_static_selectorELNS0_4arch9wavefront6targetE0EEEvS14_
; %bb.0:
	.section	.rodata,"a",@progbits
	.p2align	6, 0x0
	.amdhsa_kernel _ZN7rocprim17ROCPRIM_400000_NS6detail17trampoline_kernelINS0_14default_configENS1_22reduce_config_selectorIN6thrust23THRUST_200600_302600_NS5tupleIblNS6_9null_typeES8_S8_S8_S8_S8_S8_S8_EEEEZNS1_11reduce_implILb1ES3_NS6_12zip_iteratorINS7_INS6_11hip_rocprim26transform_input_iterator_tIbNSD_35transform_pair_of_input_iterators_tIbNS6_6detail15normal_iteratorINS6_10device_ptrIKxEEEESL_NS6_8equal_toIxEEEENSG_9not_fun_tINSD_8identityEEEEENSD_19counting_iterator_tIlEES8_S8_S8_S8_S8_S8_S8_S8_EEEEPS9_S9_NSD_9__find_if7functorIS9_EEEE10hipError_tPvRmT1_T2_T3_mT4_P12ihipStream_tbEUlT_E1_NS1_11comp_targetILNS1_3genE9ELNS1_11target_archE1100ELNS1_3gpuE3ELNS1_3repE0EEENS1_30default_config_static_selectorELNS0_4arch9wavefront6targetE0EEEvS14_
		.amdhsa_group_segment_fixed_size 0
		.amdhsa_private_segment_fixed_size 0
		.amdhsa_kernarg_size 88
		.amdhsa_user_sgpr_count 6
		.amdhsa_user_sgpr_private_segment_buffer 1
		.amdhsa_user_sgpr_dispatch_ptr 0
		.amdhsa_user_sgpr_queue_ptr 0
		.amdhsa_user_sgpr_kernarg_segment_ptr 1
		.amdhsa_user_sgpr_dispatch_id 0
		.amdhsa_user_sgpr_flat_scratch_init 0
		.amdhsa_user_sgpr_private_segment_size 0
		.amdhsa_wavefront_size32 1
		.amdhsa_uses_dynamic_stack 0
		.amdhsa_system_sgpr_private_segment_wavefront_offset 0
		.amdhsa_system_sgpr_workgroup_id_x 1
		.amdhsa_system_sgpr_workgroup_id_y 0
		.amdhsa_system_sgpr_workgroup_id_z 0
		.amdhsa_system_sgpr_workgroup_info 0
		.amdhsa_system_vgpr_workitem_id 0
		.amdhsa_next_free_vgpr 1
		.amdhsa_next_free_sgpr 1
		.amdhsa_reserve_vcc 0
		.amdhsa_reserve_flat_scratch 0
		.amdhsa_float_round_mode_32 0
		.amdhsa_float_round_mode_16_64 0
		.amdhsa_float_denorm_mode_32 3
		.amdhsa_float_denorm_mode_16_64 3
		.amdhsa_dx10_clamp 1
		.amdhsa_ieee_mode 1
		.amdhsa_fp16_overflow 0
		.amdhsa_workgroup_processor_mode 1
		.amdhsa_memory_ordered 1
		.amdhsa_forward_progress 1
		.amdhsa_shared_vgpr_count 0
		.amdhsa_exception_fp_ieee_invalid_op 0
		.amdhsa_exception_fp_denorm_src 0
		.amdhsa_exception_fp_ieee_div_zero 0
		.amdhsa_exception_fp_ieee_overflow 0
		.amdhsa_exception_fp_ieee_underflow 0
		.amdhsa_exception_fp_ieee_inexact 0
		.amdhsa_exception_int_div_zero 0
	.end_amdhsa_kernel
	.section	.text._ZN7rocprim17ROCPRIM_400000_NS6detail17trampoline_kernelINS0_14default_configENS1_22reduce_config_selectorIN6thrust23THRUST_200600_302600_NS5tupleIblNS6_9null_typeES8_S8_S8_S8_S8_S8_S8_EEEEZNS1_11reduce_implILb1ES3_NS6_12zip_iteratorINS7_INS6_11hip_rocprim26transform_input_iterator_tIbNSD_35transform_pair_of_input_iterators_tIbNS6_6detail15normal_iteratorINS6_10device_ptrIKxEEEESL_NS6_8equal_toIxEEEENSG_9not_fun_tINSD_8identityEEEEENSD_19counting_iterator_tIlEES8_S8_S8_S8_S8_S8_S8_S8_EEEEPS9_S9_NSD_9__find_if7functorIS9_EEEE10hipError_tPvRmT1_T2_T3_mT4_P12ihipStream_tbEUlT_E1_NS1_11comp_targetILNS1_3genE9ELNS1_11target_archE1100ELNS1_3gpuE3ELNS1_3repE0EEENS1_30default_config_static_selectorELNS0_4arch9wavefront6targetE0EEEvS14_,"axG",@progbits,_ZN7rocprim17ROCPRIM_400000_NS6detail17trampoline_kernelINS0_14default_configENS1_22reduce_config_selectorIN6thrust23THRUST_200600_302600_NS5tupleIblNS6_9null_typeES8_S8_S8_S8_S8_S8_S8_EEEEZNS1_11reduce_implILb1ES3_NS6_12zip_iteratorINS7_INS6_11hip_rocprim26transform_input_iterator_tIbNSD_35transform_pair_of_input_iterators_tIbNS6_6detail15normal_iteratorINS6_10device_ptrIKxEEEESL_NS6_8equal_toIxEEEENSG_9not_fun_tINSD_8identityEEEEENSD_19counting_iterator_tIlEES8_S8_S8_S8_S8_S8_S8_S8_EEEEPS9_S9_NSD_9__find_if7functorIS9_EEEE10hipError_tPvRmT1_T2_T3_mT4_P12ihipStream_tbEUlT_E1_NS1_11comp_targetILNS1_3genE9ELNS1_11target_archE1100ELNS1_3gpuE3ELNS1_3repE0EEENS1_30default_config_static_selectorELNS0_4arch9wavefront6targetE0EEEvS14_,comdat
.Lfunc_end409:
	.size	_ZN7rocprim17ROCPRIM_400000_NS6detail17trampoline_kernelINS0_14default_configENS1_22reduce_config_selectorIN6thrust23THRUST_200600_302600_NS5tupleIblNS6_9null_typeES8_S8_S8_S8_S8_S8_S8_EEEEZNS1_11reduce_implILb1ES3_NS6_12zip_iteratorINS7_INS6_11hip_rocprim26transform_input_iterator_tIbNSD_35transform_pair_of_input_iterators_tIbNS6_6detail15normal_iteratorINS6_10device_ptrIKxEEEESL_NS6_8equal_toIxEEEENSG_9not_fun_tINSD_8identityEEEEENSD_19counting_iterator_tIlEES8_S8_S8_S8_S8_S8_S8_S8_EEEEPS9_S9_NSD_9__find_if7functorIS9_EEEE10hipError_tPvRmT1_T2_T3_mT4_P12ihipStream_tbEUlT_E1_NS1_11comp_targetILNS1_3genE9ELNS1_11target_archE1100ELNS1_3gpuE3ELNS1_3repE0EEENS1_30default_config_static_selectorELNS0_4arch9wavefront6targetE0EEEvS14_, .Lfunc_end409-_ZN7rocprim17ROCPRIM_400000_NS6detail17trampoline_kernelINS0_14default_configENS1_22reduce_config_selectorIN6thrust23THRUST_200600_302600_NS5tupleIblNS6_9null_typeES8_S8_S8_S8_S8_S8_S8_EEEEZNS1_11reduce_implILb1ES3_NS6_12zip_iteratorINS7_INS6_11hip_rocprim26transform_input_iterator_tIbNSD_35transform_pair_of_input_iterators_tIbNS6_6detail15normal_iteratorINS6_10device_ptrIKxEEEESL_NS6_8equal_toIxEEEENSG_9not_fun_tINSD_8identityEEEEENSD_19counting_iterator_tIlEES8_S8_S8_S8_S8_S8_S8_S8_EEEEPS9_S9_NSD_9__find_if7functorIS9_EEEE10hipError_tPvRmT1_T2_T3_mT4_P12ihipStream_tbEUlT_E1_NS1_11comp_targetILNS1_3genE9ELNS1_11target_archE1100ELNS1_3gpuE3ELNS1_3repE0EEENS1_30default_config_static_selectorELNS0_4arch9wavefront6targetE0EEEvS14_
                                        ; -- End function
	.set _ZN7rocprim17ROCPRIM_400000_NS6detail17trampoline_kernelINS0_14default_configENS1_22reduce_config_selectorIN6thrust23THRUST_200600_302600_NS5tupleIblNS6_9null_typeES8_S8_S8_S8_S8_S8_S8_EEEEZNS1_11reduce_implILb1ES3_NS6_12zip_iteratorINS7_INS6_11hip_rocprim26transform_input_iterator_tIbNSD_35transform_pair_of_input_iterators_tIbNS6_6detail15normal_iteratorINS6_10device_ptrIKxEEEESL_NS6_8equal_toIxEEEENSG_9not_fun_tINSD_8identityEEEEENSD_19counting_iterator_tIlEES8_S8_S8_S8_S8_S8_S8_S8_EEEEPS9_S9_NSD_9__find_if7functorIS9_EEEE10hipError_tPvRmT1_T2_T3_mT4_P12ihipStream_tbEUlT_E1_NS1_11comp_targetILNS1_3genE9ELNS1_11target_archE1100ELNS1_3gpuE3ELNS1_3repE0EEENS1_30default_config_static_selectorELNS0_4arch9wavefront6targetE0EEEvS14_.num_vgpr, 0
	.set _ZN7rocprim17ROCPRIM_400000_NS6detail17trampoline_kernelINS0_14default_configENS1_22reduce_config_selectorIN6thrust23THRUST_200600_302600_NS5tupleIblNS6_9null_typeES8_S8_S8_S8_S8_S8_S8_EEEEZNS1_11reduce_implILb1ES3_NS6_12zip_iteratorINS7_INS6_11hip_rocprim26transform_input_iterator_tIbNSD_35transform_pair_of_input_iterators_tIbNS6_6detail15normal_iteratorINS6_10device_ptrIKxEEEESL_NS6_8equal_toIxEEEENSG_9not_fun_tINSD_8identityEEEEENSD_19counting_iterator_tIlEES8_S8_S8_S8_S8_S8_S8_S8_EEEEPS9_S9_NSD_9__find_if7functorIS9_EEEE10hipError_tPvRmT1_T2_T3_mT4_P12ihipStream_tbEUlT_E1_NS1_11comp_targetILNS1_3genE9ELNS1_11target_archE1100ELNS1_3gpuE3ELNS1_3repE0EEENS1_30default_config_static_selectorELNS0_4arch9wavefront6targetE0EEEvS14_.num_agpr, 0
	.set _ZN7rocprim17ROCPRIM_400000_NS6detail17trampoline_kernelINS0_14default_configENS1_22reduce_config_selectorIN6thrust23THRUST_200600_302600_NS5tupleIblNS6_9null_typeES8_S8_S8_S8_S8_S8_S8_EEEEZNS1_11reduce_implILb1ES3_NS6_12zip_iteratorINS7_INS6_11hip_rocprim26transform_input_iterator_tIbNSD_35transform_pair_of_input_iterators_tIbNS6_6detail15normal_iteratorINS6_10device_ptrIKxEEEESL_NS6_8equal_toIxEEEENSG_9not_fun_tINSD_8identityEEEEENSD_19counting_iterator_tIlEES8_S8_S8_S8_S8_S8_S8_S8_EEEEPS9_S9_NSD_9__find_if7functorIS9_EEEE10hipError_tPvRmT1_T2_T3_mT4_P12ihipStream_tbEUlT_E1_NS1_11comp_targetILNS1_3genE9ELNS1_11target_archE1100ELNS1_3gpuE3ELNS1_3repE0EEENS1_30default_config_static_selectorELNS0_4arch9wavefront6targetE0EEEvS14_.numbered_sgpr, 0
	.set _ZN7rocprim17ROCPRIM_400000_NS6detail17trampoline_kernelINS0_14default_configENS1_22reduce_config_selectorIN6thrust23THRUST_200600_302600_NS5tupleIblNS6_9null_typeES8_S8_S8_S8_S8_S8_S8_EEEEZNS1_11reduce_implILb1ES3_NS6_12zip_iteratorINS7_INS6_11hip_rocprim26transform_input_iterator_tIbNSD_35transform_pair_of_input_iterators_tIbNS6_6detail15normal_iteratorINS6_10device_ptrIKxEEEESL_NS6_8equal_toIxEEEENSG_9not_fun_tINSD_8identityEEEEENSD_19counting_iterator_tIlEES8_S8_S8_S8_S8_S8_S8_S8_EEEEPS9_S9_NSD_9__find_if7functorIS9_EEEE10hipError_tPvRmT1_T2_T3_mT4_P12ihipStream_tbEUlT_E1_NS1_11comp_targetILNS1_3genE9ELNS1_11target_archE1100ELNS1_3gpuE3ELNS1_3repE0EEENS1_30default_config_static_selectorELNS0_4arch9wavefront6targetE0EEEvS14_.num_named_barrier, 0
	.set _ZN7rocprim17ROCPRIM_400000_NS6detail17trampoline_kernelINS0_14default_configENS1_22reduce_config_selectorIN6thrust23THRUST_200600_302600_NS5tupleIblNS6_9null_typeES8_S8_S8_S8_S8_S8_S8_EEEEZNS1_11reduce_implILb1ES3_NS6_12zip_iteratorINS7_INS6_11hip_rocprim26transform_input_iterator_tIbNSD_35transform_pair_of_input_iterators_tIbNS6_6detail15normal_iteratorINS6_10device_ptrIKxEEEESL_NS6_8equal_toIxEEEENSG_9not_fun_tINSD_8identityEEEEENSD_19counting_iterator_tIlEES8_S8_S8_S8_S8_S8_S8_S8_EEEEPS9_S9_NSD_9__find_if7functorIS9_EEEE10hipError_tPvRmT1_T2_T3_mT4_P12ihipStream_tbEUlT_E1_NS1_11comp_targetILNS1_3genE9ELNS1_11target_archE1100ELNS1_3gpuE3ELNS1_3repE0EEENS1_30default_config_static_selectorELNS0_4arch9wavefront6targetE0EEEvS14_.private_seg_size, 0
	.set _ZN7rocprim17ROCPRIM_400000_NS6detail17trampoline_kernelINS0_14default_configENS1_22reduce_config_selectorIN6thrust23THRUST_200600_302600_NS5tupleIblNS6_9null_typeES8_S8_S8_S8_S8_S8_S8_EEEEZNS1_11reduce_implILb1ES3_NS6_12zip_iteratorINS7_INS6_11hip_rocprim26transform_input_iterator_tIbNSD_35transform_pair_of_input_iterators_tIbNS6_6detail15normal_iteratorINS6_10device_ptrIKxEEEESL_NS6_8equal_toIxEEEENSG_9not_fun_tINSD_8identityEEEEENSD_19counting_iterator_tIlEES8_S8_S8_S8_S8_S8_S8_S8_EEEEPS9_S9_NSD_9__find_if7functorIS9_EEEE10hipError_tPvRmT1_T2_T3_mT4_P12ihipStream_tbEUlT_E1_NS1_11comp_targetILNS1_3genE9ELNS1_11target_archE1100ELNS1_3gpuE3ELNS1_3repE0EEENS1_30default_config_static_selectorELNS0_4arch9wavefront6targetE0EEEvS14_.uses_vcc, 0
	.set _ZN7rocprim17ROCPRIM_400000_NS6detail17trampoline_kernelINS0_14default_configENS1_22reduce_config_selectorIN6thrust23THRUST_200600_302600_NS5tupleIblNS6_9null_typeES8_S8_S8_S8_S8_S8_S8_EEEEZNS1_11reduce_implILb1ES3_NS6_12zip_iteratorINS7_INS6_11hip_rocprim26transform_input_iterator_tIbNSD_35transform_pair_of_input_iterators_tIbNS6_6detail15normal_iteratorINS6_10device_ptrIKxEEEESL_NS6_8equal_toIxEEEENSG_9not_fun_tINSD_8identityEEEEENSD_19counting_iterator_tIlEES8_S8_S8_S8_S8_S8_S8_S8_EEEEPS9_S9_NSD_9__find_if7functorIS9_EEEE10hipError_tPvRmT1_T2_T3_mT4_P12ihipStream_tbEUlT_E1_NS1_11comp_targetILNS1_3genE9ELNS1_11target_archE1100ELNS1_3gpuE3ELNS1_3repE0EEENS1_30default_config_static_selectorELNS0_4arch9wavefront6targetE0EEEvS14_.uses_flat_scratch, 0
	.set _ZN7rocprim17ROCPRIM_400000_NS6detail17trampoline_kernelINS0_14default_configENS1_22reduce_config_selectorIN6thrust23THRUST_200600_302600_NS5tupleIblNS6_9null_typeES8_S8_S8_S8_S8_S8_S8_EEEEZNS1_11reduce_implILb1ES3_NS6_12zip_iteratorINS7_INS6_11hip_rocprim26transform_input_iterator_tIbNSD_35transform_pair_of_input_iterators_tIbNS6_6detail15normal_iteratorINS6_10device_ptrIKxEEEESL_NS6_8equal_toIxEEEENSG_9not_fun_tINSD_8identityEEEEENSD_19counting_iterator_tIlEES8_S8_S8_S8_S8_S8_S8_S8_EEEEPS9_S9_NSD_9__find_if7functorIS9_EEEE10hipError_tPvRmT1_T2_T3_mT4_P12ihipStream_tbEUlT_E1_NS1_11comp_targetILNS1_3genE9ELNS1_11target_archE1100ELNS1_3gpuE3ELNS1_3repE0EEENS1_30default_config_static_selectorELNS0_4arch9wavefront6targetE0EEEvS14_.has_dyn_sized_stack, 0
	.set _ZN7rocprim17ROCPRIM_400000_NS6detail17trampoline_kernelINS0_14default_configENS1_22reduce_config_selectorIN6thrust23THRUST_200600_302600_NS5tupleIblNS6_9null_typeES8_S8_S8_S8_S8_S8_S8_EEEEZNS1_11reduce_implILb1ES3_NS6_12zip_iteratorINS7_INS6_11hip_rocprim26transform_input_iterator_tIbNSD_35transform_pair_of_input_iterators_tIbNS6_6detail15normal_iteratorINS6_10device_ptrIKxEEEESL_NS6_8equal_toIxEEEENSG_9not_fun_tINSD_8identityEEEEENSD_19counting_iterator_tIlEES8_S8_S8_S8_S8_S8_S8_S8_EEEEPS9_S9_NSD_9__find_if7functorIS9_EEEE10hipError_tPvRmT1_T2_T3_mT4_P12ihipStream_tbEUlT_E1_NS1_11comp_targetILNS1_3genE9ELNS1_11target_archE1100ELNS1_3gpuE3ELNS1_3repE0EEENS1_30default_config_static_selectorELNS0_4arch9wavefront6targetE0EEEvS14_.has_recursion, 0
	.set _ZN7rocprim17ROCPRIM_400000_NS6detail17trampoline_kernelINS0_14default_configENS1_22reduce_config_selectorIN6thrust23THRUST_200600_302600_NS5tupleIblNS6_9null_typeES8_S8_S8_S8_S8_S8_S8_EEEEZNS1_11reduce_implILb1ES3_NS6_12zip_iteratorINS7_INS6_11hip_rocprim26transform_input_iterator_tIbNSD_35transform_pair_of_input_iterators_tIbNS6_6detail15normal_iteratorINS6_10device_ptrIKxEEEESL_NS6_8equal_toIxEEEENSG_9not_fun_tINSD_8identityEEEEENSD_19counting_iterator_tIlEES8_S8_S8_S8_S8_S8_S8_S8_EEEEPS9_S9_NSD_9__find_if7functorIS9_EEEE10hipError_tPvRmT1_T2_T3_mT4_P12ihipStream_tbEUlT_E1_NS1_11comp_targetILNS1_3genE9ELNS1_11target_archE1100ELNS1_3gpuE3ELNS1_3repE0EEENS1_30default_config_static_selectorELNS0_4arch9wavefront6targetE0EEEvS14_.has_indirect_call, 0
	.section	.AMDGPU.csdata,"",@progbits
; Kernel info:
; codeLenInByte = 0
; TotalNumSgprs: 0
; NumVgprs: 0
; ScratchSize: 0
; MemoryBound: 0
; FloatMode: 240
; IeeeMode: 1
; LDSByteSize: 0 bytes/workgroup (compile time only)
; SGPRBlocks: 0
; VGPRBlocks: 0
; NumSGPRsForWavesPerEU: 1
; NumVGPRsForWavesPerEU: 1
; Occupancy: 16
; WaveLimiterHint : 0
; COMPUTE_PGM_RSRC2:SCRATCH_EN: 0
; COMPUTE_PGM_RSRC2:USER_SGPR: 6
; COMPUTE_PGM_RSRC2:TRAP_HANDLER: 0
; COMPUTE_PGM_RSRC2:TGID_X_EN: 1
; COMPUTE_PGM_RSRC2:TGID_Y_EN: 0
; COMPUTE_PGM_RSRC2:TGID_Z_EN: 0
; COMPUTE_PGM_RSRC2:TIDIG_COMP_CNT: 0
	.section	.text._ZN7rocprim17ROCPRIM_400000_NS6detail17trampoline_kernelINS0_14default_configENS1_22reduce_config_selectorIN6thrust23THRUST_200600_302600_NS5tupleIblNS6_9null_typeES8_S8_S8_S8_S8_S8_S8_EEEEZNS1_11reduce_implILb1ES3_NS6_12zip_iteratorINS7_INS6_11hip_rocprim26transform_input_iterator_tIbNSD_35transform_pair_of_input_iterators_tIbNS6_6detail15normal_iteratorINS6_10device_ptrIKxEEEESL_NS6_8equal_toIxEEEENSG_9not_fun_tINSD_8identityEEEEENSD_19counting_iterator_tIlEES8_S8_S8_S8_S8_S8_S8_S8_EEEEPS9_S9_NSD_9__find_if7functorIS9_EEEE10hipError_tPvRmT1_T2_T3_mT4_P12ihipStream_tbEUlT_E1_NS1_11comp_targetILNS1_3genE8ELNS1_11target_archE1030ELNS1_3gpuE2ELNS1_3repE0EEENS1_30default_config_static_selectorELNS0_4arch9wavefront6targetE0EEEvS14_,"axG",@progbits,_ZN7rocprim17ROCPRIM_400000_NS6detail17trampoline_kernelINS0_14default_configENS1_22reduce_config_selectorIN6thrust23THRUST_200600_302600_NS5tupleIblNS6_9null_typeES8_S8_S8_S8_S8_S8_S8_EEEEZNS1_11reduce_implILb1ES3_NS6_12zip_iteratorINS7_INS6_11hip_rocprim26transform_input_iterator_tIbNSD_35transform_pair_of_input_iterators_tIbNS6_6detail15normal_iteratorINS6_10device_ptrIKxEEEESL_NS6_8equal_toIxEEEENSG_9not_fun_tINSD_8identityEEEEENSD_19counting_iterator_tIlEES8_S8_S8_S8_S8_S8_S8_S8_EEEEPS9_S9_NSD_9__find_if7functorIS9_EEEE10hipError_tPvRmT1_T2_T3_mT4_P12ihipStream_tbEUlT_E1_NS1_11comp_targetILNS1_3genE8ELNS1_11target_archE1030ELNS1_3gpuE2ELNS1_3repE0EEENS1_30default_config_static_selectorELNS0_4arch9wavefront6targetE0EEEvS14_,comdat
	.protected	_ZN7rocprim17ROCPRIM_400000_NS6detail17trampoline_kernelINS0_14default_configENS1_22reduce_config_selectorIN6thrust23THRUST_200600_302600_NS5tupleIblNS6_9null_typeES8_S8_S8_S8_S8_S8_S8_EEEEZNS1_11reduce_implILb1ES3_NS6_12zip_iteratorINS7_INS6_11hip_rocprim26transform_input_iterator_tIbNSD_35transform_pair_of_input_iterators_tIbNS6_6detail15normal_iteratorINS6_10device_ptrIKxEEEESL_NS6_8equal_toIxEEEENSG_9not_fun_tINSD_8identityEEEEENSD_19counting_iterator_tIlEES8_S8_S8_S8_S8_S8_S8_S8_EEEEPS9_S9_NSD_9__find_if7functorIS9_EEEE10hipError_tPvRmT1_T2_T3_mT4_P12ihipStream_tbEUlT_E1_NS1_11comp_targetILNS1_3genE8ELNS1_11target_archE1030ELNS1_3gpuE2ELNS1_3repE0EEENS1_30default_config_static_selectorELNS0_4arch9wavefront6targetE0EEEvS14_ ; -- Begin function _ZN7rocprim17ROCPRIM_400000_NS6detail17trampoline_kernelINS0_14default_configENS1_22reduce_config_selectorIN6thrust23THRUST_200600_302600_NS5tupleIblNS6_9null_typeES8_S8_S8_S8_S8_S8_S8_EEEEZNS1_11reduce_implILb1ES3_NS6_12zip_iteratorINS7_INS6_11hip_rocprim26transform_input_iterator_tIbNSD_35transform_pair_of_input_iterators_tIbNS6_6detail15normal_iteratorINS6_10device_ptrIKxEEEESL_NS6_8equal_toIxEEEENSG_9not_fun_tINSD_8identityEEEEENSD_19counting_iterator_tIlEES8_S8_S8_S8_S8_S8_S8_S8_EEEEPS9_S9_NSD_9__find_if7functorIS9_EEEE10hipError_tPvRmT1_T2_T3_mT4_P12ihipStream_tbEUlT_E1_NS1_11comp_targetILNS1_3genE8ELNS1_11target_archE1030ELNS1_3gpuE2ELNS1_3repE0EEENS1_30default_config_static_selectorELNS0_4arch9wavefront6targetE0EEEvS14_
	.globl	_ZN7rocprim17ROCPRIM_400000_NS6detail17trampoline_kernelINS0_14default_configENS1_22reduce_config_selectorIN6thrust23THRUST_200600_302600_NS5tupleIblNS6_9null_typeES8_S8_S8_S8_S8_S8_S8_EEEEZNS1_11reduce_implILb1ES3_NS6_12zip_iteratorINS7_INS6_11hip_rocprim26transform_input_iterator_tIbNSD_35transform_pair_of_input_iterators_tIbNS6_6detail15normal_iteratorINS6_10device_ptrIKxEEEESL_NS6_8equal_toIxEEEENSG_9not_fun_tINSD_8identityEEEEENSD_19counting_iterator_tIlEES8_S8_S8_S8_S8_S8_S8_S8_EEEEPS9_S9_NSD_9__find_if7functorIS9_EEEE10hipError_tPvRmT1_T2_T3_mT4_P12ihipStream_tbEUlT_E1_NS1_11comp_targetILNS1_3genE8ELNS1_11target_archE1030ELNS1_3gpuE2ELNS1_3repE0EEENS1_30default_config_static_selectorELNS0_4arch9wavefront6targetE0EEEvS14_
	.p2align	8
	.type	_ZN7rocprim17ROCPRIM_400000_NS6detail17trampoline_kernelINS0_14default_configENS1_22reduce_config_selectorIN6thrust23THRUST_200600_302600_NS5tupleIblNS6_9null_typeES8_S8_S8_S8_S8_S8_S8_EEEEZNS1_11reduce_implILb1ES3_NS6_12zip_iteratorINS7_INS6_11hip_rocprim26transform_input_iterator_tIbNSD_35transform_pair_of_input_iterators_tIbNS6_6detail15normal_iteratorINS6_10device_ptrIKxEEEESL_NS6_8equal_toIxEEEENSG_9not_fun_tINSD_8identityEEEEENSD_19counting_iterator_tIlEES8_S8_S8_S8_S8_S8_S8_S8_EEEEPS9_S9_NSD_9__find_if7functorIS9_EEEE10hipError_tPvRmT1_T2_T3_mT4_P12ihipStream_tbEUlT_E1_NS1_11comp_targetILNS1_3genE8ELNS1_11target_archE1030ELNS1_3gpuE2ELNS1_3repE0EEENS1_30default_config_static_selectorELNS0_4arch9wavefront6targetE0EEEvS14_,@function
_ZN7rocprim17ROCPRIM_400000_NS6detail17trampoline_kernelINS0_14default_configENS1_22reduce_config_selectorIN6thrust23THRUST_200600_302600_NS5tupleIblNS6_9null_typeES8_S8_S8_S8_S8_S8_S8_EEEEZNS1_11reduce_implILb1ES3_NS6_12zip_iteratorINS7_INS6_11hip_rocprim26transform_input_iterator_tIbNSD_35transform_pair_of_input_iterators_tIbNS6_6detail15normal_iteratorINS6_10device_ptrIKxEEEESL_NS6_8equal_toIxEEEENSG_9not_fun_tINSD_8identityEEEEENSD_19counting_iterator_tIlEES8_S8_S8_S8_S8_S8_S8_S8_EEEEPS9_S9_NSD_9__find_if7functorIS9_EEEE10hipError_tPvRmT1_T2_T3_mT4_P12ihipStream_tbEUlT_E1_NS1_11comp_targetILNS1_3genE8ELNS1_11target_archE1030ELNS1_3gpuE2ELNS1_3repE0EEENS1_30default_config_static_selectorELNS0_4arch9wavefront6targetE0EEEvS14_: ; @_ZN7rocprim17ROCPRIM_400000_NS6detail17trampoline_kernelINS0_14default_configENS1_22reduce_config_selectorIN6thrust23THRUST_200600_302600_NS5tupleIblNS6_9null_typeES8_S8_S8_S8_S8_S8_S8_EEEEZNS1_11reduce_implILb1ES3_NS6_12zip_iteratorINS7_INS6_11hip_rocprim26transform_input_iterator_tIbNSD_35transform_pair_of_input_iterators_tIbNS6_6detail15normal_iteratorINS6_10device_ptrIKxEEEESL_NS6_8equal_toIxEEEENSG_9not_fun_tINSD_8identityEEEEENSD_19counting_iterator_tIlEES8_S8_S8_S8_S8_S8_S8_S8_EEEEPS9_S9_NSD_9__find_if7functorIS9_EEEE10hipError_tPvRmT1_T2_T3_mT4_P12ihipStream_tbEUlT_E1_NS1_11comp_targetILNS1_3genE8ELNS1_11target_archE1030ELNS1_3gpuE2ELNS1_3repE0EEENS1_30default_config_static_selectorELNS0_4arch9wavefront6targetE0EEEvS14_
; %bb.0:
	s_clause 0x4
	s_load_dword s25, s[4:5], 0x4
	s_load_dwordx4 s[16:19], s[4:5], 0x8
	s_load_dwordx4 s[12:15], s[4:5], 0x28
	s_load_dword s24, s[4:5], 0x40
	s_load_dwordx2 s[20:21], s[4:5], 0x48
	s_waitcnt lgkmcnt(0)
	s_cmp_lt_i32 s25, 4
	s_cbranch_scc1 .LBB410_21
; %bb.1:
	s_cmp_gt_i32 s25, 7
	s_cbranch_scc0 .LBB410_22
; %bb.2:
	s_cmp_eq_u32 s25, 8
	s_mov_b32 s26, 0
	s_cbranch_scc0 .LBB410_23
; %bb.3:
	s_mov_b32 s7, 0
	s_lshl_b32 s8, s6, 11
	s_mov_b32 s9, s7
	s_lshr_b64 s[2:3], s[14:15], 11
	s_lshl_b64 s[0:1], s[8:9], 3
	s_add_u32 s10, s16, s0
	s_addc_u32 s11, s17, s1
	s_add_u32 s22, s18, s0
	s_addc_u32 s23, s19, s1
	;; [unrolled: 2-line block ×3, first 2 shown]
	s_cmp_lg_u64 s[2:3], s[6:7]
	s_cbranch_scc0 .LBB410_44
; %bb.4:
	v_lshlrev_b32_e32 v7, 3, v0
	v_mov_b32_e32 v33, 0x100
	v_mov_b32_e32 v34, 0x300
	;; [unrolled: 1-line block ×3, first 2 shown]
	v_add_co_u32 v29, s0, s10, v7
	v_add_co_ci_u32_e64 v30, null, s11, 0, s0
	v_add_co_u32 v31, s0, s22, v7
	v_add_co_ci_u32_e64 v32, null, s23, 0, s0
	v_add_co_u32 v1, vcc_lo, v29, 0x1000
	v_add_co_ci_u32_e64 v2, null, 0, v30, vcc_lo
	v_add_co_u32 v3, vcc_lo, v31, 0x1000
	v_add_co_ci_u32_e64 v4, null, 0, v32, vcc_lo
	v_add_co_u32 v13, vcc_lo, v29, 0x2000
	s_clause 0x1
	global_load_dwordx2 v[5:6], v7, s[10:11]
	global_load_dwordx2 v[7:8], v7, s[22:23]
	s_clause 0x1
	global_load_dwordx2 v[9:10], v[1:2], off offset:-2048
	global_load_dwordx2 v[1:2], v[1:2], off
	s_clause 0x1
	global_load_dwordx2 v[11:12], v[3:4], off offset:-2048
	global_load_dwordx2 v[3:4], v[3:4], off
	v_add_co_ci_u32_e64 v14, null, 0, v30, vcc_lo
	v_add_co_u32 v15, vcc_lo, v31, 0x2000
	v_add_co_ci_u32_e64 v16, null, 0, v32, vcc_lo
	v_add_co_u32 v19, vcc_lo, v29, 0x3000
	;; [unrolled: 2-line block ×3, first 2 shown]
	s_clause 0x1
	global_load_dwordx2 v[17:18], v[13:14], off offset:-2048
	global_load_dwordx2 v[13:14], v[13:14], off
	v_add_co_ci_u32_e64 v22, null, 0, v32, vcc_lo
	s_clause 0x2
	global_load_dwordx2 v[23:24], v[15:16], off
	global_load_dwordx2 v[15:16], v[15:16], off offset:-2048
	global_load_dwordx2 v[25:26], v[21:22], off offset:-2048
	s_clause 0x1
	global_load_dwordx2 v[27:28], v[19:20], off offset:-2048
	global_load_dwordx2 v[19:20], v[19:20], off
	global_load_dwordx2 v[21:22], v[21:22], off
	v_add_co_u32 v29, vcc_lo, 0x3800, v29
	v_add_co_ci_u32_e64 v30, null, 0, v30, vcc_lo
	v_add_co_u32 v31, vcc_lo, 0x3800, v31
	v_add_co_ci_u32_e64 v32, null, 0, v32, vcc_lo
	global_load_dwordx2 v[29:30], v[29:30], off
	global_load_dwordx2 v[31:32], v[31:32], off
	s_waitcnt vmcnt(14)
	v_cmp_ne_u64_e64 s0, v[5:6], v[7:8]
	s_waitcnt vmcnt(11)
	v_cmp_ne_u64_e32 vcc_lo, v[9:10], v[11:12]
	s_waitcnt vmcnt(10)
	v_cmp_ne_u64_e64 s1, v[1:2], v[3:4]
	v_cndmask_b32_e32 v9, 0x200, v33, vcc_lo
	v_cndmask_b32_e64 v2, v9, 0, s0
	s_or_b32 s0, s0, vcc_lo
	s_waitcnt vmcnt(6)
	v_cmp_ne_u64_e64 s3, v[17:18], v[15:16]
	v_cmp_ne_u64_e64 s2, v[13:14], v[23:24]
	s_waitcnt vmcnt(4)
	v_cmp_ne_u64_e32 vcc_lo, v[27:28], v[25:26]
	s_or_b32 s0, s0, s1
	v_cndmask_b32_e64 v1, 0x400, v34, s3
	s_or_b32 s1, s0, s3
	v_cndmask_b32_e32 v3, 0x600, v35, vcc_lo
	s_or_b32 s1, s1, s2
	v_cndmask_b32_e64 v1, v1, v2, s0
	s_waitcnt vmcnt(2)
	v_cmp_ne_u64_e64 s0, v[19:20], v[21:22]
	v_cndmask_b32_e64 v1, v3, v1, s1
	s_or_b32 s1, s1, vcc_lo
	s_or_b32 vcc_lo, s1, s0
	v_add_co_u32 v2, s0, s28, v0
	v_cndmask_b32_e32 v1, 0x700, v1, vcc_lo
	v_add_co_ci_u32_e64 v3, null, s29, 0, s0
	s_waitcnt vmcnt(0)
	v_cmp_ne_u64_e64 s0, v[29:30], v[31:32]
	v_add_co_u32 v1, s1, v2, v1
	v_add_co_ci_u32_e64 v2, null, 0, v3, s1
	s_or_b32 s0, vcc_lo, s0
	v_mov_b32_dpp v3, v1 quad_perm:[1,0,3,2] row_mask:0xf bank_mask:0xf
	v_cndmask_b32_e64 v5, 0, 1, s0
	v_mov_b32_dpp v4, v2 quad_perm:[1,0,3,2] row_mask:0xf bank_mask:0xf
	v_mov_b32_dpp v6, v5 quad_perm:[1,0,3,2] row_mask:0xf bank_mask:0xf
	v_cmp_lt_i64_e32 vcc_lo, v[1:2], v[3:4]
	v_and_b32_e32 v6, 1, v6
	s_and_b32 vcc_lo, s0, vcc_lo
	v_cndmask_b32_e32 v3, v3, v1, vcc_lo
	v_cndmask_b32_e32 v4, v4, v2, vcc_lo
	v_cmp_eq_u32_e32 vcc_lo, 1, v6
	v_cndmask_b32_e32 v2, v2, v4, vcc_lo
	v_cndmask_b32_e32 v1, v1, v3, vcc_lo
	v_cndmask_b32_e64 v5, v5, 1, vcc_lo
	v_mov_b32_dpp v4, v2 quad_perm:[2,3,0,1] row_mask:0xf bank_mask:0xf
	v_mov_b32_dpp v3, v1 quad_perm:[2,3,0,1] row_mask:0xf bank_mask:0xf
	v_and_b32_e32 v7, 1, v5
	v_mov_b32_dpp v6, v5 quad_perm:[2,3,0,1] row_mask:0xf bank_mask:0xf
	v_cmp_lt_i64_e32 vcc_lo, v[1:2], v[3:4]
	v_cmp_eq_u32_e64 s0, 1, v7
	v_and_b32_e32 v6, 1, v6
	s_and_b32 vcc_lo, s0, vcc_lo
	v_cmp_eq_u32_e64 s1, 1, v6
	v_cndmask_b32_e32 v3, v3, v1, vcc_lo
	v_cndmask_b32_e32 v4, v4, v2, vcc_lo
	v_cndmask_b32_e64 v5, v5, 1, s1
	v_cndmask_b32_e64 v1, v1, v3, s1
	;; [unrolled: 1-line block ×3, first 2 shown]
	v_and_b32_e32 v7, 1, v5
	v_mov_b32_dpp v3, v1 row_ror:4 row_mask:0xf bank_mask:0xf
	v_mov_b32_dpp v4, v2 row_ror:4 row_mask:0xf bank_mask:0xf
	;; [unrolled: 1-line block ×3, first 2 shown]
	v_cmp_eq_u32_e64 s0, 1, v7
	v_cmp_lt_i64_e32 vcc_lo, v[1:2], v[3:4]
	v_and_b32_e32 v6, 1, v6
	s_and_b32 vcc_lo, s0, vcc_lo
	v_cmp_eq_u32_e64 s1, 1, v6
	v_cndmask_b32_e32 v3, v3, v1, vcc_lo
	v_cndmask_b32_e32 v4, v4, v2, vcc_lo
	v_cndmask_b32_e64 v5, v5, 1, s1
	v_cndmask_b32_e64 v1, v1, v3, s1
	;; [unrolled: 1-line block ×3, first 2 shown]
	v_and_b32_e32 v7, 1, v5
	v_mov_b32_dpp v3, v1 row_ror:8 row_mask:0xf bank_mask:0xf
	v_mov_b32_dpp v4, v2 row_ror:8 row_mask:0xf bank_mask:0xf
	;; [unrolled: 1-line block ×3, first 2 shown]
	v_cmp_eq_u32_e64 s0, 1, v7
	v_cmp_lt_i64_e32 vcc_lo, v[1:2], v[3:4]
	v_and_b32_e32 v6, 1, v6
	s_and_b32 vcc_lo, s0, vcc_lo
	v_cmp_eq_u32_e64 s1, 1, v6
	v_cndmask_b32_e32 v3, v3, v1, vcc_lo
	v_cndmask_b32_e32 v4, v4, v2, vcc_lo
	v_cndmask_b32_e64 v5, v5, 1, s1
	v_cndmask_b32_e64 v1, v1, v3, s1
	;; [unrolled: 1-line block ×3, first 2 shown]
	ds_swizzle_b32 v6, v5 offset:swizzle(BROADCAST,32,15)
	ds_swizzle_b32 v3, v1 offset:swizzle(BROADCAST,32,15)
	;; [unrolled: 1-line block ×3, first 2 shown]
	v_and_b32_e32 v7, 1, v5
	v_cmp_eq_u32_e64 s0, 1, v7
	v_mbcnt_lo_u32_b32 v7, -1, 0
	s_waitcnt lgkmcnt(2)
	v_and_b32_e32 v6, 1, v6
	s_waitcnt lgkmcnt(0)
	v_cmp_lt_i64_e32 vcc_lo, v[1:2], v[3:4]
	v_cmp_eq_u32_e64 s1, 1, v6
	v_mov_b32_e32 v6, 0
	s_and_b32 vcc_lo, s0, vcc_lo
	s_mov_b32 s0, exec_lo
	v_cndmask_b32_e32 v3, v3, v1, vcc_lo
	v_cndmask_b32_e32 v4, v4, v2, vcc_lo
	v_cndmask_b32_e64 v5, v5, 1, s1
	v_cndmask_b32_e64 v1, v1, v3, s1
	;; [unrolled: 1-line block ×3, first 2 shown]
	ds_bpermute_b32 v17, v6, v5 offset:124
	ds_bpermute_b32 v1, v6, v1 offset:124
	;; [unrolled: 1-line block ×3, first 2 shown]
	v_cmpx_eq_u32_e32 0, v7
	s_cbranch_execz .LBB410_6
; %bb.5:
	v_lshrrev_b32_e32 v3, 1, v0
	v_and_b32_e32 v3, 0x70, v3
	s_waitcnt lgkmcnt(2)
	ds_write_b8 v3, v17 offset:384
	s_waitcnt lgkmcnt(1)
	ds_write_b64 v3, v[1:2] offset:392
.LBB410_6:
	s_or_b32 exec_lo, exec_lo, s0
	s_mov_b32 s0, exec_lo
	s_waitcnt lgkmcnt(0)
	s_barrier
	buffer_gl0_inv
	v_cmpx_gt_u32_e32 32, v0
	s_cbranch_execz .LBB410_20
; %bb.7:
	v_and_b32_e32 v8, 7, v7
	v_lshlrev_b32_e32 v1, 4, v8
	v_cmp_ne_u32_e32 vcc_lo, 7, v8
	ds_read_u8 v10, v1 offset:384
	ds_read_b64 v[3:4], v1 offset:392
	v_add_co_ci_u32_e64 v2, null, 0, v7, vcc_lo
	v_lshlrev_b32_e32 v2, 2, v2
	s_waitcnt lgkmcnt(1)
	v_and_b32_e32 v1, 0xff, v10
	s_waitcnt lgkmcnt(0)
	ds_bpermute_b32 v5, v2, v3
	ds_bpermute_b32 v6, v2, v4
	;; [unrolled: 1-line block ×3, first 2 shown]
	s_waitcnt lgkmcnt(0)
	v_and_b32_e32 v1, v10, v11
	v_and_b32_e32 v1, 1, v1
	v_cmp_eq_u32_e32 vcc_lo, 1, v1
                                        ; implicit-def: $vgpr1_vgpr2
	s_and_saveexec_b32 s1, vcc_lo
	s_xor_b32 s1, exec_lo, s1
; %bb.8:
	v_cmp_lt_i64_e32 vcc_lo, v[5:6], v[3:4]
                                        ; implicit-def: $vgpr10
                                        ; implicit-def: $vgpr11
	v_cndmask_b32_e32 v2, v4, v6, vcc_lo
	v_cndmask_b32_e32 v1, v3, v5, vcc_lo
                                        ; implicit-def: $vgpr5_vgpr6
                                        ; implicit-def: $vgpr3_vgpr4
; %bb.9:
	s_or_saveexec_b32 s1, s1
	v_mov_b32_e32 v9, 1
	s_xor_b32 exec_lo, exec_lo, s1
; %bb.10:
	v_and_b32_e32 v1, 1, v10
	v_and_b32_e32 v9, 0xff, v11
	v_cmp_eq_u32_e32 vcc_lo, 1, v1
	v_cndmask_b32_e32 v2, v6, v4, vcc_lo
	v_cndmask_b32_e32 v1, v5, v3, vcc_lo
	v_cndmask_b32_e64 v9, v9, 1, vcc_lo
; %bb.11:
	s_or_b32 exec_lo, exec_lo, s1
	v_cmp_gt_u32_e32 vcc_lo, 6, v8
	v_cndmask_b32_e64 v3, 0, 2, vcc_lo
	v_add_lshl_u32 v3, v3, v7, 2
	ds_bpermute_b32 v8, v3, v9
	ds_bpermute_b32 v5, v3, v1
	;; [unrolled: 1-line block ×3, first 2 shown]
	s_waitcnt lgkmcnt(2)
	v_and_b32_e32 v3, v9, v8
	v_and_b32_e32 v3, 1, v3
	v_cmp_eq_u32_e32 vcc_lo, 1, v3
                                        ; implicit-def: $vgpr3_vgpr4
	s_and_saveexec_b32 s1, vcc_lo
	s_xor_b32 s1, exec_lo, s1
	s_cbranch_execz .LBB410_13
; %bb.12:
	s_waitcnt lgkmcnt(0)
	v_cmp_lt_i64_e32 vcc_lo, v[5:6], v[1:2]
                                        ; implicit-def: $vgpr9
                                        ; implicit-def: $vgpr8
	v_cndmask_b32_e32 v4, v2, v6, vcc_lo
	v_cndmask_b32_e32 v3, v1, v5, vcc_lo
                                        ; implicit-def: $vgpr5_vgpr6
                                        ; implicit-def: $vgpr1_vgpr2
.LBB410_13:
	s_or_saveexec_b32 s1, s1
	v_lshlrev_b32_e32 v10, 2, v7
	v_mov_b32_e32 v7, 1
	s_xor_b32 exec_lo, exec_lo, s1
	s_cbranch_execz .LBB410_15
; %bb.14:
	v_and_b32_e32 v3, 1, v9
	v_and_b32_e32 v7, 0xff, v8
	v_cmp_eq_u32_e32 vcc_lo, 1, v3
	s_waitcnt lgkmcnt(0)
	v_cndmask_b32_e32 v4, v6, v2, vcc_lo
	v_cndmask_b32_e32 v3, v5, v1, vcc_lo
	v_cndmask_b32_e64 v7, v7, 1, vcc_lo
.LBB410_15:
	s_or_b32 exec_lo, exec_lo, s1
	v_or_b32_e32 v1, 16, v10
	ds_bpermute_b32 v8, v1, v7
	s_waitcnt lgkmcnt(2)
	ds_bpermute_b32 v5, v1, v3
	s_waitcnt lgkmcnt(2)
	;; [unrolled: 2-line block ×3, first 2 shown]
	v_and_b32_e32 v1, v7, v8
	v_and_b32_e32 v1, 1, v1
	v_cmp_eq_u32_e32 vcc_lo, 1, v1
                                        ; implicit-def: $vgpr1_vgpr2
	s_and_saveexec_b32 s1, vcc_lo
	s_xor_b32 s1, exec_lo, s1
	s_cbranch_execz .LBB410_17
; %bb.16:
	s_waitcnt lgkmcnt(0)
	v_cmp_lt_i64_e32 vcc_lo, v[5:6], v[3:4]
                                        ; implicit-def: $vgpr7
                                        ; implicit-def: $vgpr8
	v_cndmask_b32_e32 v2, v4, v6, vcc_lo
	v_cndmask_b32_e32 v1, v3, v5, vcc_lo
                                        ; implicit-def: $vgpr5_vgpr6
                                        ; implicit-def: $vgpr3_vgpr4
.LBB410_17:
	s_or_saveexec_b32 s1, s1
	v_mov_b32_e32 v17, 1
	s_xor_b32 exec_lo, exec_lo, s1
	s_cbranch_execz .LBB410_19
; %bb.18:
	v_and_b32_e32 v1, 1, v7
	v_cmp_eq_u32_e32 vcc_lo, 1, v1
	s_waitcnt lgkmcnt(0)
	v_cndmask_b32_e32 v2, v6, v4, vcc_lo
	v_cndmask_b32_e32 v1, v5, v3, vcc_lo
	v_cndmask_b32_e64 v17, v8, 1, vcc_lo
.LBB410_19:
	s_or_b32 exec_lo, exec_lo, s1
.LBB410_20:
	s_or_b32 exec_lo, exec_lo, s0
	s_branch .LBB410_167
.LBB410_21:
	s_mov_b32 s22, 0
                                        ; implicit-def: $vgpr3_vgpr4
                                        ; implicit-def: $vgpr5
                                        ; implicit-def: $vgpr1_vgpr2
	s_cbranch_execnz .LBB410_247
	s_branch .LBB410_356
.LBB410_22:
	s_mov_b32 s26, -1
.LBB410_23:
	s_mov_b32 s22, 0
                                        ; implicit-def: $vgpr3_vgpr4
                                        ; implicit-def: $vgpr5
                                        ; implicit-def: $vgpr1_vgpr2
	s_and_b32 vcc_lo, exec_lo, s26
	s_cbranch_vccz .LBB410_172
.LBB410_24:
	s_cmp_eq_u32 s25, 4
	s_cbranch_scc0 .LBB410_43
; %bb.25:
	s_mov_b32 s7, 0
	s_lshl_b32 s10, s6, 10
	s_mov_b32 s11, s7
	s_lshr_b64 s[26:27], s[14:15], 10
	s_lshl_b64 s[0:1], s[10:11], 3
	s_add_u32 s2, s16, s0
	s_addc_u32 s3, s17, s1
	s_add_u32 s8, s18, s0
	s_addc_u32 s9, s19, s1
	;; [unrolled: 2-line block ×3, first 2 shown]
	s_cmp_lg_u64 s[26:27], s[6:7]
	s_cbranch_scc0 .LBB410_67
; %bb.26:
	v_lshlrev_b32_e32 v11, 3, v0
	v_mov_b32_e32 v17, 0x100
	v_add_co_u32 v13, s0, s2, v11
	v_add_co_ci_u32_e64 v14, null, s3, 0, s0
	v_add_co_u32 v15, s0, s8, v11
	v_add_co_ci_u32_e64 v16, null, s9, 0, s0
	v_add_co_u32 v1, vcc_lo, v13, 0x1000
	v_add_co_ci_u32_e64 v2, null, 0, v14, vcc_lo
	s_waitcnt lgkmcnt(1)
	v_add_co_u32 v3, vcc_lo, v15, 0x1000
	s_waitcnt lgkmcnt(0)
	v_add_co_ci_u32_e64 v4, null, 0, v16, vcc_lo
	global_load_dwordx2 v[5:6], v[1:2], off offset:-2048
	global_load_dwordx2 v[7:8], v[3:4], off offset:-2048
	s_clause 0x1
	global_load_dwordx2 v[9:10], v11, s[2:3]
	global_load_dwordx2 v[11:12], v11, s[8:9]
	global_load_dwordx2 v[1:2], v[1:2], off
	global_load_dwordx2 v[3:4], v[3:4], off
	v_add_co_u32 v13, vcc_lo, 0x1800, v13
	v_add_co_ci_u32_e64 v14, null, 0, v14, vcc_lo
	v_add_co_u32 v15, vcc_lo, 0x1800, v15
	v_add_co_ci_u32_e64 v16, null, 0, v16, vcc_lo
	global_load_dwordx2 v[13:14], v[13:14], off
	global_load_dwordx2 v[15:16], v[15:16], off
	s_waitcnt vmcnt(6)
	v_cmp_ne_u64_e32 vcc_lo, v[5:6], v[7:8]
	s_waitcnt vmcnt(4)
	v_cmp_ne_u64_e64 s0, v[9:10], v[11:12]
	s_waitcnt vmcnt(2)
	v_cmp_ne_u64_e64 s1, v[1:2], v[3:4]
	v_cndmask_b32_e32 v5, 0x200, v17, vcc_lo
	v_cndmask_b32_e64 v1, v5, 0, s0
	s_or_b32 s0, s0, vcc_lo
	s_or_b32 vcc_lo, s0, s1
	v_add_co_u32 v2, s0, s11, v0
	v_cndmask_b32_e32 v1, 0x300, v1, vcc_lo
	v_add_co_ci_u32_e64 v3, null, s23, 0, s0
	s_waitcnt vmcnt(0)
	v_cmp_ne_u64_e64 s0, v[13:14], v[15:16]
	v_add_co_u32 v1, s1, v2, v1
	v_add_co_ci_u32_e64 v2, null, 0, v3, s1
	s_or_b32 s0, vcc_lo, s0
	v_mov_b32_dpp v3, v1 quad_perm:[1,0,3,2] row_mask:0xf bank_mask:0xf
	v_cndmask_b32_e64 v5, 0, 1, s0
	v_mov_b32_dpp v4, v2 quad_perm:[1,0,3,2] row_mask:0xf bank_mask:0xf
	v_mov_b32_dpp v6, v5 quad_perm:[1,0,3,2] row_mask:0xf bank_mask:0xf
	v_cmp_lt_i64_e32 vcc_lo, v[1:2], v[3:4]
	v_and_b32_e32 v6, 1, v6
	s_and_b32 vcc_lo, s0, vcc_lo
	v_cndmask_b32_e32 v3, v3, v1, vcc_lo
	v_cndmask_b32_e32 v4, v4, v2, vcc_lo
	v_cmp_eq_u32_e32 vcc_lo, 1, v6
	v_cndmask_b32_e32 v2, v2, v4, vcc_lo
	v_cndmask_b32_e32 v1, v1, v3, vcc_lo
	v_cndmask_b32_e64 v5, v5, 1, vcc_lo
	v_mov_b32_dpp v4, v2 quad_perm:[2,3,0,1] row_mask:0xf bank_mask:0xf
	v_mov_b32_dpp v3, v1 quad_perm:[2,3,0,1] row_mask:0xf bank_mask:0xf
	v_and_b32_e32 v7, 1, v5
	v_mov_b32_dpp v6, v5 quad_perm:[2,3,0,1] row_mask:0xf bank_mask:0xf
	v_cmp_lt_i64_e32 vcc_lo, v[1:2], v[3:4]
	v_cmp_eq_u32_e64 s0, 1, v7
	v_and_b32_e32 v6, 1, v6
	s_and_b32 vcc_lo, s0, vcc_lo
	v_cmp_eq_u32_e64 s1, 1, v6
	v_cndmask_b32_e32 v3, v3, v1, vcc_lo
	v_cndmask_b32_e32 v4, v4, v2, vcc_lo
	v_cndmask_b32_e64 v5, v5, 1, s1
	v_cndmask_b32_e64 v1, v1, v3, s1
	;; [unrolled: 1-line block ×3, first 2 shown]
	v_and_b32_e32 v7, 1, v5
	v_mov_b32_dpp v3, v1 row_ror:4 row_mask:0xf bank_mask:0xf
	v_mov_b32_dpp v4, v2 row_ror:4 row_mask:0xf bank_mask:0xf
	;; [unrolled: 1-line block ×3, first 2 shown]
	v_cmp_eq_u32_e64 s0, 1, v7
	v_cmp_lt_i64_e32 vcc_lo, v[1:2], v[3:4]
	v_and_b32_e32 v6, 1, v6
	s_and_b32 vcc_lo, s0, vcc_lo
	v_cmp_eq_u32_e64 s1, 1, v6
	v_cndmask_b32_e32 v3, v3, v1, vcc_lo
	v_cndmask_b32_e32 v4, v4, v2, vcc_lo
	v_cndmask_b32_e64 v5, v5, 1, s1
	v_cndmask_b32_e64 v1, v1, v3, s1
	;; [unrolled: 1-line block ×3, first 2 shown]
	v_and_b32_e32 v7, 1, v5
	v_mov_b32_dpp v3, v1 row_ror:8 row_mask:0xf bank_mask:0xf
	v_mov_b32_dpp v4, v2 row_ror:8 row_mask:0xf bank_mask:0xf
	;; [unrolled: 1-line block ×3, first 2 shown]
	v_cmp_eq_u32_e64 s0, 1, v7
	v_cmp_lt_i64_e32 vcc_lo, v[1:2], v[3:4]
	v_and_b32_e32 v6, 1, v6
	s_and_b32 vcc_lo, s0, vcc_lo
	v_cmp_eq_u32_e64 s1, 1, v6
	v_cndmask_b32_e32 v3, v3, v1, vcc_lo
	v_cndmask_b32_e32 v4, v4, v2, vcc_lo
	v_cndmask_b32_e64 v5, v5, 1, s1
	v_cndmask_b32_e64 v1, v1, v3, s1
	;; [unrolled: 1-line block ×3, first 2 shown]
	ds_swizzle_b32 v6, v5 offset:swizzle(BROADCAST,32,15)
	ds_swizzle_b32 v3, v1 offset:swizzle(BROADCAST,32,15)
	;; [unrolled: 1-line block ×3, first 2 shown]
	v_and_b32_e32 v7, 1, v5
	v_cmp_eq_u32_e64 s0, 1, v7
	v_mbcnt_lo_u32_b32 v7, -1, 0
	s_waitcnt lgkmcnt(2)
	v_and_b32_e32 v6, 1, v6
	s_waitcnt lgkmcnt(0)
	v_cmp_lt_i64_e32 vcc_lo, v[1:2], v[3:4]
	v_cmp_eq_u32_e64 s1, 1, v6
	v_mov_b32_e32 v6, 0
	s_and_b32 vcc_lo, s0, vcc_lo
	s_mov_b32 s0, exec_lo
	v_cndmask_b32_e32 v3, v3, v1, vcc_lo
	v_cndmask_b32_e32 v4, v4, v2, vcc_lo
	v_cndmask_b32_e64 v5, v5, 1, s1
	v_cndmask_b32_e64 v1, v1, v3, s1
	;; [unrolled: 1-line block ×3, first 2 shown]
	ds_bpermute_b32 v9, v6, v5 offset:124
	ds_bpermute_b32 v1, v6, v1 offset:124
	;; [unrolled: 1-line block ×3, first 2 shown]
	v_cmpx_eq_u32_e32 0, v7
	s_cbranch_execz .LBB410_28
; %bb.27:
	v_lshrrev_b32_e32 v3, 1, v0
	v_and_b32_e32 v3, 0x70, v3
	s_waitcnt lgkmcnt(2)
	ds_write_b8 v3, v9 offset:256
	s_waitcnt lgkmcnt(1)
	ds_write_b64 v3, v[1:2] offset:264
.LBB410_28:
	s_or_b32 exec_lo, exec_lo, s0
	s_mov_b32 s0, exec_lo
	s_waitcnt lgkmcnt(0)
	s_barrier
	buffer_gl0_inv
	v_cmpx_gt_u32_e32 32, v0
	s_cbranch_execz .LBB410_42
; %bb.29:
	v_and_b32_e32 v8, 7, v7
	v_lshlrev_b32_e32 v1, 4, v8
	v_cmp_ne_u32_e32 vcc_lo, 7, v8
	ds_read_u8 v10, v1 offset:256
	ds_read_b64 v[3:4], v1 offset:264
	v_add_co_ci_u32_e64 v2, null, 0, v7, vcc_lo
	v_lshlrev_b32_e32 v2, 2, v2
	s_waitcnt lgkmcnt(1)
	v_and_b32_e32 v1, 0xff, v10
	s_waitcnt lgkmcnt(0)
	ds_bpermute_b32 v5, v2, v3
	ds_bpermute_b32 v6, v2, v4
	;; [unrolled: 1-line block ×3, first 2 shown]
	s_waitcnt lgkmcnt(0)
	v_and_b32_e32 v1, v10, v11
	v_and_b32_e32 v1, 1, v1
	v_cmp_eq_u32_e32 vcc_lo, 1, v1
                                        ; implicit-def: $vgpr1_vgpr2
	s_and_saveexec_b32 s1, vcc_lo
	s_xor_b32 s1, exec_lo, s1
; %bb.30:
	v_cmp_lt_i64_e32 vcc_lo, v[5:6], v[3:4]
                                        ; implicit-def: $vgpr10
                                        ; implicit-def: $vgpr11
	v_cndmask_b32_e32 v2, v4, v6, vcc_lo
	v_cndmask_b32_e32 v1, v3, v5, vcc_lo
                                        ; implicit-def: $vgpr5_vgpr6
                                        ; implicit-def: $vgpr3_vgpr4
; %bb.31:
	s_or_saveexec_b32 s1, s1
	v_mov_b32_e32 v9, 1
	s_xor_b32 exec_lo, exec_lo, s1
; %bb.32:
	v_and_b32_e32 v1, 1, v10
	v_and_b32_e32 v9, 0xff, v11
	v_cmp_eq_u32_e32 vcc_lo, 1, v1
	v_cndmask_b32_e32 v2, v6, v4, vcc_lo
	v_cndmask_b32_e32 v1, v5, v3, vcc_lo
	v_cndmask_b32_e64 v9, v9, 1, vcc_lo
; %bb.33:
	s_or_b32 exec_lo, exec_lo, s1
	v_cmp_gt_u32_e32 vcc_lo, 6, v8
	v_cndmask_b32_e64 v3, 0, 2, vcc_lo
	v_add_lshl_u32 v3, v3, v7, 2
	ds_bpermute_b32 v8, v3, v9
	ds_bpermute_b32 v5, v3, v1
	;; [unrolled: 1-line block ×3, first 2 shown]
	s_waitcnt lgkmcnt(2)
	v_and_b32_e32 v3, v9, v8
	v_and_b32_e32 v3, 1, v3
	v_cmp_eq_u32_e32 vcc_lo, 1, v3
                                        ; implicit-def: $vgpr3_vgpr4
	s_and_saveexec_b32 s1, vcc_lo
	s_xor_b32 s1, exec_lo, s1
	s_cbranch_execz .LBB410_35
; %bb.34:
	s_waitcnt lgkmcnt(0)
	v_cmp_lt_i64_e32 vcc_lo, v[5:6], v[1:2]
                                        ; implicit-def: $vgpr9
                                        ; implicit-def: $vgpr8
	v_cndmask_b32_e32 v4, v2, v6, vcc_lo
	v_cndmask_b32_e32 v3, v1, v5, vcc_lo
                                        ; implicit-def: $vgpr5_vgpr6
                                        ; implicit-def: $vgpr1_vgpr2
.LBB410_35:
	s_or_saveexec_b32 s1, s1
	v_lshlrev_b32_e32 v10, 2, v7
	v_mov_b32_e32 v7, 1
	s_xor_b32 exec_lo, exec_lo, s1
	s_cbranch_execz .LBB410_37
; %bb.36:
	v_and_b32_e32 v3, 1, v9
	v_and_b32_e32 v7, 0xff, v8
	v_cmp_eq_u32_e32 vcc_lo, 1, v3
	s_waitcnt lgkmcnt(0)
	v_cndmask_b32_e32 v4, v6, v2, vcc_lo
	v_cndmask_b32_e32 v3, v5, v1, vcc_lo
	v_cndmask_b32_e64 v7, v7, 1, vcc_lo
.LBB410_37:
	s_or_b32 exec_lo, exec_lo, s1
	v_or_b32_e32 v1, 16, v10
	ds_bpermute_b32 v8, v1, v7
	s_waitcnt lgkmcnt(2)
	ds_bpermute_b32 v5, v1, v3
	s_waitcnt lgkmcnt(2)
	;; [unrolled: 2-line block ×3, first 2 shown]
	v_and_b32_e32 v1, v7, v8
	v_and_b32_e32 v1, 1, v1
	v_cmp_eq_u32_e32 vcc_lo, 1, v1
                                        ; implicit-def: $vgpr1_vgpr2
	s_and_saveexec_b32 s1, vcc_lo
	s_xor_b32 s1, exec_lo, s1
	s_cbranch_execz .LBB410_39
; %bb.38:
	s_waitcnt lgkmcnt(0)
	v_cmp_lt_i64_e32 vcc_lo, v[5:6], v[3:4]
                                        ; implicit-def: $vgpr7
                                        ; implicit-def: $vgpr8
	v_cndmask_b32_e32 v2, v4, v6, vcc_lo
	v_cndmask_b32_e32 v1, v3, v5, vcc_lo
                                        ; implicit-def: $vgpr5_vgpr6
                                        ; implicit-def: $vgpr3_vgpr4
.LBB410_39:
	s_or_saveexec_b32 s1, s1
	v_mov_b32_e32 v9, 1
	s_xor_b32 exec_lo, exec_lo, s1
	s_cbranch_execz .LBB410_41
; %bb.40:
	v_and_b32_e32 v1, 1, v7
	v_cmp_eq_u32_e32 vcc_lo, 1, v1
	s_waitcnt lgkmcnt(0)
	v_cndmask_b32_e32 v2, v6, v4, vcc_lo
	v_cndmask_b32_e32 v1, v5, v3, vcc_lo
	v_cndmask_b32_e64 v9, v8, 1, vcc_lo
.LBB410_41:
	s_or_b32 exec_lo, exec_lo, s1
.LBB410_42:
	s_or_b32 exec_lo, exec_lo, s0
	s_branch .LBB410_242
.LBB410_43:
                                        ; implicit-def: $vgpr3_vgpr4
                                        ; implicit-def: $vgpr5
                                        ; implicit-def: $vgpr1_vgpr2
	s_branch .LBB410_356
.LBB410_44:
                                        ; implicit-def: $vgpr1_vgpr2
                                        ; implicit-def: $vgpr17
	s_cbranch_execz .LBB410_167
; %bb.45:
	v_mov_b32_e32 v15, 0
	v_mov_b32_e32 v1, 0
	;; [unrolled: 1-line block ×6, first 2 shown]
	s_sub_i32 s27, s14, s8
	s_mov_b32 s0, exec_lo
	v_cmpx_gt_u32_e64 s27, v0
	s_cbranch_execz .LBB410_47
; %bb.46:
	v_lshlrev_b32_e32 v1, 3, v0
	global_load_dwordx2 v[3:4], v1, s[10:11]
	s_waitcnt lgkmcnt(0)
	global_load_dwordx2 v[5:6], v1, s[22:23]
	v_add_co_u32 v1, s1, s28, v0
	v_add_co_ci_u32_e64 v2, null, s29, 0, s1
	s_waitcnt vmcnt(0)
	v_cmp_ne_u64_e32 vcc_lo, v[3:4], v[5:6]
	v_cndmask_b32_e64 v17, 0, 1, vcc_lo
.LBB410_47:
	s_or_b32 exec_lo, exec_lo, s0
	v_or_b32_e32 v3, 0x100, v0
	v_cmp_gt_u32_e64 s9, s27, v3
	s_and_saveexec_b32 s0, s9
	s_cbranch_execz .LBB410_49
; %bb.48:
	s_waitcnt lgkmcnt(0)
	v_lshlrev_b32_e32 v6, 3, v3
	v_add_co_u32 v15, s1, s28, v3
	v_add_co_ci_u32_e64 v16, null, s29, 0, s1
	s_clause 0x1
	global_load_dwordx2 v[4:5], v6, s[10:11]
	global_load_dwordx2 v[6:7], v6, s[22:23]
	s_waitcnt vmcnt(0)
	v_cmp_ne_u64_e32 vcc_lo, v[4:5], v[6:7]
	v_cndmask_b32_e64 v24, 0, 1, vcc_lo
.LBB410_49:
	s_or_b32 exec_lo, exec_lo, s0
	v_or_b32_e32 v3, 0x200, v0
	v_mov_b32_e32 v11, 0
	v_mov_b32_e32 v13, 0
	v_mov_b32_e32 v22, 0
	v_mov_b32_e32 v12, 0
	v_mov_b32_e32 v14, 0
	v_cmp_gt_u32_e64 s8, s27, v3
	v_mov_b32_e32 v23, 0
	s_and_saveexec_b32 s0, s8
	s_cbranch_execz .LBB410_51
; %bb.50:
	s_waitcnt lgkmcnt(0)
	v_lshlrev_b32_e32 v6, 3, v3
	v_add_co_u32 v13, s1, s28, v3
	v_add_co_ci_u32_e64 v14, null, s29, 0, s1
	s_clause 0x1
	global_load_dwordx2 v[4:5], v6, s[10:11]
	global_load_dwordx2 v[6:7], v6, s[22:23]
	s_waitcnt vmcnt(0)
	v_cmp_ne_u64_e32 vcc_lo, v[4:5], v[6:7]
	v_cndmask_b32_e64 v23, 0, 1, vcc_lo
.LBB410_51:
	s_or_b32 exec_lo, exec_lo, s0
	v_or_b32_e32 v3, 0x300, v0
	v_cmp_gt_u32_e64 s3, s27, v3
	s_and_saveexec_b32 s0, s3
	s_cbranch_execz .LBB410_53
; %bb.52:
	s_waitcnt lgkmcnt(0)
	v_lshlrev_b32_e32 v6, 3, v3
	v_add_co_u32 v11, s1, s28, v3
	v_add_co_ci_u32_e64 v12, null, s29, 0, s1
	s_clause 0x1
	global_load_dwordx2 v[4:5], v6, s[10:11]
	global_load_dwordx2 v[6:7], v6, s[22:23]
	s_waitcnt vmcnt(0)
	v_cmp_ne_u64_e32 vcc_lo, v[4:5], v[6:7]
	v_cndmask_b32_e64 v22, 0, 1, vcc_lo
.LBB410_53:
	s_or_b32 exec_lo, exec_lo, s0
	v_or_b32_e32 v3, 0x400, v0
	v_mov_b32_e32 v7, 0
	v_mov_b32_e32 v9, 0
	;; [unrolled: 1-line block ×5, first 2 shown]
	v_cmp_gt_u32_e64 s2, s27, v3
	v_mov_b32_e32 v21, 0
	s_and_saveexec_b32 s0, s2
	s_cbranch_execz .LBB410_55
; %bb.54:
	s_waitcnt lgkmcnt(0)
	v_lshlrev_b32_e32 v6, 3, v3
	v_add_co_u32 v9, s1, s28, v3
	v_add_co_ci_u32_e64 v10, null, s29, 0, s1
	s_clause 0x1
	global_load_dwordx2 v[4:5], v6, s[10:11]
	global_load_dwordx2 v[18:19], v6, s[22:23]
	s_waitcnt vmcnt(0)
	v_cmp_ne_u64_e32 vcc_lo, v[4:5], v[18:19]
	v_cndmask_b32_e64 v21, 0, 1, vcc_lo
.LBB410_55:
	s_or_b32 exec_lo, exec_lo, s0
	v_or_b32_e32 v3, 0x500, v0
	v_cmp_gt_u32_e64 s1, s27, v3
	s_and_saveexec_b32 s0, s1
	s_cbranch_execz .LBB410_57
; %bb.56:
	s_waitcnt lgkmcnt(0)
	v_lshlrev_b32_e32 v6, 3, v3
	v_add_co_u32 v7, s30, s28, v3
	v_add_co_ci_u32_e64 v8, null, s29, 0, s30
	s_clause 0x1
	global_load_dwordx2 v[4:5], v6, s[10:11]
	global_load_dwordx2 v[18:19], v6, s[22:23]
	s_waitcnt vmcnt(0)
	v_cmp_ne_u64_e32 vcc_lo, v[4:5], v[18:19]
	v_cndmask_b32_e64 v20, 0, 1, vcc_lo
.LBB410_57:
	s_or_b32 exec_lo, exec_lo, s0
	v_or_b32_e32 v25, 0x600, v0
	v_mov_b32_e32 v3, 0
	s_waitcnt lgkmcnt(0)
	v_mov_b32_e32 v5, 0
	v_mov_b32_e32 v4, 0
	;; [unrolled: 1-line block ×4, first 2 shown]
	v_cmp_gt_u32_e64 s0, s27, v25
	v_mov_b32_e32 v19, 0
	s_and_saveexec_b32 s30, s0
	s_cbranch_execz .LBB410_59
; %bb.58:
	v_lshlrev_b32_e32 v5, 3, v25
	s_clause 0x1
	global_load_dwordx2 v[26:27], v5, s[10:11]
	global_load_dwordx2 v[28:29], v5, s[22:23]
	v_add_co_u32 v5, s31, s28, v25
	v_add_co_ci_u32_e64 v6, null, s29, 0, s31
	s_waitcnt vmcnt(0)
	v_cmp_ne_u64_e32 vcc_lo, v[26:27], v[28:29]
	v_cndmask_b32_e64 v19, 0, 1, vcc_lo
.LBB410_59:
	s_or_b32 exec_lo, exec_lo, s30
	v_or_b32_e32 v25, 0x700, v0
	v_cmp_gt_u32_e32 vcc_lo, s27, v25
	s_and_saveexec_b32 s30, vcc_lo
	s_cbranch_execnz .LBB410_78
; %bb.60:
	s_or_b32 exec_lo, exec_lo, s30
	s_and_saveexec_b32 s11, s9
	s_cbranch_execnz .LBB410_79
.LBB410_61:
	s_or_b32 exec_lo, exec_lo, s11
	s_and_saveexec_b32 s10, s8
	s_cbranch_execnz .LBB410_84
.LBB410_62:
	s_or_b32 exec_lo, exec_lo, s10
	s_and_saveexec_b32 s9, s3
	s_cbranch_execnz .LBB410_89
.LBB410_63:
	s_or_b32 exec_lo, exec_lo, s9
	s_and_saveexec_b32 s8, s2
	s_cbranch_execnz .LBB410_94
.LBB410_64:
	s_or_b32 exec_lo, exec_lo, s8
	s_and_saveexec_b32 s3, s1
	s_cbranch_execnz .LBB410_99
.LBB410_65:
	s_or_b32 exec_lo, exec_lo, s3
	s_and_saveexec_b32 s2, s0
	s_cbranch_execnz .LBB410_104
.LBB410_66:
	s_or_b32 exec_lo, exec_lo, s2
	s_and_saveexec_b32 s1, vcc_lo
	s_cbranch_execnz .LBB410_109
	s_branch .LBB410_114
.LBB410_67:
                                        ; implicit-def: $vgpr1_vgpr2
                                        ; implicit-def: $vgpr9
	s_cbranch_execz .LBB410_242
; %bb.68:
	v_mov_b32_e32 v7, 0
	v_mov_b32_e32 v1, 0
	;; [unrolled: 1-line block ×6, first 2 shown]
	s_sub_i32 s10, s14, s10
	s_mov_b32 s0, exec_lo
	v_cmpx_gt_u32_e64 s10, v0
	s_cbranch_execz .LBB410_70
; %bb.69:
	v_lshlrev_b32_e32 v1, 3, v0
	s_waitcnt lgkmcnt(0)
	s_clause 0x1
	global_load_dwordx2 v[3:4], v1, s[2:3]
	global_load_dwordx2 v[5:6], v1, s[8:9]
	v_add_co_u32 v1, s1, s11, v0
	v_add_co_ci_u32_e64 v2, null, s23, 0, s1
	s_waitcnt vmcnt(0)
	v_cmp_ne_u64_e32 vcc_lo, v[3:4], v[5:6]
	v_cndmask_b32_e64 v9, 0, 1, vcc_lo
.LBB410_70:
	s_or_b32 exec_lo, exec_lo, s0
	s_waitcnt lgkmcnt(1)
	v_or_b32_e32 v3, 0x100, v0
	v_cmp_gt_u32_e64 s1, s10, v3
	s_and_saveexec_b32 s0, s1
	s_cbranch_execz .LBB410_72
; %bb.71:
	s_waitcnt lgkmcnt(0)
	v_lshlrev_b32_e32 v6, 3, v3
	v_add_co_u32 v7, s26, s11, v3
	v_add_co_ci_u32_e64 v8, null, s23, 0, s26
	s_clause 0x1
	global_load_dwordx2 v[4:5], v6, s[2:3]
	global_load_dwordx2 v[10:11], v6, s[8:9]
	s_waitcnt vmcnt(0)
	v_cmp_ne_u64_e32 vcc_lo, v[4:5], v[10:11]
	v_cndmask_b32_e64 v12, 0, 1, vcc_lo
.LBB410_72:
	s_or_b32 exec_lo, exec_lo, s0
	v_or_b32_e32 v13, 0x200, v0
	s_waitcnt lgkmcnt(0)
	v_mov_b32_e32 v3, 0
	v_mov_b32_e32 v5, 0
	;; [unrolled: 1-line block ×5, first 2 shown]
	v_cmp_gt_u32_e64 s0, s10, v13
	v_mov_b32_e32 v11, 0
	s_and_saveexec_b32 s26, s0
	s_cbranch_execz .LBB410_74
; %bb.73:
	v_lshlrev_b32_e32 v5, 3, v13
	s_clause 0x1
	global_load_dwordx2 v[14:15], v5, s[2:3]
	global_load_dwordx2 v[16:17], v5, s[8:9]
	v_add_co_u32 v5, s27, s11, v13
	v_add_co_ci_u32_e64 v6, null, s23, 0, s27
	s_waitcnt vmcnt(0)
	v_cmp_ne_u64_e32 vcc_lo, v[14:15], v[16:17]
	v_cndmask_b32_e64 v11, 0, 1, vcc_lo
.LBB410_74:
	s_or_b32 exec_lo, exec_lo, s26
	v_or_b32_e32 v13, 0x300, v0
	v_cmp_gt_u32_e32 vcc_lo, s10, v13
	s_and_saveexec_b32 s26, vcc_lo
	s_cbranch_execnz .LBB410_173
; %bb.75:
	s_or_b32 exec_lo, exec_lo, s26
	s_and_saveexec_b32 s3, s1
	s_cbranch_execnz .LBB410_174
.LBB410_76:
	s_or_b32 exec_lo, exec_lo, s3
	s_and_saveexec_b32 s2, s0
	s_cbranch_execnz .LBB410_179
.LBB410_77:
	s_or_b32 exec_lo, exec_lo, s2
	s_and_saveexec_b32 s1, vcc_lo
	s_cbranch_execnz .LBB410_184
	s_branch .LBB410_189
.LBB410_78:
	v_lshlrev_b32_e32 v3, 3, v25
	s_clause 0x1
	global_load_dwordx2 v[26:27], v3, s[10:11]
	global_load_dwordx2 v[28:29], v3, s[22:23]
	v_add_co_u32 v3, s10, s28, v25
	v_add_co_ci_u32_e64 v4, null, s29, 0, s10
	s_waitcnt vmcnt(0)
	v_cmp_ne_u64_e64 s10, v[26:27], v[28:29]
	v_cndmask_b32_e64 v18, 0, 1, s10
	s_or_b32 exec_lo, exec_lo, s30
	s_and_saveexec_b32 s11, s9
	s_cbranch_execz .LBB410_61
.LBB410_79:
	v_and_b32_e32 v17, 1, v17
	v_and_b32_e32 v25, 1, v24
	v_cmp_eq_u32_e64 s9, 1, v17
	v_cmp_eq_u32_e64 s10, 1, v25
                                        ; implicit-def: $vgpr17
	s_and_b32 s10, s9, s10
	s_xor_b32 s10, s10, -1
	s_and_saveexec_b32 s22, s10
	s_xor_b32 s10, exec_lo, s22
; %bb.80:
	v_and_b32_e32 v17, 0xffff, v24
	v_cndmask_b32_e64 v2, v16, v2, s9
	v_cndmask_b32_e64 v1, v15, v1, s9
                                        ; implicit-def: $vgpr15_vgpr16
	v_cndmask_b32_e64 v17, v17, 1, s9
; %bb.81:
	s_andn2_saveexec_b32 s10, s10
; %bb.82:
	v_cmp_lt_i64_e64 s9, v[15:16], v[1:2]
	v_mov_b32_e32 v17, 1
	v_cndmask_b32_e64 v2, v2, v16, s9
	v_cndmask_b32_e64 v1, v1, v15, s9
; %bb.83:
	s_or_b32 exec_lo, exec_lo, s10
	s_or_b32 exec_lo, exec_lo, s11
	s_and_saveexec_b32 s10, s8
	s_cbranch_execz .LBB410_62
.LBB410_84:
	v_and_b32_e32 v15, 1, v17
	v_and_b32_e32 v16, 1, v23
                                        ; implicit-def: $vgpr17
	v_cmp_eq_u32_e64 s8, 1, v15
	v_cmp_eq_u32_e64 s9, 1, v16
	s_and_b32 s9, s8, s9
	s_xor_b32 s9, s9, -1
	s_and_saveexec_b32 s11, s9
	s_xor_b32 s9, exec_lo, s11
; %bb.85:
	v_and_b32_e32 v15, 0xffff, v23
	v_cndmask_b32_e64 v2, v14, v2, s8
	v_cndmask_b32_e64 v1, v13, v1, s8
                                        ; implicit-def: $vgpr13_vgpr14
	v_cndmask_b32_e64 v17, v15, 1, s8
; %bb.86:
	s_andn2_saveexec_b32 s9, s9
; %bb.87:
	v_cmp_lt_i64_e64 s8, v[13:14], v[1:2]
	v_mov_b32_e32 v17, 1
	v_cndmask_b32_e64 v2, v2, v14, s8
	v_cndmask_b32_e64 v1, v1, v13, s8
; %bb.88:
	s_or_b32 exec_lo, exec_lo, s9
	s_or_b32 exec_lo, exec_lo, s10
	s_and_saveexec_b32 s9, s3
	s_cbranch_execz .LBB410_63
.LBB410_89:
	v_and_b32_e32 v13, 1, v17
	v_and_b32_e32 v14, 1, v22
                                        ; implicit-def: $vgpr17
	v_cmp_eq_u32_e64 s3, 1, v13
	v_cmp_eq_u32_e64 s8, 1, v14
	s_and_b32 s8, s3, s8
	s_xor_b32 s8, s8, -1
	s_and_saveexec_b32 s10, s8
	s_xor_b32 s8, exec_lo, s10
; %bb.90:
	v_and_b32_e32 v13, 0xffff, v22
	v_cndmask_b32_e64 v2, v12, v2, s3
	v_cndmask_b32_e64 v1, v11, v1, s3
                                        ; implicit-def: $vgpr11_vgpr12
	v_cndmask_b32_e64 v17, v13, 1, s3
; %bb.91:
	s_andn2_saveexec_b32 s8, s8
; %bb.92:
	v_cmp_lt_i64_e64 s3, v[11:12], v[1:2]
	v_mov_b32_e32 v17, 1
	v_cndmask_b32_e64 v2, v2, v12, s3
	v_cndmask_b32_e64 v1, v1, v11, s3
; %bb.93:
	s_or_b32 exec_lo, exec_lo, s8
	s_or_b32 exec_lo, exec_lo, s9
	s_and_saveexec_b32 s8, s2
	s_cbranch_execz .LBB410_64
.LBB410_94:
	v_and_b32_e32 v11, 1, v17
	v_and_b32_e32 v12, 1, v21
                                        ; implicit-def: $vgpr17
	v_cmp_eq_u32_e64 s2, 1, v11
	v_cmp_eq_u32_e64 s3, 1, v12
	s_and_b32 s3, s2, s3
	s_xor_b32 s3, s3, -1
	s_and_saveexec_b32 s9, s3
	s_xor_b32 s3, exec_lo, s9
; %bb.95:
	v_and_b32_e32 v11, 0xffff, v21
	v_cndmask_b32_e64 v2, v10, v2, s2
	v_cndmask_b32_e64 v1, v9, v1, s2
                                        ; implicit-def: $vgpr9_vgpr10
	v_cndmask_b32_e64 v17, v11, 1, s2
; %bb.96:
	s_andn2_saveexec_b32 s3, s3
; %bb.97:
	v_cmp_lt_i64_e64 s2, v[9:10], v[1:2]
	v_mov_b32_e32 v17, 1
	v_cndmask_b32_e64 v2, v2, v10, s2
	v_cndmask_b32_e64 v1, v1, v9, s2
; %bb.98:
	s_or_b32 exec_lo, exec_lo, s3
	s_or_b32 exec_lo, exec_lo, s8
	s_and_saveexec_b32 s3, s1
	s_cbranch_execz .LBB410_65
.LBB410_99:
	v_and_b32_e32 v9, 1, v17
	v_and_b32_e32 v10, 1, v20
                                        ; implicit-def: $vgpr17
	v_cmp_eq_u32_e64 s1, 1, v9
	v_cmp_eq_u32_e64 s2, 1, v10
	s_and_b32 s2, s1, s2
	s_xor_b32 s2, s2, -1
	s_and_saveexec_b32 s8, s2
	s_xor_b32 s2, exec_lo, s8
; %bb.100:
	v_and_b32_e32 v9, 0xffff, v20
	v_cndmask_b32_e64 v2, v8, v2, s1
	v_cndmask_b32_e64 v1, v7, v1, s1
                                        ; implicit-def: $vgpr7_vgpr8
	v_cndmask_b32_e64 v17, v9, 1, s1
; %bb.101:
	s_andn2_saveexec_b32 s2, s2
; %bb.102:
	v_cmp_lt_i64_e64 s1, v[7:8], v[1:2]
	v_mov_b32_e32 v17, 1
	v_cndmask_b32_e64 v2, v2, v8, s1
	v_cndmask_b32_e64 v1, v1, v7, s1
; %bb.103:
	s_or_b32 exec_lo, exec_lo, s2
	s_or_b32 exec_lo, exec_lo, s3
	s_and_saveexec_b32 s2, s0
	s_cbranch_execz .LBB410_66
.LBB410_104:
	v_and_b32_e32 v7, 1, v17
	v_and_b32_e32 v8, 1, v19
                                        ; implicit-def: $vgpr17
	v_cmp_eq_u32_e64 s0, 1, v7
	v_cmp_eq_u32_e64 s1, 1, v8
	s_and_b32 s1, s0, s1
	s_xor_b32 s1, s1, -1
	s_and_saveexec_b32 s3, s1
	s_xor_b32 s1, exec_lo, s3
; %bb.105:
	v_and_b32_e32 v7, 0xffff, v19
	v_cndmask_b32_e64 v2, v6, v2, s0
	v_cndmask_b32_e64 v1, v5, v1, s0
                                        ; implicit-def: $vgpr5_vgpr6
	v_cndmask_b32_e64 v17, v7, 1, s0
; %bb.106:
	s_andn2_saveexec_b32 s1, s1
; %bb.107:
	v_cmp_lt_i64_e64 s0, v[5:6], v[1:2]
	v_mov_b32_e32 v17, 1
	v_cndmask_b32_e64 v2, v2, v6, s0
	v_cndmask_b32_e64 v1, v1, v5, s0
; %bb.108:
	s_or_b32 exec_lo, exec_lo, s1
	s_or_b32 exec_lo, exec_lo, s2
	s_and_saveexec_b32 s1, vcc_lo
	s_cbranch_execz .LBB410_114
.LBB410_109:
	v_and_b32_e32 v5, 1, v17
	v_and_b32_e32 v6, 1, v18
                                        ; implicit-def: $vgpr17
	v_cmp_eq_u32_e32 vcc_lo, 1, v5
	v_cmp_eq_u32_e64 s0, 1, v6
	s_and_b32 s0, vcc_lo, s0
	s_xor_b32 s0, s0, -1
	s_and_saveexec_b32 s2, s0
	s_xor_b32 s0, exec_lo, s2
; %bb.110:
	v_and_b32_e32 v5, 0xffff, v18
	v_cndmask_b32_e32 v2, v4, v2, vcc_lo
	v_cndmask_b32_e32 v1, v3, v1, vcc_lo
                                        ; implicit-def: $vgpr3_vgpr4
	v_cndmask_b32_e64 v17, v5, 1, vcc_lo
; %bb.111:
	s_andn2_saveexec_b32 s0, s0
; %bb.112:
	v_cmp_lt_i64_e32 vcc_lo, v[3:4], v[1:2]
	v_mov_b32_e32 v17, 1
	v_cndmask_b32_e32 v2, v2, v4, vcc_lo
	v_cndmask_b32_e32 v1, v1, v3, vcc_lo
; %bb.113:
	s_or_b32 exec_lo, exec_lo, s0
.LBB410_114:
	s_or_b32 exec_lo, exec_lo, s1
	v_mbcnt_lo_u32_b32 v5, -1, 0
	v_and_b32_e32 v6, 0xe0, v0
	s_min_u32 s0, s27, 0x100
	s_mov_b32 s1, exec_lo
	v_cmp_ne_u32_e32 vcc_lo, 31, v5
	v_sub_nc_u32_e64 v6, s0, v6 clamp
	v_add_nc_u32_e32 v8, 1, v5
	v_add_co_ci_u32_e64 v3, null, 0, v5, vcc_lo
	v_lshlrev_b32_e32 v4, 2, v3
	ds_bpermute_b32 v7, v4, v17
	ds_bpermute_b32 v3, v4, v1
	;; [unrolled: 1-line block ×3, first 2 shown]
	v_cmpx_lt_u32_e64 v8, v6
	s_xor_b32 s1, exec_lo, s1
	s_cbranch_execz .LBB410_120
; %bb.115:
	s_waitcnt lgkmcnt(2)
	v_and_b32_e32 v8, v7, v17
	s_mov_b32 s2, exec_lo
	v_cmpx_ne_u32_e32 0, v8
	s_xor_b32 s2, exec_lo, s2
	s_cbranch_execz .LBB410_117
; %bb.116:
	s_waitcnt lgkmcnt(0)
	v_cmp_lt_i64_e32 vcc_lo, v[3:4], v[1:2]
                                        ; implicit-def: $vgpr17
                                        ; implicit-def: $vgpr7
	v_cndmask_b32_e32 v2, v2, v4, vcc_lo
	v_cndmask_b32_e32 v1, v1, v3, vcc_lo
                                        ; implicit-def: $vgpr3_vgpr4
.LBB410_117:
	s_or_saveexec_b32 s2, s2
	v_mov_b32_e32 v8, 1
	s_xor_b32 exec_lo, exec_lo, s2
	s_cbranch_execz .LBB410_119
; %bb.118:
	v_and_b32_e32 v8, 1, v17
	v_and_b32_e32 v7, 0xff, v7
	v_cmp_eq_u32_e32 vcc_lo, 1, v8
	s_waitcnt lgkmcnt(0)
	v_cndmask_b32_e32 v2, v4, v2, vcc_lo
	v_cndmask_b32_e32 v1, v3, v1, vcc_lo
	v_cndmask_b32_e64 v8, v7, 1, vcc_lo
.LBB410_119:
	s_or_b32 exec_lo, exec_lo, s2
	v_mov_b32_e32 v17, v8
.LBB410_120:
	s_or_b32 exec_lo, exec_lo, s1
	v_cmp_gt_u32_e32 vcc_lo, 30, v5
	v_add_nc_u32_e32 v8, 2, v5
	s_mov_b32 s1, exec_lo
	s_waitcnt lgkmcnt(1)
	v_cndmask_b32_e64 v3, 0, 2, vcc_lo
	s_waitcnt lgkmcnt(0)
	v_add_lshl_u32 v4, v3, v5, 2
	ds_bpermute_b32 v7, v4, v17
	ds_bpermute_b32 v3, v4, v1
	ds_bpermute_b32 v4, v4, v2
	v_cmpx_lt_u32_e64 v8, v6
	s_cbranch_execz .LBB410_126
; %bb.121:
	s_waitcnt lgkmcnt(2)
	v_and_b32_e32 v8, v17, v7
	s_mov_b32 s2, exec_lo
	v_and_b32_e32 v8, 1, v8
	v_cmpx_eq_u32_e32 1, v8
	s_xor_b32 s2, exec_lo, s2
	s_cbranch_execz .LBB410_123
; %bb.122:
	s_waitcnt lgkmcnt(0)
	v_cmp_lt_i64_e32 vcc_lo, v[3:4], v[1:2]
                                        ; implicit-def: $vgpr17
                                        ; implicit-def: $vgpr7
	v_cndmask_b32_e32 v2, v2, v4, vcc_lo
	v_cndmask_b32_e32 v1, v1, v3, vcc_lo
                                        ; implicit-def: $vgpr3_vgpr4
.LBB410_123:
	s_or_saveexec_b32 s2, s2
	v_mov_b32_e32 v8, 1
	s_xor_b32 exec_lo, exec_lo, s2
	s_cbranch_execz .LBB410_125
; %bb.124:
	v_and_b32_e32 v8, 1, v17
	v_and_b32_e32 v7, 0xff, v7
	v_cmp_eq_u32_e32 vcc_lo, 1, v8
	s_waitcnt lgkmcnt(0)
	v_cndmask_b32_e32 v2, v4, v2, vcc_lo
	v_cndmask_b32_e32 v1, v3, v1, vcc_lo
	v_cndmask_b32_e64 v8, v7, 1, vcc_lo
.LBB410_125:
	s_or_b32 exec_lo, exec_lo, s2
	v_mov_b32_e32 v17, v8
.LBB410_126:
	s_or_b32 exec_lo, exec_lo, s1
	v_cmp_gt_u32_e32 vcc_lo, 28, v5
	v_add_nc_u32_e32 v8, 4, v5
	s_mov_b32 s1, exec_lo
	s_waitcnt lgkmcnt(1)
	v_cndmask_b32_e64 v3, 0, 4, vcc_lo
	s_waitcnt lgkmcnt(0)
	v_add_lshl_u32 v4, v3, v5, 2
	ds_bpermute_b32 v7, v4, v17
	ds_bpermute_b32 v3, v4, v1
	ds_bpermute_b32 v4, v4, v2
	v_cmpx_lt_u32_e64 v8, v6
	s_cbranch_execz .LBB410_132
; %bb.127:
	s_waitcnt lgkmcnt(2)
	v_and_b32_e32 v8, v17, v7
	s_mov_b32 s2, exec_lo
	v_and_b32_e32 v8, 1, v8
	v_cmpx_eq_u32_e32 1, v8
	s_xor_b32 s2, exec_lo, s2
	s_cbranch_execz .LBB410_129
; %bb.128:
	s_waitcnt lgkmcnt(0)
	v_cmp_lt_i64_e32 vcc_lo, v[3:4], v[1:2]
                                        ; implicit-def: $vgpr17
                                        ; implicit-def: $vgpr7
	v_cndmask_b32_e32 v2, v2, v4, vcc_lo
	v_cndmask_b32_e32 v1, v1, v3, vcc_lo
                                        ; implicit-def: $vgpr3_vgpr4
.LBB410_129:
	s_or_saveexec_b32 s2, s2
	v_mov_b32_e32 v8, 1
	s_xor_b32 exec_lo, exec_lo, s2
	s_cbranch_execz .LBB410_131
; %bb.130:
	v_and_b32_e32 v8, 1, v17
	v_and_b32_e32 v7, 0xff, v7
	v_cmp_eq_u32_e32 vcc_lo, 1, v8
	s_waitcnt lgkmcnt(0)
	v_cndmask_b32_e32 v2, v4, v2, vcc_lo
	v_cndmask_b32_e32 v1, v3, v1, vcc_lo
	v_cndmask_b32_e64 v8, v7, 1, vcc_lo
.LBB410_131:
	s_or_b32 exec_lo, exec_lo, s2
	v_mov_b32_e32 v17, v8
.LBB410_132:
	;; [unrolled: 46-line block ×3, first 2 shown]
	s_or_b32 exec_lo, exec_lo, s1
	s_waitcnt lgkmcnt(2)
	v_lshlrev_b32_e32 v7, 2, v5
	v_add_nc_u32_e32 v9, 16, v5
	s_waitcnt lgkmcnt(0)
	v_or_b32_e32 v4, 64, v7
	v_cmp_lt_u32_e32 vcc_lo, v9, v6
	v_mov_b32_e32 v6, v17
	ds_bpermute_b32 v8, v4, v17
	ds_bpermute_b32 v3, v4, v1
	;; [unrolled: 1-line block ×3, first 2 shown]
	s_and_saveexec_b32 s1, vcc_lo
	s_cbranch_execz .LBB410_144
; %bb.139:
	s_waitcnt lgkmcnt(2)
	v_and_b32_e32 v6, v17, v8
	s_mov_b32 s2, exec_lo
	v_and_b32_e32 v6, 1, v6
	v_cmpx_eq_u32_e32 1, v6
	s_xor_b32 s2, exec_lo, s2
	s_cbranch_execz .LBB410_141
; %bb.140:
	s_waitcnt lgkmcnt(0)
	v_cmp_lt_i64_e32 vcc_lo, v[3:4], v[1:2]
                                        ; implicit-def: $vgpr17
                                        ; implicit-def: $vgpr8
	v_cndmask_b32_e32 v2, v2, v4, vcc_lo
	v_cndmask_b32_e32 v1, v1, v3, vcc_lo
                                        ; implicit-def: $vgpr3_vgpr4
.LBB410_141:
	s_or_saveexec_b32 s2, s2
	v_mov_b32_e32 v6, 1
	s_xor_b32 exec_lo, exec_lo, s2
	s_cbranch_execz .LBB410_143
; %bb.142:
	v_and_b32_e32 v6, 1, v17
	v_cmp_eq_u32_e32 vcc_lo, 1, v6
	v_cndmask_b32_e64 v6, v8, 1, vcc_lo
	s_waitcnt lgkmcnt(0)
	v_cndmask_b32_e32 v2, v4, v2, vcc_lo
	v_cndmask_b32_e32 v1, v3, v1, vcc_lo
.LBB410_143:
	s_or_b32 exec_lo, exec_lo, s2
	v_and_b32_e32 v17, 0xff, v6
.LBB410_144:
	s_or_b32 exec_lo, exec_lo, s1
	s_mov_b32 s1, exec_lo
	v_cmpx_eq_u32_e32 0, v5
	s_cbranch_execz .LBB410_146
; %bb.145:
	s_waitcnt lgkmcnt(1)
	v_lshrrev_b32_e32 v3, 1, v0
	v_and_b32_e32 v3, 0x70, v3
	ds_write_b8 v3, v6 offset:512
	ds_write_b64 v3, v[1:2] offset:520
.LBB410_146:
	s_or_b32 exec_lo, exec_lo, s1
	s_mov_b32 s1, exec_lo
	s_waitcnt lgkmcnt(0)
	s_barrier
	buffer_gl0_inv
	v_cmpx_gt_u32_e32 8, v0
	s_cbranch_execz .LBB410_166
; %bb.147:
	v_lshlrev_b32_e32 v1, 4, v5
	v_and_b32_e32 v6, 7, v5
	s_add_i32 s0, s0, 31
	s_mov_b32 s2, exec_lo
	s_lshr_b32 s0, s0, 5
	ds_read_u8 v8, v1 offset:512
	ds_read_b64 v[1:2], v1 offset:520
	v_cmp_ne_u32_e32 vcc_lo, 7, v6
	v_add_nc_u32_e32 v10, 1, v6
	v_add_co_ci_u32_e64 v3, null, 0, v5, vcc_lo
	v_lshlrev_b32_e32 v4, 2, v3
	s_waitcnt lgkmcnt(1)
	v_and_b32_e32 v17, 0xff, v8
	s_waitcnt lgkmcnt(0)
	ds_bpermute_b32 v3, v4, v1
	ds_bpermute_b32 v9, v4, v17
	;; [unrolled: 1-line block ×3, first 2 shown]
	v_cmpx_gt_u32_e64 s0, v10
	s_cbranch_execz .LBB410_153
; %bb.148:
	s_waitcnt lgkmcnt(1)
	v_and_b32_e32 v10, v17, v9
	s_mov_b32 s3, exec_lo
	v_and_b32_e32 v10, 1, v10
	v_cmpx_eq_u32_e32 1, v10
	s_xor_b32 s3, exec_lo, s3
	s_cbranch_execz .LBB410_150
; %bb.149:
	s_waitcnt lgkmcnt(0)
	v_cmp_lt_i64_e32 vcc_lo, v[3:4], v[1:2]
                                        ; implicit-def: $vgpr8
                                        ; implicit-def: $vgpr9
	v_cndmask_b32_e32 v2, v2, v4, vcc_lo
	v_cndmask_b32_e32 v1, v1, v3, vcc_lo
                                        ; implicit-def: $vgpr3_vgpr4
.LBB410_150:
	s_or_saveexec_b32 s3, s3
	v_mov_b32_e32 v17, 1
	s_xor_b32 exec_lo, exec_lo, s3
	s_cbranch_execz .LBB410_152
; %bb.151:
	v_and_b32_e32 v8, 1, v8
	v_cmp_eq_u32_e32 vcc_lo, 1, v8
	v_and_b32_e32 v8, 0xff, v9
	s_waitcnt lgkmcnt(0)
	v_cndmask_b32_e32 v2, v4, v2, vcc_lo
	v_cndmask_b32_e32 v1, v3, v1, vcc_lo
	v_cndmask_b32_e64 v17, v8, 1, vcc_lo
.LBB410_152:
	s_or_b32 exec_lo, exec_lo, s3
.LBB410_153:
	s_or_b32 exec_lo, exec_lo, s2
	v_cmp_gt_u32_e32 vcc_lo, 6, v6
	v_add_nc_u32_e32 v8, 2, v6
	s_mov_b32 s2, exec_lo
	s_waitcnt lgkmcnt(2)
	v_cndmask_b32_e64 v3, 0, 2, vcc_lo
	s_waitcnt lgkmcnt(0)
	v_add_lshl_u32 v4, v3, v5, 2
	ds_bpermute_b32 v5, v4, v17
	ds_bpermute_b32 v3, v4, v1
	ds_bpermute_b32 v4, v4, v2
	v_cmpx_gt_u32_e64 s0, v8
	s_cbranch_execz .LBB410_159
; %bb.154:
	s_waitcnt lgkmcnt(2)
	v_and_b32_e32 v8, v17, v5
	s_mov_b32 s3, exec_lo
	v_and_b32_e32 v8, 1, v8
	v_cmpx_eq_u32_e32 1, v8
	s_xor_b32 s3, exec_lo, s3
	s_cbranch_execz .LBB410_156
; %bb.155:
	s_waitcnt lgkmcnt(0)
	v_cmp_lt_i64_e32 vcc_lo, v[3:4], v[1:2]
                                        ; implicit-def: $vgpr17
                                        ; implicit-def: $vgpr5
	v_cndmask_b32_e32 v2, v2, v4, vcc_lo
	v_cndmask_b32_e32 v1, v1, v3, vcc_lo
                                        ; implicit-def: $vgpr3_vgpr4
.LBB410_156:
	s_or_saveexec_b32 s3, s3
	v_mov_b32_e32 v8, 1
	s_xor_b32 exec_lo, exec_lo, s3
	s_cbranch_execz .LBB410_158
; %bb.157:
	v_and_b32_e32 v8, 1, v17
	v_and_b32_e32 v5, 0xff, v5
	v_cmp_eq_u32_e32 vcc_lo, 1, v8
	s_waitcnt lgkmcnt(0)
	v_cndmask_b32_e32 v2, v4, v2, vcc_lo
	v_cndmask_b32_e32 v1, v3, v1, vcc_lo
	v_cndmask_b32_e64 v8, v5, 1, vcc_lo
.LBB410_158:
	s_or_b32 exec_lo, exec_lo, s3
	v_mov_b32_e32 v17, v8
.LBB410_159:
	s_or_b32 exec_lo, exec_lo, s2
	s_waitcnt lgkmcnt(0)
	v_or_b32_e32 v4, 16, v7
	v_add_nc_u32_e32 v6, 4, v6
	ds_bpermute_b32 v5, v4, v17
	ds_bpermute_b32 v3, v4, v1
	;; [unrolled: 1-line block ×3, first 2 shown]
	v_cmp_gt_u32_e32 vcc_lo, s0, v6
	s_and_saveexec_b32 s0, vcc_lo
	s_cbranch_execz .LBB410_165
; %bb.160:
	s_waitcnt lgkmcnt(2)
	v_and_b32_e32 v6, v17, v5
	s_mov_b32 s2, exec_lo
	v_and_b32_e32 v6, 1, v6
	v_cmpx_eq_u32_e32 1, v6
	s_xor_b32 s2, exec_lo, s2
	s_cbranch_execz .LBB410_162
; %bb.161:
	s_waitcnt lgkmcnt(0)
	v_cmp_lt_i64_e32 vcc_lo, v[3:4], v[1:2]
                                        ; implicit-def: $vgpr17
                                        ; implicit-def: $vgpr5
	v_cndmask_b32_e32 v2, v2, v4, vcc_lo
	v_cndmask_b32_e32 v1, v1, v3, vcc_lo
                                        ; implicit-def: $vgpr3_vgpr4
.LBB410_162:
	s_or_saveexec_b32 s2, s2
	v_mov_b32_e32 v6, 1
	s_xor_b32 exec_lo, exec_lo, s2
	s_cbranch_execz .LBB410_164
; %bb.163:
	v_and_b32_e32 v6, 1, v17
	v_cmp_eq_u32_e32 vcc_lo, 1, v6
	s_waitcnt lgkmcnt(0)
	v_cndmask_b32_e32 v2, v4, v2, vcc_lo
	v_cndmask_b32_e32 v1, v3, v1, vcc_lo
	v_cndmask_b32_e64 v6, v5, 1, vcc_lo
.LBB410_164:
	s_or_b32 exec_lo, exec_lo, s2
	v_mov_b32_e32 v17, v6
.LBB410_165:
	s_or_b32 exec_lo, exec_lo, s0
.LBB410_166:
	s_or_b32 exec_lo, exec_lo, s1
.LBB410_167:
	s_mov_b32 s22, 0
                                        ; implicit-def: $vgpr3_vgpr4
                                        ; implicit-def: $vgpr5
	s_mov_b32 s0, exec_lo
	v_cmpx_eq_u32_e32 0, v0
	s_xor_b32 s2, exec_lo, s0
	s_cbranch_execz .LBB410_171
; %bb.168:
	s_waitcnt lgkmcnt(0)
	v_mov_b32_e32 v3, s20
	v_mov_b32_e32 v4, s21
	;; [unrolled: 1-line block ×3, first 2 shown]
	s_cmp_eq_u64 s[14:15], 0
	s_cbranch_scc1 .LBB410_170
; %bb.169:
	v_and_b32_e32 v3, 1, v17
	v_cmp_gt_i64_e32 vcc_lo, s[20:21], v[1:2]
	s_bitcmp1_b32 s24, 0
	s_cselect_b32 s1, -1, 0
	v_cmp_eq_u32_e64 s0, 1, v3
	v_cndmask_b32_e64 v5, v17, 1, s1
	s_and_b32 vcc_lo, s0, vcc_lo
	v_cndmask_b32_e32 v3, s20, v1, vcc_lo
	v_cndmask_b32_e32 v4, s21, v2, vcc_lo
	v_cndmask_b32_e64 v3, v1, v3, s1
	v_cndmask_b32_e64 v4, v2, v4, s1
.LBB410_170:
	s_mov_b32 s22, exec_lo
.LBB410_171:
	s_or_b32 exec_lo, exec_lo, s2
	v_mov_b32_e32 v1, s6
	v_mov_b32_e32 v2, s7
	s_and_b32 vcc_lo, exec_lo, s26
	s_cbranch_vccnz .LBB410_24
.LBB410_172:
	s_branch .LBB410_356
.LBB410_173:
	v_lshlrev_b32_e32 v3, 3, v13
	s_clause 0x1
	global_load_dwordx2 v[14:15], v3, s[2:3]
	global_load_dwordx2 v[16:17], v3, s[8:9]
	v_add_co_u32 v3, s2, s11, v13
	v_add_co_ci_u32_e64 v4, null, s23, 0, s2
	s_waitcnt vmcnt(0)
	v_cmp_ne_u64_e64 s2, v[14:15], v[16:17]
	v_cndmask_b32_e64 v10, 0, 1, s2
	s_or_b32 exec_lo, exec_lo, s26
	s_and_saveexec_b32 s3, s1
	s_cbranch_execz .LBB410_76
.LBB410_174:
	v_and_b32_e32 v9, 1, v9
	v_and_b32_e32 v13, 1, v12
	v_cmp_eq_u32_e64 s1, 1, v9
	v_cmp_eq_u32_e64 s2, 1, v13
                                        ; implicit-def: $vgpr9
	s_and_b32 s2, s1, s2
	s_xor_b32 s2, s2, -1
	s_and_saveexec_b32 s8, s2
	s_xor_b32 s2, exec_lo, s8
; %bb.175:
	v_and_b32_e32 v9, 0xffff, v12
	v_cndmask_b32_e64 v2, v8, v2, s1
	v_cndmask_b32_e64 v1, v7, v1, s1
                                        ; implicit-def: $vgpr7_vgpr8
	v_cndmask_b32_e64 v9, v9, 1, s1
; %bb.176:
	s_andn2_saveexec_b32 s2, s2
; %bb.177:
	v_cmp_lt_i64_e64 s1, v[7:8], v[1:2]
	v_mov_b32_e32 v9, 1
	v_cndmask_b32_e64 v2, v2, v8, s1
	v_cndmask_b32_e64 v1, v1, v7, s1
; %bb.178:
	s_or_b32 exec_lo, exec_lo, s2
	s_or_b32 exec_lo, exec_lo, s3
	s_and_saveexec_b32 s2, s0
	s_cbranch_execz .LBB410_77
.LBB410_179:
	v_and_b32_e32 v7, 1, v9
	v_and_b32_e32 v8, 1, v11
                                        ; implicit-def: $vgpr9
	v_cmp_eq_u32_e64 s0, 1, v7
	v_cmp_eq_u32_e64 s1, 1, v8
	s_and_b32 s1, s0, s1
	s_xor_b32 s1, s1, -1
	s_and_saveexec_b32 s3, s1
	s_xor_b32 s1, exec_lo, s3
; %bb.180:
	v_and_b32_e32 v7, 0xffff, v11
	v_cndmask_b32_e64 v2, v6, v2, s0
	v_cndmask_b32_e64 v1, v5, v1, s0
                                        ; implicit-def: $vgpr5_vgpr6
	v_cndmask_b32_e64 v9, v7, 1, s0
; %bb.181:
	s_andn2_saveexec_b32 s1, s1
; %bb.182:
	v_cmp_lt_i64_e64 s0, v[5:6], v[1:2]
	v_mov_b32_e32 v9, 1
	v_cndmask_b32_e64 v2, v2, v6, s0
	v_cndmask_b32_e64 v1, v1, v5, s0
; %bb.183:
	s_or_b32 exec_lo, exec_lo, s1
	s_or_b32 exec_lo, exec_lo, s2
	s_and_saveexec_b32 s1, vcc_lo
	s_cbranch_execz .LBB410_189
.LBB410_184:
	v_and_b32_e32 v5, 1, v9
	v_and_b32_e32 v6, 1, v10
                                        ; implicit-def: $vgpr9
	v_cmp_eq_u32_e32 vcc_lo, 1, v5
	v_cmp_eq_u32_e64 s0, 1, v6
	s_and_b32 s0, vcc_lo, s0
	s_xor_b32 s0, s0, -1
	s_and_saveexec_b32 s2, s0
	s_xor_b32 s0, exec_lo, s2
; %bb.185:
	v_and_b32_e32 v5, 0xffff, v10
	v_cndmask_b32_e32 v2, v4, v2, vcc_lo
	v_cndmask_b32_e32 v1, v3, v1, vcc_lo
                                        ; implicit-def: $vgpr3_vgpr4
	v_cndmask_b32_e64 v9, v5, 1, vcc_lo
; %bb.186:
	s_andn2_saveexec_b32 s0, s0
; %bb.187:
	v_cmp_lt_i64_e32 vcc_lo, v[3:4], v[1:2]
	v_mov_b32_e32 v9, 1
	v_cndmask_b32_e32 v2, v2, v4, vcc_lo
	v_cndmask_b32_e32 v1, v1, v3, vcc_lo
; %bb.188:
	s_or_b32 exec_lo, exec_lo, s0
.LBB410_189:
	s_or_b32 exec_lo, exec_lo, s1
	v_mbcnt_lo_u32_b32 v5, -1, 0
	v_and_b32_e32 v6, 0xe0, v0
	s_min_u32 s0, s10, 0x100
	s_mov_b32 s1, exec_lo
	v_cmp_ne_u32_e32 vcc_lo, 31, v5
	v_sub_nc_u32_e64 v6, s0, v6 clamp
	v_add_nc_u32_e32 v8, 1, v5
	v_add_co_ci_u32_e64 v3, null, 0, v5, vcc_lo
	v_lshlrev_b32_e32 v4, 2, v3
	ds_bpermute_b32 v7, v4, v9
	ds_bpermute_b32 v3, v4, v1
	;; [unrolled: 1-line block ×3, first 2 shown]
	v_cmpx_lt_u32_e64 v8, v6
	s_xor_b32 s1, exec_lo, s1
	s_cbranch_execz .LBB410_195
; %bb.190:
	s_waitcnt lgkmcnt(2)
	v_and_b32_e32 v8, v7, v9
	s_mov_b32 s2, exec_lo
	v_cmpx_ne_u32_e32 0, v8
	s_xor_b32 s2, exec_lo, s2
	s_cbranch_execz .LBB410_192
; %bb.191:
	s_waitcnt lgkmcnt(0)
	v_cmp_lt_i64_e32 vcc_lo, v[3:4], v[1:2]
                                        ; implicit-def: $vgpr9
                                        ; implicit-def: $vgpr7
	v_cndmask_b32_e32 v2, v2, v4, vcc_lo
	v_cndmask_b32_e32 v1, v1, v3, vcc_lo
                                        ; implicit-def: $vgpr3_vgpr4
.LBB410_192:
	s_or_saveexec_b32 s2, s2
	v_mov_b32_e32 v8, 1
	s_xor_b32 exec_lo, exec_lo, s2
	s_cbranch_execz .LBB410_194
; %bb.193:
	v_and_b32_e32 v8, 1, v9
	v_and_b32_e32 v7, 0xff, v7
	v_cmp_eq_u32_e32 vcc_lo, 1, v8
	s_waitcnt lgkmcnt(0)
	v_cndmask_b32_e32 v2, v4, v2, vcc_lo
	v_cndmask_b32_e32 v1, v3, v1, vcc_lo
	v_cndmask_b32_e64 v8, v7, 1, vcc_lo
.LBB410_194:
	s_or_b32 exec_lo, exec_lo, s2
	v_mov_b32_e32 v9, v8
.LBB410_195:
	s_or_b32 exec_lo, exec_lo, s1
	v_cmp_gt_u32_e32 vcc_lo, 30, v5
	v_add_nc_u32_e32 v8, 2, v5
	s_mov_b32 s1, exec_lo
	s_waitcnt lgkmcnt(1)
	v_cndmask_b32_e64 v3, 0, 2, vcc_lo
	s_waitcnt lgkmcnt(0)
	v_add_lshl_u32 v4, v3, v5, 2
	ds_bpermute_b32 v7, v4, v9
	ds_bpermute_b32 v3, v4, v1
	ds_bpermute_b32 v4, v4, v2
	v_cmpx_lt_u32_e64 v8, v6
	s_cbranch_execz .LBB410_201
; %bb.196:
	s_waitcnt lgkmcnt(2)
	v_and_b32_e32 v8, v9, v7
	s_mov_b32 s2, exec_lo
	v_and_b32_e32 v8, 1, v8
	v_cmpx_eq_u32_e32 1, v8
	s_xor_b32 s2, exec_lo, s2
	s_cbranch_execz .LBB410_198
; %bb.197:
	s_waitcnt lgkmcnt(0)
	v_cmp_lt_i64_e32 vcc_lo, v[3:4], v[1:2]
                                        ; implicit-def: $vgpr9
                                        ; implicit-def: $vgpr7
	v_cndmask_b32_e32 v2, v2, v4, vcc_lo
	v_cndmask_b32_e32 v1, v1, v3, vcc_lo
                                        ; implicit-def: $vgpr3_vgpr4
.LBB410_198:
	s_or_saveexec_b32 s2, s2
	v_mov_b32_e32 v8, 1
	s_xor_b32 exec_lo, exec_lo, s2
	s_cbranch_execz .LBB410_200
; %bb.199:
	v_and_b32_e32 v8, 1, v9
	v_and_b32_e32 v7, 0xff, v7
	v_cmp_eq_u32_e32 vcc_lo, 1, v8
	s_waitcnt lgkmcnt(0)
	v_cndmask_b32_e32 v2, v4, v2, vcc_lo
	v_cndmask_b32_e32 v1, v3, v1, vcc_lo
	v_cndmask_b32_e64 v8, v7, 1, vcc_lo
.LBB410_200:
	s_or_b32 exec_lo, exec_lo, s2
	v_mov_b32_e32 v9, v8
.LBB410_201:
	s_or_b32 exec_lo, exec_lo, s1
	v_cmp_gt_u32_e32 vcc_lo, 28, v5
	v_add_nc_u32_e32 v8, 4, v5
	s_mov_b32 s1, exec_lo
	s_waitcnt lgkmcnt(1)
	v_cndmask_b32_e64 v3, 0, 4, vcc_lo
	s_waitcnt lgkmcnt(0)
	v_add_lshl_u32 v4, v3, v5, 2
	ds_bpermute_b32 v7, v4, v9
	ds_bpermute_b32 v3, v4, v1
	ds_bpermute_b32 v4, v4, v2
	v_cmpx_lt_u32_e64 v8, v6
	s_cbranch_execz .LBB410_207
; %bb.202:
	s_waitcnt lgkmcnt(2)
	v_and_b32_e32 v8, v9, v7
	s_mov_b32 s2, exec_lo
	v_and_b32_e32 v8, 1, v8
	v_cmpx_eq_u32_e32 1, v8
	s_xor_b32 s2, exec_lo, s2
	s_cbranch_execz .LBB410_204
; %bb.203:
	s_waitcnt lgkmcnt(0)
	v_cmp_lt_i64_e32 vcc_lo, v[3:4], v[1:2]
                                        ; implicit-def: $vgpr9
                                        ; implicit-def: $vgpr7
	v_cndmask_b32_e32 v2, v2, v4, vcc_lo
	v_cndmask_b32_e32 v1, v1, v3, vcc_lo
                                        ; implicit-def: $vgpr3_vgpr4
.LBB410_204:
	s_or_saveexec_b32 s2, s2
	v_mov_b32_e32 v8, 1
	s_xor_b32 exec_lo, exec_lo, s2
	s_cbranch_execz .LBB410_206
; %bb.205:
	v_and_b32_e32 v8, 1, v9
	v_and_b32_e32 v7, 0xff, v7
	v_cmp_eq_u32_e32 vcc_lo, 1, v8
	s_waitcnt lgkmcnt(0)
	v_cndmask_b32_e32 v2, v4, v2, vcc_lo
	v_cndmask_b32_e32 v1, v3, v1, vcc_lo
	v_cndmask_b32_e64 v8, v7, 1, vcc_lo
.LBB410_206:
	s_or_b32 exec_lo, exec_lo, s2
	v_mov_b32_e32 v9, v8
.LBB410_207:
	;; [unrolled: 46-line block ×3, first 2 shown]
	s_or_b32 exec_lo, exec_lo, s1
	s_waitcnt lgkmcnt(2)
	v_lshlrev_b32_e32 v7, 2, v5
	v_add_nc_u32_e32 v10, 16, v5
	s_waitcnt lgkmcnt(0)
	v_or_b32_e32 v4, 64, v7
	v_cmp_lt_u32_e32 vcc_lo, v10, v6
	v_mov_b32_e32 v6, v9
	ds_bpermute_b32 v8, v4, v9
	ds_bpermute_b32 v3, v4, v1
	;; [unrolled: 1-line block ×3, first 2 shown]
	s_and_saveexec_b32 s1, vcc_lo
	s_cbranch_execz .LBB410_219
; %bb.214:
	s_waitcnt lgkmcnt(2)
	v_and_b32_e32 v6, v9, v8
	s_mov_b32 s2, exec_lo
	v_and_b32_e32 v6, 1, v6
	v_cmpx_eq_u32_e32 1, v6
	s_xor_b32 s2, exec_lo, s2
	s_cbranch_execz .LBB410_216
; %bb.215:
	s_waitcnt lgkmcnt(0)
	v_cmp_lt_i64_e32 vcc_lo, v[3:4], v[1:2]
                                        ; implicit-def: $vgpr9
                                        ; implicit-def: $vgpr8
	v_cndmask_b32_e32 v2, v2, v4, vcc_lo
	v_cndmask_b32_e32 v1, v1, v3, vcc_lo
                                        ; implicit-def: $vgpr3_vgpr4
.LBB410_216:
	s_or_saveexec_b32 s2, s2
	v_mov_b32_e32 v6, 1
	s_xor_b32 exec_lo, exec_lo, s2
	s_cbranch_execz .LBB410_218
; %bb.217:
	v_and_b32_e32 v6, 1, v9
	v_cmp_eq_u32_e32 vcc_lo, 1, v6
	v_cndmask_b32_e64 v6, v8, 1, vcc_lo
	s_waitcnt lgkmcnt(0)
	v_cndmask_b32_e32 v2, v4, v2, vcc_lo
	v_cndmask_b32_e32 v1, v3, v1, vcc_lo
.LBB410_218:
	s_or_b32 exec_lo, exec_lo, s2
	v_and_b32_e32 v9, 0xff, v6
.LBB410_219:
	s_or_b32 exec_lo, exec_lo, s1
	s_mov_b32 s1, exec_lo
	v_cmpx_eq_u32_e32 0, v5
	s_cbranch_execz .LBB410_221
; %bb.220:
	s_waitcnt lgkmcnt(1)
	v_lshrrev_b32_e32 v3, 1, v0
	v_and_b32_e32 v3, 0x70, v3
	ds_write_b8 v3, v6 offset:512
	ds_write_b64 v3, v[1:2] offset:520
.LBB410_221:
	s_or_b32 exec_lo, exec_lo, s1
	s_mov_b32 s1, exec_lo
	s_waitcnt lgkmcnt(0)
	s_barrier
	buffer_gl0_inv
	v_cmpx_gt_u32_e32 8, v0
	s_cbranch_execz .LBB410_241
; %bb.222:
	v_lshlrev_b32_e32 v1, 4, v5
	v_and_b32_e32 v6, 7, v5
	s_add_i32 s0, s0, 31
	s_mov_b32 s2, exec_lo
	s_lshr_b32 s0, s0, 5
	ds_read_u8 v8, v1 offset:512
	ds_read_b64 v[1:2], v1 offset:520
	v_cmp_ne_u32_e32 vcc_lo, 7, v6
	v_add_nc_u32_e32 v11, 1, v6
	v_add_co_ci_u32_e64 v3, null, 0, v5, vcc_lo
	v_lshlrev_b32_e32 v4, 2, v3
	s_waitcnt lgkmcnt(1)
	v_and_b32_e32 v9, 0xff, v8
	s_waitcnt lgkmcnt(0)
	ds_bpermute_b32 v3, v4, v1
	ds_bpermute_b32 v10, v4, v9
	;; [unrolled: 1-line block ×3, first 2 shown]
	v_cmpx_gt_u32_e64 s0, v11
	s_cbranch_execz .LBB410_228
; %bb.223:
	s_waitcnt lgkmcnt(1)
	v_and_b32_e32 v9, v9, v10
	s_mov_b32 s3, exec_lo
	v_and_b32_e32 v9, 1, v9
	v_cmpx_eq_u32_e32 1, v9
	s_xor_b32 s3, exec_lo, s3
	s_cbranch_execz .LBB410_225
; %bb.224:
	s_waitcnt lgkmcnt(0)
	v_cmp_lt_i64_e32 vcc_lo, v[3:4], v[1:2]
                                        ; implicit-def: $vgpr8
                                        ; implicit-def: $vgpr10
	v_cndmask_b32_e32 v2, v2, v4, vcc_lo
	v_cndmask_b32_e32 v1, v1, v3, vcc_lo
                                        ; implicit-def: $vgpr3_vgpr4
.LBB410_225:
	s_or_saveexec_b32 s3, s3
	v_mov_b32_e32 v9, 1
	s_xor_b32 exec_lo, exec_lo, s3
	s_cbranch_execz .LBB410_227
; %bb.226:
	v_and_b32_e32 v8, 1, v8
	v_cmp_eq_u32_e32 vcc_lo, 1, v8
	v_and_b32_e32 v8, 0xff, v10
	s_waitcnt lgkmcnt(0)
	v_cndmask_b32_e32 v2, v4, v2, vcc_lo
	v_cndmask_b32_e32 v1, v3, v1, vcc_lo
	v_cndmask_b32_e64 v9, v8, 1, vcc_lo
.LBB410_227:
	s_or_b32 exec_lo, exec_lo, s3
.LBB410_228:
	s_or_b32 exec_lo, exec_lo, s2
	v_cmp_gt_u32_e32 vcc_lo, 6, v6
	v_add_nc_u32_e32 v8, 2, v6
	s_mov_b32 s2, exec_lo
	s_waitcnt lgkmcnt(2)
	v_cndmask_b32_e64 v3, 0, 2, vcc_lo
	s_waitcnt lgkmcnt(0)
	v_add_lshl_u32 v4, v3, v5, 2
	ds_bpermute_b32 v5, v4, v9
	ds_bpermute_b32 v3, v4, v1
	;; [unrolled: 1-line block ×3, first 2 shown]
	v_cmpx_gt_u32_e64 s0, v8
	s_cbranch_execz .LBB410_234
; %bb.229:
	s_waitcnt lgkmcnt(2)
	v_and_b32_e32 v8, v9, v5
	s_mov_b32 s3, exec_lo
	v_and_b32_e32 v8, 1, v8
	v_cmpx_eq_u32_e32 1, v8
	s_xor_b32 s3, exec_lo, s3
	s_cbranch_execz .LBB410_231
; %bb.230:
	s_waitcnt lgkmcnt(0)
	v_cmp_lt_i64_e32 vcc_lo, v[3:4], v[1:2]
                                        ; implicit-def: $vgpr9
                                        ; implicit-def: $vgpr5
	v_cndmask_b32_e32 v2, v2, v4, vcc_lo
	v_cndmask_b32_e32 v1, v1, v3, vcc_lo
                                        ; implicit-def: $vgpr3_vgpr4
.LBB410_231:
	s_or_saveexec_b32 s3, s3
	v_mov_b32_e32 v8, 1
	s_xor_b32 exec_lo, exec_lo, s3
	s_cbranch_execz .LBB410_233
; %bb.232:
	v_and_b32_e32 v8, 1, v9
	v_and_b32_e32 v5, 0xff, v5
	v_cmp_eq_u32_e32 vcc_lo, 1, v8
	s_waitcnt lgkmcnt(0)
	v_cndmask_b32_e32 v2, v4, v2, vcc_lo
	v_cndmask_b32_e32 v1, v3, v1, vcc_lo
	v_cndmask_b32_e64 v8, v5, 1, vcc_lo
.LBB410_233:
	s_or_b32 exec_lo, exec_lo, s3
	v_mov_b32_e32 v9, v8
.LBB410_234:
	s_or_b32 exec_lo, exec_lo, s2
	s_waitcnt lgkmcnt(0)
	v_or_b32_e32 v4, 16, v7
	v_add_nc_u32_e32 v6, 4, v6
	ds_bpermute_b32 v5, v4, v9
	ds_bpermute_b32 v3, v4, v1
	;; [unrolled: 1-line block ×3, first 2 shown]
	v_cmp_gt_u32_e32 vcc_lo, s0, v6
	s_and_saveexec_b32 s0, vcc_lo
	s_cbranch_execz .LBB410_240
; %bb.235:
	s_waitcnt lgkmcnt(2)
	v_and_b32_e32 v6, v9, v5
	s_mov_b32 s2, exec_lo
	v_and_b32_e32 v6, 1, v6
	v_cmpx_eq_u32_e32 1, v6
	s_xor_b32 s2, exec_lo, s2
	s_cbranch_execz .LBB410_237
; %bb.236:
	s_waitcnt lgkmcnt(0)
	v_cmp_lt_i64_e32 vcc_lo, v[3:4], v[1:2]
                                        ; implicit-def: $vgpr9
                                        ; implicit-def: $vgpr5
	v_cndmask_b32_e32 v2, v2, v4, vcc_lo
	v_cndmask_b32_e32 v1, v1, v3, vcc_lo
                                        ; implicit-def: $vgpr3_vgpr4
.LBB410_237:
	s_or_saveexec_b32 s2, s2
	v_mov_b32_e32 v6, 1
	s_xor_b32 exec_lo, exec_lo, s2
	s_cbranch_execz .LBB410_239
; %bb.238:
	v_and_b32_e32 v6, 1, v9
	v_cmp_eq_u32_e32 vcc_lo, 1, v6
	s_waitcnt lgkmcnt(0)
	v_cndmask_b32_e32 v2, v4, v2, vcc_lo
	v_cndmask_b32_e32 v1, v3, v1, vcc_lo
	v_cndmask_b32_e64 v6, v5, 1, vcc_lo
.LBB410_239:
	s_or_b32 exec_lo, exec_lo, s2
	v_mov_b32_e32 v9, v6
.LBB410_240:
	s_or_b32 exec_lo, exec_lo, s0
.LBB410_241:
	s_or_b32 exec_lo, exec_lo, s1
.LBB410_242:
                                        ; implicit-def: $vgpr3_vgpr4
                                        ; implicit-def: $vgpr5
	s_mov_b32 s0, exec_lo
	v_cmpx_eq_u32_e32 0, v0
	s_xor_b32 s2, exec_lo, s0
	s_cbranch_execz .LBB410_246
; %bb.243:
	s_waitcnt lgkmcnt(0)
	v_mov_b32_e32 v3, s20
	v_mov_b32_e32 v4, s21
	v_mov_b32_e32 v5, s24
	s_cmp_eq_u64 s[14:15], 0
	s_cbranch_scc1 .LBB410_245
; %bb.244:
	v_and_b32_e32 v3, 1, v9
	v_cmp_gt_i64_e32 vcc_lo, s[20:21], v[1:2]
	s_bitcmp1_b32 s24, 0
	s_cselect_b32 s1, -1, 0
	v_cmp_eq_u32_e64 s0, 1, v3
	v_cndmask_b32_e64 v5, v9, 1, s1
	s_and_b32 vcc_lo, s0, vcc_lo
	v_cndmask_b32_e32 v3, s20, v1, vcc_lo
	v_cndmask_b32_e32 v4, s21, v2, vcc_lo
	v_cndmask_b32_e64 v3, v1, v3, s1
	v_cndmask_b32_e64 v4, v2, v4, s1
.LBB410_245:
	s_or_b32 s22, s22, exec_lo
.LBB410_246:
	s_or_b32 exec_lo, exec_lo, s2
	v_mov_b32_e32 v1, s6
	v_mov_b32_e32 v2, s7
	s_branch .LBB410_356
.LBB410_247:
	s_cmp_gt_i32 s25, 1
	s_cbranch_scc0 .LBB410_267
; %bb.248:
	s_cmp_eq_u32 s25, 2
	s_cbranch_scc0 .LBB410_268
; %bb.249:
	s_mov_b32 s7, 0
	s_lshl_b32 s10, s6, 9
	s_mov_b32 s11, s7
	s_lshr_b64 s[26:27], s[14:15], 9
	s_lshl_b64 s[0:1], s[10:11], 3
	s_add_u32 s2, s16, s0
	s_addc_u32 s3, s17, s1
	s_add_u32 s8, s18, s0
	s_addc_u32 s9, s19, s1
	;; [unrolled: 2-line block ×3, first 2 shown]
	s_cmp_lg_u64 s[26:27], s[6:7]
	s_cbranch_scc0 .LBB410_269
; %bb.250:
	v_lshlrev_b32_e32 v7, 3, v0
	v_add_co_u32 v1, s0, s2, v7
	v_add_co_ci_u32_e64 v2, null, s3, 0, s0
	s_waitcnt lgkmcnt(1)
	v_add_co_u32 v3, s0, s8, v7
	s_waitcnt lgkmcnt(0)
	v_add_co_ci_u32_e64 v4, null, s9, 0, s0
	v_add_co_u32 v1, vcc_lo, 0x800, v1
	v_add_co_ci_u32_e64 v2, null, 0, v2, vcc_lo
	v_add_co_u32 v3, vcc_lo, 0x800, v3
	v_add_co_ci_u32_e64 v4, null, 0, v4, vcc_lo
	s_clause 0x1
	global_load_dwordx2 v[5:6], v7, s[2:3]
	global_load_dwordx2 v[7:8], v7, s[8:9]
	global_load_dwordx2 v[1:2], v[1:2], off
	global_load_dwordx2 v[3:4], v[3:4], off
	v_add_co_u32 v9, s0, s11, v0
	v_add_co_ci_u32_e64 v10, null, s23, 0, s0
	v_add_co_u32 v11, vcc_lo, 0x100, v9
	v_add_co_ci_u32_e64 v12, null, 0, v10, vcc_lo
	s_waitcnt vmcnt(2)
	v_cmp_ne_u64_e32 vcc_lo, v[5:6], v[7:8]
	v_mbcnt_lo_u32_b32 v8, -1, 0
	s_waitcnt vmcnt(0)
	v_cmp_ne_u64_e64 s0, v[1:2], v[3:4]
	v_cndmask_b32_e32 v5, v12, v10, vcc_lo
	v_cndmask_b32_e32 v4, v11, v9, vcc_lo
	s_or_b32 s0, vcc_lo, s0
	v_cndmask_b32_e64 v3, 0, 1, s0
	v_mov_b32_dpp v2, v5 quad_perm:[1,0,3,2] row_mask:0xf bank_mask:0xf
	v_mov_b32_dpp v1, v4 quad_perm:[1,0,3,2] row_mask:0xf bank_mask:0xf
	;; [unrolled: 1-line block ×3, first 2 shown]
	v_cmp_lt_i64_e32 vcc_lo, v[4:5], v[1:2]
	v_and_b32_e32 v6, 1, v6
	s_and_b32 vcc_lo, s0, vcc_lo
	v_cndmask_b32_e32 v1, v1, v4, vcc_lo
	v_cndmask_b32_e32 v2, v2, v5, vcc_lo
	v_cmp_eq_u32_e32 vcc_lo, 1, v6
	v_cndmask_b32_e32 v2, v5, v2, vcc_lo
	v_cndmask_b32_e32 v1, v4, v1, vcc_lo
	v_cndmask_b32_e64 v5, v3, 1, vcc_lo
	v_mov_b32_dpp v4, v2 quad_perm:[2,3,0,1] row_mask:0xf bank_mask:0xf
	v_mov_b32_dpp v3, v1 quad_perm:[2,3,0,1] row_mask:0xf bank_mask:0xf
	v_and_b32_e32 v7, 1, v5
	v_mov_b32_dpp v6, v5 quad_perm:[2,3,0,1] row_mask:0xf bank_mask:0xf
	v_cmp_lt_i64_e32 vcc_lo, v[1:2], v[3:4]
	v_cmp_eq_u32_e64 s0, 1, v7
	v_and_b32_e32 v6, 1, v6
	s_and_b32 vcc_lo, s0, vcc_lo
	v_cmp_eq_u32_e64 s1, 1, v6
	v_cndmask_b32_e32 v3, v3, v1, vcc_lo
	v_cndmask_b32_e32 v4, v4, v2, vcc_lo
	v_cndmask_b32_e64 v5, v5, 1, s1
	v_cndmask_b32_e64 v1, v1, v3, s1
	v_cndmask_b32_e64 v2, v2, v4, s1
	v_and_b32_e32 v7, 1, v5
	v_mov_b32_dpp v3, v1 row_ror:4 row_mask:0xf bank_mask:0xf
	v_mov_b32_dpp v4, v2 row_ror:4 row_mask:0xf bank_mask:0xf
	;; [unrolled: 1-line block ×3, first 2 shown]
	v_cmp_eq_u32_e64 s0, 1, v7
	v_cmp_lt_i64_e32 vcc_lo, v[1:2], v[3:4]
	v_and_b32_e32 v6, 1, v6
	s_and_b32 vcc_lo, s0, vcc_lo
	v_cmp_eq_u32_e64 s1, 1, v6
	v_cndmask_b32_e32 v3, v3, v1, vcc_lo
	v_cndmask_b32_e32 v4, v4, v2, vcc_lo
	v_cndmask_b32_e64 v5, v5, 1, s1
	v_cndmask_b32_e64 v1, v1, v3, s1
	;; [unrolled: 1-line block ×3, first 2 shown]
	v_and_b32_e32 v7, 1, v5
	v_mov_b32_dpp v3, v1 row_ror:8 row_mask:0xf bank_mask:0xf
	v_mov_b32_dpp v4, v2 row_ror:8 row_mask:0xf bank_mask:0xf
	;; [unrolled: 1-line block ×3, first 2 shown]
	v_cmp_eq_u32_e64 s0, 1, v7
	v_cmp_lt_i64_e32 vcc_lo, v[1:2], v[3:4]
	v_and_b32_e32 v6, 1, v6
	s_and_b32 vcc_lo, s0, vcc_lo
	v_cmp_eq_u32_e64 s1, 1, v6
	v_cndmask_b32_e32 v3, v3, v1, vcc_lo
	v_cndmask_b32_e32 v4, v4, v2, vcc_lo
	v_cndmask_b32_e64 v5, v5, 1, s1
	v_cndmask_b32_e64 v1, v1, v3, s1
	;; [unrolled: 1-line block ×3, first 2 shown]
	ds_swizzle_b32 v6, v5 offset:swizzle(BROADCAST,32,15)
	ds_swizzle_b32 v3, v1 offset:swizzle(BROADCAST,32,15)
	;; [unrolled: 1-line block ×3, first 2 shown]
	v_and_b32_e32 v7, 1, v5
	v_cmp_eq_u32_e64 s0, 1, v7
	s_waitcnt lgkmcnt(2)
	v_and_b32_e32 v6, 1, v6
	s_waitcnt lgkmcnt(0)
	v_cmp_lt_i64_e32 vcc_lo, v[1:2], v[3:4]
	v_cmp_eq_u32_e64 s1, 1, v6
	v_mov_b32_e32 v6, 0
	s_and_b32 vcc_lo, s0, vcc_lo
	s_mov_b32 s0, exec_lo
	v_cndmask_b32_e32 v3, v3, v1, vcc_lo
	v_cndmask_b32_e32 v4, v4, v2, vcc_lo
	v_cndmask_b32_e64 v5, v5, 1, s1
	v_cndmask_b32_e64 v1, v1, v3, s1
	;; [unrolled: 1-line block ×3, first 2 shown]
	ds_bpermute_b32 v7, v6, v5 offset:124
	ds_bpermute_b32 v1, v6, v1 offset:124
	;; [unrolled: 1-line block ×3, first 2 shown]
	v_cmpx_eq_u32_e32 0, v8
	s_cbranch_execz .LBB410_252
; %bb.251:
	v_lshrrev_b32_e32 v3, 1, v0
	v_and_b32_e32 v3, 0x70, v3
	s_waitcnt lgkmcnt(2)
	ds_write_b8 v3, v7 offset:128
	s_waitcnt lgkmcnt(1)
	ds_write_b64 v3, v[1:2] offset:136
.LBB410_252:
	s_or_b32 exec_lo, exec_lo, s0
	s_mov_b32 s0, exec_lo
	s_waitcnt lgkmcnt(0)
	s_barrier
	buffer_gl0_inv
	v_cmpx_gt_u32_e32 32, v0
	s_cbranch_execz .LBB410_266
; %bb.253:
	v_and_b32_e32 v7, 7, v8
	v_lshlrev_b32_e32 v1, 4, v7
	v_cmp_ne_u32_e32 vcc_lo, 7, v7
	ds_read_u8 v10, v1 offset:128
	ds_read_b64 v[3:4], v1 offset:136
	v_add_co_ci_u32_e64 v2, null, 0, v8, vcc_lo
	v_lshlrev_b32_e32 v2, 2, v2
	s_waitcnt lgkmcnt(1)
	v_and_b32_e32 v1, 0xff, v10
	s_waitcnt lgkmcnt(0)
	ds_bpermute_b32 v5, v2, v3
	ds_bpermute_b32 v6, v2, v4
	;; [unrolled: 1-line block ×3, first 2 shown]
	s_waitcnt lgkmcnt(0)
	v_and_b32_e32 v1, v10, v11
	v_and_b32_e32 v1, 1, v1
	v_cmp_eq_u32_e32 vcc_lo, 1, v1
                                        ; implicit-def: $vgpr1_vgpr2
	s_and_saveexec_b32 s1, vcc_lo
	s_xor_b32 s1, exec_lo, s1
; %bb.254:
	v_cmp_lt_i64_e32 vcc_lo, v[5:6], v[3:4]
                                        ; implicit-def: $vgpr10
                                        ; implicit-def: $vgpr11
	v_cndmask_b32_e32 v2, v4, v6, vcc_lo
	v_cndmask_b32_e32 v1, v3, v5, vcc_lo
                                        ; implicit-def: $vgpr5_vgpr6
                                        ; implicit-def: $vgpr3_vgpr4
; %bb.255:
	s_or_saveexec_b32 s1, s1
	v_mov_b32_e32 v9, 1
	s_xor_b32 exec_lo, exec_lo, s1
; %bb.256:
	v_and_b32_e32 v1, 1, v10
	v_and_b32_e32 v9, 0xff, v11
	v_cmp_eq_u32_e32 vcc_lo, 1, v1
	v_cndmask_b32_e32 v2, v6, v4, vcc_lo
	v_cndmask_b32_e32 v1, v5, v3, vcc_lo
	v_cndmask_b32_e64 v9, v9, 1, vcc_lo
; %bb.257:
	s_or_b32 exec_lo, exec_lo, s1
	v_cmp_gt_u32_e32 vcc_lo, 6, v7
	v_cndmask_b32_e64 v3, 0, 2, vcc_lo
	v_add_lshl_u32 v3, v3, v8, 2
	ds_bpermute_b32 v7, v3, v9
	ds_bpermute_b32 v5, v3, v1
	;; [unrolled: 1-line block ×3, first 2 shown]
	s_waitcnt lgkmcnt(2)
	v_and_b32_e32 v3, v9, v7
	v_and_b32_e32 v3, 1, v3
	v_cmp_eq_u32_e32 vcc_lo, 1, v3
                                        ; implicit-def: $vgpr3_vgpr4
	s_and_saveexec_b32 s1, vcc_lo
	s_xor_b32 s1, exec_lo, s1
	s_cbranch_execz .LBB410_259
; %bb.258:
	s_waitcnt lgkmcnt(0)
	v_cmp_lt_i64_e32 vcc_lo, v[5:6], v[1:2]
                                        ; implicit-def: $vgpr9
                                        ; implicit-def: $vgpr7
	v_cndmask_b32_e32 v4, v2, v6, vcc_lo
	v_cndmask_b32_e32 v3, v1, v5, vcc_lo
                                        ; implicit-def: $vgpr5_vgpr6
                                        ; implicit-def: $vgpr1_vgpr2
.LBB410_259:
	s_or_saveexec_b32 s1, s1
	v_lshlrev_b32_e32 v10, 2, v8
	v_mov_b32_e32 v8, 1
	s_xor_b32 exec_lo, exec_lo, s1
	s_cbranch_execz .LBB410_261
; %bb.260:
	v_and_b32_e32 v3, 1, v9
	v_and_b32_e32 v7, 0xff, v7
	v_cmp_eq_u32_e32 vcc_lo, 1, v3
	s_waitcnt lgkmcnt(0)
	v_cndmask_b32_e32 v4, v6, v2, vcc_lo
	v_cndmask_b32_e32 v3, v5, v1, vcc_lo
	v_cndmask_b32_e64 v8, v7, 1, vcc_lo
.LBB410_261:
	s_or_b32 exec_lo, exec_lo, s1
	v_or_b32_e32 v1, 16, v10
	ds_bpermute_b32 v9, v1, v8
	s_waitcnt lgkmcnt(2)
	ds_bpermute_b32 v5, v1, v3
	s_waitcnt lgkmcnt(2)
	ds_bpermute_b32 v6, v1, v4
	s_waitcnt lgkmcnt(2)
	v_and_b32_e32 v1, v8, v9
	v_and_b32_e32 v1, 1, v1
	v_cmp_eq_u32_e32 vcc_lo, 1, v1
                                        ; implicit-def: $vgpr1_vgpr2
	s_and_saveexec_b32 s1, vcc_lo
	s_xor_b32 s1, exec_lo, s1
	s_cbranch_execz .LBB410_263
; %bb.262:
	s_waitcnt lgkmcnt(0)
	v_cmp_lt_i64_e32 vcc_lo, v[5:6], v[3:4]
                                        ; implicit-def: $vgpr8
                                        ; implicit-def: $vgpr9
	v_cndmask_b32_e32 v2, v4, v6, vcc_lo
	v_cndmask_b32_e32 v1, v3, v5, vcc_lo
                                        ; implicit-def: $vgpr5_vgpr6
                                        ; implicit-def: $vgpr3_vgpr4
.LBB410_263:
	s_or_saveexec_b32 s1, s1
	v_mov_b32_e32 v7, 1
	s_xor_b32 exec_lo, exec_lo, s1
	s_cbranch_execz .LBB410_265
; %bb.264:
	v_and_b32_e32 v1, 1, v8
	v_cmp_eq_u32_e32 vcc_lo, 1, v1
	s_waitcnt lgkmcnt(0)
	v_cndmask_b32_e32 v2, v6, v4, vcc_lo
	v_cndmask_b32_e32 v1, v5, v3, vcc_lo
	v_cndmask_b32_e64 v7, v9, 1, vcc_lo
.LBB410_265:
	s_or_b32 exec_lo, exec_lo, s1
.LBB410_266:
	s_or_b32 exec_lo, exec_lo, s0
	s_branch .LBB410_327
.LBB410_267:
                                        ; implicit-def: $vgpr3_vgpr4
                                        ; implicit-def: $vgpr5
                                        ; implicit-def: $vgpr1_vgpr2
	s_cbranch_execnz .LBB410_332
	s_branch .LBB410_356
.LBB410_268:
                                        ; implicit-def: $vgpr3_vgpr4
                                        ; implicit-def: $vgpr5
                                        ; implicit-def: $vgpr1_vgpr2
	s_branch .LBB410_356
.LBB410_269:
                                        ; implicit-def: $vgpr1_vgpr2
                                        ; implicit-def: $vgpr7
	s_cbranch_execz .LBB410_327
; %bb.270:
	s_waitcnt lgkmcnt(0)
	v_mov_b32_e32 v3, 0
	v_mov_b32_e32 v1, 0
	;; [unrolled: 1-line block ×6, first 2 shown]
	s_sub_i32 s10, s14, s10
	s_mov_b32 s0, exec_lo
	v_cmpx_gt_u32_e64 s10, v0
	s_cbranch_execz .LBB410_272
; %bb.271:
	v_lshlrev_b32_e32 v1, 3, v0
	s_clause 0x1
	global_load_dwordx2 v[6:7], v1, s[2:3]
	global_load_dwordx2 v[8:9], v1, s[8:9]
	v_add_co_u32 v1, s1, s11, v0
	v_add_co_ci_u32_e64 v2, null, s23, 0, s1
	s_waitcnt vmcnt(0)
	v_cmp_ne_u64_e32 vcc_lo, v[6:7], v[8:9]
	v_cndmask_b32_e64 v6, 0, 1, vcc_lo
.LBB410_272:
	s_or_b32 exec_lo, exec_lo, s0
	v_or_b32_e32 v7, 0x100, v0
	v_cmp_gt_u32_e32 vcc_lo, s10, v7
	s_and_saveexec_b32 s1, vcc_lo
	s_cbranch_execz .LBB410_274
; %bb.273:
	v_lshlrev_b32_e32 v3, 3, v7
	s_clause 0x1
	global_load_dwordx2 v[8:9], v3, s[2:3]
	global_load_dwordx2 v[10:11], v3, s[8:9]
	v_add_co_u32 v3, s0, s11, v7
	v_add_co_ci_u32_e64 v4, null, s23, 0, s0
	s_waitcnt vmcnt(0)
	v_cmp_ne_u64_e64 s0, v[8:9], v[10:11]
	v_cndmask_b32_e64 v5, 0, 1, s0
.LBB410_274:
	s_or_b32 exec_lo, exec_lo, s1
	v_and_b32_e32 v7, 1, v5
	v_cmp_lt_i64_e64 s0, v[3:4], v[1:2]
	v_and_b32_e32 v8, 0xffff, v5
	v_mbcnt_lo_u32_b32 v5, -1, 0
	v_cmp_eq_u32_e64 s1, 1, v7
	v_and_b32_e32 v7, 0xffff, v6
	v_and_b32_e32 v6, 1, v6
	s_and_b32 s0, s1, s0
	v_cmp_ne_u32_e64 s1, 31, v5
	v_cndmask_b32_e64 v9, v2, v4, s0
	v_cndmask_b32_e64 v10, v1, v3, s0
	v_cmp_eq_u32_e64 s0, 1, v6
	v_cndmask_b32_e64 v6, v8, 1, s0
	v_add_co_ci_u32_e64 v8, null, 0, v5, s1
	v_cndmask_b32_e64 v3, v3, v10, s0
	v_cndmask_b32_e64 v4, v4, v9, s0
	v_cndmask_b32_e32 v7, v7, v6, vcc_lo
	v_lshlrev_b32_e32 v6, 2, v8
	s_min_u32 s0, s10, 0x100
	v_cndmask_b32_e32 v1, v1, v3, vcc_lo
	v_cndmask_b32_e32 v2, v2, v4, vcc_lo
	v_add_nc_u32_e32 v9, 1, v5
	ds_bpermute_b32 v8, v6, v7
	s_mov_b32 s1, exec_lo
	ds_bpermute_b32 v3, v6, v1
	ds_bpermute_b32 v4, v6, v2
	v_and_b32_e32 v6, 0xe0, v0
	v_sub_nc_u32_e64 v6, s0, v6 clamp
	v_cmpx_lt_u32_e64 v9, v6
	s_cbranch_execz .LBB410_280
; %bb.275:
	s_waitcnt lgkmcnt(2)
	v_and_b32_e32 v9, v7, v8
	s_mov_b32 s2, exec_lo
	v_cmpx_ne_u32_e32 0, v9
	s_xor_b32 s2, exec_lo, s2
	s_cbranch_execz .LBB410_277
; %bb.276:
	s_waitcnt lgkmcnt(0)
	v_cmp_lt_i64_e32 vcc_lo, v[3:4], v[1:2]
                                        ; implicit-def: $vgpr7
                                        ; implicit-def: $vgpr8
	v_cndmask_b32_e32 v2, v2, v4, vcc_lo
	v_cndmask_b32_e32 v1, v1, v3, vcc_lo
                                        ; implicit-def: $vgpr3_vgpr4
.LBB410_277:
	s_or_saveexec_b32 s2, s2
	v_mov_b32_e32 v9, 1
	s_xor_b32 exec_lo, exec_lo, s2
	s_cbranch_execz .LBB410_279
; %bb.278:
	v_and_b32_e32 v7, 1, v7
	v_cmp_eq_u32_e32 vcc_lo, 1, v7
	v_and_b32_e32 v7, 0xff, v8
	s_waitcnt lgkmcnt(0)
	v_cndmask_b32_e32 v2, v4, v2, vcc_lo
	v_cndmask_b32_e32 v1, v3, v1, vcc_lo
	v_cndmask_b32_e64 v9, v7, 1, vcc_lo
.LBB410_279:
	s_or_b32 exec_lo, exec_lo, s2
	v_mov_b32_e32 v7, v9
.LBB410_280:
	s_or_b32 exec_lo, exec_lo, s1
	v_cmp_gt_u32_e32 vcc_lo, 30, v5
	v_add_nc_u32_e32 v9, 2, v5
	s_mov_b32 s1, exec_lo
	s_waitcnt lgkmcnt(1)
	v_cndmask_b32_e64 v3, 0, 2, vcc_lo
	s_waitcnt lgkmcnt(0)
	v_add_lshl_u32 v4, v3, v5, 2
	ds_bpermute_b32 v8, v4, v7
	ds_bpermute_b32 v3, v4, v1
	ds_bpermute_b32 v4, v4, v2
	v_cmpx_lt_u32_e64 v9, v6
	s_cbranch_execz .LBB410_286
; %bb.281:
	s_waitcnt lgkmcnt(2)
	v_and_b32_e32 v9, v7, v8
	s_mov_b32 s2, exec_lo
	v_and_b32_e32 v9, 1, v9
	v_cmpx_eq_u32_e32 1, v9
	s_xor_b32 s2, exec_lo, s2
	s_cbranch_execz .LBB410_283
; %bb.282:
	s_waitcnt lgkmcnt(0)
	v_cmp_lt_i64_e32 vcc_lo, v[3:4], v[1:2]
                                        ; implicit-def: $vgpr7
                                        ; implicit-def: $vgpr8
	v_cndmask_b32_e32 v2, v2, v4, vcc_lo
	v_cndmask_b32_e32 v1, v1, v3, vcc_lo
                                        ; implicit-def: $vgpr3_vgpr4
.LBB410_283:
	s_or_saveexec_b32 s2, s2
	v_mov_b32_e32 v9, 1
	s_xor_b32 exec_lo, exec_lo, s2
	s_cbranch_execz .LBB410_285
; %bb.284:
	v_and_b32_e32 v7, 1, v7
	v_cmp_eq_u32_e32 vcc_lo, 1, v7
	v_and_b32_e32 v7, 0xff, v8
	s_waitcnt lgkmcnt(0)
	v_cndmask_b32_e32 v2, v4, v2, vcc_lo
	v_cndmask_b32_e32 v1, v3, v1, vcc_lo
	v_cndmask_b32_e64 v9, v7, 1, vcc_lo
.LBB410_285:
	s_or_b32 exec_lo, exec_lo, s2
	v_mov_b32_e32 v7, v9
.LBB410_286:
	s_or_b32 exec_lo, exec_lo, s1
	v_cmp_gt_u32_e32 vcc_lo, 28, v5
	v_add_nc_u32_e32 v9, 4, v5
	s_mov_b32 s1, exec_lo
	s_waitcnt lgkmcnt(1)
	v_cndmask_b32_e64 v3, 0, 4, vcc_lo
	s_waitcnt lgkmcnt(0)
	v_add_lshl_u32 v4, v3, v5, 2
	ds_bpermute_b32 v8, v4, v7
	ds_bpermute_b32 v3, v4, v1
	ds_bpermute_b32 v4, v4, v2
	v_cmpx_lt_u32_e64 v9, v6
	s_cbranch_execz .LBB410_292
; %bb.287:
	s_waitcnt lgkmcnt(2)
	v_and_b32_e32 v9, v7, v8
	s_mov_b32 s2, exec_lo
	v_and_b32_e32 v9, 1, v9
	v_cmpx_eq_u32_e32 1, v9
	s_xor_b32 s2, exec_lo, s2
	s_cbranch_execz .LBB410_289
; %bb.288:
	s_waitcnt lgkmcnt(0)
	v_cmp_lt_i64_e32 vcc_lo, v[3:4], v[1:2]
                                        ; implicit-def: $vgpr7
                                        ; implicit-def: $vgpr8
	v_cndmask_b32_e32 v2, v2, v4, vcc_lo
	v_cndmask_b32_e32 v1, v1, v3, vcc_lo
                                        ; implicit-def: $vgpr3_vgpr4
.LBB410_289:
	s_or_saveexec_b32 s2, s2
	v_mov_b32_e32 v9, 1
	s_xor_b32 exec_lo, exec_lo, s2
	s_cbranch_execz .LBB410_291
; %bb.290:
	v_and_b32_e32 v7, 1, v7
	v_cmp_eq_u32_e32 vcc_lo, 1, v7
	v_and_b32_e32 v7, 0xff, v8
	s_waitcnt lgkmcnt(0)
	v_cndmask_b32_e32 v2, v4, v2, vcc_lo
	v_cndmask_b32_e32 v1, v3, v1, vcc_lo
	v_cndmask_b32_e64 v9, v7, 1, vcc_lo
.LBB410_291:
	s_or_b32 exec_lo, exec_lo, s2
	v_mov_b32_e32 v7, v9
.LBB410_292:
	;; [unrolled: 46-line block ×3, first 2 shown]
	s_or_b32 exec_lo, exec_lo, s1
	s_waitcnt lgkmcnt(2)
	v_lshlrev_b32_e32 v8, 2, v5
	v_add_nc_u32_e32 v10, 16, v5
	s_waitcnt lgkmcnt(0)
	v_or_b32_e32 v4, 64, v8
	v_cmp_lt_u32_e32 vcc_lo, v10, v6
	v_mov_b32_e32 v6, v7
	ds_bpermute_b32 v9, v4, v7
	ds_bpermute_b32 v3, v4, v1
	;; [unrolled: 1-line block ×3, first 2 shown]
	s_and_saveexec_b32 s1, vcc_lo
	s_cbranch_execz .LBB410_304
; %bb.299:
	s_waitcnt lgkmcnt(2)
	v_and_b32_e32 v6, v7, v9
	s_mov_b32 s2, exec_lo
	v_and_b32_e32 v6, 1, v6
	v_cmpx_eq_u32_e32 1, v6
	s_xor_b32 s2, exec_lo, s2
	s_cbranch_execz .LBB410_301
; %bb.300:
	s_waitcnt lgkmcnt(0)
	v_cmp_lt_i64_e32 vcc_lo, v[3:4], v[1:2]
                                        ; implicit-def: $vgpr7
                                        ; implicit-def: $vgpr9
	v_cndmask_b32_e32 v2, v2, v4, vcc_lo
	v_cndmask_b32_e32 v1, v1, v3, vcc_lo
                                        ; implicit-def: $vgpr3_vgpr4
.LBB410_301:
	s_or_saveexec_b32 s2, s2
	v_mov_b32_e32 v6, 1
	s_xor_b32 exec_lo, exec_lo, s2
	s_cbranch_execz .LBB410_303
; %bb.302:
	v_and_b32_e32 v6, 1, v7
	v_cmp_eq_u32_e32 vcc_lo, 1, v6
	v_cndmask_b32_e64 v6, v9, 1, vcc_lo
	s_waitcnt lgkmcnt(0)
	v_cndmask_b32_e32 v2, v4, v2, vcc_lo
	v_cndmask_b32_e32 v1, v3, v1, vcc_lo
.LBB410_303:
	s_or_b32 exec_lo, exec_lo, s2
	v_and_b32_e32 v7, 0xff, v6
.LBB410_304:
	s_or_b32 exec_lo, exec_lo, s1
	s_mov_b32 s1, exec_lo
	v_cmpx_eq_u32_e32 0, v5
	s_cbranch_execz .LBB410_306
; %bb.305:
	s_waitcnt lgkmcnt(1)
	v_lshrrev_b32_e32 v3, 1, v0
	v_and_b32_e32 v3, 0x70, v3
	ds_write_b8 v3, v6 offset:512
	ds_write_b64 v3, v[1:2] offset:520
.LBB410_306:
	s_or_b32 exec_lo, exec_lo, s1
	s_mov_b32 s1, exec_lo
	s_waitcnt lgkmcnt(0)
	s_barrier
	buffer_gl0_inv
	v_cmpx_gt_u32_e32 8, v0
	s_cbranch_execz .LBB410_326
; %bb.307:
	v_lshlrev_b32_e32 v1, 4, v5
	v_and_b32_e32 v6, 7, v5
	s_add_i32 s0, s0, 31
	s_mov_b32 s2, exec_lo
	s_lshr_b32 s0, s0, 5
	ds_read_u8 v9, v1 offset:512
	ds_read_b64 v[1:2], v1 offset:520
	v_cmp_ne_u32_e32 vcc_lo, 7, v6
	v_add_nc_u32_e32 v11, 1, v6
	v_add_co_ci_u32_e64 v3, null, 0, v5, vcc_lo
	v_lshlrev_b32_e32 v4, 2, v3
	s_waitcnt lgkmcnt(1)
	v_and_b32_e32 v7, 0xff, v9
	s_waitcnt lgkmcnt(0)
	ds_bpermute_b32 v3, v4, v1
	ds_bpermute_b32 v10, v4, v7
	;; [unrolled: 1-line block ×3, first 2 shown]
	v_cmpx_gt_u32_e64 s0, v11
	s_cbranch_execz .LBB410_313
; %bb.308:
	s_waitcnt lgkmcnt(1)
	v_and_b32_e32 v7, v7, v10
	s_mov_b32 s3, exec_lo
	v_and_b32_e32 v7, 1, v7
	v_cmpx_eq_u32_e32 1, v7
	s_xor_b32 s3, exec_lo, s3
	s_cbranch_execz .LBB410_310
; %bb.309:
	s_waitcnt lgkmcnt(0)
	v_cmp_lt_i64_e32 vcc_lo, v[3:4], v[1:2]
                                        ; implicit-def: $vgpr9
                                        ; implicit-def: $vgpr10
	v_cndmask_b32_e32 v2, v2, v4, vcc_lo
	v_cndmask_b32_e32 v1, v1, v3, vcc_lo
                                        ; implicit-def: $vgpr3_vgpr4
.LBB410_310:
	s_or_saveexec_b32 s3, s3
	v_mov_b32_e32 v7, 1
	s_xor_b32 exec_lo, exec_lo, s3
	s_cbranch_execz .LBB410_312
; %bb.311:
	v_and_b32_e32 v7, 1, v9
	v_cmp_eq_u32_e32 vcc_lo, 1, v7
	v_and_b32_e32 v7, 0xff, v10
	s_waitcnt lgkmcnt(0)
	v_cndmask_b32_e32 v2, v4, v2, vcc_lo
	v_cndmask_b32_e32 v1, v3, v1, vcc_lo
	v_cndmask_b32_e64 v7, v7, 1, vcc_lo
.LBB410_312:
	s_or_b32 exec_lo, exec_lo, s3
.LBB410_313:
	s_or_b32 exec_lo, exec_lo, s2
	v_cmp_gt_u32_e32 vcc_lo, 6, v6
	v_add_nc_u32_e32 v9, 2, v6
	s_mov_b32 s2, exec_lo
	s_waitcnt lgkmcnt(2)
	v_cndmask_b32_e64 v3, 0, 2, vcc_lo
	s_waitcnt lgkmcnt(0)
	v_add_lshl_u32 v4, v3, v5, 2
	ds_bpermute_b32 v5, v4, v7
	ds_bpermute_b32 v3, v4, v1
	;; [unrolled: 1-line block ×3, first 2 shown]
	v_cmpx_gt_u32_e64 s0, v9
	s_cbranch_execz .LBB410_319
; %bb.314:
	s_waitcnt lgkmcnt(2)
	v_and_b32_e32 v9, v7, v5
	s_mov_b32 s3, exec_lo
	v_and_b32_e32 v9, 1, v9
	v_cmpx_eq_u32_e32 1, v9
	s_xor_b32 s3, exec_lo, s3
	s_cbranch_execz .LBB410_316
; %bb.315:
	s_waitcnt lgkmcnt(0)
	v_cmp_lt_i64_e32 vcc_lo, v[3:4], v[1:2]
                                        ; implicit-def: $vgpr7
                                        ; implicit-def: $vgpr5
	v_cndmask_b32_e32 v2, v2, v4, vcc_lo
	v_cndmask_b32_e32 v1, v1, v3, vcc_lo
                                        ; implicit-def: $vgpr3_vgpr4
.LBB410_316:
	s_or_saveexec_b32 s3, s3
	v_mov_b32_e32 v9, 1
	s_xor_b32 exec_lo, exec_lo, s3
	s_cbranch_execz .LBB410_318
; %bb.317:
	v_and_b32_e32 v7, 1, v7
	v_and_b32_e32 v5, 0xff, v5
	v_cmp_eq_u32_e32 vcc_lo, 1, v7
	s_waitcnt lgkmcnt(0)
	v_cndmask_b32_e32 v2, v4, v2, vcc_lo
	v_cndmask_b32_e32 v1, v3, v1, vcc_lo
	v_cndmask_b32_e64 v9, v5, 1, vcc_lo
.LBB410_318:
	s_or_b32 exec_lo, exec_lo, s3
	v_mov_b32_e32 v7, v9
.LBB410_319:
	s_or_b32 exec_lo, exec_lo, s2
	s_waitcnt lgkmcnt(0)
	v_or_b32_e32 v4, 16, v8
	v_add_nc_u32_e32 v6, 4, v6
	ds_bpermute_b32 v5, v4, v7
	ds_bpermute_b32 v3, v4, v1
	;; [unrolled: 1-line block ×3, first 2 shown]
	v_cmp_gt_u32_e32 vcc_lo, s0, v6
	s_and_saveexec_b32 s0, vcc_lo
	s_cbranch_execz .LBB410_325
; %bb.320:
	s_waitcnt lgkmcnt(2)
	v_and_b32_e32 v6, v7, v5
	s_mov_b32 s2, exec_lo
	v_and_b32_e32 v6, 1, v6
	v_cmpx_eq_u32_e32 1, v6
	s_xor_b32 s2, exec_lo, s2
	s_cbranch_execz .LBB410_322
; %bb.321:
	s_waitcnt lgkmcnt(0)
	v_cmp_lt_i64_e32 vcc_lo, v[3:4], v[1:2]
                                        ; implicit-def: $vgpr7
                                        ; implicit-def: $vgpr5
	v_cndmask_b32_e32 v2, v2, v4, vcc_lo
	v_cndmask_b32_e32 v1, v1, v3, vcc_lo
                                        ; implicit-def: $vgpr3_vgpr4
.LBB410_322:
	s_or_saveexec_b32 s2, s2
	v_mov_b32_e32 v6, 1
	s_xor_b32 exec_lo, exec_lo, s2
	s_cbranch_execz .LBB410_324
; %bb.323:
	v_and_b32_e32 v6, 1, v7
	v_cmp_eq_u32_e32 vcc_lo, 1, v6
	s_waitcnt lgkmcnt(0)
	v_cndmask_b32_e32 v2, v4, v2, vcc_lo
	v_cndmask_b32_e32 v1, v3, v1, vcc_lo
	v_cndmask_b32_e64 v6, v5, 1, vcc_lo
.LBB410_324:
	s_or_b32 exec_lo, exec_lo, s2
	v_mov_b32_e32 v7, v6
.LBB410_325:
	s_or_b32 exec_lo, exec_lo, s0
.LBB410_326:
	s_or_b32 exec_lo, exec_lo, s1
.LBB410_327:
                                        ; implicit-def: $vgpr3_vgpr4
                                        ; implicit-def: $vgpr5
	s_mov_b32 s0, exec_lo
	v_cmpx_eq_u32_e32 0, v0
	s_xor_b32 s2, exec_lo, s0
	s_cbranch_execz .LBB410_331
; %bb.328:
	s_waitcnt lgkmcnt(0)
	v_mov_b32_e32 v3, s20
	v_mov_b32_e32 v4, s21
	;; [unrolled: 1-line block ×3, first 2 shown]
	s_cmp_eq_u64 s[14:15], 0
	s_cbranch_scc1 .LBB410_330
; %bb.329:
	v_and_b32_e32 v3, 1, v7
	v_cmp_gt_i64_e32 vcc_lo, s[20:21], v[1:2]
	s_bitcmp1_b32 s24, 0
	s_cselect_b32 s1, -1, 0
	v_cmp_eq_u32_e64 s0, 1, v3
	v_cndmask_b32_e64 v5, v7, 1, s1
	s_and_b32 vcc_lo, s0, vcc_lo
	v_cndmask_b32_e32 v3, s20, v1, vcc_lo
	v_cndmask_b32_e32 v4, s21, v2, vcc_lo
	v_cndmask_b32_e64 v3, v1, v3, s1
	v_cndmask_b32_e64 v4, v2, v4, s1
.LBB410_330:
	s_or_b32 s22, s22, exec_lo
.LBB410_331:
	s_or_b32 exec_lo, exec_lo, s2
	v_mov_b32_e32 v1, s6
	v_mov_b32_e32 v2, s7
	s_branch .LBB410_356
.LBB410_332:
	s_cmp_eq_u32 s25, 1
	s_cbranch_scc0 .LBB410_355
; %bb.333:
	s_mov_b32 s3, 0
	s_lshr_b64 s[0:1], s[14:15], 8
	s_mov_b32 s7, s3
	s_lshl_b32 s2, s6, 8
	s_cmp_lg_u64 s[0:1], s[6:7]
	s_cbranch_scc0 .LBB410_359
; %bb.334:
	s_lshl_b64 s[0:1], s[2:3], 3
	s_waitcnt lgkmcnt(1)
	v_lshlrev_b32_e32 v3, 3, v0
	s_add_u32 s8, s16, s0
	s_addc_u32 s9, s17, s1
	s_add_u32 s0, s18, s0
	s_addc_u32 s1, s19, s1
	global_load_dwordx2 v[1:2], v3, s[8:9]
	s_waitcnt lgkmcnt(0)
	global_load_dwordx2 v[3:4], v3, s[0:1]
	s_add_u32 s0, s12, s2
	s_addc_u32 s1, s13, 0
	v_add_co_u32 v5, s0, s0, v0
	v_add_co_ci_u32_e64 v6, null, s1, 0, s0
	v_mov_b32_dpp v7, v5 quad_perm:[1,0,3,2] row_mask:0xf bank_mask:0xf
	v_mov_b32_dpp v8, v6 quad_perm:[1,0,3,2] row_mask:0xf bank_mask:0xf
	v_cmp_lt_i64_e64 s0, v[5:6], v[7:8]
	s_waitcnt vmcnt(0)
	v_cmp_ne_u64_e32 vcc_lo, v[1:2], v[3:4]
	v_cndmask_b32_e64 v1, 0, 1, vcc_lo
	s_and_b32 s0, vcc_lo, s0
	v_cndmask_b32_e64 v2, v7, v5, s0
	v_cndmask_b32_e64 v3, v8, v6, s0
	v_mov_b32_dpp v1, v1 quad_perm:[1,0,3,2] row_mask:0xf bank_mask:0xf
                                        ; implicit-def: $vgpr7
	v_and_b32_e32 v1, 1, v1
	v_cmp_eq_u32_e64 s0, 1, v1
	s_or_b32 s1, s0, vcc_lo
	v_cndmask_b32_e64 v4, v6, v3, s0
	v_cndmask_b32_e64 v1, 0, 1, s1
	;; [unrolled: 1-line block ×3, first 2 shown]
	v_mov_b32_dpp v6, v4 quad_perm:[2,3,0,1] row_mask:0xf bank_mask:0xf
	v_mov_b32_dpp v1, v1 quad_perm:[2,3,0,1] row_mask:0xf bank_mask:0xf
	;; [unrolled: 1-line block ×3, first 2 shown]
	v_and_b32_e32 v1, 1, v1
	v_cmp_eq_u32_e32 vcc_lo, 1, v1
                                        ; implicit-def: $vgpr1_vgpr2
	s_and_b32 s0, vcc_lo, s1
	s_xor_b32 s0, s0, -1
	s_and_saveexec_b32 s8, s0
	s_xor_b32 s0, exec_lo, s8
; %bb.335:
	s_or_b32 s1, vcc_lo, s1
	v_cndmask_b32_e32 v2, v4, v6, vcc_lo
	v_cndmask_b32_e32 v1, v3, v5, vcc_lo
	v_cndmask_b32_e64 v7, 0, 1, s1
                                        ; implicit-def: $vgpr3_vgpr4
                                        ; implicit-def: $vgpr5_vgpr6
; %bb.336:
	s_andn2_saveexec_b32 s0, s0
; %bb.337:
	v_cmp_lt_i64_e32 vcc_lo, v[3:4], v[5:6]
	v_mov_b32_e32 v7, 1
	v_cndmask_b32_e32 v2, v6, v4, vcc_lo
	v_cndmask_b32_e32 v1, v5, v3, vcc_lo
; %bb.338:
	s_or_b32 exec_lo, exec_lo, s0
	v_mov_b32_dpp v3, v1 row_ror:4 row_mask:0xf bank_mask:0xf
	v_mov_b32_dpp v4, v2 row_ror:4 row_mask:0xf bank_mask:0xf
	v_and_b32_e32 v6, 1, v7
	v_mov_b32_dpp v5, v7 row_ror:4 row_mask:0xf bank_mask:0xf
	v_mbcnt_lo_u32_b32 v8, -1, 0
	v_cmp_lt_i64_e32 vcc_lo, v[1:2], v[3:4]
	v_cmp_eq_u32_e64 s0, 1, v6
	v_and_b32_e32 v5, 1, v5
	s_and_b32 vcc_lo, s0, vcc_lo
	v_cmp_eq_u32_e64 s1, 1, v5
	v_cndmask_b32_e32 v3, v3, v1, vcc_lo
	v_cndmask_b32_e32 v4, v4, v2, vcc_lo
	v_cndmask_b32_e64 v5, v7, 1, s1
	v_cndmask_b32_e64 v1, v1, v3, s1
	;; [unrolled: 1-line block ×3, first 2 shown]
	v_and_b32_e32 v7, 1, v5
	v_mov_b32_dpp v3, v1 row_ror:8 row_mask:0xf bank_mask:0xf
	v_mov_b32_dpp v4, v2 row_ror:8 row_mask:0xf bank_mask:0xf
	;; [unrolled: 1-line block ×3, first 2 shown]
	v_cmp_eq_u32_e64 s0, 1, v7
	v_cmp_lt_i64_e32 vcc_lo, v[1:2], v[3:4]
	v_and_b32_e32 v6, 1, v6
	v_cmp_eq_u32_e64 s1, 1, v6
	s_and_b32 vcc_lo, s0, vcc_lo
	v_cndmask_b32_e32 v3, v3, v1, vcc_lo
	v_cndmask_b32_e32 v4, v4, v2, vcc_lo
	v_cndmask_b32_e64 v5, v5, 1, s1
	v_cndmask_b32_e64 v1, v1, v3, s1
	v_cndmask_b32_e64 v2, v2, v4, s1
	ds_swizzle_b32 v6, v5 offset:swizzle(BROADCAST,32,15)
	v_and_b32_e32 v7, 1, v5
	ds_swizzle_b32 v3, v1 offset:swizzle(BROADCAST,32,15)
	ds_swizzle_b32 v4, v2 offset:swizzle(BROADCAST,32,15)
	v_cmp_eq_u32_e64 s0, 1, v7
	s_waitcnt lgkmcnt(2)
	v_and_b32_e32 v6, 1, v6
	s_waitcnt lgkmcnt(0)
	v_cmp_lt_i64_e32 vcc_lo, v[1:2], v[3:4]
	v_cmp_eq_u32_e64 s1, 1, v6
	v_mov_b32_e32 v6, 0
	s_and_b32 vcc_lo, s0, vcc_lo
	v_cndmask_b32_e64 v5, v5, 1, s1
	v_cndmask_b32_e32 v3, v3, v1, vcc_lo
	v_cndmask_b32_e32 v4, v4, v2, vcc_lo
	s_mov_b32 s0, exec_lo
	ds_bpermute_b32 v7, v6, v5 offset:124
	v_cndmask_b32_e64 v1, v1, v3, s1
	v_cndmask_b32_e64 v2, v2, v4, s1
	ds_bpermute_b32 v1, v6, v1 offset:124
	ds_bpermute_b32 v2, v6, v2 offset:124
	v_cmpx_eq_u32_e32 0, v8
	s_cbranch_execz .LBB410_340
; %bb.339:
	v_lshrrev_b32_e32 v3, 1, v0
	v_and_b32_e32 v3, 0x70, v3
	s_waitcnt lgkmcnt(2)
	ds_write_b8 v3, v7
	s_waitcnt lgkmcnt(1)
	ds_write_b64 v3, v[1:2] offset:8
.LBB410_340:
	s_or_b32 exec_lo, exec_lo, s0
	s_mov_b32 s0, exec_lo
	s_waitcnt lgkmcnt(0)
	s_barrier
	buffer_gl0_inv
	v_cmpx_gt_u32_e32 32, v0
	s_cbranch_execz .LBB410_354
; %bb.341:
	v_and_b32_e32 v7, 7, v8
	v_lshlrev_b32_e32 v1, 4, v7
	v_cmp_ne_u32_e32 vcc_lo, 7, v7
	ds_read_u8 v10, v1
	ds_read_b64 v[3:4], v1 offset:8
	v_add_co_ci_u32_e64 v2, null, 0, v8, vcc_lo
	v_lshlrev_b32_e32 v2, 2, v2
	s_waitcnt lgkmcnt(1)
	v_and_b32_e32 v1, 0xff, v10
	s_waitcnt lgkmcnt(0)
	ds_bpermute_b32 v5, v2, v3
	ds_bpermute_b32 v6, v2, v4
	;; [unrolled: 1-line block ×3, first 2 shown]
	s_waitcnt lgkmcnt(0)
	v_and_b32_e32 v1, v10, v11
	v_and_b32_e32 v1, 1, v1
	v_cmp_eq_u32_e32 vcc_lo, 1, v1
                                        ; implicit-def: $vgpr1_vgpr2
	s_and_saveexec_b32 s1, vcc_lo
	s_xor_b32 s1, exec_lo, s1
; %bb.342:
	v_cmp_lt_i64_e32 vcc_lo, v[5:6], v[3:4]
                                        ; implicit-def: $vgpr10
                                        ; implicit-def: $vgpr11
	v_cndmask_b32_e32 v2, v4, v6, vcc_lo
	v_cndmask_b32_e32 v1, v3, v5, vcc_lo
                                        ; implicit-def: $vgpr5_vgpr6
                                        ; implicit-def: $vgpr3_vgpr4
; %bb.343:
	s_or_saveexec_b32 s1, s1
	v_mov_b32_e32 v9, 1
	s_xor_b32 exec_lo, exec_lo, s1
; %bb.344:
	v_and_b32_e32 v1, 1, v10
	v_and_b32_e32 v9, 0xff, v11
	v_cmp_eq_u32_e32 vcc_lo, 1, v1
	v_cndmask_b32_e32 v2, v6, v4, vcc_lo
	v_cndmask_b32_e32 v1, v5, v3, vcc_lo
	v_cndmask_b32_e64 v9, v9, 1, vcc_lo
; %bb.345:
	s_or_b32 exec_lo, exec_lo, s1
	v_cmp_gt_u32_e32 vcc_lo, 6, v7
	v_cndmask_b32_e64 v3, 0, 2, vcc_lo
	v_add_lshl_u32 v3, v3, v8, 2
	ds_bpermute_b32 v7, v3, v9
	ds_bpermute_b32 v5, v3, v1
	;; [unrolled: 1-line block ×3, first 2 shown]
	s_waitcnt lgkmcnt(2)
	v_and_b32_e32 v3, v9, v7
	v_and_b32_e32 v3, 1, v3
	v_cmp_eq_u32_e32 vcc_lo, 1, v3
                                        ; implicit-def: $vgpr3_vgpr4
	s_and_saveexec_b32 s1, vcc_lo
	s_xor_b32 s1, exec_lo, s1
	s_cbranch_execz .LBB410_347
; %bb.346:
	s_waitcnt lgkmcnt(0)
	v_cmp_lt_i64_e32 vcc_lo, v[5:6], v[1:2]
                                        ; implicit-def: $vgpr9
                                        ; implicit-def: $vgpr7
	v_cndmask_b32_e32 v4, v2, v6, vcc_lo
	v_cndmask_b32_e32 v3, v1, v5, vcc_lo
                                        ; implicit-def: $vgpr5_vgpr6
                                        ; implicit-def: $vgpr1_vgpr2
.LBB410_347:
	s_or_saveexec_b32 s1, s1
	v_lshlrev_b32_e32 v10, 2, v8
	v_mov_b32_e32 v8, 1
	s_xor_b32 exec_lo, exec_lo, s1
	s_cbranch_execz .LBB410_349
; %bb.348:
	v_and_b32_e32 v3, 1, v9
	v_and_b32_e32 v7, 0xff, v7
	v_cmp_eq_u32_e32 vcc_lo, 1, v3
	s_waitcnt lgkmcnt(0)
	v_cndmask_b32_e32 v4, v6, v2, vcc_lo
	v_cndmask_b32_e32 v3, v5, v1, vcc_lo
	v_cndmask_b32_e64 v8, v7, 1, vcc_lo
.LBB410_349:
	s_or_b32 exec_lo, exec_lo, s1
	v_or_b32_e32 v1, 16, v10
	ds_bpermute_b32 v9, v1, v8
	s_waitcnt lgkmcnt(2)
	ds_bpermute_b32 v5, v1, v3
	s_waitcnt lgkmcnt(2)
	;; [unrolled: 2-line block ×3, first 2 shown]
	v_and_b32_e32 v1, v8, v9
	v_and_b32_e32 v1, 1, v1
	v_cmp_eq_u32_e32 vcc_lo, 1, v1
                                        ; implicit-def: $vgpr1_vgpr2
	s_and_saveexec_b32 s1, vcc_lo
	s_xor_b32 s1, exec_lo, s1
	s_cbranch_execz .LBB410_351
; %bb.350:
	s_waitcnt lgkmcnt(0)
	v_cmp_lt_i64_e32 vcc_lo, v[5:6], v[3:4]
                                        ; implicit-def: $vgpr8
                                        ; implicit-def: $vgpr9
	v_cndmask_b32_e32 v2, v4, v6, vcc_lo
	v_cndmask_b32_e32 v1, v3, v5, vcc_lo
                                        ; implicit-def: $vgpr5_vgpr6
                                        ; implicit-def: $vgpr3_vgpr4
.LBB410_351:
	s_or_saveexec_b32 s1, s1
	v_mov_b32_e32 v7, 1
	s_xor_b32 exec_lo, exec_lo, s1
	s_cbranch_execz .LBB410_353
; %bb.352:
	v_and_b32_e32 v1, 1, v8
	v_cmp_eq_u32_e32 vcc_lo, 1, v1
	s_waitcnt lgkmcnt(0)
	v_cndmask_b32_e32 v2, v6, v4, vcc_lo
	v_cndmask_b32_e32 v1, v5, v3, vcc_lo
	v_cndmask_b32_e64 v7, v9, 1, vcc_lo
.LBB410_353:
	s_or_b32 exec_lo, exec_lo, s1
.LBB410_354:
	s_or_b32 exec_lo, exec_lo, s0
	s_branch .LBB410_415
.LBB410_355:
                                        ; implicit-def: $vgpr3_vgpr4
                                        ; implicit-def: $vgpr5
                                        ; implicit-def: $vgpr1_vgpr2
.LBB410_356:
	s_and_saveexec_b32 s0, s22
	s_cbranch_execz .LBB410_358
.LBB410_357:
	s_load_dwordx2 s[0:1], s[4:5], 0x38
	v_lshlrev_b64 v[0:1], 4, v[1:2]
	s_waitcnt lgkmcnt(0)
	v_add_co_u32 v0, vcc_lo, s0, v0
	v_add_co_ci_u32_e64 v1, null, s1, v1, vcc_lo
	global_store_byte v[0:1], v5, off
	global_store_dwordx2 v[0:1], v[3:4], off offset:8
.LBB410_358:
	s_endpgm
.LBB410_359:
                                        ; implicit-def: $vgpr1_vgpr2
                                        ; implicit-def: $vgpr7
	s_cbranch_execz .LBB410_415
; %bb.360:
	v_mov_b32_e32 v1, 0
	v_mov_b32_e32 v2, 0
	v_mov_b32_e32 v8, 0
	s_sub_i32 s0, s14, s2
	s_mov_b32 s1, exec_lo
	v_cmpx_gt_u32_e64 s0, v0
	s_cbranch_execz .LBB410_362
; %bb.361:
	s_lshl_b64 s[8:9], s[2:3], 3
	v_lshlrev_b32_e32 v1, 3, v0
	s_add_u32 s10, s18, s8
	s_addc_u32 s11, s19, s9
	s_add_u32 s8, s16, s8
	s_addc_u32 s9, s17, s9
	s_add_u32 s2, s12, s2
	s_waitcnt lgkmcnt(0)
	s_clause 0x1
	global_load_dwordx2 v[3:4], v1, s[8:9]
	global_load_dwordx2 v[5:6], v1, s[10:11]
	s_addc_u32 s3, s13, 0
	v_add_co_u32 v1, s2, s2, v0
	v_add_co_ci_u32_e64 v2, null, s3, 0, s2
	s_waitcnt vmcnt(0)
	v_cmp_ne_u64_e32 vcc_lo, v[3:4], v[5:6]
	v_cndmask_b32_e64 v8, 0, 1, vcc_lo
.LBB410_362:
	s_or_b32 exec_lo, exec_lo, s1
	s_waitcnt lgkmcnt(1)
	v_mbcnt_lo_u32_b32 v5, -1, 0
	v_and_b32_e32 v7, 0xffff, v8
	s_waitcnt lgkmcnt(0)
	v_and_b32_e32 v6, 0xe0, v0
	s_min_u32 s0, s0, 0x100
	s_mov_b32 s1, exec_lo
	v_cmp_ne_u32_e32 vcc_lo, 31, v5
	v_add_nc_u32_e32 v10, 1, v5
	v_sub_nc_u32_e64 v6, s0, v6 clamp
	v_add_co_ci_u32_e64 v3, null, 0, v5, vcc_lo
	v_lshlrev_b32_e32 v4, 2, v3
	ds_bpermute_b32 v9, v4, v7
	ds_bpermute_b32 v3, v4, v1
	;; [unrolled: 1-line block ×3, first 2 shown]
	v_cmpx_lt_u32_e64 v10, v6
	s_cbranch_execz .LBB410_368
; %bb.363:
	s_waitcnt lgkmcnt(2)
	v_and_b32_e32 v7, v9, v7
	s_mov_b32 s2, exec_lo
	v_and_b32_e32 v7, 1, v7
	v_cmpx_eq_u32_e32 1, v7
	s_xor_b32 s2, exec_lo, s2
	s_cbranch_execz .LBB410_365
; %bb.364:
	s_waitcnt lgkmcnt(0)
	v_cmp_lt_i64_e32 vcc_lo, v[3:4], v[1:2]
                                        ; implicit-def: $vgpr8
                                        ; implicit-def: $vgpr9
	v_cndmask_b32_e32 v2, v2, v4, vcc_lo
	v_cndmask_b32_e32 v1, v1, v3, vcc_lo
                                        ; implicit-def: $vgpr3_vgpr4
.LBB410_365:
	s_or_saveexec_b32 s2, s2
	v_mov_b32_e32 v7, 1
	s_xor_b32 exec_lo, exec_lo, s2
	s_cbranch_execz .LBB410_367
; %bb.366:
	v_and_b32_e32 v7, 1, v8
	v_cmp_eq_u32_e32 vcc_lo, 1, v7
	v_and_b32_e32 v7, 0xff, v9
	s_waitcnt lgkmcnt(0)
	v_cndmask_b32_e32 v2, v4, v2, vcc_lo
	v_cndmask_b32_e32 v1, v3, v1, vcc_lo
	v_cndmask_b32_e64 v7, v7, 1, vcc_lo
.LBB410_367:
	s_or_b32 exec_lo, exec_lo, s2
.LBB410_368:
	s_or_b32 exec_lo, exec_lo, s1
	v_cmp_gt_u32_e32 vcc_lo, 30, v5
	s_waitcnt lgkmcnt(2)
	v_add_nc_u32_e32 v9, 2, v5
	s_mov_b32 s1, exec_lo
	s_waitcnt lgkmcnt(1)
	v_cndmask_b32_e64 v3, 0, 2, vcc_lo
	s_waitcnt lgkmcnt(0)
	v_add_lshl_u32 v4, v3, v5, 2
	ds_bpermute_b32 v8, v4, v7
	ds_bpermute_b32 v3, v4, v1
	;; [unrolled: 1-line block ×3, first 2 shown]
	v_cmpx_lt_u32_e64 v9, v6
	s_cbranch_execz .LBB410_374
; %bb.369:
	s_waitcnt lgkmcnt(2)
	v_and_b32_e32 v9, v7, v8
	s_mov_b32 s2, exec_lo
	v_and_b32_e32 v9, 1, v9
	v_cmpx_eq_u32_e32 1, v9
	s_xor_b32 s2, exec_lo, s2
	s_cbranch_execz .LBB410_371
; %bb.370:
	s_waitcnt lgkmcnt(0)
	v_cmp_lt_i64_e32 vcc_lo, v[3:4], v[1:2]
                                        ; implicit-def: $vgpr7
                                        ; implicit-def: $vgpr8
	v_cndmask_b32_e32 v2, v2, v4, vcc_lo
	v_cndmask_b32_e32 v1, v1, v3, vcc_lo
                                        ; implicit-def: $vgpr3_vgpr4
.LBB410_371:
	s_or_saveexec_b32 s2, s2
	v_mov_b32_e32 v9, 1
	s_xor_b32 exec_lo, exec_lo, s2
	s_cbranch_execz .LBB410_373
; %bb.372:
	v_and_b32_e32 v7, 1, v7
	v_cmp_eq_u32_e32 vcc_lo, 1, v7
	v_and_b32_e32 v7, 0xff, v8
	s_waitcnt lgkmcnt(0)
	v_cndmask_b32_e32 v2, v4, v2, vcc_lo
	v_cndmask_b32_e32 v1, v3, v1, vcc_lo
	v_cndmask_b32_e64 v9, v7, 1, vcc_lo
.LBB410_373:
	s_or_b32 exec_lo, exec_lo, s2
	v_mov_b32_e32 v7, v9
.LBB410_374:
	s_or_b32 exec_lo, exec_lo, s1
	v_cmp_gt_u32_e32 vcc_lo, 28, v5
	v_add_nc_u32_e32 v9, 4, v5
	s_mov_b32 s1, exec_lo
	s_waitcnt lgkmcnt(1)
	v_cndmask_b32_e64 v3, 0, 4, vcc_lo
	s_waitcnt lgkmcnt(0)
	v_add_lshl_u32 v4, v3, v5, 2
	ds_bpermute_b32 v8, v4, v7
	ds_bpermute_b32 v3, v4, v1
	;; [unrolled: 1-line block ×3, first 2 shown]
	v_cmpx_lt_u32_e64 v9, v6
	s_cbranch_execz .LBB410_380
; %bb.375:
	s_waitcnt lgkmcnt(2)
	v_and_b32_e32 v9, v7, v8
	s_mov_b32 s2, exec_lo
	v_and_b32_e32 v9, 1, v9
	v_cmpx_eq_u32_e32 1, v9
	s_xor_b32 s2, exec_lo, s2
	s_cbranch_execz .LBB410_377
; %bb.376:
	s_waitcnt lgkmcnt(0)
	v_cmp_lt_i64_e32 vcc_lo, v[3:4], v[1:2]
                                        ; implicit-def: $vgpr7
                                        ; implicit-def: $vgpr8
	v_cndmask_b32_e32 v2, v2, v4, vcc_lo
	v_cndmask_b32_e32 v1, v1, v3, vcc_lo
                                        ; implicit-def: $vgpr3_vgpr4
.LBB410_377:
	s_or_saveexec_b32 s2, s2
	v_mov_b32_e32 v9, 1
	s_xor_b32 exec_lo, exec_lo, s2
	s_cbranch_execz .LBB410_379
; %bb.378:
	v_and_b32_e32 v7, 1, v7
	v_cmp_eq_u32_e32 vcc_lo, 1, v7
	v_and_b32_e32 v7, 0xff, v8
	s_waitcnt lgkmcnt(0)
	v_cndmask_b32_e32 v2, v4, v2, vcc_lo
	v_cndmask_b32_e32 v1, v3, v1, vcc_lo
	v_cndmask_b32_e64 v9, v7, 1, vcc_lo
.LBB410_379:
	s_or_b32 exec_lo, exec_lo, s2
	v_mov_b32_e32 v7, v9
.LBB410_380:
	s_or_b32 exec_lo, exec_lo, s1
	v_cmp_gt_u32_e32 vcc_lo, 24, v5
	v_add_nc_u32_e32 v9, 8, v5
	s_mov_b32 s1, exec_lo
	s_waitcnt lgkmcnt(1)
	v_cndmask_b32_e64 v3, 0, 8, vcc_lo
	s_waitcnt lgkmcnt(0)
	v_add_lshl_u32 v4, v3, v5, 2
	ds_bpermute_b32 v8, v4, v7
	ds_bpermute_b32 v3, v4, v1
	;; [unrolled: 1-line block ×3, first 2 shown]
	v_cmpx_lt_u32_e64 v9, v6
	s_cbranch_execz .LBB410_386
; %bb.381:
	s_waitcnt lgkmcnt(2)
	v_and_b32_e32 v9, v7, v8
	s_mov_b32 s2, exec_lo
	v_and_b32_e32 v9, 1, v9
	v_cmpx_eq_u32_e32 1, v9
	s_xor_b32 s2, exec_lo, s2
	s_cbranch_execz .LBB410_383
; %bb.382:
	s_waitcnt lgkmcnt(0)
	v_cmp_lt_i64_e32 vcc_lo, v[3:4], v[1:2]
                                        ; implicit-def: $vgpr7
                                        ; implicit-def: $vgpr8
	v_cndmask_b32_e32 v2, v2, v4, vcc_lo
	v_cndmask_b32_e32 v1, v1, v3, vcc_lo
                                        ; implicit-def: $vgpr3_vgpr4
.LBB410_383:
	s_or_saveexec_b32 s2, s2
	v_mov_b32_e32 v9, 1
	s_xor_b32 exec_lo, exec_lo, s2
	s_cbranch_execz .LBB410_385
; %bb.384:
	v_and_b32_e32 v7, 1, v7
	v_cmp_eq_u32_e32 vcc_lo, 1, v7
	v_and_b32_e32 v7, 0xff, v8
	s_waitcnt lgkmcnt(0)
	v_cndmask_b32_e32 v2, v4, v2, vcc_lo
	v_cndmask_b32_e32 v1, v3, v1, vcc_lo
	v_cndmask_b32_e64 v9, v7, 1, vcc_lo
.LBB410_385:
	s_or_b32 exec_lo, exec_lo, s2
	v_mov_b32_e32 v7, v9
.LBB410_386:
	s_or_b32 exec_lo, exec_lo, s1
	s_waitcnt lgkmcnt(2)
	v_lshlrev_b32_e32 v8, 2, v5
	v_add_nc_u32_e32 v10, 16, v5
	s_waitcnt lgkmcnt(0)
	v_or_b32_e32 v4, 64, v8
	v_cmp_lt_u32_e32 vcc_lo, v10, v6
	v_mov_b32_e32 v6, v7
	ds_bpermute_b32 v9, v4, v7
	ds_bpermute_b32 v3, v4, v1
	;; [unrolled: 1-line block ×3, first 2 shown]
	s_and_saveexec_b32 s1, vcc_lo
	s_cbranch_execz .LBB410_392
; %bb.387:
	s_waitcnt lgkmcnt(2)
	v_and_b32_e32 v6, v7, v9
	s_mov_b32 s2, exec_lo
	v_and_b32_e32 v6, 1, v6
	v_cmpx_eq_u32_e32 1, v6
	s_xor_b32 s2, exec_lo, s2
	s_cbranch_execz .LBB410_389
; %bb.388:
	s_waitcnt lgkmcnt(0)
	v_cmp_lt_i64_e32 vcc_lo, v[3:4], v[1:2]
                                        ; implicit-def: $vgpr7
                                        ; implicit-def: $vgpr9
	v_cndmask_b32_e32 v2, v2, v4, vcc_lo
	v_cndmask_b32_e32 v1, v1, v3, vcc_lo
                                        ; implicit-def: $vgpr3_vgpr4
.LBB410_389:
	s_or_saveexec_b32 s2, s2
	v_mov_b32_e32 v6, 1
	s_xor_b32 exec_lo, exec_lo, s2
	s_cbranch_execz .LBB410_391
; %bb.390:
	v_and_b32_e32 v6, 1, v7
	v_cmp_eq_u32_e32 vcc_lo, 1, v6
	v_cndmask_b32_e64 v6, v9, 1, vcc_lo
	s_waitcnt lgkmcnt(0)
	v_cndmask_b32_e32 v2, v4, v2, vcc_lo
	v_cndmask_b32_e32 v1, v3, v1, vcc_lo
.LBB410_391:
	s_or_b32 exec_lo, exec_lo, s2
	v_and_b32_e32 v7, 0xff, v6
.LBB410_392:
	s_or_b32 exec_lo, exec_lo, s1
	s_mov_b32 s1, exec_lo
	v_cmpx_eq_u32_e32 0, v5
	s_cbranch_execz .LBB410_394
; %bb.393:
	s_waitcnt lgkmcnt(1)
	v_lshrrev_b32_e32 v3, 1, v0
	v_and_b32_e32 v3, 0x70, v3
	ds_write_b8 v3, v6 offset:512
	ds_write_b64 v3, v[1:2] offset:520
.LBB410_394:
	s_or_b32 exec_lo, exec_lo, s1
	s_mov_b32 s1, exec_lo
	s_waitcnt lgkmcnt(0)
	s_barrier
	buffer_gl0_inv
	v_cmpx_gt_u32_e32 8, v0
	s_cbranch_execz .LBB410_414
; %bb.395:
	v_lshlrev_b32_e32 v1, 4, v5
	v_and_b32_e32 v6, 7, v5
	s_add_i32 s0, s0, 31
	s_mov_b32 s2, exec_lo
	s_lshr_b32 s0, s0, 5
	ds_read_u8 v9, v1 offset:512
	ds_read_b64 v[1:2], v1 offset:520
	v_cmp_ne_u32_e32 vcc_lo, 7, v6
	v_add_nc_u32_e32 v11, 1, v6
	v_add_co_ci_u32_e64 v3, null, 0, v5, vcc_lo
	v_lshlrev_b32_e32 v4, 2, v3
	s_waitcnt lgkmcnt(1)
	v_and_b32_e32 v7, 0xff, v9
	s_waitcnt lgkmcnt(0)
	ds_bpermute_b32 v3, v4, v1
	ds_bpermute_b32 v10, v4, v7
	;; [unrolled: 1-line block ×3, first 2 shown]
	v_cmpx_gt_u32_e64 s0, v11
	s_cbranch_execz .LBB410_401
; %bb.396:
	s_waitcnt lgkmcnt(1)
	v_and_b32_e32 v7, v7, v10
	s_mov_b32 s3, exec_lo
	v_and_b32_e32 v7, 1, v7
	v_cmpx_eq_u32_e32 1, v7
	s_xor_b32 s3, exec_lo, s3
	s_cbranch_execz .LBB410_398
; %bb.397:
	s_waitcnt lgkmcnt(0)
	v_cmp_lt_i64_e32 vcc_lo, v[3:4], v[1:2]
                                        ; implicit-def: $vgpr9
                                        ; implicit-def: $vgpr10
	v_cndmask_b32_e32 v2, v2, v4, vcc_lo
	v_cndmask_b32_e32 v1, v1, v3, vcc_lo
                                        ; implicit-def: $vgpr3_vgpr4
.LBB410_398:
	s_or_saveexec_b32 s3, s3
	v_mov_b32_e32 v7, 1
	s_xor_b32 exec_lo, exec_lo, s3
	s_cbranch_execz .LBB410_400
; %bb.399:
	v_and_b32_e32 v7, 1, v9
	v_cmp_eq_u32_e32 vcc_lo, 1, v7
	v_and_b32_e32 v7, 0xff, v10
	s_waitcnt lgkmcnt(0)
	v_cndmask_b32_e32 v2, v4, v2, vcc_lo
	v_cndmask_b32_e32 v1, v3, v1, vcc_lo
	v_cndmask_b32_e64 v7, v7, 1, vcc_lo
.LBB410_400:
	s_or_b32 exec_lo, exec_lo, s3
.LBB410_401:
	s_or_b32 exec_lo, exec_lo, s2
	v_cmp_gt_u32_e32 vcc_lo, 6, v6
	v_add_nc_u32_e32 v9, 2, v6
	s_mov_b32 s2, exec_lo
	s_waitcnt lgkmcnt(2)
	v_cndmask_b32_e64 v3, 0, 2, vcc_lo
	s_waitcnt lgkmcnt(0)
	v_add_lshl_u32 v4, v3, v5, 2
	ds_bpermute_b32 v5, v4, v7
	ds_bpermute_b32 v3, v4, v1
	;; [unrolled: 1-line block ×3, first 2 shown]
	v_cmpx_gt_u32_e64 s0, v9
	s_cbranch_execz .LBB410_407
; %bb.402:
	s_waitcnt lgkmcnt(2)
	v_and_b32_e32 v9, v7, v5
	s_mov_b32 s3, exec_lo
	v_and_b32_e32 v9, 1, v9
	v_cmpx_eq_u32_e32 1, v9
	s_xor_b32 s3, exec_lo, s3
	s_cbranch_execz .LBB410_404
; %bb.403:
	s_waitcnt lgkmcnt(0)
	v_cmp_lt_i64_e32 vcc_lo, v[3:4], v[1:2]
                                        ; implicit-def: $vgpr7
                                        ; implicit-def: $vgpr5
	v_cndmask_b32_e32 v2, v2, v4, vcc_lo
	v_cndmask_b32_e32 v1, v1, v3, vcc_lo
                                        ; implicit-def: $vgpr3_vgpr4
.LBB410_404:
	s_or_saveexec_b32 s3, s3
	v_mov_b32_e32 v9, 1
	s_xor_b32 exec_lo, exec_lo, s3
	s_cbranch_execz .LBB410_406
; %bb.405:
	v_and_b32_e32 v7, 1, v7
	v_and_b32_e32 v5, 0xff, v5
	v_cmp_eq_u32_e32 vcc_lo, 1, v7
	s_waitcnt lgkmcnt(0)
	v_cndmask_b32_e32 v2, v4, v2, vcc_lo
	v_cndmask_b32_e32 v1, v3, v1, vcc_lo
	v_cndmask_b32_e64 v9, v5, 1, vcc_lo
.LBB410_406:
	s_or_b32 exec_lo, exec_lo, s3
	v_mov_b32_e32 v7, v9
.LBB410_407:
	s_or_b32 exec_lo, exec_lo, s2
	s_waitcnt lgkmcnt(0)
	v_or_b32_e32 v4, 16, v8
	v_add_nc_u32_e32 v6, 4, v6
	ds_bpermute_b32 v5, v4, v7
	ds_bpermute_b32 v3, v4, v1
	;; [unrolled: 1-line block ×3, first 2 shown]
	v_cmp_gt_u32_e32 vcc_lo, s0, v6
	s_and_saveexec_b32 s0, vcc_lo
	s_cbranch_execz .LBB410_413
; %bb.408:
	s_waitcnt lgkmcnt(2)
	v_and_b32_e32 v6, v7, v5
	s_mov_b32 s2, exec_lo
	v_and_b32_e32 v6, 1, v6
	v_cmpx_eq_u32_e32 1, v6
	s_xor_b32 s2, exec_lo, s2
	s_cbranch_execz .LBB410_410
; %bb.409:
	s_waitcnt lgkmcnt(0)
	v_cmp_lt_i64_e32 vcc_lo, v[3:4], v[1:2]
                                        ; implicit-def: $vgpr7
                                        ; implicit-def: $vgpr5
	v_cndmask_b32_e32 v2, v2, v4, vcc_lo
	v_cndmask_b32_e32 v1, v1, v3, vcc_lo
                                        ; implicit-def: $vgpr3_vgpr4
.LBB410_410:
	s_or_saveexec_b32 s2, s2
	v_mov_b32_e32 v6, 1
	s_xor_b32 exec_lo, exec_lo, s2
	s_cbranch_execz .LBB410_412
; %bb.411:
	v_and_b32_e32 v6, 1, v7
	v_cmp_eq_u32_e32 vcc_lo, 1, v6
	s_waitcnt lgkmcnt(0)
	v_cndmask_b32_e32 v2, v4, v2, vcc_lo
	v_cndmask_b32_e32 v1, v3, v1, vcc_lo
	v_cndmask_b32_e64 v6, v5, 1, vcc_lo
.LBB410_412:
	s_or_b32 exec_lo, exec_lo, s2
	v_mov_b32_e32 v7, v6
.LBB410_413:
	s_or_b32 exec_lo, exec_lo, s0
.LBB410_414:
	s_or_b32 exec_lo, exec_lo, s1
.LBB410_415:
	s_mov_b32 s2, exec_lo
                                        ; implicit-def: $vgpr3_vgpr4
                                        ; implicit-def: $vgpr5
	v_cmpx_eq_u32_e32 0, v0
	s_cbranch_execz .LBB410_419
; %bb.416:
	s_waitcnt lgkmcnt(0)
	v_mov_b32_e32 v3, s20
	v_mov_b32_e32 v4, s21
	;; [unrolled: 1-line block ×3, first 2 shown]
	s_cmp_eq_u64 s[14:15], 0
	s_cbranch_scc1 .LBB410_418
; %bb.417:
	v_and_b32_e32 v0, 1, v7
	v_cmp_gt_i64_e32 vcc_lo, s[20:21], v[1:2]
	s_bitcmp1_b32 s24, 0
	s_cselect_b32 s1, -1, 0
	v_cmp_eq_u32_e64 s0, 1, v0
	v_cndmask_b32_e64 v5, v7, 1, s1
	s_and_b32 vcc_lo, s0, vcc_lo
	v_cndmask_b32_e32 v0, s20, v1, vcc_lo
	v_cndmask_b32_e32 v3, s21, v2, vcc_lo
	v_cndmask_b32_e64 v4, v2, v3, s1
	v_cndmask_b32_e64 v3, v1, v0, s1
.LBB410_418:
	s_or_b32 s22, s22, exec_lo
.LBB410_419:
	s_or_b32 exec_lo, exec_lo, s2
	v_mov_b32_e32 v1, s6
	v_mov_b32_e32 v2, s7
	s_and_saveexec_b32 s0, s22
	s_cbranch_execnz .LBB410_357
	s_branch .LBB410_358
	.section	.rodata,"a",@progbits
	.p2align	6, 0x0
	.amdhsa_kernel _ZN7rocprim17ROCPRIM_400000_NS6detail17trampoline_kernelINS0_14default_configENS1_22reduce_config_selectorIN6thrust23THRUST_200600_302600_NS5tupleIblNS6_9null_typeES8_S8_S8_S8_S8_S8_S8_EEEEZNS1_11reduce_implILb1ES3_NS6_12zip_iteratorINS7_INS6_11hip_rocprim26transform_input_iterator_tIbNSD_35transform_pair_of_input_iterators_tIbNS6_6detail15normal_iteratorINS6_10device_ptrIKxEEEESL_NS6_8equal_toIxEEEENSG_9not_fun_tINSD_8identityEEEEENSD_19counting_iterator_tIlEES8_S8_S8_S8_S8_S8_S8_S8_EEEEPS9_S9_NSD_9__find_if7functorIS9_EEEE10hipError_tPvRmT1_T2_T3_mT4_P12ihipStream_tbEUlT_E1_NS1_11comp_targetILNS1_3genE8ELNS1_11target_archE1030ELNS1_3gpuE2ELNS1_3repE0EEENS1_30default_config_static_selectorELNS0_4arch9wavefront6targetE0EEEvS14_
		.amdhsa_group_segment_fixed_size 640
		.amdhsa_private_segment_fixed_size 0
		.amdhsa_kernarg_size 88
		.amdhsa_user_sgpr_count 6
		.amdhsa_user_sgpr_private_segment_buffer 1
		.amdhsa_user_sgpr_dispatch_ptr 0
		.amdhsa_user_sgpr_queue_ptr 0
		.amdhsa_user_sgpr_kernarg_segment_ptr 1
		.amdhsa_user_sgpr_dispatch_id 0
		.amdhsa_user_sgpr_flat_scratch_init 0
		.amdhsa_user_sgpr_private_segment_size 0
		.amdhsa_wavefront_size32 1
		.amdhsa_uses_dynamic_stack 0
		.amdhsa_system_sgpr_private_segment_wavefront_offset 0
		.amdhsa_system_sgpr_workgroup_id_x 1
		.amdhsa_system_sgpr_workgroup_id_y 0
		.amdhsa_system_sgpr_workgroup_id_z 0
		.amdhsa_system_sgpr_workgroup_info 0
		.amdhsa_system_vgpr_workitem_id 0
		.amdhsa_next_free_vgpr 36
		.amdhsa_next_free_sgpr 32
		.amdhsa_reserve_vcc 1
		.amdhsa_reserve_flat_scratch 0
		.amdhsa_float_round_mode_32 0
		.amdhsa_float_round_mode_16_64 0
		.amdhsa_float_denorm_mode_32 3
		.amdhsa_float_denorm_mode_16_64 3
		.amdhsa_dx10_clamp 1
		.amdhsa_ieee_mode 1
		.amdhsa_fp16_overflow 0
		.amdhsa_workgroup_processor_mode 1
		.amdhsa_memory_ordered 1
		.amdhsa_forward_progress 1
		.amdhsa_shared_vgpr_count 0
		.amdhsa_exception_fp_ieee_invalid_op 0
		.amdhsa_exception_fp_denorm_src 0
		.amdhsa_exception_fp_ieee_div_zero 0
		.amdhsa_exception_fp_ieee_overflow 0
		.amdhsa_exception_fp_ieee_underflow 0
		.amdhsa_exception_fp_ieee_inexact 0
		.amdhsa_exception_int_div_zero 0
	.end_amdhsa_kernel
	.section	.text._ZN7rocprim17ROCPRIM_400000_NS6detail17trampoline_kernelINS0_14default_configENS1_22reduce_config_selectorIN6thrust23THRUST_200600_302600_NS5tupleIblNS6_9null_typeES8_S8_S8_S8_S8_S8_S8_EEEEZNS1_11reduce_implILb1ES3_NS6_12zip_iteratorINS7_INS6_11hip_rocprim26transform_input_iterator_tIbNSD_35transform_pair_of_input_iterators_tIbNS6_6detail15normal_iteratorINS6_10device_ptrIKxEEEESL_NS6_8equal_toIxEEEENSG_9not_fun_tINSD_8identityEEEEENSD_19counting_iterator_tIlEES8_S8_S8_S8_S8_S8_S8_S8_EEEEPS9_S9_NSD_9__find_if7functorIS9_EEEE10hipError_tPvRmT1_T2_T3_mT4_P12ihipStream_tbEUlT_E1_NS1_11comp_targetILNS1_3genE8ELNS1_11target_archE1030ELNS1_3gpuE2ELNS1_3repE0EEENS1_30default_config_static_selectorELNS0_4arch9wavefront6targetE0EEEvS14_,"axG",@progbits,_ZN7rocprim17ROCPRIM_400000_NS6detail17trampoline_kernelINS0_14default_configENS1_22reduce_config_selectorIN6thrust23THRUST_200600_302600_NS5tupleIblNS6_9null_typeES8_S8_S8_S8_S8_S8_S8_EEEEZNS1_11reduce_implILb1ES3_NS6_12zip_iteratorINS7_INS6_11hip_rocprim26transform_input_iterator_tIbNSD_35transform_pair_of_input_iterators_tIbNS6_6detail15normal_iteratorINS6_10device_ptrIKxEEEESL_NS6_8equal_toIxEEEENSG_9not_fun_tINSD_8identityEEEEENSD_19counting_iterator_tIlEES8_S8_S8_S8_S8_S8_S8_S8_EEEEPS9_S9_NSD_9__find_if7functorIS9_EEEE10hipError_tPvRmT1_T2_T3_mT4_P12ihipStream_tbEUlT_E1_NS1_11comp_targetILNS1_3genE8ELNS1_11target_archE1030ELNS1_3gpuE2ELNS1_3repE0EEENS1_30default_config_static_selectorELNS0_4arch9wavefront6targetE0EEEvS14_,comdat
.Lfunc_end410:
	.size	_ZN7rocprim17ROCPRIM_400000_NS6detail17trampoline_kernelINS0_14default_configENS1_22reduce_config_selectorIN6thrust23THRUST_200600_302600_NS5tupleIblNS6_9null_typeES8_S8_S8_S8_S8_S8_S8_EEEEZNS1_11reduce_implILb1ES3_NS6_12zip_iteratorINS7_INS6_11hip_rocprim26transform_input_iterator_tIbNSD_35transform_pair_of_input_iterators_tIbNS6_6detail15normal_iteratorINS6_10device_ptrIKxEEEESL_NS6_8equal_toIxEEEENSG_9not_fun_tINSD_8identityEEEEENSD_19counting_iterator_tIlEES8_S8_S8_S8_S8_S8_S8_S8_EEEEPS9_S9_NSD_9__find_if7functorIS9_EEEE10hipError_tPvRmT1_T2_T3_mT4_P12ihipStream_tbEUlT_E1_NS1_11comp_targetILNS1_3genE8ELNS1_11target_archE1030ELNS1_3gpuE2ELNS1_3repE0EEENS1_30default_config_static_selectorELNS0_4arch9wavefront6targetE0EEEvS14_, .Lfunc_end410-_ZN7rocprim17ROCPRIM_400000_NS6detail17trampoline_kernelINS0_14default_configENS1_22reduce_config_selectorIN6thrust23THRUST_200600_302600_NS5tupleIblNS6_9null_typeES8_S8_S8_S8_S8_S8_S8_EEEEZNS1_11reduce_implILb1ES3_NS6_12zip_iteratorINS7_INS6_11hip_rocprim26transform_input_iterator_tIbNSD_35transform_pair_of_input_iterators_tIbNS6_6detail15normal_iteratorINS6_10device_ptrIKxEEEESL_NS6_8equal_toIxEEEENSG_9not_fun_tINSD_8identityEEEEENSD_19counting_iterator_tIlEES8_S8_S8_S8_S8_S8_S8_S8_EEEEPS9_S9_NSD_9__find_if7functorIS9_EEEE10hipError_tPvRmT1_T2_T3_mT4_P12ihipStream_tbEUlT_E1_NS1_11comp_targetILNS1_3genE8ELNS1_11target_archE1030ELNS1_3gpuE2ELNS1_3repE0EEENS1_30default_config_static_selectorELNS0_4arch9wavefront6targetE0EEEvS14_
                                        ; -- End function
	.set _ZN7rocprim17ROCPRIM_400000_NS6detail17trampoline_kernelINS0_14default_configENS1_22reduce_config_selectorIN6thrust23THRUST_200600_302600_NS5tupleIblNS6_9null_typeES8_S8_S8_S8_S8_S8_S8_EEEEZNS1_11reduce_implILb1ES3_NS6_12zip_iteratorINS7_INS6_11hip_rocprim26transform_input_iterator_tIbNSD_35transform_pair_of_input_iterators_tIbNS6_6detail15normal_iteratorINS6_10device_ptrIKxEEEESL_NS6_8equal_toIxEEEENSG_9not_fun_tINSD_8identityEEEEENSD_19counting_iterator_tIlEES8_S8_S8_S8_S8_S8_S8_S8_EEEEPS9_S9_NSD_9__find_if7functorIS9_EEEE10hipError_tPvRmT1_T2_T3_mT4_P12ihipStream_tbEUlT_E1_NS1_11comp_targetILNS1_3genE8ELNS1_11target_archE1030ELNS1_3gpuE2ELNS1_3repE0EEENS1_30default_config_static_selectorELNS0_4arch9wavefront6targetE0EEEvS14_.num_vgpr, 36
	.set _ZN7rocprim17ROCPRIM_400000_NS6detail17trampoline_kernelINS0_14default_configENS1_22reduce_config_selectorIN6thrust23THRUST_200600_302600_NS5tupleIblNS6_9null_typeES8_S8_S8_S8_S8_S8_S8_EEEEZNS1_11reduce_implILb1ES3_NS6_12zip_iteratorINS7_INS6_11hip_rocprim26transform_input_iterator_tIbNSD_35transform_pair_of_input_iterators_tIbNS6_6detail15normal_iteratorINS6_10device_ptrIKxEEEESL_NS6_8equal_toIxEEEENSG_9not_fun_tINSD_8identityEEEEENSD_19counting_iterator_tIlEES8_S8_S8_S8_S8_S8_S8_S8_EEEEPS9_S9_NSD_9__find_if7functorIS9_EEEE10hipError_tPvRmT1_T2_T3_mT4_P12ihipStream_tbEUlT_E1_NS1_11comp_targetILNS1_3genE8ELNS1_11target_archE1030ELNS1_3gpuE2ELNS1_3repE0EEENS1_30default_config_static_selectorELNS0_4arch9wavefront6targetE0EEEvS14_.num_agpr, 0
	.set _ZN7rocprim17ROCPRIM_400000_NS6detail17trampoline_kernelINS0_14default_configENS1_22reduce_config_selectorIN6thrust23THRUST_200600_302600_NS5tupleIblNS6_9null_typeES8_S8_S8_S8_S8_S8_S8_EEEEZNS1_11reduce_implILb1ES3_NS6_12zip_iteratorINS7_INS6_11hip_rocprim26transform_input_iterator_tIbNSD_35transform_pair_of_input_iterators_tIbNS6_6detail15normal_iteratorINS6_10device_ptrIKxEEEESL_NS6_8equal_toIxEEEENSG_9not_fun_tINSD_8identityEEEEENSD_19counting_iterator_tIlEES8_S8_S8_S8_S8_S8_S8_S8_EEEEPS9_S9_NSD_9__find_if7functorIS9_EEEE10hipError_tPvRmT1_T2_T3_mT4_P12ihipStream_tbEUlT_E1_NS1_11comp_targetILNS1_3genE8ELNS1_11target_archE1030ELNS1_3gpuE2ELNS1_3repE0EEENS1_30default_config_static_selectorELNS0_4arch9wavefront6targetE0EEEvS14_.numbered_sgpr, 32
	.set _ZN7rocprim17ROCPRIM_400000_NS6detail17trampoline_kernelINS0_14default_configENS1_22reduce_config_selectorIN6thrust23THRUST_200600_302600_NS5tupleIblNS6_9null_typeES8_S8_S8_S8_S8_S8_S8_EEEEZNS1_11reduce_implILb1ES3_NS6_12zip_iteratorINS7_INS6_11hip_rocprim26transform_input_iterator_tIbNSD_35transform_pair_of_input_iterators_tIbNS6_6detail15normal_iteratorINS6_10device_ptrIKxEEEESL_NS6_8equal_toIxEEEENSG_9not_fun_tINSD_8identityEEEEENSD_19counting_iterator_tIlEES8_S8_S8_S8_S8_S8_S8_S8_EEEEPS9_S9_NSD_9__find_if7functorIS9_EEEE10hipError_tPvRmT1_T2_T3_mT4_P12ihipStream_tbEUlT_E1_NS1_11comp_targetILNS1_3genE8ELNS1_11target_archE1030ELNS1_3gpuE2ELNS1_3repE0EEENS1_30default_config_static_selectorELNS0_4arch9wavefront6targetE0EEEvS14_.num_named_barrier, 0
	.set _ZN7rocprim17ROCPRIM_400000_NS6detail17trampoline_kernelINS0_14default_configENS1_22reduce_config_selectorIN6thrust23THRUST_200600_302600_NS5tupleIblNS6_9null_typeES8_S8_S8_S8_S8_S8_S8_EEEEZNS1_11reduce_implILb1ES3_NS6_12zip_iteratorINS7_INS6_11hip_rocprim26transform_input_iterator_tIbNSD_35transform_pair_of_input_iterators_tIbNS6_6detail15normal_iteratorINS6_10device_ptrIKxEEEESL_NS6_8equal_toIxEEEENSG_9not_fun_tINSD_8identityEEEEENSD_19counting_iterator_tIlEES8_S8_S8_S8_S8_S8_S8_S8_EEEEPS9_S9_NSD_9__find_if7functorIS9_EEEE10hipError_tPvRmT1_T2_T3_mT4_P12ihipStream_tbEUlT_E1_NS1_11comp_targetILNS1_3genE8ELNS1_11target_archE1030ELNS1_3gpuE2ELNS1_3repE0EEENS1_30default_config_static_selectorELNS0_4arch9wavefront6targetE0EEEvS14_.private_seg_size, 0
	.set _ZN7rocprim17ROCPRIM_400000_NS6detail17trampoline_kernelINS0_14default_configENS1_22reduce_config_selectorIN6thrust23THRUST_200600_302600_NS5tupleIblNS6_9null_typeES8_S8_S8_S8_S8_S8_S8_EEEEZNS1_11reduce_implILb1ES3_NS6_12zip_iteratorINS7_INS6_11hip_rocprim26transform_input_iterator_tIbNSD_35transform_pair_of_input_iterators_tIbNS6_6detail15normal_iteratorINS6_10device_ptrIKxEEEESL_NS6_8equal_toIxEEEENSG_9not_fun_tINSD_8identityEEEEENSD_19counting_iterator_tIlEES8_S8_S8_S8_S8_S8_S8_S8_EEEEPS9_S9_NSD_9__find_if7functorIS9_EEEE10hipError_tPvRmT1_T2_T3_mT4_P12ihipStream_tbEUlT_E1_NS1_11comp_targetILNS1_3genE8ELNS1_11target_archE1030ELNS1_3gpuE2ELNS1_3repE0EEENS1_30default_config_static_selectorELNS0_4arch9wavefront6targetE0EEEvS14_.uses_vcc, 1
	.set _ZN7rocprim17ROCPRIM_400000_NS6detail17trampoline_kernelINS0_14default_configENS1_22reduce_config_selectorIN6thrust23THRUST_200600_302600_NS5tupleIblNS6_9null_typeES8_S8_S8_S8_S8_S8_S8_EEEEZNS1_11reduce_implILb1ES3_NS6_12zip_iteratorINS7_INS6_11hip_rocprim26transform_input_iterator_tIbNSD_35transform_pair_of_input_iterators_tIbNS6_6detail15normal_iteratorINS6_10device_ptrIKxEEEESL_NS6_8equal_toIxEEEENSG_9not_fun_tINSD_8identityEEEEENSD_19counting_iterator_tIlEES8_S8_S8_S8_S8_S8_S8_S8_EEEEPS9_S9_NSD_9__find_if7functorIS9_EEEE10hipError_tPvRmT1_T2_T3_mT4_P12ihipStream_tbEUlT_E1_NS1_11comp_targetILNS1_3genE8ELNS1_11target_archE1030ELNS1_3gpuE2ELNS1_3repE0EEENS1_30default_config_static_selectorELNS0_4arch9wavefront6targetE0EEEvS14_.uses_flat_scratch, 0
	.set _ZN7rocprim17ROCPRIM_400000_NS6detail17trampoline_kernelINS0_14default_configENS1_22reduce_config_selectorIN6thrust23THRUST_200600_302600_NS5tupleIblNS6_9null_typeES8_S8_S8_S8_S8_S8_S8_EEEEZNS1_11reduce_implILb1ES3_NS6_12zip_iteratorINS7_INS6_11hip_rocprim26transform_input_iterator_tIbNSD_35transform_pair_of_input_iterators_tIbNS6_6detail15normal_iteratorINS6_10device_ptrIKxEEEESL_NS6_8equal_toIxEEEENSG_9not_fun_tINSD_8identityEEEEENSD_19counting_iterator_tIlEES8_S8_S8_S8_S8_S8_S8_S8_EEEEPS9_S9_NSD_9__find_if7functorIS9_EEEE10hipError_tPvRmT1_T2_T3_mT4_P12ihipStream_tbEUlT_E1_NS1_11comp_targetILNS1_3genE8ELNS1_11target_archE1030ELNS1_3gpuE2ELNS1_3repE0EEENS1_30default_config_static_selectorELNS0_4arch9wavefront6targetE0EEEvS14_.has_dyn_sized_stack, 0
	.set _ZN7rocprim17ROCPRIM_400000_NS6detail17trampoline_kernelINS0_14default_configENS1_22reduce_config_selectorIN6thrust23THRUST_200600_302600_NS5tupleIblNS6_9null_typeES8_S8_S8_S8_S8_S8_S8_EEEEZNS1_11reduce_implILb1ES3_NS6_12zip_iteratorINS7_INS6_11hip_rocprim26transform_input_iterator_tIbNSD_35transform_pair_of_input_iterators_tIbNS6_6detail15normal_iteratorINS6_10device_ptrIKxEEEESL_NS6_8equal_toIxEEEENSG_9not_fun_tINSD_8identityEEEEENSD_19counting_iterator_tIlEES8_S8_S8_S8_S8_S8_S8_S8_EEEEPS9_S9_NSD_9__find_if7functorIS9_EEEE10hipError_tPvRmT1_T2_T3_mT4_P12ihipStream_tbEUlT_E1_NS1_11comp_targetILNS1_3genE8ELNS1_11target_archE1030ELNS1_3gpuE2ELNS1_3repE0EEENS1_30default_config_static_selectorELNS0_4arch9wavefront6targetE0EEEvS14_.has_recursion, 0
	.set _ZN7rocprim17ROCPRIM_400000_NS6detail17trampoline_kernelINS0_14default_configENS1_22reduce_config_selectorIN6thrust23THRUST_200600_302600_NS5tupleIblNS6_9null_typeES8_S8_S8_S8_S8_S8_S8_EEEEZNS1_11reduce_implILb1ES3_NS6_12zip_iteratorINS7_INS6_11hip_rocprim26transform_input_iterator_tIbNSD_35transform_pair_of_input_iterators_tIbNS6_6detail15normal_iteratorINS6_10device_ptrIKxEEEESL_NS6_8equal_toIxEEEENSG_9not_fun_tINSD_8identityEEEEENSD_19counting_iterator_tIlEES8_S8_S8_S8_S8_S8_S8_S8_EEEEPS9_S9_NSD_9__find_if7functorIS9_EEEE10hipError_tPvRmT1_T2_T3_mT4_P12ihipStream_tbEUlT_E1_NS1_11comp_targetILNS1_3genE8ELNS1_11target_archE1030ELNS1_3gpuE2ELNS1_3repE0EEENS1_30default_config_static_selectorELNS0_4arch9wavefront6targetE0EEEvS14_.has_indirect_call, 0
	.section	.AMDGPU.csdata,"",@progbits
; Kernel info:
; codeLenInByte = 15076
; TotalNumSgprs: 34
; NumVgprs: 36
; ScratchSize: 0
; MemoryBound: 0
; FloatMode: 240
; IeeeMode: 1
; LDSByteSize: 640 bytes/workgroup (compile time only)
; SGPRBlocks: 0
; VGPRBlocks: 4
; NumSGPRsForWavesPerEU: 34
; NumVGPRsForWavesPerEU: 36
; Occupancy: 16
; WaveLimiterHint : 0
; COMPUTE_PGM_RSRC2:SCRATCH_EN: 0
; COMPUTE_PGM_RSRC2:USER_SGPR: 6
; COMPUTE_PGM_RSRC2:TRAP_HANDLER: 0
; COMPUTE_PGM_RSRC2:TGID_X_EN: 1
; COMPUTE_PGM_RSRC2:TGID_Y_EN: 0
; COMPUTE_PGM_RSRC2:TGID_Z_EN: 0
; COMPUTE_PGM_RSRC2:TIDIG_COMP_CNT: 0
	.section	.text._ZN7rocprim17ROCPRIM_400000_NS6detail44device_merge_sort_compile_time_verifier_archINS1_11comp_targetILNS1_3genE0ELNS1_11target_archE4294967295ELNS1_3gpuE0ELNS1_3repE0EEES8_NS0_14default_configES9_NS1_37merge_sort_block_sort_config_selectorIiNS0_10empty_typeEEENS1_38merge_sort_block_merge_config_selectorIiSB_EEEEvv,"axG",@progbits,_ZN7rocprim17ROCPRIM_400000_NS6detail44device_merge_sort_compile_time_verifier_archINS1_11comp_targetILNS1_3genE0ELNS1_11target_archE4294967295ELNS1_3gpuE0ELNS1_3repE0EEES8_NS0_14default_configES9_NS1_37merge_sort_block_sort_config_selectorIiNS0_10empty_typeEEENS1_38merge_sort_block_merge_config_selectorIiSB_EEEEvv,comdat
	.protected	_ZN7rocprim17ROCPRIM_400000_NS6detail44device_merge_sort_compile_time_verifier_archINS1_11comp_targetILNS1_3genE0ELNS1_11target_archE4294967295ELNS1_3gpuE0ELNS1_3repE0EEES8_NS0_14default_configES9_NS1_37merge_sort_block_sort_config_selectorIiNS0_10empty_typeEEENS1_38merge_sort_block_merge_config_selectorIiSB_EEEEvv ; -- Begin function _ZN7rocprim17ROCPRIM_400000_NS6detail44device_merge_sort_compile_time_verifier_archINS1_11comp_targetILNS1_3genE0ELNS1_11target_archE4294967295ELNS1_3gpuE0ELNS1_3repE0EEES8_NS0_14default_configES9_NS1_37merge_sort_block_sort_config_selectorIiNS0_10empty_typeEEENS1_38merge_sort_block_merge_config_selectorIiSB_EEEEvv
	.globl	_ZN7rocprim17ROCPRIM_400000_NS6detail44device_merge_sort_compile_time_verifier_archINS1_11comp_targetILNS1_3genE0ELNS1_11target_archE4294967295ELNS1_3gpuE0ELNS1_3repE0EEES8_NS0_14default_configES9_NS1_37merge_sort_block_sort_config_selectorIiNS0_10empty_typeEEENS1_38merge_sort_block_merge_config_selectorIiSB_EEEEvv
	.p2align	8
	.type	_ZN7rocprim17ROCPRIM_400000_NS6detail44device_merge_sort_compile_time_verifier_archINS1_11comp_targetILNS1_3genE0ELNS1_11target_archE4294967295ELNS1_3gpuE0ELNS1_3repE0EEES8_NS0_14default_configES9_NS1_37merge_sort_block_sort_config_selectorIiNS0_10empty_typeEEENS1_38merge_sort_block_merge_config_selectorIiSB_EEEEvv,@function
_ZN7rocprim17ROCPRIM_400000_NS6detail44device_merge_sort_compile_time_verifier_archINS1_11comp_targetILNS1_3genE0ELNS1_11target_archE4294967295ELNS1_3gpuE0ELNS1_3repE0EEES8_NS0_14default_configES9_NS1_37merge_sort_block_sort_config_selectorIiNS0_10empty_typeEEENS1_38merge_sort_block_merge_config_selectorIiSB_EEEEvv: ; @_ZN7rocprim17ROCPRIM_400000_NS6detail44device_merge_sort_compile_time_verifier_archINS1_11comp_targetILNS1_3genE0ELNS1_11target_archE4294967295ELNS1_3gpuE0ELNS1_3repE0EEES8_NS0_14default_configES9_NS1_37merge_sort_block_sort_config_selectorIiNS0_10empty_typeEEENS1_38merge_sort_block_merge_config_selectorIiSB_EEEEvv
; %bb.0:
	s_endpgm
	.section	.rodata,"a",@progbits
	.p2align	6, 0x0
	.amdhsa_kernel _ZN7rocprim17ROCPRIM_400000_NS6detail44device_merge_sort_compile_time_verifier_archINS1_11comp_targetILNS1_3genE0ELNS1_11target_archE4294967295ELNS1_3gpuE0ELNS1_3repE0EEES8_NS0_14default_configES9_NS1_37merge_sort_block_sort_config_selectorIiNS0_10empty_typeEEENS1_38merge_sort_block_merge_config_selectorIiSB_EEEEvv
		.amdhsa_group_segment_fixed_size 0
		.amdhsa_private_segment_fixed_size 0
		.amdhsa_kernarg_size 0
		.amdhsa_user_sgpr_count 4
		.amdhsa_user_sgpr_private_segment_buffer 1
		.amdhsa_user_sgpr_dispatch_ptr 0
		.amdhsa_user_sgpr_queue_ptr 0
		.amdhsa_user_sgpr_kernarg_segment_ptr 0
		.amdhsa_user_sgpr_dispatch_id 0
		.amdhsa_user_sgpr_flat_scratch_init 0
		.amdhsa_user_sgpr_private_segment_size 0
		.amdhsa_wavefront_size32 1
		.amdhsa_uses_dynamic_stack 0
		.amdhsa_system_sgpr_private_segment_wavefront_offset 0
		.amdhsa_system_sgpr_workgroup_id_x 1
		.amdhsa_system_sgpr_workgroup_id_y 0
		.amdhsa_system_sgpr_workgroup_id_z 0
		.amdhsa_system_sgpr_workgroup_info 0
		.amdhsa_system_vgpr_workitem_id 0
		.amdhsa_next_free_vgpr 1
		.amdhsa_next_free_sgpr 1
		.amdhsa_reserve_vcc 0
		.amdhsa_reserve_flat_scratch 0
		.amdhsa_float_round_mode_32 0
		.amdhsa_float_round_mode_16_64 0
		.amdhsa_float_denorm_mode_32 3
		.amdhsa_float_denorm_mode_16_64 3
		.amdhsa_dx10_clamp 1
		.amdhsa_ieee_mode 1
		.amdhsa_fp16_overflow 0
		.amdhsa_workgroup_processor_mode 1
		.amdhsa_memory_ordered 1
		.amdhsa_forward_progress 1
		.amdhsa_shared_vgpr_count 0
		.amdhsa_exception_fp_ieee_invalid_op 0
		.amdhsa_exception_fp_denorm_src 0
		.amdhsa_exception_fp_ieee_div_zero 0
		.amdhsa_exception_fp_ieee_overflow 0
		.amdhsa_exception_fp_ieee_underflow 0
		.amdhsa_exception_fp_ieee_inexact 0
		.amdhsa_exception_int_div_zero 0
	.end_amdhsa_kernel
	.section	.text._ZN7rocprim17ROCPRIM_400000_NS6detail44device_merge_sort_compile_time_verifier_archINS1_11comp_targetILNS1_3genE0ELNS1_11target_archE4294967295ELNS1_3gpuE0ELNS1_3repE0EEES8_NS0_14default_configES9_NS1_37merge_sort_block_sort_config_selectorIiNS0_10empty_typeEEENS1_38merge_sort_block_merge_config_selectorIiSB_EEEEvv,"axG",@progbits,_ZN7rocprim17ROCPRIM_400000_NS6detail44device_merge_sort_compile_time_verifier_archINS1_11comp_targetILNS1_3genE0ELNS1_11target_archE4294967295ELNS1_3gpuE0ELNS1_3repE0EEES8_NS0_14default_configES9_NS1_37merge_sort_block_sort_config_selectorIiNS0_10empty_typeEEENS1_38merge_sort_block_merge_config_selectorIiSB_EEEEvv,comdat
.Lfunc_end411:
	.size	_ZN7rocprim17ROCPRIM_400000_NS6detail44device_merge_sort_compile_time_verifier_archINS1_11comp_targetILNS1_3genE0ELNS1_11target_archE4294967295ELNS1_3gpuE0ELNS1_3repE0EEES8_NS0_14default_configES9_NS1_37merge_sort_block_sort_config_selectorIiNS0_10empty_typeEEENS1_38merge_sort_block_merge_config_selectorIiSB_EEEEvv, .Lfunc_end411-_ZN7rocprim17ROCPRIM_400000_NS6detail44device_merge_sort_compile_time_verifier_archINS1_11comp_targetILNS1_3genE0ELNS1_11target_archE4294967295ELNS1_3gpuE0ELNS1_3repE0EEES8_NS0_14default_configES9_NS1_37merge_sort_block_sort_config_selectorIiNS0_10empty_typeEEENS1_38merge_sort_block_merge_config_selectorIiSB_EEEEvv
                                        ; -- End function
	.set _ZN7rocprim17ROCPRIM_400000_NS6detail44device_merge_sort_compile_time_verifier_archINS1_11comp_targetILNS1_3genE0ELNS1_11target_archE4294967295ELNS1_3gpuE0ELNS1_3repE0EEES8_NS0_14default_configES9_NS1_37merge_sort_block_sort_config_selectorIiNS0_10empty_typeEEENS1_38merge_sort_block_merge_config_selectorIiSB_EEEEvv.num_vgpr, 0
	.set _ZN7rocprim17ROCPRIM_400000_NS6detail44device_merge_sort_compile_time_verifier_archINS1_11comp_targetILNS1_3genE0ELNS1_11target_archE4294967295ELNS1_3gpuE0ELNS1_3repE0EEES8_NS0_14default_configES9_NS1_37merge_sort_block_sort_config_selectorIiNS0_10empty_typeEEENS1_38merge_sort_block_merge_config_selectorIiSB_EEEEvv.num_agpr, 0
	.set _ZN7rocprim17ROCPRIM_400000_NS6detail44device_merge_sort_compile_time_verifier_archINS1_11comp_targetILNS1_3genE0ELNS1_11target_archE4294967295ELNS1_3gpuE0ELNS1_3repE0EEES8_NS0_14default_configES9_NS1_37merge_sort_block_sort_config_selectorIiNS0_10empty_typeEEENS1_38merge_sort_block_merge_config_selectorIiSB_EEEEvv.numbered_sgpr, 0
	.set _ZN7rocprim17ROCPRIM_400000_NS6detail44device_merge_sort_compile_time_verifier_archINS1_11comp_targetILNS1_3genE0ELNS1_11target_archE4294967295ELNS1_3gpuE0ELNS1_3repE0EEES8_NS0_14default_configES9_NS1_37merge_sort_block_sort_config_selectorIiNS0_10empty_typeEEENS1_38merge_sort_block_merge_config_selectorIiSB_EEEEvv.num_named_barrier, 0
	.set _ZN7rocprim17ROCPRIM_400000_NS6detail44device_merge_sort_compile_time_verifier_archINS1_11comp_targetILNS1_3genE0ELNS1_11target_archE4294967295ELNS1_3gpuE0ELNS1_3repE0EEES8_NS0_14default_configES9_NS1_37merge_sort_block_sort_config_selectorIiNS0_10empty_typeEEENS1_38merge_sort_block_merge_config_selectorIiSB_EEEEvv.private_seg_size, 0
	.set _ZN7rocprim17ROCPRIM_400000_NS6detail44device_merge_sort_compile_time_verifier_archINS1_11comp_targetILNS1_3genE0ELNS1_11target_archE4294967295ELNS1_3gpuE0ELNS1_3repE0EEES8_NS0_14default_configES9_NS1_37merge_sort_block_sort_config_selectorIiNS0_10empty_typeEEENS1_38merge_sort_block_merge_config_selectorIiSB_EEEEvv.uses_vcc, 0
	.set _ZN7rocprim17ROCPRIM_400000_NS6detail44device_merge_sort_compile_time_verifier_archINS1_11comp_targetILNS1_3genE0ELNS1_11target_archE4294967295ELNS1_3gpuE0ELNS1_3repE0EEES8_NS0_14default_configES9_NS1_37merge_sort_block_sort_config_selectorIiNS0_10empty_typeEEENS1_38merge_sort_block_merge_config_selectorIiSB_EEEEvv.uses_flat_scratch, 0
	.set _ZN7rocprim17ROCPRIM_400000_NS6detail44device_merge_sort_compile_time_verifier_archINS1_11comp_targetILNS1_3genE0ELNS1_11target_archE4294967295ELNS1_3gpuE0ELNS1_3repE0EEES8_NS0_14default_configES9_NS1_37merge_sort_block_sort_config_selectorIiNS0_10empty_typeEEENS1_38merge_sort_block_merge_config_selectorIiSB_EEEEvv.has_dyn_sized_stack, 0
	.set _ZN7rocprim17ROCPRIM_400000_NS6detail44device_merge_sort_compile_time_verifier_archINS1_11comp_targetILNS1_3genE0ELNS1_11target_archE4294967295ELNS1_3gpuE0ELNS1_3repE0EEES8_NS0_14default_configES9_NS1_37merge_sort_block_sort_config_selectorIiNS0_10empty_typeEEENS1_38merge_sort_block_merge_config_selectorIiSB_EEEEvv.has_recursion, 0
	.set _ZN7rocprim17ROCPRIM_400000_NS6detail44device_merge_sort_compile_time_verifier_archINS1_11comp_targetILNS1_3genE0ELNS1_11target_archE4294967295ELNS1_3gpuE0ELNS1_3repE0EEES8_NS0_14default_configES9_NS1_37merge_sort_block_sort_config_selectorIiNS0_10empty_typeEEENS1_38merge_sort_block_merge_config_selectorIiSB_EEEEvv.has_indirect_call, 0
	.section	.AMDGPU.csdata,"",@progbits
; Kernel info:
; codeLenInByte = 4
; TotalNumSgprs: 0
; NumVgprs: 0
; ScratchSize: 0
; MemoryBound: 0
; FloatMode: 240
; IeeeMode: 1
; LDSByteSize: 0 bytes/workgroup (compile time only)
; SGPRBlocks: 0
; VGPRBlocks: 0
; NumSGPRsForWavesPerEU: 1
; NumVGPRsForWavesPerEU: 1
; Occupancy: 16
; WaveLimiterHint : 0
; COMPUTE_PGM_RSRC2:SCRATCH_EN: 0
; COMPUTE_PGM_RSRC2:USER_SGPR: 4
; COMPUTE_PGM_RSRC2:TRAP_HANDLER: 0
; COMPUTE_PGM_RSRC2:TGID_X_EN: 1
; COMPUTE_PGM_RSRC2:TGID_Y_EN: 0
; COMPUTE_PGM_RSRC2:TGID_Z_EN: 0
; COMPUTE_PGM_RSRC2:TIDIG_COMP_CNT: 0
	.section	.text._ZN7rocprim17ROCPRIM_400000_NS6detail44device_merge_sort_compile_time_verifier_archINS1_11comp_targetILNS1_3genE5ELNS1_11target_archE942ELNS1_3gpuE9ELNS1_3repE0EEES8_NS0_14default_configES9_NS1_37merge_sort_block_sort_config_selectorIiNS0_10empty_typeEEENS1_38merge_sort_block_merge_config_selectorIiSB_EEEEvv,"axG",@progbits,_ZN7rocprim17ROCPRIM_400000_NS6detail44device_merge_sort_compile_time_verifier_archINS1_11comp_targetILNS1_3genE5ELNS1_11target_archE942ELNS1_3gpuE9ELNS1_3repE0EEES8_NS0_14default_configES9_NS1_37merge_sort_block_sort_config_selectorIiNS0_10empty_typeEEENS1_38merge_sort_block_merge_config_selectorIiSB_EEEEvv,comdat
	.protected	_ZN7rocprim17ROCPRIM_400000_NS6detail44device_merge_sort_compile_time_verifier_archINS1_11comp_targetILNS1_3genE5ELNS1_11target_archE942ELNS1_3gpuE9ELNS1_3repE0EEES8_NS0_14default_configES9_NS1_37merge_sort_block_sort_config_selectorIiNS0_10empty_typeEEENS1_38merge_sort_block_merge_config_selectorIiSB_EEEEvv ; -- Begin function _ZN7rocprim17ROCPRIM_400000_NS6detail44device_merge_sort_compile_time_verifier_archINS1_11comp_targetILNS1_3genE5ELNS1_11target_archE942ELNS1_3gpuE9ELNS1_3repE0EEES8_NS0_14default_configES9_NS1_37merge_sort_block_sort_config_selectorIiNS0_10empty_typeEEENS1_38merge_sort_block_merge_config_selectorIiSB_EEEEvv
	.globl	_ZN7rocprim17ROCPRIM_400000_NS6detail44device_merge_sort_compile_time_verifier_archINS1_11comp_targetILNS1_3genE5ELNS1_11target_archE942ELNS1_3gpuE9ELNS1_3repE0EEES8_NS0_14default_configES9_NS1_37merge_sort_block_sort_config_selectorIiNS0_10empty_typeEEENS1_38merge_sort_block_merge_config_selectorIiSB_EEEEvv
	.p2align	8
	.type	_ZN7rocprim17ROCPRIM_400000_NS6detail44device_merge_sort_compile_time_verifier_archINS1_11comp_targetILNS1_3genE5ELNS1_11target_archE942ELNS1_3gpuE9ELNS1_3repE0EEES8_NS0_14default_configES9_NS1_37merge_sort_block_sort_config_selectorIiNS0_10empty_typeEEENS1_38merge_sort_block_merge_config_selectorIiSB_EEEEvv,@function
_ZN7rocprim17ROCPRIM_400000_NS6detail44device_merge_sort_compile_time_verifier_archINS1_11comp_targetILNS1_3genE5ELNS1_11target_archE942ELNS1_3gpuE9ELNS1_3repE0EEES8_NS0_14default_configES9_NS1_37merge_sort_block_sort_config_selectorIiNS0_10empty_typeEEENS1_38merge_sort_block_merge_config_selectorIiSB_EEEEvv: ; @_ZN7rocprim17ROCPRIM_400000_NS6detail44device_merge_sort_compile_time_verifier_archINS1_11comp_targetILNS1_3genE5ELNS1_11target_archE942ELNS1_3gpuE9ELNS1_3repE0EEES8_NS0_14default_configES9_NS1_37merge_sort_block_sort_config_selectorIiNS0_10empty_typeEEENS1_38merge_sort_block_merge_config_selectorIiSB_EEEEvv
; %bb.0:
	s_endpgm
	.section	.rodata,"a",@progbits
	.p2align	6, 0x0
	.amdhsa_kernel _ZN7rocprim17ROCPRIM_400000_NS6detail44device_merge_sort_compile_time_verifier_archINS1_11comp_targetILNS1_3genE5ELNS1_11target_archE942ELNS1_3gpuE9ELNS1_3repE0EEES8_NS0_14default_configES9_NS1_37merge_sort_block_sort_config_selectorIiNS0_10empty_typeEEENS1_38merge_sort_block_merge_config_selectorIiSB_EEEEvv
		.amdhsa_group_segment_fixed_size 0
		.amdhsa_private_segment_fixed_size 0
		.amdhsa_kernarg_size 0
		.amdhsa_user_sgpr_count 4
		.amdhsa_user_sgpr_private_segment_buffer 1
		.amdhsa_user_sgpr_dispatch_ptr 0
		.amdhsa_user_sgpr_queue_ptr 0
		.amdhsa_user_sgpr_kernarg_segment_ptr 0
		.amdhsa_user_sgpr_dispatch_id 0
		.amdhsa_user_sgpr_flat_scratch_init 0
		.amdhsa_user_sgpr_private_segment_size 0
		.amdhsa_wavefront_size32 1
		.amdhsa_uses_dynamic_stack 0
		.amdhsa_system_sgpr_private_segment_wavefront_offset 0
		.amdhsa_system_sgpr_workgroup_id_x 1
		.amdhsa_system_sgpr_workgroup_id_y 0
		.amdhsa_system_sgpr_workgroup_id_z 0
		.amdhsa_system_sgpr_workgroup_info 0
		.amdhsa_system_vgpr_workitem_id 0
		.amdhsa_next_free_vgpr 1
		.amdhsa_next_free_sgpr 1
		.amdhsa_reserve_vcc 0
		.amdhsa_reserve_flat_scratch 0
		.amdhsa_float_round_mode_32 0
		.amdhsa_float_round_mode_16_64 0
		.amdhsa_float_denorm_mode_32 3
		.amdhsa_float_denorm_mode_16_64 3
		.amdhsa_dx10_clamp 1
		.amdhsa_ieee_mode 1
		.amdhsa_fp16_overflow 0
		.amdhsa_workgroup_processor_mode 1
		.amdhsa_memory_ordered 1
		.amdhsa_forward_progress 1
		.amdhsa_shared_vgpr_count 0
		.amdhsa_exception_fp_ieee_invalid_op 0
		.amdhsa_exception_fp_denorm_src 0
		.amdhsa_exception_fp_ieee_div_zero 0
		.amdhsa_exception_fp_ieee_overflow 0
		.amdhsa_exception_fp_ieee_underflow 0
		.amdhsa_exception_fp_ieee_inexact 0
		.amdhsa_exception_int_div_zero 0
	.end_amdhsa_kernel
	.section	.text._ZN7rocprim17ROCPRIM_400000_NS6detail44device_merge_sort_compile_time_verifier_archINS1_11comp_targetILNS1_3genE5ELNS1_11target_archE942ELNS1_3gpuE9ELNS1_3repE0EEES8_NS0_14default_configES9_NS1_37merge_sort_block_sort_config_selectorIiNS0_10empty_typeEEENS1_38merge_sort_block_merge_config_selectorIiSB_EEEEvv,"axG",@progbits,_ZN7rocprim17ROCPRIM_400000_NS6detail44device_merge_sort_compile_time_verifier_archINS1_11comp_targetILNS1_3genE5ELNS1_11target_archE942ELNS1_3gpuE9ELNS1_3repE0EEES8_NS0_14default_configES9_NS1_37merge_sort_block_sort_config_selectorIiNS0_10empty_typeEEENS1_38merge_sort_block_merge_config_selectorIiSB_EEEEvv,comdat
.Lfunc_end412:
	.size	_ZN7rocprim17ROCPRIM_400000_NS6detail44device_merge_sort_compile_time_verifier_archINS1_11comp_targetILNS1_3genE5ELNS1_11target_archE942ELNS1_3gpuE9ELNS1_3repE0EEES8_NS0_14default_configES9_NS1_37merge_sort_block_sort_config_selectorIiNS0_10empty_typeEEENS1_38merge_sort_block_merge_config_selectorIiSB_EEEEvv, .Lfunc_end412-_ZN7rocprim17ROCPRIM_400000_NS6detail44device_merge_sort_compile_time_verifier_archINS1_11comp_targetILNS1_3genE5ELNS1_11target_archE942ELNS1_3gpuE9ELNS1_3repE0EEES8_NS0_14default_configES9_NS1_37merge_sort_block_sort_config_selectorIiNS0_10empty_typeEEENS1_38merge_sort_block_merge_config_selectorIiSB_EEEEvv
                                        ; -- End function
	.set _ZN7rocprim17ROCPRIM_400000_NS6detail44device_merge_sort_compile_time_verifier_archINS1_11comp_targetILNS1_3genE5ELNS1_11target_archE942ELNS1_3gpuE9ELNS1_3repE0EEES8_NS0_14default_configES9_NS1_37merge_sort_block_sort_config_selectorIiNS0_10empty_typeEEENS1_38merge_sort_block_merge_config_selectorIiSB_EEEEvv.num_vgpr, 0
	.set _ZN7rocprim17ROCPRIM_400000_NS6detail44device_merge_sort_compile_time_verifier_archINS1_11comp_targetILNS1_3genE5ELNS1_11target_archE942ELNS1_3gpuE9ELNS1_3repE0EEES8_NS0_14default_configES9_NS1_37merge_sort_block_sort_config_selectorIiNS0_10empty_typeEEENS1_38merge_sort_block_merge_config_selectorIiSB_EEEEvv.num_agpr, 0
	.set _ZN7rocprim17ROCPRIM_400000_NS6detail44device_merge_sort_compile_time_verifier_archINS1_11comp_targetILNS1_3genE5ELNS1_11target_archE942ELNS1_3gpuE9ELNS1_3repE0EEES8_NS0_14default_configES9_NS1_37merge_sort_block_sort_config_selectorIiNS0_10empty_typeEEENS1_38merge_sort_block_merge_config_selectorIiSB_EEEEvv.numbered_sgpr, 0
	.set _ZN7rocprim17ROCPRIM_400000_NS6detail44device_merge_sort_compile_time_verifier_archINS1_11comp_targetILNS1_3genE5ELNS1_11target_archE942ELNS1_3gpuE9ELNS1_3repE0EEES8_NS0_14default_configES9_NS1_37merge_sort_block_sort_config_selectorIiNS0_10empty_typeEEENS1_38merge_sort_block_merge_config_selectorIiSB_EEEEvv.num_named_barrier, 0
	.set _ZN7rocprim17ROCPRIM_400000_NS6detail44device_merge_sort_compile_time_verifier_archINS1_11comp_targetILNS1_3genE5ELNS1_11target_archE942ELNS1_3gpuE9ELNS1_3repE0EEES8_NS0_14default_configES9_NS1_37merge_sort_block_sort_config_selectorIiNS0_10empty_typeEEENS1_38merge_sort_block_merge_config_selectorIiSB_EEEEvv.private_seg_size, 0
	.set _ZN7rocprim17ROCPRIM_400000_NS6detail44device_merge_sort_compile_time_verifier_archINS1_11comp_targetILNS1_3genE5ELNS1_11target_archE942ELNS1_3gpuE9ELNS1_3repE0EEES8_NS0_14default_configES9_NS1_37merge_sort_block_sort_config_selectorIiNS0_10empty_typeEEENS1_38merge_sort_block_merge_config_selectorIiSB_EEEEvv.uses_vcc, 0
	.set _ZN7rocprim17ROCPRIM_400000_NS6detail44device_merge_sort_compile_time_verifier_archINS1_11comp_targetILNS1_3genE5ELNS1_11target_archE942ELNS1_3gpuE9ELNS1_3repE0EEES8_NS0_14default_configES9_NS1_37merge_sort_block_sort_config_selectorIiNS0_10empty_typeEEENS1_38merge_sort_block_merge_config_selectorIiSB_EEEEvv.uses_flat_scratch, 0
	.set _ZN7rocprim17ROCPRIM_400000_NS6detail44device_merge_sort_compile_time_verifier_archINS1_11comp_targetILNS1_3genE5ELNS1_11target_archE942ELNS1_3gpuE9ELNS1_3repE0EEES8_NS0_14default_configES9_NS1_37merge_sort_block_sort_config_selectorIiNS0_10empty_typeEEENS1_38merge_sort_block_merge_config_selectorIiSB_EEEEvv.has_dyn_sized_stack, 0
	.set _ZN7rocprim17ROCPRIM_400000_NS6detail44device_merge_sort_compile_time_verifier_archINS1_11comp_targetILNS1_3genE5ELNS1_11target_archE942ELNS1_3gpuE9ELNS1_3repE0EEES8_NS0_14default_configES9_NS1_37merge_sort_block_sort_config_selectorIiNS0_10empty_typeEEENS1_38merge_sort_block_merge_config_selectorIiSB_EEEEvv.has_recursion, 0
	.set _ZN7rocprim17ROCPRIM_400000_NS6detail44device_merge_sort_compile_time_verifier_archINS1_11comp_targetILNS1_3genE5ELNS1_11target_archE942ELNS1_3gpuE9ELNS1_3repE0EEES8_NS0_14default_configES9_NS1_37merge_sort_block_sort_config_selectorIiNS0_10empty_typeEEENS1_38merge_sort_block_merge_config_selectorIiSB_EEEEvv.has_indirect_call, 0
	.section	.AMDGPU.csdata,"",@progbits
; Kernel info:
; codeLenInByte = 4
; TotalNumSgprs: 0
; NumVgprs: 0
; ScratchSize: 0
; MemoryBound: 0
; FloatMode: 240
; IeeeMode: 1
; LDSByteSize: 0 bytes/workgroup (compile time only)
; SGPRBlocks: 0
; VGPRBlocks: 0
; NumSGPRsForWavesPerEU: 1
; NumVGPRsForWavesPerEU: 1
; Occupancy: 16
; WaveLimiterHint : 0
; COMPUTE_PGM_RSRC2:SCRATCH_EN: 0
; COMPUTE_PGM_RSRC2:USER_SGPR: 4
; COMPUTE_PGM_RSRC2:TRAP_HANDLER: 0
; COMPUTE_PGM_RSRC2:TGID_X_EN: 1
; COMPUTE_PGM_RSRC2:TGID_Y_EN: 0
; COMPUTE_PGM_RSRC2:TGID_Z_EN: 0
; COMPUTE_PGM_RSRC2:TIDIG_COMP_CNT: 0
	.section	.text._ZN7rocprim17ROCPRIM_400000_NS6detail44device_merge_sort_compile_time_verifier_archINS1_11comp_targetILNS1_3genE4ELNS1_11target_archE910ELNS1_3gpuE8ELNS1_3repE0EEES8_NS0_14default_configES9_NS1_37merge_sort_block_sort_config_selectorIiNS0_10empty_typeEEENS1_38merge_sort_block_merge_config_selectorIiSB_EEEEvv,"axG",@progbits,_ZN7rocprim17ROCPRIM_400000_NS6detail44device_merge_sort_compile_time_verifier_archINS1_11comp_targetILNS1_3genE4ELNS1_11target_archE910ELNS1_3gpuE8ELNS1_3repE0EEES8_NS0_14default_configES9_NS1_37merge_sort_block_sort_config_selectorIiNS0_10empty_typeEEENS1_38merge_sort_block_merge_config_selectorIiSB_EEEEvv,comdat
	.protected	_ZN7rocprim17ROCPRIM_400000_NS6detail44device_merge_sort_compile_time_verifier_archINS1_11comp_targetILNS1_3genE4ELNS1_11target_archE910ELNS1_3gpuE8ELNS1_3repE0EEES8_NS0_14default_configES9_NS1_37merge_sort_block_sort_config_selectorIiNS0_10empty_typeEEENS1_38merge_sort_block_merge_config_selectorIiSB_EEEEvv ; -- Begin function _ZN7rocprim17ROCPRIM_400000_NS6detail44device_merge_sort_compile_time_verifier_archINS1_11comp_targetILNS1_3genE4ELNS1_11target_archE910ELNS1_3gpuE8ELNS1_3repE0EEES8_NS0_14default_configES9_NS1_37merge_sort_block_sort_config_selectorIiNS0_10empty_typeEEENS1_38merge_sort_block_merge_config_selectorIiSB_EEEEvv
	.globl	_ZN7rocprim17ROCPRIM_400000_NS6detail44device_merge_sort_compile_time_verifier_archINS1_11comp_targetILNS1_3genE4ELNS1_11target_archE910ELNS1_3gpuE8ELNS1_3repE0EEES8_NS0_14default_configES9_NS1_37merge_sort_block_sort_config_selectorIiNS0_10empty_typeEEENS1_38merge_sort_block_merge_config_selectorIiSB_EEEEvv
	.p2align	8
	.type	_ZN7rocprim17ROCPRIM_400000_NS6detail44device_merge_sort_compile_time_verifier_archINS1_11comp_targetILNS1_3genE4ELNS1_11target_archE910ELNS1_3gpuE8ELNS1_3repE0EEES8_NS0_14default_configES9_NS1_37merge_sort_block_sort_config_selectorIiNS0_10empty_typeEEENS1_38merge_sort_block_merge_config_selectorIiSB_EEEEvv,@function
_ZN7rocprim17ROCPRIM_400000_NS6detail44device_merge_sort_compile_time_verifier_archINS1_11comp_targetILNS1_3genE4ELNS1_11target_archE910ELNS1_3gpuE8ELNS1_3repE0EEES8_NS0_14default_configES9_NS1_37merge_sort_block_sort_config_selectorIiNS0_10empty_typeEEENS1_38merge_sort_block_merge_config_selectorIiSB_EEEEvv: ; @_ZN7rocprim17ROCPRIM_400000_NS6detail44device_merge_sort_compile_time_verifier_archINS1_11comp_targetILNS1_3genE4ELNS1_11target_archE910ELNS1_3gpuE8ELNS1_3repE0EEES8_NS0_14default_configES9_NS1_37merge_sort_block_sort_config_selectorIiNS0_10empty_typeEEENS1_38merge_sort_block_merge_config_selectorIiSB_EEEEvv
; %bb.0:
	s_endpgm
	.section	.rodata,"a",@progbits
	.p2align	6, 0x0
	.amdhsa_kernel _ZN7rocprim17ROCPRIM_400000_NS6detail44device_merge_sort_compile_time_verifier_archINS1_11comp_targetILNS1_3genE4ELNS1_11target_archE910ELNS1_3gpuE8ELNS1_3repE0EEES8_NS0_14default_configES9_NS1_37merge_sort_block_sort_config_selectorIiNS0_10empty_typeEEENS1_38merge_sort_block_merge_config_selectorIiSB_EEEEvv
		.amdhsa_group_segment_fixed_size 0
		.amdhsa_private_segment_fixed_size 0
		.amdhsa_kernarg_size 0
		.amdhsa_user_sgpr_count 4
		.amdhsa_user_sgpr_private_segment_buffer 1
		.amdhsa_user_sgpr_dispatch_ptr 0
		.amdhsa_user_sgpr_queue_ptr 0
		.amdhsa_user_sgpr_kernarg_segment_ptr 0
		.amdhsa_user_sgpr_dispatch_id 0
		.amdhsa_user_sgpr_flat_scratch_init 0
		.amdhsa_user_sgpr_private_segment_size 0
		.amdhsa_wavefront_size32 1
		.amdhsa_uses_dynamic_stack 0
		.amdhsa_system_sgpr_private_segment_wavefront_offset 0
		.amdhsa_system_sgpr_workgroup_id_x 1
		.amdhsa_system_sgpr_workgroup_id_y 0
		.amdhsa_system_sgpr_workgroup_id_z 0
		.amdhsa_system_sgpr_workgroup_info 0
		.amdhsa_system_vgpr_workitem_id 0
		.amdhsa_next_free_vgpr 1
		.amdhsa_next_free_sgpr 1
		.amdhsa_reserve_vcc 0
		.amdhsa_reserve_flat_scratch 0
		.amdhsa_float_round_mode_32 0
		.amdhsa_float_round_mode_16_64 0
		.amdhsa_float_denorm_mode_32 3
		.amdhsa_float_denorm_mode_16_64 3
		.amdhsa_dx10_clamp 1
		.amdhsa_ieee_mode 1
		.amdhsa_fp16_overflow 0
		.amdhsa_workgroup_processor_mode 1
		.amdhsa_memory_ordered 1
		.amdhsa_forward_progress 1
		.amdhsa_shared_vgpr_count 0
		.amdhsa_exception_fp_ieee_invalid_op 0
		.amdhsa_exception_fp_denorm_src 0
		.amdhsa_exception_fp_ieee_div_zero 0
		.amdhsa_exception_fp_ieee_overflow 0
		.amdhsa_exception_fp_ieee_underflow 0
		.amdhsa_exception_fp_ieee_inexact 0
		.amdhsa_exception_int_div_zero 0
	.end_amdhsa_kernel
	.section	.text._ZN7rocprim17ROCPRIM_400000_NS6detail44device_merge_sort_compile_time_verifier_archINS1_11comp_targetILNS1_3genE4ELNS1_11target_archE910ELNS1_3gpuE8ELNS1_3repE0EEES8_NS0_14default_configES9_NS1_37merge_sort_block_sort_config_selectorIiNS0_10empty_typeEEENS1_38merge_sort_block_merge_config_selectorIiSB_EEEEvv,"axG",@progbits,_ZN7rocprim17ROCPRIM_400000_NS6detail44device_merge_sort_compile_time_verifier_archINS1_11comp_targetILNS1_3genE4ELNS1_11target_archE910ELNS1_3gpuE8ELNS1_3repE0EEES8_NS0_14default_configES9_NS1_37merge_sort_block_sort_config_selectorIiNS0_10empty_typeEEENS1_38merge_sort_block_merge_config_selectorIiSB_EEEEvv,comdat
.Lfunc_end413:
	.size	_ZN7rocprim17ROCPRIM_400000_NS6detail44device_merge_sort_compile_time_verifier_archINS1_11comp_targetILNS1_3genE4ELNS1_11target_archE910ELNS1_3gpuE8ELNS1_3repE0EEES8_NS0_14default_configES9_NS1_37merge_sort_block_sort_config_selectorIiNS0_10empty_typeEEENS1_38merge_sort_block_merge_config_selectorIiSB_EEEEvv, .Lfunc_end413-_ZN7rocprim17ROCPRIM_400000_NS6detail44device_merge_sort_compile_time_verifier_archINS1_11comp_targetILNS1_3genE4ELNS1_11target_archE910ELNS1_3gpuE8ELNS1_3repE0EEES8_NS0_14default_configES9_NS1_37merge_sort_block_sort_config_selectorIiNS0_10empty_typeEEENS1_38merge_sort_block_merge_config_selectorIiSB_EEEEvv
                                        ; -- End function
	.set _ZN7rocprim17ROCPRIM_400000_NS6detail44device_merge_sort_compile_time_verifier_archINS1_11comp_targetILNS1_3genE4ELNS1_11target_archE910ELNS1_3gpuE8ELNS1_3repE0EEES8_NS0_14default_configES9_NS1_37merge_sort_block_sort_config_selectorIiNS0_10empty_typeEEENS1_38merge_sort_block_merge_config_selectorIiSB_EEEEvv.num_vgpr, 0
	.set _ZN7rocprim17ROCPRIM_400000_NS6detail44device_merge_sort_compile_time_verifier_archINS1_11comp_targetILNS1_3genE4ELNS1_11target_archE910ELNS1_3gpuE8ELNS1_3repE0EEES8_NS0_14default_configES9_NS1_37merge_sort_block_sort_config_selectorIiNS0_10empty_typeEEENS1_38merge_sort_block_merge_config_selectorIiSB_EEEEvv.num_agpr, 0
	.set _ZN7rocprim17ROCPRIM_400000_NS6detail44device_merge_sort_compile_time_verifier_archINS1_11comp_targetILNS1_3genE4ELNS1_11target_archE910ELNS1_3gpuE8ELNS1_3repE0EEES8_NS0_14default_configES9_NS1_37merge_sort_block_sort_config_selectorIiNS0_10empty_typeEEENS1_38merge_sort_block_merge_config_selectorIiSB_EEEEvv.numbered_sgpr, 0
	.set _ZN7rocprim17ROCPRIM_400000_NS6detail44device_merge_sort_compile_time_verifier_archINS1_11comp_targetILNS1_3genE4ELNS1_11target_archE910ELNS1_3gpuE8ELNS1_3repE0EEES8_NS0_14default_configES9_NS1_37merge_sort_block_sort_config_selectorIiNS0_10empty_typeEEENS1_38merge_sort_block_merge_config_selectorIiSB_EEEEvv.num_named_barrier, 0
	.set _ZN7rocprim17ROCPRIM_400000_NS6detail44device_merge_sort_compile_time_verifier_archINS1_11comp_targetILNS1_3genE4ELNS1_11target_archE910ELNS1_3gpuE8ELNS1_3repE0EEES8_NS0_14default_configES9_NS1_37merge_sort_block_sort_config_selectorIiNS0_10empty_typeEEENS1_38merge_sort_block_merge_config_selectorIiSB_EEEEvv.private_seg_size, 0
	.set _ZN7rocprim17ROCPRIM_400000_NS6detail44device_merge_sort_compile_time_verifier_archINS1_11comp_targetILNS1_3genE4ELNS1_11target_archE910ELNS1_3gpuE8ELNS1_3repE0EEES8_NS0_14default_configES9_NS1_37merge_sort_block_sort_config_selectorIiNS0_10empty_typeEEENS1_38merge_sort_block_merge_config_selectorIiSB_EEEEvv.uses_vcc, 0
	.set _ZN7rocprim17ROCPRIM_400000_NS6detail44device_merge_sort_compile_time_verifier_archINS1_11comp_targetILNS1_3genE4ELNS1_11target_archE910ELNS1_3gpuE8ELNS1_3repE0EEES8_NS0_14default_configES9_NS1_37merge_sort_block_sort_config_selectorIiNS0_10empty_typeEEENS1_38merge_sort_block_merge_config_selectorIiSB_EEEEvv.uses_flat_scratch, 0
	.set _ZN7rocprim17ROCPRIM_400000_NS6detail44device_merge_sort_compile_time_verifier_archINS1_11comp_targetILNS1_3genE4ELNS1_11target_archE910ELNS1_3gpuE8ELNS1_3repE0EEES8_NS0_14default_configES9_NS1_37merge_sort_block_sort_config_selectorIiNS0_10empty_typeEEENS1_38merge_sort_block_merge_config_selectorIiSB_EEEEvv.has_dyn_sized_stack, 0
	.set _ZN7rocprim17ROCPRIM_400000_NS6detail44device_merge_sort_compile_time_verifier_archINS1_11comp_targetILNS1_3genE4ELNS1_11target_archE910ELNS1_3gpuE8ELNS1_3repE0EEES8_NS0_14default_configES9_NS1_37merge_sort_block_sort_config_selectorIiNS0_10empty_typeEEENS1_38merge_sort_block_merge_config_selectorIiSB_EEEEvv.has_recursion, 0
	.set _ZN7rocprim17ROCPRIM_400000_NS6detail44device_merge_sort_compile_time_verifier_archINS1_11comp_targetILNS1_3genE4ELNS1_11target_archE910ELNS1_3gpuE8ELNS1_3repE0EEES8_NS0_14default_configES9_NS1_37merge_sort_block_sort_config_selectorIiNS0_10empty_typeEEENS1_38merge_sort_block_merge_config_selectorIiSB_EEEEvv.has_indirect_call, 0
	.section	.AMDGPU.csdata,"",@progbits
; Kernel info:
; codeLenInByte = 4
; TotalNumSgprs: 0
; NumVgprs: 0
; ScratchSize: 0
; MemoryBound: 0
; FloatMode: 240
; IeeeMode: 1
; LDSByteSize: 0 bytes/workgroup (compile time only)
; SGPRBlocks: 0
; VGPRBlocks: 0
; NumSGPRsForWavesPerEU: 1
; NumVGPRsForWavesPerEU: 1
; Occupancy: 16
; WaveLimiterHint : 0
; COMPUTE_PGM_RSRC2:SCRATCH_EN: 0
; COMPUTE_PGM_RSRC2:USER_SGPR: 4
; COMPUTE_PGM_RSRC2:TRAP_HANDLER: 0
; COMPUTE_PGM_RSRC2:TGID_X_EN: 1
; COMPUTE_PGM_RSRC2:TGID_Y_EN: 0
; COMPUTE_PGM_RSRC2:TGID_Z_EN: 0
; COMPUTE_PGM_RSRC2:TIDIG_COMP_CNT: 0
	.section	.text._ZN7rocprim17ROCPRIM_400000_NS6detail44device_merge_sort_compile_time_verifier_archINS1_11comp_targetILNS1_3genE3ELNS1_11target_archE908ELNS1_3gpuE7ELNS1_3repE0EEES8_NS0_14default_configES9_NS1_37merge_sort_block_sort_config_selectorIiNS0_10empty_typeEEENS1_38merge_sort_block_merge_config_selectorIiSB_EEEEvv,"axG",@progbits,_ZN7rocprim17ROCPRIM_400000_NS6detail44device_merge_sort_compile_time_verifier_archINS1_11comp_targetILNS1_3genE3ELNS1_11target_archE908ELNS1_3gpuE7ELNS1_3repE0EEES8_NS0_14default_configES9_NS1_37merge_sort_block_sort_config_selectorIiNS0_10empty_typeEEENS1_38merge_sort_block_merge_config_selectorIiSB_EEEEvv,comdat
	.protected	_ZN7rocprim17ROCPRIM_400000_NS6detail44device_merge_sort_compile_time_verifier_archINS1_11comp_targetILNS1_3genE3ELNS1_11target_archE908ELNS1_3gpuE7ELNS1_3repE0EEES8_NS0_14default_configES9_NS1_37merge_sort_block_sort_config_selectorIiNS0_10empty_typeEEENS1_38merge_sort_block_merge_config_selectorIiSB_EEEEvv ; -- Begin function _ZN7rocprim17ROCPRIM_400000_NS6detail44device_merge_sort_compile_time_verifier_archINS1_11comp_targetILNS1_3genE3ELNS1_11target_archE908ELNS1_3gpuE7ELNS1_3repE0EEES8_NS0_14default_configES9_NS1_37merge_sort_block_sort_config_selectorIiNS0_10empty_typeEEENS1_38merge_sort_block_merge_config_selectorIiSB_EEEEvv
	.globl	_ZN7rocprim17ROCPRIM_400000_NS6detail44device_merge_sort_compile_time_verifier_archINS1_11comp_targetILNS1_3genE3ELNS1_11target_archE908ELNS1_3gpuE7ELNS1_3repE0EEES8_NS0_14default_configES9_NS1_37merge_sort_block_sort_config_selectorIiNS0_10empty_typeEEENS1_38merge_sort_block_merge_config_selectorIiSB_EEEEvv
	.p2align	8
	.type	_ZN7rocprim17ROCPRIM_400000_NS6detail44device_merge_sort_compile_time_verifier_archINS1_11comp_targetILNS1_3genE3ELNS1_11target_archE908ELNS1_3gpuE7ELNS1_3repE0EEES8_NS0_14default_configES9_NS1_37merge_sort_block_sort_config_selectorIiNS0_10empty_typeEEENS1_38merge_sort_block_merge_config_selectorIiSB_EEEEvv,@function
_ZN7rocprim17ROCPRIM_400000_NS6detail44device_merge_sort_compile_time_verifier_archINS1_11comp_targetILNS1_3genE3ELNS1_11target_archE908ELNS1_3gpuE7ELNS1_3repE0EEES8_NS0_14default_configES9_NS1_37merge_sort_block_sort_config_selectorIiNS0_10empty_typeEEENS1_38merge_sort_block_merge_config_selectorIiSB_EEEEvv: ; @_ZN7rocprim17ROCPRIM_400000_NS6detail44device_merge_sort_compile_time_verifier_archINS1_11comp_targetILNS1_3genE3ELNS1_11target_archE908ELNS1_3gpuE7ELNS1_3repE0EEES8_NS0_14default_configES9_NS1_37merge_sort_block_sort_config_selectorIiNS0_10empty_typeEEENS1_38merge_sort_block_merge_config_selectorIiSB_EEEEvv
; %bb.0:
	s_endpgm
	.section	.rodata,"a",@progbits
	.p2align	6, 0x0
	.amdhsa_kernel _ZN7rocprim17ROCPRIM_400000_NS6detail44device_merge_sort_compile_time_verifier_archINS1_11comp_targetILNS1_3genE3ELNS1_11target_archE908ELNS1_3gpuE7ELNS1_3repE0EEES8_NS0_14default_configES9_NS1_37merge_sort_block_sort_config_selectorIiNS0_10empty_typeEEENS1_38merge_sort_block_merge_config_selectorIiSB_EEEEvv
		.amdhsa_group_segment_fixed_size 0
		.amdhsa_private_segment_fixed_size 0
		.amdhsa_kernarg_size 0
		.amdhsa_user_sgpr_count 4
		.amdhsa_user_sgpr_private_segment_buffer 1
		.amdhsa_user_sgpr_dispatch_ptr 0
		.amdhsa_user_sgpr_queue_ptr 0
		.amdhsa_user_sgpr_kernarg_segment_ptr 0
		.amdhsa_user_sgpr_dispatch_id 0
		.amdhsa_user_sgpr_flat_scratch_init 0
		.amdhsa_user_sgpr_private_segment_size 0
		.amdhsa_wavefront_size32 1
		.amdhsa_uses_dynamic_stack 0
		.amdhsa_system_sgpr_private_segment_wavefront_offset 0
		.amdhsa_system_sgpr_workgroup_id_x 1
		.amdhsa_system_sgpr_workgroup_id_y 0
		.amdhsa_system_sgpr_workgroup_id_z 0
		.amdhsa_system_sgpr_workgroup_info 0
		.amdhsa_system_vgpr_workitem_id 0
		.amdhsa_next_free_vgpr 1
		.amdhsa_next_free_sgpr 1
		.amdhsa_reserve_vcc 0
		.amdhsa_reserve_flat_scratch 0
		.amdhsa_float_round_mode_32 0
		.amdhsa_float_round_mode_16_64 0
		.amdhsa_float_denorm_mode_32 3
		.amdhsa_float_denorm_mode_16_64 3
		.amdhsa_dx10_clamp 1
		.amdhsa_ieee_mode 1
		.amdhsa_fp16_overflow 0
		.amdhsa_workgroup_processor_mode 1
		.amdhsa_memory_ordered 1
		.amdhsa_forward_progress 1
		.amdhsa_shared_vgpr_count 0
		.amdhsa_exception_fp_ieee_invalid_op 0
		.amdhsa_exception_fp_denorm_src 0
		.amdhsa_exception_fp_ieee_div_zero 0
		.amdhsa_exception_fp_ieee_overflow 0
		.amdhsa_exception_fp_ieee_underflow 0
		.amdhsa_exception_fp_ieee_inexact 0
		.amdhsa_exception_int_div_zero 0
	.end_amdhsa_kernel
	.section	.text._ZN7rocprim17ROCPRIM_400000_NS6detail44device_merge_sort_compile_time_verifier_archINS1_11comp_targetILNS1_3genE3ELNS1_11target_archE908ELNS1_3gpuE7ELNS1_3repE0EEES8_NS0_14default_configES9_NS1_37merge_sort_block_sort_config_selectorIiNS0_10empty_typeEEENS1_38merge_sort_block_merge_config_selectorIiSB_EEEEvv,"axG",@progbits,_ZN7rocprim17ROCPRIM_400000_NS6detail44device_merge_sort_compile_time_verifier_archINS1_11comp_targetILNS1_3genE3ELNS1_11target_archE908ELNS1_3gpuE7ELNS1_3repE0EEES8_NS0_14default_configES9_NS1_37merge_sort_block_sort_config_selectorIiNS0_10empty_typeEEENS1_38merge_sort_block_merge_config_selectorIiSB_EEEEvv,comdat
.Lfunc_end414:
	.size	_ZN7rocprim17ROCPRIM_400000_NS6detail44device_merge_sort_compile_time_verifier_archINS1_11comp_targetILNS1_3genE3ELNS1_11target_archE908ELNS1_3gpuE7ELNS1_3repE0EEES8_NS0_14default_configES9_NS1_37merge_sort_block_sort_config_selectorIiNS0_10empty_typeEEENS1_38merge_sort_block_merge_config_selectorIiSB_EEEEvv, .Lfunc_end414-_ZN7rocprim17ROCPRIM_400000_NS6detail44device_merge_sort_compile_time_verifier_archINS1_11comp_targetILNS1_3genE3ELNS1_11target_archE908ELNS1_3gpuE7ELNS1_3repE0EEES8_NS0_14default_configES9_NS1_37merge_sort_block_sort_config_selectorIiNS0_10empty_typeEEENS1_38merge_sort_block_merge_config_selectorIiSB_EEEEvv
                                        ; -- End function
	.set _ZN7rocprim17ROCPRIM_400000_NS6detail44device_merge_sort_compile_time_verifier_archINS1_11comp_targetILNS1_3genE3ELNS1_11target_archE908ELNS1_3gpuE7ELNS1_3repE0EEES8_NS0_14default_configES9_NS1_37merge_sort_block_sort_config_selectorIiNS0_10empty_typeEEENS1_38merge_sort_block_merge_config_selectorIiSB_EEEEvv.num_vgpr, 0
	.set _ZN7rocprim17ROCPRIM_400000_NS6detail44device_merge_sort_compile_time_verifier_archINS1_11comp_targetILNS1_3genE3ELNS1_11target_archE908ELNS1_3gpuE7ELNS1_3repE0EEES8_NS0_14default_configES9_NS1_37merge_sort_block_sort_config_selectorIiNS0_10empty_typeEEENS1_38merge_sort_block_merge_config_selectorIiSB_EEEEvv.num_agpr, 0
	.set _ZN7rocprim17ROCPRIM_400000_NS6detail44device_merge_sort_compile_time_verifier_archINS1_11comp_targetILNS1_3genE3ELNS1_11target_archE908ELNS1_3gpuE7ELNS1_3repE0EEES8_NS0_14default_configES9_NS1_37merge_sort_block_sort_config_selectorIiNS0_10empty_typeEEENS1_38merge_sort_block_merge_config_selectorIiSB_EEEEvv.numbered_sgpr, 0
	.set _ZN7rocprim17ROCPRIM_400000_NS6detail44device_merge_sort_compile_time_verifier_archINS1_11comp_targetILNS1_3genE3ELNS1_11target_archE908ELNS1_3gpuE7ELNS1_3repE0EEES8_NS0_14default_configES9_NS1_37merge_sort_block_sort_config_selectorIiNS0_10empty_typeEEENS1_38merge_sort_block_merge_config_selectorIiSB_EEEEvv.num_named_barrier, 0
	.set _ZN7rocprim17ROCPRIM_400000_NS6detail44device_merge_sort_compile_time_verifier_archINS1_11comp_targetILNS1_3genE3ELNS1_11target_archE908ELNS1_3gpuE7ELNS1_3repE0EEES8_NS0_14default_configES9_NS1_37merge_sort_block_sort_config_selectorIiNS0_10empty_typeEEENS1_38merge_sort_block_merge_config_selectorIiSB_EEEEvv.private_seg_size, 0
	.set _ZN7rocprim17ROCPRIM_400000_NS6detail44device_merge_sort_compile_time_verifier_archINS1_11comp_targetILNS1_3genE3ELNS1_11target_archE908ELNS1_3gpuE7ELNS1_3repE0EEES8_NS0_14default_configES9_NS1_37merge_sort_block_sort_config_selectorIiNS0_10empty_typeEEENS1_38merge_sort_block_merge_config_selectorIiSB_EEEEvv.uses_vcc, 0
	.set _ZN7rocprim17ROCPRIM_400000_NS6detail44device_merge_sort_compile_time_verifier_archINS1_11comp_targetILNS1_3genE3ELNS1_11target_archE908ELNS1_3gpuE7ELNS1_3repE0EEES8_NS0_14default_configES9_NS1_37merge_sort_block_sort_config_selectorIiNS0_10empty_typeEEENS1_38merge_sort_block_merge_config_selectorIiSB_EEEEvv.uses_flat_scratch, 0
	.set _ZN7rocprim17ROCPRIM_400000_NS6detail44device_merge_sort_compile_time_verifier_archINS1_11comp_targetILNS1_3genE3ELNS1_11target_archE908ELNS1_3gpuE7ELNS1_3repE0EEES8_NS0_14default_configES9_NS1_37merge_sort_block_sort_config_selectorIiNS0_10empty_typeEEENS1_38merge_sort_block_merge_config_selectorIiSB_EEEEvv.has_dyn_sized_stack, 0
	.set _ZN7rocprim17ROCPRIM_400000_NS6detail44device_merge_sort_compile_time_verifier_archINS1_11comp_targetILNS1_3genE3ELNS1_11target_archE908ELNS1_3gpuE7ELNS1_3repE0EEES8_NS0_14default_configES9_NS1_37merge_sort_block_sort_config_selectorIiNS0_10empty_typeEEENS1_38merge_sort_block_merge_config_selectorIiSB_EEEEvv.has_recursion, 0
	.set _ZN7rocprim17ROCPRIM_400000_NS6detail44device_merge_sort_compile_time_verifier_archINS1_11comp_targetILNS1_3genE3ELNS1_11target_archE908ELNS1_3gpuE7ELNS1_3repE0EEES8_NS0_14default_configES9_NS1_37merge_sort_block_sort_config_selectorIiNS0_10empty_typeEEENS1_38merge_sort_block_merge_config_selectorIiSB_EEEEvv.has_indirect_call, 0
	.section	.AMDGPU.csdata,"",@progbits
; Kernel info:
; codeLenInByte = 4
; TotalNumSgprs: 0
; NumVgprs: 0
; ScratchSize: 0
; MemoryBound: 0
; FloatMode: 240
; IeeeMode: 1
; LDSByteSize: 0 bytes/workgroup (compile time only)
; SGPRBlocks: 0
; VGPRBlocks: 0
; NumSGPRsForWavesPerEU: 1
; NumVGPRsForWavesPerEU: 1
; Occupancy: 16
; WaveLimiterHint : 0
; COMPUTE_PGM_RSRC2:SCRATCH_EN: 0
; COMPUTE_PGM_RSRC2:USER_SGPR: 4
; COMPUTE_PGM_RSRC2:TRAP_HANDLER: 0
; COMPUTE_PGM_RSRC2:TGID_X_EN: 1
; COMPUTE_PGM_RSRC2:TGID_Y_EN: 0
; COMPUTE_PGM_RSRC2:TGID_Z_EN: 0
; COMPUTE_PGM_RSRC2:TIDIG_COMP_CNT: 0
	.section	.text._ZN7rocprim17ROCPRIM_400000_NS6detail44device_merge_sort_compile_time_verifier_archINS1_11comp_targetILNS1_3genE2ELNS1_11target_archE906ELNS1_3gpuE6ELNS1_3repE0EEES8_NS0_14default_configES9_NS1_37merge_sort_block_sort_config_selectorIiNS0_10empty_typeEEENS1_38merge_sort_block_merge_config_selectorIiSB_EEEEvv,"axG",@progbits,_ZN7rocprim17ROCPRIM_400000_NS6detail44device_merge_sort_compile_time_verifier_archINS1_11comp_targetILNS1_3genE2ELNS1_11target_archE906ELNS1_3gpuE6ELNS1_3repE0EEES8_NS0_14default_configES9_NS1_37merge_sort_block_sort_config_selectorIiNS0_10empty_typeEEENS1_38merge_sort_block_merge_config_selectorIiSB_EEEEvv,comdat
	.protected	_ZN7rocprim17ROCPRIM_400000_NS6detail44device_merge_sort_compile_time_verifier_archINS1_11comp_targetILNS1_3genE2ELNS1_11target_archE906ELNS1_3gpuE6ELNS1_3repE0EEES8_NS0_14default_configES9_NS1_37merge_sort_block_sort_config_selectorIiNS0_10empty_typeEEENS1_38merge_sort_block_merge_config_selectorIiSB_EEEEvv ; -- Begin function _ZN7rocprim17ROCPRIM_400000_NS6detail44device_merge_sort_compile_time_verifier_archINS1_11comp_targetILNS1_3genE2ELNS1_11target_archE906ELNS1_3gpuE6ELNS1_3repE0EEES8_NS0_14default_configES9_NS1_37merge_sort_block_sort_config_selectorIiNS0_10empty_typeEEENS1_38merge_sort_block_merge_config_selectorIiSB_EEEEvv
	.globl	_ZN7rocprim17ROCPRIM_400000_NS6detail44device_merge_sort_compile_time_verifier_archINS1_11comp_targetILNS1_3genE2ELNS1_11target_archE906ELNS1_3gpuE6ELNS1_3repE0EEES8_NS0_14default_configES9_NS1_37merge_sort_block_sort_config_selectorIiNS0_10empty_typeEEENS1_38merge_sort_block_merge_config_selectorIiSB_EEEEvv
	.p2align	8
	.type	_ZN7rocprim17ROCPRIM_400000_NS6detail44device_merge_sort_compile_time_verifier_archINS1_11comp_targetILNS1_3genE2ELNS1_11target_archE906ELNS1_3gpuE6ELNS1_3repE0EEES8_NS0_14default_configES9_NS1_37merge_sort_block_sort_config_selectorIiNS0_10empty_typeEEENS1_38merge_sort_block_merge_config_selectorIiSB_EEEEvv,@function
_ZN7rocprim17ROCPRIM_400000_NS6detail44device_merge_sort_compile_time_verifier_archINS1_11comp_targetILNS1_3genE2ELNS1_11target_archE906ELNS1_3gpuE6ELNS1_3repE0EEES8_NS0_14default_configES9_NS1_37merge_sort_block_sort_config_selectorIiNS0_10empty_typeEEENS1_38merge_sort_block_merge_config_selectorIiSB_EEEEvv: ; @_ZN7rocprim17ROCPRIM_400000_NS6detail44device_merge_sort_compile_time_verifier_archINS1_11comp_targetILNS1_3genE2ELNS1_11target_archE906ELNS1_3gpuE6ELNS1_3repE0EEES8_NS0_14default_configES9_NS1_37merge_sort_block_sort_config_selectorIiNS0_10empty_typeEEENS1_38merge_sort_block_merge_config_selectorIiSB_EEEEvv
; %bb.0:
	s_endpgm
	.section	.rodata,"a",@progbits
	.p2align	6, 0x0
	.amdhsa_kernel _ZN7rocprim17ROCPRIM_400000_NS6detail44device_merge_sort_compile_time_verifier_archINS1_11comp_targetILNS1_3genE2ELNS1_11target_archE906ELNS1_3gpuE6ELNS1_3repE0EEES8_NS0_14default_configES9_NS1_37merge_sort_block_sort_config_selectorIiNS0_10empty_typeEEENS1_38merge_sort_block_merge_config_selectorIiSB_EEEEvv
		.amdhsa_group_segment_fixed_size 0
		.amdhsa_private_segment_fixed_size 0
		.amdhsa_kernarg_size 0
		.amdhsa_user_sgpr_count 4
		.amdhsa_user_sgpr_private_segment_buffer 1
		.amdhsa_user_sgpr_dispatch_ptr 0
		.amdhsa_user_sgpr_queue_ptr 0
		.amdhsa_user_sgpr_kernarg_segment_ptr 0
		.amdhsa_user_sgpr_dispatch_id 0
		.amdhsa_user_sgpr_flat_scratch_init 0
		.amdhsa_user_sgpr_private_segment_size 0
		.amdhsa_wavefront_size32 1
		.amdhsa_uses_dynamic_stack 0
		.amdhsa_system_sgpr_private_segment_wavefront_offset 0
		.amdhsa_system_sgpr_workgroup_id_x 1
		.amdhsa_system_sgpr_workgroup_id_y 0
		.amdhsa_system_sgpr_workgroup_id_z 0
		.amdhsa_system_sgpr_workgroup_info 0
		.amdhsa_system_vgpr_workitem_id 0
		.amdhsa_next_free_vgpr 1
		.amdhsa_next_free_sgpr 1
		.amdhsa_reserve_vcc 0
		.amdhsa_reserve_flat_scratch 0
		.amdhsa_float_round_mode_32 0
		.amdhsa_float_round_mode_16_64 0
		.amdhsa_float_denorm_mode_32 3
		.amdhsa_float_denorm_mode_16_64 3
		.amdhsa_dx10_clamp 1
		.amdhsa_ieee_mode 1
		.amdhsa_fp16_overflow 0
		.amdhsa_workgroup_processor_mode 1
		.amdhsa_memory_ordered 1
		.amdhsa_forward_progress 1
		.amdhsa_shared_vgpr_count 0
		.amdhsa_exception_fp_ieee_invalid_op 0
		.amdhsa_exception_fp_denorm_src 0
		.amdhsa_exception_fp_ieee_div_zero 0
		.amdhsa_exception_fp_ieee_overflow 0
		.amdhsa_exception_fp_ieee_underflow 0
		.amdhsa_exception_fp_ieee_inexact 0
		.amdhsa_exception_int_div_zero 0
	.end_amdhsa_kernel
	.section	.text._ZN7rocprim17ROCPRIM_400000_NS6detail44device_merge_sort_compile_time_verifier_archINS1_11comp_targetILNS1_3genE2ELNS1_11target_archE906ELNS1_3gpuE6ELNS1_3repE0EEES8_NS0_14default_configES9_NS1_37merge_sort_block_sort_config_selectorIiNS0_10empty_typeEEENS1_38merge_sort_block_merge_config_selectorIiSB_EEEEvv,"axG",@progbits,_ZN7rocprim17ROCPRIM_400000_NS6detail44device_merge_sort_compile_time_verifier_archINS1_11comp_targetILNS1_3genE2ELNS1_11target_archE906ELNS1_3gpuE6ELNS1_3repE0EEES8_NS0_14default_configES9_NS1_37merge_sort_block_sort_config_selectorIiNS0_10empty_typeEEENS1_38merge_sort_block_merge_config_selectorIiSB_EEEEvv,comdat
.Lfunc_end415:
	.size	_ZN7rocprim17ROCPRIM_400000_NS6detail44device_merge_sort_compile_time_verifier_archINS1_11comp_targetILNS1_3genE2ELNS1_11target_archE906ELNS1_3gpuE6ELNS1_3repE0EEES8_NS0_14default_configES9_NS1_37merge_sort_block_sort_config_selectorIiNS0_10empty_typeEEENS1_38merge_sort_block_merge_config_selectorIiSB_EEEEvv, .Lfunc_end415-_ZN7rocprim17ROCPRIM_400000_NS6detail44device_merge_sort_compile_time_verifier_archINS1_11comp_targetILNS1_3genE2ELNS1_11target_archE906ELNS1_3gpuE6ELNS1_3repE0EEES8_NS0_14default_configES9_NS1_37merge_sort_block_sort_config_selectorIiNS0_10empty_typeEEENS1_38merge_sort_block_merge_config_selectorIiSB_EEEEvv
                                        ; -- End function
	.set _ZN7rocprim17ROCPRIM_400000_NS6detail44device_merge_sort_compile_time_verifier_archINS1_11comp_targetILNS1_3genE2ELNS1_11target_archE906ELNS1_3gpuE6ELNS1_3repE0EEES8_NS0_14default_configES9_NS1_37merge_sort_block_sort_config_selectorIiNS0_10empty_typeEEENS1_38merge_sort_block_merge_config_selectorIiSB_EEEEvv.num_vgpr, 0
	.set _ZN7rocprim17ROCPRIM_400000_NS6detail44device_merge_sort_compile_time_verifier_archINS1_11comp_targetILNS1_3genE2ELNS1_11target_archE906ELNS1_3gpuE6ELNS1_3repE0EEES8_NS0_14default_configES9_NS1_37merge_sort_block_sort_config_selectorIiNS0_10empty_typeEEENS1_38merge_sort_block_merge_config_selectorIiSB_EEEEvv.num_agpr, 0
	.set _ZN7rocprim17ROCPRIM_400000_NS6detail44device_merge_sort_compile_time_verifier_archINS1_11comp_targetILNS1_3genE2ELNS1_11target_archE906ELNS1_3gpuE6ELNS1_3repE0EEES8_NS0_14default_configES9_NS1_37merge_sort_block_sort_config_selectorIiNS0_10empty_typeEEENS1_38merge_sort_block_merge_config_selectorIiSB_EEEEvv.numbered_sgpr, 0
	.set _ZN7rocprim17ROCPRIM_400000_NS6detail44device_merge_sort_compile_time_verifier_archINS1_11comp_targetILNS1_3genE2ELNS1_11target_archE906ELNS1_3gpuE6ELNS1_3repE0EEES8_NS0_14default_configES9_NS1_37merge_sort_block_sort_config_selectorIiNS0_10empty_typeEEENS1_38merge_sort_block_merge_config_selectorIiSB_EEEEvv.num_named_barrier, 0
	.set _ZN7rocprim17ROCPRIM_400000_NS6detail44device_merge_sort_compile_time_verifier_archINS1_11comp_targetILNS1_3genE2ELNS1_11target_archE906ELNS1_3gpuE6ELNS1_3repE0EEES8_NS0_14default_configES9_NS1_37merge_sort_block_sort_config_selectorIiNS0_10empty_typeEEENS1_38merge_sort_block_merge_config_selectorIiSB_EEEEvv.private_seg_size, 0
	.set _ZN7rocprim17ROCPRIM_400000_NS6detail44device_merge_sort_compile_time_verifier_archINS1_11comp_targetILNS1_3genE2ELNS1_11target_archE906ELNS1_3gpuE6ELNS1_3repE0EEES8_NS0_14default_configES9_NS1_37merge_sort_block_sort_config_selectorIiNS0_10empty_typeEEENS1_38merge_sort_block_merge_config_selectorIiSB_EEEEvv.uses_vcc, 0
	.set _ZN7rocprim17ROCPRIM_400000_NS6detail44device_merge_sort_compile_time_verifier_archINS1_11comp_targetILNS1_3genE2ELNS1_11target_archE906ELNS1_3gpuE6ELNS1_3repE0EEES8_NS0_14default_configES9_NS1_37merge_sort_block_sort_config_selectorIiNS0_10empty_typeEEENS1_38merge_sort_block_merge_config_selectorIiSB_EEEEvv.uses_flat_scratch, 0
	.set _ZN7rocprim17ROCPRIM_400000_NS6detail44device_merge_sort_compile_time_verifier_archINS1_11comp_targetILNS1_3genE2ELNS1_11target_archE906ELNS1_3gpuE6ELNS1_3repE0EEES8_NS0_14default_configES9_NS1_37merge_sort_block_sort_config_selectorIiNS0_10empty_typeEEENS1_38merge_sort_block_merge_config_selectorIiSB_EEEEvv.has_dyn_sized_stack, 0
	.set _ZN7rocprim17ROCPRIM_400000_NS6detail44device_merge_sort_compile_time_verifier_archINS1_11comp_targetILNS1_3genE2ELNS1_11target_archE906ELNS1_3gpuE6ELNS1_3repE0EEES8_NS0_14default_configES9_NS1_37merge_sort_block_sort_config_selectorIiNS0_10empty_typeEEENS1_38merge_sort_block_merge_config_selectorIiSB_EEEEvv.has_recursion, 0
	.set _ZN7rocprim17ROCPRIM_400000_NS6detail44device_merge_sort_compile_time_verifier_archINS1_11comp_targetILNS1_3genE2ELNS1_11target_archE906ELNS1_3gpuE6ELNS1_3repE0EEES8_NS0_14default_configES9_NS1_37merge_sort_block_sort_config_selectorIiNS0_10empty_typeEEENS1_38merge_sort_block_merge_config_selectorIiSB_EEEEvv.has_indirect_call, 0
	.section	.AMDGPU.csdata,"",@progbits
; Kernel info:
; codeLenInByte = 4
; TotalNumSgprs: 0
; NumVgprs: 0
; ScratchSize: 0
; MemoryBound: 0
; FloatMode: 240
; IeeeMode: 1
; LDSByteSize: 0 bytes/workgroup (compile time only)
; SGPRBlocks: 0
; VGPRBlocks: 0
; NumSGPRsForWavesPerEU: 1
; NumVGPRsForWavesPerEU: 1
; Occupancy: 16
; WaveLimiterHint : 0
; COMPUTE_PGM_RSRC2:SCRATCH_EN: 0
; COMPUTE_PGM_RSRC2:USER_SGPR: 4
; COMPUTE_PGM_RSRC2:TRAP_HANDLER: 0
; COMPUTE_PGM_RSRC2:TGID_X_EN: 1
; COMPUTE_PGM_RSRC2:TGID_Y_EN: 0
; COMPUTE_PGM_RSRC2:TGID_Z_EN: 0
; COMPUTE_PGM_RSRC2:TIDIG_COMP_CNT: 0
	.section	.text._ZN7rocprim17ROCPRIM_400000_NS6detail44device_merge_sort_compile_time_verifier_archINS1_11comp_targetILNS1_3genE10ELNS1_11target_archE1201ELNS1_3gpuE5ELNS1_3repE0EEES8_NS0_14default_configES9_NS1_37merge_sort_block_sort_config_selectorIiNS0_10empty_typeEEENS1_38merge_sort_block_merge_config_selectorIiSB_EEEEvv,"axG",@progbits,_ZN7rocprim17ROCPRIM_400000_NS6detail44device_merge_sort_compile_time_verifier_archINS1_11comp_targetILNS1_3genE10ELNS1_11target_archE1201ELNS1_3gpuE5ELNS1_3repE0EEES8_NS0_14default_configES9_NS1_37merge_sort_block_sort_config_selectorIiNS0_10empty_typeEEENS1_38merge_sort_block_merge_config_selectorIiSB_EEEEvv,comdat
	.protected	_ZN7rocprim17ROCPRIM_400000_NS6detail44device_merge_sort_compile_time_verifier_archINS1_11comp_targetILNS1_3genE10ELNS1_11target_archE1201ELNS1_3gpuE5ELNS1_3repE0EEES8_NS0_14default_configES9_NS1_37merge_sort_block_sort_config_selectorIiNS0_10empty_typeEEENS1_38merge_sort_block_merge_config_selectorIiSB_EEEEvv ; -- Begin function _ZN7rocprim17ROCPRIM_400000_NS6detail44device_merge_sort_compile_time_verifier_archINS1_11comp_targetILNS1_3genE10ELNS1_11target_archE1201ELNS1_3gpuE5ELNS1_3repE0EEES8_NS0_14default_configES9_NS1_37merge_sort_block_sort_config_selectorIiNS0_10empty_typeEEENS1_38merge_sort_block_merge_config_selectorIiSB_EEEEvv
	.globl	_ZN7rocprim17ROCPRIM_400000_NS6detail44device_merge_sort_compile_time_verifier_archINS1_11comp_targetILNS1_3genE10ELNS1_11target_archE1201ELNS1_3gpuE5ELNS1_3repE0EEES8_NS0_14default_configES9_NS1_37merge_sort_block_sort_config_selectorIiNS0_10empty_typeEEENS1_38merge_sort_block_merge_config_selectorIiSB_EEEEvv
	.p2align	8
	.type	_ZN7rocprim17ROCPRIM_400000_NS6detail44device_merge_sort_compile_time_verifier_archINS1_11comp_targetILNS1_3genE10ELNS1_11target_archE1201ELNS1_3gpuE5ELNS1_3repE0EEES8_NS0_14default_configES9_NS1_37merge_sort_block_sort_config_selectorIiNS0_10empty_typeEEENS1_38merge_sort_block_merge_config_selectorIiSB_EEEEvv,@function
_ZN7rocprim17ROCPRIM_400000_NS6detail44device_merge_sort_compile_time_verifier_archINS1_11comp_targetILNS1_3genE10ELNS1_11target_archE1201ELNS1_3gpuE5ELNS1_3repE0EEES8_NS0_14default_configES9_NS1_37merge_sort_block_sort_config_selectorIiNS0_10empty_typeEEENS1_38merge_sort_block_merge_config_selectorIiSB_EEEEvv: ; @_ZN7rocprim17ROCPRIM_400000_NS6detail44device_merge_sort_compile_time_verifier_archINS1_11comp_targetILNS1_3genE10ELNS1_11target_archE1201ELNS1_3gpuE5ELNS1_3repE0EEES8_NS0_14default_configES9_NS1_37merge_sort_block_sort_config_selectorIiNS0_10empty_typeEEENS1_38merge_sort_block_merge_config_selectorIiSB_EEEEvv
; %bb.0:
	s_endpgm
	.section	.rodata,"a",@progbits
	.p2align	6, 0x0
	.amdhsa_kernel _ZN7rocprim17ROCPRIM_400000_NS6detail44device_merge_sort_compile_time_verifier_archINS1_11comp_targetILNS1_3genE10ELNS1_11target_archE1201ELNS1_3gpuE5ELNS1_3repE0EEES8_NS0_14default_configES9_NS1_37merge_sort_block_sort_config_selectorIiNS0_10empty_typeEEENS1_38merge_sort_block_merge_config_selectorIiSB_EEEEvv
		.amdhsa_group_segment_fixed_size 0
		.amdhsa_private_segment_fixed_size 0
		.amdhsa_kernarg_size 0
		.amdhsa_user_sgpr_count 4
		.amdhsa_user_sgpr_private_segment_buffer 1
		.amdhsa_user_sgpr_dispatch_ptr 0
		.amdhsa_user_sgpr_queue_ptr 0
		.amdhsa_user_sgpr_kernarg_segment_ptr 0
		.amdhsa_user_sgpr_dispatch_id 0
		.amdhsa_user_sgpr_flat_scratch_init 0
		.amdhsa_user_sgpr_private_segment_size 0
		.amdhsa_wavefront_size32 1
		.amdhsa_uses_dynamic_stack 0
		.amdhsa_system_sgpr_private_segment_wavefront_offset 0
		.amdhsa_system_sgpr_workgroup_id_x 1
		.amdhsa_system_sgpr_workgroup_id_y 0
		.amdhsa_system_sgpr_workgroup_id_z 0
		.amdhsa_system_sgpr_workgroup_info 0
		.amdhsa_system_vgpr_workitem_id 0
		.amdhsa_next_free_vgpr 1
		.amdhsa_next_free_sgpr 1
		.amdhsa_reserve_vcc 0
		.amdhsa_reserve_flat_scratch 0
		.amdhsa_float_round_mode_32 0
		.amdhsa_float_round_mode_16_64 0
		.amdhsa_float_denorm_mode_32 3
		.amdhsa_float_denorm_mode_16_64 3
		.amdhsa_dx10_clamp 1
		.amdhsa_ieee_mode 1
		.amdhsa_fp16_overflow 0
		.amdhsa_workgroup_processor_mode 1
		.amdhsa_memory_ordered 1
		.amdhsa_forward_progress 1
		.amdhsa_shared_vgpr_count 0
		.amdhsa_exception_fp_ieee_invalid_op 0
		.amdhsa_exception_fp_denorm_src 0
		.amdhsa_exception_fp_ieee_div_zero 0
		.amdhsa_exception_fp_ieee_overflow 0
		.amdhsa_exception_fp_ieee_underflow 0
		.amdhsa_exception_fp_ieee_inexact 0
		.amdhsa_exception_int_div_zero 0
	.end_amdhsa_kernel
	.section	.text._ZN7rocprim17ROCPRIM_400000_NS6detail44device_merge_sort_compile_time_verifier_archINS1_11comp_targetILNS1_3genE10ELNS1_11target_archE1201ELNS1_3gpuE5ELNS1_3repE0EEES8_NS0_14default_configES9_NS1_37merge_sort_block_sort_config_selectorIiNS0_10empty_typeEEENS1_38merge_sort_block_merge_config_selectorIiSB_EEEEvv,"axG",@progbits,_ZN7rocprim17ROCPRIM_400000_NS6detail44device_merge_sort_compile_time_verifier_archINS1_11comp_targetILNS1_3genE10ELNS1_11target_archE1201ELNS1_3gpuE5ELNS1_3repE0EEES8_NS0_14default_configES9_NS1_37merge_sort_block_sort_config_selectorIiNS0_10empty_typeEEENS1_38merge_sort_block_merge_config_selectorIiSB_EEEEvv,comdat
.Lfunc_end416:
	.size	_ZN7rocprim17ROCPRIM_400000_NS6detail44device_merge_sort_compile_time_verifier_archINS1_11comp_targetILNS1_3genE10ELNS1_11target_archE1201ELNS1_3gpuE5ELNS1_3repE0EEES8_NS0_14default_configES9_NS1_37merge_sort_block_sort_config_selectorIiNS0_10empty_typeEEENS1_38merge_sort_block_merge_config_selectorIiSB_EEEEvv, .Lfunc_end416-_ZN7rocprim17ROCPRIM_400000_NS6detail44device_merge_sort_compile_time_verifier_archINS1_11comp_targetILNS1_3genE10ELNS1_11target_archE1201ELNS1_3gpuE5ELNS1_3repE0EEES8_NS0_14default_configES9_NS1_37merge_sort_block_sort_config_selectorIiNS0_10empty_typeEEENS1_38merge_sort_block_merge_config_selectorIiSB_EEEEvv
                                        ; -- End function
	.set _ZN7rocprim17ROCPRIM_400000_NS6detail44device_merge_sort_compile_time_verifier_archINS1_11comp_targetILNS1_3genE10ELNS1_11target_archE1201ELNS1_3gpuE5ELNS1_3repE0EEES8_NS0_14default_configES9_NS1_37merge_sort_block_sort_config_selectorIiNS0_10empty_typeEEENS1_38merge_sort_block_merge_config_selectorIiSB_EEEEvv.num_vgpr, 0
	.set _ZN7rocprim17ROCPRIM_400000_NS6detail44device_merge_sort_compile_time_verifier_archINS1_11comp_targetILNS1_3genE10ELNS1_11target_archE1201ELNS1_3gpuE5ELNS1_3repE0EEES8_NS0_14default_configES9_NS1_37merge_sort_block_sort_config_selectorIiNS0_10empty_typeEEENS1_38merge_sort_block_merge_config_selectorIiSB_EEEEvv.num_agpr, 0
	.set _ZN7rocprim17ROCPRIM_400000_NS6detail44device_merge_sort_compile_time_verifier_archINS1_11comp_targetILNS1_3genE10ELNS1_11target_archE1201ELNS1_3gpuE5ELNS1_3repE0EEES8_NS0_14default_configES9_NS1_37merge_sort_block_sort_config_selectorIiNS0_10empty_typeEEENS1_38merge_sort_block_merge_config_selectorIiSB_EEEEvv.numbered_sgpr, 0
	.set _ZN7rocprim17ROCPRIM_400000_NS6detail44device_merge_sort_compile_time_verifier_archINS1_11comp_targetILNS1_3genE10ELNS1_11target_archE1201ELNS1_3gpuE5ELNS1_3repE0EEES8_NS0_14default_configES9_NS1_37merge_sort_block_sort_config_selectorIiNS0_10empty_typeEEENS1_38merge_sort_block_merge_config_selectorIiSB_EEEEvv.num_named_barrier, 0
	.set _ZN7rocprim17ROCPRIM_400000_NS6detail44device_merge_sort_compile_time_verifier_archINS1_11comp_targetILNS1_3genE10ELNS1_11target_archE1201ELNS1_3gpuE5ELNS1_3repE0EEES8_NS0_14default_configES9_NS1_37merge_sort_block_sort_config_selectorIiNS0_10empty_typeEEENS1_38merge_sort_block_merge_config_selectorIiSB_EEEEvv.private_seg_size, 0
	.set _ZN7rocprim17ROCPRIM_400000_NS6detail44device_merge_sort_compile_time_verifier_archINS1_11comp_targetILNS1_3genE10ELNS1_11target_archE1201ELNS1_3gpuE5ELNS1_3repE0EEES8_NS0_14default_configES9_NS1_37merge_sort_block_sort_config_selectorIiNS0_10empty_typeEEENS1_38merge_sort_block_merge_config_selectorIiSB_EEEEvv.uses_vcc, 0
	.set _ZN7rocprim17ROCPRIM_400000_NS6detail44device_merge_sort_compile_time_verifier_archINS1_11comp_targetILNS1_3genE10ELNS1_11target_archE1201ELNS1_3gpuE5ELNS1_3repE0EEES8_NS0_14default_configES9_NS1_37merge_sort_block_sort_config_selectorIiNS0_10empty_typeEEENS1_38merge_sort_block_merge_config_selectorIiSB_EEEEvv.uses_flat_scratch, 0
	.set _ZN7rocprim17ROCPRIM_400000_NS6detail44device_merge_sort_compile_time_verifier_archINS1_11comp_targetILNS1_3genE10ELNS1_11target_archE1201ELNS1_3gpuE5ELNS1_3repE0EEES8_NS0_14default_configES9_NS1_37merge_sort_block_sort_config_selectorIiNS0_10empty_typeEEENS1_38merge_sort_block_merge_config_selectorIiSB_EEEEvv.has_dyn_sized_stack, 0
	.set _ZN7rocprim17ROCPRIM_400000_NS6detail44device_merge_sort_compile_time_verifier_archINS1_11comp_targetILNS1_3genE10ELNS1_11target_archE1201ELNS1_3gpuE5ELNS1_3repE0EEES8_NS0_14default_configES9_NS1_37merge_sort_block_sort_config_selectorIiNS0_10empty_typeEEENS1_38merge_sort_block_merge_config_selectorIiSB_EEEEvv.has_recursion, 0
	.set _ZN7rocprim17ROCPRIM_400000_NS6detail44device_merge_sort_compile_time_verifier_archINS1_11comp_targetILNS1_3genE10ELNS1_11target_archE1201ELNS1_3gpuE5ELNS1_3repE0EEES8_NS0_14default_configES9_NS1_37merge_sort_block_sort_config_selectorIiNS0_10empty_typeEEENS1_38merge_sort_block_merge_config_selectorIiSB_EEEEvv.has_indirect_call, 0
	.section	.AMDGPU.csdata,"",@progbits
; Kernel info:
; codeLenInByte = 4
; TotalNumSgprs: 0
; NumVgprs: 0
; ScratchSize: 0
; MemoryBound: 0
; FloatMode: 240
; IeeeMode: 1
; LDSByteSize: 0 bytes/workgroup (compile time only)
; SGPRBlocks: 0
; VGPRBlocks: 0
; NumSGPRsForWavesPerEU: 1
; NumVGPRsForWavesPerEU: 1
; Occupancy: 16
; WaveLimiterHint : 0
; COMPUTE_PGM_RSRC2:SCRATCH_EN: 0
; COMPUTE_PGM_RSRC2:USER_SGPR: 4
; COMPUTE_PGM_RSRC2:TRAP_HANDLER: 0
; COMPUTE_PGM_RSRC2:TGID_X_EN: 1
; COMPUTE_PGM_RSRC2:TGID_Y_EN: 0
; COMPUTE_PGM_RSRC2:TGID_Z_EN: 0
; COMPUTE_PGM_RSRC2:TIDIG_COMP_CNT: 0
	.section	.text._ZN7rocprim17ROCPRIM_400000_NS6detail44device_merge_sort_compile_time_verifier_archINS1_11comp_targetILNS1_3genE10ELNS1_11target_archE1200ELNS1_3gpuE4ELNS1_3repE0EEENS3_ILS4_10ELS5_1201ELS6_5ELS7_0EEENS0_14default_configESA_NS1_37merge_sort_block_sort_config_selectorIiNS0_10empty_typeEEENS1_38merge_sort_block_merge_config_selectorIiSC_EEEEvv,"axG",@progbits,_ZN7rocprim17ROCPRIM_400000_NS6detail44device_merge_sort_compile_time_verifier_archINS1_11comp_targetILNS1_3genE10ELNS1_11target_archE1200ELNS1_3gpuE4ELNS1_3repE0EEENS3_ILS4_10ELS5_1201ELS6_5ELS7_0EEENS0_14default_configESA_NS1_37merge_sort_block_sort_config_selectorIiNS0_10empty_typeEEENS1_38merge_sort_block_merge_config_selectorIiSC_EEEEvv,comdat
	.protected	_ZN7rocprim17ROCPRIM_400000_NS6detail44device_merge_sort_compile_time_verifier_archINS1_11comp_targetILNS1_3genE10ELNS1_11target_archE1200ELNS1_3gpuE4ELNS1_3repE0EEENS3_ILS4_10ELS5_1201ELS6_5ELS7_0EEENS0_14default_configESA_NS1_37merge_sort_block_sort_config_selectorIiNS0_10empty_typeEEENS1_38merge_sort_block_merge_config_selectorIiSC_EEEEvv ; -- Begin function _ZN7rocprim17ROCPRIM_400000_NS6detail44device_merge_sort_compile_time_verifier_archINS1_11comp_targetILNS1_3genE10ELNS1_11target_archE1200ELNS1_3gpuE4ELNS1_3repE0EEENS3_ILS4_10ELS5_1201ELS6_5ELS7_0EEENS0_14default_configESA_NS1_37merge_sort_block_sort_config_selectorIiNS0_10empty_typeEEENS1_38merge_sort_block_merge_config_selectorIiSC_EEEEvv
	.globl	_ZN7rocprim17ROCPRIM_400000_NS6detail44device_merge_sort_compile_time_verifier_archINS1_11comp_targetILNS1_3genE10ELNS1_11target_archE1200ELNS1_3gpuE4ELNS1_3repE0EEENS3_ILS4_10ELS5_1201ELS6_5ELS7_0EEENS0_14default_configESA_NS1_37merge_sort_block_sort_config_selectorIiNS0_10empty_typeEEENS1_38merge_sort_block_merge_config_selectorIiSC_EEEEvv
	.p2align	8
	.type	_ZN7rocprim17ROCPRIM_400000_NS6detail44device_merge_sort_compile_time_verifier_archINS1_11comp_targetILNS1_3genE10ELNS1_11target_archE1200ELNS1_3gpuE4ELNS1_3repE0EEENS3_ILS4_10ELS5_1201ELS6_5ELS7_0EEENS0_14default_configESA_NS1_37merge_sort_block_sort_config_selectorIiNS0_10empty_typeEEENS1_38merge_sort_block_merge_config_selectorIiSC_EEEEvv,@function
_ZN7rocprim17ROCPRIM_400000_NS6detail44device_merge_sort_compile_time_verifier_archINS1_11comp_targetILNS1_3genE10ELNS1_11target_archE1200ELNS1_3gpuE4ELNS1_3repE0EEENS3_ILS4_10ELS5_1201ELS6_5ELS7_0EEENS0_14default_configESA_NS1_37merge_sort_block_sort_config_selectorIiNS0_10empty_typeEEENS1_38merge_sort_block_merge_config_selectorIiSC_EEEEvv: ; @_ZN7rocprim17ROCPRIM_400000_NS6detail44device_merge_sort_compile_time_verifier_archINS1_11comp_targetILNS1_3genE10ELNS1_11target_archE1200ELNS1_3gpuE4ELNS1_3repE0EEENS3_ILS4_10ELS5_1201ELS6_5ELS7_0EEENS0_14default_configESA_NS1_37merge_sort_block_sort_config_selectorIiNS0_10empty_typeEEENS1_38merge_sort_block_merge_config_selectorIiSC_EEEEvv
; %bb.0:
	s_endpgm
	.section	.rodata,"a",@progbits
	.p2align	6, 0x0
	.amdhsa_kernel _ZN7rocprim17ROCPRIM_400000_NS6detail44device_merge_sort_compile_time_verifier_archINS1_11comp_targetILNS1_3genE10ELNS1_11target_archE1200ELNS1_3gpuE4ELNS1_3repE0EEENS3_ILS4_10ELS5_1201ELS6_5ELS7_0EEENS0_14default_configESA_NS1_37merge_sort_block_sort_config_selectorIiNS0_10empty_typeEEENS1_38merge_sort_block_merge_config_selectorIiSC_EEEEvv
		.amdhsa_group_segment_fixed_size 0
		.amdhsa_private_segment_fixed_size 0
		.amdhsa_kernarg_size 0
		.amdhsa_user_sgpr_count 4
		.amdhsa_user_sgpr_private_segment_buffer 1
		.amdhsa_user_sgpr_dispatch_ptr 0
		.amdhsa_user_sgpr_queue_ptr 0
		.amdhsa_user_sgpr_kernarg_segment_ptr 0
		.amdhsa_user_sgpr_dispatch_id 0
		.amdhsa_user_sgpr_flat_scratch_init 0
		.amdhsa_user_sgpr_private_segment_size 0
		.amdhsa_wavefront_size32 1
		.amdhsa_uses_dynamic_stack 0
		.amdhsa_system_sgpr_private_segment_wavefront_offset 0
		.amdhsa_system_sgpr_workgroup_id_x 1
		.amdhsa_system_sgpr_workgroup_id_y 0
		.amdhsa_system_sgpr_workgroup_id_z 0
		.amdhsa_system_sgpr_workgroup_info 0
		.amdhsa_system_vgpr_workitem_id 0
		.amdhsa_next_free_vgpr 1
		.amdhsa_next_free_sgpr 1
		.amdhsa_reserve_vcc 0
		.amdhsa_reserve_flat_scratch 0
		.amdhsa_float_round_mode_32 0
		.amdhsa_float_round_mode_16_64 0
		.amdhsa_float_denorm_mode_32 3
		.amdhsa_float_denorm_mode_16_64 3
		.amdhsa_dx10_clamp 1
		.amdhsa_ieee_mode 1
		.amdhsa_fp16_overflow 0
		.amdhsa_workgroup_processor_mode 1
		.amdhsa_memory_ordered 1
		.amdhsa_forward_progress 1
		.amdhsa_shared_vgpr_count 0
		.amdhsa_exception_fp_ieee_invalid_op 0
		.amdhsa_exception_fp_denorm_src 0
		.amdhsa_exception_fp_ieee_div_zero 0
		.amdhsa_exception_fp_ieee_overflow 0
		.amdhsa_exception_fp_ieee_underflow 0
		.amdhsa_exception_fp_ieee_inexact 0
		.amdhsa_exception_int_div_zero 0
	.end_amdhsa_kernel
	.section	.text._ZN7rocprim17ROCPRIM_400000_NS6detail44device_merge_sort_compile_time_verifier_archINS1_11comp_targetILNS1_3genE10ELNS1_11target_archE1200ELNS1_3gpuE4ELNS1_3repE0EEENS3_ILS4_10ELS5_1201ELS6_5ELS7_0EEENS0_14default_configESA_NS1_37merge_sort_block_sort_config_selectorIiNS0_10empty_typeEEENS1_38merge_sort_block_merge_config_selectorIiSC_EEEEvv,"axG",@progbits,_ZN7rocprim17ROCPRIM_400000_NS6detail44device_merge_sort_compile_time_verifier_archINS1_11comp_targetILNS1_3genE10ELNS1_11target_archE1200ELNS1_3gpuE4ELNS1_3repE0EEENS3_ILS4_10ELS5_1201ELS6_5ELS7_0EEENS0_14default_configESA_NS1_37merge_sort_block_sort_config_selectorIiNS0_10empty_typeEEENS1_38merge_sort_block_merge_config_selectorIiSC_EEEEvv,comdat
.Lfunc_end417:
	.size	_ZN7rocprim17ROCPRIM_400000_NS6detail44device_merge_sort_compile_time_verifier_archINS1_11comp_targetILNS1_3genE10ELNS1_11target_archE1200ELNS1_3gpuE4ELNS1_3repE0EEENS3_ILS4_10ELS5_1201ELS6_5ELS7_0EEENS0_14default_configESA_NS1_37merge_sort_block_sort_config_selectorIiNS0_10empty_typeEEENS1_38merge_sort_block_merge_config_selectorIiSC_EEEEvv, .Lfunc_end417-_ZN7rocprim17ROCPRIM_400000_NS6detail44device_merge_sort_compile_time_verifier_archINS1_11comp_targetILNS1_3genE10ELNS1_11target_archE1200ELNS1_3gpuE4ELNS1_3repE0EEENS3_ILS4_10ELS5_1201ELS6_5ELS7_0EEENS0_14default_configESA_NS1_37merge_sort_block_sort_config_selectorIiNS0_10empty_typeEEENS1_38merge_sort_block_merge_config_selectorIiSC_EEEEvv
                                        ; -- End function
	.set _ZN7rocprim17ROCPRIM_400000_NS6detail44device_merge_sort_compile_time_verifier_archINS1_11comp_targetILNS1_3genE10ELNS1_11target_archE1200ELNS1_3gpuE4ELNS1_3repE0EEENS3_ILS4_10ELS5_1201ELS6_5ELS7_0EEENS0_14default_configESA_NS1_37merge_sort_block_sort_config_selectorIiNS0_10empty_typeEEENS1_38merge_sort_block_merge_config_selectorIiSC_EEEEvv.num_vgpr, 0
	.set _ZN7rocprim17ROCPRIM_400000_NS6detail44device_merge_sort_compile_time_verifier_archINS1_11comp_targetILNS1_3genE10ELNS1_11target_archE1200ELNS1_3gpuE4ELNS1_3repE0EEENS3_ILS4_10ELS5_1201ELS6_5ELS7_0EEENS0_14default_configESA_NS1_37merge_sort_block_sort_config_selectorIiNS0_10empty_typeEEENS1_38merge_sort_block_merge_config_selectorIiSC_EEEEvv.num_agpr, 0
	.set _ZN7rocprim17ROCPRIM_400000_NS6detail44device_merge_sort_compile_time_verifier_archINS1_11comp_targetILNS1_3genE10ELNS1_11target_archE1200ELNS1_3gpuE4ELNS1_3repE0EEENS3_ILS4_10ELS5_1201ELS6_5ELS7_0EEENS0_14default_configESA_NS1_37merge_sort_block_sort_config_selectorIiNS0_10empty_typeEEENS1_38merge_sort_block_merge_config_selectorIiSC_EEEEvv.numbered_sgpr, 0
	.set _ZN7rocprim17ROCPRIM_400000_NS6detail44device_merge_sort_compile_time_verifier_archINS1_11comp_targetILNS1_3genE10ELNS1_11target_archE1200ELNS1_3gpuE4ELNS1_3repE0EEENS3_ILS4_10ELS5_1201ELS6_5ELS7_0EEENS0_14default_configESA_NS1_37merge_sort_block_sort_config_selectorIiNS0_10empty_typeEEENS1_38merge_sort_block_merge_config_selectorIiSC_EEEEvv.num_named_barrier, 0
	.set _ZN7rocprim17ROCPRIM_400000_NS6detail44device_merge_sort_compile_time_verifier_archINS1_11comp_targetILNS1_3genE10ELNS1_11target_archE1200ELNS1_3gpuE4ELNS1_3repE0EEENS3_ILS4_10ELS5_1201ELS6_5ELS7_0EEENS0_14default_configESA_NS1_37merge_sort_block_sort_config_selectorIiNS0_10empty_typeEEENS1_38merge_sort_block_merge_config_selectorIiSC_EEEEvv.private_seg_size, 0
	.set _ZN7rocprim17ROCPRIM_400000_NS6detail44device_merge_sort_compile_time_verifier_archINS1_11comp_targetILNS1_3genE10ELNS1_11target_archE1200ELNS1_3gpuE4ELNS1_3repE0EEENS3_ILS4_10ELS5_1201ELS6_5ELS7_0EEENS0_14default_configESA_NS1_37merge_sort_block_sort_config_selectorIiNS0_10empty_typeEEENS1_38merge_sort_block_merge_config_selectorIiSC_EEEEvv.uses_vcc, 0
	.set _ZN7rocprim17ROCPRIM_400000_NS6detail44device_merge_sort_compile_time_verifier_archINS1_11comp_targetILNS1_3genE10ELNS1_11target_archE1200ELNS1_3gpuE4ELNS1_3repE0EEENS3_ILS4_10ELS5_1201ELS6_5ELS7_0EEENS0_14default_configESA_NS1_37merge_sort_block_sort_config_selectorIiNS0_10empty_typeEEENS1_38merge_sort_block_merge_config_selectorIiSC_EEEEvv.uses_flat_scratch, 0
	.set _ZN7rocprim17ROCPRIM_400000_NS6detail44device_merge_sort_compile_time_verifier_archINS1_11comp_targetILNS1_3genE10ELNS1_11target_archE1200ELNS1_3gpuE4ELNS1_3repE0EEENS3_ILS4_10ELS5_1201ELS6_5ELS7_0EEENS0_14default_configESA_NS1_37merge_sort_block_sort_config_selectorIiNS0_10empty_typeEEENS1_38merge_sort_block_merge_config_selectorIiSC_EEEEvv.has_dyn_sized_stack, 0
	.set _ZN7rocprim17ROCPRIM_400000_NS6detail44device_merge_sort_compile_time_verifier_archINS1_11comp_targetILNS1_3genE10ELNS1_11target_archE1200ELNS1_3gpuE4ELNS1_3repE0EEENS3_ILS4_10ELS5_1201ELS6_5ELS7_0EEENS0_14default_configESA_NS1_37merge_sort_block_sort_config_selectorIiNS0_10empty_typeEEENS1_38merge_sort_block_merge_config_selectorIiSC_EEEEvv.has_recursion, 0
	.set _ZN7rocprim17ROCPRIM_400000_NS6detail44device_merge_sort_compile_time_verifier_archINS1_11comp_targetILNS1_3genE10ELNS1_11target_archE1200ELNS1_3gpuE4ELNS1_3repE0EEENS3_ILS4_10ELS5_1201ELS6_5ELS7_0EEENS0_14default_configESA_NS1_37merge_sort_block_sort_config_selectorIiNS0_10empty_typeEEENS1_38merge_sort_block_merge_config_selectorIiSC_EEEEvv.has_indirect_call, 0
	.section	.AMDGPU.csdata,"",@progbits
; Kernel info:
; codeLenInByte = 4
; TotalNumSgprs: 0
; NumVgprs: 0
; ScratchSize: 0
; MemoryBound: 0
; FloatMode: 240
; IeeeMode: 1
; LDSByteSize: 0 bytes/workgroup (compile time only)
; SGPRBlocks: 0
; VGPRBlocks: 0
; NumSGPRsForWavesPerEU: 1
; NumVGPRsForWavesPerEU: 1
; Occupancy: 16
; WaveLimiterHint : 0
; COMPUTE_PGM_RSRC2:SCRATCH_EN: 0
; COMPUTE_PGM_RSRC2:USER_SGPR: 4
; COMPUTE_PGM_RSRC2:TRAP_HANDLER: 0
; COMPUTE_PGM_RSRC2:TGID_X_EN: 1
; COMPUTE_PGM_RSRC2:TGID_Y_EN: 0
; COMPUTE_PGM_RSRC2:TGID_Z_EN: 0
; COMPUTE_PGM_RSRC2:TIDIG_COMP_CNT: 0
	.section	.text._ZN7rocprim17ROCPRIM_400000_NS6detail44device_merge_sort_compile_time_verifier_archINS1_11comp_targetILNS1_3genE9ELNS1_11target_archE1100ELNS1_3gpuE3ELNS1_3repE0EEES8_NS0_14default_configES9_NS1_37merge_sort_block_sort_config_selectorIiNS0_10empty_typeEEENS1_38merge_sort_block_merge_config_selectorIiSB_EEEEvv,"axG",@progbits,_ZN7rocprim17ROCPRIM_400000_NS6detail44device_merge_sort_compile_time_verifier_archINS1_11comp_targetILNS1_3genE9ELNS1_11target_archE1100ELNS1_3gpuE3ELNS1_3repE0EEES8_NS0_14default_configES9_NS1_37merge_sort_block_sort_config_selectorIiNS0_10empty_typeEEENS1_38merge_sort_block_merge_config_selectorIiSB_EEEEvv,comdat
	.protected	_ZN7rocprim17ROCPRIM_400000_NS6detail44device_merge_sort_compile_time_verifier_archINS1_11comp_targetILNS1_3genE9ELNS1_11target_archE1100ELNS1_3gpuE3ELNS1_3repE0EEES8_NS0_14default_configES9_NS1_37merge_sort_block_sort_config_selectorIiNS0_10empty_typeEEENS1_38merge_sort_block_merge_config_selectorIiSB_EEEEvv ; -- Begin function _ZN7rocprim17ROCPRIM_400000_NS6detail44device_merge_sort_compile_time_verifier_archINS1_11comp_targetILNS1_3genE9ELNS1_11target_archE1100ELNS1_3gpuE3ELNS1_3repE0EEES8_NS0_14default_configES9_NS1_37merge_sort_block_sort_config_selectorIiNS0_10empty_typeEEENS1_38merge_sort_block_merge_config_selectorIiSB_EEEEvv
	.globl	_ZN7rocprim17ROCPRIM_400000_NS6detail44device_merge_sort_compile_time_verifier_archINS1_11comp_targetILNS1_3genE9ELNS1_11target_archE1100ELNS1_3gpuE3ELNS1_3repE0EEES8_NS0_14default_configES9_NS1_37merge_sort_block_sort_config_selectorIiNS0_10empty_typeEEENS1_38merge_sort_block_merge_config_selectorIiSB_EEEEvv
	.p2align	8
	.type	_ZN7rocprim17ROCPRIM_400000_NS6detail44device_merge_sort_compile_time_verifier_archINS1_11comp_targetILNS1_3genE9ELNS1_11target_archE1100ELNS1_3gpuE3ELNS1_3repE0EEES8_NS0_14default_configES9_NS1_37merge_sort_block_sort_config_selectorIiNS0_10empty_typeEEENS1_38merge_sort_block_merge_config_selectorIiSB_EEEEvv,@function
_ZN7rocprim17ROCPRIM_400000_NS6detail44device_merge_sort_compile_time_verifier_archINS1_11comp_targetILNS1_3genE9ELNS1_11target_archE1100ELNS1_3gpuE3ELNS1_3repE0EEES8_NS0_14default_configES9_NS1_37merge_sort_block_sort_config_selectorIiNS0_10empty_typeEEENS1_38merge_sort_block_merge_config_selectorIiSB_EEEEvv: ; @_ZN7rocprim17ROCPRIM_400000_NS6detail44device_merge_sort_compile_time_verifier_archINS1_11comp_targetILNS1_3genE9ELNS1_11target_archE1100ELNS1_3gpuE3ELNS1_3repE0EEES8_NS0_14default_configES9_NS1_37merge_sort_block_sort_config_selectorIiNS0_10empty_typeEEENS1_38merge_sort_block_merge_config_selectorIiSB_EEEEvv
; %bb.0:
	s_endpgm
	.section	.rodata,"a",@progbits
	.p2align	6, 0x0
	.amdhsa_kernel _ZN7rocprim17ROCPRIM_400000_NS6detail44device_merge_sort_compile_time_verifier_archINS1_11comp_targetILNS1_3genE9ELNS1_11target_archE1100ELNS1_3gpuE3ELNS1_3repE0EEES8_NS0_14default_configES9_NS1_37merge_sort_block_sort_config_selectorIiNS0_10empty_typeEEENS1_38merge_sort_block_merge_config_selectorIiSB_EEEEvv
		.amdhsa_group_segment_fixed_size 0
		.amdhsa_private_segment_fixed_size 0
		.amdhsa_kernarg_size 0
		.amdhsa_user_sgpr_count 4
		.amdhsa_user_sgpr_private_segment_buffer 1
		.amdhsa_user_sgpr_dispatch_ptr 0
		.amdhsa_user_sgpr_queue_ptr 0
		.amdhsa_user_sgpr_kernarg_segment_ptr 0
		.amdhsa_user_sgpr_dispatch_id 0
		.amdhsa_user_sgpr_flat_scratch_init 0
		.amdhsa_user_sgpr_private_segment_size 0
		.amdhsa_wavefront_size32 1
		.amdhsa_uses_dynamic_stack 0
		.amdhsa_system_sgpr_private_segment_wavefront_offset 0
		.amdhsa_system_sgpr_workgroup_id_x 1
		.amdhsa_system_sgpr_workgroup_id_y 0
		.amdhsa_system_sgpr_workgroup_id_z 0
		.amdhsa_system_sgpr_workgroup_info 0
		.amdhsa_system_vgpr_workitem_id 0
		.amdhsa_next_free_vgpr 1
		.amdhsa_next_free_sgpr 1
		.amdhsa_reserve_vcc 0
		.amdhsa_reserve_flat_scratch 0
		.amdhsa_float_round_mode_32 0
		.amdhsa_float_round_mode_16_64 0
		.amdhsa_float_denorm_mode_32 3
		.amdhsa_float_denorm_mode_16_64 3
		.amdhsa_dx10_clamp 1
		.amdhsa_ieee_mode 1
		.amdhsa_fp16_overflow 0
		.amdhsa_workgroup_processor_mode 1
		.amdhsa_memory_ordered 1
		.amdhsa_forward_progress 1
		.amdhsa_shared_vgpr_count 0
		.amdhsa_exception_fp_ieee_invalid_op 0
		.amdhsa_exception_fp_denorm_src 0
		.amdhsa_exception_fp_ieee_div_zero 0
		.amdhsa_exception_fp_ieee_overflow 0
		.amdhsa_exception_fp_ieee_underflow 0
		.amdhsa_exception_fp_ieee_inexact 0
		.amdhsa_exception_int_div_zero 0
	.end_amdhsa_kernel
	.section	.text._ZN7rocprim17ROCPRIM_400000_NS6detail44device_merge_sort_compile_time_verifier_archINS1_11comp_targetILNS1_3genE9ELNS1_11target_archE1100ELNS1_3gpuE3ELNS1_3repE0EEES8_NS0_14default_configES9_NS1_37merge_sort_block_sort_config_selectorIiNS0_10empty_typeEEENS1_38merge_sort_block_merge_config_selectorIiSB_EEEEvv,"axG",@progbits,_ZN7rocprim17ROCPRIM_400000_NS6detail44device_merge_sort_compile_time_verifier_archINS1_11comp_targetILNS1_3genE9ELNS1_11target_archE1100ELNS1_3gpuE3ELNS1_3repE0EEES8_NS0_14default_configES9_NS1_37merge_sort_block_sort_config_selectorIiNS0_10empty_typeEEENS1_38merge_sort_block_merge_config_selectorIiSB_EEEEvv,comdat
.Lfunc_end418:
	.size	_ZN7rocprim17ROCPRIM_400000_NS6detail44device_merge_sort_compile_time_verifier_archINS1_11comp_targetILNS1_3genE9ELNS1_11target_archE1100ELNS1_3gpuE3ELNS1_3repE0EEES8_NS0_14default_configES9_NS1_37merge_sort_block_sort_config_selectorIiNS0_10empty_typeEEENS1_38merge_sort_block_merge_config_selectorIiSB_EEEEvv, .Lfunc_end418-_ZN7rocprim17ROCPRIM_400000_NS6detail44device_merge_sort_compile_time_verifier_archINS1_11comp_targetILNS1_3genE9ELNS1_11target_archE1100ELNS1_3gpuE3ELNS1_3repE0EEES8_NS0_14default_configES9_NS1_37merge_sort_block_sort_config_selectorIiNS0_10empty_typeEEENS1_38merge_sort_block_merge_config_selectorIiSB_EEEEvv
                                        ; -- End function
	.set _ZN7rocprim17ROCPRIM_400000_NS6detail44device_merge_sort_compile_time_verifier_archINS1_11comp_targetILNS1_3genE9ELNS1_11target_archE1100ELNS1_3gpuE3ELNS1_3repE0EEES8_NS0_14default_configES9_NS1_37merge_sort_block_sort_config_selectorIiNS0_10empty_typeEEENS1_38merge_sort_block_merge_config_selectorIiSB_EEEEvv.num_vgpr, 0
	.set _ZN7rocprim17ROCPRIM_400000_NS6detail44device_merge_sort_compile_time_verifier_archINS1_11comp_targetILNS1_3genE9ELNS1_11target_archE1100ELNS1_3gpuE3ELNS1_3repE0EEES8_NS0_14default_configES9_NS1_37merge_sort_block_sort_config_selectorIiNS0_10empty_typeEEENS1_38merge_sort_block_merge_config_selectorIiSB_EEEEvv.num_agpr, 0
	.set _ZN7rocprim17ROCPRIM_400000_NS6detail44device_merge_sort_compile_time_verifier_archINS1_11comp_targetILNS1_3genE9ELNS1_11target_archE1100ELNS1_3gpuE3ELNS1_3repE0EEES8_NS0_14default_configES9_NS1_37merge_sort_block_sort_config_selectorIiNS0_10empty_typeEEENS1_38merge_sort_block_merge_config_selectorIiSB_EEEEvv.numbered_sgpr, 0
	.set _ZN7rocprim17ROCPRIM_400000_NS6detail44device_merge_sort_compile_time_verifier_archINS1_11comp_targetILNS1_3genE9ELNS1_11target_archE1100ELNS1_3gpuE3ELNS1_3repE0EEES8_NS0_14default_configES9_NS1_37merge_sort_block_sort_config_selectorIiNS0_10empty_typeEEENS1_38merge_sort_block_merge_config_selectorIiSB_EEEEvv.num_named_barrier, 0
	.set _ZN7rocprim17ROCPRIM_400000_NS6detail44device_merge_sort_compile_time_verifier_archINS1_11comp_targetILNS1_3genE9ELNS1_11target_archE1100ELNS1_3gpuE3ELNS1_3repE0EEES8_NS0_14default_configES9_NS1_37merge_sort_block_sort_config_selectorIiNS0_10empty_typeEEENS1_38merge_sort_block_merge_config_selectorIiSB_EEEEvv.private_seg_size, 0
	.set _ZN7rocprim17ROCPRIM_400000_NS6detail44device_merge_sort_compile_time_verifier_archINS1_11comp_targetILNS1_3genE9ELNS1_11target_archE1100ELNS1_3gpuE3ELNS1_3repE0EEES8_NS0_14default_configES9_NS1_37merge_sort_block_sort_config_selectorIiNS0_10empty_typeEEENS1_38merge_sort_block_merge_config_selectorIiSB_EEEEvv.uses_vcc, 0
	.set _ZN7rocprim17ROCPRIM_400000_NS6detail44device_merge_sort_compile_time_verifier_archINS1_11comp_targetILNS1_3genE9ELNS1_11target_archE1100ELNS1_3gpuE3ELNS1_3repE0EEES8_NS0_14default_configES9_NS1_37merge_sort_block_sort_config_selectorIiNS0_10empty_typeEEENS1_38merge_sort_block_merge_config_selectorIiSB_EEEEvv.uses_flat_scratch, 0
	.set _ZN7rocprim17ROCPRIM_400000_NS6detail44device_merge_sort_compile_time_verifier_archINS1_11comp_targetILNS1_3genE9ELNS1_11target_archE1100ELNS1_3gpuE3ELNS1_3repE0EEES8_NS0_14default_configES9_NS1_37merge_sort_block_sort_config_selectorIiNS0_10empty_typeEEENS1_38merge_sort_block_merge_config_selectorIiSB_EEEEvv.has_dyn_sized_stack, 0
	.set _ZN7rocprim17ROCPRIM_400000_NS6detail44device_merge_sort_compile_time_verifier_archINS1_11comp_targetILNS1_3genE9ELNS1_11target_archE1100ELNS1_3gpuE3ELNS1_3repE0EEES8_NS0_14default_configES9_NS1_37merge_sort_block_sort_config_selectorIiNS0_10empty_typeEEENS1_38merge_sort_block_merge_config_selectorIiSB_EEEEvv.has_recursion, 0
	.set _ZN7rocprim17ROCPRIM_400000_NS6detail44device_merge_sort_compile_time_verifier_archINS1_11comp_targetILNS1_3genE9ELNS1_11target_archE1100ELNS1_3gpuE3ELNS1_3repE0EEES8_NS0_14default_configES9_NS1_37merge_sort_block_sort_config_selectorIiNS0_10empty_typeEEENS1_38merge_sort_block_merge_config_selectorIiSB_EEEEvv.has_indirect_call, 0
	.section	.AMDGPU.csdata,"",@progbits
; Kernel info:
; codeLenInByte = 4
; TotalNumSgprs: 0
; NumVgprs: 0
; ScratchSize: 0
; MemoryBound: 0
; FloatMode: 240
; IeeeMode: 1
; LDSByteSize: 0 bytes/workgroup (compile time only)
; SGPRBlocks: 0
; VGPRBlocks: 0
; NumSGPRsForWavesPerEU: 1
; NumVGPRsForWavesPerEU: 1
; Occupancy: 16
; WaveLimiterHint : 0
; COMPUTE_PGM_RSRC2:SCRATCH_EN: 0
; COMPUTE_PGM_RSRC2:USER_SGPR: 4
; COMPUTE_PGM_RSRC2:TRAP_HANDLER: 0
; COMPUTE_PGM_RSRC2:TGID_X_EN: 1
; COMPUTE_PGM_RSRC2:TGID_Y_EN: 0
; COMPUTE_PGM_RSRC2:TGID_Z_EN: 0
; COMPUTE_PGM_RSRC2:TIDIG_COMP_CNT: 0
	.section	.text._ZN7rocprim17ROCPRIM_400000_NS6detail44device_merge_sort_compile_time_verifier_archINS1_11comp_targetILNS1_3genE8ELNS1_11target_archE1030ELNS1_3gpuE2ELNS1_3repE0EEES8_NS0_14default_configES9_NS1_37merge_sort_block_sort_config_selectorIiNS0_10empty_typeEEENS1_38merge_sort_block_merge_config_selectorIiSB_EEEEvv,"axG",@progbits,_ZN7rocprim17ROCPRIM_400000_NS6detail44device_merge_sort_compile_time_verifier_archINS1_11comp_targetILNS1_3genE8ELNS1_11target_archE1030ELNS1_3gpuE2ELNS1_3repE0EEES8_NS0_14default_configES9_NS1_37merge_sort_block_sort_config_selectorIiNS0_10empty_typeEEENS1_38merge_sort_block_merge_config_selectorIiSB_EEEEvv,comdat
	.protected	_ZN7rocprim17ROCPRIM_400000_NS6detail44device_merge_sort_compile_time_verifier_archINS1_11comp_targetILNS1_3genE8ELNS1_11target_archE1030ELNS1_3gpuE2ELNS1_3repE0EEES8_NS0_14default_configES9_NS1_37merge_sort_block_sort_config_selectorIiNS0_10empty_typeEEENS1_38merge_sort_block_merge_config_selectorIiSB_EEEEvv ; -- Begin function _ZN7rocprim17ROCPRIM_400000_NS6detail44device_merge_sort_compile_time_verifier_archINS1_11comp_targetILNS1_3genE8ELNS1_11target_archE1030ELNS1_3gpuE2ELNS1_3repE0EEES8_NS0_14default_configES9_NS1_37merge_sort_block_sort_config_selectorIiNS0_10empty_typeEEENS1_38merge_sort_block_merge_config_selectorIiSB_EEEEvv
	.globl	_ZN7rocprim17ROCPRIM_400000_NS6detail44device_merge_sort_compile_time_verifier_archINS1_11comp_targetILNS1_3genE8ELNS1_11target_archE1030ELNS1_3gpuE2ELNS1_3repE0EEES8_NS0_14default_configES9_NS1_37merge_sort_block_sort_config_selectorIiNS0_10empty_typeEEENS1_38merge_sort_block_merge_config_selectorIiSB_EEEEvv
	.p2align	8
	.type	_ZN7rocprim17ROCPRIM_400000_NS6detail44device_merge_sort_compile_time_verifier_archINS1_11comp_targetILNS1_3genE8ELNS1_11target_archE1030ELNS1_3gpuE2ELNS1_3repE0EEES8_NS0_14default_configES9_NS1_37merge_sort_block_sort_config_selectorIiNS0_10empty_typeEEENS1_38merge_sort_block_merge_config_selectorIiSB_EEEEvv,@function
_ZN7rocprim17ROCPRIM_400000_NS6detail44device_merge_sort_compile_time_verifier_archINS1_11comp_targetILNS1_3genE8ELNS1_11target_archE1030ELNS1_3gpuE2ELNS1_3repE0EEES8_NS0_14default_configES9_NS1_37merge_sort_block_sort_config_selectorIiNS0_10empty_typeEEENS1_38merge_sort_block_merge_config_selectorIiSB_EEEEvv: ; @_ZN7rocprim17ROCPRIM_400000_NS6detail44device_merge_sort_compile_time_verifier_archINS1_11comp_targetILNS1_3genE8ELNS1_11target_archE1030ELNS1_3gpuE2ELNS1_3repE0EEES8_NS0_14default_configES9_NS1_37merge_sort_block_sort_config_selectorIiNS0_10empty_typeEEENS1_38merge_sort_block_merge_config_selectorIiSB_EEEEvv
; %bb.0:
	s_endpgm
	.section	.rodata,"a",@progbits
	.p2align	6, 0x0
	.amdhsa_kernel _ZN7rocprim17ROCPRIM_400000_NS6detail44device_merge_sort_compile_time_verifier_archINS1_11comp_targetILNS1_3genE8ELNS1_11target_archE1030ELNS1_3gpuE2ELNS1_3repE0EEES8_NS0_14default_configES9_NS1_37merge_sort_block_sort_config_selectorIiNS0_10empty_typeEEENS1_38merge_sort_block_merge_config_selectorIiSB_EEEEvv
		.amdhsa_group_segment_fixed_size 0
		.amdhsa_private_segment_fixed_size 0
		.amdhsa_kernarg_size 0
		.amdhsa_user_sgpr_count 4
		.amdhsa_user_sgpr_private_segment_buffer 1
		.amdhsa_user_sgpr_dispatch_ptr 0
		.amdhsa_user_sgpr_queue_ptr 0
		.amdhsa_user_sgpr_kernarg_segment_ptr 0
		.amdhsa_user_sgpr_dispatch_id 0
		.amdhsa_user_sgpr_flat_scratch_init 0
		.amdhsa_user_sgpr_private_segment_size 0
		.amdhsa_wavefront_size32 1
		.amdhsa_uses_dynamic_stack 0
		.amdhsa_system_sgpr_private_segment_wavefront_offset 0
		.amdhsa_system_sgpr_workgroup_id_x 1
		.amdhsa_system_sgpr_workgroup_id_y 0
		.amdhsa_system_sgpr_workgroup_id_z 0
		.amdhsa_system_sgpr_workgroup_info 0
		.amdhsa_system_vgpr_workitem_id 0
		.amdhsa_next_free_vgpr 1
		.amdhsa_next_free_sgpr 1
		.amdhsa_reserve_vcc 0
		.amdhsa_reserve_flat_scratch 0
		.amdhsa_float_round_mode_32 0
		.amdhsa_float_round_mode_16_64 0
		.amdhsa_float_denorm_mode_32 3
		.amdhsa_float_denorm_mode_16_64 3
		.amdhsa_dx10_clamp 1
		.amdhsa_ieee_mode 1
		.amdhsa_fp16_overflow 0
		.amdhsa_workgroup_processor_mode 1
		.amdhsa_memory_ordered 1
		.amdhsa_forward_progress 1
		.amdhsa_shared_vgpr_count 0
		.amdhsa_exception_fp_ieee_invalid_op 0
		.amdhsa_exception_fp_denorm_src 0
		.amdhsa_exception_fp_ieee_div_zero 0
		.amdhsa_exception_fp_ieee_overflow 0
		.amdhsa_exception_fp_ieee_underflow 0
		.amdhsa_exception_fp_ieee_inexact 0
		.amdhsa_exception_int_div_zero 0
	.end_amdhsa_kernel
	.section	.text._ZN7rocprim17ROCPRIM_400000_NS6detail44device_merge_sort_compile_time_verifier_archINS1_11comp_targetILNS1_3genE8ELNS1_11target_archE1030ELNS1_3gpuE2ELNS1_3repE0EEES8_NS0_14default_configES9_NS1_37merge_sort_block_sort_config_selectorIiNS0_10empty_typeEEENS1_38merge_sort_block_merge_config_selectorIiSB_EEEEvv,"axG",@progbits,_ZN7rocprim17ROCPRIM_400000_NS6detail44device_merge_sort_compile_time_verifier_archINS1_11comp_targetILNS1_3genE8ELNS1_11target_archE1030ELNS1_3gpuE2ELNS1_3repE0EEES8_NS0_14default_configES9_NS1_37merge_sort_block_sort_config_selectorIiNS0_10empty_typeEEENS1_38merge_sort_block_merge_config_selectorIiSB_EEEEvv,comdat
.Lfunc_end419:
	.size	_ZN7rocprim17ROCPRIM_400000_NS6detail44device_merge_sort_compile_time_verifier_archINS1_11comp_targetILNS1_3genE8ELNS1_11target_archE1030ELNS1_3gpuE2ELNS1_3repE0EEES8_NS0_14default_configES9_NS1_37merge_sort_block_sort_config_selectorIiNS0_10empty_typeEEENS1_38merge_sort_block_merge_config_selectorIiSB_EEEEvv, .Lfunc_end419-_ZN7rocprim17ROCPRIM_400000_NS6detail44device_merge_sort_compile_time_verifier_archINS1_11comp_targetILNS1_3genE8ELNS1_11target_archE1030ELNS1_3gpuE2ELNS1_3repE0EEES8_NS0_14default_configES9_NS1_37merge_sort_block_sort_config_selectorIiNS0_10empty_typeEEENS1_38merge_sort_block_merge_config_selectorIiSB_EEEEvv
                                        ; -- End function
	.set _ZN7rocprim17ROCPRIM_400000_NS6detail44device_merge_sort_compile_time_verifier_archINS1_11comp_targetILNS1_3genE8ELNS1_11target_archE1030ELNS1_3gpuE2ELNS1_3repE0EEES8_NS0_14default_configES9_NS1_37merge_sort_block_sort_config_selectorIiNS0_10empty_typeEEENS1_38merge_sort_block_merge_config_selectorIiSB_EEEEvv.num_vgpr, 0
	.set _ZN7rocprim17ROCPRIM_400000_NS6detail44device_merge_sort_compile_time_verifier_archINS1_11comp_targetILNS1_3genE8ELNS1_11target_archE1030ELNS1_3gpuE2ELNS1_3repE0EEES8_NS0_14default_configES9_NS1_37merge_sort_block_sort_config_selectorIiNS0_10empty_typeEEENS1_38merge_sort_block_merge_config_selectorIiSB_EEEEvv.num_agpr, 0
	.set _ZN7rocprim17ROCPRIM_400000_NS6detail44device_merge_sort_compile_time_verifier_archINS1_11comp_targetILNS1_3genE8ELNS1_11target_archE1030ELNS1_3gpuE2ELNS1_3repE0EEES8_NS0_14default_configES9_NS1_37merge_sort_block_sort_config_selectorIiNS0_10empty_typeEEENS1_38merge_sort_block_merge_config_selectorIiSB_EEEEvv.numbered_sgpr, 0
	.set _ZN7rocprim17ROCPRIM_400000_NS6detail44device_merge_sort_compile_time_verifier_archINS1_11comp_targetILNS1_3genE8ELNS1_11target_archE1030ELNS1_3gpuE2ELNS1_3repE0EEES8_NS0_14default_configES9_NS1_37merge_sort_block_sort_config_selectorIiNS0_10empty_typeEEENS1_38merge_sort_block_merge_config_selectorIiSB_EEEEvv.num_named_barrier, 0
	.set _ZN7rocprim17ROCPRIM_400000_NS6detail44device_merge_sort_compile_time_verifier_archINS1_11comp_targetILNS1_3genE8ELNS1_11target_archE1030ELNS1_3gpuE2ELNS1_3repE0EEES8_NS0_14default_configES9_NS1_37merge_sort_block_sort_config_selectorIiNS0_10empty_typeEEENS1_38merge_sort_block_merge_config_selectorIiSB_EEEEvv.private_seg_size, 0
	.set _ZN7rocprim17ROCPRIM_400000_NS6detail44device_merge_sort_compile_time_verifier_archINS1_11comp_targetILNS1_3genE8ELNS1_11target_archE1030ELNS1_3gpuE2ELNS1_3repE0EEES8_NS0_14default_configES9_NS1_37merge_sort_block_sort_config_selectorIiNS0_10empty_typeEEENS1_38merge_sort_block_merge_config_selectorIiSB_EEEEvv.uses_vcc, 0
	.set _ZN7rocprim17ROCPRIM_400000_NS6detail44device_merge_sort_compile_time_verifier_archINS1_11comp_targetILNS1_3genE8ELNS1_11target_archE1030ELNS1_3gpuE2ELNS1_3repE0EEES8_NS0_14default_configES9_NS1_37merge_sort_block_sort_config_selectorIiNS0_10empty_typeEEENS1_38merge_sort_block_merge_config_selectorIiSB_EEEEvv.uses_flat_scratch, 0
	.set _ZN7rocprim17ROCPRIM_400000_NS6detail44device_merge_sort_compile_time_verifier_archINS1_11comp_targetILNS1_3genE8ELNS1_11target_archE1030ELNS1_3gpuE2ELNS1_3repE0EEES8_NS0_14default_configES9_NS1_37merge_sort_block_sort_config_selectorIiNS0_10empty_typeEEENS1_38merge_sort_block_merge_config_selectorIiSB_EEEEvv.has_dyn_sized_stack, 0
	.set _ZN7rocprim17ROCPRIM_400000_NS6detail44device_merge_sort_compile_time_verifier_archINS1_11comp_targetILNS1_3genE8ELNS1_11target_archE1030ELNS1_3gpuE2ELNS1_3repE0EEES8_NS0_14default_configES9_NS1_37merge_sort_block_sort_config_selectorIiNS0_10empty_typeEEENS1_38merge_sort_block_merge_config_selectorIiSB_EEEEvv.has_recursion, 0
	.set _ZN7rocprim17ROCPRIM_400000_NS6detail44device_merge_sort_compile_time_verifier_archINS1_11comp_targetILNS1_3genE8ELNS1_11target_archE1030ELNS1_3gpuE2ELNS1_3repE0EEES8_NS0_14default_configES9_NS1_37merge_sort_block_sort_config_selectorIiNS0_10empty_typeEEENS1_38merge_sort_block_merge_config_selectorIiSB_EEEEvv.has_indirect_call, 0
	.section	.AMDGPU.csdata,"",@progbits
; Kernel info:
; codeLenInByte = 4
; TotalNumSgprs: 0
; NumVgprs: 0
; ScratchSize: 0
; MemoryBound: 0
; FloatMode: 240
; IeeeMode: 1
; LDSByteSize: 0 bytes/workgroup (compile time only)
; SGPRBlocks: 0
; VGPRBlocks: 0
; NumSGPRsForWavesPerEU: 1
; NumVGPRsForWavesPerEU: 1
; Occupancy: 16
; WaveLimiterHint : 0
; COMPUTE_PGM_RSRC2:SCRATCH_EN: 0
; COMPUTE_PGM_RSRC2:USER_SGPR: 4
; COMPUTE_PGM_RSRC2:TRAP_HANDLER: 0
; COMPUTE_PGM_RSRC2:TGID_X_EN: 1
; COMPUTE_PGM_RSRC2:TGID_Y_EN: 0
; COMPUTE_PGM_RSRC2:TGID_Z_EN: 0
; COMPUTE_PGM_RSRC2:TIDIG_COMP_CNT: 0
	.section	.text._ZN7rocprim17ROCPRIM_400000_NS6detail17trampoline_kernelINS0_14default_configENS1_37merge_sort_block_sort_config_selectorIiNS0_10empty_typeEEEZNS1_21merge_sort_block_sortIS3_N6thrust23THRUST_200600_302600_NS6detail15normal_iteratorINS9_10device_ptrIiEEEESE_PS5_SF_11less_div_10IiEEE10hipError_tT0_T1_T2_T3_mRjT4_P12ihipStream_tbNS1_7vsmem_tEEUlT_E_NS1_11comp_targetILNS1_3genE0ELNS1_11target_archE4294967295ELNS1_3gpuE0ELNS1_3repE0EEENS1_30default_config_static_selectorELNS0_4arch9wavefront6targetE0EEEvSK_,"axG",@progbits,_ZN7rocprim17ROCPRIM_400000_NS6detail17trampoline_kernelINS0_14default_configENS1_37merge_sort_block_sort_config_selectorIiNS0_10empty_typeEEEZNS1_21merge_sort_block_sortIS3_N6thrust23THRUST_200600_302600_NS6detail15normal_iteratorINS9_10device_ptrIiEEEESE_PS5_SF_11less_div_10IiEEE10hipError_tT0_T1_T2_T3_mRjT4_P12ihipStream_tbNS1_7vsmem_tEEUlT_E_NS1_11comp_targetILNS1_3genE0ELNS1_11target_archE4294967295ELNS1_3gpuE0ELNS1_3repE0EEENS1_30default_config_static_selectorELNS0_4arch9wavefront6targetE0EEEvSK_,comdat
	.protected	_ZN7rocprim17ROCPRIM_400000_NS6detail17trampoline_kernelINS0_14default_configENS1_37merge_sort_block_sort_config_selectorIiNS0_10empty_typeEEEZNS1_21merge_sort_block_sortIS3_N6thrust23THRUST_200600_302600_NS6detail15normal_iteratorINS9_10device_ptrIiEEEESE_PS5_SF_11less_div_10IiEEE10hipError_tT0_T1_T2_T3_mRjT4_P12ihipStream_tbNS1_7vsmem_tEEUlT_E_NS1_11comp_targetILNS1_3genE0ELNS1_11target_archE4294967295ELNS1_3gpuE0ELNS1_3repE0EEENS1_30default_config_static_selectorELNS0_4arch9wavefront6targetE0EEEvSK_ ; -- Begin function _ZN7rocprim17ROCPRIM_400000_NS6detail17trampoline_kernelINS0_14default_configENS1_37merge_sort_block_sort_config_selectorIiNS0_10empty_typeEEEZNS1_21merge_sort_block_sortIS3_N6thrust23THRUST_200600_302600_NS6detail15normal_iteratorINS9_10device_ptrIiEEEESE_PS5_SF_11less_div_10IiEEE10hipError_tT0_T1_T2_T3_mRjT4_P12ihipStream_tbNS1_7vsmem_tEEUlT_E_NS1_11comp_targetILNS1_3genE0ELNS1_11target_archE4294967295ELNS1_3gpuE0ELNS1_3repE0EEENS1_30default_config_static_selectorELNS0_4arch9wavefront6targetE0EEEvSK_
	.globl	_ZN7rocprim17ROCPRIM_400000_NS6detail17trampoline_kernelINS0_14default_configENS1_37merge_sort_block_sort_config_selectorIiNS0_10empty_typeEEEZNS1_21merge_sort_block_sortIS3_N6thrust23THRUST_200600_302600_NS6detail15normal_iteratorINS9_10device_ptrIiEEEESE_PS5_SF_11less_div_10IiEEE10hipError_tT0_T1_T2_T3_mRjT4_P12ihipStream_tbNS1_7vsmem_tEEUlT_E_NS1_11comp_targetILNS1_3genE0ELNS1_11target_archE4294967295ELNS1_3gpuE0ELNS1_3repE0EEENS1_30default_config_static_selectorELNS0_4arch9wavefront6targetE0EEEvSK_
	.p2align	8
	.type	_ZN7rocprim17ROCPRIM_400000_NS6detail17trampoline_kernelINS0_14default_configENS1_37merge_sort_block_sort_config_selectorIiNS0_10empty_typeEEEZNS1_21merge_sort_block_sortIS3_N6thrust23THRUST_200600_302600_NS6detail15normal_iteratorINS9_10device_ptrIiEEEESE_PS5_SF_11less_div_10IiEEE10hipError_tT0_T1_T2_T3_mRjT4_P12ihipStream_tbNS1_7vsmem_tEEUlT_E_NS1_11comp_targetILNS1_3genE0ELNS1_11target_archE4294967295ELNS1_3gpuE0ELNS1_3repE0EEENS1_30default_config_static_selectorELNS0_4arch9wavefront6targetE0EEEvSK_,@function
_ZN7rocprim17ROCPRIM_400000_NS6detail17trampoline_kernelINS0_14default_configENS1_37merge_sort_block_sort_config_selectorIiNS0_10empty_typeEEEZNS1_21merge_sort_block_sortIS3_N6thrust23THRUST_200600_302600_NS6detail15normal_iteratorINS9_10device_ptrIiEEEESE_PS5_SF_11less_div_10IiEEE10hipError_tT0_T1_T2_T3_mRjT4_P12ihipStream_tbNS1_7vsmem_tEEUlT_E_NS1_11comp_targetILNS1_3genE0ELNS1_11target_archE4294967295ELNS1_3gpuE0ELNS1_3repE0EEENS1_30default_config_static_selectorELNS0_4arch9wavefront6targetE0EEEvSK_: ; @_ZN7rocprim17ROCPRIM_400000_NS6detail17trampoline_kernelINS0_14default_configENS1_37merge_sort_block_sort_config_selectorIiNS0_10empty_typeEEEZNS1_21merge_sort_block_sortIS3_N6thrust23THRUST_200600_302600_NS6detail15normal_iteratorINS9_10device_ptrIiEEEESE_PS5_SF_11less_div_10IiEEE10hipError_tT0_T1_T2_T3_mRjT4_P12ihipStream_tbNS1_7vsmem_tEEUlT_E_NS1_11comp_targetILNS1_3genE0ELNS1_11target_archE4294967295ELNS1_3gpuE0ELNS1_3repE0EEENS1_30default_config_static_selectorELNS0_4arch9wavefront6targetE0EEEvSK_
; %bb.0:
	.section	.rodata,"a",@progbits
	.p2align	6, 0x0
	.amdhsa_kernel _ZN7rocprim17ROCPRIM_400000_NS6detail17trampoline_kernelINS0_14default_configENS1_37merge_sort_block_sort_config_selectorIiNS0_10empty_typeEEEZNS1_21merge_sort_block_sortIS3_N6thrust23THRUST_200600_302600_NS6detail15normal_iteratorINS9_10device_ptrIiEEEESE_PS5_SF_11less_div_10IiEEE10hipError_tT0_T1_T2_T3_mRjT4_P12ihipStream_tbNS1_7vsmem_tEEUlT_E_NS1_11comp_targetILNS1_3genE0ELNS1_11target_archE4294967295ELNS1_3gpuE0ELNS1_3repE0EEENS1_30default_config_static_selectorELNS0_4arch9wavefront6targetE0EEEvSK_
		.amdhsa_group_segment_fixed_size 0
		.amdhsa_private_segment_fixed_size 0
		.amdhsa_kernarg_size 64
		.amdhsa_user_sgpr_count 6
		.amdhsa_user_sgpr_private_segment_buffer 1
		.amdhsa_user_sgpr_dispatch_ptr 0
		.amdhsa_user_sgpr_queue_ptr 0
		.amdhsa_user_sgpr_kernarg_segment_ptr 1
		.amdhsa_user_sgpr_dispatch_id 0
		.amdhsa_user_sgpr_flat_scratch_init 0
		.amdhsa_user_sgpr_private_segment_size 0
		.amdhsa_wavefront_size32 1
		.amdhsa_uses_dynamic_stack 0
		.amdhsa_system_sgpr_private_segment_wavefront_offset 0
		.amdhsa_system_sgpr_workgroup_id_x 1
		.amdhsa_system_sgpr_workgroup_id_y 0
		.amdhsa_system_sgpr_workgroup_id_z 0
		.amdhsa_system_sgpr_workgroup_info 0
		.amdhsa_system_vgpr_workitem_id 0
		.amdhsa_next_free_vgpr 1
		.amdhsa_next_free_sgpr 1
		.amdhsa_reserve_vcc 0
		.amdhsa_reserve_flat_scratch 0
		.amdhsa_float_round_mode_32 0
		.amdhsa_float_round_mode_16_64 0
		.amdhsa_float_denorm_mode_32 3
		.amdhsa_float_denorm_mode_16_64 3
		.amdhsa_dx10_clamp 1
		.amdhsa_ieee_mode 1
		.amdhsa_fp16_overflow 0
		.amdhsa_workgroup_processor_mode 1
		.amdhsa_memory_ordered 1
		.amdhsa_forward_progress 1
		.amdhsa_shared_vgpr_count 0
		.amdhsa_exception_fp_ieee_invalid_op 0
		.amdhsa_exception_fp_denorm_src 0
		.amdhsa_exception_fp_ieee_div_zero 0
		.amdhsa_exception_fp_ieee_overflow 0
		.amdhsa_exception_fp_ieee_underflow 0
		.amdhsa_exception_fp_ieee_inexact 0
		.amdhsa_exception_int_div_zero 0
	.end_amdhsa_kernel
	.section	.text._ZN7rocprim17ROCPRIM_400000_NS6detail17trampoline_kernelINS0_14default_configENS1_37merge_sort_block_sort_config_selectorIiNS0_10empty_typeEEEZNS1_21merge_sort_block_sortIS3_N6thrust23THRUST_200600_302600_NS6detail15normal_iteratorINS9_10device_ptrIiEEEESE_PS5_SF_11less_div_10IiEEE10hipError_tT0_T1_T2_T3_mRjT4_P12ihipStream_tbNS1_7vsmem_tEEUlT_E_NS1_11comp_targetILNS1_3genE0ELNS1_11target_archE4294967295ELNS1_3gpuE0ELNS1_3repE0EEENS1_30default_config_static_selectorELNS0_4arch9wavefront6targetE0EEEvSK_,"axG",@progbits,_ZN7rocprim17ROCPRIM_400000_NS6detail17trampoline_kernelINS0_14default_configENS1_37merge_sort_block_sort_config_selectorIiNS0_10empty_typeEEEZNS1_21merge_sort_block_sortIS3_N6thrust23THRUST_200600_302600_NS6detail15normal_iteratorINS9_10device_ptrIiEEEESE_PS5_SF_11less_div_10IiEEE10hipError_tT0_T1_T2_T3_mRjT4_P12ihipStream_tbNS1_7vsmem_tEEUlT_E_NS1_11comp_targetILNS1_3genE0ELNS1_11target_archE4294967295ELNS1_3gpuE0ELNS1_3repE0EEENS1_30default_config_static_selectorELNS0_4arch9wavefront6targetE0EEEvSK_,comdat
.Lfunc_end420:
	.size	_ZN7rocprim17ROCPRIM_400000_NS6detail17trampoline_kernelINS0_14default_configENS1_37merge_sort_block_sort_config_selectorIiNS0_10empty_typeEEEZNS1_21merge_sort_block_sortIS3_N6thrust23THRUST_200600_302600_NS6detail15normal_iteratorINS9_10device_ptrIiEEEESE_PS5_SF_11less_div_10IiEEE10hipError_tT0_T1_T2_T3_mRjT4_P12ihipStream_tbNS1_7vsmem_tEEUlT_E_NS1_11comp_targetILNS1_3genE0ELNS1_11target_archE4294967295ELNS1_3gpuE0ELNS1_3repE0EEENS1_30default_config_static_selectorELNS0_4arch9wavefront6targetE0EEEvSK_, .Lfunc_end420-_ZN7rocprim17ROCPRIM_400000_NS6detail17trampoline_kernelINS0_14default_configENS1_37merge_sort_block_sort_config_selectorIiNS0_10empty_typeEEEZNS1_21merge_sort_block_sortIS3_N6thrust23THRUST_200600_302600_NS6detail15normal_iteratorINS9_10device_ptrIiEEEESE_PS5_SF_11less_div_10IiEEE10hipError_tT0_T1_T2_T3_mRjT4_P12ihipStream_tbNS1_7vsmem_tEEUlT_E_NS1_11comp_targetILNS1_3genE0ELNS1_11target_archE4294967295ELNS1_3gpuE0ELNS1_3repE0EEENS1_30default_config_static_selectorELNS0_4arch9wavefront6targetE0EEEvSK_
                                        ; -- End function
	.set _ZN7rocprim17ROCPRIM_400000_NS6detail17trampoline_kernelINS0_14default_configENS1_37merge_sort_block_sort_config_selectorIiNS0_10empty_typeEEEZNS1_21merge_sort_block_sortIS3_N6thrust23THRUST_200600_302600_NS6detail15normal_iteratorINS9_10device_ptrIiEEEESE_PS5_SF_11less_div_10IiEEE10hipError_tT0_T1_T2_T3_mRjT4_P12ihipStream_tbNS1_7vsmem_tEEUlT_E_NS1_11comp_targetILNS1_3genE0ELNS1_11target_archE4294967295ELNS1_3gpuE0ELNS1_3repE0EEENS1_30default_config_static_selectorELNS0_4arch9wavefront6targetE0EEEvSK_.num_vgpr, 0
	.set _ZN7rocprim17ROCPRIM_400000_NS6detail17trampoline_kernelINS0_14default_configENS1_37merge_sort_block_sort_config_selectorIiNS0_10empty_typeEEEZNS1_21merge_sort_block_sortIS3_N6thrust23THRUST_200600_302600_NS6detail15normal_iteratorINS9_10device_ptrIiEEEESE_PS5_SF_11less_div_10IiEEE10hipError_tT0_T1_T2_T3_mRjT4_P12ihipStream_tbNS1_7vsmem_tEEUlT_E_NS1_11comp_targetILNS1_3genE0ELNS1_11target_archE4294967295ELNS1_3gpuE0ELNS1_3repE0EEENS1_30default_config_static_selectorELNS0_4arch9wavefront6targetE0EEEvSK_.num_agpr, 0
	.set _ZN7rocprim17ROCPRIM_400000_NS6detail17trampoline_kernelINS0_14default_configENS1_37merge_sort_block_sort_config_selectorIiNS0_10empty_typeEEEZNS1_21merge_sort_block_sortIS3_N6thrust23THRUST_200600_302600_NS6detail15normal_iteratorINS9_10device_ptrIiEEEESE_PS5_SF_11less_div_10IiEEE10hipError_tT0_T1_T2_T3_mRjT4_P12ihipStream_tbNS1_7vsmem_tEEUlT_E_NS1_11comp_targetILNS1_3genE0ELNS1_11target_archE4294967295ELNS1_3gpuE0ELNS1_3repE0EEENS1_30default_config_static_selectorELNS0_4arch9wavefront6targetE0EEEvSK_.numbered_sgpr, 0
	.set _ZN7rocprim17ROCPRIM_400000_NS6detail17trampoline_kernelINS0_14default_configENS1_37merge_sort_block_sort_config_selectorIiNS0_10empty_typeEEEZNS1_21merge_sort_block_sortIS3_N6thrust23THRUST_200600_302600_NS6detail15normal_iteratorINS9_10device_ptrIiEEEESE_PS5_SF_11less_div_10IiEEE10hipError_tT0_T1_T2_T3_mRjT4_P12ihipStream_tbNS1_7vsmem_tEEUlT_E_NS1_11comp_targetILNS1_3genE0ELNS1_11target_archE4294967295ELNS1_3gpuE0ELNS1_3repE0EEENS1_30default_config_static_selectorELNS0_4arch9wavefront6targetE0EEEvSK_.num_named_barrier, 0
	.set _ZN7rocprim17ROCPRIM_400000_NS6detail17trampoline_kernelINS0_14default_configENS1_37merge_sort_block_sort_config_selectorIiNS0_10empty_typeEEEZNS1_21merge_sort_block_sortIS3_N6thrust23THRUST_200600_302600_NS6detail15normal_iteratorINS9_10device_ptrIiEEEESE_PS5_SF_11less_div_10IiEEE10hipError_tT0_T1_T2_T3_mRjT4_P12ihipStream_tbNS1_7vsmem_tEEUlT_E_NS1_11comp_targetILNS1_3genE0ELNS1_11target_archE4294967295ELNS1_3gpuE0ELNS1_3repE0EEENS1_30default_config_static_selectorELNS0_4arch9wavefront6targetE0EEEvSK_.private_seg_size, 0
	.set _ZN7rocprim17ROCPRIM_400000_NS6detail17trampoline_kernelINS0_14default_configENS1_37merge_sort_block_sort_config_selectorIiNS0_10empty_typeEEEZNS1_21merge_sort_block_sortIS3_N6thrust23THRUST_200600_302600_NS6detail15normal_iteratorINS9_10device_ptrIiEEEESE_PS5_SF_11less_div_10IiEEE10hipError_tT0_T1_T2_T3_mRjT4_P12ihipStream_tbNS1_7vsmem_tEEUlT_E_NS1_11comp_targetILNS1_3genE0ELNS1_11target_archE4294967295ELNS1_3gpuE0ELNS1_3repE0EEENS1_30default_config_static_selectorELNS0_4arch9wavefront6targetE0EEEvSK_.uses_vcc, 0
	.set _ZN7rocprim17ROCPRIM_400000_NS6detail17trampoline_kernelINS0_14default_configENS1_37merge_sort_block_sort_config_selectorIiNS0_10empty_typeEEEZNS1_21merge_sort_block_sortIS3_N6thrust23THRUST_200600_302600_NS6detail15normal_iteratorINS9_10device_ptrIiEEEESE_PS5_SF_11less_div_10IiEEE10hipError_tT0_T1_T2_T3_mRjT4_P12ihipStream_tbNS1_7vsmem_tEEUlT_E_NS1_11comp_targetILNS1_3genE0ELNS1_11target_archE4294967295ELNS1_3gpuE0ELNS1_3repE0EEENS1_30default_config_static_selectorELNS0_4arch9wavefront6targetE0EEEvSK_.uses_flat_scratch, 0
	.set _ZN7rocprim17ROCPRIM_400000_NS6detail17trampoline_kernelINS0_14default_configENS1_37merge_sort_block_sort_config_selectorIiNS0_10empty_typeEEEZNS1_21merge_sort_block_sortIS3_N6thrust23THRUST_200600_302600_NS6detail15normal_iteratorINS9_10device_ptrIiEEEESE_PS5_SF_11less_div_10IiEEE10hipError_tT0_T1_T2_T3_mRjT4_P12ihipStream_tbNS1_7vsmem_tEEUlT_E_NS1_11comp_targetILNS1_3genE0ELNS1_11target_archE4294967295ELNS1_3gpuE0ELNS1_3repE0EEENS1_30default_config_static_selectorELNS0_4arch9wavefront6targetE0EEEvSK_.has_dyn_sized_stack, 0
	.set _ZN7rocprim17ROCPRIM_400000_NS6detail17trampoline_kernelINS0_14default_configENS1_37merge_sort_block_sort_config_selectorIiNS0_10empty_typeEEEZNS1_21merge_sort_block_sortIS3_N6thrust23THRUST_200600_302600_NS6detail15normal_iteratorINS9_10device_ptrIiEEEESE_PS5_SF_11less_div_10IiEEE10hipError_tT0_T1_T2_T3_mRjT4_P12ihipStream_tbNS1_7vsmem_tEEUlT_E_NS1_11comp_targetILNS1_3genE0ELNS1_11target_archE4294967295ELNS1_3gpuE0ELNS1_3repE0EEENS1_30default_config_static_selectorELNS0_4arch9wavefront6targetE0EEEvSK_.has_recursion, 0
	.set _ZN7rocprim17ROCPRIM_400000_NS6detail17trampoline_kernelINS0_14default_configENS1_37merge_sort_block_sort_config_selectorIiNS0_10empty_typeEEEZNS1_21merge_sort_block_sortIS3_N6thrust23THRUST_200600_302600_NS6detail15normal_iteratorINS9_10device_ptrIiEEEESE_PS5_SF_11less_div_10IiEEE10hipError_tT0_T1_T2_T3_mRjT4_P12ihipStream_tbNS1_7vsmem_tEEUlT_E_NS1_11comp_targetILNS1_3genE0ELNS1_11target_archE4294967295ELNS1_3gpuE0ELNS1_3repE0EEENS1_30default_config_static_selectorELNS0_4arch9wavefront6targetE0EEEvSK_.has_indirect_call, 0
	.section	.AMDGPU.csdata,"",@progbits
; Kernel info:
; codeLenInByte = 0
; TotalNumSgprs: 0
; NumVgprs: 0
; ScratchSize: 0
; MemoryBound: 0
; FloatMode: 240
; IeeeMode: 1
; LDSByteSize: 0 bytes/workgroup (compile time only)
; SGPRBlocks: 0
; VGPRBlocks: 0
; NumSGPRsForWavesPerEU: 1
; NumVGPRsForWavesPerEU: 1
; Occupancy: 16
; WaveLimiterHint : 0
; COMPUTE_PGM_RSRC2:SCRATCH_EN: 0
; COMPUTE_PGM_RSRC2:USER_SGPR: 6
; COMPUTE_PGM_RSRC2:TRAP_HANDLER: 0
; COMPUTE_PGM_RSRC2:TGID_X_EN: 1
; COMPUTE_PGM_RSRC2:TGID_Y_EN: 0
; COMPUTE_PGM_RSRC2:TGID_Z_EN: 0
; COMPUTE_PGM_RSRC2:TIDIG_COMP_CNT: 0
	.section	.text._ZN7rocprim17ROCPRIM_400000_NS6detail17trampoline_kernelINS0_14default_configENS1_37merge_sort_block_sort_config_selectorIiNS0_10empty_typeEEEZNS1_21merge_sort_block_sortIS3_N6thrust23THRUST_200600_302600_NS6detail15normal_iteratorINS9_10device_ptrIiEEEESE_PS5_SF_11less_div_10IiEEE10hipError_tT0_T1_T2_T3_mRjT4_P12ihipStream_tbNS1_7vsmem_tEEUlT_E_NS1_11comp_targetILNS1_3genE5ELNS1_11target_archE942ELNS1_3gpuE9ELNS1_3repE0EEENS1_30default_config_static_selectorELNS0_4arch9wavefront6targetE0EEEvSK_,"axG",@progbits,_ZN7rocprim17ROCPRIM_400000_NS6detail17trampoline_kernelINS0_14default_configENS1_37merge_sort_block_sort_config_selectorIiNS0_10empty_typeEEEZNS1_21merge_sort_block_sortIS3_N6thrust23THRUST_200600_302600_NS6detail15normal_iteratorINS9_10device_ptrIiEEEESE_PS5_SF_11less_div_10IiEEE10hipError_tT0_T1_T2_T3_mRjT4_P12ihipStream_tbNS1_7vsmem_tEEUlT_E_NS1_11comp_targetILNS1_3genE5ELNS1_11target_archE942ELNS1_3gpuE9ELNS1_3repE0EEENS1_30default_config_static_selectorELNS0_4arch9wavefront6targetE0EEEvSK_,comdat
	.protected	_ZN7rocprim17ROCPRIM_400000_NS6detail17trampoline_kernelINS0_14default_configENS1_37merge_sort_block_sort_config_selectorIiNS0_10empty_typeEEEZNS1_21merge_sort_block_sortIS3_N6thrust23THRUST_200600_302600_NS6detail15normal_iteratorINS9_10device_ptrIiEEEESE_PS5_SF_11less_div_10IiEEE10hipError_tT0_T1_T2_T3_mRjT4_P12ihipStream_tbNS1_7vsmem_tEEUlT_E_NS1_11comp_targetILNS1_3genE5ELNS1_11target_archE942ELNS1_3gpuE9ELNS1_3repE0EEENS1_30default_config_static_selectorELNS0_4arch9wavefront6targetE0EEEvSK_ ; -- Begin function _ZN7rocprim17ROCPRIM_400000_NS6detail17trampoline_kernelINS0_14default_configENS1_37merge_sort_block_sort_config_selectorIiNS0_10empty_typeEEEZNS1_21merge_sort_block_sortIS3_N6thrust23THRUST_200600_302600_NS6detail15normal_iteratorINS9_10device_ptrIiEEEESE_PS5_SF_11less_div_10IiEEE10hipError_tT0_T1_T2_T3_mRjT4_P12ihipStream_tbNS1_7vsmem_tEEUlT_E_NS1_11comp_targetILNS1_3genE5ELNS1_11target_archE942ELNS1_3gpuE9ELNS1_3repE0EEENS1_30default_config_static_selectorELNS0_4arch9wavefront6targetE0EEEvSK_
	.globl	_ZN7rocprim17ROCPRIM_400000_NS6detail17trampoline_kernelINS0_14default_configENS1_37merge_sort_block_sort_config_selectorIiNS0_10empty_typeEEEZNS1_21merge_sort_block_sortIS3_N6thrust23THRUST_200600_302600_NS6detail15normal_iteratorINS9_10device_ptrIiEEEESE_PS5_SF_11less_div_10IiEEE10hipError_tT0_T1_T2_T3_mRjT4_P12ihipStream_tbNS1_7vsmem_tEEUlT_E_NS1_11comp_targetILNS1_3genE5ELNS1_11target_archE942ELNS1_3gpuE9ELNS1_3repE0EEENS1_30default_config_static_selectorELNS0_4arch9wavefront6targetE0EEEvSK_
	.p2align	8
	.type	_ZN7rocprim17ROCPRIM_400000_NS6detail17trampoline_kernelINS0_14default_configENS1_37merge_sort_block_sort_config_selectorIiNS0_10empty_typeEEEZNS1_21merge_sort_block_sortIS3_N6thrust23THRUST_200600_302600_NS6detail15normal_iteratorINS9_10device_ptrIiEEEESE_PS5_SF_11less_div_10IiEEE10hipError_tT0_T1_T2_T3_mRjT4_P12ihipStream_tbNS1_7vsmem_tEEUlT_E_NS1_11comp_targetILNS1_3genE5ELNS1_11target_archE942ELNS1_3gpuE9ELNS1_3repE0EEENS1_30default_config_static_selectorELNS0_4arch9wavefront6targetE0EEEvSK_,@function
_ZN7rocprim17ROCPRIM_400000_NS6detail17trampoline_kernelINS0_14default_configENS1_37merge_sort_block_sort_config_selectorIiNS0_10empty_typeEEEZNS1_21merge_sort_block_sortIS3_N6thrust23THRUST_200600_302600_NS6detail15normal_iteratorINS9_10device_ptrIiEEEESE_PS5_SF_11less_div_10IiEEE10hipError_tT0_T1_T2_T3_mRjT4_P12ihipStream_tbNS1_7vsmem_tEEUlT_E_NS1_11comp_targetILNS1_3genE5ELNS1_11target_archE942ELNS1_3gpuE9ELNS1_3repE0EEENS1_30default_config_static_selectorELNS0_4arch9wavefront6targetE0EEEvSK_: ; @_ZN7rocprim17ROCPRIM_400000_NS6detail17trampoline_kernelINS0_14default_configENS1_37merge_sort_block_sort_config_selectorIiNS0_10empty_typeEEEZNS1_21merge_sort_block_sortIS3_N6thrust23THRUST_200600_302600_NS6detail15normal_iteratorINS9_10device_ptrIiEEEESE_PS5_SF_11less_div_10IiEEE10hipError_tT0_T1_T2_T3_mRjT4_P12ihipStream_tbNS1_7vsmem_tEEUlT_E_NS1_11comp_targetILNS1_3genE5ELNS1_11target_archE942ELNS1_3gpuE9ELNS1_3repE0EEENS1_30default_config_static_selectorELNS0_4arch9wavefront6targetE0EEEvSK_
; %bb.0:
	.section	.rodata,"a",@progbits
	.p2align	6, 0x0
	.amdhsa_kernel _ZN7rocprim17ROCPRIM_400000_NS6detail17trampoline_kernelINS0_14default_configENS1_37merge_sort_block_sort_config_selectorIiNS0_10empty_typeEEEZNS1_21merge_sort_block_sortIS3_N6thrust23THRUST_200600_302600_NS6detail15normal_iteratorINS9_10device_ptrIiEEEESE_PS5_SF_11less_div_10IiEEE10hipError_tT0_T1_T2_T3_mRjT4_P12ihipStream_tbNS1_7vsmem_tEEUlT_E_NS1_11comp_targetILNS1_3genE5ELNS1_11target_archE942ELNS1_3gpuE9ELNS1_3repE0EEENS1_30default_config_static_selectorELNS0_4arch9wavefront6targetE0EEEvSK_
		.amdhsa_group_segment_fixed_size 0
		.amdhsa_private_segment_fixed_size 0
		.amdhsa_kernarg_size 64
		.amdhsa_user_sgpr_count 6
		.amdhsa_user_sgpr_private_segment_buffer 1
		.amdhsa_user_sgpr_dispatch_ptr 0
		.amdhsa_user_sgpr_queue_ptr 0
		.amdhsa_user_sgpr_kernarg_segment_ptr 1
		.amdhsa_user_sgpr_dispatch_id 0
		.amdhsa_user_sgpr_flat_scratch_init 0
		.amdhsa_user_sgpr_private_segment_size 0
		.amdhsa_wavefront_size32 1
		.amdhsa_uses_dynamic_stack 0
		.amdhsa_system_sgpr_private_segment_wavefront_offset 0
		.amdhsa_system_sgpr_workgroup_id_x 1
		.amdhsa_system_sgpr_workgroup_id_y 0
		.amdhsa_system_sgpr_workgroup_id_z 0
		.amdhsa_system_sgpr_workgroup_info 0
		.amdhsa_system_vgpr_workitem_id 0
		.amdhsa_next_free_vgpr 1
		.amdhsa_next_free_sgpr 1
		.amdhsa_reserve_vcc 0
		.amdhsa_reserve_flat_scratch 0
		.amdhsa_float_round_mode_32 0
		.amdhsa_float_round_mode_16_64 0
		.amdhsa_float_denorm_mode_32 3
		.amdhsa_float_denorm_mode_16_64 3
		.amdhsa_dx10_clamp 1
		.amdhsa_ieee_mode 1
		.amdhsa_fp16_overflow 0
		.amdhsa_workgroup_processor_mode 1
		.amdhsa_memory_ordered 1
		.amdhsa_forward_progress 1
		.amdhsa_shared_vgpr_count 0
		.amdhsa_exception_fp_ieee_invalid_op 0
		.amdhsa_exception_fp_denorm_src 0
		.amdhsa_exception_fp_ieee_div_zero 0
		.amdhsa_exception_fp_ieee_overflow 0
		.amdhsa_exception_fp_ieee_underflow 0
		.amdhsa_exception_fp_ieee_inexact 0
		.amdhsa_exception_int_div_zero 0
	.end_amdhsa_kernel
	.section	.text._ZN7rocprim17ROCPRIM_400000_NS6detail17trampoline_kernelINS0_14default_configENS1_37merge_sort_block_sort_config_selectorIiNS0_10empty_typeEEEZNS1_21merge_sort_block_sortIS3_N6thrust23THRUST_200600_302600_NS6detail15normal_iteratorINS9_10device_ptrIiEEEESE_PS5_SF_11less_div_10IiEEE10hipError_tT0_T1_T2_T3_mRjT4_P12ihipStream_tbNS1_7vsmem_tEEUlT_E_NS1_11comp_targetILNS1_3genE5ELNS1_11target_archE942ELNS1_3gpuE9ELNS1_3repE0EEENS1_30default_config_static_selectorELNS0_4arch9wavefront6targetE0EEEvSK_,"axG",@progbits,_ZN7rocprim17ROCPRIM_400000_NS6detail17trampoline_kernelINS0_14default_configENS1_37merge_sort_block_sort_config_selectorIiNS0_10empty_typeEEEZNS1_21merge_sort_block_sortIS3_N6thrust23THRUST_200600_302600_NS6detail15normal_iteratorINS9_10device_ptrIiEEEESE_PS5_SF_11less_div_10IiEEE10hipError_tT0_T1_T2_T3_mRjT4_P12ihipStream_tbNS1_7vsmem_tEEUlT_E_NS1_11comp_targetILNS1_3genE5ELNS1_11target_archE942ELNS1_3gpuE9ELNS1_3repE0EEENS1_30default_config_static_selectorELNS0_4arch9wavefront6targetE0EEEvSK_,comdat
.Lfunc_end421:
	.size	_ZN7rocprim17ROCPRIM_400000_NS6detail17trampoline_kernelINS0_14default_configENS1_37merge_sort_block_sort_config_selectorIiNS0_10empty_typeEEEZNS1_21merge_sort_block_sortIS3_N6thrust23THRUST_200600_302600_NS6detail15normal_iteratorINS9_10device_ptrIiEEEESE_PS5_SF_11less_div_10IiEEE10hipError_tT0_T1_T2_T3_mRjT4_P12ihipStream_tbNS1_7vsmem_tEEUlT_E_NS1_11comp_targetILNS1_3genE5ELNS1_11target_archE942ELNS1_3gpuE9ELNS1_3repE0EEENS1_30default_config_static_selectorELNS0_4arch9wavefront6targetE0EEEvSK_, .Lfunc_end421-_ZN7rocprim17ROCPRIM_400000_NS6detail17trampoline_kernelINS0_14default_configENS1_37merge_sort_block_sort_config_selectorIiNS0_10empty_typeEEEZNS1_21merge_sort_block_sortIS3_N6thrust23THRUST_200600_302600_NS6detail15normal_iteratorINS9_10device_ptrIiEEEESE_PS5_SF_11less_div_10IiEEE10hipError_tT0_T1_T2_T3_mRjT4_P12ihipStream_tbNS1_7vsmem_tEEUlT_E_NS1_11comp_targetILNS1_3genE5ELNS1_11target_archE942ELNS1_3gpuE9ELNS1_3repE0EEENS1_30default_config_static_selectorELNS0_4arch9wavefront6targetE0EEEvSK_
                                        ; -- End function
	.set _ZN7rocprim17ROCPRIM_400000_NS6detail17trampoline_kernelINS0_14default_configENS1_37merge_sort_block_sort_config_selectorIiNS0_10empty_typeEEEZNS1_21merge_sort_block_sortIS3_N6thrust23THRUST_200600_302600_NS6detail15normal_iteratorINS9_10device_ptrIiEEEESE_PS5_SF_11less_div_10IiEEE10hipError_tT0_T1_T2_T3_mRjT4_P12ihipStream_tbNS1_7vsmem_tEEUlT_E_NS1_11comp_targetILNS1_3genE5ELNS1_11target_archE942ELNS1_3gpuE9ELNS1_3repE0EEENS1_30default_config_static_selectorELNS0_4arch9wavefront6targetE0EEEvSK_.num_vgpr, 0
	.set _ZN7rocprim17ROCPRIM_400000_NS6detail17trampoline_kernelINS0_14default_configENS1_37merge_sort_block_sort_config_selectorIiNS0_10empty_typeEEEZNS1_21merge_sort_block_sortIS3_N6thrust23THRUST_200600_302600_NS6detail15normal_iteratorINS9_10device_ptrIiEEEESE_PS5_SF_11less_div_10IiEEE10hipError_tT0_T1_T2_T3_mRjT4_P12ihipStream_tbNS1_7vsmem_tEEUlT_E_NS1_11comp_targetILNS1_3genE5ELNS1_11target_archE942ELNS1_3gpuE9ELNS1_3repE0EEENS1_30default_config_static_selectorELNS0_4arch9wavefront6targetE0EEEvSK_.num_agpr, 0
	.set _ZN7rocprim17ROCPRIM_400000_NS6detail17trampoline_kernelINS0_14default_configENS1_37merge_sort_block_sort_config_selectorIiNS0_10empty_typeEEEZNS1_21merge_sort_block_sortIS3_N6thrust23THRUST_200600_302600_NS6detail15normal_iteratorINS9_10device_ptrIiEEEESE_PS5_SF_11less_div_10IiEEE10hipError_tT0_T1_T2_T3_mRjT4_P12ihipStream_tbNS1_7vsmem_tEEUlT_E_NS1_11comp_targetILNS1_3genE5ELNS1_11target_archE942ELNS1_3gpuE9ELNS1_3repE0EEENS1_30default_config_static_selectorELNS0_4arch9wavefront6targetE0EEEvSK_.numbered_sgpr, 0
	.set _ZN7rocprim17ROCPRIM_400000_NS6detail17trampoline_kernelINS0_14default_configENS1_37merge_sort_block_sort_config_selectorIiNS0_10empty_typeEEEZNS1_21merge_sort_block_sortIS3_N6thrust23THRUST_200600_302600_NS6detail15normal_iteratorINS9_10device_ptrIiEEEESE_PS5_SF_11less_div_10IiEEE10hipError_tT0_T1_T2_T3_mRjT4_P12ihipStream_tbNS1_7vsmem_tEEUlT_E_NS1_11comp_targetILNS1_3genE5ELNS1_11target_archE942ELNS1_3gpuE9ELNS1_3repE0EEENS1_30default_config_static_selectorELNS0_4arch9wavefront6targetE0EEEvSK_.num_named_barrier, 0
	.set _ZN7rocprim17ROCPRIM_400000_NS6detail17trampoline_kernelINS0_14default_configENS1_37merge_sort_block_sort_config_selectorIiNS0_10empty_typeEEEZNS1_21merge_sort_block_sortIS3_N6thrust23THRUST_200600_302600_NS6detail15normal_iteratorINS9_10device_ptrIiEEEESE_PS5_SF_11less_div_10IiEEE10hipError_tT0_T1_T2_T3_mRjT4_P12ihipStream_tbNS1_7vsmem_tEEUlT_E_NS1_11comp_targetILNS1_3genE5ELNS1_11target_archE942ELNS1_3gpuE9ELNS1_3repE0EEENS1_30default_config_static_selectorELNS0_4arch9wavefront6targetE0EEEvSK_.private_seg_size, 0
	.set _ZN7rocprim17ROCPRIM_400000_NS6detail17trampoline_kernelINS0_14default_configENS1_37merge_sort_block_sort_config_selectorIiNS0_10empty_typeEEEZNS1_21merge_sort_block_sortIS3_N6thrust23THRUST_200600_302600_NS6detail15normal_iteratorINS9_10device_ptrIiEEEESE_PS5_SF_11less_div_10IiEEE10hipError_tT0_T1_T2_T3_mRjT4_P12ihipStream_tbNS1_7vsmem_tEEUlT_E_NS1_11comp_targetILNS1_3genE5ELNS1_11target_archE942ELNS1_3gpuE9ELNS1_3repE0EEENS1_30default_config_static_selectorELNS0_4arch9wavefront6targetE0EEEvSK_.uses_vcc, 0
	.set _ZN7rocprim17ROCPRIM_400000_NS6detail17trampoline_kernelINS0_14default_configENS1_37merge_sort_block_sort_config_selectorIiNS0_10empty_typeEEEZNS1_21merge_sort_block_sortIS3_N6thrust23THRUST_200600_302600_NS6detail15normal_iteratorINS9_10device_ptrIiEEEESE_PS5_SF_11less_div_10IiEEE10hipError_tT0_T1_T2_T3_mRjT4_P12ihipStream_tbNS1_7vsmem_tEEUlT_E_NS1_11comp_targetILNS1_3genE5ELNS1_11target_archE942ELNS1_3gpuE9ELNS1_3repE0EEENS1_30default_config_static_selectorELNS0_4arch9wavefront6targetE0EEEvSK_.uses_flat_scratch, 0
	.set _ZN7rocprim17ROCPRIM_400000_NS6detail17trampoline_kernelINS0_14default_configENS1_37merge_sort_block_sort_config_selectorIiNS0_10empty_typeEEEZNS1_21merge_sort_block_sortIS3_N6thrust23THRUST_200600_302600_NS6detail15normal_iteratorINS9_10device_ptrIiEEEESE_PS5_SF_11less_div_10IiEEE10hipError_tT0_T1_T2_T3_mRjT4_P12ihipStream_tbNS1_7vsmem_tEEUlT_E_NS1_11comp_targetILNS1_3genE5ELNS1_11target_archE942ELNS1_3gpuE9ELNS1_3repE0EEENS1_30default_config_static_selectorELNS0_4arch9wavefront6targetE0EEEvSK_.has_dyn_sized_stack, 0
	.set _ZN7rocprim17ROCPRIM_400000_NS6detail17trampoline_kernelINS0_14default_configENS1_37merge_sort_block_sort_config_selectorIiNS0_10empty_typeEEEZNS1_21merge_sort_block_sortIS3_N6thrust23THRUST_200600_302600_NS6detail15normal_iteratorINS9_10device_ptrIiEEEESE_PS5_SF_11less_div_10IiEEE10hipError_tT0_T1_T2_T3_mRjT4_P12ihipStream_tbNS1_7vsmem_tEEUlT_E_NS1_11comp_targetILNS1_3genE5ELNS1_11target_archE942ELNS1_3gpuE9ELNS1_3repE0EEENS1_30default_config_static_selectorELNS0_4arch9wavefront6targetE0EEEvSK_.has_recursion, 0
	.set _ZN7rocprim17ROCPRIM_400000_NS6detail17trampoline_kernelINS0_14default_configENS1_37merge_sort_block_sort_config_selectorIiNS0_10empty_typeEEEZNS1_21merge_sort_block_sortIS3_N6thrust23THRUST_200600_302600_NS6detail15normal_iteratorINS9_10device_ptrIiEEEESE_PS5_SF_11less_div_10IiEEE10hipError_tT0_T1_T2_T3_mRjT4_P12ihipStream_tbNS1_7vsmem_tEEUlT_E_NS1_11comp_targetILNS1_3genE5ELNS1_11target_archE942ELNS1_3gpuE9ELNS1_3repE0EEENS1_30default_config_static_selectorELNS0_4arch9wavefront6targetE0EEEvSK_.has_indirect_call, 0
	.section	.AMDGPU.csdata,"",@progbits
; Kernel info:
; codeLenInByte = 0
; TotalNumSgprs: 0
; NumVgprs: 0
; ScratchSize: 0
; MemoryBound: 0
; FloatMode: 240
; IeeeMode: 1
; LDSByteSize: 0 bytes/workgroup (compile time only)
; SGPRBlocks: 0
; VGPRBlocks: 0
; NumSGPRsForWavesPerEU: 1
; NumVGPRsForWavesPerEU: 1
; Occupancy: 16
; WaveLimiterHint : 0
; COMPUTE_PGM_RSRC2:SCRATCH_EN: 0
; COMPUTE_PGM_RSRC2:USER_SGPR: 6
; COMPUTE_PGM_RSRC2:TRAP_HANDLER: 0
; COMPUTE_PGM_RSRC2:TGID_X_EN: 1
; COMPUTE_PGM_RSRC2:TGID_Y_EN: 0
; COMPUTE_PGM_RSRC2:TGID_Z_EN: 0
; COMPUTE_PGM_RSRC2:TIDIG_COMP_CNT: 0
	.section	.text._ZN7rocprim17ROCPRIM_400000_NS6detail17trampoline_kernelINS0_14default_configENS1_37merge_sort_block_sort_config_selectorIiNS0_10empty_typeEEEZNS1_21merge_sort_block_sortIS3_N6thrust23THRUST_200600_302600_NS6detail15normal_iteratorINS9_10device_ptrIiEEEESE_PS5_SF_11less_div_10IiEEE10hipError_tT0_T1_T2_T3_mRjT4_P12ihipStream_tbNS1_7vsmem_tEEUlT_E_NS1_11comp_targetILNS1_3genE4ELNS1_11target_archE910ELNS1_3gpuE8ELNS1_3repE0EEENS1_30default_config_static_selectorELNS0_4arch9wavefront6targetE0EEEvSK_,"axG",@progbits,_ZN7rocprim17ROCPRIM_400000_NS6detail17trampoline_kernelINS0_14default_configENS1_37merge_sort_block_sort_config_selectorIiNS0_10empty_typeEEEZNS1_21merge_sort_block_sortIS3_N6thrust23THRUST_200600_302600_NS6detail15normal_iteratorINS9_10device_ptrIiEEEESE_PS5_SF_11less_div_10IiEEE10hipError_tT0_T1_T2_T3_mRjT4_P12ihipStream_tbNS1_7vsmem_tEEUlT_E_NS1_11comp_targetILNS1_3genE4ELNS1_11target_archE910ELNS1_3gpuE8ELNS1_3repE0EEENS1_30default_config_static_selectorELNS0_4arch9wavefront6targetE0EEEvSK_,comdat
	.protected	_ZN7rocprim17ROCPRIM_400000_NS6detail17trampoline_kernelINS0_14default_configENS1_37merge_sort_block_sort_config_selectorIiNS0_10empty_typeEEEZNS1_21merge_sort_block_sortIS3_N6thrust23THRUST_200600_302600_NS6detail15normal_iteratorINS9_10device_ptrIiEEEESE_PS5_SF_11less_div_10IiEEE10hipError_tT0_T1_T2_T3_mRjT4_P12ihipStream_tbNS1_7vsmem_tEEUlT_E_NS1_11comp_targetILNS1_3genE4ELNS1_11target_archE910ELNS1_3gpuE8ELNS1_3repE0EEENS1_30default_config_static_selectorELNS0_4arch9wavefront6targetE0EEEvSK_ ; -- Begin function _ZN7rocprim17ROCPRIM_400000_NS6detail17trampoline_kernelINS0_14default_configENS1_37merge_sort_block_sort_config_selectorIiNS0_10empty_typeEEEZNS1_21merge_sort_block_sortIS3_N6thrust23THRUST_200600_302600_NS6detail15normal_iteratorINS9_10device_ptrIiEEEESE_PS5_SF_11less_div_10IiEEE10hipError_tT0_T1_T2_T3_mRjT4_P12ihipStream_tbNS1_7vsmem_tEEUlT_E_NS1_11comp_targetILNS1_3genE4ELNS1_11target_archE910ELNS1_3gpuE8ELNS1_3repE0EEENS1_30default_config_static_selectorELNS0_4arch9wavefront6targetE0EEEvSK_
	.globl	_ZN7rocprim17ROCPRIM_400000_NS6detail17trampoline_kernelINS0_14default_configENS1_37merge_sort_block_sort_config_selectorIiNS0_10empty_typeEEEZNS1_21merge_sort_block_sortIS3_N6thrust23THRUST_200600_302600_NS6detail15normal_iteratorINS9_10device_ptrIiEEEESE_PS5_SF_11less_div_10IiEEE10hipError_tT0_T1_T2_T3_mRjT4_P12ihipStream_tbNS1_7vsmem_tEEUlT_E_NS1_11comp_targetILNS1_3genE4ELNS1_11target_archE910ELNS1_3gpuE8ELNS1_3repE0EEENS1_30default_config_static_selectorELNS0_4arch9wavefront6targetE0EEEvSK_
	.p2align	8
	.type	_ZN7rocprim17ROCPRIM_400000_NS6detail17trampoline_kernelINS0_14default_configENS1_37merge_sort_block_sort_config_selectorIiNS0_10empty_typeEEEZNS1_21merge_sort_block_sortIS3_N6thrust23THRUST_200600_302600_NS6detail15normal_iteratorINS9_10device_ptrIiEEEESE_PS5_SF_11less_div_10IiEEE10hipError_tT0_T1_T2_T3_mRjT4_P12ihipStream_tbNS1_7vsmem_tEEUlT_E_NS1_11comp_targetILNS1_3genE4ELNS1_11target_archE910ELNS1_3gpuE8ELNS1_3repE0EEENS1_30default_config_static_selectorELNS0_4arch9wavefront6targetE0EEEvSK_,@function
_ZN7rocprim17ROCPRIM_400000_NS6detail17trampoline_kernelINS0_14default_configENS1_37merge_sort_block_sort_config_selectorIiNS0_10empty_typeEEEZNS1_21merge_sort_block_sortIS3_N6thrust23THRUST_200600_302600_NS6detail15normal_iteratorINS9_10device_ptrIiEEEESE_PS5_SF_11less_div_10IiEEE10hipError_tT0_T1_T2_T3_mRjT4_P12ihipStream_tbNS1_7vsmem_tEEUlT_E_NS1_11comp_targetILNS1_3genE4ELNS1_11target_archE910ELNS1_3gpuE8ELNS1_3repE0EEENS1_30default_config_static_selectorELNS0_4arch9wavefront6targetE0EEEvSK_: ; @_ZN7rocprim17ROCPRIM_400000_NS6detail17trampoline_kernelINS0_14default_configENS1_37merge_sort_block_sort_config_selectorIiNS0_10empty_typeEEEZNS1_21merge_sort_block_sortIS3_N6thrust23THRUST_200600_302600_NS6detail15normal_iteratorINS9_10device_ptrIiEEEESE_PS5_SF_11less_div_10IiEEE10hipError_tT0_T1_T2_T3_mRjT4_P12ihipStream_tbNS1_7vsmem_tEEUlT_E_NS1_11comp_targetILNS1_3genE4ELNS1_11target_archE910ELNS1_3gpuE8ELNS1_3repE0EEENS1_30default_config_static_selectorELNS0_4arch9wavefront6targetE0EEEvSK_
; %bb.0:
	.section	.rodata,"a",@progbits
	.p2align	6, 0x0
	.amdhsa_kernel _ZN7rocprim17ROCPRIM_400000_NS6detail17trampoline_kernelINS0_14default_configENS1_37merge_sort_block_sort_config_selectorIiNS0_10empty_typeEEEZNS1_21merge_sort_block_sortIS3_N6thrust23THRUST_200600_302600_NS6detail15normal_iteratorINS9_10device_ptrIiEEEESE_PS5_SF_11less_div_10IiEEE10hipError_tT0_T1_T2_T3_mRjT4_P12ihipStream_tbNS1_7vsmem_tEEUlT_E_NS1_11comp_targetILNS1_3genE4ELNS1_11target_archE910ELNS1_3gpuE8ELNS1_3repE0EEENS1_30default_config_static_selectorELNS0_4arch9wavefront6targetE0EEEvSK_
		.amdhsa_group_segment_fixed_size 0
		.amdhsa_private_segment_fixed_size 0
		.amdhsa_kernarg_size 64
		.amdhsa_user_sgpr_count 6
		.amdhsa_user_sgpr_private_segment_buffer 1
		.amdhsa_user_sgpr_dispatch_ptr 0
		.amdhsa_user_sgpr_queue_ptr 0
		.amdhsa_user_sgpr_kernarg_segment_ptr 1
		.amdhsa_user_sgpr_dispatch_id 0
		.amdhsa_user_sgpr_flat_scratch_init 0
		.amdhsa_user_sgpr_private_segment_size 0
		.amdhsa_wavefront_size32 1
		.amdhsa_uses_dynamic_stack 0
		.amdhsa_system_sgpr_private_segment_wavefront_offset 0
		.amdhsa_system_sgpr_workgroup_id_x 1
		.amdhsa_system_sgpr_workgroup_id_y 0
		.amdhsa_system_sgpr_workgroup_id_z 0
		.amdhsa_system_sgpr_workgroup_info 0
		.amdhsa_system_vgpr_workitem_id 0
		.amdhsa_next_free_vgpr 1
		.amdhsa_next_free_sgpr 1
		.amdhsa_reserve_vcc 0
		.amdhsa_reserve_flat_scratch 0
		.amdhsa_float_round_mode_32 0
		.amdhsa_float_round_mode_16_64 0
		.amdhsa_float_denorm_mode_32 3
		.amdhsa_float_denorm_mode_16_64 3
		.amdhsa_dx10_clamp 1
		.amdhsa_ieee_mode 1
		.amdhsa_fp16_overflow 0
		.amdhsa_workgroup_processor_mode 1
		.amdhsa_memory_ordered 1
		.amdhsa_forward_progress 1
		.amdhsa_shared_vgpr_count 0
		.amdhsa_exception_fp_ieee_invalid_op 0
		.amdhsa_exception_fp_denorm_src 0
		.amdhsa_exception_fp_ieee_div_zero 0
		.amdhsa_exception_fp_ieee_overflow 0
		.amdhsa_exception_fp_ieee_underflow 0
		.amdhsa_exception_fp_ieee_inexact 0
		.amdhsa_exception_int_div_zero 0
	.end_amdhsa_kernel
	.section	.text._ZN7rocprim17ROCPRIM_400000_NS6detail17trampoline_kernelINS0_14default_configENS1_37merge_sort_block_sort_config_selectorIiNS0_10empty_typeEEEZNS1_21merge_sort_block_sortIS3_N6thrust23THRUST_200600_302600_NS6detail15normal_iteratorINS9_10device_ptrIiEEEESE_PS5_SF_11less_div_10IiEEE10hipError_tT0_T1_T2_T3_mRjT4_P12ihipStream_tbNS1_7vsmem_tEEUlT_E_NS1_11comp_targetILNS1_3genE4ELNS1_11target_archE910ELNS1_3gpuE8ELNS1_3repE0EEENS1_30default_config_static_selectorELNS0_4arch9wavefront6targetE0EEEvSK_,"axG",@progbits,_ZN7rocprim17ROCPRIM_400000_NS6detail17trampoline_kernelINS0_14default_configENS1_37merge_sort_block_sort_config_selectorIiNS0_10empty_typeEEEZNS1_21merge_sort_block_sortIS3_N6thrust23THRUST_200600_302600_NS6detail15normal_iteratorINS9_10device_ptrIiEEEESE_PS5_SF_11less_div_10IiEEE10hipError_tT0_T1_T2_T3_mRjT4_P12ihipStream_tbNS1_7vsmem_tEEUlT_E_NS1_11comp_targetILNS1_3genE4ELNS1_11target_archE910ELNS1_3gpuE8ELNS1_3repE0EEENS1_30default_config_static_selectorELNS0_4arch9wavefront6targetE0EEEvSK_,comdat
.Lfunc_end422:
	.size	_ZN7rocprim17ROCPRIM_400000_NS6detail17trampoline_kernelINS0_14default_configENS1_37merge_sort_block_sort_config_selectorIiNS0_10empty_typeEEEZNS1_21merge_sort_block_sortIS3_N6thrust23THRUST_200600_302600_NS6detail15normal_iteratorINS9_10device_ptrIiEEEESE_PS5_SF_11less_div_10IiEEE10hipError_tT0_T1_T2_T3_mRjT4_P12ihipStream_tbNS1_7vsmem_tEEUlT_E_NS1_11comp_targetILNS1_3genE4ELNS1_11target_archE910ELNS1_3gpuE8ELNS1_3repE0EEENS1_30default_config_static_selectorELNS0_4arch9wavefront6targetE0EEEvSK_, .Lfunc_end422-_ZN7rocprim17ROCPRIM_400000_NS6detail17trampoline_kernelINS0_14default_configENS1_37merge_sort_block_sort_config_selectorIiNS0_10empty_typeEEEZNS1_21merge_sort_block_sortIS3_N6thrust23THRUST_200600_302600_NS6detail15normal_iteratorINS9_10device_ptrIiEEEESE_PS5_SF_11less_div_10IiEEE10hipError_tT0_T1_T2_T3_mRjT4_P12ihipStream_tbNS1_7vsmem_tEEUlT_E_NS1_11comp_targetILNS1_3genE4ELNS1_11target_archE910ELNS1_3gpuE8ELNS1_3repE0EEENS1_30default_config_static_selectorELNS0_4arch9wavefront6targetE0EEEvSK_
                                        ; -- End function
	.set _ZN7rocprim17ROCPRIM_400000_NS6detail17trampoline_kernelINS0_14default_configENS1_37merge_sort_block_sort_config_selectorIiNS0_10empty_typeEEEZNS1_21merge_sort_block_sortIS3_N6thrust23THRUST_200600_302600_NS6detail15normal_iteratorINS9_10device_ptrIiEEEESE_PS5_SF_11less_div_10IiEEE10hipError_tT0_T1_T2_T3_mRjT4_P12ihipStream_tbNS1_7vsmem_tEEUlT_E_NS1_11comp_targetILNS1_3genE4ELNS1_11target_archE910ELNS1_3gpuE8ELNS1_3repE0EEENS1_30default_config_static_selectorELNS0_4arch9wavefront6targetE0EEEvSK_.num_vgpr, 0
	.set _ZN7rocprim17ROCPRIM_400000_NS6detail17trampoline_kernelINS0_14default_configENS1_37merge_sort_block_sort_config_selectorIiNS0_10empty_typeEEEZNS1_21merge_sort_block_sortIS3_N6thrust23THRUST_200600_302600_NS6detail15normal_iteratorINS9_10device_ptrIiEEEESE_PS5_SF_11less_div_10IiEEE10hipError_tT0_T1_T2_T3_mRjT4_P12ihipStream_tbNS1_7vsmem_tEEUlT_E_NS1_11comp_targetILNS1_3genE4ELNS1_11target_archE910ELNS1_3gpuE8ELNS1_3repE0EEENS1_30default_config_static_selectorELNS0_4arch9wavefront6targetE0EEEvSK_.num_agpr, 0
	.set _ZN7rocprim17ROCPRIM_400000_NS6detail17trampoline_kernelINS0_14default_configENS1_37merge_sort_block_sort_config_selectorIiNS0_10empty_typeEEEZNS1_21merge_sort_block_sortIS3_N6thrust23THRUST_200600_302600_NS6detail15normal_iteratorINS9_10device_ptrIiEEEESE_PS5_SF_11less_div_10IiEEE10hipError_tT0_T1_T2_T3_mRjT4_P12ihipStream_tbNS1_7vsmem_tEEUlT_E_NS1_11comp_targetILNS1_3genE4ELNS1_11target_archE910ELNS1_3gpuE8ELNS1_3repE0EEENS1_30default_config_static_selectorELNS0_4arch9wavefront6targetE0EEEvSK_.numbered_sgpr, 0
	.set _ZN7rocprim17ROCPRIM_400000_NS6detail17trampoline_kernelINS0_14default_configENS1_37merge_sort_block_sort_config_selectorIiNS0_10empty_typeEEEZNS1_21merge_sort_block_sortIS3_N6thrust23THRUST_200600_302600_NS6detail15normal_iteratorINS9_10device_ptrIiEEEESE_PS5_SF_11less_div_10IiEEE10hipError_tT0_T1_T2_T3_mRjT4_P12ihipStream_tbNS1_7vsmem_tEEUlT_E_NS1_11comp_targetILNS1_3genE4ELNS1_11target_archE910ELNS1_3gpuE8ELNS1_3repE0EEENS1_30default_config_static_selectorELNS0_4arch9wavefront6targetE0EEEvSK_.num_named_barrier, 0
	.set _ZN7rocprim17ROCPRIM_400000_NS6detail17trampoline_kernelINS0_14default_configENS1_37merge_sort_block_sort_config_selectorIiNS0_10empty_typeEEEZNS1_21merge_sort_block_sortIS3_N6thrust23THRUST_200600_302600_NS6detail15normal_iteratorINS9_10device_ptrIiEEEESE_PS5_SF_11less_div_10IiEEE10hipError_tT0_T1_T2_T3_mRjT4_P12ihipStream_tbNS1_7vsmem_tEEUlT_E_NS1_11comp_targetILNS1_3genE4ELNS1_11target_archE910ELNS1_3gpuE8ELNS1_3repE0EEENS1_30default_config_static_selectorELNS0_4arch9wavefront6targetE0EEEvSK_.private_seg_size, 0
	.set _ZN7rocprim17ROCPRIM_400000_NS6detail17trampoline_kernelINS0_14default_configENS1_37merge_sort_block_sort_config_selectorIiNS0_10empty_typeEEEZNS1_21merge_sort_block_sortIS3_N6thrust23THRUST_200600_302600_NS6detail15normal_iteratorINS9_10device_ptrIiEEEESE_PS5_SF_11less_div_10IiEEE10hipError_tT0_T1_T2_T3_mRjT4_P12ihipStream_tbNS1_7vsmem_tEEUlT_E_NS1_11comp_targetILNS1_3genE4ELNS1_11target_archE910ELNS1_3gpuE8ELNS1_3repE0EEENS1_30default_config_static_selectorELNS0_4arch9wavefront6targetE0EEEvSK_.uses_vcc, 0
	.set _ZN7rocprim17ROCPRIM_400000_NS6detail17trampoline_kernelINS0_14default_configENS1_37merge_sort_block_sort_config_selectorIiNS0_10empty_typeEEEZNS1_21merge_sort_block_sortIS3_N6thrust23THRUST_200600_302600_NS6detail15normal_iteratorINS9_10device_ptrIiEEEESE_PS5_SF_11less_div_10IiEEE10hipError_tT0_T1_T2_T3_mRjT4_P12ihipStream_tbNS1_7vsmem_tEEUlT_E_NS1_11comp_targetILNS1_3genE4ELNS1_11target_archE910ELNS1_3gpuE8ELNS1_3repE0EEENS1_30default_config_static_selectorELNS0_4arch9wavefront6targetE0EEEvSK_.uses_flat_scratch, 0
	.set _ZN7rocprim17ROCPRIM_400000_NS6detail17trampoline_kernelINS0_14default_configENS1_37merge_sort_block_sort_config_selectorIiNS0_10empty_typeEEEZNS1_21merge_sort_block_sortIS3_N6thrust23THRUST_200600_302600_NS6detail15normal_iteratorINS9_10device_ptrIiEEEESE_PS5_SF_11less_div_10IiEEE10hipError_tT0_T1_T2_T3_mRjT4_P12ihipStream_tbNS1_7vsmem_tEEUlT_E_NS1_11comp_targetILNS1_3genE4ELNS1_11target_archE910ELNS1_3gpuE8ELNS1_3repE0EEENS1_30default_config_static_selectorELNS0_4arch9wavefront6targetE0EEEvSK_.has_dyn_sized_stack, 0
	.set _ZN7rocprim17ROCPRIM_400000_NS6detail17trampoline_kernelINS0_14default_configENS1_37merge_sort_block_sort_config_selectorIiNS0_10empty_typeEEEZNS1_21merge_sort_block_sortIS3_N6thrust23THRUST_200600_302600_NS6detail15normal_iteratorINS9_10device_ptrIiEEEESE_PS5_SF_11less_div_10IiEEE10hipError_tT0_T1_T2_T3_mRjT4_P12ihipStream_tbNS1_7vsmem_tEEUlT_E_NS1_11comp_targetILNS1_3genE4ELNS1_11target_archE910ELNS1_3gpuE8ELNS1_3repE0EEENS1_30default_config_static_selectorELNS0_4arch9wavefront6targetE0EEEvSK_.has_recursion, 0
	.set _ZN7rocprim17ROCPRIM_400000_NS6detail17trampoline_kernelINS0_14default_configENS1_37merge_sort_block_sort_config_selectorIiNS0_10empty_typeEEEZNS1_21merge_sort_block_sortIS3_N6thrust23THRUST_200600_302600_NS6detail15normal_iteratorINS9_10device_ptrIiEEEESE_PS5_SF_11less_div_10IiEEE10hipError_tT0_T1_T2_T3_mRjT4_P12ihipStream_tbNS1_7vsmem_tEEUlT_E_NS1_11comp_targetILNS1_3genE4ELNS1_11target_archE910ELNS1_3gpuE8ELNS1_3repE0EEENS1_30default_config_static_selectorELNS0_4arch9wavefront6targetE0EEEvSK_.has_indirect_call, 0
	.section	.AMDGPU.csdata,"",@progbits
; Kernel info:
; codeLenInByte = 0
; TotalNumSgprs: 0
; NumVgprs: 0
; ScratchSize: 0
; MemoryBound: 0
; FloatMode: 240
; IeeeMode: 1
; LDSByteSize: 0 bytes/workgroup (compile time only)
; SGPRBlocks: 0
; VGPRBlocks: 0
; NumSGPRsForWavesPerEU: 1
; NumVGPRsForWavesPerEU: 1
; Occupancy: 16
; WaveLimiterHint : 0
; COMPUTE_PGM_RSRC2:SCRATCH_EN: 0
; COMPUTE_PGM_RSRC2:USER_SGPR: 6
; COMPUTE_PGM_RSRC2:TRAP_HANDLER: 0
; COMPUTE_PGM_RSRC2:TGID_X_EN: 1
; COMPUTE_PGM_RSRC2:TGID_Y_EN: 0
; COMPUTE_PGM_RSRC2:TGID_Z_EN: 0
; COMPUTE_PGM_RSRC2:TIDIG_COMP_CNT: 0
	.section	.text._ZN7rocprim17ROCPRIM_400000_NS6detail17trampoline_kernelINS0_14default_configENS1_37merge_sort_block_sort_config_selectorIiNS0_10empty_typeEEEZNS1_21merge_sort_block_sortIS3_N6thrust23THRUST_200600_302600_NS6detail15normal_iteratorINS9_10device_ptrIiEEEESE_PS5_SF_11less_div_10IiEEE10hipError_tT0_T1_T2_T3_mRjT4_P12ihipStream_tbNS1_7vsmem_tEEUlT_E_NS1_11comp_targetILNS1_3genE3ELNS1_11target_archE908ELNS1_3gpuE7ELNS1_3repE0EEENS1_30default_config_static_selectorELNS0_4arch9wavefront6targetE0EEEvSK_,"axG",@progbits,_ZN7rocprim17ROCPRIM_400000_NS6detail17trampoline_kernelINS0_14default_configENS1_37merge_sort_block_sort_config_selectorIiNS0_10empty_typeEEEZNS1_21merge_sort_block_sortIS3_N6thrust23THRUST_200600_302600_NS6detail15normal_iteratorINS9_10device_ptrIiEEEESE_PS5_SF_11less_div_10IiEEE10hipError_tT0_T1_T2_T3_mRjT4_P12ihipStream_tbNS1_7vsmem_tEEUlT_E_NS1_11comp_targetILNS1_3genE3ELNS1_11target_archE908ELNS1_3gpuE7ELNS1_3repE0EEENS1_30default_config_static_selectorELNS0_4arch9wavefront6targetE0EEEvSK_,comdat
	.protected	_ZN7rocprim17ROCPRIM_400000_NS6detail17trampoline_kernelINS0_14default_configENS1_37merge_sort_block_sort_config_selectorIiNS0_10empty_typeEEEZNS1_21merge_sort_block_sortIS3_N6thrust23THRUST_200600_302600_NS6detail15normal_iteratorINS9_10device_ptrIiEEEESE_PS5_SF_11less_div_10IiEEE10hipError_tT0_T1_T2_T3_mRjT4_P12ihipStream_tbNS1_7vsmem_tEEUlT_E_NS1_11comp_targetILNS1_3genE3ELNS1_11target_archE908ELNS1_3gpuE7ELNS1_3repE0EEENS1_30default_config_static_selectorELNS0_4arch9wavefront6targetE0EEEvSK_ ; -- Begin function _ZN7rocprim17ROCPRIM_400000_NS6detail17trampoline_kernelINS0_14default_configENS1_37merge_sort_block_sort_config_selectorIiNS0_10empty_typeEEEZNS1_21merge_sort_block_sortIS3_N6thrust23THRUST_200600_302600_NS6detail15normal_iteratorINS9_10device_ptrIiEEEESE_PS5_SF_11less_div_10IiEEE10hipError_tT0_T1_T2_T3_mRjT4_P12ihipStream_tbNS1_7vsmem_tEEUlT_E_NS1_11comp_targetILNS1_3genE3ELNS1_11target_archE908ELNS1_3gpuE7ELNS1_3repE0EEENS1_30default_config_static_selectorELNS0_4arch9wavefront6targetE0EEEvSK_
	.globl	_ZN7rocprim17ROCPRIM_400000_NS6detail17trampoline_kernelINS0_14default_configENS1_37merge_sort_block_sort_config_selectorIiNS0_10empty_typeEEEZNS1_21merge_sort_block_sortIS3_N6thrust23THRUST_200600_302600_NS6detail15normal_iteratorINS9_10device_ptrIiEEEESE_PS5_SF_11less_div_10IiEEE10hipError_tT0_T1_T2_T3_mRjT4_P12ihipStream_tbNS1_7vsmem_tEEUlT_E_NS1_11comp_targetILNS1_3genE3ELNS1_11target_archE908ELNS1_3gpuE7ELNS1_3repE0EEENS1_30default_config_static_selectorELNS0_4arch9wavefront6targetE0EEEvSK_
	.p2align	8
	.type	_ZN7rocprim17ROCPRIM_400000_NS6detail17trampoline_kernelINS0_14default_configENS1_37merge_sort_block_sort_config_selectorIiNS0_10empty_typeEEEZNS1_21merge_sort_block_sortIS3_N6thrust23THRUST_200600_302600_NS6detail15normal_iteratorINS9_10device_ptrIiEEEESE_PS5_SF_11less_div_10IiEEE10hipError_tT0_T1_T2_T3_mRjT4_P12ihipStream_tbNS1_7vsmem_tEEUlT_E_NS1_11comp_targetILNS1_3genE3ELNS1_11target_archE908ELNS1_3gpuE7ELNS1_3repE0EEENS1_30default_config_static_selectorELNS0_4arch9wavefront6targetE0EEEvSK_,@function
_ZN7rocprim17ROCPRIM_400000_NS6detail17trampoline_kernelINS0_14default_configENS1_37merge_sort_block_sort_config_selectorIiNS0_10empty_typeEEEZNS1_21merge_sort_block_sortIS3_N6thrust23THRUST_200600_302600_NS6detail15normal_iteratorINS9_10device_ptrIiEEEESE_PS5_SF_11less_div_10IiEEE10hipError_tT0_T1_T2_T3_mRjT4_P12ihipStream_tbNS1_7vsmem_tEEUlT_E_NS1_11comp_targetILNS1_3genE3ELNS1_11target_archE908ELNS1_3gpuE7ELNS1_3repE0EEENS1_30default_config_static_selectorELNS0_4arch9wavefront6targetE0EEEvSK_: ; @_ZN7rocprim17ROCPRIM_400000_NS6detail17trampoline_kernelINS0_14default_configENS1_37merge_sort_block_sort_config_selectorIiNS0_10empty_typeEEEZNS1_21merge_sort_block_sortIS3_N6thrust23THRUST_200600_302600_NS6detail15normal_iteratorINS9_10device_ptrIiEEEESE_PS5_SF_11less_div_10IiEEE10hipError_tT0_T1_T2_T3_mRjT4_P12ihipStream_tbNS1_7vsmem_tEEUlT_E_NS1_11comp_targetILNS1_3genE3ELNS1_11target_archE908ELNS1_3gpuE7ELNS1_3repE0EEENS1_30default_config_static_selectorELNS0_4arch9wavefront6targetE0EEEvSK_
; %bb.0:
	.section	.rodata,"a",@progbits
	.p2align	6, 0x0
	.amdhsa_kernel _ZN7rocprim17ROCPRIM_400000_NS6detail17trampoline_kernelINS0_14default_configENS1_37merge_sort_block_sort_config_selectorIiNS0_10empty_typeEEEZNS1_21merge_sort_block_sortIS3_N6thrust23THRUST_200600_302600_NS6detail15normal_iteratorINS9_10device_ptrIiEEEESE_PS5_SF_11less_div_10IiEEE10hipError_tT0_T1_T2_T3_mRjT4_P12ihipStream_tbNS1_7vsmem_tEEUlT_E_NS1_11comp_targetILNS1_3genE3ELNS1_11target_archE908ELNS1_3gpuE7ELNS1_3repE0EEENS1_30default_config_static_selectorELNS0_4arch9wavefront6targetE0EEEvSK_
		.amdhsa_group_segment_fixed_size 0
		.amdhsa_private_segment_fixed_size 0
		.amdhsa_kernarg_size 64
		.amdhsa_user_sgpr_count 6
		.amdhsa_user_sgpr_private_segment_buffer 1
		.amdhsa_user_sgpr_dispatch_ptr 0
		.amdhsa_user_sgpr_queue_ptr 0
		.amdhsa_user_sgpr_kernarg_segment_ptr 1
		.amdhsa_user_sgpr_dispatch_id 0
		.amdhsa_user_sgpr_flat_scratch_init 0
		.amdhsa_user_sgpr_private_segment_size 0
		.amdhsa_wavefront_size32 1
		.amdhsa_uses_dynamic_stack 0
		.amdhsa_system_sgpr_private_segment_wavefront_offset 0
		.amdhsa_system_sgpr_workgroup_id_x 1
		.amdhsa_system_sgpr_workgroup_id_y 0
		.amdhsa_system_sgpr_workgroup_id_z 0
		.amdhsa_system_sgpr_workgroup_info 0
		.amdhsa_system_vgpr_workitem_id 0
		.amdhsa_next_free_vgpr 1
		.amdhsa_next_free_sgpr 1
		.amdhsa_reserve_vcc 0
		.amdhsa_reserve_flat_scratch 0
		.amdhsa_float_round_mode_32 0
		.amdhsa_float_round_mode_16_64 0
		.amdhsa_float_denorm_mode_32 3
		.amdhsa_float_denorm_mode_16_64 3
		.amdhsa_dx10_clamp 1
		.amdhsa_ieee_mode 1
		.amdhsa_fp16_overflow 0
		.amdhsa_workgroup_processor_mode 1
		.amdhsa_memory_ordered 1
		.amdhsa_forward_progress 1
		.amdhsa_shared_vgpr_count 0
		.amdhsa_exception_fp_ieee_invalid_op 0
		.amdhsa_exception_fp_denorm_src 0
		.amdhsa_exception_fp_ieee_div_zero 0
		.amdhsa_exception_fp_ieee_overflow 0
		.amdhsa_exception_fp_ieee_underflow 0
		.amdhsa_exception_fp_ieee_inexact 0
		.amdhsa_exception_int_div_zero 0
	.end_amdhsa_kernel
	.section	.text._ZN7rocprim17ROCPRIM_400000_NS6detail17trampoline_kernelINS0_14default_configENS1_37merge_sort_block_sort_config_selectorIiNS0_10empty_typeEEEZNS1_21merge_sort_block_sortIS3_N6thrust23THRUST_200600_302600_NS6detail15normal_iteratorINS9_10device_ptrIiEEEESE_PS5_SF_11less_div_10IiEEE10hipError_tT0_T1_T2_T3_mRjT4_P12ihipStream_tbNS1_7vsmem_tEEUlT_E_NS1_11comp_targetILNS1_3genE3ELNS1_11target_archE908ELNS1_3gpuE7ELNS1_3repE0EEENS1_30default_config_static_selectorELNS0_4arch9wavefront6targetE0EEEvSK_,"axG",@progbits,_ZN7rocprim17ROCPRIM_400000_NS6detail17trampoline_kernelINS0_14default_configENS1_37merge_sort_block_sort_config_selectorIiNS0_10empty_typeEEEZNS1_21merge_sort_block_sortIS3_N6thrust23THRUST_200600_302600_NS6detail15normal_iteratorINS9_10device_ptrIiEEEESE_PS5_SF_11less_div_10IiEEE10hipError_tT0_T1_T2_T3_mRjT4_P12ihipStream_tbNS1_7vsmem_tEEUlT_E_NS1_11comp_targetILNS1_3genE3ELNS1_11target_archE908ELNS1_3gpuE7ELNS1_3repE0EEENS1_30default_config_static_selectorELNS0_4arch9wavefront6targetE0EEEvSK_,comdat
.Lfunc_end423:
	.size	_ZN7rocprim17ROCPRIM_400000_NS6detail17trampoline_kernelINS0_14default_configENS1_37merge_sort_block_sort_config_selectorIiNS0_10empty_typeEEEZNS1_21merge_sort_block_sortIS3_N6thrust23THRUST_200600_302600_NS6detail15normal_iteratorINS9_10device_ptrIiEEEESE_PS5_SF_11less_div_10IiEEE10hipError_tT0_T1_T2_T3_mRjT4_P12ihipStream_tbNS1_7vsmem_tEEUlT_E_NS1_11comp_targetILNS1_3genE3ELNS1_11target_archE908ELNS1_3gpuE7ELNS1_3repE0EEENS1_30default_config_static_selectorELNS0_4arch9wavefront6targetE0EEEvSK_, .Lfunc_end423-_ZN7rocprim17ROCPRIM_400000_NS6detail17trampoline_kernelINS0_14default_configENS1_37merge_sort_block_sort_config_selectorIiNS0_10empty_typeEEEZNS1_21merge_sort_block_sortIS3_N6thrust23THRUST_200600_302600_NS6detail15normal_iteratorINS9_10device_ptrIiEEEESE_PS5_SF_11less_div_10IiEEE10hipError_tT0_T1_T2_T3_mRjT4_P12ihipStream_tbNS1_7vsmem_tEEUlT_E_NS1_11comp_targetILNS1_3genE3ELNS1_11target_archE908ELNS1_3gpuE7ELNS1_3repE0EEENS1_30default_config_static_selectorELNS0_4arch9wavefront6targetE0EEEvSK_
                                        ; -- End function
	.set _ZN7rocprim17ROCPRIM_400000_NS6detail17trampoline_kernelINS0_14default_configENS1_37merge_sort_block_sort_config_selectorIiNS0_10empty_typeEEEZNS1_21merge_sort_block_sortIS3_N6thrust23THRUST_200600_302600_NS6detail15normal_iteratorINS9_10device_ptrIiEEEESE_PS5_SF_11less_div_10IiEEE10hipError_tT0_T1_T2_T3_mRjT4_P12ihipStream_tbNS1_7vsmem_tEEUlT_E_NS1_11comp_targetILNS1_3genE3ELNS1_11target_archE908ELNS1_3gpuE7ELNS1_3repE0EEENS1_30default_config_static_selectorELNS0_4arch9wavefront6targetE0EEEvSK_.num_vgpr, 0
	.set _ZN7rocprim17ROCPRIM_400000_NS6detail17trampoline_kernelINS0_14default_configENS1_37merge_sort_block_sort_config_selectorIiNS0_10empty_typeEEEZNS1_21merge_sort_block_sortIS3_N6thrust23THRUST_200600_302600_NS6detail15normal_iteratorINS9_10device_ptrIiEEEESE_PS5_SF_11less_div_10IiEEE10hipError_tT0_T1_T2_T3_mRjT4_P12ihipStream_tbNS1_7vsmem_tEEUlT_E_NS1_11comp_targetILNS1_3genE3ELNS1_11target_archE908ELNS1_3gpuE7ELNS1_3repE0EEENS1_30default_config_static_selectorELNS0_4arch9wavefront6targetE0EEEvSK_.num_agpr, 0
	.set _ZN7rocprim17ROCPRIM_400000_NS6detail17trampoline_kernelINS0_14default_configENS1_37merge_sort_block_sort_config_selectorIiNS0_10empty_typeEEEZNS1_21merge_sort_block_sortIS3_N6thrust23THRUST_200600_302600_NS6detail15normal_iteratorINS9_10device_ptrIiEEEESE_PS5_SF_11less_div_10IiEEE10hipError_tT0_T1_T2_T3_mRjT4_P12ihipStream_tbNS1_7vsmem_tEEUlT_E_NS1_11comp_targetILNS1_3genE3ELNS1_11target_archE908ELNS1_3gpuE7ELNS1_3repE0EEENS1_30default_config_static_selectorELNS0_4arch9wavefront6targetE0EEEvSK_.numbered_sgpr, 0
	.set _ZN7rocprim17ROCPRIM_400000_NS6detail17trampoline_kernelINS0_14default_configENS1_37merge_sort_block_sort_config_selectorIiNS0_10empty_typeEEEZNS1_21merge_sort_block_sortIS3_N6thrust23THRUST_200600_302600_NS6detail15normal_iteratorINS9_10device_ptrIiEEEESE_PS5_SF_11less_div_10IiEEE10hipError_tT0_T1_T2_T3_mRjT4_P12ihipStream_tbNS1_7vsmem_tEEUlT_E_NS1_11comp_targetILNS1_3genE3ELNS1_11target_archE908ELNS1_3gpuE7ELNS1_3repE0EEENS1_30default_config_static_selectorELNS0_4arch9wavefront6targetE0EEEvSK_.num_named_barrier, 0
	.set _ZN7rocprim17ROCPRIM_400000_NS6detail17trampoline_kernelINS0_14default_configENS1_37merge_sort_block_sort_config_selectorIiNS0_10empty_typeEEEZNS1_21merge_sort_block_sortIS3_N6thrust23THRUST_200600_302600_NS6detail15normal_iteratorINS9_10device_ptrIiEEEESE_PS5_SF_11less_div_10IiEEE10hipError_tT0_T1_T2_T3_mRjT4_P12ihipStream_tbNS1_7vsmem_tEEUlT_E_NS1_11comp_targetILNS1_3genE3ELNS1_11target_archE908ELNS1_3gpuE7ELNS1_3repE0EEENS1_30default_config_static_selectorELNS0_4arch9wavefront6targetE0EEEvSK_.private_seg_size, 0
	.set _ZN7rocprim17ROCPRIM_400000_NS6detail17trampoline_kernelINS0_14default_configENS1_37merge_sort_block_sort_config_selectorIiNS0_10empty_typeEEEZNS1_21merge_sort_block_sortIS3_N6thrust23THRUST_200600_302600_NS6detail15normal_iteratorINS9_10device_ptrIiEEEESE_PS5_SF_11less_div_10IiEEE10hipError_tT0_T1_T2_T3_mRjT4_P12ihipStream_tbNS1_7vsmem_tEEUlT_E_NS1_11comp_targetILNS1_3genE3ELNS1_11target_archE908ELNS1_3gpuE7ELNS1_3repE0EEENS1_30default_config_static_selectorELNS0_4arch9wavefront6targetE0EEEvSK_.uses_vcc, 0
	.set _ZN7rocprim17ROCPRIM_400000_NS6detail17trampoline_kernelINS0_14default_configENS1_37merge_sort_block_sort_config_selectorIiNS0_10empty_typeEEEZNS1_21merge_sort_block_sortIS3_N6thrust23THRUST_200600_302600_NS6detail15normal_iteratorINS9_10device_ptrIiEEEESE_PS5_SF_11less_div_10IiEEE10hipError_tT0_T1_T2_T3_mRjT4_P12ihipStream_tbNS1_7vsmem_tEEUlT_E_NS1_11comp_targetILNS1_3genE3ELNS1_11target_archE908ELNS1_3gpuE7ELNS1_3repE0EEENS1_30default_config_static_selectorELNS0_4arch9wavefront6targetE0EEEvSK_.uses_flat_scratch, 0
	.set _ZN7rocprim17ROCPRIM_400000_NS6detail17trampoline_kernelINS0_14default_configENS1_37merge_sort_block_sort_config_selectorIiNS0_10empty_typeEEEZNS1_21merge_sort_block_sortIS3_N6thrust23THRUST_200600_302600_NS6detail15normal_iteratorINS9_10device_ptrIiEEEESE_PS5_SF_11less_div_10IiEEE10hipError_tT0_T1_T2_T3_mRjT4_P12ihipStream_tbNS1_7vsmem_tEEUlT_E_NS1_11comp_targetILNS1_3genE3ELNS1_11target_archE908ELNS1_3gpuE7ELNS1_3repE0EEENS1_30default_config_static_selectorELNS0_4arch9wavefront6targetE0EEEvSK_.has_dyn_sized_stack, 0
	.set _ZN7rocprim17ROCPRIM_400000_NS6detail17trampoline_kernelINS0_14default_configENS1_37merge_sort_block_sort_config_selectorIiNS0_10empty_typeEEEZNS1_21merge_sort_block_sortIS3_N6thrust23THRUST_200600_302600_NS6detail15normal_iteratorINS9_10device_ptrIiEEEESE_PS5_SF_11less_div_10IiEEE10hipError_tT0_T1_T2_T3_mRjT4_P12ihipStream_tbNS1_7vsmem_tEEUlT_E_NS1_11comp_targetILNS1_3genE3ELNS1_11target_archE908ELNS1_3gpuE7ELNS1_3repE0EEENS1_30default_config_static_selectorELNS0_4arch9wavefront6targetE0EEEvSK_.has_recursion, 0
	.set _ZN7rocprim17ROCPRIM_400000_NS6detail17trampoline_kernelINS0_14default_configENS1_37merge_sort_block_sort_config_selectorIiNS0_10empty_typeEEEZNS1_21merge_sort_block_sortIS3_N6thrust23THRUST_200600_302600_NS6detail15normal_iteratorINS9_10device_ptrIiEEEESE_PS5_SF_11less_div_10IiEEE10hipError_tT0_T1_T2_T3_mRjT4_P12ihipStream_tbNS1_7vsmem_tEEUlT_E_NS1_11comp_targetILNS1_3genE3ELNS1_11target_archE908ELNS1_3gpuE7ELNS1_3repE0EEENS1_30default_config_static_selectorELNS0_4arch9wavefront6targetE0EEEvSK_.has_indirect_call, 0
	.section	.AMDGPU.csdata,"",@progbits
; Kernel info:
; codeLenInByte = 0
; TotalNumSgprs: 0
; NumVgprs: 0
; ScratchSize: 0
; MemoryBound: 0
; FloatMode: 240
; IeeeMode: 1
; LDSByteSize: 0 bytes/workgroup (compile time only)
; SGPRBlocks: 0
; VGPRBlocks: 0
; NumSGPRsForWavesPerEU: 1
; NumVGPRsForWavesPerEU: 1
; Occupancy: 16
; WaveLimiterHint : 0
; COMPUTE_PGM_RSRC2:SCRATCH_EN: 0
; COMPUTE_PGM_RSRC2:USER_SGPR: 6
; COMPUTE_PGM_RSRC2:TRAP_HANDLER: 0
; COMPUTE_PGM_RSRC2:TGID_X_EN: 1
; COMPUTE_PGM_RSRC2:TGID_Y_EN: 0
; COMPUTE_PGM_RSRC2:TGID_Z_EN: 0
; COMPUTE_PGM_RSRC2:TIDIG_COMP_CNT: 0
	.section	.text._ZN7rocprim17ROCPRIM_400000_NS6detail17trampoline_kernelINS0_14default_configENS1_37merge_sort_block_sort_config_selectorIiNS0_10empty_typeEEEZNS1_21merge_sort_block_sortIS3_N6thrust23THRUST_200600_302600_NS6detail15normal_iteratorINS9_10device_ptrIiEEEESE_PS5_SF_11less_div_10IiEEE10hipError_tT0_T1_T2_T3_mRjT4_P12ihipStream_tbNS1_7vsmem_tEEUlT_E_NS1_11comp_targetILNS1_3genE2ELNS1_11target_archE906ELNS1_3gpuE6ELNS1_3repE0EEENS1_30default_config_static_selectorELNS0_4arch9wavefront6targetE0EEEvSK_,"axG",@progbits,_ZN7rocprim17ROCPRIM_400000_NS6detail17trampoline_kernelINS0_14default_configENS1_37merge_sort_block_sort_config_selectorIiNS0_10empty_typeEEEZNS1_21merge_sort_block_sortIS3_N6thrust23THRUST_200600_302600_NS6detail15normal_iteratorINS9_10device_ptrIiEEEESE_PS5_SF_11less_div_10IiEEE10hipError_tT0_T1_T2_T3_mRjT4_P12ihipStream_tbNS1_7vsmem_tEEUlT_E_NS1_11comp_targetILNS1_3genE2ELNS1_11target_archE906ELNS1_3gpuE6ELNS1_3repE0EEENS1_30default_config_static_selectorELNS0_4arch9wavefront6targetE0EEEvSK_,comdat
	.protected	_ZN7rocprim17ROCPRIM_400000_NS6detail17trampoline_kernelINS0_14default_configENS1_37merge_sort_block_sort_config_selectorIiNS0_10empty_typeEEEZNS1_21merge_sort_block_sortIS3_N6thrust23THRUST_200600_302600_NS6detail15normal_iteratorINS9_10device_ptrIiEEEESE_PS5_SF_11less_div_10IiEEE10hipError_tT0_T1_T2_T3_mRjT4_P12ihipStream_tbNS1_7vsmem_tEEUlT_E_NS1_11comp_targetILNS1_3genE2ELNS1_11target_archE906ELNS1_3gpuE6ELNS1_3repE0EEENS1_30default_config_static_selectorELNS0_4arch9wavefront6targetE0EEEvSK_ ; -- Begin function _ZN7rocprim17ROCPRIM_400000_NS6detail17trampoline_kernelINS0_14default_configENS1_37merge_sort_block_sort_config_selectorIiNS0_10empty_typeEEEZNS1_21merge_sort_block_sortIS3_N6thrust23THRUST_200600_302600_NS6detail15normal_iteratorINS9_10device_ptrIiEEEESE_PS5_SF_11less_div_10IiEEE10hipError_tT0_T1_T2_T3_mRjT4_P12ihipStream_tbNS1_7vsmem_tEEUlT_E_NS1_11comp_targetILNS1_3genE2ELNS1_11target_archE906ELNS1_3gpuE6ELNS1_3repE0EEENS1_30default_config_static_selectorELNS0_4arch9wavefront6targetE0EEEvSK_
	.globl	_ZN7rocprim17ROCPRIM_400000_NS6detail17trampoline_kernelINS0_14default_configENS1_37merge_sort_block_sort_config_selectorIiNS0_10empty_typeEEEZNS1_21merge_sort_block_sortIS3_N6thrust23THRUST_200600_302600_NS6detail15normal_iteratorINS9_10device_ptrIiEEEESE_PS5_SF_11less_div_10IiEEE10hipError_tT0_T1_T2_T3_mRjT4_P12ihipStream_tbNS1_7vsmem_tEEUlT_E_NS1_11comp_targetILNS1_3genE2ELNS1_11target_archE906ELNS1_3gpuE6ELNS1_3repE0EEENS1_30default_config_static_selectorELNS0_4arch9wavefront6targetE0EEEvSK_
	.p2align	8
	.type	_ZN7rocprim17ROCPRIM_400000_NS6detail17trampoline_kernelINS0_14default_configENS1_37merge_sort_block_sort_config_selectorIiNS0_10empty_typeEEEZNS1_21merge_sort_block_sortIS3_N6thrust23THRUST_200600_302600_NS6detail15normal_iteratorINS9_10device_ptrIiEEEESE_PS5_SF_11less_div_10IiEEE10hipError_tT0_T1_T2_T3_mRjT4_P12ihipStream_tbNS1_7vsmem_tEEUlT_E_NS1_11comp_targetILNS1_3genE2ELNS1_11target_archE906ELNS1_3gpuE6ELNS1_3repE0EEENS1_30default_config_static_selectorELNS0_4arch9wavefront6targetE0EEEvSK_,@function
_ZN7rocprim17ROCPRIM_400000_NS6detail17trampoline_kernelINS0_14default_configENS1_37merge_sort_block_sort_config_selectorIiNS0_10empty_typeEEEZNS1_21merge_sort_block_sortIS3_N6thrust23THRUST_200600_302600_NS6detail15normal_iteratorINS9_10device_ptrIiEEEESE_PS5_SF_11less_div_10IiEEE10hipError_tT0_T1_T2_T3_mRjT4_P12ihipStream_tbNS1_7vsmem_tEEUlT_E_NS1_11comp_targetILNS1_3genE2ELNS1_11target_archE906ELNS1_3gpuE6ELNS1_3repE0EEENS1_30default_config_static_selectorELNS0_4arch9wavefront6targetE0EEEvSK_: ; @_ZN7rocprim17ROCPRIM_400000_NS6detail17trampoline_kernelINS0_14default_configENS1_37merge_sort_block_sort_config_selectorIiNS0_10empty_typeEEEZNS1_21merge_sort_block_sortIS3_N6thrust23THRUST_200600_302600_NS6detail15normal_iteratorINS9_10device_ptrIiEEEESE_PS5_SF_11less_div_10IiEEE10hipError_tT0_T1_T2_T3_mRjT4_P12ihipStream_tbNS1_7vsmem_tEEUlT_E_NS1_11comp_targetILNS1_3genE2ELNS1_11target_archE906ELNS1_3gpuE6ELNS1_3repE0EEENS1_30default_config_static_selectorELNS0_4arch9wavefront6targetE0EEEvSK_
; %bb.0:
	.section	.rodata,"a",@progbits
	.p2align	6, 0x0
	.amdhsa_kernel _ZN7rocprim17ROCPRIM_400000_NS6detail17trampoline_kernelINS0_14default_configENS1_37merge_sort_block_sort_config_selectorIiNS0_10empty_typeEEEZNS1_21merge_sort_block_sortIS3_N6thrust23THRUST_200600_302600_NS6detail15normal_iteratorINS9_10device_ptrIiEEEESE_PS5_SF_11less_div_10IiEEE10hipError_tT0_T1_T2_T3_mRjT4_P12ihipStream_tbNS1_7vsmem_tEEUlT_E_NS1_11comp_targetILNS1_3genE2ELNS1_11target_archE906ELNS1_3gpuE6ELNS1_3repE0EEENS1_30default_config_static_selectorELNS0_4arch9wavefront6targetE0EEEvSK_
		.amdhsa_group_segment_fixed_size 0
		.amdhsa_private_segment_fixed_size 0
		.amdhsa_kernarg_size 64
		.amdhsa_user_sgpr_count 6
		.amdhsa_user_sgpr_private_segment_buffer 1
		.amdhsa_user_sgpr_dispatch_ptr 0
		.amdhsa_user_sgpr_queue_ptr 0
		.amdhsa_user_sgpr_kernarg_segment_ptr 1
		.amdhsa_user_sgpr_dispatch_id 0
		.amdhsa_user_sgpr_flat_scratch_init 0
		.amdhsa_user_sgpr_private_segment_size 0
		.amdhsa_wavefront_size32 1
		.amdhsa_uses_dynamic_stack 0
		.amdhsa_system_sgpr_private_segment_wavefront_offset 0
		.amdhsa_system_sgpr_workgroup_id_x 1
		.amdhsa_system_sgpr_workgroup_id_y 0
		.amdhsa_system_sgpr_workgroup_id_z 0
		.amdhsa_system_sgpr_workgroup_info 0
		.amdhsa_system_vgpr_workitem_id 0
		.amdhsa_next_free_vgpr 1
		.amdhsa_next_free_sgpr 1
		.amdhsa_reserve_vcc 0
		.amdhsa_reserve_flat_scratch 0
		.amdhsa_float_round_mode_32 0
		.amdhsa_float_round_mode_16_64 0
		.amdhsa_float_denorm_mode_32 3
		.amdhsa_float_denorm_mode_16_64 3
		.amdhsa_dx10_clamp 1
		.amdhsa_ieee_mode 1
		.amdhsa_fp16_overflow 0
		.amdhsa_workgroup_processor_mode 1
		.amdhsa_memory_ordered 1
		.amdhsa_forward_progress 1
		.amdhsa_shared_vgpr_count 0
		.amdhsa_exception_fp_ieee_invalid_op 0
		.amdhsa_exception_fp_denorm_src 0
		.amdhsa_exception_fp_ieee_div_zero 0
		.amdhsa_exception_fp_ieee_overflow 0
		.amdhsa_exception_fp_ieee_underflow 0
		.amdhsa_exception_fp_ieee_inexact 0
		.amdhsa_exception_int_div_zero 0
	.end_amdhsa_kernel
	.section	.text._ZN7rocprim17ROCPRIM_400000_NS6detail17trampoline_kernelINS0_14default_configENS1_37merge_sort_block_sort_config_selectorIiNS0_10empty_typeEEEZNS1_21merge_sort_block_sortIS3_N6thrust23THRUST_200600_302600_NS6detail15normal_iteratorINS9_10device_ptrIiEEEESE_PS5_SF_11less_div_10IiEEE10hipError_tT0_T1_T2_T3_mRjT4_P12ihipStream_tbNS1_7vsmem_tEEUlT_E_NS1_11comp_targetILNS1_3genE2ELNS1_11target_archE906ELNS1_3gpuE6ELNS1_3repE0EEENS1_30default_config_static_selectorELNS0_4arch9wavefront6targetE0EEEvSK_,"axG",@progbits,_ZN7rocprim17ROCPRIM_400000_NS6detail17trampoline_kernelINS0_14default_configENS1_37merge_sort_block_sort_config_selectorIiNS0_10empty_typeEEEZNS1_21merge_sort_block_sortIS3_N6thrust23THRUST_200600_302600_NS6detail15normal_iteratorINS9_10device_ptrIiEEEESE_PS5_SF_11less_div_10IiEEE10hipError_tT0_T1_T2_T3_mRjT4_P12ihipStream_tbNS1_7vsmem_tEEUlT_E_NS1_11comp_targetILNS1_3genE2ELNS1_11target_archE906ELNS1_3gpuE6ELNS1_3repE0EEENS1_30default_config_static_selectorELNS0_4arch9wavefront6targetE0EEEvSK_,comdat
.Lfunc_end424:
	.size	_ZN7rocprim17ROCPRIM_400000_NS6detail17trampoline_kernelINS0_14default_configENS1_37merge_sort_block_sort_config_selectorIiNS0_10empty_typeEEEZNS1_21merge_sort_block_sortIS3_N6thrust23THRUST_200600_302600_NS6detail15normal_iteratorINS9_10device_ptrIiEEEESE_PS5_SF_11less_div_10IiEEE10hipError_tT0_T1_T2_T3_mRjT4_P12ihipStream_tbNS1_7vsmem_tEEUlT_E_NS1_11comp_targetILNS1_3genE2ELNS1_11target_archE906ELNS1_3gpuE6ELNS1_3repE0EEENS1_30default_config_static_selectorELNS0_4arch9wavefront6targetE0EEEvSK_, .Lfunc_end424-_ZN7rocprim17ROCPRIM_400000_NS6detail17trampoline_kernelINS0_14default_configENS1_37merge_sort_block_sort_config_selectorIiNS0_10empty_typeEEEZNS1_21merge_sort_block_sortIS3_N6thrust23THRUST_200600_302600_NS6detail15normal_iteratorINS9_10device_ptrIiEEEESE_PS5_SF_11less_div_10IiEEE10hipError_tT0_T1_T2_T3_mRjT4_P12ihipStream_tbNS1_7vsmem_tEEUlT_E_NS1_11comp_targetILNS1_3genE2ELNS1_11target_archE906ELNS1_3gpuE6ELNS1_3repE0EEENS1_30default_config_static_selectorELNS0_4arch9wavefront6targetE0EEEvSK_
                                        ; -- End function
	.set _ZN7rocprim17ROCPRIM_400000_NS6detail17trampoline_kernelINS0_14default_configENS1_37merge_sort_block_sort_config_selectorIiNS0_10empty_typeEEEZNS1_21merge_sort_block_sortIS3_N6thrust23THRUST_200600_302600_NS6detail15normal_iteratorINS9_10device_ptrIiEEEESE_PS5_SF_11less_div_10IiEEE10hipError_tT0_T1_T2_T3_mRjT4_P12ihipStream_tbNS1_7vsmem_tEEUlT_E_NS1_11comp_targetILNS1_3genE2ELNS1_11target_archE906ELNS1_3gpuE6ELNS1_3repE0EEENS1_30default_config_static_selectorELNS0_4arch9wavefront6targetE0EEEvSK_.num_vgpr, 0
	.set _ZN7rocprim17ROCPRIM_400000_NS6detail17trampoline_kernelINS0_14default_configENS1_37merge_sort_block_sort_config_selectorIiNS0_10empty_typeEEEZNS1_21merge_sort_block_sortIS3_N6thrust23THRUST_200600_302600_NS6detail15normal_iteratorINS9_10device_ptrIiEEEESE_PS5_SF_11less_div_10IiEEE10hipError_tT0_T1_T2_T3_mRjT4_P12ihipStream_tbNS1_7vsmem_tEEUlT_E_NS1_11comp_targetILNS1_3genE2ELNS1_11target_archE906ELNS1_3gpuE6ELNS1_3repE0EEENS1_30default_config_static_selectorELNS0_4arch9wavefront6targetE0EEEvSK_.num_agpr, 0
	.set _ZN7rocprim17ROCPRIM_400000_NS6detail17trampoline_kernelINS0_14default_configENS1_37merge_sort_block_sort_config_selectorIiNS0_10empty_typeEEEZNS1_21merge_sort_block_sortIS3_N6thrust23THRUST_200600_302600_NS6detail15normal_iteratorINS9_10device_ptrIiEEEESE_PS5_SF_11less_div_10IiEEE10hipError_tT0_T1_T2_T3_mRjT4_P12ihipStream_tbNS1_7vsmem_tEEUlT_E_NS1_11comp_targetILNS1_3genE2ELNS1_11target_archE906ELNS1_3gpuE6ELNS1_3repE0EEENS1_30default_config_static_selectorELNS0_4arch9wavefront6targetE0EEEvSK_.numbered_sgpr, 0
	.set _ZN7rocprim17ROCPRIM_400000_NS6detail17trampoline_kernelINS0_14default_configENS1_37merge_sort_block_sort_config_selectorIiNS0_10empty_typeEEEZNS1_21merge_sort_block_sortIS3_N6thrust23THRUST_200600_302600_NS6detail15normal_iteratorINS9_10device_ptrIiEEEESE_PS5_SF_11less_div_10IiEEE10hipError_tT0_T1_T2_T3_mRjT4_P12ihipStream_tbNS1_7vsmem_tEEUlT_E_NS1_11comp_targetILNS1_3genE2ELNS1_11target_archE906ELNS1_3gpuE6ELNS1_3repE0EEENS1_30default_config_static_selectorELNS0_4arch9wavefront6targetE0EEEvSK_.num_named_barrier, 0
	.set _ZN7rocprim17ROCPRIM_400000_NS6detail17trampoline_kernelINS0_14default_configENS1_37merge_sort_block_sort_config_selectorIiNS0_10empty_typeEEEZNS1_21merge_sort_block_sortIS3_N6thrust23THRUST_200600_302600_NS6detail15normal_iteratorINS9_10device_ptrIiEEEESE_PS5_SF_11less_div_10IiEEE10hipError_tT0_T1_T2_T3_mRjT4_P12ihipStream_tbNS1_7vsmem_tEEUlT_E_NS1_11comp_targetILNS1_3genE2ELNS1_11target_archE906ELNS1_3gpuE6ELNS1_3repE0EEENS1_30default_config_static_selectorELNS0_4arch9wavefront6targetE0EEEvSK_.private_seg_size, 0
	.set _ZN7rocprim17ROCPRIM_400000_NS6detail17trampoline_kernelINS0_14default_configENS1_37merge_sort_block_sort_config_selectorIiNS0_10empty_typeEEEZNS1_21merge_sort_block_sortIS3_N6thrust23THRUST_200600_302600_NS6detail15normal_iteratorINS9_10device_ptrIiEEEESE_PS5_SF_11less_div_10IiEEE10hipError_tT0_T1_T2_T3_mRjT4_P12ihipStream_tbNS1_7vsmem_tEEUlT_E_NS1_11comp_targetILNS1_3genE2ELNS1_11target_archE906ELNS1_3gpuE6ELNS1_3repE0EEENS1_30default_config_static_selectorELNS0_4arch9wavefront6targetE0EEEvSK_.uses_vcc, 0
	.set _ZN7rocprim17ROCPRIM_400000_NS6detail17trampoline_kernelINS0_14default_configENS1_37merge_sort_block_sort_config_selectorIiNS0_10empty_typeEEEZNS1_21merge_sort_block_sortIS3_N6thrust23THRUST_200600_302600_NS6detail15normal_iteratorINS9_10device_ptrIiEEEESE_PS5_SF_11less_div_10IiEEE10hipError_tT0_T1_T2_T3_mRjT4_P12ihipStream_tbNS1_7vsmem_tEEUlT_E_NS1_11comp_targetILNS1_3genE2ELNS1_11target_archE906ELNS1_3gpuE6ELNS1_3repE0EEENS1_30default_config_static_selectorELNS0_4arch9wavefront6targetE0EEEvSK_.uses_flat_scratch, 0
	.set _ZN7rocprim17ROCPRIM_400000_NS6detail17trampoline_kernelINS0_14default_configENS1_37merge_sort_block_sort_config_selectorIiNS0_10empty_typeEEEZNS1_21merge_sort_block_sortIS3_N6thrust23THRUST_200600_302600_NS6detail15normal_iteratorINS9_10device_ptrIiEEEESE_PS5_SF_11less_div_10IiEEE10hipError_tT0_T1_T2_T3_mRjT4_P12ihipStream_tbNS1_7vsmem_tEEUlT_E_NS1_11comp_targetILNS1_3genE2ELNS1_11target_archE906ELNS1_3gpuE6ELNS1_3repE0EEENS1_30default_config_static_selectorELNS0_4arch9wavefront6targetE0EEEvSK_.has_dyn_sized_stack, 0
	.set _ZN7rocprim17ROCPRIM_400000_NS6detail17trampoline_kernelINS0_14default_configENS1_37merge_sort_block_sort_config_selectorIiNS0_10empty_typeEEEZNS1_21merge_sort_block_sortIS3_N6thrust23THRUST_200600_302600_NS6detail15normal_iteratorINS9_10device_ptrIiEEEESE_PS5_SF_11less_div_10IiEEE10hipError_tT0_T1_T2_T3_mRjT4_P12ihipStream_tbNS1_7vsmem_tEEUlT_E_NS1_11comp_targetILNS1_3genE2ELNS1_11target_archE906ELNS1_3gpuE6ELNS1_3repE0EEENS1_30default_config_static_selectorELNS0_4arch9wavefront6targetE0EEEvSK_.has_recursion, 0
	.set _ZN7rocprim17ROCPRIM_400000_NS6detail17trampoline_kernelINS0_14default_configENS1_37merge_sort_block_sort_config_selectorIiNS0_10empty_typeEEEZNS1_21merge_sort_block_sortIS3_N6thrust23THRUST_200600_302600_NS6detail15normal_iteratorINS9_10device_ptrIiEEEESE_PS5_SF_11less_div_10IiEEE10hipError_tT0_T1_T2_T3_mRjT4_P12ihipStream_tbNS1_7vsmem_tEEUlT_E_NS1_11comp_targetILNS1_3genE2ELNS1_11target_archE906ELNS1_3gpuE6ELNS1_3repE0EEENS1_30default_config_static_selectorELNS0_4arch9wavefront6targetE0EEEvSK_.has_indirect_call, 0
	.section	.AMDGPU.csdata,"",@progbits
; Kernel info:
; codeLenInByte = 0
; TotalNumSgprs: 0
; NumVgprs: 0
; ScratchSize: 0
; MemoryBound: 0
; FloatMode: 240
; IeeeMode: 1
; LDSByteSize: 0 bytes/workgroup (compile time only)
; SGPRBlocks: 0
; VGPRBlocks: 0
; NumSGPRsForWavesPerEU: 1
; NumVGPRsForWavesPerEU: 1
; Occupancy: 16
; WaveLimiterHint : 0
; COMPUTE_PGM_RSRC2:SCRATCH_EN: 0
; COMPUTE_PGM_RSRC2:USER_SGPR: 6
; COMPUTE_PGM_RSRC2:TRAP_HANDLER: 0
; COMPUTE_PGM_RSRC2:TGID_X_EN: 1
; COMPUTE_PGM_RSRC2:TGID_Y_EN: 0
; COMPUTE_PGM_RSRC2:TGID_Z_EN: 0
; COMPUTE_PGM_RSRC2:TIDIG_COMP_CNT: 0
	.section	.text._ZN7rocprim17ROCPRIM_400000_NS6detail17trampoline_kernelINS0_14default_configENS1_37merge_sort_block_sort_config_selectorIiNS0_10empty_typeEEEZNS1_21merge_sort_block_sortIS3_N6thrust23THRUST_200600_302600_NS6detail15normal_iteratorINS9_10device_ptrIiEEEESE_PS5_SF_11less_div_10IiEEE10hipError_tT0_T1_T2_T3_mRjT4_P12ihipStream_tbNS1_7vsmem_tEEUlT_E_NS1_11comp_targetILNS1_3genE10ELNS1_11target_archE1201ELNS1_3gpuE5ELNS1_3repE0EEENS1_30default_config_static_selectorELNS0_4arch9wavefront6targetE0EEEvSK_,"axG",@progbits,_ZN7rocprim17ROCPRIM_400000_NS6detail17trampoline_kernelINS0_14default_configENS1_37merge_sort_block_sort_config_selectorIiNS0_10empty_typeEEEZNS1_21merge_sort_block_sortIS3_N6thrust23THRUST_200600_302600_NS6detail15normal_iteratorINS9_10device_ptrIiEEEESE_PS5_SF_11less_div_10IiEEE10hipError_tT0_T1_T2_T3_mRjT4_P12ihipStream_tbNS1_7vsmem_tEEUlT_E_NS1_11comp_targetILNS1_3genE10ELNS1_11target_archE1201ELNS1_3gpuE5ELNS1_3repE0EEENS1_30default_config_static_selectorELNS0_4arch9wavefront6targetE0EEEvSK_,comdat
	.protected	_ZN7rocprim17ROCPRIM_400000_NS6detail17trampoline_kernelINS0_14default_configENS1_37merge_sort_block_sort_config_selectorIiNS0_10empty_typeEEEZNS1_21merge_sort_block_sortIS3_N6thrust23THRUST_200600_302600_NS6detail15normal_iteratorINS9_10device_ptrIiEEEESE_PS5_SF_11less_div_10IiEEE10hipError_tT0_T1_T2_T3_mRjT4_P12ihipStream_tbNS1_7vsmem_tEEUlT_E_NS1_11comp_targetILNS1_3genE10ELNS1_11target_archE1201ELNS1_3gpuE5ELNS1_3repE0EEENS1_30default_config_static_selectorELNS0_4arch9wavefront6targetE0EEEvSK_ ; -- Begin function _ZN7rocprim17ROCPRIM_400000_NS6detail17trampoline_kernelINS0_14default_configENS1_37merge_sort_block_sort_config_selectorIiNS0_10empty_typeEEEZNS1_21merge_sort_block_sortIS3_N6thrust23THRUST_200600_302600_NS6detail15normal_iteratorINS9_10device_ptrIiEEEESE_PS5_SF_11less_div_10IiEEE10hipError_tT0_T1_T2_T3_mRjT4_P12ihipStream_tbNS1_7vsmem_tEEUlT_E_NS1_11comp_targetILNS1_3genE10ELNS1_11target_archE1201ELNS1_3gpuE5ELNS1_3repE0EEENS1_30default_config_static_selectorELNS0_4arch9wavefront6targetE0EEEvSK_
	.globl	_ZN7rocprim17ROCPRIM_400000_NS6detail17trampoline_kernelINS0_14default_configENS1_37merge_sort_block_sort_config_selectorIiNS0_10empty_typeEEEZNS1_21merge_sort_block_sortIS3_N6thrust23THRUST_200600_302600_NS6detail15normal_iteratorINS9_10device_ptrIiEEEESE_PS5_SF_11less_div_10IiEEE10hipError_tT0_T1_T2_T3_mRjT4_P12ihipStream_tbNS1_7vsmem_tEEUlT_E_NS1_11comp_targetILNS1_3genE10ELNS1_11target_archE1201ELNS1_3gpuE5ELNS1_3repE0EEENS1_30default_config_static_selectorELNS0_4arch9wavefront6targetE0EEEvSK_
	.p2align	8
	.type	_ZN7rocprim17ROCPRIM_400000_NS6detail17trampoline_kernelINS0_14default_configENS1_37merge_sort_block_sort_config_selectorIiNS0_10empty_typeEEEZNS1_21merge_sort_block_sortIS3_N6thrust23THRUST_200600_302600_NS6detail15normal_iteratorINS9_10device_ptrIiEEEESE_PS5_SF_11less_div_10IiEEE10hipError_tT0_T1_T2_T3_mRjT4_P12ihipStream_tbNS1_7vsmem_tEEUlT_E_NS1_11comp_targetILNS1_3genE10ELNS1_11target_archE1201ELNS1_3gpuE5ELNS1_3repE0EEENS1_30default_config_static_selectorELNS0_4arch9wavefront6targetE0EEEvSK_,@function
_ZN7rocprim17ROCPRIM_400000_NS6detail17trampoline_kernelINS0_14default_configENS1_37merge_sort_block_sort_config_selectorIiNS0_10empty_typeEEEZNS1_21merge_sort_block_sortIS3_N6thrust23THRUST_200600_302600_NS6detail15normal_iteratorINS9_10device_ptrIiEEEESE_PS5_SF_11less_div_10IiEEE10hipError_tT0_T1_T2_T3_mRjT4_P12ihipStream_tbNS1_7vsmem_tEEUlT_E_NS1_11comp_targetILNS1_3genE10ELNS1_11target_archE1201ELNS1_3gpuE5ELNS1_3repE0EEENS1_30default_config_static_selectorELNS0_4arch9wavefront6targetE0EEEvSK_: ; @_ZN7rocprim17ROCPRIM_400000_NS6detail17trampoline_kernelINS0_14default_configENS1_37merge_sort_block_sort_config_selectorIiNS0_10empty_typeEEEZNS1_21merge_sort_block_sortIS3_N6thrust23THRUST_200600_302600_NS6detail15normal_iteratorINS9_10device_ptrIiEEEESE_PS5_SF_11less_div_10IiEEE10hipError_tT0_T1_T2_T3_mRjT4_P12ihipStream_tbNS1_7vsmem_tEEUlT_E_NS1_11comp_targetILNS1_3genE10ELNS1_11target_archE1201ELNS1_3gpuE5ELNS1_3repE0EEENS1_30default_config_static_selectorELNS0_4arch9wavefront6targetE0EEEvSK_
; %bb.0:
	.section	.rodata,"a",@progbits
	.p2align	6, 0x0
	.amdhsa_kernel _ZN7rocprim17ROCPRIM_400000_NS6detail17trampoline_kernelINS0_14default_configENS1_37merge_sort_block_sort_config_selectorIiNS0_10empty_typeEEEZNS1_21merge_sort_block_sortIS3_N6thrust23THRUST_200600_302600_NS6detail15normal_iteratorINS9_10device_ptrIiEEEESE_PS5_SF_11less_div_10IiEEE10hipError_tT0_T1_T2_T3_mRjT4_P12ihipStream_tbNS1_7vsmem_tEEUlT_E_NS1_11comp_targetILNS1_3genE10ELNS1_11target_archE1201ELNS1_3gpuE5ELNS1_3repE0EEENS1_30default_config_static_selectorELNS0_4arch9wavefront6targetE0EEEvSK_
		.amdhsa_group_segment_fixed_size 0
		.amdhsa_private_segment_fixed_size 0
		.amdhsa_kernarg_size 64
		.amdhsa_user_sgpr_count 6
		.amdhsa_user_sgpr_private_segment_buffer 1
		.amdhsa_user_sgpr_dispatch_ptr 0
		.amdhsa_user_sgpr_queue_ptr 0
		.amdhsa_user_sgpr_kernarg_segment_ptr 1
		.amdhsa_user_sgpr_dispatch_id 0
		.amdhsa_user_sgpr_flat_scratch_init 0
		.amdhsa_user_sgpr_private_segment_size 0
		.amdhsa_wavefront_size32 1
		.amdhsa_uses_dynamic_stack 0
		.amdhsa_system_sgpr_private_segment_wavefront_offset 0
		.amdhsa_system_sgpr_workgroup_id_x 1
		.amdhsa_system_sgpr_workgroup_id_y 0
		.amdhsa_system_sgpr_workgroup_id_z 0
		.amdhsa_system_sgpr_workgroup_info 0
		.amdhsa_system_vgpr_workitem_id 0
		.amdhsa_next_free_vgpr 1
		.amdhsa_next_free_sgpr 1
		.amdhsa_reserve_vcc 0
		.amdhsa_reserve_flat_scratch 0
		.amdhsa_float_round_mode_32 0
		.amdhsa_float_round_mode_16_64 0
		.amdhsa_float_denorm_mode_32 3
		.amdhsa_float_denorm_mode_16_64 3
		.amdhsa_dx10_clamp 1
		.amdhsa_ieee_mode 1
		.amdhsa_fp16_overflow 0
		.amdhsa_workgroup_processor_mode 1
		.amdhsa_memory_ordered 1
		.amdhsa_forward_progress 1
		.amdhsa_shared_vgpr_count 0
		.amdhsa_exception_fp_ieee_invalid_op 0
		.amdhsa_exception_fp_denorm_src 0
		.amdhsa_exception_fp_ieee_div_zero 0
		.amdhsa_exception_fp_ieee_overflow 0
		.amdhsa_exception_fp_ieee_underflow 0
		.amdhsa_exception_fp_ieee_inexact 0
		.amdhsa_exception_int_div_zero 0
	.end_amdhsa_kernel
	.section	.text._ZN7rocprim17ROCPRIM_400000_NS6detail17trampoline_kernelINS0_14default_configENS1_37merge_sort_block_sort_config_selectorIiNS0_10empty_typeEEEZNS1_21merge_sort_block_sortIS3_N6thrust23THRUST_200600_302600_NS6detail15normal_iteratorINS9_10device_ptrIiEEEESE_PS5_SF_11less_div_10IiEEE10hipError_tT0_T1_T2_T3_mRjT4_P12ihipStream_tbNS1_7vsmem_tEEUlT_E_NS1_11comp_targetILNS1_3genE10ELNS1_11target_archE1201ELNS1_3gpuE5ELNS1_3repE0EEENS1_30default_config_static_selectorELNS0_4arch9wavefront6targetE0EEEvSK_,"axG",@progbits,_ZN7rocprim17ROCPRIM_400000_NS6detail17trampoline_kernelINS0_14default_configENS1_37merge_sort_block_sort_config_selectorIiNS0_10empty_typeEEEZNS1_21merge_sort_block_sortIS3_N6thrust23THRUST_200600_302600_NS6detail15normal_iteratorINS9_10device_ptrIiEEEESE_PS5_SF_11less_div_10IiEEE10hipError_tT0_T1_T2_T3_mRjT4_P12ihipStream_tbNS1_7vsmem_tEEUlT_E_NS1_11comp_targetILNS1_3genE10ELNS1_11target_archE1201ELNS1_3gpuE5ELNS1_3repE0EEENS1_30default_config_static_selectorELNS0_4arch9wavefront6targetE0EEEvSK_,comdat
.Lfunc_end425:
	.size	_ZN7rocprim17ROCPRIM_400000_NS6detail17trampoline_kernelINS0_14default_configENS1_37merge_sort_block_sort_config_selectorIiNS0_10empty_typeEEEZNS1_21merge_sort_block_sortIS3_N6thrust23THRUST_200600_302600_NS6detail15normal_iteratorINS9_10device_ptrIiEEEESE_PS5_SF_11less_div_10IiEEE10hipError_tT0_T1_T2_T3_mRjT4_P12ihipStream_tbNS1_7vsmem_tEEUlT_E_NS1_11comp_targetILNS1_3genE10ELNS1_11target_archE1201ELNS1_3gpuE5ELNS1_3repE0EEENS1_30default_config_static_selectorELNS0_4arch9wavefront6targetE0EEEvSK_, .Lfunc_end425-_ZN7rocprim17ROCPRIM_400000_NS6detail17trampoline_kernelINS0_14default_configENS1_37merge_sort_block_sort_config_selectorIiNS0_10empty_typeEEEZNS1_21merge_sort_block_sortIS3_N6thrust23THRUST_200600_302600_NS6detail15normal_iteratorINS9_10device_ptrIiEEEESE_PS5_SF_11less_div_10IiEEE10hipError_tT0_T1_T2_T3_mRjT4_P12ihipStream_tbNS1_7vsmem_tEEUlT_E_NS1_11comp_targetILNS1_3genE10ELNS1_11target_archE1201ELNS1_3gpuE5ELNS1_3repE0EEENS1_30default_config_static_selectorELNS0_4arch9wavefront6targetE0EEEvSK_
                                        ; -- End function
	.set _ZN7rocprim17ROCPRIM_400000_NS6detail17trampoline_kernelINS0_14default_configENS1_37merge_sort_block_sort_config_selectorIiNS0_10empty_typeEEEZNS1_21merge_sort_block_sortIS3_N6thrust23THRUST_200600_302600_NS6detail15normal_iteratorINS9_10device_ptrIiEEEESE_PS5_SF_11less_div_10IiEEE10hipError_tT0_T1_T2_T3_mRjT4_P12ihipStream_tbNS1_7vsmem_tEEUlT_E_NS1_11comp_targetILNS1_3genE10ELNS1_11target_archE1201ELNS1_3gpuE5ELNS1_3repE0EEENS1_30default_config_static_selectorELNS0_4arch9wavefront6targetE0EEEvSK_.num_vgpr, 0
	.set _ZN7rocprim17ROCPRIM_400000_NS6detail17trampoline_kernelINS0_14default_configENS1_37merge_sort_block_sort_config_selectorIiNS0_10empty_typeEEEZNS1_21merge_sort_block_sortIS3_N6thrust23THRUST_200600_302600_NS6detail15normal_iteratorINS9_10device_ptrIiEEEESE_PS5_SF_11less_div_10IiEEE10hipError_tT0_T1_T2_T3_mRjT4_P12ihipStream_tbNS1_7vsmem_tEEUlT_E_NS1_11comp_targetILNS1_3genE10ELNS1_11target_archE1201ELNS1_3gpuE5ELNS1_3repE0EEENS1_30default_config_static_selectorELNS0_4arch9wavefront6targetE0EEEvSK_.num_agpr, 0
	.set _ZN7rocprim17ROCPRIM_400000_NS6detail17trampoline_kernelINS0_14default_configENS1_37merge_sort_block_sort_config_selectorIiNS0_10empty_typeEEEZNS1_21merge_sort_block_sortIS3_N6thrust23THRUST_200600_302600_NS6detail15normal_iteratorINS9_10device_ptrIiEEEESE_PS5_SF_11less_div_10IiEEE10hipError_tT0_T1_T2_T3_mRjT4_P12ihipStream_tbNS1_7vsmem_tEEUlT_E_NS1_11comp_targetILNS1_3genE10ELNS1_11target_archE1201ELNS1_3gpuE5ELNS1_3repE0EEENS1_30default_config_static_selectorELNS0_4arch9wavefront6targetE0EEEvSK_.numbered_sgpr, 0
	.set _ZN7rocprim17ROCPRIM_400000_NS6detail17trampoline_kernelINS0_14default_configENS1_37merge_sort_block_sort_config_selectorIiNS0_10empty_typeEEEZNS1_21merge_sort_block_sortIS3_N6thrust23THRUST_200600_302600_NS6detail15normal_iteratorINS9_10device_ptrIiEEEESE_PS5_SF_11less_div_10IiEEE10hipError_tT0_T1_T2_T3_mRjT4_P12ihipStream_tbNS1_7vsmem_tEEUlT_E_NS1_11comp_targetILNS1_3genE10ELNS1_11target_archE1201ELNS1_3gpuE5ELNS1_3repE0EEENS1_30default_config_static_selectorELNS0_4arch9wavefront6targetE0EEEvSK_.num_named_barrier, 0
	.set _ZN7rocprim17ROCPRIM_400000_NS6detail17trampoline_kernelINS0_14default_configENS1_37merge_sort_block_sort_config_selectorIiNS0_10empty_typeEEEZNS1_21merge_sort_block_sortIS3_N6thrust23THRUST_200600_302600_NS6detail15normal_iteratorINS9_10device_ptrIiEEEESE_PS5_SF_11less_div_10IiEEE10hipError_tT0_T1_T2_T3_mRjT4_P12ihipStream_tbNS1_7vsmem_tEEUlT_E_NS1_11comp_targetILNS1_3genE10ELNS1_11target_archE1201ELNS1_3gpuE5ELNS1_3repE0EEENS1_30default_config_static_selectorELNS0_4arch9wavefront6targetE0EEEvSK_.private_seg_size, 0
	.set _ZN7rocprim17ROCPRIM_400000_NS6detail17trampoline_kernelINS0_14default_configENS1_37merge_sort_block_sort_config_selectorIiNS0_10empty_typeEEEZNS1_21merge_sort_block_sortIS3_N6thrust23THRUST_200600_302600_NS6detail15normal_iteratorINS9_10device_ptrIiEEEESE_PS5_SF_11less_div_10IiEEE10hipError_tT0_T1_T2_T3_mRjT4_P12ihipStream_tbNS1_7vsmem_tEEUlT_E_NS1_11comp_targetILNS1_3genE10ELNS1_11target_archE1201ELNS1_3gpuE5ELNS1_3repE0EEENS1_30default_config_static_selectorELNS0_4arch9wavefront6targetE0EEEvSK_.uses_vcc, 0
	.set _ZN7rocprim17ROCPRIM_400000_NS6detail17trampoline_kernelINS0_14default_configENS1_37merge_sort_block_sort_config_selectorIiNS0_10empty_typeEEEZNS1_21merge_sort_block_sortIS3_N6thrust23THRUST_200600_302600_NS6detail15normal_iteratorINS9_10device_ptrIiEEEESE_PS5_SF_11less_div_10IiEEE10hipError_tT0_T1_T2_T3_mRjT4_P12ihipStream_tbNS1_7vsmem_tEEUlT_E_NS1_11comp_targetILNS1_3genE10ELNS1_11target_archE1201ELNS1_3gpuE5ELNS1_3repE0EEENS1_30default_config_static_selectorELNS0_4arch9wavefront6targetE0EEEvSK_.uses_flat_scratch, 0
	.set _ZN7rocprim17ROCPRIM_400000_NS6detail17trampoline_kernelINS0_14default_configENS1_37merge_sort_block_sort_config_selectorIiNS0_10empty_typeEEEZNS1_21merge_sort_block_sortIS3_N6thrust23THRUST_200600_302600_NS6detail15normal_iteratorINS9_10device_ptrIiEEEESE_PS5_SF_11less_div_10IiEEE10hipError_tT0_T1_T2_T3_mRjT4_P12ihipStream_tbNS1_7vsmem_tEEUlT_E_NS1_11comp_targetILNS1_3genE10ELNS1_11target_archE1201ELNS1_3gpuE5ELNS1_3repE0EEENS1_30default_config_static_selectorELNS0_4arch9wavefront6targetE0EEEvSK_.has_dyn_sized_stack, 0
	.set _ZN7rocprim17ROCPRIM_400000_NS6detail17trampoline_kernelINS0_14default_configENS1_37merge_sort_block_sort_config_selectorIiNS0_10empty_typeEEEZNS1_21merge_sort_block_sortIS3_N6thrust23THRUST_200600_302600_NS6detail15normal_iteratorINS9_10device_ptrIiEEEESE_PS5_SF_11less_div_10IiEEE10hipError_tT0_T1_T2_T3_mRjT4_P12ihipStream_tbNS1_7vsmem_tEEUlT_E_NS1_11comp_targetILNS1_3genE10ELNS1_11target_archE1201ELNS1_3gpuE5ELNS1_3repE0EEENS1_30default_config_static_selectorELNS0_4arch9wavefront6targetE0EEEvSK_.has_recursion, 0
	.set _ZN7rocprim17ROCPRIM_400000_NS6detail17trampoline_kernelINS0_14default_configENS1_37merge_sort_block_sort_config_selectorIiNS0_10empty_typeEEEZNS1_21merge_sort_block_sortIS3_N6thrust23THRUST_200600_302600_NS6detail15normal_iteratorINS9_10device_ptrIiEEEESE_PS5_SF_11less_div_10IiEEE10hipError_tT0_T1_T2_T3_mRjT4_P12ihipStream_tbNS1_7vsmem_tEEUlT_E_NS1_11comp_targetILNS1_3genE10ELNS1_11target_archE1201ELNS1_3gpuE5ELNS1_3repE0EEENS1_30default_config_static_selectorELNS0_4arch9wavefront6targetE0EEEvSK_.has_indirect_call, 0
	.section	.AMDGPU.csdata,"",@progbits
; Kernel info:
; codeLenInByte = 0
; TotalNumSgprs: 0
; NumVgprs: 0
; ScratchSize: 0
; MemoryBound: 0
; FloatMode: 240
; IeeeMode: 1
; LDSByteSize: 0 bytes/workgroup (compile time only)
; SGPRBlocks: 0
; VGPRBlocks: 0
; NumSGPRsForWavesPerEU: 1
; NumVGPRsForWavesPerEU: 1
; Occupancy: 16
; WaveLimiterHint : 0
; COMPUTE_PGM_RSRC2:SCRATCH_EN: 0
; COMPUTE_PGM_RSRC2:USER_SGPR: 6
; COMPUTE_PGM_RSRC2:TRAP_HANDLER: 0
; COMPUTE_PGM_RSRC2:TGID_X_EN: 1
; COMPUTE_PGM_RSRC2:TGID_Y_EN: 0
; COMPUTE_PGM_RSRC2:TGID_Z_EN: 0
; COMPUTE_PGM_RSRC2:TIDIG_COMP_CNT: 0
	.section	.text._ZN7rocprim17ROCPRIM_400000_NS6detail17trampoline_kernelINS0_14default_configENS1_37merge_sort_block_sort_config_selectorIiNS0_10empty_typeEEEZNS1_21merge_sort_block_sortIS3_N6thrust23THRUST_200600_302600_NS6detail15normal_iteratorINS9_10device_ptrIiEEEESE_PS5_SF_11less_div_10IiEEE10hipError_tT0_T1_T2_T3_mRjT4_P12ihipStream_tbNS1_7vsmem_tEEUlT_E_NS1_11comp_targetILNS1_3genE10ELNS1_11target_archE1200ELNS1_3gpuE4ELNS1_3repE0EEENS1_30default_config_static_selectorELNS0_4arch9wavefront6targetE0EEEvSK_,"axG",@progbits,_ZN7rocprim17ROCPRIM_400000_NS6detail17trampoline_kernelINS0_14default_configENS1_37merge_sort_block_sort_config_selectorIiNS0_10empty_typeEEEZNS1_21merge_sort_block_sortIS3_N6thrust23THRUST_200600_302600_NS6detail15normal_iteratorINS9_10device_ptrIiEEEESE_PS5_SF_11less_div_10IiEEE10hipError_tT0_T1_T2_T3_mRjT4_P12ihipStream_tbNS1_7vsmem_tEEUlT_E_NS1_11comp_targetILNS1_3genE10ELNS1_11target_archE1200ELNS1_3gpuE4ELNS1_3repE0EEENS1_30default_config_static_selectorELNS0_4arch9wavefront6targetE0EEEvSK_,comdat
	.protected	_ZN7rocprim17ROCPRIM_400000_NS6detail17trampoline_kernelINS0_14default_configENS1_37merge_sort_block_sort_config_selectorIiNS0_10empty_typeEEEZNS1_21merge_sort_block_sortIS3_N6thrust23THRUST_200600_302600_NS6detail15normal_iteratorINS9_10device_ptrIiEEEESE_PS5_SF_11less_div_10IiEEE10hipError_tT0_T1_T2_T3_mRjT4_P12ihipStream_tbNS1_7vsmem_tEEUlT_E_NS1_11comp_targetILNS1_3genE10ELNS1_11target_archE1200ELNS1_3gpuE4ELNS1_3repE0EEENS1_30default_config_static_selectorELNS0_4arch9wavefront6targetE0EEEvSK_ ; -- Begin function _ZN7rocprim17ROCPRIM_400000_NS6detail17trampoline_kernelINS0_14default_configENS1_37merge_sort_block_sort_config_selectorIiNS0_10empty_typeEEEZNS1_21merge_sort_block_sortIS3_N6thrust23THRUST_200600_302600_NS6detail15normal_iteratorINS9_10device_ptrIiEEEESE_PS5_SF_11less_div_10IiEEE10hipError_tT0_T1_T2_T3_mRjT4_P12ihipStream_tbNS1_7vsmem_tEEUlT_E_NS1_11comp_targetILNS1_3genE10ELNS1_11target_archE1200ELNS1_3gpuE4ELNS1_3repE0EEENS1_30default_config_static_selectorELNS0_4arch9wavefront6targetE0EEEvSK_
	.globl	_ZN7rocprim17ROCPRIM_400000_NS6detail17trampoline_kernelINS0_14default_configENS1_37merge_sort_block_sort_config_selectorIiNS0_10empty_typeEEEZNS1_21merge_sort_block_sortIS3_N6thrust23THRUST_200600_302600_NS6detail15normal_iteratorINS9_10device_ptrIiEEEESE_PS5_SF_11less_div_10IiEEE10hipError_tT0_T1_T2_T3_mRjT4_P12ihipStream_tbNS1_7vsmem_tEEUlT_E_NS1_11comp_targetILNS1_3genE10ELNS1_11target_archE1200ELNS1_3gpuE4ELNS1_3repE0EEENS1_30default_config_static_selectorELNS0_4arch9wavefront6targetE0EEEvSK_
	.p2align	8
	.type	_ZN7rocprim17ROCPRIM_400000_NS6detail17trampoline_kernelINS0_14default_configENS1_37merge_sort_block_sort_config_selectorIiNS0_10empty_typeEEEZNS1_21merge_sort_block_sortIS3_N6thrust23THRUST_200600_302600_NS6detail15normal_iteratorINS9_10device_ptrIiEEEESE_PS5_SF_11less_div_10IiEEE10hipError_tT0_T1_T2_T3_mRjT4_P12ihipStream_tbNS1_7vsmem_tEEUlT_E_NS1_11comp_targetILNS1_3genE10ELNS1_11target_archE1200ELNS1_3gpuE4ELNS1_3repE0EEENS1_30default_config_static_selectorELNS0_4arch9wavefront6targetE0EEEvSK_,@function
_ZN7rocprim17ROCPRIM_400000_NS6detail17trampoline_kernelINS0_14default_configENS1_37merge_sort_block_sort_config_selectorIiNS0_10empty_typeEEEZNS1_21merge_sort_block_sortIS3_N6thrust23THRUST_200600_302600_NS6detail15normal_iteratorINS9_10device_ptrIiEEEESE_PS5_SF_11less_div_10IiEEE10hipError_tT0_T1_T2_T3_mRjT4_P12ihipStream_tbNS1_7vsmem_tEEUlT_E_NS1_11comp_targetILNS1_3genE10ELNS1_11target_archE1200ELNS1_3gpuE4ELNS1_3repE0EEENS1_30default_config_static_selectorELNS0_4arch9wavefront6targetE0EEEvSK_: ; @_ZN7rocprim17ROCPRIM_400000_NS6detail17trampoline_kernelINS0_14default_configENS1_37merge_sort_block_sort_config_selectorIiNS0_10empty_typeEEEZNS1_21merge_sort_block_sortIS3_N6thrust23THRUST_200600_302600_NS6detail15normal_iteratorINS9_10device_ptrIiEEEESE_PS5_SF_11less_div_10IiEEE10hipError_tT0_T1_T2_T3_mRjT4_P12ihipStream_tbNS1_7vsmem_tEEUlT_E_NS1_11comp_targetILNS1_3genE10ELNS1_11target_archE1200ELNS1_3gpuE4ELNS1_3repE0EEENS1_30default_config_static_selectorELNS0_4arch9wavefront6targetE0EEEvSK_
; %bb.0:
	.section	.rodata,"a",@progbits
	.p2align	6, 0x0
	.amdhsa_kernel _ZN7rocprim17ROCPRIM_400000_NS6detail17trampoline_kernelINS0_14default_configENS1_37merge_sort_block_sort_config_selectorIiNS0_10empty_typeEEEZNS1_21merge_sort_block_sortIS3_N6thrust23THRUST_200600_302600_NS6detail15normal_iteratorINS9_10device_ptrIiEEEESE_PS5_SF_11less_div_10IiEEE10hipError_tT0_T1_T2_T3_mRjT4_P12ihipStream_tbNS1_7vsmem_tEEUlT_E_NS1_11comp_targetILNS1_3genE10ELNS1_11target_archE1200ELNS1_3gpuE4ELNS1_3repE0EEENS1_30default_config_static_selectorELNS0_4arch9wavefront6targetE0EEEvSK_
		.amdhsa_group_segment_fixed_size 0
		.amdhsa_private_segment_fixed_size 0
		.amdhsa_kernarg_size 64
		.amdhsa_user_sgpr_count 6
		.amdhsa_user_sgpr_private_segment_buffer 1
		.amdhsa_user_sgpr_dispatch_ptr 0
		.amdhsa_user_sgpr_queue_ptr 0
		.amdhsa_user_sgpr_kernarg_segment_ptr 1
		.amdhsa_user_sgpr_dispatch_id 0
		.amdhsa_user_sgpr_flat_scratch_init 0
		.amdhsa_user_sgpr_private_segment_size 0
		.amdhsa_wavefront_size32 1
		.amdhsa_uses_dynamic_stack 0
		.amdhsa_system_sgpr_private_segment_wavefront_offset 0
		.amdhsa_system_sgpr_workgroup_id_x 1
		.amdhsa_system_sgpr_workgroup_id_y 0
		.amdhsa_system_sgpr_workgroup_id_z 0
		.amdhsa_system_sgpr_workgroup_info 0
		.amdhsa_system_vgpr_workitem_id 0
		.amdhsa_next_free_vgpr 1
		.amdhsa_next_free_sgpr 1
		.amdhsa_reserve_vcc 0
		.amdhsa_reserve_flat_scratch 0
		.amdhsa_float_round_mode_32 0
		.amdhsa_float_round_mode_16_64 0
		.amdhsa_float_denorm_mode_32 3
		.amdhsa_float_denorm_mode_16_64 3
		.amdhsa_dx10_clamp 1
		.amdhsa_ieee_mode 1
		.amdhsa_fp16_overflow 0
		.amdhsa_workgroup_processor_mode 1
		.amdhsa_memory_ordered 1
		.amdhsa_forward_progress 1
		.amdhsa_shared_vgpr_count 0
		.amdhsa_exception_fp_ieee_invalid_op 0
		.amdhsa_exception_fp_denorm_src 0
		.amdhsa_exception_fp_ieee_div_zero 0
		.amdhsa_exception_fp_ieee_overflow 0
		.amdhsa_exception_fp_ieee_underflow 0
		.amdhsa_exception_fp_ieee_inexact 0
		.amdhsa_exception_int_div_zero 0
	.end_amdhsa_kernel
	.section	.text._ZN7rocprim17ROCPRIM_400000_NS6detail17trampoline_kernelINS0_14default_configENS1_37merge_sort_block_sort_config_selectorIiNS0_10empty_typeEEEZNS1_21merge_sort_block_sortIS3_N6thrust23THRUST_200600_302600_NS6detail15normal_iteratorINS9_10device_ptrIiEEEESE_PS5_SF_11less_div_10IiEEE10hipError_tT0_T1_T2_T3_mRjT4_P12ihipStream_tbNS1_7vsmem_tEEUlT_E_NS1_11comp_targetILNS1_3genE10ELNS1_11target_archE1200ELNS1_3gpuE4ELNS1_3repE0EEENS1_30default_config_static_selectorELNS0_4arch9wavefront6targetE0EEEvSK_,"axG",@progbits,_ZN7rocprim17ROCPRIM_400000_NS6detail17trampoline_kernelINS0_14default_configENS1_37merge_sort_block_sort_config_selectorIiNS0_10empty_typeEEEZNS1_21merge_sort_block_sortIS3_N6thrust23THRUST_200600_302600_NS6detail15normal_iteratorINS9_10device_ptrIiEEEESE_PS5_SF_11less_div_10IiEEE10hipError_tT0_T1_T2_T3_mRjT4_P12ihipStream_tbNS1_7vsmem_tEEUlT_E_NS1_11comp_targetILNS1_3genE10ELNS1_11target_archE1200ELNS1_3gpuE4ELNS1_3repE0EEENS1_30default_config_static_selectorELNS0_4arch9wavefront6targetE0EEEvSK_,comdat
.Lfunc_end426:
	.size	_ZN7rocprim17ROCPRIM_400000_NS6detail17trampoline_kernelINS0_14default_configENS1_37merge_sort_block_sort_config_selectorIiNS0_10empty_typeEEEZNS1_21merge_sort_block_sortIS3_N6thrust23THRUST_200600_302600_NS6detail15normal_iteratorINS9_10device_ptrIiEEEESE_PS5_SF_11less_div_10IiEEE10hipError_tT0_T1_T2_T3_mRjT4_P12ihipStream_tbNS1_7vsmem_tEEUlT_E_NS1_11comp_targetILNS1_3genE10ELNS1_11target_archE1200ELNS1_3gpuE4ELNS1_3repE0EEENS1_30default_config_static_selectorELNS0_4arch9wavefront6targetE0EEEvSK_, .Lfunc_end426-_ZN7rocprim17ROCPRIM_400000_NS6detail17trampoline_kernelINS0_14default_configENS1_37merge_sort_block_sort_config_selectorIiNS0_10empty_typeEEEZNS1_21merge_sort_block_sortIS3_N6thrust23THRUST_200600_302600_NS6detail15normal_iteratorINS9_10device_ptrIiEEEESE_PS5_SF_11less_div_10IiEEE10hipError_tT0_T1_T2_T3_mRjT4_P12ihipStream_tbNS1_7vsmem_tEEUlT_E_NS1_11comp_targetILNS1_3genE10ELNS1_11target_archE1200ELNS1_3gpuE4ELNS1_3repE0EEENS1_30default_config_static_selectorELNS0_4arch9wavefront6targetE0EEEvSK_
                                        ; -- End function
	.set _ZN7rocprim17ROCPRIM_400000_NS6detail17trampoline_kernelINS0_14default_configENS1_37merge_sort_block_sort_config_selectorIiNS0_10empty_typeEEEZNS1_21merge_sort_block_sortIS3_N6thrust23THRUST_200600_302600_NS6detail15normal_iteratorINS9_10device_ptrIiEEEESE_PS5_SF_11less_div_10IiEEE10hipError_tT0_T1_T2_T3_mRjT4_P12ihipStream_tbNS1_7vsmem_tEEUlT_E_NS1_11comp_targetILNS1_3genE10ELNS1_11target_archE1200ELNS1_3gpuE4ELNS1_3repE0EEENS1_30default_config_static_selectorELNS0_4arch9wavefront6targetE0EEEvSK_.num_vgpr, 0
	.set _ZN7rocprim17ROCPRIM_400000_NS6detail17trampoline_kernelINS0_14default_configENS1_37merge_sort_block_sort_config_selectorIiNS0_10empty_typeEEEZNS1_21merge_sort_block_sortIS3_N6thrust23THRUST_200600_302600_NS6detail15normal_iteratorINS9_10device_ptrIiEEEESE_PS5_SF_11less_div_10IiEEE10hipError_tT0_T1_T2_T3_mRjT4_P12ihipStream_tbNS1_7vsmem_tEEUlT_E_NS1_11comp_targetILNS1_3genE10ELNS1_11target_archE1200ELNS1_3gpuE4ELNS1_3repE0EEENS1_30default_config_static_selectorELNS0_4arch9wavefront6targetE0EEEvSK_.num_agpr, 0
	.set _ZN7rocprim17ROCPRIM_400000_NS6detail17trampoline_kernelINS0_14default_configENS1_37merge_sort_block_sort_config_selectorIiNS0_10empty_typeEEEZNS1_21merge_sort_block_sortIS3_N6thrust23THRUST_200600_302600_NS6detail15normal_iteratorINS9_10device_ptrIiEEEESE_PS5_SF_11less_div_10IiEEE10hipError_tT0_T1_T2_T3_mRjT4_P12ihipStream_tbNS1_7vsmem_tEEUlT_E_NS1_11comp_targetILNS1_3genE10ELNS1_11target_archE1200ELNS1_3gpuE4ELNS1_3repE0EEENS1_30default_config_static_selectorELNS0_4arch9wavefront6targetE0EEEvSK_.numbered_sgpr, 0
	.set _ZN7rocprim17ROCPRIM_400000_NS6detail17trampoline_kernelINS0_14default_configENS1_37merge_sort_block_sort_config_selectorIiNS0_10empty_typeEEEZNS1_21merge_sort_block_sortIS3_N6thrust23THRUST_200600_302600_NS6detail15normal_iteratorINS9_10device_ptrIiEEEESE_PS5_SF_11less_div_10IiEEE10hipError_tT0_T1_T2_T3_mRjT4_P12ihipStream_tbNS1_7vsmem_tEEUlT_E_NS1_11comp_targetILNS1_3genE10ELNS1_11target_archE1200ELNS1_3gpuE4ELNS1_3repE0EEENS1_30default_config_static_selectorELNS0_4arch9wavefront6targetE0EEEvSK_.num_named_barrier, 0
	.set _ZN7rocprim17ROCPRIM_400000_NS6detail17trampoline_kernelINS0_14default_configENS1_37merge_sort_block_sort_config_selectorIiNS0_10empty_typeEEEZNS1_21merge_sort_block_sortIS3_N6thrust23THRUST_200600_302600_NS6detail15normal_iteratorINS9_10device_ptrIiEEEESE_PS5_SF_11less_div_10IiEEE10hipError_tT0_T1_T2_T3_mRjT4_P12ihipStream_tbNS1_7vsmem_tEEUlT_E_NS1_11comp_targetILNS1_3genE10ELNS1_11target_archE1200ELNS1_3gpuE4ELNS1_3repE0EEENS1_30default_config_static_selectorELNS0_4arch9wavefront6targetE0EEEvSK_.private_seg_size, 0
	.set _ZN7rocprim17ROCPRIM_400000_NS6detail17trampoline_kernelINS0_14default_configENS1_37merge_sort_block_sort_config_selectorIiNS0_10empty_typeEEEZNS1_21merge_sort_block_sortIS3_N6thrust23THRUST_200600_302600_NS6detail15normal_iteratorINS9_10device_ptrIiEEEESE_PS5_SF_11less_div_10IiEEE10hipError_tT0_T1_T2_T3_mRjT4_P12ihipStream_tbNS1_7vsmem_tEEUlT_E_NS1_11comp_targetILNS1_3genE10ELNS1_11target_archE1200ELNS1_3gpuE4ELNS1_3repE0EEENS1_30default_config_static_selectorELNS0_4arch9wavefront6targetE0EEEvSK_.uses_vcc, 0
	.set _ZN7rocprim17ROCPRIM_400000_NS6detail17trampoline_kernelINS0_14default_configENS1_37merge_sort_block_sort_config_selectorIiNS0_10empty_typeEEEZNS1_21merge_sort_block_sortIS3_N6thrust23THRUST_200600_302600_NS6detail15normal_iteratorINS9_10device_ptrIiEEEESE_PS5_SF_11less_div_10IiEEE10hipError_tT0_T1_T2_T3_mRjT4_P12ihipStream_tbNS1_7vsmem_tEEUlT_E_NS1_11comp_targetILNS1_3genE10ELNS1_11target_archE1200ELNS1_3gpuE4ELNS1_3repE0EEENS1_30default_config_static_selectorELNS0_4arch9wavefront6targetE0EEEvSK_.uses_flat_scratch, 0
	.set _ZN7rocprim17ROCPRIM_400000_NS6detail17trampoline_kernelINS0_14default_configENS1_37merge_sort_block_sort_config_selectorIiNS0_10empty_typeEEEZNS1_21merge_sort_block_sortIS3_N6thrust23THRUST_200600_302600_NS6detail15normal_iteratorINS9_10device_ptrIiEEEESE_PS5_SF_11less_div_10IiEEE10hipError_tT0_T1_T2_T3_mRjT4_P12ihipStream_tbNS1_7vsmem_tEEUlT_E_NS1_11comp_targetILNS1_3genE10ELNS1_11target_archE1200ELNS1_3gpuE4ELNS1_3repE0EEENS1_30default_config_static_selectorELNS0_4arch9wavefront6targetE0EEEvSK_.has_dyn_sized_stack, 0
	.set _ZN7rocprim17ROCPRIM_400000_NS6detail17trampoline_kernelINS0_14default_configENS1_37merge_sort_block_sort_config_selectorIiNS0_10empty_typeEEEZNS1_21merge_sort_block_sortIS3_N6thrust23THRUST_200600_302600_NS6detail15normal_iteratorINS9_10device_ptrIiEEEESE_PS5_SF_11less_div_10IiEEE10hipError_tT0_T1_T2_T3_mRjT4_P12ihipStream_tbNS1_7vsmem_tEEUlT_E_NS1_11comp_targetILNS1_3genE10ELNS1_11target_archE1200ELNS1_3gpuE4ELNS1_3repE0EEENS1_30default_config_static_selectorELNS0_4arch9wavefront6targetE0EEEvSK_.has_recursion, 0
	.set _ZN7rocprim17ROCPRIM_400000_NS6detail17trampoline_kernelINS0_14default_configENS1_37merge_sort_block_sort_config_selectorIiNS0_10empty_typeEEEZNS1_21merge_sort_block_sortIS3_N6thrust23THRUST_200600_302600_NS6detail15normal_iteratorINS9_10device_ptrIiEEEESE_PS5_SF_11less_div_10IiEEE10hipError_tT0_T1_T2_T3_mRjT4_P12ihipStream_tbNS1_7vsmem_tEEUlT_E_NS1_11comp_targetILNS1_3genE10ELNS1_11target_archE1200ELNS1_3gpuE4ELNS1_3repE0EEENS1_30default_config_static_selectorELNS0_4arch9wavefront6targetE0EEEvSK_.has_indirect_call, 0
	.section	.AMDGPU.csdata,"",@progbits
; Kernel info:
; codeLenInByte = 0
; TotalNumSgprs: 0
; NumVgprs: 0
; ScratchSize: 0
; MemoryBound: 0
; FloatMode: 240
; IeeeMode: 1
; LDSByteSize: 0 bytes/workgroup (compile time only)
; SGPRBlocks: 0
; VGPRBlocks: 0
; NumSGPRsForWavesPerEU: 1
; NumVGPRsForWavesPerEU: 1
; Occupancy: 16
; WaveLimiterHint : 0
; COMPUTE_PGM_RSRC2:SCRATCH_EN: 0
; COMPUTE_PGM_RSRC2:USER_SGPR: 6
; COMPUTE_PGM_RSRC2:TRAP_HANDLER: 0
; COMPUTE_PGM_RSRC2:TGID_X_EN: 1
; COMPUTE_PGM_RSRC2:TGID_Y_EN: 0
; COMPUTE_PGM_RSRC2:TGID_Z_EN: 0
; COMPUTE_PGM_RSRC2:TIDIG_COMP_CNT: 0
	.section	.text._ZN7rocprim17ROCPRIM_400000_NS6detail17trampoline_kernelINS0_14default_configENS1_37merge_sort_block_sort_config_selectorIiNS0_10empty_typeEEEZNS1_21merge_sort_block_sortIS3_N6thrust23THRUST_200600_302600_NS6detail15normal_iteratorINS9_10device_ptrIiEEEESE_PS5_SF_11less_div_10IiEEE10hipError_tT0_T1_T2_T3_mRjT4_P12ihipStream_tbNS1_7vsmem_tEEUlT_E_NS1_11comp_targetILNS1_3genE9ELNS1_11target_archE1100ELNS1_3gpuE3ELNS1_3repE0EEENS1_30default_config_static_selectorELNS0_4arch9wavefront6targetE0EEEvSK_,"axG",@progbits,_ZN7rocprim17ROCPRIM_400000_NS6detail17trampoline_kernelINS0_14default_configENS1_37merge_sort_block_sort_config_selectorIiNS0_10empty_typeEEEZNS1_21merge_sort_block_sortIS3_N6thrust23THRUST_200600_302600_NS6detail15normal_iteratorINS9_10device_ptrIiEEEESE_PS5_SF_11less_div_10IiEEE10hipError_tT0_T1_T2_T3_mRjT4_P12ihipStream_tbNS1_7vsmem_tEEUlT_E_NS1_11comp_targetILNS1_3genE9ELNS1_11target_archE1100ELNS1_3gpuE3ELNS1_3repE0EEENS1_30default_config_static_selectorELNS0_4arch9wavefront6targetE0EEEvSK_,comdat
	.protected	_ZN7rocprim17ROCPRIM_400000_NS6detail17trampoline_kernelINS0_14default_configENS1_37merge_sort_block_sort_config_selectorIiNS0_10empty_typeEEEZNS1_21merge_sort_block_sortIS3_N6thrust23THRUST_200600_302600_NS6detail15normal_iteratorINS9_10device_ptrIiEEEESE_PS5_SF_11less_div_10IiEEE10hipError_tT0_T1_T2_T3_mRjT4_P12ihipStream_tbNS1_7vsmem_tEEUlT_E_NS1_11comp_targetILNS1_3genE9ELNS1_11target_archE1100ELNS1_3gpuE3ELNS1_3repE0EEENS1_30default_config_static_selectorELNS0_4arch9wavefront6targetE0EEEvSK_ ; -- Begin function _ZN7rocprim17ROCPRIM_400000_NS6detail17trampoline_kernelINS0_14default_configENS1_37merge_sort_block_sort_config_selectorIiNS0_10empty_typeEEEZNS1_21merge_sort_block_sortIS3_N6thrust23THRUST_200600_302600_NS6detail15normal_iteratorINS9_10device_ptrIiEEEESE_PS5_SF_11less_div_10IiEEE10hipError_tT0_T1_T2_T3_mRjT4_P12ihipStream_tbNS1_7vsmem_tEEUlT_E_NS1_11comp_targetILNS1_3genE9ELNS1_11target_archE1100ELNS1_3gpuE3ELNS1_3repE0EEENS1_30default_config_static_selectorELNS0_4arch9wavefront6targetE0EEEvSK_
	.globl	_ZN7rocprim17ROCPRIM_400000_NS6detail17trampoline_kernelINS0_14default_configENS1_37merge_sort_block_sort_config_selectorIiNS0_10empty_typeEEEZNS1_21merge_sort_block_sortIS3_N6thrust23THRUST_200600_302600_NS6detail15normal_iteratorINS9_10device_ptrIiEEEESE_PS5_SF_11less_div_10IiEEE10hipError_tT0_T1_T2_T3_mRjT4_P12ihipStream_tbNS1_7vsmem_tEEUlT_E_NS1_11comp_targetILNS1_3genE9ELNS1_11target_archE1100ELNS1_3gpuE3ELNS1_3repE0EEENS1_30default_config_static_selectorELNS0_4arch9wavefront6targetE0EEEvSK_
	.p2align	8
	.type	_ZN7rocprim17ROCPRIM_400000_NS6detail17trampoline_kernelINS0_14default_configENS1_37merge_sort_block_sort_config_selectorIiNS0_10empty_typeEEEZNS1_21merge_sort_block_sortIS3_N6thrust23THRUST_200600_302600_NS6detail15normal_iteratorINS9_10device_ptrIiEEEESE_PS5_SF_11less_div_10IiEEE10hipError_tT0_T1_T2_T3_mRjT4_P12ihipStream_tbNS1_7vsmem_tEEUlT_E_NS1_11comp_targetILNS1_3genE9ELNS1_11target_archE1100ELNS1_3gpuE3ELNS1_3repE0EEENS1_30default_config_static_selectorELNS0_4arch9wavefront6targetE0EEEvSK_,@function
_ZN7rocprim17ROCPRIM_400000_NS6detail17trampoline_kernelINS0_14default_configENS1_37merge_sort_block_sort_config_selectorIiNS0_10empty_typeEEEZNS1_21merge_sort_block_sortIS3_N6thrust23THRUST_200600_302600_NS6detail15normal_iteratorINS9_10device_ptrIiEEEESE_PS5_SF_11less_div_10IiEEE10hipError_tT0_T1_T2_T3_mRjT4_P12ihipStream_tbNS1_7vsmem_tEEUlT_E_NS1_11comp_targetILNS1_3genE9ELNS1_11target_archE1100ELNS1_3gpuE3ELNS1_3repE0EEENS1_30default_config_static_selectorELNS0_4arch9wavefront6targetE0EEEvSK_: ; @_ZN7rocprim17ROCPRIM_400000_NS6detail17trampoline_kernelINS0_14default_configENS1_37merge_sort_block_sort_config_selectorIiNS0_10empty_typeEEEZNS1_21merge_sort_block_sortIS3_N6thrust23THRUST_200600_302600_NS6detail15normal_iteratorINS9_10device_ptrIiEEEESE_PS5_SF_11less_div_10IiEEE10hipError_tT0_T1_T2_T3_mRjT4_P12ihipStream_tbNS1_7vsmem_tEEUlT_E_NS1_11comp_targetILNS1_3genE9ELNS1_11target_archE1100ELNS1_3gpuE3ELNS1_3repE0EEENS1_30default_config_static_selectorELNS0_4arch9wavefront6targetE0EEEvSK_
; %bb.0:
	.section	.rodata,"a",@progbits
	.p2align	6, 0x0
	.amdhsa_kernel _ZN7rocprim17ROCPRIM_400000_NS6detail17trampoline_kernelINS0_14default_configENS1_37merge_sort_block_sort_config_selectorIiNS0_10empty_typeEEEZNS1_21merge_sort_block_sortIS3_N6thrust23THRUST_200600_302600_NS6detail15normal_iteratorINS9_10device_ptrIiEEEESE_PS5_SF_11less_div_10IiEEE10hipError_tT0_T1_T2_T3_mRjT4_P12ihipStream_tbNS1_7vsmem_tEEUlT_E_NS1_11comp_targetILNS1_3genE9ELNS1_11target_archE1100ELNS1_3gpuE3ELNS1_3repE0EEENS1_30default_config_static_selectorELNS0_4arch9wavefront6targetE0EEEvSK_
		.amdhsa_group_segment_fixed_size 0
		.amdhsa_private_segment_fixed_size 0
		.amdhsa_kernarg_size 64
		.amdhsa_user_sgpr_count 6
		.amdhsa_user_sgpr_private_segment_buffer 1
		.amdhsa_user_sgpr_dispatch_ptr 0
		.amdhsa_user_sgpr_queue_ptr 0
		.amdhsa_user_sgpr_kernarg_segment_ptr 1
		.amdhsa_user_sgpr_dispatch_id 0
		.amdhsa_user_sgpr_flat_scratch_init 0
		.amdhsa_user_sgpr_private_segment_size 0
		.amdhsa_wavefront_size32 1
		.amdhsa_uses_dynamic_stack 0
		.amdhsa_system_sgpr_private_segment_wavefront_offset 0
		.amdhsa_system_sgpr_workgroup_id_x 1
		.amdhsa_system_sgpr_workgroup_id_y 0
		.amdhsa_system_sgpr_workgroup_id_z 0
		.amdhsa_system_sgpr_workgroup_info 0
		.amdhsa_system_vgpr_workitem_id 0
		.amdhsa_next_free_vgpr 1
		.amdhsa_next_free_sgpr 1
		.amdhsa_reserve_vcc 0
		.amdhsa_reserve_flat_scratch 0
		.amdhsa_float_round_mode_32 0
		.amdhsa_float_round_mode_16_64 0
		.amdhsa_float_denorm_mode_32 3
		.amdhsa_float_denorm_mode_16_64 3
		.amdhsa_dx10_clamp 1
		.amdhsa_ieee_mode 1
		.amdhsa_fp16_overflow 0
		.amdhsa_workgroup_processor_mode 1
		.amdhsa_memory_ordered 1
		.amdhsa_forward_progress 1
		.amdhsa_shared_vgpr_count 0
		.amdhsa_exception_fp_ieee_invalid_op 0
		.amdhsa_exception_fp_denorm_src 0
		.amdhsa_exception_fp_ieee_div_zero 0
		.amdhsa_exception_fp_ieee_overflow 0
		.amdhsa_exception_fp_ieee_underflow 0
		.amdhsa_exception_fp_ieee_inexact 0
		.amdhsa_exception_int_div_zero 0
	.end_amdhsa_kernel
	.section	.text._ZN7rocprim17ROCPRIM_400000_NS6detail17trampoline_kernelINS0_14default_configENS1_37merge_sort_block_sort_config_selectorIiNS0_10empty_typeEEEZNS1_21merge_sort_block_sortIS3_N6thrust23THRUST_200600_302600_NS6detail15normal_iteratorINS9_10device_ptrIiEEEESE_PS5_SF_11less_div_10IiEEE10hipError_tT0_T1_T2_T3_mRjT4_P12ihipStream_tbNS1_7vsmem_tEEUlT_E_NS1_11comp_targetILNS1_3genE9ELNS1_11target_archE1100ELNS1_3gpuE3ELNS1_3repE0EEENS1_30default_config_static_selectorELNS0_4arch9wavefront6targetE0EEEvSK_,"axG",@progbits,_ZN7rocprim17ROCPRIM_400000_NS6detail17trampoline_kernelINS0_14default_configENS1_37merge_sort_block_sort_config_selectorIiNS0_10empty_typeEEEZNS1_21merge_sort_block_sortIS3_N6thrust23THRUST_200600_302600_NS6detail15normal_iteratorINS9_10device_ptrIiEEEESE_PS5_SF_11less_div_10IiEEE10hipError_tT0_T1_T2_T3_mRjT4_P12ihipStream_tbNS1_7vsmem_tEEUlT_E_NS1_11comp_targetILNS1_3genE9ELNS1_11target_archE1100ELNS1_3gpuE3ELNS1_3repE0EEENS1_30default_config_static_selectorELNS0_4arch9wavefront6targetE0EEEvSK_,comdat
.Lfunc_end427:
	.size	_ZN7rocprim17ROCPRIM_400000_NS6detail17trampoline_kernelINS0_14default_configENS1_37merge_sort_block_sort_config_selectorIiNS0_10empty_typeEEEZNS1_21merge_sort_block_sortIS3_N6thrust23THRUST_200600_302600_NS6detail15normal_iteratorINS9_10device_ptrIiEEEESE_PS5_SF_11less_div_10IiEEE10hipError_tT0_T1_T2_T3_mRjT4_P12ihipStream_tbNS1_7vsmem_tEEUlT_E_NS1_11comp_targetILNS1_3genE9ELNS1_11target_archE1100ELNS1_3gpuE3ELNS1_3repE0EEENS1_30default_config_static_selectorELNS0_4arch9wavefront6targetE0EEEvSK_, .Lfunc_end427-_ZN7rocprim17ROCPRIM_400000_NS6detail17trampoline_kernelINS0_14default_configENS1_37merge_sort_block_sort_config_selectorIiNS0_10empty_typeEEEZNS1_21merge_sort_block_sortIS3_N6thrust23THRUST_200600_302600_NS6detail15normal_iteratorINS9_10device_ptrIiEEEESE_PS5_SF_11less_div_10IiEEE10hipError_tT0_T1_T2_T3_mRjT4_P12ihipStream_tbNS1_7vsmem_tEEUlT_E_NS1_11comp_targetILNS1_3genE9ELNS1_11target_archE1100ELNS1_3gpuE3ELNS1_3repE0EEENS1_30default_config_static_selectorELNS0_4arch9wavefront6targetE0EEEvSK_
                                        ; -- End function
	.set _ZN7rocprim17ROCPRIM_400000_NS6detail17trampoline_kernelINS0_14default_configENS1_37merge_sort_block_sort_config_selectorIiNS0_10empty_typeEEEZNS1_21merge_sort_block_sortIS3_N6thrust23THRUST_200600_302600_NS6detail15normal_iteratorINS9_10device_ptrIiEEEESE_PS5_SF_11less_div_10IiEEE10hipError_tT0_T1_T2_T3_mRjT4_P12ihipStream_tbNS1_7vsmem_tEEUlT_E_NS1_11comp_targetILNS1_3genE9ELNS1_11target_archE1100ELNS1_3gpuE3ELNS1_3repE0EEENS1_30default_config_static_selectorELNS0_4arch9wavefront6targetE0EEEvSK_.num_vgpr, 0
	.set _ZN7rocprim17ROCPRIM_400000_NS6detail17trampoline_kernelINS0_14default_configENS1_37merge_sort_block_sort_config_selectorIiNS0_10empty_typeEEEZNS1_21merge_sort_block_sortIS3_N6thrust23THRUST_200600_302600_NS6detail15normal_iteratorINS9_10device_ptrIiEEEESE_PS5_SF_11less_div_10IiEEE10hipError_tT0_T1_T2_T3_mRjT4_P12ihipStream_tbNS1_7vsmem_tEEUlT_E_NS1_11comp_targetILNS1_3genE9ELNS1_11target_archE1100ELNS1_3gpuE3ELNS1_3repE0EEENS1_30default_config_static_selectorELNS0_4arch9wavefront6targetE0EEEvSK_.num_agpr, 0
	.set _ZN7rocprim17ROCPRIM_400000_NS6detail17trampoline_kernelINS0_14default_configENS1_37merge_sort_block_sort_config_selectorIiNS0_10empty_typeEEEZNS1_21merge_sort_block_sortIS3_N6thrust23THRUST_200600_302600_NS6detail15normal_iteratorINS9_10device_ptrIiEEEESE_PS5_SF_11less_div_10IiEEE10hipError_tT0_T1_T2_T3_mRjT4_P12ihipStream_tbNS1_7vsmem_tEEUlT_E_NS1_11comp_targetILNS1_3genE9ELNS1_11target_archE1100ELNS1_3gpuE3ELNS1_3repE0EEENS1_30default_config_static_selectorELNS0_4arch9wavefront6targetE0EEEvSK_.numbered_sgpr, 0
	.set _ZN7rocprim17ROCPRIM_400000_NS6detail17trampoline_kernelINS0_14default_configENS1_37merge_sort_block_sort_config_selectorIiNS0_10empty_typeEEEZNS1_21merge_sort_block_sortIS3_N6thrust23THRUST_200600_302600_NS6detail15normal_iteratorINS9_10device_ptrIiEEEESE_PS5_SF_11less_div_10IiEEE10hipError_tT0_T1_T2_T3_mRjT4_P12ihipStream_tbNS1_7vsmem_tEEUlT_E_NS1_11comp_targetILNS1_3genE9ELNS1_11target_archE1100ELNS1_3gpuE3ELNS1_3repE0EEENS1_30default_config_static_selectorELNS0_4arch9wavefront6targetE0EEEvSK_.num_named_barrier, 0
	.set _ZN7rocprim17ROCPRIM_400000_NS6detail17trampoline_kernelINS0_14default_configENS1_37merge_sort_block_sort_config_selectorIiNS0_10empty_typeEEEZNS1_21merge_sort_block_sortIS3_N6thrust23THRUST_200600_302600_NS6detail15normal_iteratorINS9_10device_ptrIiEEEESE_PS5_SF_11less_div_10IiEEE10hipError_tT0_T1_T2_T3_mRjT4_P12ihipStream_tbNS1_7vsmem_tEEUlT_E_NS1_11comp_targetILNS1_3genE9ELNS1_11target_archE1100ELNS1_3gpuE3ELNS1_3repE0EEENS1_30default_config_static_selectorELNS0_4arch9wavefront6targetE0EEEvSK_.private_seg_size, 0
	.set _ZN7rocprim17ROCPRIM_400000_NS6detail17trampoline_kernelINS0_14default_configENS1_37merge_sort_block_sort_config_selectorIiNS0_10empty_typeEEEZNS1_21merge_sort_block_sortIS3_N6thrust23THRUST_200600_302600_NS6detail15normal_iteratorINS9_10device_ptrIiEEEESE_PS5_SF_11less_div_10IiEEE10hipError_tT0_T1_T2_T3_mRjT4_P12ihipStream_tbNS1_7vsmem_tEEUlT_E_NS1_11comp_targetILNS1_3genE9ELNS1_11target_archE1100ELNS1_3gpuE3ELNS1_3repE0EEENS1_30default_config_static_selectorELNS0_4arch9wavefront6targetE0EEEvSK_.uses_vcc, 0
	.set _ZN7rocprim17ROCPRIM_400000_NS6detail17trampoline_kernelINS0_14default_configENS1_37merge_sort_block_sort_config_selectorIiNS0_10empty_typeEEEZNS1_21merge_sort_block_sortIS3_N6thrust23THRUST_200600_302600_NS6detail15normal_iteratorINS9_10device_ptrIiEEEESE_PS5_SF_11less_div_10IiEEE10hipError_tT0_T1_T2_T3_mRjT4_P12ihipStream_tbNS1_7vsmem_tEEUlT_E_NS1_11comp_targetILNS1_3genE9ELNS1_11target_archE1100ELNS1_3gpuE3ELNS1_3repE0EEENS1_30default_config_static_selectorELNS0_4arch9wavefront6targetE0EEEvSK_.uses_flat_scratch, 0
	.set _ZN7rocprim17ROCPRIM_400000_NS6detail17trampoline_kernelINS0_14default_configENS1_37merge_sort_block_sort_config_selectorIiNS0_10empty_typeEEEZNS1_21merge_sort_block_sortIS3_N6thrust23THRUST_200600_302600_NS6detail15normal_iteratorINS9_10device_ptrIiEEEESE_PS5_SF_11less_div_10IiEEE10hipError_tT0_T1_T2_T3_mRjT4_P12ihipStream_tbNS1_7vsmem_tEEUlT_E_NS1_11comp_targetILNS1_3genE9ELNS1_11target_archE1100ELNS1_3gpuE3ELNS1_3repE0EEENS1_30default_config_static_selectorELNS0_4arch9wavefront6targetE0EEEvSK_.has_dyn_sized_stack, 0
	.set _ZN7rocprim17ROCPRIM_400000_NS6detail17trampoline_kernelINS0_14default_configENS1_37merge_sort_block_sort_config_selectorIiNS0_10empty_typeEEEZNS1_21merge_sort_block_sortIS3_N6thrust23THRUST_200600_302600_NS6detail15normal_iteratorINS9_10device_ptrIiEEEESE_PS5_SF_11less_div_10IiEEE10hipError_tT0_T1_T2_T3_mRjT4_P12ihipStream_tbNS1_7vsmem_tEEUlT_E_NS1_11comp_targetILNS1_3genE9ELNS1_11target_archE1100ELNS1_3gpuE3ELNS1_3repE0EEENS1_30default_config_static_selectorELNS0_4arch9wavefront6targetE0EEEvSK_.has_recursion, 0
	.set _ZN7rocprim17ROCPRIM_400000_NS6detail17trampoline_kernelINS0_14default_configENS1_37merge_sort_block_sort_config_selectorIiNS0_10empty_typeEEEZNS1_21merge_sort_block_sortIS3_N6thrust23THRUST_200600_302600_NS6detail15normal_iteratorINS9_10device_ptrIiEEEESE_PS5_SF_11less_div_10IiEEE10hipError_tT0_T1_T2_T3_mRjT4_P12ihipStream_tbNS1_7vsmem_tEEUlT_E_NS1_11comp_targetILNS1_3genE9ELNS1_11target_archE1100ELNS1_3gpuE3ELNS1_3repE0EEENS1_30default_config_static_selectorELNS0_4arch9wavefront6targetE0EEEvSK_.has_indirect_call, 0
	.section	.AMDGPU.csdata,"",@progbits
; Kernel info:
; codeLenInByte = 0
; TotalNumSgprs: 0
; NumVgprs: 0
; ScratchSize: 0
; MemoryBound: 0
; FloatMode: 240
; IeeeMode: 1
; LDSByteSize: 0 bytes/workgroup (compile time only)
; SGPRBlocks: 0
; VGPRBlocks: 0
; NumSGPRsForWavesPerEU: 1
; NumVGPRsForWavesPerEU: 1
; Occupancy: 16
; WaveLimiterHint : 0
; COMPUTE_PGM_RSRC2:SCRATCH_EN: 0
; COMPUTE_PGM_RSRC2:USER_SGPR: 6
; COMPUTE_PGM_RSRC2:TRAP_HANDLER: 0
; COMPUTE_PGM_RSRC2:TGID_X_EN: 1
; COMPUTE_PGM_RSRC2:TGID_Y_EN: 0
; COMPUTE_PGM_RSRC2:TGID_Z_EN: 0
; COMPUTE_PGM_RSRC2:TIDIG_COMP_CNT: 0
	.section	.text._ZN7rocprim17ROCPRIM_400000_NS6detail17trampoline_kernelINS0_14default_configENS1_37merge_sort_block_sort_config_selectorIiNS0_10empty_typeEEEZNS1_21merge_sort_block_sortIS3_N6thrust23THRUST_200600_302600_NS6detail15normal_iteratorINS9_10device_ptrIiEEEESE_PS5_SF_11less_div_10IiEEE10hipError_tT0_T1_T2_T3_mRjT4_P12ihipStream_tbNS1_7vsmem_tEEUlT_E_NS1_11comp_targetILNS1_3genE8ELNS1_11target_archE1030ELNS1_3gpuE2ELNS1_3repE0EEENS1_30default_config_static_selectorELNS0_4arch9wavefront6targetE0EEEvSK_,"axG",@progbits,_ZN7rocprim17ROCPRIM_400000_NS6detail17trampoline_kernelINS0_14default_configENS1_37merge_sort_block_sort_config_selectorIiNS0_10empty_typeEEEZNS1_21merge_sort_block_sortIS3_N6thrust23THRUST_200600_302600_NS6detail15normal_iteratorINS9_10device_ptrIiEEEESE_PS5_SF_11less_div_10IiEEE10hipError_tT0_T1_T2_T3_mRjT4_P12ihipStream_tbNS1_7vsmem_tEEUlT_E_NS1_11comp_targetILNS1_3genE8ELNS1_11target_archE1030ELNS1_3gpuE2ELNS1_3repE0EEENS1_30default_config_static_selectorELNS0_4arch9wavefront6targetE0EEEvSK_,comdat
	.protected	_ZN7rocprim17ROCPRIM_400000_NS6detail17trampoline_kernelINS0_14default_configENS1_37merge_sort_block_sort_config_selectorIiNS0_10empty_typeEEEZNS1_21merge_sort_block_sortIS3_N6thrust23THRUST_200600_302600_NS6detail15normal_iteratorINS9_10device_ptrIiEEEESE_PS5_SF_11less_div_10IiEEE10hipError_tT0_T1_T2_T3_mRjT4_P12ihipStream_tbNS1_7vsmem_tEEUlT_E_NS1_11comp_targetILNS1_3genE8ELNS1_11target_archE1030ELNS1_3gpuE2ELNS1_3repE0EEENS1_30default_config_static_selectorELNS0_4arch9wavefront6targetE0EEEvSK_ ; -- Begin function _ZN7rocprim17ROCPRIM_400000_NS6detail17trampoline_kernelINS0_14default_configENS1_37merge_sort_block_sort_config_selectorIiNS0_10empty_typeEEEZNS1_21merge_sort_block_sortIS3_N6thrust23THRUST_200600_302600_NS6detail15normal_iteratorINS9_10device_ptrIiEEEESE_PS5_SF_11less_div_10IiEEE10hipError_tT0_T1_T2_T3_mRjT4_P12ihipStream_tbNS1_7vsmem_tEEUlT_E_NS1_11comp_targetILNS1_3genE8ELNS1_11target_archE1030ELNS1_3gpuE2ELNS1_3repE0EEENS1_30default_config_static_selectorELNS0_4arch9wavefront6targetE0EEEvSK_
	.globl	_ZN7rocprim17ROCPRIM_400000_NS6detail17trampoline_kernelINS0_14default_configENS1_37merge_sort_block_sort_config_selectorIiNS0_10empty_typeEEEZNS1_21merge_sort_block_sortIS3_N6thrust23THRUST_200600_302600_NS6detail15normal_iteratorINS9_10device_ptrIiEEEESE_PS5_SF_11less_div_10IiEEE10hipError_tT0_T1_T2_T3_mRjT4_P12ihipStream_tbNS1_7vsmem_tEEUlT_E_NS1_11comp_targetILNS1_3genE8ELNS1_11target_archE1030ELNS1_3gpuE2ELNS1_3repE0EEENS1_30default_config_static_selectorELNS0_4arch9wavefront6targetE0EEEvSK_
	.p2align	8
	.type	_ZN7rocprim17ROCPRIM_400000_NS6detail17trampoline_kernelINS0_14default_configENS1_37merge_sort_block_sort_config_selectorIiNS0_10empty_typeEEEZNS1_21merge_sort_block_sortIS3_N6thrust23THRUST_200600_302600_NS6detail15normal_iteratorINS9_10device_ptrIiEEEESE_PS5_SF_11less_div_10IiEEE10hipError_tT0_T1_T2_T3_mRjT4_P12ihipStream_tbNS1_7vsmem_tEEUlT_E_NS1_11comp_targetILNS1_3genE8ELNS1_11target_archE1030ELNS1_3gpuE2ELNS1_3repE0EEENS1_30default_config_static_selectorELNS0_4arch9wavefront6targetE0EEEvSK_,@function
_ZN7rocprim17ROCPRIM_400000_NS6detail17trampoline_kernelINS0_14default_configENS1_37merge_sort_block_sort_config_selectorIiNS0_10empty_typeEEEZNS1_21merge_sort_block_sortIS3_N6thrust23THRUST_200600_302600_NS6detail15normal_iteratorINS9_10device_ptrIiEEEESE_PS5_SF_11less_div_10IiEEE10hipError_tT0_T1_T2_T3_mRjT4_P12ihipStream_tbNS1_7vsmem_tEEUlT_E_NS1_11comp_targetILNS1_3genE8ELNS1_11target_archE1030ELNS1_3gpuE2ELNS1_3repE0EEENS1_30default_config_static_selectorELNS0_4arch9wavefront6targetE0EEEvSK_: ; @_ZN7rocprim17ROCPRIM_400000_NS6detail17trampoline_kernelINS0_14default_configENS1_37merge_sort_block_sort_config_selectorIiNS0_10empty_typeEEEZNS1_21merge_sort_block_sortIS3_N6thrust23THRUST_200600_302600_NS6detail15normal_iteratorINS9_10device_ptrIiEEEESE_PS5_SF_11less_div_10IiEEE10hipError_tT0_T1_T2_T3_mRjT4_P12ihipStream_tbNS1_7vsmem_tEEUlT_E_NS1_11comp_targetILNS1_3genE8ELNS1_11target_archE1030ELNS1_3gpuE2ELNS1_3repE0EEENS1_30default_config_static_selectorELNS0_4arch9wavefront6targetE0EEEvSK_
; %bb.0:
	s_clause 0x1
	s_load_dwordx2 s[12:13], s[4:5], 0x40
	s_load_dword s0, s[4:5], 0x0
	s_add_u32 s10, s4, 64
	s_addc_u32 s11, s5, 0
	s_waitcnt lgkmcnt(0)
	s_mul_i32 s1, s13, s8
	s_add_i32 s1, s1, s7
	s_mul_i32 s1, s1, s12
	s_add_i32 s2, s1, s6
	s_cmp_ge_u32 s2, s0
	s_cbranch_scc1 .LBB428_562
; %bb.1:
	s_clause 0x1
	s_load_dwordx2 s[8:9], s[4:5], 0x8
	s_load_dwordx4 s[16:19], s[4:5], 0x18
	s_mov_b32 s3, 0
	v_mov_b32_e32 v3, v1
	s_lshl_b64 s[0:1], s[2:3], 13
	v_lshlrev_b32_e32 v20, 2, v0
	v_lshrrev_b32_e32 v27, 3, v0
	v_or_b32_e32 v29, 0x100, v0
	v_or_b32_e32 v28, 0x200, v0
	;; [unrolled: 1-line block ×7, first 2 shown]
	v_and_b32_e32 v21, 0xfc, v0
	s_waitcnt lgkmcnt(0)
	s_lshr_b64 s[4:5], s[8:9], 11
	s_add_u32 s7, s16, s0
	s_addc_u32 s9, s17, s1
	s_add_u32 s15, s18, s0
	s_addc_u32 s16, s19, s1
	s_cmp_lg_u64 s[4:5], s[2:3]
	s_cbranch_scc0 .LBB428_327
; %bb.2:
	v_add_co_u32 v4, s0, s7, v20
	v_add_co_ci_u32_e64 v5, null, s9, 0, s0
	v_lshrrev_b32_e32 v12, 3, v29
	v_add_co_u32 v6, vcc_lo, 0x800, v4
	v_add_co_ci_u32_e64 v7, null, 0, v5, vcc_lo
	v_add_co_u32 v8, vcc_lo, 0x1000, v4
	v_add_co_ci_u32_e64 v9, null, 0, v5, vcc_lo
	;; [unrolled: 2-line block ×3, first 2 shown]
	s_clause 0x7
	flat_load_dword v1, v[4:5]
	flat_load_dword v4, v[4:5] offset:1024
	flat_load_dword v5, v[6:7]
	flat_load_dword v6, v[6:7] offset:1024
	;; [unrolled: 2-line block ×4, first 2 shown]
	v_and_b32_e32 v11, 28, v27
	v_lshrrev_b32_e32 v13, 3, v28
	v_lshrrev_b32_e32 v14, 3, v26
	;; [unrolled: 1-line block ×6, first 2 shown]
	v_add_nc_u32_e32 v30, v11, v20
	v_and_b32_e32 v11, 60, v12
	v_and_b32_e32 v12, 0x5c, v13
	;; [unrolled: 1-line block ×4, first 2 shown]
	v_lshl_add_u32 v36, v0, 5, v21
	v_and_b32_e32 v15, 0xbc, v16
	v_and_b32_e32 v16, 0xdc, v17
	;; [unrolled: 1-line block ×3, first 2 shown]
	v_add_nc_u32_e32 v37, v11, v20
	v_add_nc_u32_e32 v38, v12, v20
	;; [unrolled: 1-line block ×7, first 2 shown]
	s_waitcnt vmcnt(7) lgkmcnt(7)
	ds_write_b32 v30, v1
	s_waitcnt vmcnt(6) lgkmcnt(7)
	ds_write_b32 v37, v4 offset:1024
	s_waitcnt vmcnt(5) lgkmcnt(7)
	ds_write_b32 v38, v5 offset:2048
	;; [unrolled: 2-line block ×7, first 2 shown]
	s_waitcnt lgkmcnt(0)
	s_barrier
	buffer_gl0_inv
	ds_read2_b32 v[4:5], v36 offset1:1
	ds_read2_b32 v[6:7], v36 offset0:2 offset1:3
	ds_read2_b32 v[8:9], v36 offset0:4 offset1:5
	;; [unrolled: 1-line block ×3, first 2 shown]
	s_waitcnt lgkmcnt(0)
	s_barrier
	buffer_gl0_inv
	s_load_dword s0, s[10:11], 0xc
	v_mov_b32_e32 v1, 0
	s_waitcnt lgkmcnt(0)
	s_lshr_b32 s4, s0, 16
	s_cmp_lt_u32 s6, s12
	v_mad_u32_u24 v13, v2, s4, v3
	s_cselect_b32 s0, 12, 18
	s_add_u32 s0, s10, s0
	s_addc_u32 s1, s11, 0
	global_load_ushort v12, v1, s[0:1]
	s_mov_b32 s1, exec_lo
	s_waitcnt vmcnt(0)
	v_mul_lo_u32 v12, v13, v12
	v_add_lshl_u32 v39, v12, v0, 3
	v_mov_b32_e32 v12, v4
	v_cmpx_gt_u32_e32 0x800, v39
	s_cbranch_execz .LBB428_6
; %bb.3:
	v_mul_hi_i32 v13, 0x66666667, v7
	v_mul_hi_i32 v14, 0x66666667, v6
	;; [unrolled: 1-line block ×5, first 2 shown]
	v_lshrrev_b32_e32 v18, 31, v13
	v_ashrrev_i32_e32 v13, 2, v13
	v_lshrrev_b32_e32 v19, 31, v14
	v_ashrrev_i32_e32 v14, 2, v14
	;; [unrolled: 2-line block ×3, first 2 shown]
	v_add_nc_u32_e32 v13, v13, v18
	v_mul_hi_i32 v18, 0x66666667, v8
	v_lshrrev_b32_e32 v40, 31, v15
	v_ashrrev_i32_e32 v15, 2, v15
	v_add_nc_u32_e32 v14, v14, v19
	v_add_nc_u32_e32 v12, v12, v17
	v_mul_hi_i32 v19, 0x66666667, v10
	v_add_nc_u32_e32 v15, v15, v40
	v_cmp_lt_i32_e32 vcc_lo, v13, v14
	v_lshrrev_b32_e32 v13, 31, v16
	v_ashrrev_i32_e32 v14, 2, v16
	v_lshrrev_b32_e32 v16, 31, v18
	v_ashrrev_i32_e32 v17, 2, v18
	v_mul_hi_i32 v18, 0x66666667, v11
	v_cmp_lt_i32_e64 s0, v12, v15
	v_cndmask_b32_e32 v15, v7, v6, vcc_lo
	v_cndmask_b32_e32 v6, v6, v7, vcc_lo
	v_add_nc_u32_e32 v7, v14, v13
	v_add_nc_u32_e32 v13, v17, v16
	v_cndmask_b32_e64 v12, v4, v5, s0
	v_lshrrev_b32_e32 v17, 31, v19
	v_lshrrev_b32_e32 v14, 31, v18
	v_ashrrev_i32_e32 v16, 2, v18
	v_ashrrev_i32_e32 v18, 2, v19
	v_cndmask_b32_e64 v4, v5, v4, s0
	v_cmp_lt_i32_e32 vcc_lo, v7, v13
	v_mul_hi_i32 v7, 0x66666667, v6
	v_add_nc_u32_e32 v5, v16, v14
	v_add_nc_u32_e32 v13, v18, v17
	v_mul_hi_i32 v14, 0x66666667, v4
	v_cndmask_b32_e32 v16, v9, v8, vcc_lo
	v_cndmask_b32_e32 v8, v8, v9, vcc_lo
	v_mul_hi_i32 v17, 0x66666667, v15
	v_cmp_lt_i32_e32 vcc_lo, v5, v13
	v_lshrrev_b32_e32 v5, 31, v7
	v_ashrrev_i32_e32 v7, 2, v7
	v_mul_hi_i32 v13, 0x66666667, v8
	v_lshrrev_b32_e32 v9, 31, v14
	v_ashrrev_i32_e32 v14, 2, v14
	v_cndmask_b32_e32 v18, v11, v10, vcc_lo
	v_cndmask_b32_e32 v10, v10, v11, vcc_lo
	v_add_nc_u32_e32 v5, v7, v5
	v_mul_hi_i32 v19, 0x66666667, v16
	v_add_nc_u32_e32 v7, v14, v9
	v_lshrrev_b32_e32 v9, 31, v13
	v_ashrrev_i32_e32 v11, 2, v13
	v_lshrrev_b32_e32 v13, 31, v17
	v_ashrrev_i32_e32 v17, 2, v17
	v_mul_hi_i32 v14, 0x66666667, v10
	v_cmp_lt_i32_e32 vcc_lo, v5, v7
	v_add_nc_u32_e32 v7, v11, v9
	v_add_nc_u32_e32 v9, v17, v13
	v_ashrrev_i32_e32 v17, 2, v19
	v_cndmask_b32_e32 v5, v6, v4, vcc_lo
	v_cndmask_b32_e32 v4, v4, v6, vcc_lo
	v_lshrrev_b32_e32 v11, 31, v14
	v_ashrrev_i32_e32 v13, 2, v14
	v_lshrrev_b32_e32 v14, 31, v19
	v_cmp_lt_i32_e64 s0, v7, v9
	v_add_nc_u32_e32 v7, v13, v11
	v_add_nc_u32_e32 v9, v17, v14
	v_cndmask_b32_e64 v6, v8, v15, s0
	v_cndmask_b32_e64 v8, v15, v8, s0
	v_mul_hi_i32 v11, 0x66666667, v4
	v_mul_hi_i32 v14, 0x66666667, v12
	v_cmp_lt_i32_e32 vcc_lo, v7, v9
	v_mul_hi_i32 v9, 0x66666667, v5
	v_mul_hi_i32 v7, 0x66666667, v8
	v_cndmask_b32_e32 v13, v10, v16, vcc_lo
	v_cndmask_b32_e32 v10, v16, v10, vcc_lo
	v_lshrrev_b32_e32 v15, 31, v11
	v_ashrrev_i32_e32 v11, 2, v11
	v_lshrrev_b32_e32 v17, 31, v9
	v_lshrrev_b32_e32 v16, 31, v7
	v_ashrrev_i32_e32 v7, 2, v7
	v_ashrrev_i32_e32 v9, 2, v9
	v_lshrrev_b32_e32 v19, 31, v14
	v_ashrrev_i32_e32 v14, 2, v14
	v_add_nc_u32_e32 v11, v11, v15
	v_add_nc_u32_e32 v7, v7, v16
	v_mul_hi_i32 v16, 0x66666667, v10
	v_add_nc_u32_e32 v9, v9, v17
	v_mul_hi_i32 v17, 0x66666667, v6
	;; [unrolled: 2-line block ×3, first 2 shown]
	v_cmp_lt_i32_e32 vcc_lo, v7, v9
	v_lshrrev_b32_e32 v7, 31, v16
	v_ashrrev_i32_e32 v9, 2, v16
	v_lshrrev_b32_e32 v15, 31, v17
	v_ashrrev_i32_e32 v16, 2, v17
	v_mul_hi_i32 v17, 0x66666667, v18
	v_cmp_lt_i32_e64 s0, v11, v14
	v_cndmask_b32_e32 v14, v8, v5, vcc_lo
	v_cndmask_b32_e32 v5, v5, v8, vcc_lo
	v_add_nc_u32_e32 v7, v9, v7
	v_add_nc_u32_e32 v8, v16, v15
	v_cndmask_b32_e64 v11, v12, v4, s0
	v_lshrrev_b32_e32 v16, 31, v19
	v_lshrrev_b32_e32 v9, 31, v17
	v_ashrrev_i32_e32 v15, 2, v17
	v_ashrrev_i32_e32 v17, 2, v19
	v_cndmask_b32_e64 v4, v4, v12, s0
	v_cmp_lt_i32_e32 vcc_lo, v7, v8
	v_mul_hi_i32 v8, 0x66666667, v5
	v_add_nc_u32_e32 v7, v15, v9
	v_add_nc_u32_e32 v9, v17, v16
	v_mul_hi_i32 v12, 0x66666667, v4
	v_cndmask_b32_e32 v15, v10, v6, vcc_lo
	v_cndmask_b32_e32 v6, v6, v10, vcc_lo
	v_mul_hi_i32 v16, 0x66666667, v14
	v_cmp_lt_i32_e32 vcc_lo, v7, v9
	v_lshrrev_b32_e32 v7, 31, v8
	v_ashrrev_i32_e32 v8, 2, v8
	v_mul_hi_i32 v10, 0x66666667, v6
	v_lshrrev_b32_e32 v9, 31, v12
	v_ashrrev_i32_e32 v12, 2, v12
	v_cndmask_b32_e32 v17, v18, v13, vcc_lo
	v_cndmask_b32_e32 v13, v13, v18, vcc_lo
	v_add_nc_u32_e32 v7, v8, v7
	v_mul_hi_i32 v19, 0x66666667, v15
	v_add_nc_u32_e32 v8, v12, v9
	v_lshrrev_b32_e32 v9, 31, v10
	v_ashrrev_i32_e32 v10, 2, v10
	v_lshrrev_b32_e32 v12, 31, v16
	v_ashrrev_i32_e32 v16, 2, v16
	v_mul_hi_i32 v18, 0x66666667, v13
	v_cmp_lt_i32_e32 vcc_lo, v7, v8
	v_add_nc_u32_e32 v8, v10, v9
	v_add_nc_u32_e32 v9, v16, v12
	v_lshrrev_b32_e32 v16, 31, v19
	v_cndmask_b32_e32 v7, v5, v4, vcc_lo
	v_cndmask_b32_e32 v4, v4, v5, vcc_lo
	v_lshrrev_b32_e32 v10, 31, v18
	v_ashrrev_i32_e32 v12, 2, v18
	v_ashrrev_i32_e32 v18, 2, v19
	v_cmp_lt_i32_e64 s0, v8, v9
	v_add_nc_u32_e32 v8, v12, v10
	v_add_nc_u32_e32 v9, v18, v16
	v_cndmask_b32_e64 v5, v6, v14, s0
	v_cndmask_b32_e64 v6, v14, v6, s0
	v_mul_hi_i32 v10, 0x66666667, v4
	v_mul_hi_i32 v14, 0x66666667, v11
	v_cmp_lt_i32_e32 vcc_lo, v8, v9
	v_mul_hi_i32 v9, 0x66666667, v7
	v_mul_hi_i32 v8, 0x66666667, v6
	v_cndmask_b32_e32 v12, v13, v15, vcc_lo
	v_cndmask_b32_e32 v13, v15, v13, vcc_lo
	v_lshrrev_b32_e32 v15, 31, v10
	v_ashrrev_i32_e32 v10, 2, v10
	v_lshrrev_b32_e32 v18, 31, v9
	v_lshrrev_b32_e32 v16, 31, v8
	v_ashrrev_i32_e32 v8, 2, v8
	v_ashrrev_i32_e32 v9, 2, v9
	v_lshrrev_b32_e32 v19, 31, v14
	v_ashrrev_i32_e32 v14, 2, v14
	v_add_nc_u32_e32 v10, v10, v15
	v_add_nc_u32_e32 v8, v8, v16
	v_mul_hi_i32 v16, 0x66666667, v13
	v_add_nc_u32_e32 v9, v9, v18
	v_mul_hi_i32 v18, 0x66666667, v5
	;; [unrolled: 2-line block ×3, first 2 shown]
	v_cmp_lt_i32_e32 vcc_lo, v8, v9
	v_lshrrev_b32_e32 v8, 31, v16
	v_ashrrev_i32_e32 v9, 2, v16
	v_lshrrev_b32_e32 v15, 31, v18
	v_ashrrev_i32_e32 v16, 2, v18
	v_mul_hi_i32 v18, 0x66666667, v17
	v_cmp_lt_i32_e64 s0, v10, v14
	v_cndmask_b32_e32 v14, v6, v7, vcc_lo
	v_cndmask_b32_e32 v6, v7, v6, vcc_lo
	v_add_nc_u32_e32 v7, v9, v8
	v_add_nc_u32_e32 v8, v16, v15
	v_lshrrev_b32_e32 v16, 31, v19
	v_cndmask_b32_e64 v10, v11, v4, s0
	v_lshrrev_b32_e32 v9, 31, v18
	v_ashrrev_i32_e32 v15, 2, v18
	v_ashrrev_i32_e32 v18, 2, v19
	v_cndmask_b32_e64 v4, v4, v11, s0
	v_cmp_lt_i32_e32 vcc_lo, v7, v8
	v_mul_hi_i32 v8, 0x66666667, v6
	v_add_nc_u32_e32 v7, v15, v9
	v_add_nc_u32_e32 v9, v18, v16
	v_mul_hi_i32 v11, 0x66666667, v4
	v_cndmask_b32_e32 v15, v13, v5, vcc_lo
	v_cndmask_b32_e32 v5, v5, v13, vcc_lo
	v_mul_hi_i32 v16, 0x66666667, v14
	v_cmp_lt_i32_e32 vcc_lo, v7, v9
	v_lshrrev_b32_e32 v7, 31, v8
	v_ashrrev_i32_e32 v8, 2, v8
	v_mul_hi_i32 v13, 0x66666667, v5
	v_lshrrev_b32_e32 v9, 31, v11
	v_cndmask_b32_e32 v19, v17, v12, vcc_lo
	v_cndmask_b32_e32 v12, v12, v17, vcc_lo
	v_ashrrev_i32_e32 v11, 2, v11
	v_mul_hi_i32 v18, 0x66666667, v15
	v_add_nc_u32_e32 v7, v8, v7
	v_mul_hi_i32 v17, 0x66666667, v12
	v_add_nc_u32_e32 v8, v11, v9
	v_lshrrev_b32_e32 v9, 31, v13
	v_ashrrev_i32_e32 v11, 2, v13
	v_lshrrev_b32_e32 v13, 31, v16
	v_ashrrev_i32_e32 v16, 2, v16
	v_cmp_lt_i32_e32 vcc_lo, v7, v8
	v_add_nc_u32_e32 v7, v11, v9
	v_lshrrev_b32_e32 v9, 31, v17
	v_add_nc_u32_e32 v8, v16, v13
	v_ashrrev_i32_e32 v11, 2, v17
	v_lshrrev_b32_e32 v13, 31, v18
	v_ashrrev_i32_e32 v16, 2, v18
	v_cndmask_b32_e32 v17, v6, v4, vcc_lo
	v_cndmask_b32_e32 v4, v4, v6, vcc_lo
	v_cmp_lt_i32_e32 vcc_lo, v7, v8
	v_add_nc_u32_e32 v6, v11, v9
	v_add_nc_u32_e32 v7, v16, v13
	v_mul_hi_i32 v13, 0x66666667, v17
	v_mul_hi_i32 v9, 0x66666667, v4
	v_cndmask_b32_e32 v8, v5, v14, vcc_lo
	v_cndmask_b32_e32 v5, v14, v5, vcc_lo
	v_cmp_lt_i32_e32 vcc_lo, v6, v7
	v_mul_hi_i32 v6, 0x66666667, v10
	v_mul_hi_i32 v41, 0x66666667, v8
	;; [unrolled: 1-line block ×3, first 2 shown]
	v_cndmask_b32_e32 v14, v15, v12, vcc_lo
	v_cndmask_b32_e32 v11, v12, v15, vcc_lo
	v_lshrrev_b32_e32 v12, 31, v9
	v_ashrrev_i32_e32 v9, 2, v9
	v_lshrrev_b32_e32 v15, 31, v6
	v_mul_hi_i32 v40, 0x66666667, v14
	v_ashrrev_i32_e32 v6, 2, v6
	v_lshrrev_b32_e32 v16, 31, v7
	v_ashrrev_i32_e32 v7, 2, v7
	v_lshrrev_b32_e32 v18, 31, v13
	v_ashrrev_i32_e32 v13, 2, v13
	v_add_nc_u32_e32 v9, v9, v12
	v_add_nc_u32_e32 v6, v6, v15
	;; [unrolled: 1-line block ×3, first 2 shown]
	v_ashrrev_i32_e32 v15, 2, v40
	v_add_nc_u32_e32 v12, v13, v18
	v_lshrrev_b32_e32 v13, 31, v40
	v_lshrrev_b32_e32 v16, 31, v41
	v_ashrrev_i32_e32 v18, 2, v41
	v_cmp_lt_i32_e32 vcc_lo, v9, v6
	v_cmp_lt_i32_e64 s0, v7, v12
	v_add_nc_u32_e32 v6, v15, v13
	v_mul_hi_i32 v7, 0x66666667, v19
	v_mul_hi_i32 v13, 0x66666667, v11
	v_add_nc_u32_e32 v9, v18, v16
	v_cndmask_b32_e32 v12, v10, v4, vcc_lo
	v_cndmask_b32_e32 v4, v4, v10, vcc_lo
	v_cndmask_b32_e64 v10, v5, v17, s0
	v_cndmask_b32_e64 v5, v17, v5, s0
	v_cmp_lt_i32_e32 vcc_lo, v6, v9
	v_lshrrev_b32_e32 v6, 31, v7
	v_ashrrev_i32_e32 v7, 2, v7
	v_lshrrev_b32_e32 v9, 31, v13
	v_ashrrev_i32_e32 v13, 2, v13
	v_mul_hi_i32 v15, 0x66666667, v5
	v_mul_hi_i32 v16, 0x66666667, v4
	v_add_nc_u32_e32 v6, v7, v6
	v_cndmask_b32_e32 v17, v14, v8, vcc_lo
	v_add_nc_u32_e32 v7, v13, v9
	v_cndmask_b32_e32 v8, v8, v14, vcc_lo
	v_mul_hi_i32 v40, 0x66666667, v10
	v_lshrrev_b32_e32 v9, 31, v15
	v_cmp_lt_i32_e32 vcc_lo, v6, v7
	v_ashrrev_i32_e32 v13, 2, v15
	v_mul_hi_i32 v15, 0x66666667, v8
	v_lshrrev_b32_e32 v14, 31, v16
	v_ashrrev_i32_e32 v16, 2, v16
	v_cndmask_b32_e32 v18, v11, v19, vcc_lo
	v_add_nc_u32_e32 v6, v13, v9
	v_mul_hi_i32 v41, 0x66666667, v17
	v_cndmask_b32_e32 v19, v19, v11, vcc_lo
	v_add_nc_u32_e32 v7, v16, v14
	v_lshrrev_b32_e32 v9, 31, v15
	v_ashrrev_i32_e32 v13, 2, v15
	v_lshrrev_b32_e32 v15, 31, v40
	v_ashrrev_i32_e32 v40, 2, v40
	v_mul_hi_i32 v16, 0x66666667, v18
	v_cmp_lt_i32_e32 vcc_lo, v6, v7
	v_add_nc_u32_e32 v6, v13, v9
	v_add_nc_u32_e32 v7, v40, v15
	v_lshrrev_b32_e32 v15, 31, v41
	v_ashrrev_i32_e32 v40, 2, v41
	v_cndmask_b32_e32 v14, v5, v4, vcc_lo
	v_lshrrev_b32_e32 v9, 31, v16
	v_ashrrev_i32_e32 v11, 2, v16
	v_cmp_lt_i32_e64 s0, v6, v7
	v_cndmask_b32_e32 v13, v4, v5, vcc_lo
	v_add_nc_u32_e32 v5, v40, v15
	v_add_nc_u32_e32 v4, v11, v9
	v_cndmask_b32_e64 v16, v8, v10, s0
	v_cndmask_b32_e64 v15, v10, v8, s0
	v_cmp_lt_i32_e32 vcc_lo, v4, v5
	v_mov_b32_e32 v4, v12
	v_mov_b32_e32 v5, v13
	;; [unrolled: 1-line block ×8, first 2 shown]
	s_and_saveexec_b32 s0, vcc_lo
	s_cbranch_execz .LBB428_5
; %bb.4:
	v_mov_b32_e32 v4, v12
	v_mov_b32_e32 v9, v17
	;; [unrolled: 1-line block ×10, first 2 shown]
.LBB428_5:
	s_or_b32 exec_lo, exec_lo, s0
.LBB428_6:
	s_or_b32 exec_lo, exec_lo, s1
	v_mbcnt_lo_u32_b32 v15, -1, 0
	v_and_b32_e32 v13, 0xffffff00, v39
	s_mov_b32 s0, exec_lo
	v_lshlrev_b32_e32 v18, 3, v15
	v_sub_nc_u32_e64 v17, 0x800, v13 clamp
	v_lshlrev_b32_e32 v16, 2, v13
	v_mov_b32_e32 v13, v5
	v_or_b32_e32 v14, 8, v18
	v_and_b32_e32 v19, 8, v18
	v_and_b32_e32 v43, 0xf0, v18
	v_min_u32_e32 v39, v17, v14
	v_min_u32_e32 v44, v17, v19
	v_lshl_or_b32 v19, v15, 5, v16
	v_mov_b32_e32 v15, v7
	v_add_nc_u32_e32 v14, 8, v39
	v_sub_nc_u32_e32 v42, v39, v43
	v_min_u32_e32 v40, v17, v14
	v_mov_b32_e32 v14, v6
	v_min_u32_e32 v45, v44, v42
	v_lshl_or_b32 v42, v43, 2, v16
	ds_write_b128 v19, v[12:15]
	ds_write_b128 v19, v[8:11] offset:16
	v_sub_nc_u32_e32 v41, v40, v39
	; wave barrier
	v_sub_nc_u32_e64 v41, v44, v41 clamp
	v_cmpx_lt_u32_e64 v41, v45
	s_cbranch_execz .LBB428_10
; %bb.7:
	v_lshlrev_b32_e32 v12, 2, v39
	v_lshlrev_b32_e32 v13, 2, v44
	s_mov_b32 s1, 0
	v_add3_u32 v12, v16, v12, v13
	.p2align	6
.LBB428_8:                              ; =>This Inner Loop Header: Depth=1
	v_add_nc_u32_e32 v13, v45, v41
	v_lshrrev_b32_e32 v13, 1, v13
	v_not_b32_e32 v14, v13
	v_lshl_add_u32 v15, v13, 2, v42
	v_lshl_add_u32 v14, v14, 2, v12
	ds_read_b32 v15, v15
	ds_read_b32 v14, v14
	s_waitcnt lgkmcnt(1)
	v_mul_hi_i32 v15, 0x66666667, v15
	s_waitcnt lgkmcnt(0)
	v_mul_hi_i32 v14, 0x66666667, v14
	v_lshrrev_b32_e32 v46, 31, v15
	v_ashrrev_i32_e32 v15, 2, v15
	v_lshrrev_b32_e32 v47, 31, v14
	v_ashrrev_i32_e32 v14, 2, v14
	v_add_nc_u32_e32 v15, v15, v46
	v_add_nc_u32_e32 v46, 1, v13
	v_add_nc_u32_e32 v14, v14, v47
	v_cmp_lt_i32_e32 vcc_lo, v14, v15
	v_cndmask_b32_e32 v45, v45, v13, vcc_lo
	v_cndmask_b32_e32 v41, v46, v41, vcc_lo
	v_cmp_ge_u32_e32 vcc_lo, v41, v45
	s_or_b32 s1, vcc_lo, s1
	s_andn2_b32 exec_lo, exec_lo, s1
	s_cbranch_execnz .LBB428_8
; %bb.9:
	s_or_b32 exec_lo, exec_lo, s1
.LBB428_10:
	s_or_b32 exec_lo, exec_lo, s0
	v_add_nc_u32_e32 v14, v39, v44
	v_add_nc_u32_e32 v13, v41, v43
	v_lshlrev_b32_e32 v12, 3, v0
	v_sub_nc_u32_e32 v14, v14, v41
	v_cmp_le_u32_e32 vcc_lo, v13, v39
	v_cmp_le_u32_e64 s0, v14, v40
	s_or_b32 s0, vcc_lo, s0
	s_and_saveexec_b32 s1, s0
	s_cbranch_execz .LBB428_46
; %bb.11:
	s_mov_b32 s4, exec_lo
	v_cmp_ge_u32_e32 vcc_lo, v13, v39
                                        ; implicit-def: $vgpr4
	v_cmpx_lt_u32_e64 v13, v39
; %bb.12:
	v_lshl_add_u32 v4, v41, 2, v42
	ds_read_b32 v4, v4
; %bb.13:
	s_or_b32 exec_lo, exec_lo, s4
	v_cmp_ge_u32_e64 s4, v14, v40
	s_mov_b32 s5, exec_lo
                                        ; implicit-def: $vgpr5
	v_cmpx_lt_u32_e64 v14, v40
; %bb.14:
	v_lshl_add_u32 v5, v14, 2, v16
	ds_read_b32 v5, v5
; %bb.15:
	s_or_b32 exec_lo, exec_lo, s5
	s_nor_b32 s5, vcc_lo, s4
	s_and_saveexec_b32 s0, s5
	s_cbranch_execz .LBB428_17
; %bb.16:
	s_waitcnt lgkmcnt(0)
	v_mul_hi_i32 v6, 0x66666667, v5
	v_mul_hi_i32 v7, 0x66666667, v4
	s_andn2_b32 s4, s4, exec_lo
	v_lshrrev_b32_e32 v8, 31, v6
	v_ashrrev_i32_e32 v6, 2, v6
	v_lshrrev_b32_e32 v9, 31, v7
	v_ashrrev_i32_e32 v7, 2, v7
	v_add_nc_u32_e32 v6, v6, v8
	v_add_nc_u32_e32 v7, v7, v9
	v_cmp_ge_i32_e32 vcc_lo, v6, v7
	s_and_b32 s5, vcc_lo, exec_lo
	s_or_b32 s4, s4, s5
.LBB428_17:
	s_or_b32 exec_lo, exec_lo, s0
	v_cndmask_b32_e64 v6, v14, v13, s4
	v_cndmask_b32_e64 v7, v40, v39, s4
	s_mov_b32 s0, -1
	s_mov_b32 s5, -1
	s_mov_b32 s13, exec_lo
	v_add_nc_u32_e32 v6, 1, v6
	v_add_nc_u32_e32 v7, -1, v7
	v_cndmask_b32_e64 v8, v6, v14, s4
	v_min_u32_e32 v7, v6, v7
	v_cndmask_b32_e64 v9, v13, v6, s4
	v_lshl_add_u32 v7, v7, 2, v16
	ds_read_b32 v7, v7
	s_waitcnt lgkmcnt(0)
	v_cndmask_b32_e64 v6, v7, v5, s4
	v_cndmask_b32_e64 v7, v4, v7, s4
	v_cmpx_lt_u32_e64 v8, v40
	s_cbranch_execz .LBB428_21
; %bb.18:
	s_mov_b32 s14, 0
	s_mov_b32 s5, exec_lo
	v_cmpx_lt_u32_e64 v9, v39
	s_cbranch_execz .LBB428_20
; %bb.19:
	v_mul_hi_i32 v10, 0x66666667, v6
	v_mul_hi_i32 v11, 0x66666667, v7
	v_lshrrev_b32_e32 v13, 31, v10
	v_ashrrev_i32_e32 v10, 2, v10
	v_lshrrev_b32_e32 v14, 31, v11
	v_ashrrev_i32_e32 v11, 2, v11
	v_add_nc_u32_e32 v10, v10, v13
	v_add_nc_u32_e32 v11, v11, v14
	v_cmp_ge_i32_e32 vcc_lo, v10, v11
	s_and_b32 s14, vcc_lo, exec_lo
.LBB428_20:
	s_or_b32 exec_lo, exec_lo, s5
	s_orn2_b32 s5, s14, exec_lo
.LBB428_21:
	s_or_b32 exec_lo, exec_lo, s13
	v_cndmask_b32_e64 v10, v8, v9, s5
	v_cndmask_b32_e64 v11, v40, v39, s5
	s_mov_b32 s13, exec_lo
	v_add_nc_u32_e32 v13, 1, v10
	v_add_nc_u32_e32 v10, -1, v11
	v_cndmask_b32_e64 v11, v9, v13, s5
	v_min_u32_e32 v10, v13, v10
	v_lshl_add_u32 v10, v10, 2, v16
	ds_read_b32 v14, v10
	v_cndmask_b32_e64 v10, v13, v8, s5
	s_waitcnt lgkmcnt(0)
	v_cndmask_b32_e64 v8, v14, v6, s5
	v_cndmask_b32_e64 v9, v7, v14, s5
	v_cmpx_lt_u32_e64 v10, v40
	s_cbranch_execz .LBB428_25
; %bb.22:
	s_mov_b32 s14, 0
	s_mov_b32 s0, exec_lo
	v_cmpx_lt_u32_e64 v11, v39
	s_cbranch_execz .LBB428_24
; %bb.23:
	v_mul_hi_i32 v13, 0x66666667, v8
	v_mul_hi_i32 v14, 0x66666667, v9
	v_lshrrev_b32_e32 v15, 31, v13
	v_ashrrev_i32_e32 v13, 2, v13
	v_lshrrev_b32_e32 v41, 31, v14
	v_ashrrev_i32_e32 v14, 2, v14
	v_add_nc_u32_e32 v13, v13, v15
	v_add_nc_u32_e32 v14, v14, v41
	v_cmp_ge_i32_e32 vcc_lo, v13, v14
	s_and_b32 s14, vcc_lo, exec_lo
.LBB428_24:
	s_or_b32 exec_lo, exec_lo, s0
	s_orn2_b32 s0, s14, exec_lo
.LBB428_25:
	s_or_b32 exec_lo, exec_lo, s13
	v_cndmask_b32_e64 v13, v10, v11, s0
	v_cndmask_b32_e64 v14, v40, v39, s0
	s_mov_b32 s13, -1
	s_mov_b32 s14, -1
	s_mov_b32 s17, exec_lo
	v_add_nc_u32_e32 v13, 1, v13
	v_add_nc_u32_e32 v14, -1, v14
	v_cndmask_b32_e64 v11, v11, v13, s0
	v_min_u32_e32 v14, v13, v14
	v_lshl_add_u32 v14, v14, 2, v16
	ds_read_b32 v15, v14
	v_cndmask_b32_e64 v14, v13, v10, s0
	s_waitcnt lgkmcnt(0)
	v_cndmask_b32_e64 v10, v15, v8, s0
	v_cndmask_b32_e64 v13, v9, v15, s0
	v_cmpx_lt_u32_e64 v14, v40
	s_cbranch_execz .LBB428_29
; %bb.26:
	s_mov_b32 s18, 0
	s_mov_b32 s14, exec_lo
	v_cmpx_lt_u32_e64 v11, v39
	s_cbranch_execz .LBB428_28
; %bb.27:
	v_mul_hi_i32 v15, 0x66666667, v10
	v_mul_hi_i32 v41, 0x66666667, v13
	v_lshrrev_b32_e32 v42, 31, v15
	v_ashrrev_i32_e32 v15, 2, v15
	v_lshrrev_b32_e32 v43, 31, v41
	v_ashrrev_i32_e32 v41, 2, v41
	v_add_nc_u32_e32 v15, v15, v42
	v_add_nc_u32_e32 v41, v41, v43
	v_cmp_ge_i32_e32 vcc_lo, v15, v41
	s_and_b32 s18, vcc_lo, exec_lo
.LBB428_28:
	s_or_b32 exec_lo, exec_lo, s14
	s_orn2_b32 s14, s18, exec_lo
.LBB428_29:
	s_or_b32 exec_lo, exec_lo, s17
	v_cndmask_b32_e64 v15, v14, v11, s14
	v_cndmask_b32_e64 v41, v40, v39, s14
	s_mov_b32 s17, exec_lo
	v_add_nc_u32_e32 v15, 1, v15
	v_add_nc_u32_e32 v41, -1, v41
	v_cndmask_b32_e64 v11, v11, v15, s14
	v_min_u32_e32 v41, v15, v41
	v_lshl_add_u32 v41, v41, 2, v16
	ds_read_b32 v42, v41
	v_cndmask_b32_e64 v41, v15, v14, s14
	s_waitcnt lgkmcnt(0)
	v_cndmask_b32_e64 v14, v42, v10, s14
	v_cndmask_b32_e64 v15, v13, v42, s14
	v_cmpx_lt_u32_e64 v41, v40
	s_cbranch_execz .LBB428_33
; %bb.30:
	s_mov_b32 s18, 0
	s_mov_b32 s13, exec_lo
	v_cmpx_lt_u32_e64 v11, v39
	s_cbranch_execz .LBB428_32
; %bb.31:
	v_mul_hi_i32 v42, 0x66666667, v14
	v_mul_hi_i32 v43, 0x66666667, v15
	v_lshrrev_b32_e32 v44, 31, v42
	v_ashrrev_i32_e32 v42, 2, v42
	v_lshrrev_b32_e32 v45, 31, v43
	v_ashrrev_i32_e32 v43, 2, v43
	v_add_nc_u32_e32 v42, v42, v44
	v_add_nc_u32_e32 v43, v43, v45
	v_cmp_ge_i32_e32 vcc_lo, v42, v43
	s_and_b32 s18, vcc_lo, exec_lo
.LBB428_32:
	s_or_b32 exec_lo, exec_lo, s13
	s_orn2_b32 s13, s18, exec_lo
.LBB428_33:
	s_or_b32 exec_lo, exec_lo, s17
	v_cndmask_b32_e64 v42, v41, v11, s13
	v_cndmask_b32_e64 v43, v40, v39, s13
	s_mov_b32 s17, -1
	s_mov_b32 s18, -1
	s_mov_b32 s19, exec_lo
	v_add_nc_u32_e32 v42, 1, v42
	v_add_nc_u32_e32 v43, -1, v43
	v_cndmask_b32_e64 v11, v11, v42, s13
	v_min_u32_e32 v43, v42, v43
	v_lshl_add_u32 v43, v43, 2, v16
	ds_read_b32 v44, v43
	v_cndmask_b32_e64 v43, v42, v41, s13
	s_waitcnt lgkmcnt(0)
	v_cndmask_b32_e64 v41, v44, v14, s13
	v_cndmask_b32_e64 v42, v15, v44, s13
	v_cmpx_lt_u32_e64 v43, v40
	s_cbranch_execz .LBB428_37
; %bb.34:
	s_mov_b32 s20, 0
	s_mov_b32 s18, exec_lo
	v_cmpx_lt_u32_e64 v11, v39
	s_cbranch_execz .LBB428_36
; %bb.35:
	v_mul_hi_i32 v44, 0x66666667, v41
	v_mul_hi_i32 v45, 0x66666667, v42
	v_lshrrev_b32_e32 v46, 31, v44
	v_ashrrev_i32_e32 v44, 2, v44
	v_lshrrev_b32_e32 v47, 31, v45
	v_ashrrev_i32_e32 v45, 2, v45
	v_add_nc_u32_e32 v44, v44, v46
	v_add_nc_u32_e32 v45, v45, v47
	v_cmp_ge_i32_e32 vcc_lo, v44, v45
	s_and_b32 s20, vcc_lo, exec_lo
.LBB428_36:
	s_or_b32 exec_lo, exec_lo, s18
	s_orn2_b32 s18, s20, exec_lo
.LBB428_37:
	s_or_b32 exec_lo, exec_lo, s19
	v_cndmask_b32_e64 v44, v43, v11, s18
	v_cndmask_b32_e64 v45, v40, v39, s18
	s_mov_b32 s19, exec_lo
	v_add_nc_u32_e32 v44, 1, v44
	v_add_nc_u32_e32 v45, -1, v45
	v_cndmask_b32_e64 v46, v44, v43, s18
	v_min_u32_e32 v45, v44, v45
	v_lshl_add_u32 v45, v45, 2, v16
	ds_read_b32 v47, v45
	v_cndmask_b32_e64 v45, v11, v44, s18
	s_waitcnt lgkmcnt(0)
	v_cndmask_b32_e64 v43, v47, v41, s18
	v_cndmask_b32_e64 v44, v42, v47, s18
	v_cmpx_lt_u32_e64 v46, v40
	s_cbranch_execz .LBB428_41
; %bb.38:
	s_mov_b32 s20, 0
	s_mov_b32 s17, exec_lo
	v_cmpx_lt_u32_e64 v45, v39
	s_cbranch_execz .LBB428_40
; %bb.39:
	v_mul_hi_i32 v11, 0x66666667, v43
	v_mul_hi_i32 v47, 0x66666667, v44
	v_lshrrev_b32_e32 v48, 31, v11
	v_ashrrev_i32_e32 v11, 2, v11
	v_lshrrev_b32_e32 v49, 31, v47
	v_ashrrev_i32_e32 v47, 2, v47
	v_add_nc_u32_e32 v11, v11, v48
	v_add_nc_u32_e32 v47, v47, v49
	v_cmp_ge_i32_e32 vcc_lo, v11, v47
	s_and_b32 s20, vcc_lo, exec_lo
.LBB428_40:
	s_or_b32 exec_lo, exec_lo, s17
	s_orn2_b32 s17, s20, exec_lo
.LBB428_41:
	s_or_b32 exec_lo, exec_lo, s19
	v_cndmask_b32_e64 v11, v46, v45, s17
	v_cndmask_b32_e64 v48, v40, v39, s17
	s_mov_b32 s19, exec_lo
	v_add_nc_u32_e32 v47, 1, v11
	v_add_nc_u32_e32 v11, -1, v48
	v_cndmask_b32_e64 v46, v47, v46, s17
	v_min_u32_e32 v11, v47, v11
	v_lshl_add_u32 v11, v11, 2, v16
	ds_read_b32 v48, v11
	s_waitcnt lgkmcnt(0)
	v_cndmask_b32_e64 v11, v44, v48, s17
	v_cmpx_lt_u32_e64 v46, v40
	s_cbranch_execz .LBB428_45
; %bb.42:
	v_cndmask_b32_e64 v45, v45, v47, s17
	v_cndmask_b32_e64 v40, v48, v43, s17
	s_mov_b32 s20, exec_lo
	v_cmpx_lt_u32_e64 v45, v39
	s_cbranch_execz .LBB428_44
; %bb.43:
	v_mul_hi_i32 v39, 0x66666667, v40
	v_mul_hi_i32 v45, 0x66666667, v11
	v_lshrrev_b32_e32 v46, 31, v39
	v_ashrrev_i32_e32 v39, 2, v39
	v_lshrrev_b32_e32 v47, 31, v45
	v_ashrrev_i32_e32 v45, 2, v45
	v_add_nc_u32_e32 v39, v39, v46
	v_add_nc_u32_e32 v45, v45, v47
	v_cmp_lt_i32_e32 vcc_lo, v39, v45
	v_cndmask_b32_e32 v40, v11, v40, vcc_lo
.LBB428_44:
	s_or_b32 exec_lo, exec_lo, s20
	v_mov_b32_e32 v11, v40
.LBB428_45:
	s_or_b32 exec_lo, exec_lo, s19
	v_cndmask_b32_e64 v4, v5, v4, s4
	v_cndmask_b32_e64 v5, v6, v7, s5
	;; [unrolled: 1-line block ×7, first 2 shown]
.LBB428_46:
	s_or_b32 exec_lo, exec_lo, s1
	v_and_b32_e32 v40, 0xe0, v18
	v_and_b32_e32 v15, 24, v18
	s_mov_b32 s0, exec_lo
	; wave barrier
	v_or_b32_e32 v13, 16, v40
	v_min_u32_e32 v41, v17, v15
	ds_write_b128 v19, v[4:7]
	ds_write_b128 v19, v[8:11] offset:16
	; wave barrier
	v_min_u32_e32 v13, v17, v13
	v_add_nc_u32_e32 v14, 16, v13
	v_sub_nc_u32_e32 v39, v13, v40
	v_min_u32_e32 v14, v17, v14
	v_min_u32_e32 v42, v41, v39
	v_lshl_add_u32 v39, v40, 2, v16
	v_sub_nc_u32_e32 v15, v14, v13
	v_sub_nc_u32_e64 v15, v41, v15 clamp
	v_cmpx_lt_u32_e64 v15, v42
	s_cbranch_execz .LBB428_50
; %bb.47:
	v_lshlrev_b32_e32 v43, 2, v13
	v_lshlrev_b32_e32 v44, 2, v41
	s_mov_b32 s1, 0
	v_add3_u32 v43, v16, v43, v44
	.p2align	6
.LBB428_48:                             ; =>This Inner Loop Header: Depth=1
	v_add_nc_u32_e32 v44, v42, v15
	v_lshrrev_b32_e32 v44, 1, v44
	v_not_b32_e32 v45, v44
	v_lshl_add_u32 v46, v44, 2, v39
	v_lshl_add_u32 v45, v45, 2, v43
	ds_read_b32 v46, v46
	ds_read_b32 v45, v45
	s_waitcnt lgkmcnt(1)
	v_mul_hi_i32 v46, 0x66666667, v46
	s_waitcnt lgkmcnt(0)
	v_mul_hi_i32 v45, 0x66666667, v45
	v_lshrrev_b32_e32 v47, 31, v46
	v_ashrrev_i32_e32 v46, 2, v46
	v_lshrrev_b32_e32 v48, 31, v45
	v_ashrrev_i32_e32 v45, 2, v45
	v_add_nc_u32_e32 v46, v46, v47
	v_add_nc_u32_e32 v47, 1, v44
	;; [unrolled: 1-line block ×3, first 2 shown]
	v_cmp_lt_i32_e32 vcc_lo, v45, v46
	v_cndmask_b32_e32 v42, v42, v44, vcc_lo
	v_cndmask_b32_e32 v15, v47, v15, vcc_lo
	v_cmp_ge_u32_e32 vcc_lo, v15, v42
	s_or_b32 s1, vcc_lo, s1
	s_andn2_b32 exec_lo, exec_lo, s1
	s_cbranch_execnz .LBB428_48
; %bb.49:
	s_or_b32 exec_lo, exec_lo, s1
.LBB428_50:
	s_or_b32 exec_lo, exec_lo, s0
	v_add_nc_u32_e32 v41, v13, v41
	v_add_nc_u32_e32 v40, v15, v40
	v_sub_nc_u32_e32 v41, v41, v15
	v_cmp_le_u32_e32 vcc_lo, v40, v13
	v_cmp_le_u32_e64 s0, v41, v14
	s_or_b32 s0, vcc_lo, s0
	s_and_saveexec_b32 s1, s0
	s_cbranch_execz .LBB428_86
; %bb.51:
	s_mov_b32 s4, exec_lo
	v_cmp_ge_u32_e32 vcc_lo, v40, v13
                                        ; implicit-def: $vgpr4
	v_cmpx_lt_u32_e64 v40, v13
; %bb.52:
	v_lshl_add_u32 v4, v15, 2, v39
	ds_read_b32 v4, v4
; %bb.53:
	s_or_b32 exec_lo, exec_lo, s4
	v_cmp_ge_u32_e64 s4, v41, v14
	s_mov_b32 s5, exec_lo
                                        ; implicit-def: $vgpr10
	v_cmpx_lt_u32_e64 v41, v14
; %bb.54:
	v_lshl_add_u32 v5, v41, 2, v16
	ds_read_b32 v10, v5
; %bb.55:
	s_or_b32 exec_lo, exec_lo, s5
	s_nor_b32 s5, vcc_lo, s4
	s_and_saveexec_b32 s0, s5
	s_cbranch_execz .LBB428_57
; %bb.56:
	s_waitcnt lgkmcnt(0)
	v_mul_hi_i32 v5, 0x66666667, v10
	v_mul_hi_i32 v6, 0x66666667, v4
	s_andn2_b32 s4, s4, exec_lo
	v_lshrrev_b32_e32 v7, 31, v5
	v_ashrrev_i32_e32 v5, 2, v5
	v_lshrrev_b32_e32 v8, 31, v6
	v_ashrrev_i32_e32 v6, 2, v6
	v_add_nc_u32_e32 v5, v5, v7
	v_add_nc_u32_e32 v6, v6, v8
	v_cmp_ge_i32_e32 vcc_lo, v5, v6
	s_and_b32 s5, vcc_lo, exec_lo
	s_or_b32 s4, s4, s5
.LBB428_57:
	s_or_b32 exec_lo, exec_lo, s0
	v_cndmask_b32_e64 v5, v41, v40, s4
	v_cndmask_b32_e64 v6, v14, v13, s4
	s_mov_b32 s5, -1
	s_mov_b32 s0, -1
	s_mov_b32 s13, exec_lo
	v_add_nc_u32_e32 v5, 1, v5
	v_add_nc_u32_e32 v6, -1, v6
	v_cndmask_b32_e64 v7, v40, v5, s4
	v_min_u32_e32 v6, v5, v6
	v_lshl_add_u32 v6, v6, 2, v16
	ds_read_b32 v8, v6
	v_cndmask_b32_e64 v6, v5, v41, s4
	s_waitcnt lgkmcnt(0)
	v_cndmask_b32_e64 v5, v8, v10, s4
	v_cndmask_b32_e64 v15, v4, v8, s4
	v_cmpx_lt_u32_e64 v6, v14
	s_cbranch_execz .LBB428_61
; %bb.58:
	s_mov_b32 s14, 0
	s_mov_b32 s0, exec_lo
	v_cmpx_lt_u32_e64 v7, v13
	s_cbranch_execz .LBB428_60
; %bb.59:
	v_mul_hi_i32 v8, 0x66666667, v5
	v_mul_hi_i32 v9, 0x66666667, v15
	v_lshrrev_b32_e32 v11, 31, v8
	v_ashrrev_i32_e32 v8, 2, v8
	v_lshrrev_b32_e32 v39, 31, v9
	v_ashrrev_i32_e32 v9, 2, v9
	v_add_nc_u32_e32 v8, v8, v11
	v_add_nc_u32_e32 v9, v9, v39
	v_cmp_ge_i32_e32 vcc_lo, v8, v9
	s_and_b32 s14, vcc_lo, exec_lo
.LBB428_60:
	s_or_b32 exec_lo, exec_lo, s0
	s_orn2_b32 s0, s14, exec_lo
.LBB428_61:
	s_or_b32 exec_lo, exec_lo, s13
	v_cndmask_b32_e64 v8, v6, v7, s0
	v_cndmask_b32_e64 v9, v14, v13, s0
	s_mov_b32 s13, exec_lo
	v_add_nc_u32_e32 v11, 1, v8
	v_add_nc_u32_e32 v8, -1, v9
	v_cndmask_b32_e64 v7, v7, v11, s0
	v_min_u32_e32 v8, v11, v8
	v_lshl_add_u32 v8, v8, 2, v16
	ds_read_b32 v9, v8
	v_cndmask_b32_e64 v8, v11, v6, s0
	s_waitcnt lgkmcnt(0)
	v_cndmask_b32_e64 v6, v9, v5, s0
	v_cndmask_b32_e64 v39, v15, v9, s0
	v_cmpx_lt_u32_e64 v8, v14
	s_cbranch_execz .LBB428_65
; %bb.62:
	s_mov_b32 s14, 0
	s_mov_b32 s5, exec_lo
	v_cmpx_lt_u32_e64 v7, v13
	s_cbranch_execz .LBB428_64
; %bb.63:
	v_mul_hi_i32 v9, 0x66666667, v6
	v_mul_hi_i32 v11, 0x66666667, v39
	v_lshrrev_b32_e32 v40, 31, v9
	v_ashrrev_i32_e32 v9, 2, v9
	v_lshrrev_b32_e32 v41, 31, v11
	v_ashrrev_i32_e32 v11, 2, v11
	v_add_nc_u32_e32 v9, v9, v40
	v_add_nc_u32_e32 v11, v11, v41
	v_cmp_ge_i32_e32 vcc_lo, v9, v11
	s_and_b32 s14, vcc_lo, exec_lo
.LBB428_64:
	s_or_b32 exec_lo, exec_lo, s5
	s_orn2_b32 s5, s14, exec_lo
.LBB428_65:
	s_or_b32 exec_lo, exec_lo, s13
	v_cndmask_b32_e64 v9, v8, v7, s5
	v_cndmask_b32_e64 v11, v14, v13, s5
	s_mov_b32 s14, -1
	s_mov_b32 s13, -1
	s_mov_b32 s17, exec_lo
	v_add_nc_u32_e32 v9, 1, v9
	v_add_nc_u32_e32 v11, -1, v11
	v_cndmask_b32_e64 v8, v9, v8, s5
	v_min_u32_e32 v11, v9, v11
	v_cndmask_b32_e64 v9, v7, v9, s5
	v_lshl_add_u32 v11, v11, 2, v16
	ds_read_b32 v11, v11
	s_waitcnt lgkmcnt(0)
	v_cndmask_b32_e64 v7, v11, v6, s5
	v_cndmask_b32_e64 v40, v39, v11, s5
	v_cmpx_lt_u32_e64 v8, v14
	s_cbranch_execz .LBB428_69
; %bb.66:
	s_mov_b32 s18, 0
	s_mov_b32 s13, exec_lo
	v_cmpx_lt_u32_e64 v9, v13
	s_cbranch_execz .LBB428_68
; %bb.67:
	v_mul_hi_i32 v11, 0x66666667, v7
	v_mul_hi_i32 v41, 0x66666667, v40
	v_lshrrev_b32_e32 v42, 31, v11
	v_ashrrev_i32_e32 v11, 2, v11
	v_lshrrev_b32_e32 v43, 31, v41
	v_ashrrev_i32_e32 v41, 2, v41
	v_add_nc_u32_e32 v11, v11, v42
	v_add_nc_u32_e32 v41, v41, v43
	v_cmp_ge_i32_e32 vcc_lo, v11, v41
	s_and_b32 s18, vcc_lo, exec_lo
.LBB428_68:
	s_or_b32 exec_lo, exec_lo, s13
	s_orn2_b32 s13, s18, exec_lo
.LBB428_69:
	s_or_b32 exec_lo, exec_lo, s17
	v_cndmask_b32_e64 v11, v8, v9, s13
	v_cndmask_b32_e64 v41, v14, v13, s13
	s_mov_b32 s17, exec_lo
	v_add_nc_u32_e32 v42, 1, v11
	v_add_nc_u32_e32 v11, -1, v41
	v_cndmask_b32_e64 v9, v9, v42, s13
	v_min_u32_e32 v11, v42, v11
	v_lshl_add_u32 v11, v11, 2, v16
	ds_read_b32 v41, v11
	v_cndmask_b32_e64 v11, v42, v8, s13
	s_waitcnt lgkmcnt(0)
	v_cndmask_b32_e64 v8, v41, v7, s13
	v_cndmask_b32_e64 v41, v40, v41, s13
	v_cmpx_lt_u32_e64 v11, v14
	s_cbranch_execz .LBB428_73
; %bb.70:
	s_mov_b32 s18, 0
	s_mov_b32 s14, exec_lo
	v_cmpx_lt_u32_e64 v9, v13
	s_cbranch_execz .LBB428_72
; %bb.71:
	v_mul_hi_i32 v42, 0x66666667, v8
	v_mul_hi_i32 v43, 0x66666667, v41
	v_lshrrev_b32_e32 v44, 31, v42
	v_ashrrev_i32_e32 v42, 2, v42
	v_lshrrev_b32_e32 v45, 31, v43
	v_ashrrev_i32_e32 v43, 2, v43
	v_add_nc_u32_e32 v42, v42, v44
	v_add_nc_u32_e32 v43, v43, v45
	v_cmp_ge_i32_e32 vcc_lo, v42, v43
	s_and_b32 s18, vcc_lo, exec_lo
.LBB428_72:
	s_or_b32 exec_lo, exec_lo, s14
	s_orn2_b32 s14, s18, exec_lo
.LBB428_73:
	s_or_b32 exec_lo, exec_lo, s17
	v_cndmask_b32_e64 v42, v11, v9, s14
	v_cndmask_b32_e64 v43, v14, v13, s14
	s_mov_b32 s17, -1
	s_mov_b32 s18, -1
	s_mov_b32 s19, exec_lo
	v_add_nc_u32_e32 v42, 1, v42
	v_add_nc_u32_e32 v43, -1, v43
	v_cndmask_b32_e64 v11, v42, v11, s14
	v_min_u32_e32 v43, v42, v43
	v_lshl_add_u32 v43, v43, 2, v16
	ds_read_b32 v44, v43
	v_cndmask_b32_e64 v43, v9, v42, s14
	s_waitcnt lgkmcnt(0)
	v_cndmask_b32_e64 v9, v44, v8, s14
	v_cndmask_b32_e64 v42, v41, v44, s14
	v_cmpx_lt_u32_e64 v11, v14
	s_cbranch_execz .LBB428_77
; %bb.74:
	s_mov_b32 s20, 0
	s_mov_b32 s18, exec_lo
	v_cmpx_lt_u32_e64 v43, v13
	s_cbranch_execz .LBB428_76
; %bb.75:
	v_mul_hi_i32 v44, 0x66666667, v9
	v_mul_hi_i32 v45, 0x66666667, v42
	v_lshrrev_b32_e32 v46, 31, v44
	v_ashrrev_i32_e32 v44, 2, v44
	v_lshrrev_b32_e32 v47, 31, v45
	v_ashrrev_i32_e32 v45, 2, v45
	v_add_nc_u32_e32 v44, v44, v46
	v_add_nc_u32_e32 v45, v45, v47
	v_cmp_ge_i32_e32 vcc_lo, v44, v45
	s_and_b32 s20, vcc_lo, exec_lo
.LBB428_76:
	s_or_b32 exec_lo, exec_lo, s18
	s_orn2_b32 s18, s20, exec_lo
.LBB428_77:
	s_or_b32 exec_lo, exec_lo, s19
	v_cndmask_b32_e64 v44, v11, v43, s18
	v_cndmask_b32_e64 v45, v14, v13, s18
	s_mov_b32 s19, exec_lo
	v_add_nc_u32_e32 v44, 1, v44
	v_add_nc_u32_e32 v45, -1, v45
	v_cndmask_b32_e64 v11, v44, v11, s18
	v_min_u32_e32 v45, v44, v45
	v_lshl_add_u32 v45, v45, 2, v16
	ds_read_b32 v46, v45
	v_cndmask_b32_e64 v45, v43, v44, s18
	s_waitcnt lgkmcnt(0)
	v_cndmask_b32_e64 v43, v46, v9, s18
	v_cndmask_b32_e64 v44, v42, v46, s18
	v_cmpx_lt_u32_e64 v11, v14
	s_cbranch_execz .LBB428_81
; %bb.78:
	s_mov_b32 s20, 0
	s_mov_b32 s17, exec_lo
	v_cmpx_lt_u32_e64 v45, v13
	s_cbranch_execz .LBB428_80
; %bb.79:
	v_mul_hi_i32 v46, 0x66666667, v43
	v_mul_hi_i32 v47, 0x66666667, v44
	v_lshrrev_b32_e32 v48, 31, v46
	v_ashrrev_i32_e32 v46, 2, v46
	v_lshrrev_b32_e32 v49, 31, v47
	v_ashrrev_i32_e32 v47, 2, v47
	v_add_nc_u32_e32 v46, v46, v48
	v_add_nc_u32_e32 v47, v47, v49
	v_cmp_ge_i32_e32 vcc_lo, v46, v47
	s_and_b32 s20, vcc_lo, exec_lo
.LBB428_80:
	s_or_b32 exec_lo, exec_lo, s17
	s_orn2_b32 s17, s20, exec_lo
.LBB428_81:
	s_or_b32 exec_lo, exec_lo, s19
	v_cndmask_b32_e64 v46, v11, v45, s17
	v_cndmask_b32_e64 v47, v14, v13, s17
	s_mov_b32 s19, exec_lo
	v_add_nc_u32_e32 v46, 1, v46
	v_add_nc_u32_e32 v47, -1, v47
	v_cndmask_b32_e64 v48, v46, v11, s17
	v_min_u32_e32 v47, v46, v47
	v_lshl_add_u32 v47, v47, 2, v16
	ds_read_b32 v47, v47
	s_waitcnt lgkmcnt(0)
	v_cndmask_b32_e64 v11, v44, v47, s17
	v_cmpx_lt_u32_e64 v48, v14
	s_cbranch_execz .LBB428_85
; %bb.82:
	v_cndmask_b32_e64 v45, v45, v46, s17
	v_cndmask_b32_e64 v14, v47, v43, s17
	s_mov_b32 s20, exec_lo
	v_cmpx_lt_u32_e64 v45, v13
	s_cbranch_execz .LBB428_84
; %bb.83:
	v_mul_hi_i32 v13, 0x66666667, v14
	v_mul_hi_i32 v45, 0x66666667, v11
	v_lshrrev_b32_e32 v46, 31, v13
	v_ashrrev_i32_e32 v13, 2, v13
	v_lshrrev_b32_e32 v47, 31, v45
	v_ashrrev_i32_e32 v45, 2, v45
	v_add_nc_u32_e32 v13, v13, v46
	v_add_nc_u32_e32 v45, v45, v47
	v_cmp_lt_i32_e32 vcc_lo, v13, v45
	v_cndmask_b32_e32 v14, v11, v14, vcc_lo
.LBB428_84:
	s_or_b32 exec_lo, exec_lo, s20
	v_mov_b32_e32 v11, v14
.LBB428_85:
	s_or_b32 exec_lo, exec_lo, s19
	v_cndmask_b32_e64 v9, v9, v42, s18
	v_cndmask_b32_e64 v8, v8, v41, s14
	;; [unrolled: 1-line block ×7, first 2 shown]
.LBB428_86:
	s_or_b32 exec_lo, exec_lo, s1
	v_and_b32_e32 v40, 0xc0, v18
	v_and_b32_e32 v15, 56, v18
	s_mov_b32 s0, exec_lo
	; wave barrier
	v_or_b32_e32 v13, 32, v40
	v_min_u32_e32 v41, v17, v15
	ds_write_b128 v19, v[4:7]
	ds_write_b128 v19, v[8:11] offset:16
	; wave barrier
	v_min_u32_e32 v13, v17, v13
	v_add_nc_u32_e32 v14, 32, v13
	v_sub_nc_u32_e32 v39, v13, v40
	v_min_u32_e32 v14, v17, v14
	v_min_u32_e32 v42, v41, v39
	v_lshl_add_u32 v39, v40, 2, v16
	v_sub_nc_u32_e32 v15, v14, v13
	v_sub_nc_u32_e64 v15, v41, v15 clamp
	v_cmpx_lt_u32_e64 v15, v42
	s_cbranch_execz .LBB428_90
; %bb.87:
	v_lshlrev_b32_e32 v43, 2, v13
	v_lshlrev_b32_e32 v44, 2, v41
	s_mov_b32 s1, 0
	v_add3_u32 v43, v16, v43, v44
	.p2align	6
.LBB428_88:                             ; =>This Inner Loop Header: Depth=1
	v_add_nc_u32_e32 v44, v42, v15
	v_lshrrev_b32_e32 v44, 1, v44
	v_not_b32_e32 v45, v44
	v_lshl_add_u32 v46, v44, 2, v39
	v_lshl_add_u32 v45, v45, 2, v43
	ds_read_b32 v46, v46
	ds_read_b32 v45, v45
	s_waitcnt lgkmcnt(1)
	v_mul_hi_i32 v46, 0x66666667, v46
	s_waitcnt lgkmcnt(0)
	v_mul_hi_i32 v45, 0x66666667, v45
	v_lshrrev_b32_e32 v47, 31, v46
	v_ashrrev_i32_e32 v46, 2, v46
	v_lshrrev_b32_e32 v48, 31, v45
	v_ashrrev_i32_e32 v45, 2, v45
	v_add_nc_u32_e32 v46, v46, v47
	v_add_nc_u32_e32 v47, 1, v44
	;; [unrolled: 1-line block ×3, first 2 shown]
	v_cmp_lt_i32_e32 vcc_lo, v45, v46
	v_cndmask_b32_e32 v42, v42, v44, vcc_lo
	v_cndmask_b32_e32 v15, v47, v15, vcc_lo
	v_cmp_ge_u32_e32 vcc_lo, v15, v42
	s_or_b32 s1, vcc_lo, s1
	s_andn2_b32 exec_lo, exec_lo, s1
	s_cbranch_execnz .LBB428_88
; %bb.89:
	s_or_b32 exec_lo, exec_lo, s1
.LBB428_90:
	s_or_b32 exec_lo, exec_lo, s0
	v_add_nc_u32_e32 v41, v13, v41
	v_add_nc_u32_e32 v40, v15, v40
	v_sub_nc_u32_e32 v41, v41, v15
	v_cmp_le_u32_e32 vcc_lo, v40, v13
	v_cmp_le_u32_e64 s0, v41, v14
	s_or_b32 s0, vcc_lo, s0
	s_and_saveexec_b32 s1, s0
	s_cbranch_execz .LBB428_126
; %bb.91:
	s_mov_b32 s4, exec_lo
	v_cmp_ge_u32_e32 vcc_lo, v40, v13
                                        ; implicit-def: $vgpr4
	v_cmpx_lt_u32_e64 v40, v13
; %bb.92:
	v_lshl_add_u32 v4, v15, 2, v39
	ds_read_b32 v4, v4
; %bb.93:
	s_or_b32 exec_lo, exec_lo, s4
	v_cmp_ge_u32_e64 s4, v41, v14
	s_mov_b32 s5, exec_lo
                                        ; implicit-def: $vgpr10
	v_cmpx_lt_u32_e64 v41, v14
; %bb.94:
	v_lshl_add_u32 v5, v41, 2, v16
	ds_read_b32 v10, v5
; %bb.95:
	s_or_b32 exec_lo, exec_lo, s5
	s_nor_b32 s5, vcc_lo, s4
	s_and_saveexec_b32 s0, s5
	s_cbranch_execz .LBB428_97
; %bb.96:
	s_waitcnt lgkmcnt(0)
	v_mul_hi_i32 v5, 0x66666667, v10
	v_mul_hi_i32 v6, 0x66666667, v4
	s_andn2_b32 s4, s4, exec_lo
	v_lshrrev_b32_e32 v7, 31, v5
	v_ashrrev_i32_e32 v5, 2, v5
	v_lshrrev_b32_e32 v8, 31, v6
	v_ashrrev_i32_e32 v6, 2, v6
	v_add_nc_u32_e32 v5, v5, v7
	v_add_nc_u32_e32 v6, v6, v8
	v_cmp_ge_i32_e32 vcc_lo, v5, v6
	s_and_b32 s5, vcc_lo, exec_lo
	s_or_b32 s4, s4, s5
.LBB428_97:
	s_or_b32 exec_lo, exec_lo, s0
	v_cndmask_b32_e64 v5, v41, v40, s4
	v_cndmask_b32_e64 v6, v14, v13, s4
	s_mov_b32 s5, -1
	s_mov_b32 s0, -1
	s_mov_b32 s13, exec_lo
	v_add_nc_u32_e32 v5, 1, v5
	v_add_nc_u32_e32 v6, -1, v6
	v_cndmask_b32_e64 v7, v40, v5, s4
	v_min_u32_e32 v6, v5, v6
	v_lshl_add_u32 v6, v6, 2, v16
	ds_read_b32 v8, v6
	v_cndmask_b32_e64 v6, v5, v41, s4
	s_waitcnt lgkmcnt(0)
	v_cndmask_b32_e64 v5, v8, v10, s4
	v_cndmask_b32_e64 v15, v4, v8, s4
	v_cmpx_lt_u32_e64 v6, v14
	s_cbranch_execz .LBB428_101
; %bb.98:
	s_mov_b32 s14, 0
	s_mov_b32 s0, exec_lo
	v_cmpx_lt_u32_e64 v7, v13
	s_cbranch_execz .LBB428_100
; %bb.99:
	v_mul_hi_i32 v8, 0x66666667, v5
	v_mul_hi_i32 v9, 0x66666667, v15
	v_lshrrev_b32_e32 v11, 31, v8
	v_ashrrev_i32_e32 v8, 2, v8
	v_lshrrev_b32_e32 v39, 31, v9
	v_ashrrev_i32_e32 v9, 2, v9
	v_add_nc_u32_e32 v8, v8, v11
	v_add_nc_u32_e32 v9, v9, v39
	v_cmp_ge_i32_e32 vcc_lo, v8, v9
	s_and_b32 s14, vcc_lo, exec_lo
.LBB428_100:
	s_or_b32 exec_lo, exec_lo, s0
	s_orn2_b32 s0, s14, exec_lo
.LBB428_101:
	s_or_b32 exec_lo, exec_lo, s13
	v_cndmask_b32_e64 v8, v6, v7, s0
	v_cndmask_b32_e64 v9, v14, v13, s0
	s_mov_b32 s13, exec_lo
	v_add_nc_u32_e32 v11, 1, v8
	v_add_nc_u32_e32 v8, -1, v9
	v_cndmask_b32_e64 v7, v7, v11, s0
	v_min_u32_e32 v8, v11, v8
	v_lshl_add_u32 v8, v8, 2, v16
	ds_read_b32 v9, v8
	v_cndmask_b32_e64 v8, v11, v6, s0
	s_waitcnt lgkmcnt(0)
	v_cndmask_b32_e64 v6, v9, v5, s0
	v_cndmask_b32_e64 v39, v15, v9, s0
	v_cmpx_lt_u32_e64 v8, v14
	s_cbranch_execz .LBB428_105
; %bb.102:
	s_mov_b32 s14, 0
	s_mov_b32 s5, exec_lo
	v_cmpx_lt_u32_e64 v7, v13
	s_cbranch_execz .LBB428_104
; %bb.103:
	v_mul_hi_i32 v9, 0x66666667, v6
	v_mul_hi_i32 v11, 0x66666667, v39
	v_lshrrev_b32_e32 v40, 31, v9
	v_ashrrev_i32_e32 v9, 2, v9
	v_lshrrev_b32_e32 v41, 31, v11
	v_ashrrev_i32_e32 v11, 2, v11
	v_add_nc_u32_e32 v9, v9, v40
	v_add_nc_u32_e32 v11, v11, v41
	v_cmp_ge_i32_e32 vcc_lo, v9, v11
	s_and_b32 s14, vcc_lo, exec_lo
.LBB428_104:
	s_or_b32 exec_lo, exec_lo, s5
	s_orn2_b32 s5, s14, exec_lo
.LBB428_105:
	s_or_b32 exec_lo, exec_lo, s13
	v_cndmask_b32_e64 v9, v8, v7, s5
	v_cndmask_b32_e64 v11, v14, v13, s5
	s_mov_b32 s14, -1
	s_mov_b32 s13, -1
	s_mov_b32 s17, exec_lo
	v_add_nc_u32_e32 v9, 1, v9
	v_add_nc_u32_e32 v11, -1, v11
	v_cndmask_b32_e64 v8, v9, v8, s5
	v_min_u32_e32 v11, v9, v11
	v_cndmask_b32_e64 v9, v7, v9, s5
	v_lshl_add_u32 v11, v11, 2, v16
	ds_read_b32 v11, v11
	s_waitcnt lgkmcnt(0)
	v_cndmask_b32_e64 v7, v11, v6, s5
	v_cndmask_b32_e64 v40, v39, v11, s5
	v_cmpx_lt_u32_e64 v8, v14
	s_cbranch_execz .LBB428_109
; %bb.106:
	s_mov_b32 s18, 0
	s_mov_b32 s13, exec_lo
	v_cmpx_lt_u32_e64 v9, v13
	s_cbranch_execz .LBB428_108
; %bb.107:
	v_mul_hi_i32 v11, 0x66666667, v7
	v_mul_hi_i32 v41, 0x66666667, v40
	v_lshrrev_b32_e32 v42, 31, v11
	v_ashrrev_i32_e32 v11, 2, v11
	v_lshrrev_b32_e32 v43, 31, v41
	v_ashrrev_i32_e32 v41, 2, v41
	v_add_nc_u32_e32 v11, v11, v42
	v_add_nc_u32_e32 v41, v41, v43
	v_cmp_ge_i32_e32 vcc_lo, v11, v41
	s_and_b32 s18, vcc_lo, exec_lo
.LBB428_108:
	s_or_b32 exec_lo, exec_lo, s13
	s_orn2_b32 s13, s18, exec_lo
.LBB428_109:
	s_or_b32 exec_lo, exec_lo, s17
	v_cndmask_b32_e64 v11, v8, v9, s13
	v_cndmask_b32_e64 v41, v14, v13, s13
	s_mov_b32 s17, exec_lo
	v_add_nc_u32_e32 v42, 1, v11
	v_add_nc_u32_e32 v11, -1, v41
	v_cndmask_b32_e64 v9, v9, v42, s13
	v_min_u32_e32 v11, v42, v11
	v_lshl_add_u32 v11, v11, 2, v16
	ds_read_b32 v41, v11
	v_cndmask_b32_e64 v11, v42, v8, s13
	s_waitcnt lgkmcnt(0)
	v_cndmask_b32_e64 v8, v41, v7, s13
	v_cndmask_b32_e64 v41, v40, v41, s13
	v_cmpx_lt_u32_e64 v11, v14
	s_cbranch_execz .LBB428_113
; %bb.110:
	s_mov_b32 s18, 0
	s_mov_b32 s14, exec_lo
	v_cmpx_lt_u32_e64 v9, v13
	s_cbranch_execz .LBB428_112
; %bb.111:
	v_mul_hi_i32 v42, 0x66666667, v8
	v_mul_hi_i32 v43, 0x66666667, v41
	v_lshrrev_b32_e32 v44, 31, v42
	v_ashrrev_i32_e32 v42, 2, v42
	v_lshrrev_b32_e32 v45, 31, v43
	v_ashrrev_i32_e32 v43, 2, v43
	v_add_nc_u32_e32 v42, v42, v44
	v_add_nc_u32_e32 v43, v43, v45
	v_cmp_ge_i32_e32 vcc_lo, v42, v43
	s_and_b32 s18, vcc_lo, exec_lo
.LBB428_112:
	s_or_b32 exec_lo, exec_lo, s14
	s_orn2_b32 s14, s18, exec_lo
.LBB428_113:
	s_or_b32 exec_lo, exec_lo, s17
	v_cndmask_b32_e64 v42, v11, v9, s14
	v_cndmask_b32_e64 v43, v14, v13, s14
	s_mov_b32 s17, -1
	s_mov_b32 s18, -1
	s_mov_b32 s19, exec_lo
	v_add_nc_u32_e32 v42, 1, v42
	v_add_nc_u32_e32 v43, -1, v43
	v_cndmask_b32_e64 v11, v42, v11, s14
	v_min_u32_e32 v43, v42, v43
	v_lshl_add_u32 v43, v43, 2, v16
	ds_read_b32 v44, v43
	v_cndmask_b32_e64 v43, v9, v42, s14
	s_waitcnt lgkmcnt(0)
	v_cndmask_b32_e64 v9, v44, v8, s14
	v_cndmask_b32_e64 v42, v41, v44, s14
	v_cmpx_lt_u32_e64 v11, v14
	s_cbranch_execz .LBB428_117
; %bb.114:
	s_mov_b32 s20, 0
	s_mov_b32 s18, exec_lo
	v_cmpx_lt_u32_e64 v43, v13
	s_cbranch_execz .LBB428_116
; %bb.115:
	v_mul_hi_i32 v44, 0x66666667, v9
	v_mul_hi_i32 v45, 0x66666667, v42
	v_lshrrev_b32_e32 v46, 31, v44
	v_ashrrev_i32_e32 v44, 2, v44
	v_lshrrev_b32_e32 v47, 31, v45
	v_ashrrev_i32_e32 v45, 2, v45
	v_add_nc_u32_e32 v44, v44, v46
	v_add_nc_u32_e32 v45, v45, v47
	v_cmp_ge_i32_e32 vcc_lo, v44, v45
	s_and_b32 s20, vcc_lo, exec_lo
.LBB428_116:
	s_or_b32 exec_lo, exec_lo, s18
	s_orn2_b32 s18, s20, exec_lo
.LBB428_117:
	s_or_b32 exec_lo, exec_lo, s19
	v_cndmask_b32_e64 v44, v11, v43, s18
	v_cndmask_b32_e64 v45, v14, v13, s18
	s_mov_b32 s19, exec_lo
	v_add_nc_u32_e32 v44, 1, v44
	v_add_nc_u32_e32 v45, -1, v45
	v_cndmask_b32_e64 v11, v44, v11, s18
	v_min_u32_e32 v45, v44, v45
	v_lshl_add_u32 v45, v45, 2, v16
	ds_read_b32 v46, v45
	v_cndmask_b32_e64 v45, v43, v44, s18
	s_waitcnt lgkmcnt(0)
	v_cndmask_b32_e64 v43, v46, v9, s18
	v_cndmask_b32_e64 v44, v42, v46, s18
	v_cmpx_lt_u32_e64 v11, v14
	s_cbranch_execz .LBB428_121
; %bb.118:
	s_mov_b32 s20, 0
	s_mov_b32 s17, exec_lo
	v_cmpx_lt_u32_e64 v45, v13
	s_cbranch_execz .LBB428_120
; %bb.119:
	v_mul_hi_i32 v46, 0x66666667, v43
	v_mul_hi_i32 v47, 0x66666667, v44
	v_lshrrev_b32_e32 v48, 31, v46
	v_ashrrev_i32_e32 v46, 2, v46
	v_lshrrev_b32_e32 v49, 31, v47
	v_ashrrev_i32_e32 v47, 2, v47
	v_add_nc_u32_e32 v46, v46, v48
	v_add_nc_u32_e32 v47, v47, v49
	v_cmp_ge_i32_e32 vcc_lo, v46, v47
	s_and_b32 s20, vcc_lo, exec_lo
.LBB428_120:
	s_or_b32 exec_lo, exec_lo, s17
	s_orn2_b32 s17, s20, exec_lo
.LBB428_121:
	s_or_b32 exec_lo, exec_lo, s19
	v_cndmask_b32_e64 v46, v11, v45, s17
	v_cndmask_b32_e64 v47, v14, v13, s17
	s_mov_b32 s19, exec_lo
	v_add_nc_u32_e32 v46, 1, v46
	v_add_nc_u32_e32 v47, -1, v47
	v_cndmask_b32_e64 v48, v46, v11, s17
	v_min_u32_e32 v47, v46, v47
	v_lshl_add_u32 v47, v47, 2, v16
	ds_read_b32 v47, v47
	s_waitcnt lgkmcnt(0)
	v_cndmask_b32_e64 v11, v44, v47, s17
	v_cmpx_lt_u32_e64 v48, v14
	s_cbranch_execz .LBB428_125
; %bb.122:
	v_cndmask_b32_e64 v45, v45, v46, s17
	v_cndmask_b32_e64 v14, v47, v43, s17
	s_mov_b32 s20, exec_lo
	v_cmpx_lt_u32_e64 v45, v13
	s_cbranch_execz .LBB428_124
; %bb.123:
	v_mul_hi_i32 v13, 0x66666667, v14
	v_mul_hi_i32 v45, 0x66666667, v11
	v_lshrrev_b32_e32 v46, 31, v13
	v_ashrrev_i32_e32 v13, 2, v13
	v_lshrrev_b32_e32 v47, 31, v45
	v_ashrrev_i32_e32 v45, 2, v45
	v_add_nc_u32_e32 v13, v13, v46
	v_add_nc_u32_e32 v45, v45, v47
	v_cmp_lt_i32_e32 vcc_lo, v13, v45
	v_cndmask_b32_e32 v14, v11, v14, vcc_lo
.LBB428_124:
	s_or_b32 exec_lo, exec_lo, s20
	v_mov_b32_e32 v11, v14
.LBB428_125:
	s_or_b32 exec_lo, exec_lo, s19
	v_cndmask_b32_e64 v9, v9, v42, s18
	v_cndmask_b32_e64 v8, v8, v41, s14
	v_cndmask_b32_e64 v7, v7, v40, s13
	v_cndmask_b32_e64 v6, v6, v39, s5
	v_cndmask_b32_e64 v5, v5, v15, s0
	v_cndmask_b32_e64 v4, v10, v4, s4
	v_cndmask_b32_e64 v10, v43, v44, s17
.LBB428_126:
	s_or_b32 exec_lo, exec_lo, s1
	v_and_b32_e32 v39, 0x80, v18
	v_and_b32_e32 v15, 0x78, v18
	s_mov_b32 s0, exec_lo
	; wave barrier
	v_or_b32_e32 v13, 64, v39
	v_min_u32_e32 v18, v17, v15
	ds_write_b128 v19, v[4:7]
	ds_write_b128 v19, v[8:11] offset:16
	; wave barrier
	v_min_u32_e32 v13, v17, v13
	v_add_nc_u32_e32 v14, 64, v13
	v_min_u32_e32 v14, v17, v14
	v_sub_nc_u32_e32 v17, v13, v39
	v_sub_nc_u32_e32 v15, v14, v13
	v_min_u32_e32 v40, v18, v17
	v_lshl_add_u32 v17, v39, 2, v16
	v_sub_nc_u32_e64 v15, v18, v15 clamp
	v_cmpx_lt_u32_e64 v15, v40
	s_cbranch_execz .LBB428_130
; %bb.127:
	v_lshlrev_b32_e32 v19, 2, v13
	v_lshlrev_b32_e32 v41, 2, v18
	s_mov_b32 s1, 0
	v_add3_u32 v19, v16, v19, v41
	.p2align	6
.LBB428_128:                            ; =>This Inner Loop Header: Depth=1
	v_add_nc_u32_e32 v41, v40, v15
	v_lshrrev_b32_e32 v41, 1, v41
	v_not_b32_e32 v42, v41
	v_lshl_add_u32 v43, v41, 2, v17
	v_lshl_add_u32 v42, v42, 2, v19
	ds_read_b32 v43, v43
	ds_read_b32 v42, v42
	s_waitcnt lgkmcnt(1)
	v_mul_hi_i32 v43, 0x66666667, v43
	s_waitcnt lgkmcnt(0)
	v_mul_hi_i32 v42, 0x66666667, v42
	v_lshrrev_b32_e32 v44, 31, v43
	v_ashrrev_i32_e32 v43, 2, v43
	v_lshrrev_b32_e32 v45, 31, v42
	v_ashrrev_i32_e32 v42, 2, v42
	v_add_nc_u32_e32 v43, v43, v44
	v_add_nc_u32_e32 v44, 1, v41
	;; [unrolled: 1-line block ×3, first 2 shown]
	v_cmp_lt_i32_e32 vcc_lo, v42, v43
	v_cndmask_b32_e32 v40, v40, v41, vcc_lo
	v_cndmask_b32_e32 v15, v44, v15, vcc_lo
	v_cmp_ge_u32_e32 vcc_lo, v15, v40
	s_or_b32 s1, vcc_lo, s1
	s_andn2_b32 exec_lo, exec_lo, s1
	s_cbranch_execnz .LBB428_128
; %bb.129:
	s_or_b32 exec_lo, exec_lo, s1
.LBB428_130:
	s_or_b32 exec_lo, exec_lo, s0
	v_add_nc_u32_e32 v19, v13, v18
	v_add_nc_u32_e32 v18, v15, v39
	v_sub_nc_u32_e32 v19, v19, v15
	v_cmp_le_u32_e32 vcc_lo, v18, v13
	v_cmp_le_u32_e64 s0, v19, v14
	s_or_b32 s0, vcc_lo, s0
	s_and_saveexec_b32 s1, s0
	s_cbranch_execz .LBB428_166
; %bb.131:
	s_mov_b32 s4, exec_lo
	v_cmp_ge_u32_e32 vcc_lo, v18, v13
                                        ; implicit-def: $vgpr4
	v_cmpx_lt_u32_e64 v18, v13
; %bb.132:
	v_lshl_add_u32 v4, v15, 2, v17
	ds_read_b32 v4, v4
; %bb.133:
	s_or_b32 exec_lo, exec_lo, s4
	v_cmp_ge_u32_e64 s4, v19, v14
	s_mov_b32 s5, exec_lo
                                        ; implicit-def: $vgpr10
	v_cmpx_lt_u32_e64 v19, v14
; %bb.134:
	v_lshl_add_u32 v5, v19, 2, v16
	ds_read_b32 v10, v5
; %bb.135:
	s_or_b32 exec_lo, exec_lo, s5
	s_nor_b32 s5, vcc_lo, s4
	s_and_saveexec_b32 s0, s5
	s_cbranch_execz .LBB428_137
; %bb.136:
	s_waitcnt lgkmcnt(0)
	v_mul_hi_i32 v5, 0x66666667, v10
	v_mul_hi_i32 v6, 0x66666667, v4
	s_andn2_b32 s4, s4, exec_lo
	v_lshrrev_b32_e32 v7, 31, v5
	v_ashrrev_i32_e32 v5, 2, v5
	v_lshrrev_b32_e32 v8, 31, v6
	v_ashrrev_i32_e32 v6, 2, v6
	v_add_nc_u32_e32 v5, v5, v7
	v_add_nc_u32_e32 v6, v6, v8
	v_cmp_ge_i32_e32 vcc_lo, v5, v6
	s_and_b32 s5, vcc_lo, exec_lo
	s_or_b32 s4, s4, s5
.LBB428_137:
	s_or_b32 exec_lo, exec_lo, s0
	v_cndmask_b32_e64 v5, v19, v18, s4
	v_cndmask_b32_e64 v6, v14, v13, s4
	s_mov_b32 s5, -1
	s_mov_b32 s0, -1
	s_mov_b32 s13, exec_lo
	v_add_nc_u32_e32 v5, 1, v5
	v_add_nc_u32_e32 v6, -1, v6
	v_cndmask_b32_e64 v7, v18, v5, s4
	v_min_u32_e32 v6, v5, v6
	v_lshl_add_u32 v6, v6, 2, v16
	ds_read_b32 v8, v6
	v_cndmask_b32_e64 v6, v5, v19, s4
	s_waitcnt lgkmcnt(0)
	v_cndmask_b32_e64 v5, v8, v10, s4
	v_cndmask_b32_e64 v15, v4, v8, s4
	v_cmpx_lt_u32_e64 v6, v14
	s_cbranch_execz .LBB428_141
; %bb.138:
	s_mov_b32 s14, 0
	s_mov_b32 s0, exec_lo
	v_cmpx_lt_u32_e64 v7, v13
	s_cbranch_execz .LBB428_140
; %bb.139:
	v_mul_hi_i32 v8, 0x66666667, v5
	v_mul_hi_i32 v9, 0x66666667, v15
	v_lshrrev_b32_e32 v11, 31, v8
	v_ashrrev_i32_e32 v8, 2, v8
	v_lshrrev_b32_e32 v17, 31, v9
	v_ashrrev_i32_e32 v9, 2, v9
	v_add_nc_u32_e32 v8, v8, v11
	v_add_nc_u32_e32 v9, v9, v17
	v_cmp_ge_i32_e32 vcc_lo, v8, v9
	s_and_b32 s14, vcc_lo, exec_lo
.LBB428_140:
	s_or_b32 exec_lo, exec_lo, s0
	s_orn2_b32 s0, s14, exec_lo
.LBB428_141:
	s_or_b32 exec_lo, exec_lo, s13
	v_cndmask_b32_e64 v8, v6, v7, s0
	v_cndmask_b32_e64 v9, v14, v13, s0
	s_mov_b32 s13, exec_lo
	v_add_nc_u32_e32 v11, 1, v8
	v_add_nc_u32_e32 v8, -1, v9
	v_cndmask_b32_e64 v7, v7, v11, s0
	v_min_u32_e32 v8, v11, v8
	v_lshl_add_u32 v8, v8, 2, v16
	ds_read_b32 v9, v8
	v_cndmask_b32_e64 v8, v11, v6, s0
	s_waitcnt lgkmcnt(0)
	v_cndmask_b32_e64 v6, v9, v5, s0
	v_cndmask_b32_e64 v17, v15, v9, s0
	v_cmpx_lt_u32_e64 v8, v14
	s_cbranch_execz .LBB428_145
; %bb.142:
	s_mov_b32 s14, 0
	s_mov_b32 s5, exec_lo
	v_cmpx_lt_u32_e64 v7, v13
	s_cbranch_execz .LBB428_144
; %bb.143:
	v_mul_hi_i32 v9, 0x66666667, v6
	v_mul_hi_i32 v11, 0x66666667, v17
	v_lshrrev_b32_e32 v18, 31, v9
	v_ashrrev_i32_e32 v9, 2, v9
	v_lshrrev_b32_e32 v19, 31, v11
	v_ashrrev_i32_e32 v11, 2, v11
	v_add_nc_u32_e32 v9, v9, v18
	v_add_nc_u32_e32 v11, v11, v19
	v_cmp_ge_i32_e32 vcc_lo, v9, v11
	s_and_b32 s14, vcc_lo, exec_lo
.LBB428_144:
	s_or_b32 exec_lo, exec_lo, s5
	s_orn2_b32 s5, s14, exec_lo
.LBB428_145:
	s_or_b32 exec_lo, exec_lo, s13
	v_cndmask_b32_e64 v9, v8, v7, s5
	v_cndmask_b32_e64 v11, v14, v13, s5
	s_mov_b32 s14, -1
	s_mov_b32 s13, -1
	s_mov_b32 s17, exec_lo
	v_add_nc_u32_e32 v9, 1, v9
	v_add_nc_u32_e32 v11, -1, v11
	v_cndmask_b32_e64 v8, v9, v8, s5
	v_min_u32_e32 v11, v9, v11
	v_cndmask_b32_e64 v9, v7, v9, s5
	v_lshl_add_u32 v11, v11, 2, v16
	ds_read_b32 v11, v11
	s_waitcnt lgkmcnt(0)
	v_cndmask_b32_e64 v7, v11, v6, s5
	v_cndmask_b32_e64 v18, v17, v11, s5
	v_cmpx_lt_u32_e64 v8, v14
	s_cbranch_execz .LBB428_149
; %bb.146:
	s_mov_b32 s18, 0
	s_mov_b32 s13, exec_lo
	v_cmpx_lt_u32_e64 v9, v13
	s_cbranch_execz .LBB428_148
; %bb.147:
	v_mul_hi_i32 v11, 0x66666667, v7
	v_mul_hi_i32 v19, 0x66666667, v18
	v_lshrrev_b32_e32 v39, 31, v11
	v_ashrrev_i32_e32 v11, 2, v11
	v_lshrrev_b32_e32 v40, 31, v19
	v_ashrrev_i32_e32 v19, 2, v19
	v_add_nc_u32_e32 v11, v11, v39
	v_add_nc_u32_e32 v19, v19, v40
	v_cmp_ge_i32_e32 vcc_lo, v11, v19
	s_and_b32 s18, vcc_lo, exec_lo
.LBB428_148:
	s_or_b32 exec_lo, exec_lo, s13
	s_orn2_b32 s13, s18, exec_lo
.LBB428_149:
	s_or_b32 exec_lo, exec_lo, s17
	v_cndmask_b32_e64 v11, v8, v9, s13
	v_cndmask_b32_e64 v19, v14, v13, s13
	s_mov_b32 s17, exec_lo
	v_add_nc_u32_e32 v39, 1, v11
	v_add_nc_u32_e32 v11, -1, v19
	v_cndmask_b32_e64 v9, v9, v39, s13
	v_min_u32_e32 v11, v39, v11
	v_lshl_add_u32 v11, v11, 2, v16
	ds_read_b32 v19, v11
	v_cndmask_b32_e64 v11, v39, v8, s13
	s_waitcnt lgkmcnt(0)
	v_cndmask_b32_e64 v8, v19, v7, s13
	v_cndmask_b32_e64 v19, v18, v19, s13
	v_cmpx_lt_u32_e64 v11, v14
	s_cbranch_execz .LBB428_153
; %bb.150:
	s_mov_b32 s18, 0
	s_mov_b32 s14, exec_lo
	v_cmpx_lt_u32_e64 v9, v13
	s_cbranch_execz .LBB428_152
; %bb.151:
	v_mul_hi_i32 v39, 0x66666667, v8
	v_mul_hi_i32 v40, 0x66666667, v19
	v_lshrrev_b32_e32 v41, 31, v39
	v_ashrrev_i32_e32 v39, 2, v39
	v_lshrrev_b32_e32 v42, 31, v40
	v_ashrrev_i32_e32 v40, 2, v40
	v_add_nc_u32_e32 v39, v39, v41
	v_add_nc_u32_e32 v40, v40, v42
	v_cmp_ge_i32_e32 vcc_lo, v39, v40
	s_and_b32 s18, vcc_lo, exec_lo
.LBB428_152:
	s_or_b32 exec_lo, exec_lo, s14
	s_orn2_b32 s14, s18, exec_lo
.LBB428_153:
	s_or_b32 exec_lo, exec_lo, s17
	v_cndmask_b32_e64 v39, v11, v9, s14
	v_cndmask_b32_e64 v40, v14, v13, s14
	s_mov_b32 s17, -1
	s_mov_b32 s18, -1
	s_mov_b32 s19, exec_lo
	v_add_nc_u32_e32 v39, 1, v39
	v_add_nc_u32_e32 v40, -1, v40
	v_cndmask_b32_e64 v11, v39, v11, s14
	v_min_u32_e32 v40, v39, v40
	v_lshl_add_u32 v40, v40, 2, v16
	ds_read_b32 v41, v40
	v_cndmask_b32_e64 v40, v9, v39, s14
	s_waitcnt lgkmcnt(0)
	v_cndmask_b32_e64 v9, v41, v8, s14
	v_cndmask_b32_e64 v39, v19, v41, s14
	v_cmpx_lt_u32_e64 v11, v14
	s_cbranch_execz .LBB428_157
; %bb.154:
	s_mov_b32 s20, 0
	s_mov_b32 s18, exec_lo
	v_cmpx_lt_u32_e64 v40, v13
	s_cbranch_execz .LBB428_156
; %bb.155:
	v_mul_hi_i32 v41, 0x66666667, v9
	v_mul_hi_i32 v42, 0x66666667, v39
	v_lshrrev_b32_e32 v43, 31, v41
	v_ashrrev_i32_e32 v41, 2, v41
	v_lshrrev_b32_e32 v44, 31, v42
	v_ashrrev_i32_e32 v42, 2, v42
	v_add_nc_u32_e32 v41, v41, v43
	v_add_nc_u32_e32 v42, v42, v44
	v_cmp_ge_i32_e32 vcc_lo, v41, v42
	s_and_b32 s20, vcc_lo, exec_lo
.LBB428_156:
	s_or_b32 exec_lo, exec_lo, s18
	s_orn2_b32 s18, s20, exec_lo
.LBB428_157:
	s_or_b32 exec_lo, exec_lo, s19
	v_cndmask_b32_e64 v41, v11, v40, s18
	v_cndmask_b32_e64 v42, v14, v13, s18
	s_mov_b32 s19, exec_lo
	v_add_nc_u32_e32 v41, 1, v41
	v_add_nc_u32_e32 v42, -1, v42
	v_cndmask_b32_e64 v11, v41, v11, s18
	v_min_u32_e32 v42, v41, v42
	v_lshl_add_u32 v42, v42, 2, v16
	ds_read_b32 v43, v42
	v_cndmask_b32_e64 v42, v40, v41, s18
	s_waitcnt lgkmcnt(0)
	v_cndmask_b32_e64 v40, v43, v9, s18
	v_cndmask_b32_e64 v41, v39, v43, s18
	v_cmpx_lt_u32_e64 v11, v14
	s_cbranch_execz .LBB428_161
; %bb.158:
	s_mov_b32 s20, 0
	s_mov_b32 s17, exec_lo
	v_cmpx_lt_u32_e64 v42, v13
	s_cbranch_execz .LBB428_160
; %bb.159:
	v_mul_hi_i32 v43, 0x66666667, v40
	v_mul_hi_i32 v44, 0x66666667, v41
	v_lshrrev_b32_e32 v45, 31, v43
	v_ashrrev_i32_e32 v43, 2, v43
	v_lshrrev_b32_e32 v46, 31, v44
	v_ashrrev_i32_e32 v44, 2, v44
	v_add_nc_u32_e32 v43, v43, v45
	v_add_nc_u32_e32 v44, v44, v46
	v_cmp_ge_i32_e32 vcc_lo, v43, v44
	s_and_b32 s20, vcc_lo, exec_lo
.LBB428_160:
	s_or_b32 exec_lo, exec_lo, s17
	s_orn2_b32 s17, s20, exec_lo
.LBB428_161:
	s_or_b32 exec_lo, exec_lo, s19
	v_cndmask_b32_e64 v43, v11, v42, s17
	v_cndmask_b32_e64 v44, v14, v13, s17
	s_mov_b32 s19, exec_lo
	v_add_nc_u32_e32 v43, 1, v43
	v_add_nc_u32_e32 v44, -1, v44
	v_min_u32_e32 v44, v43, v44
	v_lshl_add_u32 v16, v44, 2, v16
	v_cndmask_b32_e64 v44, v43, v11, s17
	ds_read_b32 v16, v16
	s_waitcnt lgkmcnt(0)
	v_cndmask_b32_e64 v11, v41, v16, s17
	v_cmpx_lt_u32_e64 v44, v14
	s_cbranch_execz .LBB428_165
; %bb.162:
	v_cndmask_b32_e64 v42, v42, v43, s17
	v_cndmask_b32_e64 v14, v16, v40, s17
	s_mov_b32 s20, exec_lo
	v_cmpx_lt_u32_e64 v42, v13
	s_cbranch_execz .LBB428_164
; %bb.163:
	v_mul_hi_i32 v13, 0x66666667, v14
	v_mul_hi_i32 v16, 0x66666667, v11
	v_lshrrev_b32_e32 v42, 31, v13
	v_ashrrev_i32_e32 v13, 2, v13
	v_lshrrev_b32_e32 v43, 31, v16
	v_ashrrev_i32_e32 v16, 2, v16
	v_add_nc_u32_e32 v13, v13, v42
	v_add_nc_u32_e32 v16, v16, v43
	v_cmp_lt_i32_e32 vcc_lo, v13, v16
	v_cndmask_b32_e32 v14, v11, v14, vcc_lo
.LBB428_164:
	s_or_b32 exec_lo, exec_lo, s20
	v_mov_b32_e32 v11, v14
.LBB428_165:
	s_or_b32 exec_lo, exec_lo, s19
	v_cndmask_b32_e64 v9, v9, v39, s18
	v_cndmask_b32_e64 v8, v8, v19, s14
	;; [unrolled: 1-line block ×7, first 2 shown]
.LBB428_166:
	s_or_b32 exec_lo, exec_lo, s1
	v_and_b32_e32 v18, 0x700, v12
	v_and_b32_e32 v19, 0xf8, v12
	v_lshlrev_b32_e32 v13, 2, v12
	s_mov_b32 s0, exec_lo
	v_or_b32_e32 v14, 0x80, v18
	v_add_nc_u32_e32 v15, 0x100, v18
	; wave barrier
	s_waitcnt lgkmcnt(0)
	s_barrier
	v_sub_nc_u32_e32 v17, v14, v18
	v_sub_nc_u32_e32 v16, v15, v14
	buffer_gl0_inv
	ds_write_b128 v13, v[4:7]
	ds_write_b128 v13, v[8:11] offset:16
	v_min_u32_e32 v39, v19, v17
	v_sub_nc_u32_e64 v16, v19, v16 clamp
	v_lshlrev_b32_e32 v17, 2, v18
	s_waitcnt lgkmcnt(0)
	s_barrier
	buffer_gl0_inv
	v_cmpx_lt_u32_e64 v16, v39
	s_cbranch_execz .LBB428_170
; %bb.167:
	v_lshlrev_b32_e32 v40, 2, v19
	s_mov_b32 s1, 0
	v_lshl_add_u32 v40, v14, 2, v40
	.p2align	6
.LBB428_168:                            ; =>This Inner Loop Header: Depth=1
	v_add_nc_u32_e32 v41, v39, v16
	v_lshrrev_b32_e32 v41, 1, v41
	v_not_b32_e32 v42, v41
	v_lshl_add_u32 v43, v41, 2, v17
	v_lshl_add_u32 v42, v42, 2, v40
	ds_read_b32 v43, v43
	ds_read_b32 v42, v42
	s_waitcnt lgkmcnt(1)
	v_mul_hi_i32 v43, 0x66666667, v43
	s_waitcnt lgkmcnt(0)
	v_mul_hi_i32 v42, 0x66666667, v42
	v_lshrrev_b32_e32 v44, 31, v43
	v_ashrrev_i32_e32 v43, 2, v43
	v_lshrrev_b32_e32 v45, 31, v42
	v_ashrrev_i32_e32 v42, 2, v42
	v_add_nc_u32_e32 v43, v43, v44
	v_add_nc_u32_e32 v44, 1, v41
	;; [unrolled: 1-line block ×3, first 2 shown]
	v_cmp_lt_i32_e32 vcc_lo, v42, v43
	v_cndmask_b32_e32 v39, v39, v41, vcc_lo
	v_cndmask_b32_e32 v16, v44, v16, vcc_lo
	v_cmp_ge_u32_e32 vcc_lo, v16, v39
	s_or_b32 s1, vcc_lo, s1
	s_andn2_b32 exec_lo, exec_lo, s1
	s_cbranch_execnz .LBB428_168
; %bb.169:
	s_or_b32 exec_lo, exec_lo, s1
.LBB428_170:
	s_or_b32 exec_lo, exec_lo, s0
	v_sub_nc_u32_e32 v19, v19, v16
	v_add_nc_u32_e32 v18, v16, v18
	v_add_nc_u32_e32 v19, v19, v14
	v_cmp_le_u32_e32 vcc_lo, v18, v14
	v_cmp_le_u32_e64 s0, v19, v15
	s_or_b32 s0, vcc_lo, s0
	s_and_saveexec_b32 s1, s0
	s_cbranch_execz .LBB428_206
; %bb.171:
	s_mov_b32 s4, exec_lo
	v_cmp_ge_u32_e32 vcc_lo, v18, v14
                                        ; implicit-def: $vgpr4
	v_cmpx_lt_u32_e64 v18, v14
; %bb.172:
	v_lshl_add_u32 v4, v16, 2, v17
	ds_read_b32 v4, v4
; %bb.173:
	s_or_b32 exec_lo, exec_lo, s4
	v_cmp_ge_u32_e64 s4, v19, v15
	s_mov_b32 s5, exec_lo
                                        ; implicit-def: $vgpr10
	v_cmpx_lt_u32_e64 v19, v15
; %bb.174:
	v_lshlrev_b32_e32 v5, 2, v19
	ds_read_b32 v10, v5
; %bb.175:
	s_or_b32 exec_lo, exec_lo, s5
	s_nor_b32 s5, vcc_lo, s4
	s_and_saveexec_b32 s0, s5
	s_cbranch_execz .LBB428_177
; %bb.176:
	s_waitcnt lgkmcnt(0)
	v_mul_hi_i32 v5, 0x66666667, v10
	v_mul_hi_i32 v6, 0x66666667, v4
	s_andn2_b32 s4, s4, exec_lo
	v_lshrrev_b32_e32 v7, 31, v5
	v_ashrrev_i32_e32 v5, 2, v5
	v_lshrrev_b32_e32 v8, 31, v6
	v_ashrrev_i32_e32 v6, 2, v6
	v_add_nc_u32_e32 v5, v5, v7
	v_add_nc_u32_e32 v6, v6, v8
	v_cmp_ge_i32_e32 vcc_lo, v5, v6
	s_and_b32 s5, vcc_lo, exec_lo
	s_or_b32 s4, s4, s5
.LBB428_177:
	s_or_b32 exec_lo, exec_lo, s0
	v_cndmask_b32_e64 v5, v19, v18, s4
	v_cndmask_b32_e64 v6, v15, v14, s4
	s_mov_b32 s5, -1
	s_mov_b32 s0, -1
	s_mov_b32 s13, exec_lo
	v_add_nc_u32_e32 v5, 1, v5
	v_add_nc_u32_e32 v6, -1, v6
	v_cndmask_b32_e64 v7, v18, v5, s4
	v_min_u32_e32 v6, v5, v6
	v_lshlrev_b32_e32 v6, 2, v6
	ds_read_b32 v8, v6
	v_cndmask_b32_e64 v6, v5, v19, s4
	s_waitcnt lgkmcnt(0)
	v_cndmask_b32_e64 v5, v8, v10, s4
	v_cndmask_b32_e64 v16, v4, v8, s4
	v_cmpx_lt_u32_e64 v6, v15
	s_cbranch_execz .LBB428_181
; %bb.178:
	s_mov_b32 s14, 0
	s_mov_b32 s0, exec_lo
	v_cmpx_lt_u32_e64 v7, v14
	s_cbranch_execz .LBB428_180
; %bb.179:
	v_mul_hi_i32 v8, 0x66666667, v5
	v_mul_hi_i32 v9, 0x66666667, v16
	v_lshrrev_b32_e32 v11, 31, v8
	v_ashrrev_i32_e32 v8, 2, v8
	v_lshrrev_b32_e32 v17, 31, v9
	v_ashrrev_i32_e32 v9, 2, v9
	v_add_nc_u32_e32 v8, v8, v11
	v_add_nc_u32_e32 v9, v9, v17
	v_cmp_ge_i32_e32 vcc_lo, v8, v9
	s_and_b32 s14, vcc_lo, exec_lo
.LBB428_180:
	s_or_b32 exec_lo, exec_lo, s0
	s_orn2_b32 s0, s14, exec_lo
.LBB428_181:
	s_or_b32 exec_lo, exec_lo, s13
	v_cndmask_b32_e64 v8, v6, v7, s0
	v_cndmask_b32_e64 v9, v15, v14, s0
	s_mov_b32 s13, exec_lo
	v_add_nc_u32_e32 v11, 1, v8
	v_add_nc_u32_e32 v8, -1, v9
	v_cndmask_b32_e64 v7, v7, v11, s0
	v_min_u32_e32 v8, v11, v8
	v_lshlrev_b32_e32 v8, 2, v8
	ds_read_b32 v9, v8
	v_cndmask_b32_e64 v8, v11, v6, s0
	s_waitcnt lgkmcnt(0)
	v_cndmask_b32_e64 v6, v9, v5, s0
	v_cndmask_b32_e64 v17, v16, v9, s0
	v_cmpx_lt_u32_e64 v8, v15
	s_cbranch_execz .LBB428_185
; %bb.182:
	s_mov_b32 s14, 0
	s_mov_b32 s5, exec_lo
	v_cmpx_lt_u32_e64 v7, v14
	s_cbranch_execz .LBB428_184
; %bb.183:
	v_mul_hi_i32 v9, 0x66666667, v6
	v_mul_hi_i32 v11, 0x66666667, v17
	v_lshrrev_b32_e32 v18, 31, v9
	v_ashrrev_i32_e32 v9, 2, v9
	v_lshrrev_b32_e32 v19, 31, v11
	v_ashrrev_i32_e32 v11, 2, v11
	v_add_nc_u32_e32 v9, v9, v18
	v_add_nc_u32_e32 v11, v11, v19
	v_cmp_ge_i32_e32 vcc_lo, v9, v11
	s_and_b32 s14, vcc_lo, exec_lo
.LBB428_184:
	s_or_b32 exec_lo, exec_lo, s5
	s_orn2_b32 s5, s14, exec_lo
.LBB428_185:
	s_or_b32 exec_lo, exec_lo, s13
	v_cndmask_b32_e64 v9, v8, v7, s5
	v_cndmask_b32_e64 v11, v15, v14, s5
	s_mov_b32 s14, -1
	s_mov_b32 s13, -1
	s_mov_b32 s17, exec_lo
	v_add_nc_u32_e32 v9, 1, v9
	v_add_nc_u32_e32 v11, -1, v11
	v_cndmask_b32_e64 v8, v9, v8, s5
	v_min_u32_e32 v11, v9, v11
	v_cndmask_b32_e64 v9, v7, v9, s5
	v_lshlrev_b32_e32 v11, 2, v11
	ds_read_b32 v11, v11
	s_waitcnt lgkmcnt(0)
	v_cndmask_b32_e64 v7, v11, v6, s5
	v_cndmask_b32_e64 v18, v17, v11, s5
	v_cmpx_lt_u32_e64 v8, v15
	s_cbranch_execz .LBB428_189
; %bb.186:
	s_mov_b32 s18, 0
	s_mov_b32 s13, exec_lo
	v_cmpx_lt_u32_e64 v9, v14
	s_cbranch_execz .LBB428_188
; %bb.187:
	v_mul_hi_i32 v11, 0x66666667, v7
	v_mul_hi_i32 v19, 0x66666667, v18
	v_lshrrev_b32_e32 v39, 31, v11
	v_ashrrev_i32_e32 v11, 2, v11
	v_lshrrev_b32_e32 v40, 31, v19
	v_ashrrev_i32_e32 v19, 2, v19
	v_add_nc_u32_e32 v11, v11, v39
	v_add_nc_u32_e32 v19, v19, v40
	v_cmp_ge_i32_e32 vcc_lo, v11, v19
	s_and_b32 s18, vcc_lo, exec_lo
.LBB428_188:
	s_or_b32 exec_lo, exec_lo, s13
	s_orn2_b32 s13, s18, exec_lo
.LBB428_189:
	s_or_b32 exec_lo, exec_lo, s17
	v_cndmask_b32_e64 v11, v8, v9, s13
	v_cndmask_b32_e64 v19, v15, v14, s13
	s_mov_b32 s17, exec_lo
	v_add_nc_u32_e32 v39, 1, v11
	v_add_nc_u32_e32 v11, -1, v19
	v_cndmask_b32_e64 v9, v9, v39, s13
	v_min_u32_e32 v11, v39, v11
	v_lshlrev_b32_e32 v11, 2, v11
	ds_read_b32 v19, v11
	v_cndmask_b32_e64 v11, v39, v8, s13
	s_waitcnt lgkmcnt(0)
	v_cndmask_b32_e64 v8, v19, v7, s13
	v_cndmask_b32_e64 v19, v18, v19, s13
	v_cmpx_lt_u32_e64 v11, v15
	s_cbranch_execz .LBB428_193
; %bb.190:
	s_mov_b32 s18, 0
	s_mov_b32 s14, exec_lo
	v_cmpx_lt_u32_e64 v9, v14
	s_cbranch_execz .LBB428_192
; %bb.191:
	v_mul_hi_i32 v39, 0x66666667, v8
	v_mul_hi_i32 v40, 0x66666667, v19
	v_lshrrev_b32_e32 v41, 31, v39
	v_ashrrev_i32_e32 v39, 2, v39
	v_lshrrev_b32_e32 v42, 31, v40
	v_ashrrev_i32_e32 v40, 2, v40
	v_add_nc_u32_e32 v39, v39, v41
	v_add_nc_u32_e32 v40, v40, v42
	v_cmp_ge_i32_e32 vcc_lo, v39, v40
	s_and_b32 s18, vcc_lo, exec_lo
.LBB428_192:
	s_or_b32 exec_lo, exec_lo, s14
	s_orn2_b32 s14, s18, exec_lo
.LBB428_193:
	s_or_b32 exec_lo, exec_lo, s17
	v_cndmask_b32_e64 v39, v11, v9, s14
	v_cndmask_b32_e64 v40, v15, v14, s14
	s_mov_b32 s17, -1
	s_mov_b32 s18, -1
	s_mov_b32 s19, exec_lo
	v_add_nc_u32_e32 v39, 1, v39
	v_add_nc_u32_e32 v40, -1, v40
	v_cndmask_b32_e64 v11, v39, v11, s14
	v_min_u32_e32 v40, v39, v40
	v_lshlrev_b32_e32 v40, 2, v40
	ds_read_b32 v41, v40
	v_cndmask_b32_e64 v40, v9, v39, s14
	s_waitcnt lgkmcnt(0)
	v_cndmask_b32_e64 v9, v41, v8, s14
	v_cndmask_b32_e64 v39, v19, v41, s14
	v_cmpx_lt_u32_e64 v11, v15
	s_cbranch_execz .LBB428_197
; %bb.194:
	s_mov_b32 s20, 0
	s_mov_b32 s18, exec_lo
	v_cmpx_lt_u32_e64 v40, v14
	s_cbranch_execz .LBB428_196
; %bb.195:
	v_mul_hi_i32 v41, 0x66666667, v9
	v_mul_hi_i32 v42, 0x66666667, v39
	v_lshrrev_b32_e32 v43, 31, v41
	v_ashrrev_i32_e32 v41, 2, v41
	v_lshrrev_b32_e32 v44, 31, v42
	v_ashrrev_i32_e32 v42, 2, v42
	v_add_nc_u32_e32 v41, v41, v43
	v_add_nc_u32_e32 v42, v42, v44
	v_cmp_ge_i32_e32 vcc_lo, v41, v42
	s_and_b32 s20, vcc_lo, exec_lo
.LBB428_196:
	s_or_b32 exec_lo, exec_lo, s18
	s_orn2_b32 s18, s20, exec_lo
.LBB428_197:
	s_or_b32 exec_lo, exec_lo, s19
	v_cndmask_b32_e64 v41, v11, v40, s18
	v_cndmask_b32_e64 v42, v15, v14, s18
	s_mov_b32 s19, exec_lo
	v_add_nc_u32_e32 v41, 1, v41
	v_add_nc_u32_e32 v42, -1, v42
	v_cndmask_b32_e64 v11, v41, v11, s18
	v_min_u32_e32 v42, v41, v42
	v_lshlrev_b32_e32 v42, 2, v42
	ds_read_b32 v43, v42
	v_cndmask_b32_e64 v42, v40, v41, s18
	s_waitcnt lgkmcnt(0)
	v_cndmask_b32_e64 v40, v43, v9, s18
	v_cndmask_b32_e64 v41, v39, v43, s18
	v_cmpx_lt_u32_e64 v11, v15
	s_cbranch_execz .LBB428_201
; %bb.198:
	s_mov_b32 s20, 0
	s_mov_b32 s17, exec_lo
	v_cmpx_lt_u32_e64 v42, v14
	s_cbranch_execz .LBB428_200
; %bb.199:
	v_mul_hi_i32 v43, 0x66666667, v40
	v_mul_hi_i32 v44, 0x66666667, v41
	v_lshrrev_b32_e32 v45, 31, v43
	v_ashrrev_i32_e32 v43, 2, v43
	v_lshrrev_b32_e32 v46, 31, v44
	v_ashrrev_i32_e32 v44, 2, v44
	v_add_nc_u32_e32 v43, v43, v45
	v_add_nc_u32_e32 v44, v44, v46
	v_cmp_ge_i32_e32 vcc_lo, v43, v44
	s_and_b32 s20, vcc_lo, exec_lo
.LBB428_200:
	s_or_b32 exec_lo, exec_lo, s17
	s_orn2_b32 s17, s20, exec_lo
.LBB428_201:
	s_or_b32 exec_lo, exec_lo, s19
	v_cndmask_b32_e64 v43, v11, v42, s17
	v_cndmask_b32_e64 v44, v15, v14, s17
	s_mov_b32 s19, exec_lo
	v_add_nc_u32_e32 v43, 1, v43
	v_add_nc_u32_e32 v44, -1, v44
	v_cndmask_b32_e64 v45, v43, v11, s17
	v_min_u32_e32 v44, v43, v44
	v_lshlrev_b32_e32 v44, 2, v44
	ds_read_b32 v44, v44
	s_waitcnt lgkmcnt(0)
	v_cndmask_b32_e64 v11, v41, v44, s17
	v_cmpx_lt_u32_e64 v45, v15
	s_cbranch_execz .LBB428_205
; %bb.202:
	v_cndmask_b32_e64 v42, v42, v43, s17
	v_cndmask_b32_e64 v15, v44, v40, s17
	s_mov_b32 s20, exec_lo
	v_cmpx_lt_u32_e64 v42, v14
	s_cbranch_execz .LBB428_204
; %bb.203:
	v_mul_hi_i32 v14, 0x66666667, v15
	v_mul_hi_i32 v42, 0x66666667, v11
	v_lshrrev_b32_e32 v43, 31, v14
	v_ashrrev_i32_e32 v14, 2, v14
	v_lshrrev_b32_e32 v44, 31, v42
	v_ashrrev_i32_e32 v42, 2, v42
	v_add_nc_u32_e32 v14, v14, v43
	v_add_nc_u32_e32 v42, v42, v44
	v_cmp_lt_i32_e32 vcc_lo, v14, v42
	v_cndmask_b32_e32 v15, v11, v15, vcc_lo
.LBB428_204:
	s_or_b32 exec_lo, exec_lo, s20
	v_mov_b32_e32 v11, v15
.LBB428_205:
	s_or_b32 exec_lo, exec_lo, s19
	v_cndmask_b32_e64 v9, v9, v39, s18
	v_cndmask_b32_e64 v8, v8, v19, s14
	;; [unrolled: 1-line block ×7, first 2 shown]
.LBB428_206:
	s_or_b32 exec_lo, exec_lo, s1
	v_and_b32_e32 v18, 0x600, v12
	v_and_b32_e32 v19, 0x1f8, v12
	s_mov_b32 s0, exec_lo
	s_barrier
	v_or_b32_e32 v14, 0x100, v18
	v_add_nc_u32_e32 v15, 0x200, v18
	buffer_gl0_inv
	ds_write_b128 v13, v[4:7]
	ds_write_b128 v13, v[8:11] offset:16
	v_sub_nc_u32_e32 v17, v14, v18
	v_sub_nc_u32_e32 v16, v15, v14
	s_waitcnt lgkmcnt(0)
	s_barrier
	buffer_gl0_inv
	v_min_u32_e32 v39, v19, v17
	v_sub_nc_u32_e64 v16, v19, v16 clamp
	v_lshlrev_b32_e32 v17, 2, v18
	v_cmpx_lt_u32_e64 v16, v39
	s_cbranch_execz .LBB428_210
; %bb.207:
	v_lshlrev_b32_e32 v40, 2, v19
	s_mov_b32 s1, 0
	v_lshl_add_u32 v40, v14, 2, v40
	.p2align	6
.LBB428_208:                            ; =>This Inner Loop Header: Depth=1
	v_add_nc_u32_e32 v41, v39, v16
	v_lshrrev_b32_e32 v41, 1, v41
	v_not_b32_e32 v42, v41
	v_lshl_add_u32 v43, v41, 2, v17
	v_lshl_add_u32 v42, v42, 2, v40
	ds_read_b32 v43, v43
	ds_read_b32 v42, v42
	s_waitcnt lgkmcnt(1)
	v_mul_hi_i32 v43, 0x66666667, v43
	s_waitcnt lgkmcnt(0)
	v_mul_hi_i32 v42, 0x66666667, v42
	v_lshrrev_b32_e32 v44, 31, v43
	v_ashrrev_i32_e32 v43, 2, v43
	v_lshrrev_b32_e32 v45, 31, v42
	v_ashrrev_i32_e32 v42, 2, v42
	v_add_nc_u32_e32 v43, v43, v44
	v_add_nc_u32_e32 v44, 1, v41
	;; [unrolled: 1-line block ×3, first 2 shown]
	v_cmp_lt_i32_e32 vcc_lo, v42, v43
	v_cndmask_b32_e32 v39, v39, v41, vcc_lo
	v_cndmask_b32_e32 v16, v44, v16, vcc_lo
	v_cmp_ge_u32_e32 vcc_lo, v16, v39
	s_or_b32 s1, vcc_lo, s1
	s_andn2_b32 exec_lo, exec_lo, s1
	s_cbranch_execnz .LBB428_208
; %bb.209:
	s_or_b32 exec_lo, exec_lo, s1
.LBB428_210:
	s_or_b32 exec_lo, exec_lo, s0
	v_sub_nc_u32_e32 v19, v19, v16
	v_add_nc_u32_e32 v18, v16, v18
	v_add_nc_u32_e32 v19, v19, v14
	v_cmp_le_u32_e32 vcc_lo, v18, v14
	v_cmp_le_u32_e64 s0, v19, v15
	s_or_b32 s0, vcc_lo, s0
	s_and_saveexec_b32 s1, s0
	s_cbranch_execz .LBB428_246
; %bb.211:
	s_mov_b32 s4, exec_lo
	v_cmp_ge_u32_e32 vcc_lo, v18, v14
                                        ; implicit-def: $vgpr4
	v_cmpx_lt_u32_e64 v18, v14
; %bb.212:
	v_lshl_add_u32 v4, v16, 2, v17
	ds_read_b32 v4, v4
; %bb.213:
	s_or_b32 exec_lo, exec_lo, s4
	v_cmp_ge_u32_e64 s4, v19, v15
	s_mov_b32 s5, exec_lo
                                        ; implicit-def: $vgpr10
	v_cmpx_lt_u32_e64 v19, v15
; %bb.214:
	v_lshlrev_b32_e32 v5, 2, v19
	ds_read_b32 v10, v5
; %bb.215:
	s_or_b32 exec_lo, exec_lo, s5
	s_nor_b32 s5, vcc_lo, s4
	s_and_saveexec_b32 s0, s5
	s_cbranch_execz .LBB428_217
; %bb.216:
	s_waitcnt lgkmcnt(0)
	v_mul_hi_i32 v5, 0x66666667, v10
	v_mul_hi_i32 v6, 0x66666667, v4
	s_andn2_b32 s4, s4, exec_lo
	v_lshrrev_b32_e32 v7, 31, v5
	v_ashrrev_i32_e32 v5, 2, v5
	v_lshrrev_b32_e32 v8, 31, v6
	v_ashrrev_i32_e32 v6, 2, v6
	v_add_nc_u32_e32 v5, v5, v7
	v_add_nc_u32_e32 v6, v6, v8
	v_cmp_ge_i32_e32 vcc_lo, v5, v6
	s_and_b32 s5, vcc_lo, exec_lo
	s_or_b32 s4, s4, s5
.LBB428_217:
	s_or_b32 exec_lo, exec_lo, s0
	v_cndmask_b32_e64 v5, v19, v18, s4
	v_cndmask_b32_e64 v6, v15, v14, s4
	s_mov_b32 s5, -1
	s_mov_b32 s0, -1
	s_mov_b32 s13, exec_lo
	v_add_nc_u32_e32 v5, 1, v5
	v_add_nc_u32_e32 v6, -1, v6
	v_cndmask_b32_e64 v7, v18, v5, s4
	v_min_u32_e32 v6, v5, v6
	v_lshlrev_b32_e32 v6, 2, v6
	ds_read_b32 v8, v6
	v_cndmask_b32_e64 v6, v5, v19, s4
	s_waitcnt lgkmcnt(0)
	v_cndmask_b32_e64 v5, v8, v10, s4
	v_cndmask_b32_e64 v16, v4, v8, s4
	v_cmpx_lt_u32_e64 v6, v15
	s_cbranch_execz .LBB428_221
; %bb.218:
	s_mov_b32 s14, 0
	s_mov_b32 s0, exec_lo
	v_cmpx_lt_u32_e64 v7, v14
	s_cbranch_execz .LBB428_220
; %bb.219:
	v_mul_hi_i32 v8, 0x66666667, v5
	v_mul_hi_i32 v9, 0x66666667, v16
	v_lshrrev_b32_e32 v11, 31, v8
	v_ashrrev_i32_e32 v8, 2, v8
	v_lshrrev_b32_e32 v17, 31, v9
	v_ashrrev_i32_e32 v9, 2, v9
	v_add_nc_u32_e32 v8, v8, v11
	v_add_nc_u32_e32 v9, v9, v17
	v_cmp_ge_i32_e32 vcc_lo, v8, v9
	s_and_b32 s14, vcc_lo, exec_lo
.LBB428_220:
	s_or_b32 exec_lo, exec_lo, s0
	s_orn2_b32 s0, s14, exec_lo
.LBB428_221:
	s_or_b32 exec_lo, exec_lo, s13
	v_cndmask_b32_e64 v8, v6, v7, s0
	v_cndmask_b32_e64 v9, v15, v14, s0
	s_mov_b32 s13, exec_lo
	v_add_nc_u32_e32 v11, 1, v8
	v_add_nc_u32_e32 v8, -1, v9
	v_cndmask_b32_e64 v7, v7, v11, s0
	v_min_u32_e32 v8, v11, v8
	v_lshlrev_b32_e32 v8, 2, v8
	ds_read_b32 v9, v8
	v_cndmask_b32_e64 v8, v11, v6, s0
	s_waitcnt lgkmcnt(0)
	v_cndmask_b32_e64 v6, v9, v5, s0
	v_cndmask_b32_e64 v17, v16, v9, s0
	v_cmpx_lt_u32_e64 v8, v15
	s_cbranch_execz .LBB428_225
; %bb.222:
	s_mov_b32 s14, 0
	s_mov_b32 s5, exec_lo
	v_cmpx_lt_u32_e64 v7, v14
	s_cbranch_execz .LBB428_224
; %bb.223:
	v_mul_hi_i32 v9, 0x66666667, v6
	v_mul_hi_i32 v11, 0x66666667, v17
	v_lshrrev_b32_e32 v18, 31, v9
	v_ashrrev_i32_e32 v9, 2, v9
	v_lshrrev_b32_e32 v19, 31, v11
	v_ashrrev_i32_e32 v11, 2, v11
	v_add_nc_u32_e32 v9, v9, v18
	v_add_nc_u32_e32 v11, v11, v19
	v_cmp_ge_i32_e32 vcc_lo, v9, v11
	s_and_b32 s14, vcc_lo, exec_lo
.LBB428_224:
	s_or_b32 exec_lo, exec_lo, s5
	s_orn2_b32 s5, s14, exec_lo
.LBB428_225:
	s_or_b32 exec_lo, exec_lo, s13
	v_cndmask_b32_e64 v9, v8, v7, s5
	v_cndmask_b32_e64 v11, v15, v14, s5
	s_mov_b32 s14, -1
	s_mov_b32 s13, -1
	s_mov_b32 s17, exec_lo
	v_add_nc_u32_e32 v9, 1, v9
	v_add_nc_u32_e32 v11, -1, v11
	v_cndmask_b32_e64 v8, v9, v8, s5
	v_min_u32_e32 v11, v9, v11
	v_cndmask_b32_e64 v9, v7, v9, s5
	v_lshlrev_b32_e32 v11, 2, v11
	ds_read_b32 v11, v11
	s_waitcnt lgkmcnt(0)
	v_cndmask_b32_e64 v7, v11, v6, s5
	v_cndmask_b32_e64 v18, v17, v11, s5
	v_cmpx_lt_u32_e64 v8, v15
	s_cbranch_execz .LBB428_229
; %bb.226:
	s_mov_b32 s18, 0
	s_mov_b32 s13, exec_lo
	v_cmpx_lt_u32_e64 v9, v14
	s_cbranch_execz .LBB428_228
; %bb.227:
	v_mul_hi_i32 v11, 0x66666667, v7
	v_mul_hi_i32 v19, 0x66666667, v18
	v_lshrrev_b32_e32 v39, 31, v11
	v_ashrrev_i32_e32 v11, 2, v11
	v_lshrrev_b32_e32 v40, 31, v19
	v_ashrrev_i32_e32 v19, 2, v19
	v_add_nc_u32_e32 v11, v11, v39
	v_add_nc_u32_e32 v19, v19, v40
	v_cmp_ge_i32_e32 vcc_lo, v11, v19
	s_and_b32 s18, vcc_lo, exec_lo
.LBB428_228:
	s_or_b32 exec_lo, exec_lo, s13
	s_orn2_b32 s13, s18, exec_lo
.LBB428_229:
	s_or_b32 exec_lo, exec_lo, s17
	v_cndmask_b32_e64 v11, v8, v9, s13
	v_cndmask_b32_e64 v19, v15, v14, s13
	s_mov_b32 s17, exec_lo
	v_add_nc_u32_e32 v39, 1, v11
	v_add_nc_u32_e32 v11, -1, v19
	v_cndmask_b32_e64 v9, v9, v39, s13
	v_min_u32_e32 v11, v39, v11
	v_lshlrev_b32_e32 v11, 2, v11
	ds_read_b32 v19, v11
	v_cndmask_b32_e64 v11, v39, v8, s13
	s_waitcnt lgkmcnt(0)
	v_cndmask_b32_e64 v8, v19, v7, s13
	v_cndmask_b32_e64 v19, v18, v19, s13
	v_cmpx_lt_u32_e64 v11, v15
	s_cbranch_execz .LBB428_233
; %bb.230:
	s_mov_b32 s18, 0
	s_mov_b32 s14, exec_lo
	v_cmpx_lt_u32_e64 v9, v14
	s_cbranch_execz .LBB428_232
; %bb.231:
	v_mul_hi_i32 v39, 0x66666667, v8
	v_mul_hi_i32 v40, 0x66666667, v19
	v_lshrrev_b32_e32 v41, 31, v39
	v_ashrrev_i32_e32 v39, 2, v39
	v_lshrrev_b32_e32 v42, 31, v40
	v_ashrrev_i32_e32 v40, 2, v40
	v_add_nc_u32_e32 v39, v39, v41
	v_add_nc_u32_e32 v40, v40, v42
	v_cmp_ge_i32_e32 vcc_lo, v39, v40
	s_and_b32 s18, vcc_lo, exec_lo
.LBB428_232:
	s_or_b32 exec_lo, exec_lo, s14
	s_orn2_b32 s14, s18, exec_lo
.LBB428_233:
	s_or_b32 exec_lo, exec_lo, s17
	v_cndmask_b32_e64 v39, v11, v9, s14
	v_cndmask_b32_e64 v40, v15, v14, s14
	s_mov_b32 s17, -1
	s_mov_b32 s18, -1
	s_mov_b32 s19, exec_lo
	v_add_nc_u32_e32 v39, 1, v39
	v_add_nc_u32_e32 v40, -1, v40
	v_cndmask_b32_e64 v11, v39, v11, s14
	v_min_u32_e32 v40, v39, v40
	v_lshlrev_b32_e32 v40, 2, v40
	ds_read_b32 v41, v40
	v_cndmask_b32_e64 v40, v9, v39, s14
	s_waitcnt lgkmcnt(0)
	v_cndmask_b32_e64 v9, v41, v8, s14
	v_cndmask_b32_e64 v39, v19, v41, s14
	v_cmpx_lt_u32_e64 v11, v15
	s_cbranch_execz .LBB428_237
; %bb.234:
	s_mov_b32 s20, 0
	s_mov_b32 s18, exec_lo
	v_cmpx_lt_u32_e64 v40, v14
	s_cbranch_execz .LBB428_236
; %bb.235:
	v_mul_hi_i32 v41, 0x66666667, v9
	v_mul_hi_i32 v42, 0x66666667, v39
	v_lshrrev_b32_e32 v43, 31, v41
	v_ashrrev_i32_e32 v41, 2, v41
	v_lshrrev_b32_e32 v44, 31, v42
	v_ashrrev_i32_e32 v42, 2, v42
	v_add_nc_u32_e32 v41, v41, v43
	v_add_nc_u32_e32 v42, v42, v44
	v_cmp_ge_i32_e32 vcc_lo, v41, v42
	s_and_b32 s20, vcc_lo, exec_lo
.LBB428_236:
	s_or_b32 exec_lo, exec_lo, s18
	s_orn2_b32 s18, s20, exec_lo
.LBB428_237:
	s_or_b32 exec_lo, exec_lo, s19
	v_cndmask_b32_e64 v41, v11, v40, s18
	v_cndmask_b32_e64 v42, v15, v14, s18
	s_mov_b32 s19, exec_lo
	v_add_nc_u32_e32 v41, 1, v41
	v_add_nc_u32_e32 v42, -1, v42
	v_cndmask_b32_e64 v11, v41, v11, s18
	v_min_u32_e32 v42, v41, v42
	v_lshlrev_b32_e32 v42, 2, v42
	ds_read_b32 v43, v42
	v_cndmask_b32_e64 v42, v40, v41, s18
	s_waitcnt lgkmcnt(0)
	v_cndmask_b32_e64 v40, v43, v9, s18
	v_cndmask_b32_e64 v41, v39, v43, s18
	v_cmpx_lt_u32_e64 v11, v15
	s_cbranch_execz .LBB428_241
; %bb.238:
	s_mov_b32 s20, 0
	s_mov_b32 s17, exec_lo
	v_cmpx_lt_u32_e64 v42, v14
	s_cbranch_execz .LBB428_240
; %bb.239:
	v_mul_hi_i32 v43, 0x66666667, v40
	v_mul_hi_i32 v44, 0x66666667, v41
	v_lshrrev_b32_e32 v45, 31, v43
	v_ashrrev_i32_e32 v43, 2, v43
	v_lshrrev_b32_e32 v46, 31, v44
	v_ashrrev_i32_e32 v44, 2, v44
	v_add_nc_u32_e32 v43, v43, v45
	v_add_nc_u32_e32 v44, v44, v46
	v_cmp_ge_i32_e32 vcc_lo, v43, v44
	s_and_b32 s20, vcc_lo, exec_lo
.LBB428_240:
	s_or_b32 exec_lo, exec_lo, s17
	s_orn2_b32 s17, s20, exec_lo
.LBB428_241:
	s_or_b32 exec_lo, exec_lo, s19
	v_cndmask_b32_e64 v43, v11, v42, s17
	v_cndmask_b32_e64 v44, v15, v14, s17
	s_mov_b32 s19, exec_lo
	v_add_nc_u32_e32 v43, 1, v43
	v_add_nc_u32_e32 v44, -1, v44
	v_cndmask_b32_e64 v45, v43, v11, s17
	v_min_u32_e32 v44, v43, v44
	v_lshlrev_b32_e32 v44, 2, v44
	ds_read_b32 v44, v44
	s_waitcnt lgkmcnt(0)
	v_cndmask_b32_e64 v11, v41, v44, s17
	v_cmpx_lt_u32_e64 v45, v15
	s_cbranch_execz .LBB428_245
; %bb.242:
	v_cndmask_b32_e64 v42, v42, v43, s17
	v_cndmask_b32_e64 v15, v44, v40, s17
	s_mov_b32 s20, exec_lo
	v_cmpx_lt_u32_e64 v42, v14
	s_cbranch_execz .LBB428_244
; %bb.243:
	v_mul_hi_i32 v14, 0x66666667, v15
	v_mul_hi_i32 v42, 0x66666667, v11
	v_lshrrev_b32_e32 v43, 31, v14
	v_ashrrev_i32_e32 v14, 2, v14
	v_lshrrev_b32_e32 v44, 31, v42
	v_ashrrev_i32_e32 v42, 2, v42
	v_add_nc_u32_e32 v14, v14, v43
	v_add_nc_u32_e32 v42, v42, v44
	v_cmp_lt_i32_e32 vcc_lo, v14, v42
	v_cndmask_b32_e32 v15, v11, v15, vcc_lo
.LBB428_244:
	s_or_b32 exec_lo, exec_lo, s20
	v_mov_b32_e32 v11, v15
.LBB428_245:
	s_or_b32 exec_lo, exec_lo, s19
	v_cndmask_b32_e64 v9, v9, v39, s18
	v_cndmask_b32_e64 v8, v8, v19, s14
	;; [unrolled: 1-line block ×7, first 2 shown]
.LBB428_246:
	s_or_b32 exec_lo, exec_lo, s1
	v_and_b32_e32 v18, 0x400, v12
	v_and_b32_e32 v19, 0x3f8, v12
	s_mov_b32 s0, exec_lo
	s_barrier
	v_or_b32_e32 v14, 0x200, v18
	v_add_nc_u32_e32 v15, 0x400, v18
	buffer_gl0_inv
	ds_write_b128 v13, v[4:7]
	ds_write_b128 v13, v[8:11] offset:16
	v_sub_nc_u32_e32 v17, v14, v18
	v_sub_nc_u32_e32 v16, v15, v14
	s_waitcnt lgkmcnt(0)
	s_barrier
	buffer_gl0_inv
	v_min_u32_e32 v39, v19, v17
	v_sub_nc_u32_e64 v16, v19, v16 clamp
	v_lshlrev_b32_e32 v17, 2, v18
	v_cmpx_lt_u32_e64 v16, v39
	s_cbranch_execz .LBB428_250
; %bb.247:
	v_lshlrev_b32_e32 v40, 2, v19
	s_mov_b32 s1, 0
	v_lshl_add_u32 v40, v14, 2, v40
	.p2align	6
.LBB428_248:                            ; =>This Inner Loop Header: Depth=1
	v_add_nc_u32_e32 v41, v39, v16
	v_lshrrev_b32_e32 v41, 1, v41
	v_not_b32_e32 v42, v41
	v_lshl_add_u32 v43, v41, 2, v17
	v_lshl_add_u32 v42, v42, 2, v40
	ds_read_b32 v43, v43
	ds_read_b32 v42, v42
	s_waitcnt lgkmcnt(1)
	v_mul_hi_i32 v43, 0x66666667, v43
	s_waitcnt lgkmcnt(0)
	v_mul_hi_i32 v42, 0x66666667, v42
	v_lshrrev_b32_e32 v44, 31, v43
	v_ashrrev_i32_e32 v43, 2, v43
	v_lshrrev_b32_e32 v45, 31, v42
	v_ashrrev_i32_e32 v42, 2, v42
	v_add_nc_u32_e32 v43, v43, v44
	v_add_nc_u32_e32 v44, 1, v41
	;; [unrolled: 1-line block ×3, first 2 shown]
	v_cmp_lt_i32_e32 vcc_lo, v42, v43
	v_cndmask_b32_e32 v39, v39, v41, vcc_lo
	v_cndmask_b32_e32 v16, v44, v16, vcc_lo
	v_cmp_ge_u32_e32 vcc_lo, v16, v39
	s_or_b32 s1, vcc_lo, s1
	s_andn2_b32 exec_lo, exec_lo, s1
	s_cbranch_execnz .LBB428_248
; %bb.249:
	s_or_b32 exec_lo, exec_lo, s1
.LBB428_250:
	s_or_b32 exec_lo, exec_lo, s0
	v_sub_nc_u32_e32 v19, v19, v16
	v_add_nc_u32_e32 v18, v16, v18
	v_add_nc_u32_e32 v19, v19, v14
	v_cmp_le_u32_e32 vcc_lo, v18, v14
	v_cmp_le_u32_e64 s0, v19, v15
	s_or_b32 s0, vcc_lo, s0
	s_and_saveexec_b32 s1, s0
	s_cbranch_execz .LBB428_286
; %bb.251:
	s_mov_b32 s4, exec_lo
	v_cmp_ge_u32_e32 vcc_lo, v18, v14
                                        ; implicit-def: $vgpr4
	v_cmpx_lt_u32_e64 v18, v14
; %bb.252:
	v_lshl_add_u32 v4, v16, 2, v17
	ds_read_b32 v4, v4
; %bb.253:
	s_or_b32 exec_lo, exec_lo, s4
	v_cmp_ge_u32_e64 s4, v19, v15
	s_mov_b32 s5, exec_lo
                                        ; implicit-def: $vgpr10
	v_cmpx_lt_u32_e64 v19, v15
; %bb.254:
	v_lshlrev_b32_e32 v5, 2, v19
	ds_read_b32 v10, v5
; %bb.255:
	s_or_b32 exec_lo, exec_lo, s5
	s_nor_b32 s5, vcc_lo, s4
	s_and_saveexec_b32 s0, s5
	s_cbranch_execz .LBB428_257
; %bb.256:
	s_waitcnt lgkmcnt(0)
	v_mul_hi_i32 v5, 0x66666667, v10
	v_mul_hi_i32 v6, 0x66666667, v4
	s_andn2_b32 s4, s4, exec_lo
	v_lshrrev_b32_e32 v7, 31, v5
	v_ashrrev_i32_e32 v5, 2, v5
	v_lshrrev_b32_e32 v8, 31, v6
	v_ashrrev_i32_e32 v6, 2, v6
	v_add_nc_u32_e32 v5, v5, v7
	v_add_nc_u32_e32 v6, v6, v8
	v_cmp_ge_i32_e32 vcc_lo, v5, v6
	s_and_b32 s5, vcc_lo, exec_lo
	s_or_b32 s4, s4, s5
.LBB428_257:
	s_or_b32 exec_lo, exec_lo, s0
	v_cndmask_b32_e64 v5, v19, v18, s4
	v_cndmask_b32_e64 v6, v15, v14, s4
	s_mov_b32 s5, -1
	s_mov_b32 s0, -1
	s_mov_b32 s13, exec_lo
	v_add_nc_u32_e32 v5, 1, v5
	v_add_nc_u32_e32 v6, -1, v6
	v_cndmask_b32_e64 v7, v18, v5, s4
	v_min_u32_e32 v6, v5, v6
	v_lshlrev_b32_e32 v6, 2, v6
	ds_read_b32 v8, v6
	v_cndmask_b32_e64 v6, v5, v19, s4
	s_waitcnt lgkmcnt(0)
	v_cndmask_b32_e64 v5, v8, v10, s4
	v_cndmask_b32_e64 v16, v4, v8, s4
	v_cmpx_lt_u32_e64 v6, v15
	s_cbranch_execz .LBB428_261
; %bb.258:
	s_mov_b32 s14, 0
	s_mov_b32 s0, exec_lo
	v_cmpx_lt_u32_e64 v7, v14
	s_cbranch_execz .LBB428_260
; %bb.259:
	v_mul_hi_i32 v8, 0x66666667, v5
	v_mul_hi_i32 v9, 0x66666667, v16
	v_lshrrev_b32_e32 v11, 31, v8
	v_ashrrev_i32_e32 v8, 2, v8
	v_lshrrev_b32_e32 v17, 31, v9
	v_ashrrev_i32_e32 v9, 2, v9
	v_add_nc_u32_e32 v8, v8, v11
	v_add_nc_u32_e32 v9, v9, v17
	v_cmp_ge_i32_e32 vcc_lo, v8, v9
	s_and_b32 s14, vcc_lo, exec_lo
.LBB428_260:
	s_or_b32 exec_lo, exec_lo, s0
	s_orn2_b32 s0, s14, exec_lo
.LBB428_261:
	s_or_b32 exec_lo, exec_lo, s13
	v_cndmask_b32_e64 v8, v6, v7, s0
	v_cndmask_b32_e64 v9, v15, v14, s0
	s_mov_b32 s13, exec_lo
	v_add_nc_u32_e32 v11, 1, v8
	v_add_nc_u32_e32 v8, -1, v9
	v_cndmask_b32_e64 v7, v7, v11, s0
	v_min_u32_e32 v8, v11, v8
	v_lshlrev_b32_e32 v8, 2, v8
	ds_read_b32 v9, v8
	v_cndmask_b32_e64 v8, v11, v6, s0
	s_waitcnt lgkmcnt(0)
	v_cndmask_b32_e64 v6, v9, v5, s0
	v_cndmask_b32_e64 v17, v16, v9, s0
	v_cmpx_lt_u32_e64 v8, v15
	s_cbranch_execz .LBB428_265
; %bb.262:
	s_mov_b32 s14, 0
	s_mov_b32 s5, exec_lo
	v_cmpx_lt_u32_e64 v7, v14
	s_cbranch_execz .LBB428_264
; %bb.263:
	v_mul_hi_i32 v9, 0x66666667, v6
	v_mul_hi_i32 v11, 0x66666667, v17
	v_lshrrev_b32_e32 v18, 31, v9
	v_ashrrev_i32_e32 v9, 2, v9
	v_lshrrev_b32_e32 v19, 31, v11
	v_ashrrev_i32_e32 v11, 2, v11
	v_add_nc_u32_e32 v9, v9, v18
	v_add_nc_u32_e32 v11, v11, v19
	v_cmp_ge_i32_e32 vcc_lo, v9, v11
	s_and_b32 s14, vcc_lo, exec_lo
.LBB428_264:
	s_or_b32 exec_lo, exec_lo, s5
	s_orn2_b32 s5, s14, exec_lo
.LBB428_265:
	s_or_b32 exec_lo, exec_lo, s13
	v_cndmask_b32_e64 v9, v8, v7, s5
	v_cndmask_b32_e64 v11, v15, v14, s5
	s_mov_b32 s14, -1
	s_mov_b32 s13, -1
	s_mov_b32 s17, exec_lo
	v_add_nc_u32_e32 v9, 1, v9
	v_add_nc_u32_e32 v11, -1, v11
	v_cndmask_b32_e64 v8, v9, v8, s5
	v_min_u32_e32 v11, v9, v11
	v_cndmask_b32_e64 v9, v7, v9, s5
	v_lshlrev_b32_e32 v11, 2, v11
	ds_read_b32 v11, v11
	s_waitcnt lgkmcnt(0)
	v_cndmask_b32_e64 v7, v11, v6, s5
	v_cndmask_b32_e64 v18, v17, v11, s5
	v_cmpx_lt_u32_e64 v8, v15
	s_cbranch_execz .LBB428_269
; %bb.266:
	s_mov_b32 s18, 0
	s_mov_b32 s13, exec_lo
	v_cmpx_lt_u32_e64 v9, v14
	s_cbranch_execz .LBB428_268
; %bb.267:
	v_mul_hi_i32 v11, 0x66666667, v7
	v_mul_hi_i32 v19, 0x66666667, v18
	v_lshrrev_b32_e32 v39, 31, v11
	v_ashrrev_i32_e32 v11, 2, v11
	v_lshrrev_b32_e32 v40, 31, v19
	v_ashrrev_i32_e32 v19, 2, v19
	v_add_nc_u32_e32 v11, v11, v39
	v_add_nc_u32_e32 v19, v19, v40
	v_cmp_ge_i32_e32 vcc_lo, v11, v19
	s_and_b32 s18, vcc_lo, exec_lo
.LBB428_268:
	s_or_b32 exec_lo, exec_lo, s13
	s_orn2_b32 s13, s18, exec_lo
.LBB428_269:
	s_or_b32 exec_lo, exec_lo, s17
	v_cndmask_b32_e64 v11, v8, v9, s13
	v_cndmask_b32_e64 v19, v15, v14, s13
	s_mov_b32 s17, exec_lo
	v_add_nc_u32_e32 v39, 1, v11
	v_add_nc_u32_e32 v11, -1, v19
	v_cndmask_b32_e64 v9, v9, v39, s13
	v_min_u32_e32 v11, v39, v11
	v_lshlrev_b32_e32 v11, 2, v11
	ds_read_b32 v19, v11
	v_cndmask_b32_e64 v11, v39, v8, s13
	s_waitcnt lgkmcnt(0)
	v_cndmask_b32_e64 v8, v19, v7, s13
	v_cndmask_b32_e64 v19, v18, v19, s13
	v_cmpx_lt_u32_e64 v11, v15
	s_cbranch_execz .LBB428_273
; %bb.270:
	s_mov_b32 s18, 0
	s_mov_b32 s14, exec_lo
	v_cmpx_lt_u32_e64 v9, v14
	s_cbranch_execz .LBB428_272
; %bb.271:
	v_mul_hi_i32 v39, 0x66666667, v8
	v_mul_hi_i32 v40, 0x66666667, v19
	v_lshrrev_b32_e32 v41, 31, v39
	v_ashrrev_i32_e32 v39, 2, v39
	v_lshrrev_b32_e32 v42, 31, v40
	v_ashrrev_i32_e32 v40, 2, v40
	v_add_nc_u32_e32 v39, v39, v41
	v_add_nc_u32_e32 v40, v40, v42
	v_cmp_ge_i32_e32 vcc_lo, v39, v40
	s_and_b32 s18, vcc_lo, exec_lo
.LBB428_272:
	s_or_b32 exec_lo, exec_lo, s14
	s_orn2_b32 s14, s18, exec_lo
.LBB428_273:
	s_or_b32 exec_lo, exec_lo, s17
	v_cndmask_b32_e64 v39, v11, v9, s14
	v_cndmask_b32_e64 v40, v15, v14, s14
	s_mov_b32 s17, -1
	s_mov_b32 s18, -1
	s_mov_b32 s19, exec_lo
	v_add_nc_u32_e32 v39, 1, v39
	v_add_nc_u32_e32 v40, -1, v40
	v_cndmask_b32_e64 v11, v39, v11, s14
	v_min_u32_e32 v40, v39, v40
	v_lshlrev_b32_e32 v40, 2, v40
	ds_read_b32 v41, v40
	v_cndmask_b32_e64 v40, v9, v39, s14
	s_waitcnt lgkmcnt(0)
	v_cndmask_b32_e64 v9, v41, v8, s14
	v_cndmask_b32_e64 v39, v19, v41, s14
	v_cmpx_lt_u32_e64 v11, v15
	s_cbranch_execz .LBB428_277
; %bb.274:
	s_mov_b32 s20, 0
	s_mov_b32 s18, exec_lo
	v_cmpx_lt_u32_e64 v40, v14
	s_cbranch_execz .LBB428_276
; %bb.275:
	v_mul_hi_i32 v41, 0x66666667, v9
	v_mul_hi_i32 v42, 0x66666667, v39
	v_lshrrev_b32_e32 v43, 31, v41
	v_ashrrev_i32_e32 v41, 2, v41
	v_lshrrev_b32_e32 v44, 31, v42
	v_ashrrev_i32_e32 v42, 2, v42
	v_add_nc_u32_e32 v41, v41, v43
	v_add_nc_u32_e32 v42, v42, v44
	v_cmp_ge_i32_e32 vcc_lo, v41, v42
	s_and_b32 s20, vcc_lo, exec_lo
.LBB428_276:
	s_or_b32 exec_lo, exec_lo, s18
	s_orn2_b32 s18, s20, exec_lo
.LBB428_277:
	s_or_b32 exec_lo, exec_lo, s19
	v_cndmask_b32_e64 v41, v11, v40, s18
	v_cndmask_b32_e64 v42, v15, v14, s18
	s_mov_b32 s19, exec_lo
	v_add_nc_u32_e32 v41, 1, v41
	v_add_nc_u32_e32 v42, -1, v42
	v_cndmask_b32_e64 v11, v41, v11, s18
	v_min_u32_e32 v42, v41, v42
	v_lshlrev_b32_e32 v42, 2, v42
	ds_read_b32 v43, v42
	v_cndmask_b32_e64 v42, v40, v41, s18
	s_waitcnt lgkmcnt(0)
	v_cndmask_b32_e64 v40, v43, v9, s18
	v_cndmask_b32_e64 v41, v39, v43, s18
	v_cmpx_lt_u32_e64 v11, v15
	s_cbranch_execz .LBB428_281
; %bb.278:
	s_mov_b32 s20, 0
	s_mov_b32 s17, exec_lo
	v_cmpx_lt_u32_e64 v42, v14
	s_cbranch_execz .LBB428_280
; %bb.279:
	v_mul_hi_i32 v43, 0x66666667, v40
	v_mul_hi_i32 v44, 0x66666667, v41
	v_lshrrev_b32_e32 v45, 31, v43
	v_ashrrev_i32_e32 v43, 2, v43
	v_lshrrev_b32_e32 v46, 31, v44
	v_ashrrev_i32_e32 v44, 2, v44
	v_add_nc_u32_e32 v43, v43, v45
	v_add_nc_u32_e32 v44, v44, v46
	v_cmp_ge_i32_e32 vcc_lo, v43, v44
	s_and_b32 s20, vcc_lo, exec_lo
.LBB428_280:
	s_or_b32 exec_lo, exec_lo, s17
	s_orn2_b32 s17, s20, exec_lo
.LBB428_281:
	s_or_b32 exec_lo, exec_lo, s19
	v_cndmask_b32_e64 v43, v11, v42, s17
	v_cndmask_b32_e64 v44, v15, v14, s17
	s_mov_b32 s19, exec_lo
	v_add_nc_u32_e32 v43, 1, v43
	v_add_nc_u32_e32 v44, -1, v44
	v_cndmask_b32_e64 v45, v43, v11, s17
	v_min_u32_e32 v44, v43, v44
	v_lshlrev_b32_e32 v44, 2, v44
	ds_read_b32 v44, v44
	s_waitcnt lgkmcnt(0)
	v_cndmask_b32_e64 v11, v41, v44, s17
	v_cmpx_lt_u32_e64 v45, v15
	s_cbranch_execz .LBB428_285
; %bb.282:
	v_cndmask_b32_e64 v42, v42, v43, s17
	v_cndmask_b32_e64 v15, v44, v40, s17
	s_mov_b32 s20, exec_lo
	v_cmpx_lt_u32_e64 v42, v14
	s_cbranch_execz .LBB428_284
; %bb.283:
	v_mul_hi_i32 v14, 0x66666667, v15
	v_mul_hi_i32 v42, 0x66666667, v11
	v_lshrrev_b32_e32 v43, 31, v14
	v_ashrrev_i32_e32 v14, 2, v14
	v_lshrrev_b32_e32 v44, 31, v42
	v_ashrrev_i32_e32 v42, 2, v42
	v_add_nc_u32_e32 v14, v14, v43
	v_add_nc_u32_e32 v42, v42, v44
	v_cmp_lt_i32_e32 vcc_lo, v14, v42
	v_cndmask_b32_e32 v15, v11, v15, vcc_lo
.LBB428_284:
	s_or_b32 exec_lo, exec_lo, s20
	v_mov_b32_e32 v11, v15
.LBB428_285:
	s_or_b32 exec_lo, exec_lo, s19
	v_cndmask_b32_e64 v9, v9, v39, s18
	v_cndmask_b32_e64 v8, v8, v19, s14
	;; [unrolled: 1-line block ×7, first 2 shown]
.LBB428_286:
	s_or_b32 exec_lo, exec_lo, s1
	v_and_b32_e32 v14, 0x7f8, v12
	s_mov_b32 s0, exec_lo
	s_barrier
	buffer_gl0_inv
	v_subrev_nc_u32_e64 v12, 0x400, v14 clamp
	v_min_u32_e32 v15, 0x400, v14
	ds_write_b128 v13, v[4:7]
	ds_write_b128 v13, v[8:11] offset:16
	s_waitcnt lgkmcnt(0)
	s_barrier
	buffer_gl0_inv
	v_cmpx_lt_u32_e64 v12, v15
	s_cbranch_execz .LBB428_290
; %bb.287:
	v_lshlrev_b32_e32 v13, 2, v14
	s_mov_b32 s1, 0
	v_lshl_add_u32 v13, 0x400, 2, v13
	.p2align	6
.LBB428_288:                            ; =>This Inner Loop Header: Depth=1
	v_add_nc_u32_e32 v16, v15, v12
	v_lshrrev_b32_e32 v16, 1, v16
	v_not_b32_e32 v17, v16
	v_lshlrev_b32_e32 v18, 2, v16
	v_lshl_add_u32 v17, v17, 2, v13
	ds_read_b32 v18, v18
	ds_read_b32 v17, v17
	s_waitcnt lgkmcnt(1)
	v_mul_hi_i32 v18, 0x66666667, v18
	s_waitcnt lgkmcnt(0)
	v_mul_hi_i32 v17, 0x66666667, v17
	v_lshrrev_b32_e32 v19, 31, v18
	v_ashrrev_i32_e32 v18, 2, v18
	v_lshrrev_b32_e32 v39, 31, v17
	v_ashrrev_i32_e32 v17, 2, v17
	v_add_nc_u32_e32 v18, v18, v19
	v_add_nc_u32_e32 v19, 1, v16
	;; [unrolled: 1-line block ×3, first 2 shown]
	v_cmp_lt_i32_e32 vcc_lo, v17, v18
	v_cndmask_b32_e32 v15, v15, v16, vcc_lo
	v_cndmask_b32_e32 v12, v19, v12, vcc_lo
	v_cmp_ge_u32_e32 vcc_lo, v12, v15
	s_or_b32 s1, vcc_lo, s1
	s_andn2_b32 exec_lo, exec_lo, s1
	s_cbranch_execnz .LBB428_288
; %bb.289:
	s_or_b32 exec_lo, exec_lo, s1
.LBB428_290:
	s_or_b32 exec_lo, exec_lo, s0
	v_sub_nc_u32_e32 v13, v14, v12
	v_cmp_ge_u32_e32 vcc_lo, 0x400, v12
	v_add_nc_u32_e32 v13, 0x400, v13
	v_cmp_gt_u32_e64 s0, 0x801, v13
	s_or_b32 s0, vcc_lo, s0
	s_and_saveexec_b32 s1, s0
	s_cbranch_execz .LBB428_326
; %bb.291:
	s_mov_b32 s4, exec_lo
	v_cmp_le_u32_e32 vcc_lo, 0x400, v12
                                        ; implicit-def: $vgpr4
	v_cmpx_gt_u32_e32 0x400, v12
; %bb.292:
	v_lshlrev_b32_e32 v4, 2, v12
	ds_read_b32 v4, v4
; %bb.293:
	s_or_b32 exec_lo, exec_lo, s4
	v_cmp_lt_u32_e64 s4, 0x7ff, v13
	s_mov_b32 s5, exec_lo
                                        ; implicit-def: $vgpr10
	v_cmpx_gt_u32_e32 0x800, v13
; %bb.294:
	v_lshlrev_b32_e32 v5, 2, v13
	ds_read_b32 v10, v5
; %bb.295:
	s_or_b32 exec_lo, exec_lo, s5
	s_nor_b32 s5, vcc_lo, s4
	s_and_saveexec_b32 s0, s5
	s_cbranch_execz .LBB428_297
; %bb.296:
	s_waitcnt lgkmcnt(0)
	v_mul_hi_i32 v5, 0x66666667, v10
	v_mul_hi_i32 v6, 0x66666667, v4
	s_andn2_b32 s4, s4, exec_lo
	v_lshrrev_b32_e32 v7, 31, v5
	v_ashrrev_i32_e32 v5, 2, v5
	v_lshrrev_b32_e32 v8, 31, v6
	v_ashrrev_i32_e32 v6, 2, v6
	v_add_nc_u32_e32 v5, v5, v7
	v_add_nc_u32_e32 v6, v6, v8
	v_cmp_ge_i32_e32 vcc_lo, v5, v6
	s_and_b32 s5, vcc_lo, exec_lo
	s_or_b32 s4, s4, s5
.LBB428_297:
	s_or_b32 exec_lo, exec_lo, s0
	v_cndmask_b32_e64 v5, v13, v12, s4
	v_add_nc_u32_e64 v6, 0x400, -1
	s_mov_b32 s5, -1
	s_mov_b32 s0, -1
	s_mov_b32 s13, exec_lo
	v_add_nc_u32_e32 v5, 1, v5
	v_cndmask_b32_e64 v7, 0x7ff, v6, s4
	v_cndmask_b32_e64 v8, v12, v5, s4
	v_min_u32_e32 v7, v5, v7
	v_lshlrev_b32_e32 v7, 2, v7
	ds_read_b32 v9, v7
	v_cndmask_b32_e64 v7, v5, v13, s4
	s_waitcnt lgkmcnt(0)
	v_cndmask_b32_e64 v5, v9, v10, s4
	v_cndmask_b32_e64 v12, v4, v9, s4
	v_cmpx_gt_u32_e32 0x800, v7
	s_cbranch_execz .LBB428_301
; %bb.298:
	s_mov_b32 s14, 0
	s_mov_b32 s0, exec_lo
	v_cmpx_gt_u32_e32 0x400, v8
	s_cbranch_execz .LBB428_300
; %bb.299:
	v_mul_hi_i32 v9, 0x66666667, v5
	v_mul_hi_i32 v11, 0x66666667, v12
	v_lshrrev_b32_e32 v13, 31, v9
	v_ashrrev_i32_e32 v9, 2, v9
	v_lshrrev_b32_e32 v14, 31, v11
	v_ashrrev_i32_e32 v11, 2, v11
	v_add_nc_u32_e32 v9, v9, v13
	v_add_nc_u32_e32 v11, v11, v14
	v_cmp_ge_i32_e32 vcc_lo, v9, v11
	s_and_b32 s14, vcc_lo, exec_lo
.LBB428_300:
	s_or_b32 exec_lo, exec_lo, s0
	s_orn2_b32 s0, s14, exec_lo
.LBB428_301:
	s_or_b32 exec_lo, exec_lo, s13
	v_cndmask_b32_e64 v9, v7, v8, s0
	v_cndmask_b32_e64 v11, 0x7ff, v6, s0
	s_mov_b32 s13, exec_lo
	v_add_nc_u32_e32 v9, 1, v9
	v_min_u32_e32 v11, v9, v11
	v_cndmask_b32_e64 v7, v9, v7, s0
	v_cndmask_b32_e64 v9, v8, v9, s0
	v_lshlrev_b32_e32 v11, 2, v11
	ds_read_b32 v11, v11
	s_waitcnt lgkmcnt(0)
	v_cndmask_b32_e64 v13, v11, v5, s0
	v_cndmask_b32_e64 v14, v12, v11, s0
	v_cmpx_gt_u32_e32 0x800, v7
	s_cbranch_execz .LBB428_305
; %bb.302:
	s_mov_b32 s14, 0
	s_mov_b32 s5, exec_lo
	v_cmpx_gt_u32_e32 0x400, v9
	s_cbranch_execz .LBB428_304
; %bb.303:
	v_mul_hi_i32 v8, 0x66666667, v13
	v_mul_hi_i32 v11, 0x66666667, v14
	v_lshrrev_b32_e32 v15, 31, v8
	v_ashrrev_i32_e32 v8, 2, v8
	v_lshrrev_b32_e32 v16, 31, v11
	v_ashrrev_i32_e32 v11, 2, v11
	v_add_nc_u32_e32 v8, v8, v15
	v_add_nc_u32_e32 v11, v11, v16
	v_cmp_ge_i32_e32 vcc_lo, v8, v11
	s_and_b32 s14, vcc_lo, exec_lo
.LBB428_304:
	s_or_b32 exec_lo, exec_lo, s5
	s_orn2_b32 s5, s14, exec_lo
.LBB428_305:
	s_or_b32 exec_lo, exec_lo, s13
	v_cndmask_b32_e64 v8, v7, v9, s5
	v_cndmask_b32_e64 v11, 0x7ff, v6, s5
	s_mov_b32 s14, -1
	s_mov_b32 s13, -1
	s_mov_b32 s17, exec_lo
	v_add_nc_u32_e32 v15, 1, v8
	v_min_u32_e32 v8, v15, v11
	v_cndmask_b32_e64 v9, v9, v15, s5
	v_lshlrev_b32_e32 v8, 2, v8
	ds_read_b32 v11, v8
	v_cndmask_b32_e64 v8, v15, v7, s5
	s_waitcnt lgkmcnt(0)
	v_cndmask_b32_e64 v7, v11, v13, s5
	v_cndmask_b32_e64 v15, v14, v11, s5
	v_cmpx_gt_u32_e32 0x800, v8
	s_cbranch_execz .LBB428_309
; %bb.306:
	s_mov_b32 s18, 0
	s_mov_b32 s13, exec_lo
	v_cmpx_gt_u32_e32 0x400, v9
	s_cbranch_execz .LBB428_308
; %bb.307:
	v_mul_hi_i32 v11, 0x66666667, v7
	v_mul_hi_i32 v16, 0x66666667, v15
	v_lshrrev_b32_e32 v17, 31, v11
	v_ashrrev_i32_e32 v11, 2, v11
	v_lshrrev_b32_e32 v18, 31, v16
	v_ashrrev_i32_e32 v16, 2, v16
	v_add_nc_u32_e32 v11, v11, v17
	v_add_nc_u32_e32 v16, v16, v18
	v_cmp_ge_i32_e32 vcc_lo, v11, v16
	s_and_b32 s18, vcc_lo, exec_lo
.LBB428_308:
	s_or_b32 exec_lo, exec_lo, s13
	s_orn2_b32 s13, s18, exec_lo
.LBB428_309:
	s_or_b32 exec_lo, exec_lo, s17
	v_cndmask_b32_e64 v11, v8, v9, s13
	v_cndmask_b32_e64 v16, 0x7ff, v6, s13
	s_mov_b32 s17, exec_lo
	v_add_nc_u32_e32 v17, 1, v11
	v_min_u32_e32 v11, v17, v16
	v_cndmask_b32_e64 v9, v9, v17, s13
	v_lshlrev_b32_e32 v11, 2, v11
	ds_read_b32 v16, v11
	v_cndmask_b32_e64 v11, v17, v8, s13
	s_waitcnt lgkmcnt(0)
	v_cndmask_b32_e64 v8, v16, v7, s13
	v_cndmask_b32_e64 v16, v15, v16, s13
	v_cmpx_gt_u32_e32 0x800, v11
	s_cbranch_execz .LBB428_313
; %bb.310:
	s_mov_b32 s18, 0
	s_mov_b32 s14, exec_lo
	v_cmpx_gt_u32_e32 0x400, v9
	s_cbranch_execz .LBB428_312
; %bb.311:
	v_mul_hi_i32 v17, 0x66666667, v8
	v_mul_hi_i32 v18, 0x66666667, v16
	v_lshrrev_b32_e32 v19, 31, v17
	v_ashrrev_i32_e32 v17, 2, v17
	v_lshrrev_b32_e32 v39, 31, v18
	v_ashrrev_i32_e32 v18, 2, v18
	v_add_nc_u32_e32 v17, v17, v19
	v_add_nc_u32_e32 v18, v18, v39
	v_cmp_ge_i32_e32 vcc_lo, v17, v18
	s_and_b32 s18, vcc_lo, exec_lo
.LBB428_312:
	s_or_b32 exec_lo, exec_lo, s14
	s_orn2_b32 s14, s18, exec_lo
.LBB428_313:
	s_or_b32 exec_lo, exec_lo, s17
	v_cndmask_b32_e64 v17, v11, v9, s14
	v_cndmask_b32_e64 v18, 0x7ff, v6, s14
	s_mov_b32 s17, -1
	s_mov_b32 s18, -1
	s_mov_b32 s19, exec_lo
	v_add_nc_u32_e32 v17, 1, v17
	v_min_u32_e32 v18, v17, v18
	v_cndmask_b32_e64 v11, v17, v11, s14
	v_lshlrev_b32_e32 v18, 2, v18
	ds_read_b32 v19, v18
	v_cndmask_b32_e64 v18, v9, v17, s14
	s_waitcnt lgkmcnt(0)
	v_cndmask_b32_e64 v9, v19, v8, s14
	v_cndmask_b32_e64 v17, v16, v19, s14
	v_cmpx_gt_u32_e32 0x800, v11
	s_cbranch_execz .LBB428_317
; %bb.314:
	s_mov_b32 s20, 0
	s_mov_b32 s18, exec_lo
	v_cmpx_gt_u32_e32 0x400, v18
	s_cbranch_execz .LBB428_316
; %bb.315:
	v_mul_hi_i32 v19, 0x66666667, v9
	v_mul_hi_i32 v39, 0x66666667, v17
	v_lshrrev_b32_e32 v40, 31, v19
	v_ashrrev_i32_e32 v19, 2, v19
	v_lshrrev_b32_e32 v41, 31, v39
	v_ashrrev_i32_e32 v39, 2, v39
	v_add_nc_u32_e32 v19, v19, v40
	v_add_nc_u32_e32 v39, v39, v41
	v_cmp_ge_i32_e32 vcc_lo, v19, v39
	s_and_b32 s20, vcc_lo, exec_lo
.LBB428_316:
	s_or_b32 exec_lo, exec_lo, s18
	s_orn2_b32 s18, s20, exec_lo
.LBB428_317:
	s_or_b32 exec_lo, exec_lo, s19
	v_cndmask_b32_e64 v19, v11, v18, s18
	v_cndmask_b32_e64 v39, 0x7ff, v6, s18
	s_mov_b32 s19, exec_lo
	v_add_nc_u32_e32 v19, 1, v19
	v_min_u32_e32 v39, v19, v39
	v_cndmask_b32_e64 v11, v19, v11, s18
	v_lshlrev_b32_e32 v39, 2, v39
	ds_read_b32 v40, v39
	v_cndmask_b32_e64 v39, v18, v19, s18
	s_waitcnt lgkmcnt(0)
	v_cndmask_b32_e64 v18, v40, v9, s18
	v_cndmask_b32_e64 v19, v17, v40, s18
	v_cmpx_gt_u32_e32 0x800, v11
	s_cbranch_execz .LBB428_321
; %bb.318:
	s_mov_b32 s20, 0
	s_mov_b32 s17, exec_lo
	v_cmpx_gt_u32_e32 0x400, v39
	s_cbranch_execz .LBB428_320
; %bb.319:
	v_mul_hi_i32 v40, 0x66666667, v18
	v_mul_hi_i32 v41, 0x66666667, v19
	v_lshrrev_b32_e32 v42, 31, v40
	v_ashrrev_i32_e32 v40, 2, v40
	v_lshrrev_b32_e32 v43, 31, v41
	v_ashrrev_i32_e32 v41, 2, v41
	v_add_nc_u32_e32 v40, v40, v42
	v_add_nc_u32_e32 v41, v41, v43
	v_cmp_ge_i32_e32 vcc_lo, v40, v41
	s_and_b32 s20, vcc_lo, exec_lo
.LBB428_320:
	s_or_b32 exec_lo, exec_lo, s17
	s_orn2_b32 s17, s20, exec_lo
.LBB428_321:
	s_or_b32 exec_lo, exec_lo, s19
	v_cndmask_b32_e64 v40, v11, v39, s17
	v_cndmask_b32_e64 v41, 0x7ff, v6, s17
	s_mov_b32 s19, exec_lo
	v_add_nc_u32_e32 v6, 1, v40
	v_min_u32_e32 v40, v6, v41
	v_cndmask_b32_e64 v41, v6, v11, s17
	v_lshlrev_b32_e32 v40, 2, v40
	ds_read_b32 v40, v40
	s_waitcnt lgkmcnt(0)
	v_cndmask_b32_e64 v11, v19, v40, s17
	v_cmpx_gt_u32_e32 0x800, v41
	s_cbranch_execz .LBB428_325
; %bb.322:
	v_cndmask_b32_e64 v39, v39, v6, s17
	v_cndmask_b32_e64 v6, v40, v18, s17
	s_mov_b32 s20, exec_lo
	v_cmpx_gt_u32_e32 0x400, v39
	s_cbranch_execz .LBB428_324
; %bb.323:
	v_mul_hi_i32 v39, 0x66666667, v6
	v_mul_hi_i32 v40, 0x66666667, v11
	v_lshrrev_b32_e32 v41, 31, v39
	v_ashrrev_i32_e32 v39, 2, v39
	v_lshrrev_b32_e32 v42, 31, v40
	v_ashrrev_i32_e32 v40, 2, v40
	v_add_nc_u32_e32 v39, v39, v41
	v_add_nc_u32_e32 v40, v40, v42
	v_cmp_lt_i32_e32 vcc_lo, v39, v40
	v_cndmask_b32_e32 v6, v11, v6, vcc_lo
.LBB428_324:
	s_or_b32 exec_lo, exec_lo, s20
	v_mov_b32_e32 v11, v6
.LBB428_325:
	s_or_b32 exec_lo, exec_lo, s19
	v_cndmask_b32_e64 v9, v9, v17, s18
	v_cndmask_b32_e64 v8, v8, v16, s14
	;; [unrolled: 1-line block ×7, first 2 shown]
.LBB428_326:
	s_or_b32 exec_lo, exec_lo, s1
	s_barrier
	buffer_gl0_inv
	s_barrier
	buffer_gl0_inv
	ds_write2_b32 v36, v4, v5 offset1:1
	ds_write2_b32 v36, v6, v7 offset0:2 offset1:3
	ds_write2_b32 v36, v8, v9 offset0:4 offset1:5
	;; [unrolled: 1-line block ×3, first 2 shown]
	s_waitcnt lgkmcnt(0)
	s_barrier
	buffer_gl0_inv
	ds_read_b32 v9, v30
	ds_read_b32 v10, v37 offset:1024
	ds_read_b32 v11, v38 offset:2048
	;; [unrolled: 1-line block ×7, first 2 shown]
	v_add_co_u32 v5, s0, s15, v20
	v_add_co_ci_u32_e64 v6, null, s16, 0, s0
	v_add_co_u32 v7, vcc_lo, 0x800, v5
	v_add_co_ci_u32_e64 v8, null, 0, v6, vcc_lo
	s_waitcnt lgkmcnt(7)
	flat_store_dword v[5:6], v9
	s_waitcnt lgkmcnt(7)
	flat_store_dword v[5:6], v10 offset:1024
	v_add_co_u32 v9, vcc_lo, 0x1000, v5
	v_add_co_ci_u32_e64 v10, null, 0, v6, vcc_lo
	v_add_co_u32 v5, vcc_lo, 0x1800, v5
	v_add_co_ci_u32_e64 v6, null, 0, v6, vcc_lo
	s_waitcnt lgkmcnt(7)
	flat_store_dword v[7:8], v11
	s_waitcnt lgkmcnt(7)
	flat_store_dword v[7:8], v12 offset:1024
	s_waitcnt lgkmcnt(7)
	flat_store_dword v[9:10], v13
	s_waitcnt lgkmcnt(7)
	flat_store_dword v[9:10], v14 offset:1024
	s_mov_b32 s18, -1
	s_waitcnt lgkmcnt(7)
	flat_store_dword v[5:6], v15
	s_branch .LBB428_560
.LBB428_327:
	s_mov_b32 s18, s3
                                        ; implicit-def: $vgpr4
	s_cbranch_execz .LBB428_560
; %bb.328:
	s_waitcnt lgkmcnt(7)
	v_mov_b32_e32 v4, 0
	s_lshl_b64 s[0:1], s[2:3], 11
	s_sub_i32 s17, s8, s0
	v_cmp_gt_u32_e32 vcc_lo, s17, v0
	v_mov_b32_e32 v5, v4
	v_mov_b32_e32 v6, v4
	v_mov_b32_e32 v7, v4
	v_mov_b32_e32 v8, v4
	v_mov_b32_e32 v9, v4
	v_mov_b32_e32 v10, v4
	v_mov_b32_e32 v11, v4
	s_and_saveexec_b32 s0, vcc_lo
	s_cbranch_execz .LBB428_336
; %bb.329:
	v_add_co_u32 v5, s1, s7, v20
	v_add_co_ci_u32_e64 v6, null, s9, 0, s1
	v_mov_b32_e32 v12, v4
	v_mov_b32_e32 v7, v4
	;; [unrolled: 1-line block ×3, first 2 shown]
	flat_load_dword v5, v[5:6]
	v_mov_b32_e32 v6, v4
	v_mov_b32_e32 v9, v4
	;; [unrolled: 1-line block ×4, first 2 shown]
	s_waitcnt vmcnt(0) lgkmcnt(0)
	v_mov_b32_e32 v4, v5
	v_mov_b32_e32 v5, v6
	;; [unrolled: 1-line block ×8, first 2 shown]
	s_or_b32 exec_lo, exec_lo, s0
	v_cmp_gt_u32_e64 s0, s17, v29
	s_and_saveexec_b32 s1, s0
	s_cbranch_execnz .LBB428_337
.LBB428_330:
	s_or_b32 exec_lo, exec_lo, s1
	v_cmp_gt_u32_e64 s1, s17, v28
	s_and_saveexec_b32 s2, s1
	s_cbranch_execz .LBB428_338
.LBB428_331:
	v_lshlrev_b32_e32 v1, 2, v28
	v_add_co_u32 v12, s3, s7, v1
	v_add_co_ci_u32_e64 v13, null, s9, 0, s3
	flat_load_dword v6, v[12:13]
	s_or_b32 exec_lo, exec_lo, s2
	v_cmp_gt_u32_e64 s2, s17, v26
	s_and_saveexec_b32 s3, s2
	s_cbranch_execnz .LBB428_339
.LBB428_332:
	s_or_b32 exec_lo, exec_lo, s3
	v_cmp_gt_u32_e64 s3, s17, v25
	s_and_saveexec_b32 s4, s3
	s_cbranch_execz .LBB428_340
.LBB428_333:
	v_lshlrev_b32_e32 v1, 2, v25
	v_add_co_u32 v12, s5, s7, v1
	v_add_co_ci_u32_e64 v13, null, s9, 0, s5
	flat_load_dword v8, v[12:13]
	s_or_b32 exec_lo, exec_lo, s4
	v_cmp_gt_u32_e64 s4, s17, v24
	s_and_saveexec_b32 s5, s4
	s_cbranch_execnz .LBB428_341
.LBB428_334:
	s_or_b32 exec_lo, exec_lo, s5
	v_cmp_gt_u32_e64 s5, s17, v23
	s_and_saveexec_b32 s8, s5
	s_cbranch_execz .LBB428_342
.LBB428_335:
	v_lshlrev_b32_e32 v1, 2, v23
	v_add_co_u32 v12, s13, s7, v1
	v_add_co_ci_u32_e64 v13, null, s9, 0, s13
	flat_load_dword v10, v[12:13]
	s_or_b32 exec_lo, exec_lo, s8
	v_cmp_gt_u32_e64 s18, s17, v22
	s_and_saveexec_b32 s8, s18
	s_cbranch_execnz .LBB428_343
	s_branch .LBB428_344
.LBB428_336:
	s_or_b32 exec_lo, exec_lo, s0
	v_cmp_gt_u32_e64 s0, s17, v29
	s_and_saveexec_b32 s1, s0
	s_cbranch_execz .LBB428_330
.LBB428_337:
	v_add_co_u32 v12, s2, s7, v20
	v_add_co_ci_u32_e64 v13, null, s9, 0, s2
	flat_load_dword v5, v[12:13] offset:1024
	s_or_b32 exec_lo, exec_lo, s1
	v_cmp_gt_u32_e64 s1, s17, v28
	s_and_saveexec_b32 s2, s1
	s_cbranch_execnz .LBB428_331
.LBB428_338:
	s_or_b32 exec_lo, exec_lo, s2
	v_cmp_gt_u32_e64 s2, s17, v26
	s_and_saveexec_b32 s3, s2
	s_cbranch_execz .LBB428_332
.LBB428_339:
	v_lshlrev_b32_e32 v1, 2, v26
	v_add_co_u32 v12, s4, s7, v1
	v_add_co_ci_u32_e64 v13, null, s9, 0, s4
	flat_load_dword v7, v[12:13]
	s_or_b32 exec_lo, exec_lo, s3
	v_cmp_gt_u32_e64 s3, s17, v25
	s_and_saveexec_b32 s4, s3
	s_cbranch_execnz .LBB428_333
.LBB428_340:
	s_or_b32 exec_lo, exec_lo, s4
	v_cmp_gt_u32_e64 s4, s17, v24
	s_and_saveexec_b32 s5, s4
	s_cbranch_execz .LBB428_334
.LBB428_341:
	v_lshlrev_b32_e32 v1, 2, v24
	v_add_co_u32 v12, s8, s7, v1
	v_add_co_ci_u32_e64 v13, null, s9, 0, s8
	flat_load_dword v9, v[12:13]
	s_or_b32 exec_lo, exec_lo, s5
	v_cmp_gt_u32_e64 s5, s17, v23
	s_and_saveexec_b32 s8, s5
	s_cbranch_execnz .LBB428_335
.LBB428_342:
	s_or_b32 exec_lo, exec_lo, s8
	v_cmp_gt_u32_e64 s18, s17, v22
	s_and_saveexec_b32 s8, s18
	s_cbranch_execz .LBB428_344
.LBB428_343:
	v_lshlrev_b32_e32 v1, 2, v22
	v_add_co_u32 v11, s7, s7, v1
	v_add_co_ci_u32_e64 v12, null, s9, 0, s7
	flat_load_dword v11, v[11:12]
.LBB428_344:
	s_or_b32 exec_lo, exec_lo, s8
	v_lshrrev_b32_e32 v1, 3, v29
	v_lshrrev_b32_e32 v12, 3, v28
	v_and_b32_e32 v13, 28, v27
	v_lshrrev_b32_e32 v14, 3, v26
	v_lshrrev_b32_e32 v15, 3, v25
	v_and_b32_e32 v1, 60, v1
	v_and_b32_e32 v12, 0x7c, v12
	v_add_nc_u32_e32 v17, v13, v20
	v_lshrrev_b32_e32 v16, 3, v24
	v_lshl_add_u32 v21, v0, 5, v21
	v_add_nc_u32_e32 v18, v1, v20
	v_add_nc_u32_e32 v19, v12, v20
	v_lshrrev_b32_e32 v1, 3, v23
	v_and_b32_e32 v12, 0x7c, v14
	ds_write_b32 v17, v4
	s_waitcnt vmcnt(0) lgkmcnt(1)
	ds_write_b32 v18, v5 offset:1024
	ds_write_b32 v19, v6 offset:2048
	v_lshrrev_b32_e32 v4, 3, v22
	v_and_b32_e32 v5, 0xfc, v15
	v_and_b32_e32 v6, 0xfc, v16
	;; [unrolled: 1-line block ×3, first 2 shown]
	v_add_nc_u32_e32 v22, v12, v20
	v_and_b32_e32 v4, 0xfc, v4
	v_add_nc_u32_e32 v23, v5, v20
	v_add_nc_u32_e32 v24, v6, v20
	;; [unrolled: 1-line block ×3, first 2 shown]
	ds_write_b32 v22, v7 offset:3072
	v_add_nc_u32_e32 v26, v4, v20
	ds_write_b32 v23, v8 offset:4096
	ds_write_b32 v24, v9 offset:5120
	;; [unrolled: 1-line block ×3, first 2 shown]
	v_mov_b32_e32 v1, 0
	ds_write_b32 v26, v11 offset:7168
	s_waitcnt lgkmcnt(0)
	s_waitcnt_vscnt null, 0x0
	s_barrier
	buffer_gl0_inv
	ds_read2_b32 v[9:10], v21 offset1:1
	ds_read2_b32 v[11:12], v21 offset0:2 offset1:3
	ds_read2_b32 v[13:14], v21 offset0:4 offset1:5
	;; [unrolled: 1-line block ×3, first 2 shown]
	s_waitcnt lgkmcnt(0)
	s_barrier
	buffer_gl0_inv
	s_load_dword s7, s[10:11], 0xc
	s_waitcnt lgkmcnt(0)
	s_lshr_b32 s8, s7, 16
	s_cmp_lt_u32 s6, s12
	v_mad_u32_u24 v2, v2, s8, v3
	s_cselect_b32 s6, 12, 18
	s_add_u32 s6, s10, s6
	s_addc_u32 s7, s11, 0
	global_load_ushort v1, v1, s[6:7]
	s_waitcnt vmcnt(0)
	v_mul_lo_u32 v1, v2, v1
	v_add_lshl_u32 v27, v1, v0, 3
	v_mov_b32_e32 v1, v9
	v_mov_b32_e32 v2, v10
	;; [unrolled: 1-line block ×4, first 2 shown]
	v_sub_nc_u32_e64 v28, s17, v27 clamp
	v_mov_b32_e32 v5, v13
	v_mov_b32_e32 v6, v14
	;; [unrolled: 1-line block ×4, first 2 shown]
	v_cmp_lt_u32_e64 s6, 1, v28
	s_and_saveexec_b32 s8, s6
	s_cbranch_execz .LBB428_348
; %bb.345:
	v_mul_hi_i32 v1, 0x66666667, v10
	v_mul_hi_i32 v2, 0x66666667, v9
	v_lshrrev_b32_e32 v3, 31, v1
	v_ashrrev_i32_e32 v1, 2, v1
	v_lshrrev_b32_e32 v4, 31, v2
	v_ashrrev_i32_e32 v2, 2, v2
	v_add_nc_u32_e32 v1, v1, v3
	v_add_nc_u32_e32 v2, v2, v4
	v_cmp_lt_i32_e64 s7, v1, v2
	v_mov_b32_e32 v1, v9
	v_mov_b32_e32 v2, v10
	;; [unrolled: 1-line block ×8, first 2 shown]
	s_and_saveexec_b32 s9, s7
	s_cbranch_execz .LBB428_347
; %bb.346:
	v_mov_b32_e32 v1, v10
	v_mov_b32_e32 v2, v9
	;; [unrolled: 1-line block ×8, first 2 shown]
.LBB428_347:
	s_or_b32 exec_lo, exec_lo, s9
.LBB428_348:
	s_or_b32 exec_lo, exec_lo, s8
	v_mul_hi_i32 v9, 0x66666667, v12
	v_mul_hi_i32 v10, 0x66666667, v11
	v_mul_hi_i32 v11, 0x66666667, v6
	v_mul_hi_i32 v12, 0x66666667, v5
	v_cmp_lt_u32_e64 s9, 3, v28
	v_mul_hi_i32 v15, 0x66666667, v8
	v_mul_hi_i32 v16, 0x66666667, v7
	v_cmp_lt_u32_e64 s8, 5, v28
	v_lshrrev_b32_e32 v13, 31, v9
	v_ashrrev_i32_e32 v9, 2, v9
	v_lshrrev_b32_e32 v14, 31, v10
	v_ashrrev_i32_e32 v10, 2, v10
	v_cmp_lt_u32_e64 s12, 7, v28
	v_mbcnt_lo_u32_b32 v32, -1, 0
	v_add_nc_u32_e32 v9, v9, v13
	v_lshrrev_b32_e32 v13, 31, v11
	v_add_nc_u32_e32 v10, v10, v14
	v_ashrrev_i32_e32 v11, 2, v11
	v_lshrrev_b32_e32 v14, 31, v12
	v_ashrrev_i32_e32 v12, 2, v12
	v_cmp_lt_i32_e64 s7, v9, v10
	v_add_nc_u32_e32 v11, v11, v13
	v_mul_hi_i32 v9, 0x66666667, v2
	v_add_nc_u32_e32 v12, v12, v14
	v_lshrrev_b32_e32 v10, 31, v15
	s_and_b32 s7, s9, s7
	v_lshrrev_b32_e32 v14, 31, v16
	v_cndmask_b32_e64 v13, v4, v3, s7
	v_cndmask_b32_e64 v3, v3, v4, s7
	v_cmp_lt_i32_e64 s7, v11, v12
	v_ashrrev_i32_e32 v4, 2, v15
	v_ashrrev_i32_e32 v15, 2, v16
	v_lshrrev_b32_e32 v12, 31, v9
	v_mul_hi_i32 v11, 0x66666667, v3
	s_and_b32 s7, s8, s7
	v_add_nc_u32_e32 v4, v4, v10
	v_add_nc_u32_e32 v10, v15, v14
	v_cndmask_b32_e64 v14, v6, v5, s7
	v_cndmask_b32_e64 v5, v5, v6, s7
	v_ashrrev_i32_e32 v9, 2, v9
	v_lshrrev_b32_e32 v6, 31, v11
	v_ashrrev_i32_e32 v11, 2, v11
	v_cmp_lt_i32_e64 s7, v4, v10
	v_mul_hi_i32 v4, 0x66666667, v5
	v_mul_hi_i32 v10, 0x66666667, v13
	v_add_nc_u32_e32 v9, v9, v12
	v_add_nc_u32_e32 v6, v11, v6
	s_and_b32 s7, s12, s7
	v_mul_hi_i32 v12, 0x66666667, v14
	v_cndmask_b32_e64 v11, v8, v7, s7
	v_cndmask_b32_e64 v7, v7, v8, s7
	v_cmp_lt_u32_e64 s7, 2, v28
	v_cmp_lt_i32_e64 s10, v6, v9
	v_lshrrev_b32_e32 v6, 31, v4
	v_ashrrev_i32_e32 v4, 2, v4
	v_lshrrev_b32_e32 v8, 31, v10
	v_ashrrev_i32_e32 v10, 2, v10
	v_mul_hi_i32 v9, 0x66666667, v7
	s_and_b32 s10, s7, s10
	v_cndmask_b32_e64 v15, v3, v2, s10
	v_cndmask_b32_e64 v2, v2, v3, s10
	v_add_nc_u32_e32 v3, v4, v6
	v_add_nc_u32_e32 v4, v10, v8
	v_cmp_lt_u32_e64 s10, 4, v28
	v_lshrrev_b32_e32 v6, 31, v9
	v_ashrrev_i32_e32 v8, 2, v9
	v_lshrrev_b32_e32 v9, 31, v12
	v_cmp_lt_i32_e64 s11, v3, v4
	v_ashrrev_i32_e32 v10, 2, v12
	v_mul_hi_i32 v4, 0x66666667, v2
	v_add_nc_u32_e32 v3, v8, v6
	v_mul_hi_i32 v8, 0x66666667, v1
	s_and_b32 s11, s10, s11
	v_add_nc_u32_e32 v6, v10, v9
	v_cndmask_b32_e64 v9, v5, v13, s11
	v_cndmask_b32_e64 v5, v13, v5, s11
	v_cmp_lt_u32_e64 s11, 6, v28
	v_mul_hi_i32 v12, 0x66666667, v15
	v_cmp_lt_i32_e64 s13, v3, v6
	v_lshrrev_b32_e32 v3, 31, v4
	v_mul_hi_i32 v10, 0x66666667, v5
	v_ashrrev_i32_e32 v4, 2, v4
	v_lshrrev_b32_e32 v6, 31, v8
	v_ashrrev_i32_e32 v8, 2, v8
	s_and_b32 s13, s11, s13
	v_mul_hi_i32 v16, 0x66666667, v9
	v_cndmask_b32_e64 v13, v7, v14, s13
	v_cndmask_b32_e64 v7, v14, v7, s13
	v_add_nc_u32_e32 v3, v4, v3
	v_add_nc_u32_e32 v4, v8, v6
	v_lshrrev_b32_e32 v6, 31, v10
	v_ashrrev_i32_e32 v8, 2, v10
	v_lshrrev_b32_e32 v10, 31, v12
	v_ashrrev_i32_e32 v12, 2, v12
	v_mul_hi_i32 v14, 0x66666667, v7
	v_cmp_lt_i32_e64 s13, v3, v4
	v_add_nc_u32_e32 v3, v8, v6
	v_add_nc_u32_e32 v4, v12, v10
	v_lshrrev_b32_e32 v10, 31, v16
	v_ashrrev_i32_e32 v12, 2, v16
	s_and_b32 s13, s6, s13
	v_lshrrev_b32_e32 v6, 31, v14
	v_cmp_lt_i32_e64 s14, v3, v4
	v_ashrrev_i32_e32 v8, 2, v14
	v_cndmask_b32_e64 v14, v1, v2, s13
	v_cndmask_b32_e64 v1, v2, v1, s13
	v_mul_hi_i32 v4, 0x66666667, v11
	s_and_b32 s13, s9, s14
	v_add_nc_u32_e32 v3, v8, v6
	v_mul_hi_i32 v8, 0x66666667, v13
	v_cndmask_b32_e64 v2, v5, v15, s13
	v_cndmask_b32_e64 v5, v15, v5, s13
	v_add_nc_u32_e32 v6, v12, v10
	v_mul_hi_i32 v12, 0x66666667, v1
	v_mul_hi_i32 v10, 0x66666667, v5
	v_cmp_lt_i32_e64 s13, v3, v6
	v_lshrrev_b32_e32 v3, 31, v4
	v_ashrrev_i32_e32 v4, 2, v4
	v_lshrrev_b32_e32 v6, 31, v8
	v_ashrrev_i32_e32 v8, 2, v8
	s_and_b32 s13, s8, s13
	v_add_nc_u32_e32 v3, v4, v3
	v_cndmask_b32_e64 v15, v7, v9, s13
	v_add_nc_u32_e32 v4, v8, v6
	v_cndmask_b32_e64 v7, v9, v7, s13
	v_lshrrev_b32_e32 v6, 31, v10
	v_ashrrev_i32_e32 v8, 2, v10
	v_lshrrev_b32_e32 v9, 31, v12
	v_ashrrev_i32_e32 v10, 2, v12
	v_cmp_lt_i32_e64 s13, v3, v4
	v_mul_hi_i32 v4, 0x66666667, v7
	v_add_nc_u32_e32 v3, v8, v6
	v_mul_hi_i32 v8, 0x66666667, v2
	v_add_nc_u32_e32 v6, v10, v9
	s_and_b32 s13, s12, s13
	v_mul_hi_i32 v12, 0x66666667, v15
	v_cndmask_b32_e64 v10, v13, v11, s13
	v_cndmask_b32_e64 v9, v11, v13, s13
	v_cmp_lt_i32_e64 s13, v3, v6
	v_lshrrev_b32_e32 v3, 31, v4
	v_ashrrev_i32_e32 v4, 2, v4
	v_lshrrev_b32_e32 v6, 31, v8
	v_ashrrev_i32_e32 v8, 2, v8
	v_mul_hi_i32 v11, 0x66666667, v10
	s_and_b32 s13, s7, s13
	v_add_nc_u32_e32 v3, v4, v3
	v_cndmask_b32_e64 v13, v5, v1, s13
	v_add_nc_u32_e32 v4, v8, v6
	v_cndmask_b32_e64 v1, v1, v5, s13
	v_lshrrev_b32_e32 v8, 31, v12
	v_lshrrev_b32_e32 v5, 31, v11
	v_cmp_lt_i32_e64 s13, v3, v4
	v_ashrrev_i32_e32 v6, 2, v11
	v_ashrrev_i32_e32 v11, 2, v12
	v_mul_hi_i32 v4, 0x66666667, v1
	s_and_b32 s13, s10, s13
	v_add_nc_u32_e32 v3, v6, v5
	v_add_nc_u32_e32 v5, v11, v8
	v_mul_hi_i32 v6, 0x66666667, v14
	v_cndmask_b32_e64 v8, v7, v2, s13
	v_cndmask_b32_e64 v2, v2, v7, s13
	v_mul_hi_i32 v11, 0x66666667, v13
	v_cmp_lt_i32_e64 s13, v3, v5
	v_lshrrev_b32_e32 v3, 31, v4
	v_ashrrev_i32_e32 v4, 2, v4
	v_mul_hi_i32 v7, 0x66666667, v2
	v_lshrrev_b32_e32 v5, 31, v6
	v_ashrrev_i32_e32 v6, 2, v6
	s_and_b32 s13, s11, s13
	v_add_nc_u32_e32 v3, v4, v3
	v_cndmask_b32_e64 v12, v10, v15, s13
	v_cndmask_b32_e64 v10, v15, v10, s13
	v_add_nc_u32_e32 v4, v6, v5
	v_lshrrev_b32_e32 v5, 31, v7
	v_ashrrev_i32_e32 v6, 2, v7
	v_lshrrev_b32_e32 v7, 31, v11
	v_ashrrev_i32_e32 v11, 2, v11
	v_mul_hi_i32 v15, 0x66666667, v10
	v_mul_hi_i32 v16, 0x66666667, v8
	v_cmp_lt_i32_e64 s13, v3, v4
	v_add_nc_u32_e32 v3, v6, v5
	v_add_nc_u32_e32 v4, v11, v7
	s_and_b32 s13, s6, s13
	v_lshrrev_b32_e32 v5, 31, v15
	v_cmp_lt_i32_e64 s14, v3, v4
	v_ashrrev_i32_e32 v6, 2, v15
	v_lshrrev_b32_e32 v7, 31, v16
	v_ashrrev_i32_e32 v11, 2, v16
	v_cndmask_b32_e64 v15, v14, v1, s13
	v_cndmask_b32_e64 v1, v1, v14, s13
	s_and_b32 s13, s9, s14
	v_add_nc_u32_e32 v3, v6, v5
	v_mul_hi_i32 v4, 0x66666667, v9
	v_mul_hi_i32 v6, 0x66666667, v12
	v_add_nc_u32_e32 v5, v11, v7
	v_cndmask_b32_e64 v7, v2, v13, s13
	v_cndmask_b32_e64 v2, v13, v2, s13
	v_mul_hi_i32 v13, 0x66666667, v1
	v_cmp_lt_i32_e64 s13, v3, v5
	v_lshrrev_b32_e32 v3, 31, v4
	v_mul_hi_i32 v11, 0x66666667, v2
	v_ashrrev_i32_e32 v4, 2, v4
	v_lshrrev_b32_e32 v5, 31, v6
	v_ashrrev_i32_e32 v6, 2, v6
	s_and_b32 s13, s8, s13
	v_add_nc_u32_e32 v3, v4, v3
	v_cndmask_b32_e64 v14, v10, v8, s13
	v_add_nc_u32_e32 v4, v6, v5
	v_cndmask_b32_e64 v8, v8, v10, s13
	v_lshrrev_b32_e32 v5, 31, v11
	v_ashrrev_i32_e32 v6, 2, v11
	v_lshrrev_b32_e32 v10, 31, v13
	v_ashrrev_i32_e32 v11, 2, v13
	v_cmp_lt_i32_e64 s13, v3, v4
	v_mul_hi_i32 v4, 0x66666667, v8
	v_add_nc_u32_e32 v3, v6, v5
	v_mul_hi_i32 v6, 0x66666667, v7
	v_add_nc_u32_e32 v5, v11, v10
	s_and_b32 s13, s12, s13
	v_cndmask_b32_e64 v10, v9, v12, s13
	v_cndmask_b32_e64 v9, v12, v9, s13
	v_cmp_lt_i32_e64 s13, v3, v5
	v_lshrrev_b32_e32 v3, 31, v4
	v_ashrrev_i32_e32 v4, 2, v4
	v_lshrrev_b32_e32 v5, 31, v6
	v_ashrrev_i32_e32 v6, 2, v6
	s_and_b32 s13, s7, s13
	v_mul_hi_i32 v11, 0x66666667, v9
	v_mul_hi_i32 v12, 0x66666667, v14
	v_cndmask_b32_e64 v13, v2, v1, s13
	v_cndmask_b32_e64 v1, v1, v2, s13
	v_add_nc_u32_e32 v2, v4, v3
	v_add_nc_u32_e32 v3, v6, v5
	v_lshrrev_b32_e32 v4, 31, v11
	v_ashrrev_i32_e32 v5, 2, v11
	v_cmp_lt_i32_e64 s13, v2, v3
	v_lshrrev_b32_e32 v6, 31, v12
	v_ashrrev_i32_e32 v11, 2, v12
	v_mul_hi_i32 v3, 0x66666667, v1
	v_add_nc_u32_e32 v2, v5, v4
	s_and_b32 s13, s10, s13
	v_mul_hi_i32 v5, 0x66666667, v15
	v_add_nc_u32_e32 v4, v11, v6
	v_cndmask_b32_e64 v6, v8, v7, s13
	v_cndmask_b32_e64 v7, v7, v8, s13
	v_mul_hi_i32 v11, 0x66666667, v13
	v_cmp_lt_i32_e64 s13, v2, v4
	v_lshrrev_b32_e32 v2, 31, v3
	v_mul_hi_i32 v8, 0x66666667, v7
	v_ashrrev_i32_e32 v3, 2, v3
	v_lshrrev_b32_e32 v4, 31, v5
	v_ashrrev_i32_e32 v5, 2, v5
	s_and_b32 s13, s11, s13
	v_cndmask_b32_e64 v12, v9, v14, s13
	v_cndmask_b32_e64 v9, v14, v9, s13
	v_add_nc_u32_e32 v2, v3, v2
	v_add_nc_u32_e32 v3, v5, v4
	v_lshrrev_b32_e32 v4, 31, v8
	v_ashrrev_i32_e32 v5, 2, v8
	v_lshrrev_b32_e32 v8, 31, v11
	v_ashrrev_i32_e32 v11, 2, v11
	v_cmp_lt_i32_e64 s13, v2, v3
	v_mul_hi_i32 v3, 0x66666667, v9
	v_add_nc_u32_e32 v2, v5, v4
	v_mul_hi_i32 v14, 0x66666667, v12
	v_add_nc_u32_e32 v4, v11, v8
	v_mul_hi_i32 v8, 0x66666667, v6
	v_mul_hi_i32 v11, 0x66666667, v10
	s_and_b32 s6, s6, s13
	v_cmp_lt_i32_e64 s13, v2, v4
	v_lshrrev_b32_e32 v2, 31, v3
	v_ashrrev_i32_e32 v3, 2, v3
	v_cndmask_b32_e64 v5, v15, v1, s6
	v_lshrrev_b32_e32 v4, 31, v8
	v_ashrrev_i32_e32 v8, 2, v8
	s_and_b32 s9, s9, s13
	v_add_nc_u32_e32 v2, v3, v2
	v_cndmask_b32_e64 v16, v7, v13, s9
	v_cndmask_b32_e64 v13, v13, v7, s9
	v_add_nc_u32_e32 v3, v8, v4
	v_lshrrev_b32_e32 v4, 31, v11
	v_ashrrev_i32_e32 v7, 2, v11
	v_cndmask_b32_e64 v1, v1, v15, s6
	v_lshrrev_b32_e32 v8, 31, v14
	v_ashrrev_i32_e32 v11, 2, v14
	v_cmp_lt_i32_e64 s6, v2, v3
	v_add_nc_u32_e32 v2, v7, v4
	v_mul_hi_i32 v3, 0x66666667, v13
	v_mul_hi_i32 v7, 0x66666667, v1
	v_add_nc_u32_e32 v4, v11, v8
	s_and_b32 s6, s8, s6
	v_mul_hi_i32 v11, 0x66666667, v16
	v_cndmask_b32_e64 v8, v6, v9, s6
	v_cndmask_b32_e64 v30, v9, v6, s6
	v_cmp_lt_i32_e64 s6, v2, v4
	v_lshrrev_b32_e32 v2, 31, v3
	v_ashrrev_i32_e32 v3, 2, v3
	v_lshrrev_b32_e32 v6, 31, v7
	v_ashrrev_i32_e32 v7, 2, v7
	v_mul_hi_i32 v9, 0x66666667, v8
	s_and_b32 s6, s12, s6
	v_add_nc_u32_e32 v2, v3, v2
	v_cndmask_b32_e64 v4, v10, v12, s6
	v_add_nc_u32_e32 v3, v7, v6
	v_cndmask_b32_e64 v31, v12, v10, s6
	v_ashrrev_i32_e32 v10, 2, v11
	v_mul_hi_i32 v15, 0x66666667, v30
	v_lshrrev_b32_e32 v6, 31, v9
	v_ashrrev_i32_e32 v7, 2, v9
	v_lshrrev_b32_e32 v9, 31, v11
	v_cmp_lt_i32_e64 s6, v2, v3
	v_and_b32_e32 v3, 0xffffff00, v27
	v_lshlrev_b32_e32 v11, 3, v32
	v_add_nc_u32_e32 v2, v7, v6
	v_add_nc_u32_e32 v9, v10, v9
	v_mul_hi_i32 v10, 0x66666667, v31
	v_sub_nc_u32_e64 v12, s17, v3 clamp
	v_or_b32_e32 v14, 8, v11
	s_and_b32 s6, s7, s6
	v_and_b32_e32 v28, 0xf0, v11
	v_cndmask_b32_e64 v7, v13, v1, s6
	v_cndmask_b32_e64 v6, v1, v13, s6
	v_min_u32_e32 v14, v12, v14
	v_cmp_lt_i32_e64 s6, v2, v9
	v_lshrrev_b32_e32 v2, 31, v10
	v_ashrrev_i32_e32 v9, 2, v10
	v_lshrrev_b32_e32 v10, 31, v15
	v_ashrrev_i32_e32 v13, 2, v15
	v_add_nc_u32_e32 v15, 8, v14
	s_and_b32 s6, s10, s6
	v_add_nc_u32_e32 v2, v9, v2
	v_cndmask_b32_e64 v1, v8, v16, s6
	v_add_nc_u32_e32 v9, v13, v10
	v_and_b32_e32 v10, 8, v11
	v_min_u32_e32 v15, v12, v15
	v_cndmask_b32_e64 v8, v16, v8, s6
	s_mov_b32 s7, exec_lo
	v_cmp_lt_i32_e64 s6, v2, v9
	v_min_u32_e32 v29, v12, v10
	v_sub_nc_u32_e32 v2, v15, v14
	v_sub_nc_u32_e32 v9, v14, v28
	v_lshlrev_b32_e32 v10, 2, v3
	s_and_b32 s6, s11, s6
	v_cndmask_b32_e64 v3, v31, v30, s6
	v_sub_nc_u32_e64 v16, v29, v2 clamp
	v_min_u32_e32 v9, v29, v9
	v_lshl_or_b32 v13, v32, 5, v10
	v_cndmask_b32_e64 v2, v30, v31, s6
	v_lshl_or_b32 v27, v28, 2, v10
	ds_write_b128 v13, v[5:8]
	ds_write_b128 v13, v[1:4] offset:16
	; wave barrier
	v_cmpx_lt_u32_e64 v16, v9
	s_cbranch_execz .LBB428_352
; %bb.349:
	v_lshlrev_b32_e32 v30, 2, v14
	v_lshlrev_b32_e32 v31, 2, v29
	s_mov_b32 s8, 0
	v_add3_u32 v30, v10, v30, v31
	s_inst_prefetch 0x1
	.p2align	6
.LBB428_350:                            ; =>This Inner Loop Header: Depth=1
	v_add_nc_u32_e32 v31, v9, v16
	v_lshrrev_b32_e32 v31, 1, v31
	v_not_b32_e32 v32, v31
	v_lshl_add_u32 v33, v31, 2, v27
	v_lshl_add_u32 v32, v32, 2, v30
	ds_read_b32 v33, v33
	ds_read_b32 v32, v32
	s_waitcnt lgkmcnt(1)
	v_mul_hi_i32 v33, 0x66666667, v33
	s_waitcnt lgkmcnt(0)
	v_mul_hi_i32 v32, 0x66666667, v32
	v_lshrrev_b32_e32 v34, 31, v33
	v_ashrrev_i32_e32 v33, 2, v33
	v_lshrrev_b32_e32 v35, 31, v32
	v_ashrrev_i32_e32 v32, 2, v32
	v_add_nc_u32_e32 v33, v33, v34
	v_add_nc_u32_e32 v34, 1, v31
	;; [unrolled: 1-line block ×3, first 2 shown]
	v_cmp_lt_i32_e64 s6, v32, v33
	v_cndmask_b32_e64 v9, v9, v31, s6
	v_cndmask_b32_e64 v16, v34, v16, s6
	v_cmp_ge_u32_e64 s6, v16, v9
	s_or_b32 s8, s6, s8
	s_andn2_b32 exec_lo, exec_lo, s8
	s_cbranch_execnz .LBB428_350
; %bb.351:
	s_inst_prefetch 0x2
	s_or_b32 exec_lo, exec_lo, s8
.LBB428_352:
	s_or_b32 exec_lo, exec_lo, s7
	v_add_nc_u32_e32 v29, v14, v29
	v_add_nc_u32_e32 v28, v16, v28
	v_lshlrev_b32_e32 v9, 3, v0
	v_sub_nc_u32_e32 v29, v29, v16
	v_cmp_le_u32_e64 s6, v28, v14
	v_cmp_le_u32_e64 s7, v29, v15
	s_or_b32 s6, s6, s7
	s_and_saveexec_b32 s8, s6
	s_cbranch_execz .LBB428_388
; %bb.353:
	v_cmp_ge_u32_e64 s6, v28, v14
	s_mov_b32 s9, exec_lo
                                        ; implicit-def: $vgpr1
	v_cmpx_lt_u32_e64 v28, v14
; %bb.354:
	v_lshl_add_u32 v1, v16, 2, v27
	ds_read_b32 v1, v1
; %bb.355:
	s_or_b32 exec_lo, exec_lo, s9
	v_cmp_ge_u32_e64 s9, v29, v15
	s_mov_b32 s10, exec_lo
                                        ; implicit-def: $vgpr2
	v_cmpx_lt_u32_e64 v29, v15
; %bb.356:
	v_lshl_add_u32 v2, v29, 2, v10
	ds_read_b32 v2, v2
; %bb.357:
	s_or_b32 exec_lo, exec_lo, s10
	s_nor_b32 s6, s6, s9
	s_and_saveexec_b32 s7, s6
	s_cbranch_execz .LBB428_359
; %bb.358:
	s_waitcnt lgkmcnt(0)
	v_mul_hi_i32 v3, 0x66666667, v2
	v_mul_hi_i32 v4, 0x66666667, v1
	s_andn2_b32 s9, s9, exec_lo
	v_lshrrev_b32_e32 v5, 31, v3
	v_ashrrev_i32_e32 v3, 2, v3
	v_lshrrev_b32_e32 v6, 31, v4
	v_ashrrev_i32_e32 v4, 2, v4
	v_add_nc_u32_e32 v3, v3, v5
	v_add_nc_u32_e32 v4, v4, v6
	v_cmp_ge_i32_e64 s6, v3, v4
	s_and_b32 s6, s6, exec_lo
	s_or_b32 s9, s9, s6
.LBB428_359:
	s_or_b32 exec_lo, exec_lo, s7
	v_cndmask_b32_e64 v3, v29, v28, s9
	v_cndmask_b32_e64 v4, v15, v14, s9
	s_mov_b32 s7, -1
	s_mov_b32 s10, -1
	s_mov_b32 s11, exec_lo
	v_add_nc_u32_e32 v3, 1, v3
	v_add_nc_u32_e32 v4, -1, v4
	v_cndmask_b32_e64 v5, v28, v3, s9
	v_min_u32_e32 v4, v3, v4
	v_lshl_add_u32 v4, v4, 2, v10
	ds_read_b32 v6, v4
	v_cndmask_b32_e64 v4, v3, v29, s9
	s_waitcnt lgkmcnt(0)
	v_cndmask_b32_e64 v3, v6, v2, s9
	v_cndmask_b32_e64 v6, v1, v6, s9
	v_cmpx_lt_u32_e64 v4, v15
	s_cbranch_execz .LBB428_363
; %bb.360:
	s_mov_b32 s12, 0
	s_mov_b32 s10, exec_lo
	v_cmpx_lt_u32_e64 v5, v14
	s_cbranch_execz .LBB428_362
; %bb.361:
	v_mul_hi_i32 v7, 0x66666667, v3
	v_mul_hi_i32 v8, 0x66666667, v6
	v_lshrrev_b32_e32 v16, 31, v7
	v_ashrrev_i32_e32 v7, 2, v7
	v_lshrrev_b32_e32 v27, 31, v8
	v_ashrrev_i32_e32 v8, 2, v8
	v_add_nc_u32_e32 v7, v7, v16
	v_add_nc_u32_e32 v8, v8, v27
	v_cmp_ge_i32_e64 s6, v7, v8
	s_and_b32 s12, s6, exec_lo
.LBB428_362:
	s_or_b32 exec_lo, exec_lo, s10
	s_orn2_b32 s10, s12, exec_lo
.LBB428_363:
	s_or_b32 exec_lo, exec_lo, s11
	v_cndmask_b32_e64 v7, v4, v5, s10
	v_cndmask_b32_e64 v8, v15, v14, s10
	s_mov_b32 s11, exec_lo
	v_add_nc_u32_e32 v7, 1, v7
	v_add_nc_u32_e32 v8, -1, v8
	v_cndmask_b32_e64 v4, v7, v4, s10
	v_min_u32_e32 v8, v7, v8
	v_cndmask_b32_e64 v5, v5, v7, s10
	v_lshl_add_u32 v8, v8, 2, v10
	ds_read_b32 v8, v8
	s_waitcnt lgkmcnt(0)
	v_cndmask_b32_e64 v7, v8, v3, s10
	v_cndmask_b32_e64 v8, v6, v8, s10
	v_cmpx_lt_u32_e64 v4, v15
	s_cbranch_execz .LBB428_367
; %bb.364:
	s_mov_b32 s12, 0
	s_mov_b32 s7, exec_lo
	v_cmpx_lt_u32_e64 v5, v14
	s_cbranch_execz .LBB428_366
; %bb.365:
	v_mul_hi_i32 v16, 0x66666667, v7
	v_mul_hi_i32 v27, 0x66666667, v8
	v_lshrrev_b32_e32 v28, 31, v16
	v_ashrrev_i32_e32 v16, 2, v16
	v_lshrrev_b32_e32 v29, 31, v27
	v_ashrrev_i32_e32 v27, 2, v27
	v_add_nc_u32_e32 v16, v16, v28
	v_add_nc_u32_e32 v27, v27, v29
	v_cmp_ge_i32_e64 s6, v16, v27
	s_and_b32 s12, s6, exec_lo
.LBB428_366:
	s_or_b32 exec_lo, exec_lo, s7
	s_orn2_b32 s7, s12, exec_lo
.LBB428_367:
	s_or_b32 exec_lo, exec_lo, s11
	v_cndmask_b32_e64 v16, v4, v5, s7
	v_cndmask_b32_e64 v27, v15, v14, s7
	s_mov_b32 s11, -1
	s_mov_b32 s12, -1
	s_mov_b32 s13, exec_lo
	v_add_nc_u32_e32 v16, 1, v16
	v_add_nc_u32_e32 v27, -1, v27
	v_cndmask_b32_e64 v4, v16, v4, s7
	v_min_u32_e32 v27, v16, v27
	v_cndmask_b32_e64 v5, v5, v16, s7
	v_lshl_add_u32 v27, v27, 2, v10
	ds_read_b32 v27, v27
	s_waitcnt lgkmcnt(0)
	v_cndmask_b32_e64 v16, v27, v7, s7
	v_cndmask_b32_e64 v27, v8, v27, s7
	v_cmpx_lt_u32_e64 v4, v15
	s_cbranch_execz .LBB428_371
; %bb.368:
	s_mov_b32 s14, 0
	s_mov_b32 s12, exec_lo
	v_cmpx_lt_u32_e64 v5, v14
	s_cbranch_execz .LBB428_370
; %bb.369:
	v_mul_hi_i32 v28, 0x66666667, v16
	v_mul_hi_i32 v29, 0x66666667, v27
	v_lshrrev_b32_e32 v30, 31, v28
	v_ashrrev_i32_e32 v28, 2, v28
	v_lshrrev_b32_e32 v31, 31, v29
	v_ashrrev_i32_e32 v29, 2, v29
	v_add_nc_u32_e32 v28, v28, v30
	v_add_nc_u32_e32 v29, v29, v31
	v_cmp_ge_i32_e64 s6, v28, v29
	s_and_b32 s14, s6, exec_lo
.LBB428_370:
	s_or_b32 exec_lo, exec_lo, s12
	s_orn2_b32 s12, s14, exec_lo
.LBB428_371:
	s_or_b32 exec_lo, exec_lo, s13
	v_cndmask_b32_e64 v28, v4, v5, s12
	v_cndmask_b32_e64 v29, v15, v14, s12
	s_mov_b32 s13, exec_lo
	v_add_nc_u32_e32 v28, 1, v28
	v_add_nc_u32_e32 v29, -1, v29
	v_cndmask_b32_e64 v4, v28, v4, s12
	v_min_u32_e32 v29, v28, v29
	v_cndmask_b32_e64 v5, v5, v28, s12
	v_lshl_add_u32 v29, v29, 2, v10
	ds_read_b32 v29, v29
	s_waitcnt lgkmcnt(0)
	v_cndmask_b32_e64 v28, v29, v16, s12
	v_cndmask_b32_e64 v29, v27, v29, s12
	v_cmpx_lt_u32_e64 v4, v15
	s_cbranch_execz .LBB428_375
; %bb.372:
	s_mov_b32 s14, 0
	s_mov_b32 s11, exec_lo
	v_cmpx_lt_u32_e64 v5, v14
	s_cbranch_execz .LBB428_374
; %bb.373:
	v_mul_hi_i32 v30, 0x66666667, v28
	v_mul_hi_i32 v31, 0x66666667, v29
	v_lshrrev_b32_e32 v32, 31, v30
	v_ashrrev_i32_e32 v30, 2, v30
	v_lshrrev_b32_e32 v33, 31, v31
	v_ashrrev_i32_e32 v31, 2, v31
	v_add_nc_u32_e32 v30, v30, v32
	v_add_nc_u32_e32 v31, v31, v33
	v_cmp_ge_i32_e64 s6, v30, v31
	s_and_b32 s14, s6, exec_lo
.LBB428_374:
	s_or_b32 exec_lo, exec_lo, s11
	s_orn2_b32 s11, s14, exec_lo
.LBB428_375:
	s_or_b32 exec_lo, exec_lo, s13
	v_cndmask_b32_e64 v30, v4, v5, s11
	v_cndmask_b32_e64 v31, v15, v14, s11
	s_mov_b32 s13, -1
	s_mov_b32 s14, -1
	s_mov_b32 s19, exec_lo
	v_add_nc_u32_e32 v30, 1, v30
	v_add_nc_u32_e32 v31, -1, v31
	v_cndmask_b32_e64 v4, v30, v4, s11
	v_min_u32_e32 v31, v30, v31
	v_cndmask_b32_e64 v5, v5, v30, s11
	v_lshl_add_u32 v31, v31, 2, v10
	ds_read_b32 v31, v31
	s_waitcnt lgkmcnt(0)
	v_cndmask_b32_e64 v30, v31, v28, s11
	v_cndmask_b32_e64 v31, v29, v31, s11
	v_cmpx_lt_u32_e64 v4, v15
	s_cbranch_execz .LBB428_379
; %bb.376:
	s_mov_b32 s20, 0
	s_mov_b32 s14, exec_lo
	v_cmpx_lt_u32_e64 v5, v14
	s_cbranch_execz .LBB428_378
; %bb.377:
	v_mul_hi_i32 v32, 0x66666667, v30
	v_mul_hi_i32 v33, 0x66666667, v31
	v_lshrrev_b32_e32 v34, 31, v32
	v_ashrrev_i32_e32 v32, 2, v32
	v_lshrrev_b32_e32 v35, 31, v33
	v_ashrrev_i32_e32 v33, 2, v33
	v_add_nc_u32_e32 v32, v32, v34
	v_add_nc_u32_e32 v33, v33, v35
	v_cmp_ge_i32_e64 s6, v32, v33
	s_and_b32 s20, s6, exec_lo
.LBB428_378:
	s_or_b32 exec_lo, exec_lo, s14
	s_orn2_b32 s14, s20, exec_lo
.LBB428_379:
	s_or_b32 exec_lo, exec_lo, s19
	v_cndmask_b32_e64 v32, v4, v5, s14
	v_cndmask_b32_e64 v33, v15, v14, s14
	s_mov_b32 s19, exec_lo
	v_add_nc_u32_e32 v32, 1, v32
	v_add_nc_u32_e32 v33, -1, v33
	v_cndmask_b32_e64 v4, v32, v4, s14
	v_min_u32_e32 v33, v32, v33
	v_cndmask_b32_e64 v5, v5, v32, s14
	v_lshl_add_u32 v33, v33, 2, v10
	ds_read_b32 v33, v33
	s_waitcnt lgkmcnt(0)
	v_cndmask_b32_e64 v32, v33, v30, s14
	v_cndmask_b32_e64 v33, v31, v33, s14
	v_cmpx_lt_u32_e64 v4, v15
	s_cbranch_execz .LBB428_383
; %bb.380:
	s_mov_b32 s20, 0
	s_mov_b32 s13, exec_lo
	v_cmpx_lt_u32_e64 v5, v14
	s_cbranch_execz .LBB428_382
; %bb.381:
	v_mul_hi_i32 v34, 0x66666667, v32
	v_mul_hi_i32 v35, 0x66666667, v33
	v_lshrrev_b32_e32 v36, 31, v34
	v_ashrrev_i32_e32 v34, 2, v34
	v_lshrrev_b32_e32 v37, 31, v35
	v_ashrrev_i32_e32 v35, 2, v35
	v_add_nc_u32_e32 v34, v34, v36
	v_add_nc_u32_e32 v35, v35, v37
	v_cmp_ge_i32_e64 s6, v34, v35
	s_and_b32 s20, s6, exec_lo
.LBB428_382:
	s_or_b32 exec_lo, exec_lo, s13
	s_orn2_b32 s13, s20, exec_lo
.LBB428_383:
	s_or_b32 exec_lo, exec_lo, s19
	v_cndmask_b32_e64 v34, v4, v5, s13
	v_cndmask_b32_e64 v35, v15, v14, s13
	s_mov_b32 s19, exec_lo
	v_add_nc_u32_e32 v34, 1, v34
	v_add_nc_u32_e32 v35, -1, v35
	v_cndmask_b32_e64 v36, v34, v4, s13
	v_min_u32_e32 v35, v34, v35
	v_lshl_add_u32 v35, v35, 2, v10
	ds_read_b32 v35, v35
	s_waitcnt lgkmcnt(0)
	v_cndmask_b32_e64 v4, v33, v35, s13
	v_cmpx_lt_u32_e64 v36, v15
	s_cbranch_execz .LBB428_387
; %bb.384:
	v_cndmask_b32_e64 v15, v5, v34, s13
	v_cndmask_b32_e64 v5, v35, v32, s13
	s_mov_b32 s20, exec_lo
	v_cmpx_lt_u32_e64 v15, v14
	s_cbranch_execz .LBB428_386
; %bb.385:
	v_mul_hi_i32 v14, 0x66666667, v5
	v_mul_hi_i32 v15, 0x66666667, v4
	v_lshrrev_b32_e32 v34, 31, v14
	v_ashrrev_i32_e32 v14, 2, v14
	v_lshrrev_b32_e32 v35, 31, v15
	v_ashrrev_i32_e32 v15, 2, v15
	v_add_nc_u32_e32 v14, v14, v34
	v_add_nc_u32_e32 v15, v15, v35
	v_cmp_lt_i32_e64 s6, v14, v15
	v_cndmask_b32_e64 v5, v4, v5, s6
.LBB428_386:
	s_or_b32 exec_lo, exec_lo, s20
	v_mov_b32_e32 v4, v5
.LBB428_387:
	s_or_b32 exec_lo, exec_lo, s19
	v_cndmask_b32_e64 v5, v2, v1, s9
	v_cndmask_b32_e64 v6, v3, v6, s10
	;; [unrolled: 1-line block ×7, first 2 shown]
.LBB428_388:
	s_or_b32 exec_lo, exec_lo, s8
	v_and_b32_e32 v28, 0xe0, v11
	v_and_b32_e32 v16, 24, v11
	s_mov_b32 s7, exec_lo
	; wave barrier
	v_or_b32_e32 v14, 16, v28
	v_min_u32_e32 v29, v12, v16
	ds_write_b128 v13, v[5:8]
	ds_write_b128 v13, v[1:4] offset:16
	; wave barrier
	v_min_u32_e32 v14, v12, v14
	v_add_nc_u32_e32 v15, 16, v14
	v_sub_nc_u32_e32 v27, v14, v28
	v_min_u32_e32 v15, v12, v15
	v_min_u32_e32 v30, v29, v27
	v_lshl_add_u32 v27, v28, 2, v10
	v_sub_nc_u32_e32 v16, v15, v14
	v_sub_nc_u32_e64 v16, v29, v16 clamp
	v_cmpx_lt_u32_e64 v16, v30
	s_cbranch_execz .LBB428_392
; %bb.389:
	v_lshlrev_b32_e32 v31, 2, v14
	v_lshlrev_b32_e32 v32, 2, v29
	s_mov_b32 s8, 0
	v_add3_u32 v31, v10, v31, v32
	s_inst_prefetch 0x1
	.p2align	6
.LBB428_390:                            ; =>This Inner Loop Header: Depth=1
	v_add_nc_u32_e32 v32, v30, v16
	v_lshrrev_b32_e32 v32, 1, v32
	v_not_b32_e32 v33, v32
	v_lshl_add_u32 v34, v32, 2, v27
	v_lshl_add_u32 v33, v33, 2, v31
	ds_read_b32 v34, v34
	ds_read_b32 v33, v33
	s_waitcnt lgkmcnt(1)
	v_mul_hi_i32 v34, 0x66666667, v34
	s_waitcnt lgkmcnt(0)
	v_mul_hi_i32 v33, 0x66666667, v33
	v_lshrrev_b32_e32 v35, 31, v34
	v_ashrrev_i32_e32 v34, 2, v34
	v_lshrrev_b32_e32 v36, 31, v33
	v_ashrrev_i32_e32 v33, 2, v33
	v_add_nc_u32_e32 v34, v34, v35
	v_add_nc_u32_e32 v35, 1, v32
	;; [unrolled: 1-line block ×3, first 2 shown]
	v_cmp_lt_i32_e64 s6, v33, v34
	v_cndmask_b32_e64 v30, v30, v32, s6
	v_cndmask_b32_e64 v16, v35, v16, s6
	v_cmp_ge_u32_e64 s6, v16, v30
	s_or_b32 s8, s6, s8
	s_andn2_b32 exec_lo, exec_lo, s8
	s_cbranch_execnz .LBB428_390
; %bb.391:
	s_inst_prefetch 0x2
	s_or_b32 exec_lo, exec_lo, s8
.LBB428_392:
	s_or_b32 exec_lo, exec_lo, s7
	v_add_nc_u32_e32 v29, v14, v29
	v_add_nc_u32_e32 v28, v16, v28
	v_sub_nc_u32_e32 v29, v29, v16
	v_cmp_le_u32_e64 s6, v28, v14
	v_cmp_le_u32_e64 s7, v29, v15
	s_or_b32 s6, s6, s7
	s_and_saveexec_b32 s8, s6
	s_cbranch_execz .LBB428_428
; %bb.393:
	v_cmp_ge_u32_e64 s6, v28, v14
	s_mov_b32 s9, exec_lo
                                        ; implicit-def: $vgpr1
	v_cmpx_lt_u32_e64 v28, v14
; %bb.394:
	v_lshl_add_u32 v1, v16, 2, v27
	ds_read_b32 v1, v1
; %bb.395:
	s_or_b32 exec_lo, exec_lo, s9
	v_cmp_ge_u32_e64 s9, v29, v15
	s_mov_b32 s10, exec_lo
                                        ; implicit-def: $vgpr2
	v_cmpx_lt_u32_e64 v29, v15
; %bb.396:
	v_lshl_add_u32 v2, v29, 2, v10
	ds_read_b32 v2, v2
; %bb.397:
	s_or_b32 exec_lo, exec_lo, s10
	s_nor_b32 s6, s6, s9
	s_and_saveexec_b32 s7, s6
	s_cbranch_execz .LBB428_399
; %bb.398:
	s_waitcnt lgkmcnt(0)
	v_mul_hi_i32 v3, 0x66666667, v2
	v_mul_hi_i32 v4, 0x66666667, v1
	s_andn2_b32 s9, s9, exec_lo
	v_lshrrev_b32_e32 v5, 31, v3
	v_ashrrev_i32_e32 v3, 2, v3
	v_lshrrev_b32_e32 v6, 31, v4
	v_ashrrev_i32_e32 v4, 2, v4
	v_add_nc_u32_e32 v3, v3, v5
	v_add_nc_u32_e32 v4, v4, v6
	v_cmp_ge_i32_e64 s6, v3, v4
	s_and_b32 s6, s6, exec_lo
	s_or_b32 s9, s9, s6
.LBB428_399:
	s_or_b32 exec_lo, exec_lo, s7
	v_cndmask_b32_e64 v3, v29, v28, s9
	v_cndmask_b32_e64 v4, v15, v14, s9
	s_mov_b32 s7, -1
	s_mov_b32 s10, -1
	s_mov_b32 s11, exec_lo
	v_add_nc_u32_e32 v3, 1, v3
	v_add_nc_u32_e32 v4, -1, v4
	v_cndmask_b32_e64 v5, v28, v3, s9
	v_min_u32_e32 v4, v3, v4
	v_lshl_add_u32 v4, v4, 2, v10
	ds_read_b32 v6, v4
	v_cndmask_b32_e64 v4, v3, v29, s9
	s_waitcnt lgkmcnt(0)
	v_cndmask_b32_e64 v3, v6, v2, s9
	v_cndmask_b32_e64 v6, v1, v6, s9
	v_cmpx_lt_u32_e64 v4, v15
	s_cbranch_execz .LBB428_403
; %bb.400:
	s_mov_b32 s12, 0
	s_mov_b32 s10, exec_lo
	v_cmpx_lt_u32_e64 v5, v14
	s_cbranch_execz .LBB428_402
; %bb.401:
	v_mul_hi_i32 v7, 0x66666667, v3
	v_mul_hi_i32 v8, 0x66666667, v6
	v_lshrrev_b32_e32 v16, 31, v7
	v_ashrrev_i32_e32 v7, 2, v7
	v_lshrrev_b32_e32 v27, 31, v8
	v_ashrrev_i32_e32 v8, 2, v8
	v_add_nc_u32_e32 v7, v7, v16
	v_add_nc_u32_e32 v8, v8, v27
	v_cmp_ge_i32_e64 s6, v7, v8
	s_and_b32 s12, s6, exec_lo
.LBB428_402:
	s_or_b32 exec_lo, exec_lo, s10
	s_orn2_b32 s10, s12, exec_lo
.LBB428_403:
	s_or_b32 exec_lo, exec_lo, s11
	v_cndmask_b32_e64 v7, v4, v5, s10
	v_cndmask_b32_e64 v8, v15, v14, s10
	s_mov_b32 s11, exec_lo
	v_add_nc_u32_e32 v7, 1, v7
	v_add_nc_u32_e32 v8, -1, v8
	v_cndmask_b32_e64 v4, v7, v4, s10
	v_min_u32_e32 v8, v7, v8
	v_cndmask_b32_e64 v5, v5, v7, s10
	v_lshl_add_u32 v8, v8, 2, v10
	ds_read_b32 v8, v8
	s_waitcnt lgkmcnt(0)
	v_cndmask_b32_e64 v7, v8, v3, s10
	v_cndmask_b32_e64 v8, v6, v8, s10
	v_cmpx_lt_u32_e64 v4, v15
	s_cbranch_execz .LBB428_407
; %bb.404:
	s_mov_b32 s12, 0
	s_mov_b32 s7, exec_lo
	v_cmpx_lt_u32_e64 v5, v14
	s_cbranch_execz .LBB428_406
; %bb.405:
	v_mul_hi_i32 v16, 0x66666667, v7
	v_mul_hi_i32 v27, 0x66666667, v8
	v_lshrrev_b32_e32 v28, 31, v16
	v_ashrrev_i32_e32 v16, 2, v16
	v_lshrrev_b32_e32 v29, 31, v27
	v_ashrrev_i32_e32 v27, 2, v27
	v_add_nc_u32_e32 v16, v16, v28
	v_add_nc_u32_e32 v27, v27, v29
	v_cmp_ge_i32_e64 s6, v16, v27
	s_and_b32 s12, s6, exec_lo
.LBB428_406:
	s_or_b32 exec_lo, exec_lo, s7
	s_orn2_b32 s7, s12, exec_lo
.LBB428_407:
	s_or_b32 exec_lo, exec_lo, s11
	v_cndmask_b32_e64 v16, v4, v5, s7
	v_cndmask_b32_e64 v27, v15, v14, s7
	s_mov_b32 s11, -1
	s_mov_b32 s12, -1
	s_mov_b32 s13, exec_lo
	v_add_nc_u32_e32 v16, 1, v16
	v_add_nc_u32_e32 v27, -1, v27
	v_cndmask_b32_e64 v4, v16, v4, s7
	v_min_u32_e32 v27, v16, v27
	v_cndmask_b32_e64 v5, v5, v16, s7
	v_lshl_add_u32 v27, v27, 2, v10
	ds_read_b32 v27, v27
	s_waitcnt lgkmcnt(0)
	v_cndmask_b32_e64 v16, v27, v7, s7
	v_cndmask_b32_e64 v27, v8, v27, s7
	v_cmpx_lt_u32_e64 v4, v15
	s_cbranch_execz .LBB428_411
; %bb.408:
	s_mov_b32 s14, 0
	s_mov_b32 s12, exec_lo
	v_cmpx_lt_u32_e64 v5, v14
	s_cbranch_execz .LBB428_410
; %bb.409:
	v_mul_hi_i32 v28, 0x66666667, v16
	v_mul_hi_i32 v29, 0x66666667, v27
	v_lshrrev_b32_e32 v30, 31, v28
	v_ashrrev_i32_e32 v28, 2, v28
	v_lshrrev_b32_e32 v31, 31, v29
	v_ashrrev_i32_e32 v29, 2, v29
	v_add_nc_u32_e32 v28, v28, v30
	v_add_nc_u32_e32 v29, v29, v31
	v_cmp_ge_i32_e64 s6, v28, v29
	s_and_b32 s14, s6, exec_lo
.LBB428_410:
	s_or_b32 exec_lo, exec_lo, s12
	s_orn2_b32 s12, s14, exec_lo
.LBB428_411:
	s_or_b32 exec_lo, exec_lo, s13
	v_cndmask_b32_e64 v28, v4, v5, s12
	v_cndmask_b32_e64 v29, v15, v14, s12
	s_mov_b32 s13, exec_lo
	v_add_nc_u32_e32 v28, 1, v28
	v_add_nc_u32_e32 v29, -1, v29
	v_cndmask_b32_e64 v4, v28, v4, s12
	v_min_u32_e32 v29, v28, v29
	v_cndmask_b32_e64 v5, v5, v28, s12
	v_lshl_add_u32 v29, v29, 2, v10
	ds_read_b32 v29, v29
	s_waitcnt lgkmcnt(0)
	v_cndmask_b32_e64 v28, v29, v16, s12
	v_cndmask_b32_e64 v29, v27, v29, s12
	v_cmpx_lt_u32_e64 v4, v15
	s_cbranch_execz .LBB428_415
; %bb.412:
	s_mov_b32 s14, 0
	s_mov_b32 s11, exec_lo
	v_cmpx_lt_u32_e64 v5, v14
	s_cbranch_execz .LBB428_414
; %bb.413:
	v_mul_hi_i32 v30, 0x66666667, v28
	v_mul_hi_i32 v31, 0x66666667, v29
	v_lshrrev_b32_e32 v32, 31, v30
	v_ashrrev_i32_e32 v30, 2, v30
	v_lshrrev_b32_e32 v33, 31, v31
	v_ashrrev_i32_e32 v31, 2, v31
	v_add_nc_u32_e32 v30, v30, v32
	v_add_nc_u32_e32 v31, v31, v33
	v_cmp_ge_i32_e64 s6, v30, v31
	s_and_b32 s14, s6, exec_lo
.LBB428_414:
	s_or_b32 exec_lo, exec_lo, s11
	s_orn2_b32 s11, s14, exec_lo
.LBB428_415:
	s_or_b32 exec_lo, exec_lo, s13
	v_cndmask_b32_e64 v30, v4, v5, s11
	v_cndmask_b32_e64 v31, v15, v14, s11
	s_mov_b32 s13, -1
	s_mov_b32 s14, -1
	s_mov_b32 s19, exec_lo
	v_add_nc_u32_e32 v30, 1, v30
	v_add_nc_u32_e32 v31, -1, v31
	v_cndmask_b32_e64 v4, v30, v4, s11
	v_min_u32_e32 v31, v30, v31
	v_cndmask_b32_e64 v5, v5, v30, s11
	v_lshl_add_u32 v31, v31, 2, v10
	ds_read_b32 v31, v31
	s_waitcnt lgkmcnt(0)
	v_cndmask_b32_e64 v30, v31, v28, s11
	v_cndmask_b32_e64 v31, v29, v31, s11
	v_cmpx_lt_u32_e64 v4, v15
	s_cbranch_execz .LBB428_419
; %bb.416:
	s_mov_b32 s20, 0
	s_mov_b32 s14, exec_lo
	v_cmpx_lt_u32_e64 v5, v14
	s_cbranch_execz .LBB428_418
; %bb.417:
	v_mul_hi_i32 v32, 0x66666667, v30
	v_mul_hi_i32 v33, 0x66666667, v31
	v_lshrrev_b32_e32 v34, 31, v32
	v_ashrrev_i32_e32 v32, 2, v32
	v_lshrrev_b32_e32 v35, 31, v33
	v_ashrrev_i32_e32 v33, 2, v33
	v_add_nc_u32_e32 v32, v32, v34
	v_add_nc_u32_e32 v33, v33, v35
	v_cmp_ge_i32_e64 s6, v32, v33
	s_and_b32 s20, s6, exec_lo
.LBB428_418:
	s_or_b32 exec_lo, exec_lo, s14
	s_orn2_b32 s14, s20, exec_lo
.LBB428_419:
	s_or_b32 exec_lo, exec_lo, s19
	v_cndmask_b32_e64 v32, v4, v5, s14
	v_cndmask_b32_e64 v33, v15, v14, s14
	s_mov_b32 s19, exec_lo
	v_add_nc_u32_e32 v32, 1, v32
	v_add_nc_u32_e32 v33, -1, v33
	v_cndmask_b32_e64 v4, v32, v4, s14
	v_min_u32_e32 v33, v32, v33
	v_cndmask_b32_e64 v5, v5, v32, s14
	v_lshl_add_u32 v33, v33, 2, v10
	ds_read_b32 v33, v33
	s_waitcnt lgkmcnt(0)
	v_cndmask_b32_e64 v32, v33, v30, s14
	v_cndmask_b32_e64 v33, v31, v33, s14
	v_cmpx_lt_u32_e64 v4, v15
	s_cbranch_execz .LBB428_423
; %bb.420:
	s_mov_b32 s20, 0
	s_mov_b32 s13, exec_lo
	v_cmpx_lt_u32_e64 v5, v14
	s_cbranch_execz .LBB428_422
; %bb.421:
	v_mul_hi_i32 v34, 0x66666667, v32
	v_mul_hi_i32 v35, 0x66666667, v33
	v_lshrrev_b32_e32 v36, 31, v34
	v_ashrrev_i32_e32 v34, 2, v34
	v_lshrrev_b32_e32 v37, 31, v35
	v_ashrrev_i32_e32 v35, 2, v35
	v_add_nc_u32_e32 v34, v34, v36
	v_add_nc_u32_e32 v35, v35, v37
	v_cmp_ge_i32_e64 s6, v34, v35
	s_and_b32 s20, s6, exec_lo
.LBB428_422:
	s_or_b32 exec_lo, exec_lo, s13
	s_orn2_b32 s13, s20, exec_lo
.LBB428_423:
	s_or_b32 exec_lo, exec_lo, s19
	v_cndmask_b32_e64 v34, v4, v5, s13
	v_cndmask_b32_e64 v35, v15, v14, s13
	s_mov_b32 s19, exec_lo
	v_add_nc_u32_e32 v34, 1, v34
	v_add_nc_u32_e32 v35, -1, v35
	v_cndmask_b32_e64 v36, v34, v4, s13
	v_min_u32_e32 v35, v34, v35
	v_lshl_add_u32 v35, v35, 2, v10
	ds_read_b32 v35, v35
	s_waitcnt lgkmcnt(0)
	v_cndmask_b32_e64 v4, v33, v35, s13
	v_cmpx_lt_u32_e64 v36, v15
	s_cbranch_execz .LBB428_427
; %bb.424:
	v_cndmask_b32_e64 v15, v5, v34, s13
	v_cndmask_b32_e64 v5, v35, v32, s13
	s_mov_b32 s20, exec_lo
	v_cmpx_lt_u32_e64 v15, v14
	s_cbranch_execz .LBB428_426
; %bb.425:
	v_mul_hi_i32 v14, 0x66666667, v5
	v_mul_hi_i32 v15, 0x66666667, v4
	v_lshrrev_b32_e32 v34, 31, v14
	v_ashrrev_i32_e32 v14, 2, v14
	v_lshrrev_b32_e32 v35, 31, v15
	v_ashrrev_i32_e32 v15, 2, v15
	v_add_nc_u32_e32 v14, v14, v34
	v_add_nc_u32_e32 v15, v15, v35
	v_cmp_lt_i32_e64 s6, v14, v15
	v_cndmask_b32_e64 v5, v4, v5, s6
.LBB428_426:
	s_or_b32 exec_lo, exec_lo, s20
	v_mov_b32_e32 v4, v5
.LBB428_427:
	s_or_b32 exec_lo, exec_lo, s19
	v_cndmask_b32_e64 v5, v2, v1, s9
	v_cndmask_b32_e64 v6, v3, v6, s10
	;; [unrolled: 1-line block ×7, first 2 shown]
.LBB428_428:
	s_or_b32 exec_lo, exec_lo, s8
	v_and_b32_e32 v28, 0xc0, v11
	v_and_b32_e32 v16, 56, v11
	s_mov_b32 s7, exec_lo
	; wave barrier
	v_or_b32_e32 v14, 32, v28
	v_min_u32_e32 v29, v12, v16
	ds_write_b128 v13, v[5:8]
	ds_write_b128 v13, v[1:4] offset:16
	; wave barrier
	v_min_u32_e32 v14, v12, v14
	v_add_nc_u32_e32 v15, 32, v14
	v_sub_nc_u32_e32 v27, v14, v28
	v_min_u32_e32 v15, v12, v15
	v_min_u32_e32 v30, v29, v27
	v_lshl_add_u32 v27, v28, 2, v10
	v_sub_nc_u32_e32 v16, v15, v14
	v_sub_nc_u32_e64 v16, v29, v16 clamp
	v_cmpx_lt_u32_e64 v16, v30
	s_cbranch_execz .LBB428_432
; %bb.429:
	v_lshlrev_b32_e32 v31, 2, v14
	v_lshlrev_b32_e32 v32, 2, v29
	s_mov_b32 s8, 0
	v_add3_u32 v31, v10, v31, v32
	s_inst_prefetch 0x1
	.p2align	6
.LBB428_430:                            ; =>This Inner Loop Header: Depth=1
	v_add_nc_u32_e32 v32, v30, v16
	v_lshrrev_b32_e32 v32, 1, v32
	v_not_b32_e32 v33, v32
	v_lshl_add_u32 v34, v32, 2, v27
	v_lshl_add_u32 v33, v33, 2, v31
	ds_read_b32 v34, v34
	ds_read_b32 v33, v33
	s_waitcnt lgkmcnt(1)
	v_mul_hi_i32 v34, 0x66666667, v34
	s_waitcnt lgkmcnt(0)
	v_mul_hi_i32 v33, 0x66666667, v33
	v_lshrrev_b32_e32 v35, 31, v34
	v_ashrrev_i32_e32 v34, 2, v34
	v_lshrrev_b32_e32 v36, 31, v33
	v_ashrrev_i32_e32 v33, 2, v33
	v_add_nc_u32_e32 v34, v34, v35
	v_add_nc_u32_e32 v35, 1, v32
	v_add_nc_u32_e32 v33, v33, v36
	v_cmp_lt_i32_e64 s6, v33, v34
	v_cndmask_b32_e64 v30, v30, v32, s6
	v_cndmask_b32_e64 v16, v35, v16, s6
	v_cmp_ge_u32_e64 s6, v16, v30
	s_or_b32 s8, s6, s8
	s_andn2_b32 exec_lo, exec_lo, s8
	s_cbranch_execnz .LBB428_430
; %bb.431:
	s_inst_prefetch 0x2
	s_or_b32 exec_lo, exec_lo, s8
.LBB428_432:
	s_or_b32 exec_lo, exec_lo, s7
	v_add_nc_u32_e32 v29, v14, v29
	v_add_nc_u32_e32 v28, v16, v28
	v_sub_nc_u32_e32 v29, v29, v16
	v_cmp_le_u32_e64 s6, v28, v14
	v_cmp_le_u32_e64 s7, v29, v15
	s_or_b32 s6, s6, s7
	s_and_saveexec_b32 s8, s6
	s_cbranch_execz .LBB428_468
; %bb.433:
	v_cmp_ge_u32_e64 s6, v28, v14
	s_mov_b32 s9, exec_lo
                                        ; implicit-def: $vgpr1
	v_cmpx_lt_u32_e64 v28, v14
; %bb.434:
	v_lshl_add_u32 v1, v16, 2, v27
	ds_read_b32 v1, v1
; %bb.435:
	s_or_b32 exec_lo, exec_lo, s9
	v_cmp_ge_u32_e64 s9, v29, v15
	s_mov_b32 s10, exec_lo
                                        ; implicit-def: $vgpr2
	v_cmpx_lt_u32_e64 v29, v15
; %bb.436:
	v_lshl_add_u32 v2, v29, 2, v10
	ds_read_b32 v2, v2
; %bb.437:
	s_or_b32 exec_lo, exec_lo, s10
	s_nor_b32 s6, s6, s9
	s_and_saveexec_b32 s7, s6
	s_cbranch_execz .LBB428_439
; %bb.438:
	s_waitcnt lgkmcnt(0)
	v_mul_hi_i32 v3, 0x66666667, v2
	v_mul_hi_i32 v4, 0x66666667, v1
	s_andn2_b32 s9, s9, exec_lo
	v_lshrrev_b32_e32 v5, 31, v3
	v_ashrrev_i32_e32 v3, 2, v3
	v_lshrrev_b32_e32 v6, 31, v4
	v_ashrrev_i32_e32 v4, 2, v4
	v_add_nc_u32_e32 v3, v3, v5
	v_add_nc_u32_e32 v4, v4, v6
	v_cmp_ge_i32_e64 s6, v3, v4
	s_and_b32 s6, s6, exec_lo
	s_or_b32 s9, s9, s6
.LBB428_439:
	s_or_b32 exec_lo, exec_lo, s7
	v_cndmask_b32_e64 v3, v29, v28, s9
	v_cndmask_b32_e64 v4, v15, v14, s9
	s_mov_b32 s7, -1
	s_mov_b32 s10, -1
	s_mov_b32 s11, exec_lo
	v_add_nc_u32_e32 v3, 1, v3
	v_add_nc_u32_e32 v4, -1, v4
	v_cndmask_b32_e64 v5, v28, v3, s9
	v_min_u32_e32 v4, v3, v4
	v_lshl_add_u32 v4, v4, 2, v10
	ds_read_b32 v6, v4
	v_cndmask_b32_e64 v4, v3, v29, s9
	s_waitcnt lgkmcnt(0)
	v_cndmask_b32_e64 v3, v6, v2, s9
	v_cndmask_b32_e64 v6, v1, v6, s9
	v_cmpx_lt_u32_e64 v4, v15
	s_cbranch_execz .LBB428_443
; %bb.440:
	s_mov_b32 s12, 0
	s_mov_b32 s10, exec_lo
	v_cmpx_lt_u32_e64 v5, v14
	s_cbranch_execz .LBB428_442
; %bb.441:
	v_mul_hi_i32 v7, 0x66666667, v3
	v_mul_hi_i32 v8, 0x66666667, v6
	v_lshrrev_b32_e32 v16, 31, v7
	v_ashrrev_i32_e32 v7, 2, v7
	v_lshrrev_b32_e32 v27, 31, v8
	v_ashrrev_i32_e32 v8, 2, v8
	v_add_nc_u32_e32 v7, v7, v16
	v_add_nc_u32_e32 v8, v8, v27
	v_cmp_ge_i32_e64 s6, v7, v8
	s_and_b32 s12, s6, exec_lo
.LBB428_442:
	s_or_b32 exec_lo, exec_lo, s10
	s_orn2_b32 s10, s12, exec_lo
.LBB428_443:
	s_or_b32 exec_lo, exec_lo, s11
	v_cndmask_b32_e64 v7, v4, v5, s10
	v_cndmask_b32_e64 v8, v15, v14, s10
	s_mov_b32 s11, exec_lo
	v_add_nc_u32_e32 v7, 1, v7
	v_add_nc_u32_e32 v8, -1, v8
	v_cndmask_b32_e64 v4, v7, v4, s10
	v_min_u32_e32 v8, v7, v8
	v_cndmask_b32_e64 v5, v5, v7, s10
	v_lshl_add_u32 v8, v8, 2, v10
	ds_read_b32 v8, v8
	s_waitcnt lgkmcnt(0)
	v_cndmask_b32_e64 v7, v8, v3, s10
	v_cndmask_b32_e64 v8, v6, v8, s10
	v_cmpx_lt_u32_e64 v4, v15
	s_cbranch_execz .LBB428_447
; %bb.444:
	s_mov_b32 s12, 0
	s_mov_b32 s7, exec_lo
	v_cmpx_lt_u32_e64 v5, v14
	s_cbranch_execz .LBB428_446
; %bb.445:
	v_mul_hi_i32 v16, 0x66666667, v7
	v_mul_hi_i32 v27, 0x66666667, v8
	v_lshrrev_b32_e32 v28, 31, v16
	v_ashrrev_i32_e32 v16, 2, v16
	v_lshrrev_b32_e32 v29, 31, v27
	v_ashrrev_i32_e32 v27, 2, v27
	v_add_nc_u32_e32 v16, v16, v28
	v_add_nc_u32_e32 v27, v27, v29
	v_cmp_ge_i32_e64 s6, v16, v27
	s_and_b32 s12, s6, exec_lo
.LBB428_446:
	s_or_b32 exec_lo, exec_lo, s7
	s_orn2_b32 s7, s12, exec_lo
.LBB428_447:
	s_or_b32 exec_lo, exec_lo, s11
	v_cndmask_b32_e64 v16, v4, v5, s7
	v_cndmask_b32_e64 v27, v15, v14, s7
	s_mov_b32 s11, -1
	s_mov_b32 s12, -1
	s_mov_b32 s13, exec_lo
	v_add_nc_u32_e32 v16, 1, v16
	v_add_nc_u32_e32 v27, -1, v27
	v_cndmask_b32_e64 v4, v16, v4, s7
	v_min_u32_e32 v27, v16, v27
	v_cndmask_b32_e64 v5, v5, v16, s7
	v_lshl_add_u32 v27, v27, 2, v10
	ds_read_b32 v27, v27
	s_waitcnt lgkmcnt(0)
	v_cndmask_b32_e64 v16, v27, v7, s7
	v_cndmask_b32_e64 v27, v8, v27, s7
	v_cmpx_lt_u32_e64 v4, v15
	s_cbranch_execz .LBB428_451
; %bb.448:
	s_mov_b32 s14, 0
	s_mov_b32 s12, exec_lo
	v_cmpx_lt_u32_e64 v5, v14
	s_cbranch_execz .LBB428_450
; %bb.449:
	v_mul_hi_i32 v28, 0x66666667, v16
	v_mul_hi_i32 v29, 0x66666667, v27
	v_lshrrev_b32_e32 v30, 31, v28
	v_ashrrev_i32_e32 v28, 2, v28
	v_lshrrev_b32_e32 v31, 31, v29
	v_ashrrev_i32_e32 v29, 2, v29
	v_add_nc_u32_e32 v28, v28, v30
	v_add_nc_u32_e32 v29, v29, v31
	v_cmp_ge_i32_e64 s6, v28, v29
	s_and_b32 s14, s6, exec_lo
.LBB428_450:
	s_or_b32 exec_lo, exec_lo, s12
	s_orn2_b32 s12, s14, exec_lo
.LBB428_451:
	s_or_b32 exec_lo, exec_lo, s13
	v_cndmask_b32_e64 v28, v4, v5, s12
	v_cndmask_b32_e64 v29, v15, v14, s12
	s_mov_b32 s13, exec_lo
	v_add_nc_u32_e32 v28, 1, v28
	v_add_nc_u32_e32 v29, -1, v29
	v_cndmask_b32_e64 v4, v28, v4, s12
	v_min_u32_e32 v29, v28, v29
	v_cndmask_b32_e64 v5, v5, v28, s12
	v_lshl_add_u32 v29, v29, 2, v10
	ds_read_b32 v29, v29
	s_waitcnt lgkmcnt(0)
	v_cndmask_b32_e64 v28, v29, v16, s12
	v_cndmask_b32_e64 v29, v27, v29, s12
	v_cmpx_lt_u32_e64 v4, v15
	s_cbranch_execz .LBB428_455
; %bb.452:
	s_mov_b32 s14, 0
	s_mov_b32 s11, exec_lo
	v_cmpx_lt_u32_e64 v5, v14
	s_cbranch_execz .LBB428_454
; %bb.453:
	v_mul_hi_i32 v30, 0x66666667, v28
	v_mul_hi_i32 v31, 0x66666667, v29
	v_lshrrev_b32_e32 v32, 31, v30
	v_ashrrev_i32_e32 v30, 2, v30
	v_lshrrev_b32_e32 v33, 31, v31
	v_ashrrev_i32_e32 v31, 2, v31
	v_add_nc_u32_e32 v30, v30, v32
	v_add_nc_u32_e32 v31, v31, v33
	v_cmp_ge_i32_e64 s6, v30, v31
	s_and_b32 s14, s6, exec_lo
.LBB428_454:
	s_or_b32 exec_lo, exec_lo, s11
	s_orn2_b32 s11, s14, exec_lo
.LBB428_455:
	s_or_b32 exec_lo, exec_lo, s13
	v_cndmask_b32_e64 v30, v4, v5, s11
	v_cndmask_b32_e64 v31, v15, v14, s11
	s_mov_b32 s13, -1
	s_mov_b32 s14, -1
	s_mov_b32 s19, exec_lo
	v_add_nc_u32_e32 v30, 1, v30
	v_add_nc_u32_e32 v31, -1, v31
	v_cndmask_b32_e64 v4, v30, v4, s11
	v_min_u32_e32 v31, v30, v31
	v_cndmask_b32_e64 v5, v5, v30, s11
	v_lshl_add_u32 v31, v31, 2, v10
	ds_read_b32 v31, v31
	s_waitcnt lgkmcnt(0)
	v_cndmask_b32_e64 v30, v31, v28, s11
	v_cndmask_b32_e64 v31, v29, v31, s11
	v_cmpx_lt_u32_e64 v4, v15
	s_cbranch_execz .LBB428_459
; %bb.456:
	s_mov_b32 s20, 0
	s_mov_b32 s14, exec_lo
	v_cmpx_lt_u32_e64 v5, v14
	s_cbranch_execz .LBB428_458
; %bb.457:
	v_mul_hi_i32 v32, 0x66666667, v30
	v_mul_hi_i32 v33, 0x66666667, v31
	v_lshrrev_b32_e32 v34, 31, v32
	v_ashrrev_i32_e32 v32, 2, v32
	v_lshrrev_b32_e32 v35, 31, v33
	v_ashrrev_i32_e32 v33, 2, v33
	v_add_nc_u32_e32 v32, v32, v34
	v_add_nc_u32_e32 v33, v33, v35
	v_cmp_ge_i32_e64 s6, v32, v33
	s_and_b32 s20, s6, exec_lo
.LBB428_458:
	s_or_b32 exec_lo, exec_lo, s14
	s_orn2_b32 s14, s20, exec_lo
.LBB428_459:
	s_or_b32 exec_lo, exec_lo, s19
	v_cndmask_b32_e64 v32, v4, v5, s14
	v_cndmask_b32_e64 v33, v15, v14, s14
	s_mov_b32 s19, exec_lo
	v_add_nc_u32_e32 v32, 1, v32
	v_add_nc_u32_e32 v33, -1, v33
	v_cndmask_b32_e64 v4, v32, v4, s14
	v_min_u32_e32 v33, v32, v33
	v_cndmask_b32_e64 v5, v5, v32, s14
	v_lshl_add_u32 v33, v33, 2, v10
	ds_read_b32 v33, v33
	s_waitcnt lgkmcnt(0)
	v_cndmask_b32_e64 v32, v33, v30, s14
	v_cndmask_b32_e64 v33, v31, v33, s14
	v_cmpx_lt_u32_e64 v4, v15
	s_cbranch_execz .LBB428_463
; %bb.460:
	s_mov_b32 s20, 0
	s_mov_b32 s13, exec_lo
	v_cmpx_lt_u32_e64 v5, v14
	s_cbranch_execz .LBB428_462
; %bb.461:
	v_mul_hi_i32 v34, 0x66666667, v32
	v_mul_hi_i32 v35, 0x66666667, v33
	v_lshrrev_b32_e32 v36, 31, v34
	v_ashrrev_i32_e32 v34, 2, v34
	v_lshrrev_b32_e32 v37, 31, v35
	v_ashrrev_i32_e32 v35, 2, v35
	v_add_nc_u32_e32 v34, v34, v36
	v_add_nc_u32_e32 v35, v35, v37
	v_cmp_ge_i32_e64 s6, v34, v35
	s_and_b32 s20, s6, exec_lo
.LBB428_462:
	s_or_b32 exec_lo, exec_lo, s13
	s_orn2_b32 s13, s20, exec_lo
.LBB428_463:
	s_or_b32 exec_lo, exec_lo, s19
	v_cndmask_b32_e64 v34, v4, v5, s13
	v_cndmask_b32_e64 v35, v15, v14, s13
	s_mov_b32 s19, exec_lo
	v_add_nc_u32_e32 v34, 1, v34
	v_add_nc_u32_e32 v35, -1, v35
	v_cndmask_b32_e64 v36, v34, v4, s13
	v_min_u32_e32 v35, v34, v35
	v_lshl_add_u32 v35, v35, 2, v10
	ds_read_b32 v35, v35
	s_waitcnt lgkmcnt(0)
	v_cndmask_b32_e64 v4, v33, v35, s13
	v_cmpx_lt_u32_e64 v36, v15
	s_cbranch_execz .LBB428_467
; %bb.464:
	v_cndmask_b32_e64 v15, v5, v34, s13
	v_cndmask_b32_e64 v5, v35, v32, s13
	s_mov_b32 s20, exec_lo
	v_cmpx_lt_u32_e64 v15, v14
	s_cbranch_execz .LBB428_466
; %bb.465:
	v_mul_hi_i32 v14, 0x66666667, v5
	v_mul_hi_i32 v15, 0x66666667, v4
	v_lshrrev_b32_e32 v34, 31, v14
	v_ashrrev_i32_e32 v14, 2, v14
	v_lshrrev_b32_e32 v35, 31, v15
	v_ashrrev_i32_e32 v15, 2, v15
	v_add_nc_u32_e32 v14, v14, v34
	v_add_nc_u32_e32 v15, v15, v35
	v_cmp_lt_i32_e64 s6, v14, v15
	v_cndmask_b32_e64 v5, v4, v5, s6
.LBB428_466:
	s_or_b32 exec_lo, exec_lo, s20
	v_mov_b32_e32 v4, v5
.LBB428_467:
	s_or_b32 exec_lo, exec_lo, s19
	v_cndmask_b32_e64 v5, v2, v1, s9
	v_cndmask_b32_e64 v6, v3, v6, s10
	;; [unrolled: 1-line block ×7, first 2 shown]
.LBB428_468:
	s_or_b32 exec_lo, exec_lo, s8
	v_and_b32_e32 v16, 0x80, v11
	v_and_b32_e32 v27, 0x78, v11
	s_mov_b32 s7, exec_lo
	; wave barrier
	v_or_b32_e32 v14, 64, v16
	v_min_u32_e32 v27, v12, v27
	ds_write_b128 v13, v[5:8]
	ds_write_b128 v13, v[1:4] offset:16
	; wave barrier
	v_min_u32_e32 v14, v12, v14
	v_add_nc_u32_e32 v15, 64, v14
	v_min_u32_e32 v11, v12, v15
	v_sub_nc_u32_e32 v15, v14, v16
	v_sub_nc_u32_e32 v12, v11, v14
	v_min_u32_e32 v28, v27, v15
	v_lshl_add_u32 v15, v16, 2, v10
	v_sub_nc_u32_e64 v12, v27, v12 clamp
	v_cmpx_lt_u32_e64 v12, v28
	s_cbranch_execz .LBB428_472
; %bb.469:
	v_lshlrev_b32_e32 v13, 2, v14
	v_lshlrev_b32_e32 v29, 2, v27
	s_mov_b32 s8, 0
	v_add3_u32 v13, v10, v13, v29
	s_inst_prefetch 0x1
	.p2align	6
.LBB428_470:                            ; =>This Inner Loop Header: Depth=1
	v_add_nc_u32_e32 v29, v28, v12
	v_lshrrev_b32_e32 v29, 1, v29
	v_not_b32_e32 v30, v29
	v_lshl_add_u32 v31, v29, 2, v15
	v_lshl_add_u32 v30, v30, 2, v13
	ds_read_b32 v31, v31
	ds_read_b32 v30, v30
	s_waitcnt lgkmcnt(1)
	v_mul_hi_i32 v31, 0x66666667, v31
	s_waitcnt lgkmcnt(0)
	v_mul_hi_i32 v30, 0x66666667, v30
	v_lshrrev_b32_e32 v32, 31, v31
	v_ashrrev_i32_e32 v31, 2, v31
	v_lshrrev_b32_e32 v33, 31, v30
	v_ashrrev_i32_e32 v30, 2, v30
	v_add_nc_u32_e32 v31, v31, v32
	v_add_nc_u32_e32 v32, 1, v29
	;; [unrolled: 1-line block ×3, first 2 shown]
	v_cmp_lt_i32_e64 s6, v30, v31
	v_cndmask_b32_e64 v28, v28, v29, s6
	v_cndmask_b32_e64 v12, v32, v12, s6
	v_cmp_ge_u32_e64 s6, v12, v28
	s_or_b32 s8, s6, s8
	s_andn2_b32 exec_lo, exec_lo, s8
	s_cbranch_execnz .LBB428_470
; %bb.471:
	s_inst_prefetch 0x2
	s_or_b32 exec_lo, exec_lo, s8
.LBB428_472:
	s_or_b32 exec_lo, exec_lo, s7
	v_add_nc_u32_e32 v27, v14, v27
	v_add_nc_u32_e32 v13, v12, v16
	v_sub_nc_u32_e32 v16, v27, v12
	v_cmp_le_u32_e64 s6, v13, v14
	v_cmp_le_u32_e64 s7, v16, v11
	s_or_b32 s6, s6, s7
	s_and_saveexec_b32 s8, s6
	s_cbranch_execz .LBB428_508
; %bb.473:
	v_cmp_ge_u32_e64 s6, v13, v14
	s_mov_b32 s9, exec_lo
                                        ; implicit-def: $vgpr1
	v_cmpx_lt_u32_e64 v13, v14
; %bb.474:
	v_lshl_add_u32 v1, v12, 2, v15
	ds_read_b32 v1, v1
; %bb.475:
	s_or_b32 exec_lo, exec_lo, s9
	v_cmp_ge_u32_e64 s9, v16, v11
	s_mov_b32 s10, exec_lo
                                        ; implicit-def: $vgpr2
	v_cmpx_lt_u32_e64 v16, v11
; %bb.476:
	v_lshl_add_u32 v2, v16, 2, v10
	ds_read_b32 v2, v2
; %bb.477:
	s_or_b32 exec_lo, exec_lo, s10
	s_nor_b32 s6, s6, s9
	s_and_saveexec_b32 s7, s6
	s_cbranch_execz .LBB428_479
; %bb.478:
	s_waitcnt lgkmcnt(0)
	v_mul_hi_i32 v3, 0x66666667, v2
	v_mul_hi_i32 v4, 0x66666667, v1
	s_andn2_b32 s9, s9, exec_lo
	v_lshrrev_b32_e32 v5, 31, v3
	v_ashrrev_i32_e32 v3, 2, v3
	v_lshrrev_b32_e32 v6, 31, v4
	v_ashrrev_i32_e32 v4, 2, v4
	v_add_nc_u32_e32 v3, v3, v5
	v_add_nc_u32_e32 v4, v4, v6
	v_cmp_ge_i32_e64 s6, v3, v4
	s_and_b32 s6, s6, exec_lo
	s_or_b32 s9, s9, s6
.LBB428_479:
	s_or_b32 exec_lo, exec_lo, s7
	v_cndmask_b32_e64 v3, v16, v13, s9
	v_cndmask_b32_e64 v4, v11, v14, s9
	s_mov_b32 s7, -1
	s_mov_b32 s10, -1
	s_mov_b32 s11, exec_lo
	v_add_nc_u32_e32 v3, 1, v3
	v_add_nc_u32_e32 v4, -1, v4
	v_cndmask_b32_e64 v5, v13, v3, s9
	v_min_u32_e32 v4, v3, v4
	v_lshl_add_u32 v4, v4, 2, v10
	ds_read_b32 v6, v4
	v_cndmask_b32_e64 v4, v3, v16, s9
	s_waitcnt lgkmcnt(0)
	v_cndmask_b32_e64 v3, v6, v2, s9
	v_cndmask_b32_e64 v6, v1, v6, s9
	v_cmpx_lt_u32_e64 v4, v11
	s_cbranch_execz .LBB428_483
; %bb.480:
	s_mov_b32 s12, 0
	s_mov_b32 s10, exec_lo
	v_cmpx_lt_u32_e64 v5, v14
	s_cbranch_execz .LBB428_482
; %bb.481:
	v_mul_hi_i32 v7, 0x66666667, v3
	v_mul_hi_i32 v8, 0x66666667, v6
	v_lshrrev_b32_e32 v12, 31, v7
	v_ashrrev_i32_e32 v7, 2, v7
	v_lshrrev_b32_e32 v13, 31, v8
	v_ashrrev_i32_e32 v8, 2, v8
	v_add_nc_u32_e32 v7, v7, v12
	v_add_nc_u32_e32 v8, v8, v13
	v_cmp_ge_i32_e64 s6, v7, v8
	s_and_b32 s12, s6, exec_lo
.LBB428_482:
	s_or_b32 exec_lo, exec_lo, s10
	s_orn2_b32 s10, s12, exec_lo
.LBB428_483:
	s_or_b32 exec_lo, exec_lo, s11
	v_cndmask_b32_e64 v7, v4, v5, s10
	v_cndmask_b32_e64 v8, v11, v14, s10
	s_mov_b32 s11, exec_lo
	v_add_nc_u32_e32 v7, 1, v7
	v_add_nc_u32_e32 v8, -1, v8
	v_cndmask_b32_e64 v4, v7, v4, s10
	v_min_u32_e32 v8, v7, v8
	v_cndmask_b32_e64 v5, v5, v7, s10
	v_lshl_add_u32 v8, v8, 2, v10
	ds_read_b32 v8, v8
	s_waitcnt lgkmcnt(0)
	v_cndmask_b32_e64 v7, v8, v3, s10
	v_cndmask_b32_e64 v8, v6, v8, s10
	v_cmpx_lt_u32_e64 v4, v11
	s_cbranch_execz .LBB428_487
; %bb.484:
	s_mov_b32 s12, 0
	s_mov_b32 s7, exec_lo
	v_cmpx_lt_u32_e64 v5, v14
	s_cbranch_execz .LBB428_486
; %bb.485:
	v_mul_hi_i32 v12, 0x66666667, v7
	v_mul_hi_i32 v13, 0x66666667, v8
	v_lshrrev_b32_e32 v15, 31, v12
	v_ashrrev_i32_e32 v12, 2, v12
	v_lshrrev_b32_e32 v16, 31, v13
	v_ashrrev_i32_e32 v13, 2, v13
	v_add_nc_u32_e32 v12, v12, v15
	v_add_nc_u32_e32 v13, v13, v16
	v_cmp_ge_i32_e64 s6, v12, v13
	s_and_b32 s12, s6, exec_lo
.LBB428_486:
	s_or_b32 exec_lo, exec_lo, s7
	s_orn2_b32 s7, s12, exec_lo
.LBB428_487:
	s_or_b32 exec_lo, exec_lo, s11
	v_cndmask_b32_e64 v12, v4, v5, s7
	v_cndmask_b32_e64 v13, v11, v14, s7
	s_mov_b32 s11, -1
	s_mov_b32 s12, -1
	s_mov_b32 s13, exec_lo
	v_add_nc_u32_e32 v12, 1, v12
	v_add_nc_u32_e32 v13, -1, v13
	v_cndmask_b32_e64 v4, v12, v4, s7
	v_min_u32_e32 v13, v12, v13
	v_cndmask_b32_e64 v5, v5, v12, s7
	v_lshl_add_u32 v13, v13, 2, v10
	ds_read_b32 v13, v13
	s_waitcnt lgkmcnt(0)
	v_cndmask_b32_e64 v12, v13, v7, s7
	v_cndmask_b32_e64 v13, v8, v13, s7
	v_cmpx_lt_u32_e64 v4, v11
	s_cbranch_execz .LBB428_491
; %bb.488:
	s_mov_b32 s14, 0
	s_mov_b32 s12, exec_lo
	v_cmpx_lt_u32_e64 v5, v14
	s_cbranch_execz .LBB428_490
; %bb.489:
	v_mul_hi_i32 v15, 0x66666667, v12
	v_mul_hi_i32 v16, 0x66666667, v13
	v_lshrrev_b32_e32 v27, 31, v15
	v_ashrrev_i32_e32 v15, 2, v15
	v_lshrrev_b32_e32 v28, 31, v16
	v_ashrrev_i32_e32 v16, 2, v16
	v_add_nc_u32_e32 v15, v15, v27
	v_add_nc_u32_e32 v16, v16, v28
	v_cmp_ge_i32_e64 s6, v15, v16
	s_and_b32 s14, s6, exec_lo
.LBB428_490:
	s_or_b32 exec_lo, exec_lo, s12
	s_orn2_b32 s12, s14, exec_lo
.LBB428_491:
	s_or_b32 exec_lo, exec_lo, s13
	v_cndmask_b32_e64 v15, v4, v5, s12
	v_cndmask_b32_e64 v16, v11, v14, s12
	s_mov_b32 s13, exec_lo
	v_add_nc_u32_e32 v15, 1, v15
	v_add_nc_u32_e32 v16, -1, v16
	v_cndmask_b32_e64 v4, v15, v4, s12
	v_min_u32_e32 v16, v15, v16
	v_cndmask_b32_e64 v5, v5, v15, s12
	v_lshl_add_u32 v16, v16, 2, v10
	ds_read_b32 v16, v16
	s_waitcnt lgkmcnt(0)
	v_cndmask_b32_e64 v15, v16, v12, s12
	v_cndmask_b32_e64 v16, v13, v16, s12
	v_cmpx_lt_u32_e64 v4, v11
	s_cbranch_execz .LBB428_495
; %bb.492:
	s_mov_b32 s14, 0
	s_mov_b32 s11, exec_lo
	v_cmpx_lt_u32_e64 v5, v14
	s_cbranch_execz .LBB428_494
; %bb.493:
	v_mul_hi_i32 v27, 0x66666667, v15
	v_mul_hi_i32 v28, 0x66666667, v16
	v_lshrrev_b32_e32 v29, 31, v27
	v_ashrrev_i32_e32 v27, 2, v27
	v_lshrrev_b32_e32 v30, 31, v28
	v_ashrrev_i32_e32 v28, 2, v28
	v_add_nc_u32_e32 v27, v27, v29
	v_add_nc_u32_e32 v28, v28, v30
	v_cmp_ge_i32_e64 s6, v27, v28
	s_and_b32 s14, s6, exec_lo
.LBB428_494:
	s_or_b32 exec_lo, exec_lo, s11
	s_orn2_b32 s11, s14, exec_lo
.LBB428_495:
	s_or_b32 exec_lo, exec_lo, s13
	v_cndmask_b32_e64 v27, v4, v5, s11
	v_cndmask_b32_e64 v28, v11, v14, s11
	s_mov_b32 s13, -1
	s_mov_b32 s14, -1
	s_mov_b32 s19, exec_lo
	v_add_nc_u32_e32 v27, 1, v27
	v_add_nc_u32_e32 v28, -1, v28
	v_cndmask_b32_e64 v4, v27, v4, s11
	v_min_u32_e32 v28, v27, v28
	v_cndmask_b32_e64 v5, v5, v27, s11
	v_lshl_add_u32 v28, v28, 2, v10
	ds_read_b32 v28, v28
	s_waitcnt lgkmcnt(0)
	v_cndmask_b32_e64 v27, v28, v15, s11
	v_cndmask_b32_e64 v28, v16, v28, s11
	v_cmpx_lt_u32_e64 v4, v11
	s_cbranch_execz .LBB428_499
; %bb.496:
	s_mov_b32 s20, 0
	s_mov_b32 s14, exec_lo
	v_cmpx_lt_u32_e64 v5, v14
	s_cbranch_execz .LBB428_498
; %bb.497:
	v_mul_hi_i32 v29, 0x66666667, v27
	v_mul_hi_i32 v30, 0x66666667, v28
	v_lshrrev_b32_e32 v31, 31, v29
	v_ashrrev_i32_e32 v29, 2, v29
	v_lshrrev_b32_e32 v32, 31, v30
	v_ashrrev_i32_e32 v30, 2, v30
	v_add_nc_u32_e32 v29, v29, v31
	v_add_nc_u32_e32 v30, v30, v32
	v_cmp_ge_i32_e64 s6, v29, v30
	s_and_b32 s20, s6, exec_lo
.LBB428_498:
	s_or_b32 exec_lo, exec_lo, s14
	s_orn2_b32 s14, s20, exec_lo
.LBB428_499:
	s_or_b32 exec_lo, exec_lo, s19
	v_cndmask_b32_e64 v29, v4, v5, s14
	v_cndmask_b32_e64 v30, v11, v14, s14
	s_mov_b32 s19, exec_lo
	v_add_nc_u32_e32 v29, 1, v29
	v_add_nc_u32_e32 v30, -1, v30
	v_cndmask_b32_e64 v4, v29, v4, s14
	v_min_u32_e32 v30, v29, v30
	v_cndmask_b32_e64 v5, v5, v29, s14
	v_lshl_add_u32 v30, v30, 2, v10
	ds_read_b32 v30, v30
	s_waitcnt lgkmcnt(0)
	v_cndmask_b32_e64 v29, v30, v27, s14
	v_cndmask_b32_e64 v30, v28, v30, s14
	v_cmpx_lt_u32_e64 v4, v11
	s_cbranch_execz .LBB428_503
; %bb.500:
	s_mov_b32 s20, 0
	s_mov_b32 s13, exec_lo
	v_cmpx_lt_u32_e64 v5, v14
	s_cbranch_execz .LBB428_502
; %bb.501:
	v_mul_hi_i32 v31, 0x66666667, v29
	v_mul_hi_i32 v32, 0x66666667, v30
	v_lshrrev_b32_e32 v33, 31, v31
	v_ashrrev_i32_e32 v31, 2, v31
	v_lshrrev_b32_e32 v34, 31, v32
	v_ashrrev_i32_e32 v32, 2, v32
	v_add_nc_u32_e32 v31, v31, v33
	v_add_nc_u32_e32 v32, v32, v34
	v_cmp_ge_i32_e64 s6, v31, v32
	s_and_b32 s20, s6, exec_lo
.LBB428_502:
	s_or_b32 exec_lo, exec_lo, s13
	s_orn2_b32 s13, s20, exec_lo
.LBB428_503:
	s_or_b32 exec_lo, exec_lo, s19
	v_cndmask_b32_e64 v31, v4, v5, s13
	v_cndmask_b32_e64 v32, v11, v14, s13
	s_mov_b32 s19, exec_lo
	v_add_nc_u32_e32 v31, 1, v31
	v_add_nc_u32_e32 v32, -1, v32
	v_min_u32_e32 v32, v31, v32
	v_lshl_add_u32 v10, v32, 2, v10
	v_cndmask_b32_e64 v32, v31, v4, s13
	ds_read_b32 v10, v10
	s_waitcnt lgkmcnt(0)
	v_cndmask_b32_e64 v4, v30, v10, s13
	v_cmpx_lt_u32_e64 v32, v11
	s_cbranch_execz .LBB428_507
; %bb.504:
	v_cndmask_b32_e64 v11, v5, v31, s13
	v_cndmask_b32_e64 v5, v10, v29, s13
	s_mov_b32 s20, exec_lo
	v_cmpx_lt_u32_e64 v11, v14
	s_cbranch_execz .LBB428_506
; %bb.505:
	v_mul_hi_i32 v10, 0x66666667, v5
	v_mul_hi_i32 v11, 0x66666667, v4
	v_lshrrev_b32_e32 v14, 31, v10
	v_ashrrev_i32_e32 v10, 2, v10
	v_lshrrev_b32_e32 v31, 31, v11
	v_ashrrev_i32_e32 v11, 2, v11
	v_add_nc_u32_e32 v10, v10, v14
	v_add_nc_u32_e32 v11, v11, v31
	v_cmp_lt_i32_e64 s6, v10, v11
	v_cndmask_b32_e64 v5, v4, v5, s6
.LBB428_506:
	s_or_b32 exec_lo, exec_lo, s20
	v_mov_b32_e32 v4, v5
.LBB428_507:
	s_or_b32 exec_lo, exec_lo, s19
	v_cndmask_b32_e64 v5, v2, v1, s9
	v_cndmask_b32_e64 v6, v3, v6, s10
	;; [unrolled: 1-line block ×7, first 2 shown]
.LBB428_508:
	s_or_b32 exec_lo, exec_lo, s8
	s_cmpk_lt_u32 s17, 0x81
	; wave barrier
	s_waitcnt lgkmcnt(0)
	s_barrier
	buffer_gl0_inv
	s_cbranch_scc1 .LBB428_551
; %bb.509:
	v_lshlrev_b32_e32 v10, 2, v9
	s_movk_i32 s8, 0x80
	s_branch .LBB428_513
.LBB428_510:                            ;   in Loop: Header=BB428_513 Depth=1
	s_or_b32 exec_lo, exec_lo, s21
	v_mov_b32_e32 v4, v5
.LBB428_511:                            ;   in Loop: Header=BB428_513 Depth=1
	s_or_b32 exec_lo, exec_lo, s20
	v_cndmask_b32_e64 v5, v2, v1, s10
	v_cndmask_b32_e64 v6, v3, v6, s11
	;; [unrolled: 1-line block ×7, first 2 shown]
.LBB428_512:                            ;   in Loop: Header=BB428_513 Depth=1
	s_or_b32 exec_lo, exec_lo, s9
	s_cmp_lt_u32 s8, s17
	s_barrier
	buffer_gl0_inv
	s_cbranch_scc0 .LBB428_551
.LBB428_513:                            ; =>This Loop Header: Depth=1
                                        ;     Child Loop BB428_515 Depth 2
	s_mov_b32 s6, s8
	s_lshl_b32 s8, s8, 1
	ds_write_b128 v10, v[5:8]
	s_sub_i32 s7, 0, s8
	ds_write_b128 v10, v[1:4] offset:16
	v_and_b32_e32 v15, s7, v9
	s_mov_b32 s7, exec_lo
	s_waitcnt lgkmcnt(0)
	s_barrier
	buffer_gl0_inv
	v_add_nc_u32_e32 v11, s6, v15
	v_min_u32_e32 v11, s17, v11
	v_add_nc_u32_e32 v12, s6, v11
	s_add_i32 s6, s8, -1
	v_sub_nc_u32_e32 v14, v11, v15
	v_and_b32_e32 v13, s6, v9
	v_min_u32_e32 v12, s17, v12
	v_min_u32_e32 v16, s17, v13
	v_sub_nc_u32_e32 v13, v12, v11
	v_min_u32_e32 v27, v16, v14
	v_lshlrev_b32_e32 v14, 2, v15
	v_sub_nc_u32_e64 v13, v16, v13 clamp
	v_cmpx_lt_u32_e64 v13, v27
	s_cbranch_execz .LBB428_517
; %bb.514:                              ;   in Loop: Header=BB428_513 Depth=1
	v_lshlrev_b32_e32 v28, 2, v16
	s_mov_b32 s9, 0
	v_lshl_add_u32 v28, v11, 2, v28
	s_inst_prefetch 0x1
	.p2align	6
.LBB428_515:                            ;   Parent Loop BB428_513 Depth=1
                                        ; =>  This Inner Loop Header: Depth=2
	v_add_nc_u32_e32 v29, v27, v13
	v_lshrrev_b32_e32 v29, 1, v29
	v_not_b32_e32 v30, v29
	v_lshl_add_u32 v31, v29, 2, v14
	v_lshl_add_u32 v30, v30, 2, v28
	ds_read_b32 v31, v31
	ds_read_b32 v30, v30
	s_waitcnt lgkmcnt(1)
	v_mul_hi_i32 v31, 0x66666667, v31
	s_waitcnt lgkmcnt(0)
	v_mul_hi_i32 v30, 0x66666667, v30
	v_lshrrev_b32_e32 v32, 31, v31
	v_ashrrev_i32_e32 v31, 2, v31
	v_lshrrev_b32_e32 v33, 31, v30
	v_ashrrev_i32_e32 v30, 2, v30
	v_add_nc_u32_e32 v31, v31, v32
	v_add_nc_u32_e32 v32, 1, v29
	;; [unrolled: 1-line block ×3, first 2 shown]
	v_cmp_lt_i32_e64 s6, v30, v31
	v_cndmask_b32_e64 v27, v27, v29, s6
	v_cndmask_b32_e64 v13, v32, v13, s6
	v_cmp_ge_u32_e64 s6, v13, v27
	s_or_b32 s9, s6, s9
	s_andn2_b32 exec_lo, exec_lo, s9
	s_cbranch_execnz .LBB428_515
; %bb.516:                              ;   in Loop: Header=BB428_513 Depth=1
	s_inst_prefetch 0x2
	s_or_b32 exec_lo, exec_lo, s9
.LBB428_517:                            ;   in Loop: Header=BB428_513 Depth=1
	s_or_b32 exec_lo, exec_lo, s7
	v_sub_nc_u32_e32 v16, v16, v13
	v_add_nc_u32_e32 v15, v13, v15
	v_add_nc_u32_e32 v16, v16, v11
	v_cmp_le_u32_e64 s6, v15, v11
	v_cmp_le_u32_e64 s7, v16, v12
	s_or_b32 s6, s6, s7
	s_and_saveexec_b32 s9, s6
	s_cbranch_execz .LBB428_512
; %bb.518:                              ;   in Loop: Header=BB428_513 Depth=1
	v_cmp_ge_u32_e64 s6, v15, v11
	s_mov_b32 s10, exec_lo
                                        ; implicit-def: $vgpr1
	v_cmpx_lt_u32_e64 v15, v11
; %bb.519:                              ;   in Loop: Header=BB428_513 Depth=1
	v_lshl_add_u32 v1, v13, 2, v14
	ds_read_b32 v1, v1
; %bb.520:                              ;   in Loop: Header=BB428_513 Depth=1
	s_or_b32 exec_lo, exec_lo, s10
	v_cmp_ge_u32_e64 s10, v16, v12
	s_mov_b32 s11, exec_lo
                                        ; implicit-def: $vgpr2
	v_cmpx_lt_u32_e64 v16, v12
; %bb.521:                              ;   in Loop: Header=BB428_513 Depth=1
	v_lshlrev_b32_e32 v2, 2, v16
	ds_read_b32 v2, v2
; %bb.522:                              ;   in Loop: Header=BB428_513 Depth=1
	s_or_b32 exec_lo, exec_lo, s11
	s_nor_b32 s6, s6, s10
	s_and_saveexec_b32 s7, s6
	s_cbranch_execz .LBB428_524
; %bb.523:                              ;   in Loop: Header=BB428_513 Depth=1
	s_waitcnt lgkmcnt(0)
	v_mul_hi_i32 v3, 0x66666667, v2
	v_mul_hi_i32 v4, 0x66666667, v1
	s_andn2_b32 s10, s10, exec_lo
	v_lshrrev_b32_e32 v5, 31, v3
	v_ashrrev_i32_e32 v3, 2, v3
	v_lshrrev_b32_e32 v6, 31, v4
	v_ashrrev_i32_e32 v4, 2, v4
	v_add_nc_u32_e32 v3, v3, v5
	v_add_nc_u32_e32 v4, v4, v6
	v_cmp_ge_i32_e64 s6, v3, v4
	s_and_b32 s6, s6, exec_lo
	s_or_b32 s10, s10, s6
.LBB428_524:                            ;   in Loop: Header=BB428_513 Depth=1
	s_or_b32 exec_lo, exec_lo, s7
	v_cndmask_b32_e64 v3, v16, v15, s10
	v_cndmask_b32_e64 v4, v12, v11, s10
	s_mov_b32 s7, -1
	s_mov_b32 s11, -1
	s_mov_b32 s12, exec_lo
	v_add_nc_u32_e32 v3, 1, v3
	v_add_nc_u32_e32 v4, -1, v4
	v_cndmask_b32_e64 v5, v15, v3, s10
	v_min_u32_e32 v4, v3, v4
	v_lshlrev_b32_e32 v4, 2, v4
	ds_read_b32 v6, v4
	v_cndmask_b32_e64 v4, v3, v16, s10
	s_waitcnt lgkmcnt(0)
	v_cndmask_b32_e64 v3, v6, v2, s10
	v_cndmask_b32_e64 v6, v1, v6, s10
	v_cmpx_lt_u32_e64 v4, v12
	s_cbranch_execz .LBB428_528
; %bb.525:                              ;   in Loop: Header=BB428_513 Depth=1
	s_mov_b32 s13, 0
	s_mov_b32 s11, exec_lo
	v_cmpx_lt_u32_e64 v5, v11
	s_cbranch_execz .LBB428_527
; %bb.526:                              ;   in Loop: Header=BB428_513 Depth=1
	v_mul_hi_i32 v7, 0x66666667, v3
	v_mul_hi_i32 v8, 0x66666667, v6
	v_lshrrev_b32_e32 v13, 31, v7
	v_ashrrev_i32_e32 v7, 2, v7
	v_lshrrev_b32_e32 v14, 31, v8
	v_ashrrev_i32_e32 v8, 2, v8
	v_add_nc_u32_e32 v7, v7, v13
	v_add_nc_u32_e32 v8, v8, v14
	v_cmp_ge_i32_e64 s6, v7, v8
	s_and_b32 s13, s6, exec_lo
.LBB428_527:                            ;   in Loop: Header=BB428_513 Depth=1
	s_or_b32 exec_lo, exec_lo, s11
	s_orn2_b32 s11, s13, exec_lo
.LBB428_528:                            ;   in Loop: Header=BB428_513 Depth=1
	s_or_b32 exec_lo, exec_lo, s12
	v_cndmask_b32_e64 v7, v4, v5, s11
	v_cndmask_b32_e64 v8, v12, v11, s11
	s_mov_b32 s12, exec_lo
	v_add_nc_u32_e32 v7, 1, v7
	v_add_nc_u32_e32 v8, -1, v8
	v_cndmask_b32_e64 v4, v7, v4, s11
	v_min_u32_e32 v8, v7, v8
	v_cndmask_b32_e64 v5, v5, v7, s11
	v_lshlrev_b32_e32 v8, 2, v8
	ds_read_b32 v8, v8
	s_waitcnt lgkmcnt(0)
	v_cndmask_b32_e64 v7, v8, v3, s11
	v_cndmask_b32_e64 v8, v6, v8, s11
	v_cmpx_lt_u32_e64 v4, v12
	s_cbranch_execz .LBB428_532
; %bb.529:                              ;   in Loop: Header=BB428_513 Depth=1
	s_mov_b32 s13, 0
	s_mov_b32 s7, exec_lo
	v_cmpx_lt_u32_e64 v5, v11
	s_cbranch_execz .LBB428_531
; %bb.530:                              ;   in Loop: Header=BB428_513 Depth=1
	v_mul_hi_i32 v13, 0x66666667, v7
	v_mul_hi_i32 v14, 0x66666667, v8
	v_lshrrev_b32_e32 v15, 31, v13
	v_ashrrev_i32_e32 v13, 2, v13
	v_lshrrev_b32_e32 v16, 31, v14
	v_ashrrev_i32_e32 v14, 2, v14
	v_add_nc_u32_e32 v13, v13, v15
	v_add_nc_u32_e32 v14, v14, v16
	v_cmp_ge_i32_e64 s6, v13, v14
	s_and_b32 s13, s6, exec_lo
.LBB428_531:                            ;   in Loop: Header=BB428_513 Depth=1
	s_or_b32 exec_lo, exec_lo, s7
	s_orn2_b32 s7, s13, exec_lo
.LBB428_532:                            ;   in Loop: Header=BB428_513 Depth=1
	s_or_b32 exec_lo, exec_lo, s12
	v_cndmask_b32_e64 v13, v4, v5, s7
	v_cndmask_b32_e64 v14, v12, v11, s7
	s_mov_b32 s12, -1
	s_mov_b32 s13, -1
	s_mov_b32 s14, exec_lo
	v_add_nc_u32_e32 v13, 1, v13
	v_add_nc_u32_e32 v14, -1, v14
	v_cndmask_b32_e64 v4, v13, v4, s7
	v_min_u32_e32 v14, v13, v14
	v_cndmask_b32_e64 v5, v5, v13, s7
	v_lshlrev_b32_e32 v14, 2, v14
	ds_read_b32 v14, v14
	s_waitcnt lgkmcnt(0)
	v_cndmask_b32_e64 v13, v14, v7, s7
	v_cndmask_b32_e64 v14, v8, v14, s7
	v_cmpx_lt_u32_e64 v4, v12
	s_cbranch_execz .LBB428_536
; %bb.533:                              ;   in Loop: Header=BB428_513 Depth=1
	s_mov_b32 s19, 0
	s_mov_b32 s13, exec_lo
	v_cmpx_lt_u32_e64 v5, v11
	s_cbranch_execz .LBB428_535
; %bb.534:                              ;   in Loop: Header=BB428_513 Depth=1
	v_mul_hi_i32 v15, 0x66666667, v13
	v_mul_hi_i32 v16, 0x66666667, v14
	v_lshrrev_b32_e32 v27, 31, v15
	v_ashrrev_i32_e32 v15, 2, v15
	v_lshrrev_b32_e32 v28, 31, v16
	v_ashrrev_i32_e32 v16, 2, v16
	v_add_nc_u32_e32 v15, v15, v27
	v_add_nc_u32_e32 v16, v16, v28
	v_cmp_ge_i32_e64 s6, v15, v16
	s_and_b32 s19, s6, exec_lo
.LBB428_535:                            ;   in Loop: Header=BB428_513 Depth=1
	s_or_b32 exec_lo, exec_lo, s13
	s_orn2_b32 s13, s19, exec_lo
.LBB428_536:                            ;   in Loop: Header=BB428_513 Depth=1
	s_or_b32 exec_lo, exec_lo, s14
	v_cndmask_b32_e64 v15, v4, v5, s13
	v_cndmask_b32_e64 v16, v12, v11, s13
	s_mov_b32 s14, exec_lo
	v_add_nc_u32_e32 v15, 1, v15
	v_add_nc_u32_e32 v16, -1, v16
	v_cndmask_b32_e64 v4, v15, v4, s13
	v_min_u32_e32 v16, v15, v16
	v_cndmask_b32_e64 v5, v5, v15, s13
	v_lshlrev_b32_e32 v16, 2, v16
	ds_read_b32 v16, v16
	s_waitcnt lgkmcnt(0)
	v_cndmask_b32_e64 v15, v16, v13, s13
	v_cndmask_b32_e64 v16, v14, v16, s13
	v_cmpx_lt_u32_e64 v4, v12
	s_cbranch_execz .LBB428_540
; %bb.537:                              ;   in Loop: Header=BB428_513 Depth=1
	s_mov_b32 s19, 0
	s_mov_b32 s12, exec_lo
	v_cmpx_lt_u32_e64 v5, v11
	s_cbranch_execz .LBB428_539
; %bb.538:                              ;   in Loop: Header=BB428_513 Depth=1
	v_mul_hi_i32 v27, 0x66666667, v15
	v_mul_hi_i32 v28, 0x66666667, v16
	v_lshrrev_b32_e32 v29, 31, v27
	v_ashrrev_i32_e32 v27, 2, v27
	v_lshrrev_b32_e32 v30, 31, v28
	v_ashrrev_i32_e32 v28, 2, v28
	v_add_nc_u32_e32 v27, v27, v29
	v_add_nc_u32_e32 v28, v28, v30
	v_cmp_ge_i32_e64 s6, v27, v28
	s_and_b32 s19, s6, exec_lo
.LBB428_539:                            ;   in Loop: Header=BB428_513 Depth=1
	s_or_b32 exec_lo, exec_lo, s12
	s_orn2_b32 s12, s19, exec_lo
.LBB428_540:                            ;   in Loop: Header=BB428_513 Depth=1
	s_or_b32 exec_lo, exec_lo, s14
	v_cndmask_b32_e64 v27, v4, v5, s12
	v_cndmask_b32_e64 v28, v12, v11, s12
	s_mov_b32 s14, -1
	s_mov_b32 s19, -1
	s_mov_b32 s20, exec_lo
	v_add_nc_u32_e32 v27, 1, v27
	v_add_nc_u32_e32 v28, -1, v28
	v_cndmask_b32_e64 v4, v27, v4, s12
	v_min_u32_e32 v28, v27, v28
	v_cndmask_b32_e64 v5, v5, v27, s12
	v_lshlrev_b32_e32 v28, 2, v28
	ds_read_b32 v28, v28
	s_waitcnt lgkmcnt(0)
	v_cndmask_b32_e64 v27, v28, v15, s12
	v_cndmask_b32_e64 v28, v16, v28, s12
	v_cmpx_lt_u32_e64 v4, v12
	s_cbranch_execz .LBB428_544
; %bb.541:                              ;   in Loop: Header=BB428_513 Depth=1
	s_mov_b32 s21, 0
	s_mov_b32 s19, exec_lo
	v_cmpx_lt_u32_e64 v5, v11
	s_cbranch_execz .LBB428_543
; %bb.542:                              ;   in Loop: Header=BB428_513 Depth=1
	v_mul_hi_i32 v29, 0x66666667, v27
	v_mul_hi_i32 v30, 0x66666667, v28
	v_lshrrev_b32_e32 v31, 31, v29
	v_ashrrev_i32_e32 v29, 2, v29
	v_lshrrev_b32_e32 v32, 31, v30
	v_ashrrev_i32_e32 v30, 2, v30
	v_add_nc_u32_e32 v29, v29, v31
	v_add_nc_u32_e32 v30, v30, v32
	v_cmp_ge_i32_e64 s6, v29, v30
	s_and_b32 s21, s6, exec_lo
.LBB428_543:                            ;   in Loop: Header=BB428_513 Depth=1
	s_or_b32 exec_lo, exec_lo, s19
	s_orn2_b32 s19, s21, exec_lo
.LBB428_544:                            ;   in Loop: Header=BB428_513 Depth=1
	s_or_b32 exec_lo, exec_lo, s20
	v_cndmask_b32_e64 v29, v4, v5, s19
	v_cndmask_b32_e64 v30, v12, v11, s19
	s_mov_b32 s20, exec_lo
	v_add_nc_u32_e32 v29, 1, v29
	v_add_nc_u32_e32 v30, -1, v30
	v_cndmask_b32_e64 v4, v29, v4, s19
	v_min_u32_e32 v30, v29, v30
	v_cndmask_b32_e64 v5, v5, v29, s19
	v_lshlrev_b32_e32 v30, 2, v30
	ds_read_b32 v30, v30
	s_waitcnt lgkmcnt(0)
	v_cndmask_b32_e64 v29, v30, v27, s19
	v_cndmask_b32_e64 v30, v28, v30, s19
	v_cmpx_lt_u32_e64 v4, v12
	s_cbranch_execz .LBB428_548
; %bb.545:                              ;   in Loop: Header=BB428_513 Depth=1
	s_mov_b32 s21, 0
	s_mov_b32 s14, exec_lo
	v_cmpx_lt_u32_e64 v5, v11
	s_cbranch_execz .LBB428_547
; %bb.546:                              ;   in Loop: Header=BB428_513 Depth=1
	v_mul_hi_i32 v31, 0x66666667, v29
	v_mul_hi_i32 v32, 0x66666667, v30
	v_lshrrev_b32_e32 v33, 31, v31
	v_ashrrev_i32_e32 v31, 2, v31
	v_lshrrev_b32_e32 v34, 31, v32
	v_ashrrev_i32_e32 v32, 2, v32
	v_add_nc_u32_e32 v31, v31, v33
	v_add_nc_u32_e32 v32, v32, v34
	v_cmp_ge_i32_e64 s6, v31, v32
	s_and_b32 s21, s6, exec_lo
.LBB428_547:                            ;   in Loop: Header=BB428_513 Depth=1
	s_or_b32 exec_lo, exec_lo, s14
	s_orn2_b32 s14, s21, exec_lo
.LBB428_548:                            ;   in Loop: Header=BB428_513 Depth=1
	s_or_b32 exec_lo, exec_lo, s20
	v_cndmask_b32_e64 v31, v4, v5, s14
	v_cndmask_b32_e64 v32, v12, v11, s14
	s_mov_b32 s20, exec_lo
	v_add_nc_u32_e32 v31, 1, v31
	v_add_nc_u32_e32 v32, -1, v32
	v_cndmask_b32_e64 v33, v31, v4, s14
	v_min_u32_e32 v32, v31, v32
	v_lshlrev_b32_e32 v32, 2, v32
	ds_read_b32 v32, v32
	s_waitcnt lgkmcnt(0)
	v_cndmask_b32_e64 v4, v30, v32, s14
	v_cmpx_lt_u32_e64 v33, v12
	s_cbranch_execz .LBB428_511
; %bb.549:                              ;   in Loop: Header=BB428_513 Depth=1
	v_cndmask_b32_e64 v12, v5, v31, s14
	v_cndmask_b32_e64 v5, v32, v29, s14
	s_mov_b32 s21, exec_lo
	v_cmpx_lt_u32_e64 v12, v11
	s_cbranch_execz .LBB428_510
; %bb.550:                              ;   in Loop: Header=BB428_513 Depth=1
	v_mul_hi_i32 v11, 0x66666667, v5
	v_mul_hi_i32 v12, 0x66666667, v4
	v_lshrrev_b32_e32 v31, 31, v11
	v_ashrrev_i32_e32 v11, 2, v11
	v_lshrrev_b32_e32 v32, 31, v12
	v_ashrrev_i32_e32 v12, 2, v12
	v_add_nc_u32_e32 v11, v11, v31
	v_add_nc_u32_e32 v12, v12, v32
	v_cmp_lt_i32_e64 s6, v11, v12
	v_cndmask_b32_e64 v5, v4, v5, s6
	s_branch .LBB428_510
.LBB428_551:
	s_barrier
	buffer_gl0_inv
	ds_write2_b32 v21, v5, v6 offset1:1
	ds_write2_b32 v21, v7, v8 offset0:2 offset1:3
	ds_write2_b32 v21, v1, v2 offset0:4 offset1:5
	;; [unrolled: 1-line block ×3, first 2 shown]
	s_waitcnt lgkmcnt(0)
	s_barrier
	buffer_gl0_inv
	ds_read_b32 v10, v18 offset:1024
	ds_read_b32 v9, v19 offset:2048
	;; [unrolled: 1-line block ×7, first 2 shown]
	v_add_co_u32 v2, s6, s15, v20
	v_mov_b32_e32 v1, 0
	v_add_co_ci_u32_e64 v3, null, s16, 0, s6
	s_and_saveexec_b32 s6, vcc_lo
	s_cbranch_execz .LBB428_563
; %bb.552:
	ds_read_b32 v11, v17
	s_waitcnt lgkmcnt(0)
	flat_store_dword v[2:3], v11
	s_or_b32 exec_lo, exec_lo, s6
	s_and_saveexec_b32 s6, s0
	s_cbranch_execnz .LBB428_564
.LBB428_553:
	s_or_b32 exec_lo, exec_lo, s6
	s_and_saveexec_b32 s0, s1
	s_cbranch_execz .LBB428_565
.LBB428_554:
	s_waitcnt lgkmcnt(6)
	v_add_co_u32 v10, vcc_lo, 0x800, v2
	v_add_co_ci_u32_e64 v11, null, 0, v3, vcc_lo
	s_waitcnt lgkmcnt(5)
	flat_store_dword v[10:11], v9
	s_or_b32 exec_lo, exec_lo, s0
	s_and_saveexec_b32 s0, s2
	s_cbranch_execnz .LBB428_566
.LBB428_555:
	s_or_b32 exec_lo, exec_lo, s0
	s_and_saveexec_b32 s0, s3
	s_cbranch_execz .LBB428_567
.LBB428_556:
	s_waitcnt lgkmcnt(4)
	v_add_co_u32 v8, vcc_lo, 0x1000, v2
	v_add_co_ci_u32_e64 v9, null, 0, v3, vcc_lo
	s_waitcnt lgkmcnt(3)
	flat_store_dword v[8:9], v7
	s_or_b32 exec_lo, exec_lo, s0
	s_and_saveexec_b32 s0, s4
	s_cbranch_execnz .LBB428_568
.LBB428_557:
	s_or_b32 exec_lo, exec_lo, s0
	s_and_saveexec_b32 s0, s5
	s_cbranch_execz .LBB428_559
.LBB428_558:
	v_add_co_u32 v2, vcc_lo, 0x1800, v2
	v_add_co_ci_u32_e64 v3, null, 0, v3, vcc_lo
	s_waitcnt lgkmcnt(1)
	flat_store_dword v[2:3], v5
.LBB428_559:
	s_or_b32 exec_lo, exec_lo, s0
.LBB428_560:
	s_and_saveexec_b32 s0, s18
	s_cbranch_execz .LBB428_562
; %bb.561:
	v_lshlrev_b64 v[0:1], 2, v[0:1]
	v_add_co_u32 v0, vcc_lo, s15, v0
	v_add_co_ci_u32_e64 v1, null, s16, v1, vcc_lo
	v_add_co_u32 v0, vcc_lo, 0x1800, v0
	v_add_co_ci_u32_e64 v1, null, 0, v1, vcc_lo
	s_waitcnt lgkmcnt(0)
	flat_store_dword v[0:1], v4 offset:1024
.LBB428_562:
	s_endpgm
.LBB428_563:
	s_or_b32 exec_lo, exec_lo, s6
	s_and_saveexec_b32 s6, s0
	s_cbranch_execz .LBB428_553
.LBB428_564:
	s_waitcnt lgkmcnt(6)
	flat_store_dword v[2:3], v10 offset:1024
	s_or_b32 exec_lo, exec_lo, s6
	s_and_saveexec_b32 s0, s1
	s_cbranch_execnz .LBB428_554
.LBB428_565:
	s_or_b32 exec_lo, exec_lo, s0
	s_and_saveexec_b32 s0, s2
	s_cbranch_execz .LBB428_555
.LBB428_566:
	s_waitcnt lgkmcnt(5)
	v_add_co_u32 v9, vcc_lo, 0x800, v2
	v_add_co_ci_u32_e64 v10, null, 0, v3, vcc_lo
	s_waitcnt lgkmcnt(4)
	flat_store_dword v[9:10], v8 offset:1024
	s_or_b32 exec_lo, exec_lo, s0
	s_and_saveexec_b32 s0, s3
	s_cbranch_execnz .LBB428_556
.LBB428_567:
	s_or_b32 exec_lo, exec_lo, s0
	s_and_saveexec_b32 s0, s4
	s_cbranch_execz .LBB428_557
.LBB428_568:
	s_waitcnt lgkmcnt(3)
	v_add_co_u32 v7, vcc_lo, 0x1000, v2
	v_add_co_ci_u32_e64 v8, null, 0, v3, vcc_lo
	s_waitcnt lgkmcnt(2)
	flat_store_dword v[7:8], v6 offset:1024
	s_or_b32 exec_lo, exec_lo, s0
	s_and_saveexec_b32 s0, s5
	s_cbranch_execnz .LBB428_558
	s_branch .LBB428_559
	.section	.rodata,"a",@progbits
	.p2align	6, 0x0
	.amdhsa_kernel _ZN7rocprim17ROCPRIM_400000_NS6detail17trampoline_kernelINS0_14default_configENS1_37merge_sort_block_sort_config_selectorIiNS0_10empty_typeEEEZNS1_21merge_sort_block_sortIS3_N6thrust23THRUST_200600_302600_NS6detail15normal_iteratorINS9_10device_ptrIiEEEESE_PS5_SF_11less_div_10IiEEE10hipError_tT0_T1_T2_T3_mRjT4_P12ihipStream_tbNS1_7vsmem_tEEUlT_E_NS1_11comp_targetILNS1_3genE8ELNS1_11target_archE1030ELNS1_3gpuE2ELNS1_3repE0EEENS1_30default_config_static_selectorELNS0_4arch9wavefront6targetE0EEEvSK_
		.amdhsa_group_segment_fixed_size 8448
		.amdhsa_private_segment_fixed_size 0
		.amdhsa_kernarg_size 320
		.amdhsa_user_sgpr_count 6
		.amdhsa_user_sgpr_private_segment_buffer 1
		.amdhsa_user_sgpr_dispatch_ptr 0
		.amdhsa_user_sgpr_queue_ptr 0
		.amdhsa_user_sgpr_kernarg_segment_ptr 1
		.amdhsa_user_sgpr_dispatch_id 0
		.amdhsa_user_sgpr_flat_scratch_init 0
		.amdhsa_user_sgpr_private_segment_size 0
		.amdhsa_wavefront_size32 1
		.amdhsa_uses_dynamic_stack 0
		.amdhsa_system_sgpr_private_segment_wavefront_offset 0
		.amdhsa_system_sgpr_workgroup_id_x 1
		.amdhsa_system_sgpr_workgroup_id_y 1
		.amdhsa_system_sgpr_workgroup_id_z 1
		.amdhsa_system_sgpr_workgroup_info 0
		.amdhsa_system_vgpr_workitem_id 2
		.amdhsa_next_free_vgpr 50
		.amdhsa_next_free_sgpr 22
		.amdhsa_reserve_vcc 1
		.amdhsa_reserve_flat_scratch 1
		.amdhsa_float_round_mode_32 0
		.amdhsa_float_round_mode_16_64 0
		.amdhsa_float_denorm_mode_32 3
		.amdhsa_float_denorm_mode_16_64 3
		.amdhsa_dx10_clamp 1
		.amdhsa_ieee_mode 1
		.amdhsa_fp16_overflow 0
		.amdhsa_workgroup_processor_mode 1
		.amdhsa_memory_ordered 1
		.amdhsa_forward_progress 1
		.amdhsa_shared_vgpr_count 0
		.amdhsa_exception_fp_ieee_invalid_op 0
		.amdhsa_exception_fp_denorm_src 0
		.amdhsa_exception_fp_ieee_div_zero 0
		.amdhsa_exception_fp_ieee_overflow 0
		.amdhsa_exception_fp_ieee_underflow 0
		.amdhsa_exception_fp_ieee_inexact 0
		.amdhsa_exception_int_div_zero 0
	.end_amdhsa_kernel
	.section	.text._ZN7rocprim17ROCPRIM_400000_NS6detail17trampoline_kernelINS0_14default_configENS1_37merge_sort_block_sort_config_selectorIiNS0_10empty_typeEEEZNS1_21merge_sort_block_sortIS3_N6thrust23THRUST_200600_302600_NS6detail15normal_iteratorINS9_10device_ptrIiEEEESE_PS5_SF_11less_div_10IiEEE10hipError_tT0_T1_T2_T3_mRjT4_P12ihipStream_tbNS1_7vsmem_tEEUlT_E_NS1_11comp_targetILNS1_3genE8ELNS1_11target_archE1030ELNS1_3gpuE2ELNS1_3repE0EEENS1_30default_config_static_selectorELNS0_4arch9wavefront6targetE0EEEvSK_,"axG",@progbits,_ZN7rocprim17ROCPRIM_400000_NS6detail17trampoline_kernelINS0_14default_configENS1_37merge_sort_block_sort_config_selectorIiNS0_10empty_typeEEEZNS1_21merge_sort_block_sortIS3_N6thrust23THRUST_200600_302600_NS6detail15normal_iteratorINS9_10device_ptrIiEEEESE_PS5_SF_11less_div_10IiEEE10hipError_tT0_T1_T2_T3_mRjT4_P12ihipStream_tbNS1_7vsmem_tEEUlT_E_NS1_11comp_targetILNS1_3genE8ELNS1_11target_archE1030ELNS1_3gpuE2ELNS1_3repE0EEENS1_30default_config_static_selectorELNS0_4arch9wavefront6targetE0EEEvSK_,comdat
.Lfunc_end428:
	.size	_ZN7rocprim17ROCPRIM_400000_NS6detail17trampoline_kernelINS0_14default_configENS1_37merge_sort_block_sort_config_selectorIiNS0_10empty_typeEEEZNS1_21merge_sort_block_sortIS3_N6thrust23THRUST_200600_302600_NS6detail15normal_iteratorINS9_10device_ptrIiEEEESE_PS5_SF_11less_div_10IiEEE10hipError_tT0_T1_T2_T3_mRjT4_P12ihipStream_tbNS1_7vsmem_tEEUlT_E_NS1_11comp_targetILNS1_3genE8ELNS1_11target_archE1030ELNS1_3gpuE2ELNS1_3repE0EEENS1_30default_config_static_selectorELNS0_4arch9wavefront6targetE0EEEvSK_, .Lfunc_end428-_ZN7rocprim17ROCPRIM_400000_NS6detail17trampoline_kernelINS0_14default_configENS1_37merge_sort_block_sort_config_selectorIiNS0_10empty_typeEEEZNS1_21merge_sort_block_sortIS3_N6thrust23THRUST_200600_302600_NS6detail15normal_iteratorINS9_10device_ptrIiEEEESE_PS5_SF_11less_div_10IiEEE10hipError_tT0_T1_T2_T3_mRjT4_P12ihipStream_tbNS1_7vsmem_tEEUlT_E_NS1_11comp_targetILNS1_3genE8ELNS1_11target_archE1030ELNS1_3gpuE2ELNS1_3repE0EEENS1_30default_config_static_selectorELNS0_4arch9wavefront6targetE0EEEvSK_
                                        ; -- End function
	.set _ZN7rocprim17ROCPRIM_400000_NS6detail17trampoline_kernelINS0_14default_configENS1_37merge_sort_block_sort_config_selectorIiNS0_10empty_typeEEEZNS1_21merge_sort_block_sortIS3_N6thrust23THRUST_200600_302600_NS6detail15normal_iteratorINS9_10device_ptrIiEEEESE_PS5_SF_11less_div_10IiEEE10hipError_tT0_T1_T2_T3_mRjT4_P12ihipStream_tbNS1_7vsmem_tEEUlT_E_NS1_11comp_targetILNS1_3genE8ELNS1_11target_archE1030ELNS1_3gpuE2ELNS1_3repE0EEENS1_30default_config_static_selectorELNS0_4arch9wavefront6targetE0EEEvSK_.num_vgpr, 50
	.set _ZN7rocprim17ROCPRIM_400000_NS6detail17trampoline_kernelINS0_14default_configENS1_37merge_sort_block_sort_config_selectorIiNS0_10empty_typeEEEZNS1_21merge_sort_block_sortIS3_N6thrust23THRUST_200600_302600_NS6detail15normal_iteratorINS9_10device_ptrIiEEEESE_PS5_SF_11less_div_10IiEEE10hipError_tT0_T1_T2_T3_mRjT4_P12ihipStream_tbNS1_7vsmem_tEEUlT_E_NS1_11comp_targetILNS1_3genE8ELNS1_11target_archE1030ELNS1_3gpuE2ELNS1_3repE0EEENS1_30default_config_static_selectorELNS0_4arch9wavefront6targetE0EEEvSK_.num_agpr, 0
	.set _ZN7rocprim17ROCPRIM_400000_NS6detail17trampoline_kernelINS0_14default_configENS1_37merge_sort_block_sort_config_selectorIiNS0_10empty_typeEEEZNS1_21merge_sort_block_sortIS3_N6thrust23THRUST_200600_302600_NS6detail15normal_iteratorINS9_10device_ptrIiEEEESE_PS5_SF_11less_div_10IiEEE10hipError_tT0_T1_T2_T3_mRjT4_P12ihipStream_tbNS1_7vsmem_tEEUlT_E_NS1_11comp_targetILNS1_3genE8ELNS1_11target_archE1030ELNS1_3gpuE2ELNS1_3repE0EEENS1_30default_config_static_selectorELNS0_4arch9wavefront6targetE0EEEvSK_.numbered_sgpr, 22
	.set _ZN7rocprim17ROCPRIM_400000_NS6detail17trampoline_kernelINS0_14default_configENS1_37merge_sort_block_sort_config_selectorIiNS0_10empty_typeEEEZNS1_21merge_sort_block_sortIS3_N6thrust23THRUST_200600_302600_NS6detail15normal_iteratorINS9_10device_ptrIiEEEESE_PS5_SF_11less_div_10IiEEE10hipError_tT0_T1_T2_T3_mRjT4_P12ihipStream_tbNS1_7vsmem_tEEUlT_E_NS1_11comp_targetILNS1_3genE8ELNS1_11target_archE1030ELNS1_3gpuE2ELNS1_3repE0EEENS1_30default_config_static_selectorELNS0_4arch9wavefront6targetE0EEEvSK_.num_named_barrier, 0
	.set _ZN7rocprim17ROCPRIM_400000_NS6detail17trampoline_kernelINS0_14default_configENS1_37merge_sort_block_sort_config_selectorIiNS0_10empty_typeEEEZNS1_21merge_sort_block_sortIS3_N6thrust23THRUST_200600_302600_NS6detail15normal_iteratorINS9_10device_ptrIiEEEESE_PS5_SF_11less_div_10IiEEE10hipError_tT0_T1_T2_T3_mRjT4_P12ihipStream_tbNS1_7vsmem_tEEUlT_E_NS1_11comp_targetILNS1_3genE8ELNS1_11target_archE1030ELNS1_3gpuE2ELNS1_3repE0EEENS1_30default_config_static_selectorELNS0_4arch9wavefront6targetE0EEEvSK_.private_seg_size, 0
	.set _ZN7rocprim17ROCPRIM_400000_NS6detail17trampoline_kernelINS0_14default_configENS1_37merge_sort_block_sort_config_selectorIiNS0_10empty_typeEEEZNS1_21merge_sort_block_sortIS3_N6thrust23THRUST_200600_302600_NS6detail15normal_iteratorINS9_10device_ptrIiEEEESE_PS5_SF_11less_div_10IiEEE10hipError_tT0_T1_T2_T3_mRjT4_P12ihipStream_tbNS1_7vsmem_tEEUlT_E_NS1_11comp_targetILNS1_3genE8ELNS1_11target_archE1030ELNS1_3gpuE2ELNS1_3repE0EEENS1_30default_config_static_selectorELNS0_4arch9wavefront6targetE0EEEvSK_.uses_vcc, 1
	.set _ZN7rocprim17ROCPRIM_400000_NS6detail17trampoline_kernelINS0_14default_configENS1_37merge_sort_block_sort_config_selectorIiNS0_10empty_typeEEEZNS1_21merge_sort_block_sortIS3_N6thrust23THRUST_200600_302600_NS6detail15normal_iteratorINS9_10device_ptrIiEEEESE_PS5_SF_11less_div_10IiEEE10hipError_tT0_T1_T2_T3_mRjT4_P12ihipStream_tbNS1_7vsmem_tEEUlT_E_NS1_11comp_targetILNS1_3genE8ELNS1_11target_archE1030ELNS1_3gpuE2ELNS1_3repE0EEENS1_30default_config_static_selectorELNS0_4arch9wavefront6targetE0EEEvSK_.uses_flat_scratch, 1
	.set _ZN7rocprim17ROCPRIM_400000_NS6detail17trampoline_kernelINS0_14default_configENS1_37merge_sort_block_sort_config_selectorIiNS0_10empty_typeEEEZNS1_21merge_sort_block_sortIS3_N6thrust23THRUST_200600_302600_NS6detail15normal_iteratorINS9_10device_ptrIiEEEESE_PS5_SF_11less_div_10IiEEE10hipError_tT0_T1_T2_T3_mRjT4_P12ihipStream_tbNS1_7vsmem_tEEUlT_E_NS1_11comp_targetILNS1_3genE8ELNS1_11target_archE1030ELNS1_3gpuE2ELNS1_3repE0EEENS1_30default_config_static_selectorELNS0_4arch9wavefront6targetE0EEEvSK_.has_dyn_sized_stack, 0
	.set _ZN7rocprim17ROCPRIM_400000_NS6detail17trampoline_kernelINS0_14default_configENS1_37merge_sort_block_sort_config_selectorIiNS0_10empty_typeEEEZNS1_21merge_sort_block_sortIS3_N6thrust23THRUST_200600_302600_NS6detail15normal_iteratorINS9_10device_ptrIiEEEESE_PS5_SF_11less_div_10IiEEE10hipError_tT0_T1_T2_T3_mRjT4_P12ihipStream_tbNS1_7vsmem_tEEUlT_E_NS1_11comp_targetILNS1_3genE8ELNS1_11target_archE1030ELNS1_3gpuE2ELNS1_3repE0EEENS1_30default_config_static_selectorELNS0_4arch9wavefront6targetE0EEEvSK_.has_recursion, 0
	.set _ZN7rocprim17ROCPRIM_400000_NS6detail17trampoline_kernelINS0_14default_configENS1_37merge_sort_block_sort_config_selectorIiNS0_10empty_typeEEEZNS1_21merge_sort_block_sortIS3_N6thrust23THRUST_200600_302600_NS6detail15normal_iteratorINS9_10device_ptrIiEEEESE_PS5_SF_11less_div_10IiEEE10hipError_tT0_T1_T2_T3_mRjT4_P12ihipStream_tbNS1_7vsmem_tEEUlT_E_NS1_11comp_targetILNS1_3genE8ELNS1_11target_archE1030ELNS1_3gpuE2ELNS1_3repE0EEENS1_30default_config_static_selectorELNS0_4arch9wavefront6targetE0EEEvSK_.has_indirect_call, 0
	.section	.AMDGPU.csdata,"",@progbits
; Kernel info:
; codeLenInByte = 31168
; TotalNumSgprs: 24
; NumVgprs: 50
; ScratchSize: 0
; MemoryBound: 0
; FloatMode: 240
; IeeeMode: 1
; LDSByteSize: 8448 bytes/workgroup (compile time only)
; SGPRBlocks: 0
; VGPRBlocks: 6
; NumSGPRsForWavesPerEU: 24
; NumVGPRsForWavesPerEU: 50
; Occupancy: 16
; WaveLimiterHint : 1
; COMPUTE_PGM_RSRC2:SCRATCH_EN: 0
; COMPUTE_PGM_RSRC2:USER_SGPR: 6
; COMPUTE_PGM_RSRC2:TRAP_HANDLER: 0
; COMPUTE_PGM_RSRC2:TGID_X_EN: 1
; COMPUTE_PGM_RSRC2:TGID_Y_EN: 1
; COMPUTE_PGM_RSRC2:TGID_Z_EN: 1
; COMPUTE_PGM_RSRC2:TIDIG_COMP_CNT: 2
	.section	.text._ZN7rocprim17ROCPRIM_400000_NS6detail17trampoline_kernelINS0_14default_configENS1_38merge_sort_block_merge_config_selectorIiNS0_10empty_typeEEEZZNS1_27merge_sort_block_merge_implIS3_N6thrust23THRUST_200600_302600_NS6detail15normal_iteratorINS9_10device_ptrIiEEEEPS5_m11less_div_10IiEEE10hipError_tT0_T1_T2_jT3_P12ihipStream_tbPNSt15iterator_traitsISJ_E10value_typeEPNSP_ISK_E10value_typeEPSL_NS1_7vsmem_tEENKUlT_SJ_SK_SL_E_clIPiSE_SF_SF_EESI_SY_SJ_SK_SL_EUlSY_E_NS1_11comp_targetILNS1_3genE0ELNS1_11target_archE4294967295ELNS1_3gpuE0ELNS1_3repE0EEENS1_48merge_mergepath_partition_config_static_selectorELNS0_4arch9wavefront6targetE0EEEvSK_,"axG",@progbits,_ZN7rocprim17ROCPRIM_400000_NS6detail17trampoline_kernelINS0_14default_configENS1_38merge_sort_block_merge_config_selectorIiNS0_10empty_typeEEEZZNS1_27merge_sort_block_merge_implIS3_N6thrust23THRUST_200600_302600_NS6detail15normal_iteratorINS9_10device_ptrIiEEEEPS5_m11less_div_10IiEEE10hipError_tT0_T1_T2_jT3_P12ihipStream_tbPNSt15iterator_traitsISJ_E10value_typeEPNSP_ISK_E10value_typeEPSL_NS1_7vsmem_tEENKUlT_SJ_SK_SL_E_clIPiSE_SF_SF_EESI_SY_SJ_SK_SL_EUlSY_E_NS1_11comp_targetILNS1_3genE0ELNS1_11target_archE4294967295ELNS1_3gpuE0ELNS1_3repE0EEENS1_48merge_mergepath_partition_config_static_selectorELNS0_4arch9wavefront6targetE0EEEvSK_,comdat
	.protected	_ZN7rocprim17ROCPRIM_400000_NS6detail17trampoline_kernelINS0_14default_configENS1_38merge_sort_block_merge_config_selectorIiNS0_10empty_typeEEEZZNS1_27merge_sort_block_merge_implIS3_N6thrust23THRUST_200600_302600_NS6detail15normal_iteratorINS9_10device_ptrIiEEEEPS5_m11less_div_10IiEEE10hipError_tT0_T1_T2_jT3_P12ihipStream_tbPNSt15iterator_traitsISJ_E10value_typeEPNSP_ISK_E10value_typeEPSL_NS1_7vsmem_tEENKUlT_SJ_SK_SL_E_clIPiSE_SF_SF_EESI_SY_SJ_SK_SL_EUlSY_E_NS1_11comp_targetILNS1_3genE0ELNS1_11target_archE4294967295ELNS1_3gpuE0ELNS1_3repE0EEENS1_48merge_mergepath_partition_config_static_selectorELNS0_4arch9wavefront6targetE0EEEvSK_ ; -- Begin function _ZN7rocprim17ROCPRIM_400000_NS6detail17trampoline_kernelINS0_14default_configENS1_38merge_sort_block_merge_config_selectorIiNS0_10empty_typeEEEZZNS1_27merge_sort_block_merge_implIS3_N6thrust23THRUST_200600_302600_NS6detail15normal_iteratorINS9_10device_ptrIiEEEEPS5_m11less_div_10IiEEE10hipError_tT0_T1_T2_jT3_P12ihipStream_tbPNSt15iterator_traitsISJ_E10value_typeEPNSP_ISK_E10value_typeEPSL_NS1_7vsmem_tEENKUlT_SJ_SK_SL_E_clIPiSE_SF_SF_EESI_SY_SJ_SK_SL_EUlSY_E_NS1_11comp_targetILNS1_3genE0ELNS1_11target_archE4294967295ELNS1_3gpuE0ELNS1_3repE0EEENS1_48merge_mergepath_partition_config_static_selectorELNS0_4arch9wavefront6targetE0EEEvSK_
	.globl	_ZN7rocprim17ROCPRIM_400000_NS6detail17trampoline_kernelINS0_14default_configENS1_38merge_sort_block_merge_config_selectorIiNS0_10empty_typeEEEZZNS1_27merge_sort_block_merge_implIS3_N6thrust23THRUST_200600_302600_NS6detail15normal_iteratorINS9_10device_ptrIiEEEEPS5_m11less_div_10IiEEE10hipError_tT0_T1_T2_jT3_P12ihipStream_tbPNSt15iterator_traitsISJ_E10value_typeEPNSP_ISK_E10value_typeEPSL_NS1_7vsmem_tEENKUlT_SJ_SK_SL_E_clIPiSE_SF_SF_EESI_SY_SJ_SK_SL_EUlSY_E_NS1_11comp_targetILNS1_3genE0ELNS1_11target_archE4294967295ELNS1_3gpuE0ELNS1_3repE0EEENS1_48merge_mergepath_partition_config_static_selectorELNS0_4arch9wavefront6targetE0EEEvSK_
	.p2align	8
	.type	_ZN7rocprim17ROCPRIM_400000_NS6detail17trampoline_kernelINS0_14default_configENS1_38merge_sort_block_merge_config_selectorIiNS0_10empty_typeEEEZZNS1_27merge_sort_block_merge_implIS3_N6thrust23THRUST_200600_302600_NS6detail15normal_iteratorINS9_10device_ptrIiEEEEPS5_m11less_div_10IiEEE10hipError_tT0_T1_T2_jT3_P12ihipStream_tbPNSt15iterator_traitsISJ_E10value_typeEPNSP_ISK_E10value_typeEPSL_NS1_7vsmem_tEENKUlT_SJ_SK_SL_E_clIPiSE_SF_SF_EESI_SY_SJ_SK_SL_EUlSY_E_NS1_11comp_targetILNS1_3genE0ELNS1_11target_archE4294967295ELNS1_3gpuE0ELNS1_3repE0EEENS1_48merge_mergepath_partition_config_static_selectorELNS0_4arch9wavefront6targetE0EEEvSK_,@function
_ZN7rocprim17ROCPRIM_400000_NS6detail17trampoline_kernelINS0_14default_configENS1_38merge_sort_block_merge_config_selectorIiNS0_10empty_typeEEEZZNS1_27merge_sort_block_merge_implIS3_N6thrust23THRUST_200600_302600_NS6detail15normal_iteratorINS9_10device_ptrIiEEEEPS5_m11less_div_10IiEEE10hipError_tT0_T1_T2_jT3_P12ihipStream_tbPNSt15iterator_traitsISJ_E10value_typeEPNSP_ISK_E10value_typeEPSL_NS1_7vsmem_tEENKUlT_SJ_SK_SL_E_clIPiSE_SF_SF_EESI_SY_SJ_SK_SL_EUlSY_E_NS1_11comp_targetILNS1_3genE0ELNS1_11target_archE4294967295ELNS1_3gpuE0ELNS1_3repE0EEENS1_48merge_mergepath_partition_config_static_selectorELNS0_4arch9wavefront6targetE0EEEvSK_: ; @_ZN7rocprim17ROCPRIM_400000_NS6detail17trampoline_kernelINS0_14default_configENS1_38merge_sort_block_merge_config_selectorIiNS0_10empty_typeEEEZZNS1_27merge_sort_block_merge_implIS3_N6thrust23THRUST_200600_302600_NS6detail15normal_iteratorINS9_10device_ptrIiEEEEPS5_m11less_div_10IiEEE10hipError_tT0_T1_T2_jT3_P12ihipStream_tbPNSt15iterator_traitsISJ_E10value_typeEPNSP_ISK_E10value_typeEPSL_NS1_7vsmem_tEENKUlT_SJ_SK_SL_E_clIPiSE_SF_SF_EESI_SY_SJ_SK_SL_EUlSY_E_NS1_11comp_targetILNS1_3genE0ELNS1_11target_archE4294967295ELNS1_3gpuE0ELNS1_3repE0EEENS1_48merge_mergepath_partition_config_static_selectorELNS0_4arch9wavefront6targetE0EEEvSK_
; %bb.0:
	.section	.rodata,"a",@progbits
	.p2align	6, 0x0
	.amdhsa_kernel _ZN7rocprim17ROCPRIM_400000_NS6detail17trampoline_kernelINS0_14default_configENS1_38merge_sort_block_merge_config_selectorIiNS0_10empty_typeEEEZZNS1_27merge_sort_block_merge_implIS3_N6thrust23THRUST_200600_302600_NS6detail15normal_iteratorINS9_10device_ptrIiEEEEPS5_m11less_div_10IiEEE10hipError_tT0_T1_T2_jT3_P12ihipStream_tbPNSt15iterator_traitsISJ_E10value_typeEPNSP_ISK_E10value_typeEPSL_NS1_7vsmem_tEENKUlT_SJ_SK_SL_E_clIPiSE_SF_SF_EESI_SY_SJ_SK_SL_EUlSY_E_NS1_11comp_targetILNS1_3genE0ELNS1_11target_archE4294967295ELNS1_3gpuE0ELNS1_3repE0EEENS1_48merge_mergepath_partition_config_static_selectorELNS0_4arch9wavefront6targetE0EEEvSK_
		.amdhsa_group_segment_fixed_size 0
		.amdhsa_private_segment_fixed_size 0
		.amdhsa_kernarg_size 48
		.amdhsa_user_sgpr_count 6
		.amdhsa_user_sgpr_private_segment_buffer 1
		.amdhsa_user_sgpr_dispatch_ptr 0
		.amdhsa_user_sgpr_queue_ptr 0
		.amdhsa_user_sgpr_kernarg_segment_ptr 1
		.amdhsa_user_sgpr_dispatch_id 0
		.amdhsa_user_sgpr_flat_scratch_init 0
		.amdhsa_user_sgpr_private_segment_size 0
		.amdhsa_wavefront_size32 1
		.amdhsa_uses_dynamic_stack 0
		.amdhsa_system_sgpr_private_segment_wavefront_offset 0
		.amdhsa_system_sgpr_workgroup_id_x 1
		.amdhsa_system_sgpr_workgroup_id_y 0
		.amdhsa_system_sgpr_workgroup_id_z 0
		.amdhsa_system_sgpr_workgroup_info 0
		.amdhsa_system_vgpr_workitem_id 0
		.amdhsa_next_free_vgpr 1
		.amdhsa_next_free_sgpr 1
		.amdhsa_reserve_vcc 0
		.amdhsa_reserve_flat_scratch 0
		.amdhsa_float_round_mode_32 0
		.amdhsa_float_round_mode_16_64 0
		.amdhsa_float_denorm_mode_32 3
		.amdhsa_float_denorm_mode_16_64 3
		.amdhsa_dx10_clamp 1
		.amdhsa_ieee_mode 1
		.amdhsa_fp16_overflow 0
		.amdhsa_workgroup_processor_mode 1
		.amdhsa_memory_ordered 1
		.amdhsa_forward_progress 1
		.amdhsa_shared_vgpr_count 0
		.amdhsa_exception_fp_ieee_invalid_op 0
		.amdhsa_exception_fp_denorm_src 0
		.amdhsa_exception_fp_ieee_div_zero 0
		.amdhsa_exception_fp_ieee_overflow 0
		.amdhsa_exception_fp_ieee_underflow 0
		.amdhsa_exception_fp_ieee_inexact 0
		.amdhsa_exception_int_div_zero 0
	.end_amdhsa_kernel
	.section	.text._ZN7rocprim17ROCPRIM_400000_NS6detail17trampoline_kernelINS0_14default_configENS1_38merge_sort_block_merge_config_selectorIiNS0_10empty_typeEEEZZNS1_27merge_sort_block_merge_implIS3_N6thrust23THRUST_200600_302600_NS6detail15normal_iteratorINS9_10device_ptrIiEEEEPS5_m11less_div_10IiEEE10hipError_tT0_T1_T2_jT3_P12ihipStream_tbPNSt15iterator_traitsISJ_E10value_typeEPNSP_ISK_E10value_typeEPSL_NS1_7vsmem_tEENKUlT_SJ_SK_SL_E_clIPiSE_SF_SF_EESI_SY_SJ_SK_SL_EUlSY_E_NS1_11comp_targetILNS1_3genE0ELNS1_11target_archE4294967295ELNS1_3gpuE0ELNS1_3repE0EEENS1_48merge_mergepath_partition_config_static_selectorELNS0_4arch9wavefront6targetE0EEEvSK_,"axG",@progbits,_ZN7rocprim17ROCPRIM_400000_NS6detail17trampoline_kernelINS0_14default_configENS1_38merge_sort_block_merge_config_selectorIiNS0_10empty_typeEEEZZNS1_27merge_sort_block_merge_implIS3_N6thrust23THRUST_200600_302600_NS6detail15normal_iteratorINS9_10device_ptrIiEEEEPS5_m11less_div_10IiEEE10hipError_tT0_T1_T2_jT3_P12ihipStream_tbPNSt15iterator_traitsISJ_E10value_typeEPNSP_ISK_E10value_typeEPSL_NS1_7vsmem_tEENKUlT_SJ_SK_SL_E_clIPiSE_SF_SF_EESI_SY_SJ_SK_SL_EUlSY_E_NS1_11comp_targetILNS1_3genE0ELNS1_11target_archE4294967295ELNS1_3gpuE0ELNS1_3repE0EEENS1_48merge_mergepath_partition_config_static_selectorELNS0_4arch9wavefront6targetE0EEEvSK_,comdat
.Lfunc_end429:
	.size	_ZN7rocprim17ROCPRIM_400000_NS6detail17trampoline_kernelINS0_14default_configENS1_38merge_sort_block_merge_config_selectorIiNS0_10empty_typeEEEZZNS1_27merge_sort_block_merge_implIS3_N6thrust23THRUST_200600_302600_NS6detail15normal_iteratorINS9_10device_ptrIiEEEEPS5_m11less_div_10IiEEE10hipError_tT0_T1_T2_jT3_P12ihipStream_tbPNSt15iterator_traitsISJ_E10value_typeEPNSP_ISK_E10value_typeEPSL_NS1_7vsmem_tEENKUlT_SJ_SK_SL_E_clIPiSE_SF_SF_EESI_SY_SJ_SK_SL_EUlSY_E_NS1_11comp_targetILNS1_3genE0ELNS1_11target_archE4294967295ELNS1_3gpuE0ELNS1_3repE0EEENS1_48merge_mergepath_partition_config_static_selectorELNS0_4arch9wavefront6targetE0EEEvSK_, .Lfunc_end429-_ZN7rocprim17ROCPRIM_400000_NS6detail17trampoline_kernelINS0_14default_configENS1_38merge_sort_block_merge_config_selectorIiNS0_10empty_typeEEEZZNS1_27merge_sort_block_merge_implIS3_N6thrust23THRUST_200600_302600_NS6detail15normal_iteratorINS9_10device_ptrIiEEEEPS5_m11less_div_10IiEEE10hipError_tT0_T1_T2_jT3_P12ihipStream_tbPNSt15iterator_traitsISJ_E10value_typeEPNSP_ISK_E10value_typeEPSL_NS1_7vsmem_tEENKUlT_SJ_SK_SL_E_clIPiSE_SF_SF_EESI_SY_SJ_SK_SL_EUlSY_E_NS1_11comp_targetILNS1_3genE0ELNS1_11target_archE4294967295ELNS1_3gpuE0ELNS1_3repE0EEENS1_48merge_mergepath_partition_config_static_selectorELNS0_4arch9wavefront6targetE0EEEvSK_
                                        ; -- End function
	.set _ZN7rocprim17ROCPRIM_400000_NS6detail17trampoline_kernelINS0_14default_configENS1_38merge_sort_block_merge_config_selectorIiNS0_10empty_typeEEEZZNS1_27merge_sort_block_merge_implIS3_N6thrust23THRUST_200600_302600_NS6detail15normal_iteratorINS9_10device_ptrIiEEEEPS5_m11less_div_10IiEEE10hipError_tT0_T1_T2_jT3_P12ihipStream_tbPNSt15iterator_traitsISJ_E10value_typeEPNSP_ISK_E10value_typeEPSL_NS1_7vsmem_tEENKUlT_SJ_SK_SL_E_clIPiSE_SF_SF_EESI_SY_SJ_SK_SL_EUlSY_E_NS1_11comp_targetILNS1_3genE0ELNS1_11target_archE4294967295ELNS1_3gpuE0ELNS1_3repE0EEENS1_48merge_mergepath_partition_config_static_selectorELNS0_4arch9wavefront6targetE0EEEvSK_.num_vgpr, 0
	.set _ZN7rocprim17ROCPRIM_400000_NS6detail17trampoline_kernelINS0_14default_configENS1_38merge_sort_block_merge_config_selectorIiNS0_10empty_typeEEEZZNS1_27merge_sort_block_merge_implIS3_N6thrust23THRUST_200600_302600_NS6detail15normal_iteratorINS9_10device_ptrIiEEEEPS5_m11less_div_10IiEEE10hipError_tT0_T1_T2_jT3_P12ihipStream_tbPNSt15iterator_traitsISJ_E10value_typeEPNSP_ISK_E10value_typeEPSL_NS1_7vsmem_tEENKUlT_SJ_SK_SL_E_clIPiSE_SF_SF_EESI_SY_SJ_SK_SL_EUlSY_E_NS1_11comp_targetILNS1_3genE0ELNS1_11target_archE4294967295ELNS1_3gpuE0ELNS1_3repE0EEENS1_48merge_mergepath_partition_config_static_selectorELNS0_4arch9wavefront6targetE0EEEvSK_.num_agpr, 0
	.set _ZN7rocprim17ROCPRIM_400000_NS6detail17trampoline_kernelINS0_14default_configENS1_38merge_sort_block_merge_config_selectorIiNS0_10empty_typeEEEZZNS1_27merge_sort_block_merge_implIS3_N6thrust23THRUST_200600_302600_NS6detail15normal_iteratorINS9_10device_ptrIiEEEEPS5_m11less_div_10IiEEE10hipError_tT0_T1_T2_jT3_P12ihipStream_tbPNSt15iterator_traitsISJ_E10value_typeEPNSP_ISK_E10value_typeEPSL_NS1_7vsmem_tEENKUlT_SJ_SK_SL_E_clIPiSE_SF_SF_EESI_SY_SJ_SK_SL_EUlSY_E_NS1_11comp_targetILNS1_3genE0ELNS1_11target_archE4294967295ELNS1_3gpuE0ELNS1_3repE0EEENS1_48merge_mergepath_partition_config_static_selectorELNS0_4arch9wavefront6targetE0EEEvSK_.numbered_sgpr, 0
	.set _ZN7rocprim17ROCPRIM_400000_NS6detail17trampoline_kernelINS0_14default_configENS1_38merge_sort_block_merge_config_selectorIiNS0_10empty_typeEEEZZNS1_27merge_sort_block_merge_implIS3_N6thrust23THRUST_200600_302600_NS6detail15normal_iteratorINS9_10device_ptrIiEEEEPS5_m11less_div_10IiEEE10hipError_tT0_T1_T2_jT3_P12ihipStream_tbPNSt15iterator_traitsISJ_E10value_typeEPNSP_ISK_E10value_typeEPSL_NS1_7vsmem_tEENKUlT_SJ_SK_SL_E_clIPiSE_SF_SF_EESI_SY_SJ_SK_SL_EUlSY_E_NS1_11comp_targetILNS1_3genE0ELNS1_11target_archE4294967295ELNS1_3gpuE0ELNS1_3repE0EEENS1_48merge_mergepath_partition_config_static_selectorELNS0_4arch9wavefront6targetE0EEEvSK_.num_named_barrier, 0
	.set _ZN7rocprim17ROCPRIM_400000_NS6detail17trampoline_kernelINS0_14default_configENS1_38merge_sort_block_merge_config_selectorIiNS0_10empty_typeEEEZZNS1_27merge_sort_block_merge_implIS3_N6thrust23THRUST_200600_302600_NS6detail15normal_iteratorINS9_10device_ptrIiEEEEPS5_m11less_div_10IiEEE10hipError_tT0_T1_T2_jT3_P12ihipStream_tbPNSt15iterator_traitsISJ_E10value_typeEPNSP_ISK_E10value_typeEPSL_NS1_7vsmem_tEENKUlT_SJ_SK_SL_E_clIPiSE_SF_SF_EESI_SY_SJ_SK_SL_EUlSY_E_NS1_11comp_targetILNS1_3genE0ELNS1_11target_archE4294967295ELNS1_3gpuE0ELNS1_3repE0EEENS1_48merge_mergepath_partition_config_static_selectorELNS0_4arch9wavefront6targetE0EEEvSK_.private_seg_size, 0
	.set _ZN7rocprim17ROCPRIM_400000_NS6detail17trampoline_kernelINS0_14default_configENS1_38merge_sort_block_merge_config_selectorIiNS0_10empty_typeEEEZZNS1_27merge_sort_block_merge_implIS3_N6thrust23THRUST_200600_302600_NS6detail15normal_iteratorINS9_10device_ptrIiEEEEPS5_m11less_div_10IiEEE10hipError_tT0_T1_T2_jT3_P12ihipStream_tbPNSt15iterator_traitsISJ_E10value_typeEPNSP_ISK_E10value_typeEPSL_NS1_7vsmem_tEENKUlT_SJ_SK_SL_E_clIPiSE_SF_SF_EESI_SY_SJ_SK_SL_EUlSY_E_NS1_11comp_targetILNS1_3genE0ELNS1_11target_archE4294967295ELNS1_3gpuE0ELNS1_3repE0EEENS1_48merge_mergepath_partition_config_static_selectorELNS0_4arch9wavefront6targetE0EEEvSK_.uses_vcc, 0
	.set _ZN7rocprim17ROCPRIM_400000_NS6detail17trampoline_kernelINS0_14default_configENS1_38merge_sort_block_merge_config_selectorIiNS0_10empty_typeEEEZZNS1_27merge_sort_block_merge_implIS3_N6thrust23THRUST_200600_302600_NS6detail15normal_iteratorINS9_10device_ptrIiEEEEPS5_m11less_div_10IiEEE10hipError_tT0_T1_T2_jT3_P12ihipStream_tbPNSt15iterator_traitsISJ_E10value_typeEPNSP_ISK_E10value_typeEPSL_NS1_7vsmem_tEENKUlT_SJ_SK_SL_E_clIPiSE_SF_SF_EESI_SY_SJ_SK_SL_EUlSY_E_NS1_11comp_targetILNS1_3genE0ELNS1_11target_archE4294967295ELNS1_3gpuE0ELNS1_3repE0EEENS1_48merge_mergepath_partition_config_static_selectorELNS0_4arch9wavefront6targetE0EEEvSK_.uses_flat_scratch, 0
	.set _ZN7rocprim17ROCPRIM_400000_NS6detail17trampoline_kernelINS0_14default_configENS1_38merge_sort_block_merge_config_selectorIiNS0_10empty_typeEEEZZNS1_27merge_sort_block_merge_implIS3_N6thrust23THRUST_200600_302600_NS6detail15normal_iteratorINS9_10device_ptrIiEEEEPS5_m11less_div_10IiEEE10hipError_tT0_T1_T2_jT3_P12ihipStream_tbPNSt15iterator_traitsISJ_E10value_typeEPNSP_ISK_E10value_typeEPSL_NS1_7vsmem_tEENKUlT_SJ_SK_SL_E_clIPiSE_SF_SF_EESI_SY_SJ_SK_SL_EUlSY_E_NS1_11comp_targetILNS1_3genE0ELNS1_11target_archE4294967295ELNS1_3gpuE0ELNS1_3repE0EEENS1_48merge_mergepath_partition_config_static_selectorELNS0_4arch9wavefront6targetE0EEEvSK_.has_dyn_sized_stack, 0
	.set _ZN7rocprim17ROCPRIM_400000_NS6detail17trampoline_kernelINS0_14default_configENS1_38merge_sort_block_merge_config_selectorIiNS0_10empty_typeEEEZZNS1_27merge_sort_block_merge_implIS3_N6thrust23THRUST_200600_302600_NS6detail15normal_iteratorINS9_10device_ptrIiEEEEPS5_m11less_div_10IiEEE10hipError_tT0_T1_T2_jT3_P12ihipStream_tbPNSt15iterator_traitsISJ_E10value_typeEPNSP_ISK_E10value_typeEPSL_NS1_7vsmem_tEENKUlT_SJ_SK_SL_E_clIPiSE_SF_SF_EESI_SY_SJ_SK_SL_EUlSY_E_NS1_11comp_targetILNS1_3genE0ELNS1_11target_archE4294967295ELNS1_3gpuE0ELNS1_3repE0EEENS1_48merge_mergepath_partition_config_static_selectorELNS0_4arch9wavefront6targetE0EEEvSK_.has_recursion, 0
	.set _ZN7rocprim17ROCPRIM_400000_NS6detail17trampoline_kernelINS0_14default_configENS1_38merge_sort_block_merge_config_selectorIiNS0_10empty_typeEEEZZNS1_27merge_sort_block_merge_implIS3_N6thrust23THRUST_200600_302600_NS6detail15normal_iteratorINS9_10device_ptrIiEEEEPS5_m11less_div_10IiEEE10hipError_tT0_T1_T2_jT3_P12ihipStream_tbPNSt15iterator_traitsISJ_E10value_typeEPNSP_ISK_E10value_typeEPSL_NS1_7vsmem_tEENKUlT_SJ_SK_SL_E_clIPiSE_SF_SF_EESI_SY_SJ_SK_SL_EUlSY_E_NS1_11comp_targetILNS1_3genE0ELNS1_11target_archE4294967295ELNS1_3gpuE0ELNS1_3repE0EEENS1_48merge_mergepath_partition_config_static_selectorELNS0_4arch9wavefront6targetE0EEEvSK_.has_indirect_call, 0
	.section	.AMDGPU.csdata,"",@progbits
; Kernel info:
; codeLenInByte = 0
; TotalNumSgprs: 0
; NumVgprs: 0
; ScratchSize: 0
; MemoryBound: 0
; FloatMode: 240
; IeeeMode: 1
; LDSByteSize: 0 bytes/workgroup (compile time only)
; SGPRBlocks: 0
; VGPRBlocks: 0
; NumSGPRsForWavesPerEU: 1
; NumVGPRsForWavesPerEU: 1
; Occupancy: 16
; WaveLimiterHint : 0
; COMPUTE_PGM_RSRC2:SCRATCH_EN: 0
; COMPUTE_PGM_RSRC2:USER_SGPR: 6
; COMPUTE_PGM_RSRC2:TRAP_HANDLER: 0
; COMPUTE_PGM_RSRC2:TGID_X_EN: 1
; COMPUTE_PGM_RSRC2:TGID_Y_EN: 0
; COMPUTE_PGM_RSRC2:TGID_Z_EN: 0
; COMPUTE_PGM_RSRC2:TIDIG_COMP_CNT: 0
	.section	.text._ZN7rocprim17ROCPRIM_400000_NS6detail17trampoline_kernelINS0_14default_configENS1_38merge_sort_block_merge_config_selectorIiNS0_10empty_typeEEEZZNS1_27merge_sort_block_merge_implIS3_N6thrust23THRUST_200600_302600_NS6detail15normal_iteratorINS9_10device_ptrIiEEEEPS5_m11less_div_10IiEEE10hipError_tT0_T1_T2_jT3_P12ihipStream_tbPNSt15iterator_traitsISJ_E10value_typeEPNSP_ISK_E10value_typeEPSL_NS1_7vsmem_tEENKUlT_SJ_SK_SL_E_clIPiSE_SF_SF_EESI_SY_SJ_SK_SL_EUlSY_E_NS1_11comp_targetILNS1_3genE10ELNS1_11target_archE1201ELNS1_3gpuE5ELNS1_3repE0EEENS1_48merge_mergepath_partition_config_static_selectorELNS0_4arch9wavefront6targetE0EEEvSK_,"axG",@progbits,_ZN7rocprim17ROCPRIM_400000_NS6detail17trampoline_kernelINS0_14default_configENS1_38merge_sort_block_merge_config_selectorIiNS0_10empty_typeEEEZZNS1_27merge_sort_block_merge_implIS3_N6thrust23THRUST_200600_302600_NS6detail15normal_iteratorINS9_10device_ptrIiEEEEPS5_m11less_div_10IiEEE10hipError_tT0_T1_T2_jT3_P12ihipStream_tbPNSt15iterator_traitsISJ_E10value_typeEPNSP_ISK_E10value_typeEPSL_NS1_7vsmem_tEENKUlT_SJ_SK_SL_E_clIPiSE_SF_SF_EESI_SY_SJ_SK_SL_EUlSY_E_NS1_11comp_targetILNS1_3genE10ELNS1_11target_archE1201ELNS1_3gpuE5ELNS1_3repE0EEENS1_48merge_mergepath_partition_config_static_selectorELNS0_4arch9wavefront6targetE0EEEvSK_,comdat
	.protected	_ZN7rocprim17ROCPRIM_400000_NS6detail17trampoline_kernelINS0_14default_configENS1_38merge_sort_block_merge_config_selectorIiNS0_10empty_typeEEEZZNS1_27merge_sort_block_merge_implIS3_N6thrust23THRUST_200600_302600_NS6detail15normal_iteratorINS9_10device_ptrIiEEEEPS5_m11less_div_10IiEEE10hipError_tT0_T1_T2_jT3_P12ihipStream_tbPNSt15iterator_traitsISJ_E10value_typeEPNSP_ISK_E10value_typeEPSL_NS1_7vsmem_tEENKUlT_SJ_SK_SL_E_clIPiSE_SF_SF_EESI_SY_SJ_SK_SL_EUlSY_E_NS1_11comp_targetILNS1_3genE10ELNS1_11target_archE1201ELNS1_3gpuE5ELNS1_3repE0EEENS1_48merge_mergepath_partition_config_static_selectorELNS0_4arch9wavefront6targetE0EEEvSK_ ; -- Begin function _ZN7rocprim17ROCPRIM_400000_NS6detail17trampoline_kernelINS0_14default_configENS1_38merge_sort_block_merge_config_selectorIiNS0_10empty_typeEEEZZNS1_27merge_sort_block_merge_implIS3_N6thrust23THRUST_200600_302600_NS6detail15normal_iteratorINS9_10device_ptrIiEEEEPS5_m11less_div_10IiEEE10hipError_tT0_T1_T2_jT3_P12ihipStream_tbPNSt15iterator_traitsISJ_E10value_typeEPNSP_ISK_E10value_typeEPSL_NS1_7vsmem_tEENKUlT_SJ_SK_SL_E_clIPiSE_SF_SF_EESI_SY_SJ_SK_SL_EUlSY_E_NS1_11comp_targetILNS1_3genE10ELNS1_11target_archE1201ELNS1_3gpuE5ELNS1_3repE0EEENS1_48merge_mergepath_partition_config_static_selectorELNS0_4arch9wavefront6targetE0EEEvSK_
	.globl	_ZN7rocprim17ROCPRIM_400000_NS6detail17trampoline_kernelINS0_14default_configENS1_38merge_sort_block_merge_config_selectorIiNS0_10empty_typeEEEZZNS1_27merge_sort_block_merge_implIS3_N6thrust23THRUST_200600_302600_NS6detail15normal_iteratorINS9_10device_ptrIiEEEEPS5_m11less_div_10IiEEE10hipError_tT0_T1_T2_jT3_P12ihipStream_tbPNSt15iterator_traitsISJ_E10value_typeEPNSP_ISK_E10value_typeEPSL_NS1_7vsmem_tEENKUlT_SJ_SK_SL_E_clIPiSE_SF_SF_EESI_SY_SJ_SK_SL_EUlSY_E_NS1_11comp_targetILNS1_3genE10ELNS1_11target_archE1201ELNS1_3gpuE5ELNS1_3repE0EEENS1_48merge_mergepath_partition_config_static_selectorELNS0_4arch9wavefront6targetE0EEEvSK_
	.p2align	8
	.type	_ZN7rocprim17ROCPRIM_400000_NS6detail17trampoline_kernelINS0_14default_configENS1_38merge_sort_block_merge_config_selectorIiNS0_10empty_typeEEEZZNS1_27merge_sort_block_merge_implIS3_N6thrust23THRUST_200600_302600_NS6detail15normal_iteratorINS9_10device_ptrIiEEEEPS5_m11less_div_10IiEEE10hipError_tT0_T1_T2_jT3_P12ihipStream_tbPNSt15iterator_traitsISJ_E10value_typeEPNSP_ISK_E10value_typeEPSL_NS1_7vsmem_tEENKUlT_SJ_SK_SL_E_clIPiSE_SF_SF_EESI_SY_SJ_SK_SL_EUlSY_E_NS1_11comp_targetILNS1_3genE10ELNS1_11target_archE1201ELNS1_3gpuE5ELNS1_3repE0EEENS1_48merge_mergepath_partition_config_static_selectorELNS0_4arch9wavefront6targetE0EEEvSK_,@function
_ZN7rocprim17ROCPRIM_400000_NS6detail17trampoline_kernelINS0_14default_configENS1_38merge_sort_block_merge_config_selectorIiNS0_10empty_typeEEEZZNS1_27merge_sort_block_merge_implIS3_N6thrust23THRUST_200600_302600_NS6detail15normal_iteratorINS9_10device_ptrIiEEEEPS5_m11less_div_10IiEEE10hipError_tT0_T1_T2_jT3_P12ihipStream_tbPNSt15iterator_traitsISJ_E10value_typeEPNSP_ISK_E10value_typeEPSL_NS1_7vsmem_tEENKUlT_SJ_SK_SL_E_clIPiSE_SF_SF_EESI_SY_SJ_SK_SL_EUlSY_E_NS1_11comp_targetILNS1_3genE10ELNS1_11target_archE1201ELNS1_3gpuE5ELNS1_3repE0EEENS1_48merge_mergepath_partition_config_static_selectorELNS0_4arch9wavefront6targetE0EEEvSK_: ; @_ZN7rocprim17ROCPRIM_400000_NS6detail17trampoline_kernelINS0_14default_configENS1_38merge_sort_block_merge_config_selectorIiNS0_10empty_typeEEEZZNS1_27merge_sort_block_merge_implIS3_N6thrust23THRUST_200600_302600_NS6detail15normal_iteratorINS9_10device_ptrIiEEEEPS5_m11less_div_10IiEEE10hipError_tT0_T1_T2_jT3_P12ihipStream_tbPNSt15iterator_traitsISJ_E10value_typeEPNSP_ISK_E10value_typeEPSL_NS1_7vsmem_tEENKUlT_SJ_SK_SL_E_clIPiSE_SF_SF_EESI_SY_SJ_SK_SL_EUlSY_E_NS1_11comp_targetILNS1_3genE10ELNS1_11target_archE1201ELNS1_3gpuE5ELNS1_3repE0EEENS1_48merge_mergepath_partition_config_static_selectorELNS0_4arch9wavefront6targetE0EEEvSK_
; %bb.0:
	.section	.rodata,"a",@progbits
	.p2align	6, 0x0
	.amdhsa_kernel _ZN7rocprim17ROCPRIM_400000_NS6detail17trampoline_kernelINS0_14default_configENS1_38merge_sort_block_merge_config_selectorIiNS0_10empty_typeEEEZZNS1_27merge_sort_block_merge_implIS3_N6thrust23THRUST_200600_302600_NS6detail15normal_iteratorINS9_10device_ptrIiEEEEPS5_m11less_div_10IiEEE10hipError_tT0_T1_T2_jT3_P12ihipStream_tbPNSt15iterator_traitsISJ_E10value_typeEPNSP_ISK_E10value_typeEPSL_NS1_7vsmem_tEENKUlT_SJ_SK_SL_E_clIPiSE_SF_SF_EESI_SY_SJ_SK_SL_EUlSY_E_NS1_11comp_targetILNS1_3genE10ELNS1_11target_archE1201ELNS1_3gpuE5ELNS1_3repE0EEENS1_48merge_mergepath_partition_config_static_selectorELNS0_4arch9wavefront6targetE0EEEvSK_
		.amdhsa_group_segment_fixed_size 0
		.amdhsa_private_segment_fixed_size 0
		.amdhsa_kernarg_size 48
		.amdhsa_user_sgpr_count 6
		.amdhsa_user_sgpr_private_segment_buffer 1
		.amdhsa_user_sgpr_dispatch_ptr 0
		.amdhsa_user_sgpr_queue_ptr 0
		.amdhsa_user_sgpr_kernarg_segment_ptr 1
		.amdhsa_user_sgpr_dispatch_id 0
		.amdhsa_user_sgpr_flat_scratch_init 0
		.amdhsa_user_sgpr_private_segment_size 0
		.amdhsa_wavefront_size32 1
		.amdhsa_uses_dynamic_stack 0
		.amdhsa_system_sgpr_private_segment_wavefront_offset 0
		.amdhsa_system_sgpr_workgroup_id_x 1
		.amdhsa_system_sgpr_workgroup_id_y 0
		.amdhsa_system_sgpr_workgroup_id_z 0
		.amdhsa_system_sgpr_workgroup_info 0
		.amdhsa_system_vgpr_workitem_id 0
		.amdhsa_next_free_vgpr 1
		.amdhsa_next_free_sgpr 1
		.amdhsa_reserve_vcc 0
		.amdhsa_reserve_flat_scratch 0
		.amdhsa_float_round_mode_32 0
		.amdhsa_float_round_mode_16_64 0
		.amdhsa_float_denorm_mode_32 3
		.amdhsa_float_denorm_mode_16_64 3
		.amdhsa_dx10_clamp 1
		.amdhsa_ieee_mode 1
		.amdhsa_fp16_overflow 0
		.amdhsa_workgroup_processor_mode 1
		.amdhsa_memory_ordered 1
		.amdhsa_forward_progress 1
		.amdhsa_shared_vgpr_count 0
		.amdhsa_exception_fp_ieee_invalid_op 0
		.amdhsa_exception_fp_denorm_src 0
		.amdhsa_exception_fp_ieee_div_zero 0
		.amdhsa_exception_fp_ieee_overflow 0
		.amdhsa_exception_fp_ieee_underflow 0
		.amdhsa_exception_fp_ieee_inexact 0
		.amdhsa_exception_int_div_zero 0
	.end_amdhsa_kernel
	.section	.text._ZN7rocprim17ROCPRIM_400000_NS6detail17trampoline_kernelINS0_14default_configENS1_38merge_sort_block_merge_config_selectorIiNS0_10empty_typeEEEZZNS1_27merge_sort_block_merge_implIS3_N6thrust23THRUST_200600_302600_NS6detail15normal_iteratorINS9_10device_ptrIiEEEEPS5_m11less_div_10IiEEE10hipError_tT0_T1_T2_jT3_P12ihipStream_tbPNSt15iterator_traitsISJ_E10value_typeEPNSP_ISK_E10value_typeEPSL_NS1_7vsmem_tEENKUlT_SJ_SK_SL_E_clIPiSE_SF_SF_EESI_SY_SJ_SK_SL_EUlSY_E_NS1_11comp_targetILNS1_3genE10ELNS1_11target_archE1201ELNS1_3gpuE5ELNS1_3repE0EEENS1_48merge_mergepath_partition_config_static_selectorELNS0_4arch9wavefront6targetE0EEEvSK_,"axG",@progbits,_ZN7rocprim17ROCPRIM_400000_NS6detail17trampoline_kernelINS0_14default_configENS1_38merge_sort_block_merge_config_selectorIiNS0_10empty_typeEEEZZNS1_27merge_sort_block_merge_implIS3_N6thrust23THRUST_200600_302600_NS6detail15normal_iteratorINS9_10device_ptrIiEEEEPS5_m11less_div_10IiEEE10hipError_tT0_T1_T2_jT3_P12ihipStream_tbPNSt15iterator_traitsISJ_E10value_typeEPNSP_ISK_E10value_typeEPSL_NS1_7vsmem_tEENKUlT_SJ_SK_SL_E_clIPiSE_SF_SF_EESI_SY_SJ_SK_SL_EUlSY_E_NS1_11comp_targetILNS1_3genE10ELNS1_11target_archE1201ELNS1_3gpuE5ELNS1_3repE0EEENS1_48merge_mergepath_partition_config_static_selectorELNS0_4arch9wavefront6targetE0EEEvSK_,comdat
.Lfunc_end430:
	.size	_ZN7rocprim17ROCPRIM_400000_NS6detail17trampoline_kernelINS0_14default_configENS1_38merge_sort_block_merge_config_selectorIiNS0_10empty_typeEEEZZNS1_27merge_sort_block_merge_implIS3_N6thrust23THRUST_200600_302600_NS6detail15normal_iteratorINS9_10device_ptrIiEEEEPS5_m11less_div_10IiEEE10hipError_tT0_T1_T2_jT3_P12ihipStream_tbPNSt15iterator_traitsISJ_E10value_typeEPNSP_ISK_E10value_typeEPSL_NS1_7vsmem_tEENKUlT_SJ_SK_SL_E_clIPiSE_SF_SF_EESI_SY_SJ_SK_SL_EUlSY_E_NS1_11comp_targetILNS1_3genE10ELNS1_11target_archE1201ELNS1_3gpuE5ELNS1_3repE0EEENS1_48merge_mergepath_partition_config_static_selectorELNS0_4arch9wavefront6targetE0EEEvSK_, .Lfunc_end430-_ZN7rocprim17ROCPRIM_400000_NS6detail17trampoline_kernelINS0_14default_configENS1_38merge_sort_block_merge_config_selectorIiNS0_10empty_typeEEEZZNS1_27merge_sort_block_merge_implIS3_N6thrust23THRUST_200600_302600_NS6detail15normal_iteratorINS9_10device_ptrIiEEEEPS5_m11less_div_10IiEEE10hipError_tT0_T1_T2_jT3_P12ihipStream_tbPNSt15iterator_traitsISJ_E10value_typeEPNSP_ISK_E10value_typeEPSL_NS1_7vsmem_tEENKUlT_SJ_SK_SL_E_clIPiSE_SF_SF_EESI_SY_SJ_SK_SL_EUlSY_E_NS1_11comp_targetILNS1_3genE10ELNS1_11target_archE1201ELNS1_3gpuE5ELNS1_3repE0EEENS1_48merge_mergepath_partition_config_static_selectorELNS0_4arch9wavefront6targetE0EEEvSK_
                                        ; -- End function
	.set _ZN7rocprim17ROCPRIM_400000_NS6detail17trampoline_kernelINS0_14default_configENS1_38merge_sort_block_merge_config_selectorIiNS0_10empty_typeEEEZZNS1_27merge_sort_block_merge_implIS3_N6thrust23THRUST_200600_302600_NS6detail15normal_iteratorINS9_10device_ptrIiEEEEPS5_m11less_div_10IiEEE10hipError_tT0_T1_T2_jT3_P12ihipStream_tbPNSt15iterator_traitsISJ_E10value_typeEPNSP_ISK_E10value_typeEPSL_NS1_7vsmem_tEENKUlT_SJ_SK_SL_E_clIPiSE_SF_SF_EESI_SY_SJ_SK_SL_EUlSY_E_NS1_11comp_targetILNS1_3genE10ELNS1_11target_archE1201ELNS1_3gpuE5ELNS1_3repE0EEENS1_48merge_mergepath_partition_config_static_selectorELNS0_4arch9wavefront6targetE0EEEvSK_.num_vgpr, 0
	.set _ZN7rocprim17ROCPRIM_400000_NS6detail17trampoline_kernelINS0_14default_configENS1_38merge_sort_block_merge_config_selectorIiNS0_10empty_typeEEEZZNS1_27merge_sort_block_merge_implIS3_N6thrust23THRUST_200600_302600_NS6detail15normal_iteratorINS9_10device_ptrIiEEEEPS5_m11less_div_10IiEEE10hipError_tT0_T1_T2_jT3_P12ihipStream_tbPNSt15iterator_traitsISJ_E10value_typeEPNSP_ISK_E10value_typeEPSL_NS1_7vsmem_tEENKUlT_SJ_SK_SL_E_clIPiSE_SF_SF_EESI_SY_SJ_SK_SL_EUlSY_E_NS1_11comp_targetILNS1_3genE10ELNS1_11target_archE1201ELNS1_3gpuE5ELNS1_3repE0EEENS1_48merge_mergepath_partition_config_static_selectorELNS0_4arch9wavefront6targetE0EEEvSK_.num_agpr, 0
	.set _ZN7rocprim17ROCPRIM_400000_NS6detail17trampoline_kernelINS0_14default_configENS1_38merge_sort_block_merge_config_selectorIiNS0_10empty_typeEEEZZNS1_27merge_sort_block_merge_implIS3_N6thrust23THRUST_200600_302600_NS6detail15normal_iteratorINS9_10device_ptrIiEEEEPS5_m11less_div_10IiEEE10hipError_tT0_T1_T2_jT3_P12ihipStream_tbPNSt15iterator_traitsISJ_E10value_typeEPNSP_ISK_E10value_typeEPSL_NS1_7vsmem_tEENKUlT_SJ_SK_SL_E_clIPiSE_SF_SF_EESI_SY_SJ_SK_SL_EUlSY_E_NS1_11comp_targetILNS1_3genE10ELNS1_11target_archE1201ELNS1_3gpuE5ELNS1_3repE0EEENS1_48merge_mergepath_partition_config_static_selectorELNS0_4arch9wavefront6targetE0EEEvSK_.numbered_sgpr, 0
	.set _ZN7rocprim17ROCPRIM_400000_NS6detail17trampoline_kernelINS0_14default_configENS1_38merge_sort_block_merge_config_selectorIiNS0_10empty_typeEEEZZNS1_27merge_sort_block_merge_implIS3_N6thrust23THRUST_200600_302600_NS6detail15normal_iteratorINS9_10device_ptrIiEEEEPS5_m11less_div_10IiEEE10hipError_tT0_T1_T2_jT3_P12ihipStream_tbPNSt15iterator_traitsISJ_E10value_typeEPNSP_ISK_E10value_typeEPSL_NS1_7vsmem_tEENKUlT_SJ_SK_SL_E_clIPiSE_SF_SF_EESI_SY_SJ_SK_SL_EUlSY_E_NS1_11comp_targetILNS1_3genE10ELNS1_11target_archE1201ELNS1_3gpuE5ELNS1_3repE0EEENS1_48merge_mergepath_partition_config_static_selectorELNS0_4arch9wavefront6targetE0EEEvSK_.num_named_barrier, 0
	.set _ZN7rocprim17ROCPRIM_400000_NS6detail17trampoline_kernelINS0_14default_configENS1_38merge_sort_block_merge_config_selectorIiNS0_10empty_typeEEEZZNS1_27merge_sort_block_merge_implIS3_N6thrust23THRUST_200600_302600_NS6detail15normal_iteratorINS9_10device_ptrIiEEEEPS5_m11less_div_10IiEEE10hipError_tT0_T1_T2_jT3_P12ihipStream_tbPNSt15iterator_traitsISJ_E10value_typeEPNSP_ISK_E10value_typeEPSL_NS1_7vsmem_tEENKUlT_SJ_SK_SL_E_clIPiSE_SF_SF_EESI_SY_SJ_SK_SL_EUlSY_E_NS1_11comp_targetILNS1_3genE10ELNS1_11target_archE1201ELNS1_3gpuE5ELNS1_3repE0EEENS1_48merge_mergepath_partition_config_static_selectorELNS0_4arch9wavefront6targetE0EEEvSK_.private_seg_size, 0
	.set _ZN7rocprim17ROCPRIM_400000_NS6detail17trampoline_kernelINS0_14default_configENS1_38merge_sort_block_merge_config_selectorIiNS0_10empty_typeEEEZZNS1_27merge_sort_block_merge_implIS3_N6thrust23THRUST_200600_302600_NS6detail15normal_iteratorINS9_10device_ptrIiEEEEPS5_m11less_div_10IiEEE10hipError_tT0_T1_T2_jT3_P12ihipStream_tbPNSt15iterator_traitsISJ_E10value_typeEPNSP_ISK_E10value_typeEPSL_NS1_7vsmem_tEENKUlT_SJ_SK_SL_E_clIPiSE_SF_SF_EESI_SY_SJ_SK_SL_EUlSY_E_NS1_11comp_targetILNS1_3genE10ELNS1_11target_archE1201ELNS1_3gpuE5ELNS1_3repE0EEENS1_48merge_mergepath_partition_config_static_selectorELNS0_4arch9wavefront6targetE0EEEvSK_.uses_vcc, 0
	.set _ZN7rocprim17ROCPRIM_400000_NS6detail17trampoline_kernelINS0_14default_configENS1_38merge_sort_block_merge_config_selectorIiNS0_10empty_typeEEEZZNS1_27merge_sort_block_merge_implIS3_N6thrust23THRUST_200600_302600_NS6detail15normal_iteratorINS9_10device_ptrIiEEEEPS5_m11less_div_10IiEEE10hipError_tT0_T1_T2_jT3_P12ihipStream_tbPNSt15iterator_traitsISJ_E10value_typeEPNSP_ISK_E10value_typeEPSL_NS1_7vsmem_tEENKUlT_SJ_SK_SL_E_clIPiSE_SF_SF_EESI_SY_SJ_SK_SL_EUlSY_E_NS1_11comp_targetILNS1_3genE10ELNS1_11target_archE1201ELNS1_3gpuE5ELNS1_3repE0EEENS1_48merge_mergepath_partition_config_static_selectorELNS0_4arch9wavefront6targetE0EEEvSK_.uses_flat_scratch, 0
	.set _ZN7rocprim17ROCPRIM_400000_NS6detail17trampoline_kernelINS0_14default_configENS1_38merge_sort_block_merge_config_selectorIiNS0_10empty_typeEEEZZNS1_27merge_sort_block_merge_implIS3_N6thrust23THRUST_200600_302600_NS6detail15normal_iteratorINS9_10device_ptrIiEEEEPS5_m11less_div_10IiEEE10hipError_tT0_T1_T2_jT3_P12ihipStream_tbPNSt15iterator_traitsISJ_E10value_typeEPNSP_ISK_E10value_typeEPSL_NS1_7vsmem_tEENKUlT_SJ_SK_SL_E_clIPiSE_SF_SF_EESI_SY_SJ_SK_SL_EUlSY_E_NS1_11comp_targetILNS1_3genE10ELNS1_11target_archE1201ELNS1_3gpuE5ELNS1_3repE0EEENS1_48merge_mergepath_partition_config_static_selectorELNS0_4arch9wavefront6targetE0EEEvSK_.has_dyn_sized_stack, 0
	.set _ZN7rocprim17ROCPRIM_400000_NS6detail17trampoline_kernelINS0_14default_configENS1_38merge_sort_block_merge_config_selectorIiNS0_10empty_typeEEEZZNS1_27merge_sort_block_merge_implIS3_N6thrust23THRUST_200600_302600_NS6detail15normal_iteratorINS9_10device_ptrIiEEEEPS5_m11less_div_10IiEEE10hipError_tT0_T1_T2_jT3_P12ihipStream_tbPNSt15iterator_traitsISJ_E10value_typeEPNSP_ISK_E10value_typeEPSL_NS1_7vsmem_tEENKUlT_SJ_SK_SL_E_clIPiSE_SF_SF_EESI_SY_SJ_SK_SL_EUlSY_E_NS1_11comp_targetILNS1_3genE10ELNS1_11target_archE1201ELNS1_3gpuE5ELNS1_3repE0EEENS1_48merge_mergepath_partition_config_static_selectorELNS0_4arch9wavefront6targetE0EEEvSK_.has_recursion, 0
	.set _ZN7rocprim17ROCPRIM_400000_NS6detail17trampoline_kernelINS0_14default_configENS1_38merge_sort_block_merge_config_selectorIiNS0_10empty_typeEEEZZNS1_27merge_sort_block_merge_implIS3_N6thrust23THRUST_200600_302600_NS6detail15normal_iteratorINS9_10device_ptrIiEEEEPS5_m11less_div_10IiEEE10hipError_tT0_T1_T2_jT3_P12ihipStream_tbPNSt15iterator_traitsISJ_E10value_typeEPNSP_ISK_E10value_typeEPSL_NS1_7vsmem_tEENKUlT_SJ_SK_SL_E_clIPiSE_SF_SF_EESI_SY_SJ_SK_SL_EUlSY_E_NS1_11comp_targetILNS1_3genE10ELNS1_11target_archE1201ELNS1_3gpuE5ELNS1_3repE0EEENS1_48merge_mergepath_partition_config_static_selectorELNS0_4arch9wavefront6targetE0EEEvSK_.has_indirect_call, 0
	.section	.AMDGPU.csdata,"",@progbits
; Kernel info:
; codeLenInByte = 0
; TotalNumSgprs: 0
; NumVgprs: 0
; ScratchSize: 0
; MemoryBound: 0
; FloatMode: 240
; IeeeMode: 1
; LDSByteSize: 0 bytes/workgroup (compile time only)
; SGPRBlocks: 0
; VGPRBlocks: 0
; NumSGPRsForWavesPerEU: 1
; NumVGPRsForWavesPerEU: 1
; Occupancy: 16
; WaveLimiterHint : 0
; COMPUTE_PGM_RSRC2:SCRATCH_EN: 0
; COMPUTE_PGM_RSRC2:USER_SGPR: 6
; COMPUTE_PGM_RSRC2:TRAP_HANDLER: 0
; COMPUTE_PGM_RSRC2:TGID_X_EN: 1
; COMPUTE_PGM_RSRC2:TGID_Y_EN: 0
; COMPUTE_PGM_RSRC2:TGID_Z_EN: 0
; COMPUTE_PGM_RSRC2:TIDIG_COMP_CNT: 0
	.section	.text._ZN7rocprim17ROCPRIM_400000_NS6detail17trampoline_kernelINS0_14default_configENS1_38merge_sort_block_merge_config_selectorIiNS0_10empty_typeEEEZZNS1_27merge_sort_block_merge_implIS3_N6thrust23THRUST_200600_302600_NS6detail15normal_iteratorINS9_10device_ptrIiEEEEPS5_m11less_div_10IiEEE10hipError_tT0_T1_T2_jT3_P12ihipStream_tbPNSt15iterator_traitsISJ_E10value_typeEPNSP_ISK_E10value_typeEPSL_NS1_7vsmem_tEENKUlT_SJ_SK_SL_E_clIPiSE_SF_SF_EESI_SY_SJ_SK_SL_EUlSY_E_NS1_11comp_targetILNS1_3genE5ELNS1_11target_archE942ELNS1_3gpuE9ELNS1_3repE0EEENS1_48merge_mergepath_partition_config_static_selectorELNS0_4arch9wavefront6targetE0EEEvSK_,"axG",@progbits,_ZN7rocprim17ROCPRIM_400000_NS6detail17trampoline_kernelINS0_14default_configENS1_38merge_sort_block_merge_config_selectorIiNS0_10empty_typeEEEZZNS1_27merge_sort_block_merge_implIS3_N6thrust23THRUST_200600_302600_NS6detail15normal_iteratorINS9_10device_ptrIiEEEEPS5_m11less_div_10IiEEE10hipError_tT0_T1_T2_jT3_P12ihipStream_tbPNSt15iterator_traitsISJ_E10value_typeEPNSP_ISK_E10value_typeEPSL_NS1_7vsmem_tEENKUlT_SJ_SK_SL_E_clIPiSE_SF_SF_EESI_SY_SJ_SK_SL_EUlSY_E_NS1_11comp_targetILNS1_3genE5ELNS1_11target_archE942ELNS1_3gpuE9ELNS1_3repE0EEENS1_48merge_mergepath_partition_config_static_selectorELNS0_4arch9wavefront6targetE0EEEvSK_,comdat
	.protected	_ZN7rocprim17ROCPRIM_400000_NS6detail17trampoline_kernelINS0_14default_configENS1_38merge_sort_block_merge_config_selectorIiNS0_10empty_typeEEEZZNS1_27merge_sort_block_merge_implIS3_N6thrust23THRUST_200600_302600_NS6detail15normal_iteratorINS9_10device_ptrIiEEEEPS5_m11less_div_10IiEEE10hipError_tT0_T1_T2_jT3_P12ihipStream_tbPNSt15iterator_traitsISJ_E10value_typeEPNSP_ISK_E10value_typeEPSL_NS1_7vsmem_tEENKUlT_SJ_SK_SL_E_clIPiSE_SF_SF_EESI_SY_SJ_SK_SL_EUlSY_E_NS1_11comp_targetILNS1_3genE5ELNS1_11target_archE942ELNS1_3gpuE9ELNS1_3repE0EEENS1_48merge_mergepath_partition_config_static_selectorELNS0_4arch9wavefront6targetE0EEEvSK_ ; -- Begin function _ZN7rocprim17ROCPRIM_400000_NS6detail17trampoline_kernelINS0_14default_configENS1_38merge_sort_block_merge_config_selectorIiNS0_10empty_typeEEEZZNS1_27merge_sort_block_merge_implIS3_N6thrust23THRUST_200600_302600_NS6detail15normal_iteratorINS9_10device_ptrIiEEEEPS5_m11less_div_10IiEEE10hipError_tT0_T1_T2_jT3_P12ihipStream_tbPNSt15iterator_traitsISJ_E10value_typeEPNSP_ISK_E10value_typeEPSL_NS1_7vsmem_tEENKUlT_SJ_SK_SL_E_clIPiSE_SF_SF_EESI_SY_SJ_SK_SL_EUlSY_E_NS1_11comp_targetILNS1_3genE5ELNS1_11target_archE942ELNS1_3gpuE9ELNS1_3repE0EEENS1_48merge_mergepath_partition_config_static_selectorELNS0_4arch9wavefront6targetE0EEEvSK_
	.globl	_ZN7rocprim17ROCPRIM_400000_NS6detail17trampoline_kernelINS0_14default_configENS1_38merge_sort_block_merge_config_selectorIiNS0_10empty_typeEEEZZNS1_27merge_sort_block_merge_implIS3_N6thrust23THRUST_200600_302600_NS6detail15normal_iteratorINS9_10device_ptrIiEEEEPS5_m11less_div_10IiEEE10hipError_tT0_T1_T2_jT3_P12ihipStream_tbPNSt15iterator_traitsISJ_E10value_typeEPNSP_ISK_E10value_typeEPSL_NS1_7vsmem_tEENKUlT_SJ_SK_SL_E_clIPiSE_SF_SF_EESI_SY_SJ_SK_SL_EUlSY_E_NS1_11comp_targetILNS1_3genE5ELNS1_11target_archE942ELNS1_3gpuE9ELNS1_3repE0EEENS1_48merge_mergepath_partition_config_static_selectorELNS0_4arch9wavefront6targetE0EEEvSK_
	.p2align	8
	.type	_ZN7rocprim17ROCPRIM_400000_NS6detail17trampoline_kernelINS0_14default_configENS1_38merge_sort_block_merge_config_selectorIiNS0_10empty_typeEEEZZNS1_27merge_sort_block_merge_implIS3_N6thrust23THRUST_200600_302600_NS6detail15normal_iteratorINS9_10device_ptrIiEEEEPS5_m11less_div_10IiEEE10hipError_tT0_T1_T2_jT3_P12ihipStream_tbPNSt15iterator_traitsISJ_E10value_typeEPNSP_ISK_E10value_typeEPSL_NS1_7vsmem_tEENKUlT_SJ_SK_SL_E_clIPiSE_SF_SF_EESI_SY_SJ_SK_SL_EUlSY_E_NS1_11comp_targetILNS1_3genE5ELNS1_11target_archE942ELNS1_3gpuE9ELNS1_3repE0EEENS1_48merge_mergepath_partition_config_static_selectorELNS0_4arch9wavefront6targetE0EEEvSK_,@function
_ZN7rocprim17ROCPRIM_400000_NS6detail17trampoline_kernelINS0_14default_configENS1_38merge_sort_block_merge_config_selectorIiNS0_10empty_typeEEEZZNS1_27merge_sort_block_merge_implIS3_N6thrust23THRUST_200600_302600_NS6detail15normal_iteratorINS9_10device_ptrIiEEEEPS5_m11less_div_10IiEEE10hipError_tT0_T1_T2_jT3_P12ihipStream_tbPNSt15iterator_traitsISJ_E10value_typeEPNSP_ISK_E10value_typeEPSL_NS1_7vsmem_tEENKUlT_SJ_SK_SL_E_clIPiSE_SF_SF_EESI_SY_SJ_SK_SL_EUlSY_E_NS1_11comp_targetILNS1_3genE5ELNS1_11target_archE942ELNS1_3gpuE9ELNS1_3repE0EEENS1_48merge_mergepath_partition_config_static_selectorELNS0_4arch9wavefront6targetE0EEEvSK_: ; @_ZN7rocprim17ROCPRIM_400000_NS6detail17trampoline_kernelINS0_14default_configENS1_38merge_sort_block_merge_config_selectorIiNS0_10empty_typeEEEZZNS1_27merge_sort_block_merge_implIS3_N6thrust23THRUST_200600_302600_NS6detail15normal_iteratorINS9_10device_ptrIiEEEEPS5_m11less_div_10IiEEE10hipError_tT0_T1_T2_jT3_P12ihipStream_tbPNSt15iterator_traitsISJ_E10value_typeEPNSP_ISK_E10value_typeEPSL_NS1_7vsmem_tEENKUlT_SJ_SK_SL_E_clIPiSE_SF_SF_EESI_SY_SJ_SK_SL_EUlSY_E_NS1_11comp_targetILNS1_3genE5ELNS1_11target_archE942ELNS1_3gpuE9ELNS1_3repE0EEENS1_48merge_mergepath_partition_config_static_selectorELNS0_4arch9wavefront6targetE0EEEvSK_
; %bb.0:
	.section	.rodata,"a",@progbits
	.p2align	6, 0x0
	.amdhsa_kernel _ZN7rocprim17ROCPRIM_400000_NS6detail17trampoline_kernelINS0_14default_configENS1_38merge_sort_block_merge_config_selectorIiNS0_10empty_typeEEEZZNS1_27merge_sort_block_merge_implIS3_N6thrust23THRUST_200600_302600_NS6detail15normal_iteratorINS9_10device_ptrIiEEEEPS5_m11less_div_10IiEEE10hipError_tT0_T1_T2_jT3_P12ihipStream_tbPNSt15iterator_traitsISJ_E10value_typeEPNSP_ISK_E10value_typeEPSL_NS1_7vsmem_tEENKUlT_SJ_SK_SL_E_clIPiSE_SF_SF_EESI_SY_SJ_SK_SL_EUlSY_E_NS1_11comp_targetILNS1_3genE5ELNS1_11target_archE942ELNS1_3gpuE9ELNS1_3repE0EEENS1_48merge_mergepath_partition_config_static_selectorELNS0_4arch9wavefront6targetE0EEEvSK_
		.amdhsa_group_segment_fixed_size 0
		.amdhsa_private_segment_fixed_size 0
		.amdhsa_kernarg_size 48
		.amdhsa_user_sgpr_count 6
		.amdhsa_user_sgpr_private_segment_buffer 1
		.amdhsa_user_sgpr_dispatch_ptr 0
		.amdhsa_user_sgpr_queue_ptr 0
		.amdhsa_user_sgpr_kernarg_segment_ptr 1
		.amdhsa_user_sgpr_dispatch_id 0
		.amdhsa_user_sgpr_flat_scratch_init 0
		.amdhsa_user_sgpr_private_segment_size 0
		.amdhsa_wavefront_size32 1
		.amdhsa_uses_dynamic_stack 0
		.amdhsa_system_sgpr_private_segment_wavefront_offset 0
		.amdhsa_system_sgpr_workgroup_id_x 1
		.amdhsa_system_sgpr_workgroup_id_y 0
		.amdhsa_system_sgpr_workgroup_id_z 0
		.amdhsa_system_sgpr_workgroup_info 0
		.amdhsa_system_vgpr_workitem_id 0
		.amdhsa_next_free_vgpr 1
		.amdhsa_next_free_sgpr 1
		.amdhsa_reserve_vcc 0
		.amdhsa_reserve_flat_scratch 0
		.amdhsa_float_round_mode_32 0
		.amdhsa_float_round_mode_16_64 0
		.amdhsa_float_denorm_mode_32 3
		.amdhsa_float_denorm_mode_16_64 3
		.amdhsa_dx10_clamp 1
		.amdhsa_ieee_mode 1
		.amdhsa_fp16_overflow 0
		.amdhsa_workgroup_processor_mode 1
		.amdhsa_memory_ordered 1
		.amdhsa_forward_progress 1
		.amdhsa_shared_vgpr_count 0
		.amdhsa_exception_fp_ieee_invalid_op 0
		.amdhsa_exception_fp_denorm_src 0
		.amdhsa_exception_fp_ieee_div_zero 0
		.amdhsa_exception_fp_ieee_overflow 0
		.amdhsa_exception_fp_ieee_underflow 0
		.amdhsa_exception_fp_ieee_inexact 0
		.amdhsa_exception_int_div_zero 0
	.end_amdhsa_kernel
	.section	.text._ZN7rocprim17ROCPRIM_400000_NS6detail17trampoline_kernelINS0_14default_configENS1_38merge_sort_block_merge_config_selectorIiNS0_10empty_typeEEEZZNS1_27merge_sort_block_merge_implIS3_N6thrust23THRUST_200600_302600_NS6detail15normal_iteratorINS9_10device_ptrIiEEEEPS5_m11less_div_10IiEEE10hipError_tT0_T1_T2_jT3_P12ihipStream_tbPNSt15iterator_traitsISJ_E10value_typeEPNSP_ISK_E10value_typeEPSL_NS1_7vsmem_tEENKUlT_SJ_SK_SL_E_clIPiSE_SF_SF_EESI_SY_SJ_SK_SL_EUlSY_E_NS1_11comp_targetILNS1_3genE5ELNS1_11target_archE942ELNS1_3gpuE9ELNS1_3repE0EEENS1_48merge_mergepath_partition_config_static_selectorELNS0_4arch9wavefront6targetE0EEEvSK_,"axG",@progbits,_ZN7rocprim17ROCPRIM_400000_NS6detail17trampoline_kernelINS0_14default_configENS1_38merge_sort_block_merge_config_selectorIiNS0_10empty_typeEEEZZNS1_27merge_sort_block_merge_implIS3_N6thrust23THRUST_200600_302600_NS6detail15normal_iteratorINS9_10device_ptrIiEEEEPS5_m11less_div_10IiEEE10hipError_tT0_T1_T2_jT3_P12ihipStream_tbPNSt15iterator_traitsISJ_E10value_typeEPNSP_ISK_E10value_typeEPSL_NS1_7vsmem_tEENKUlT_SJ_SK_SL_E_clIPiSE_SF_SF_EESI_SY_SJ_SK_SL_EUlSY_E_NS1_11comp_targetILNS1_3genE5ELNS1_11target_archE942ELNS1_3gpuE9ELNS1_3repE0EEENS1_48merge_mergepath_partition_config_static_selectorELNS0_4arch9wavefront6targetE0EEEvSK_,comdat
.Lfunc_end431:
	.size	_ZN7rocprim17ROCPRIM_400000_NS6detail17trampoline_kernelINS0_14default_configENS1_38merge_sort_block_merge_config_selectorIiNS0_10empty_typeEEEZZNS1_27merge_sort_block_merge_implIS3_N6thrust23THRUST_200600_302600_NS6detail15normal_iteratorINS9_10device_ptrIiEEEEPS5_m11less_div_10IiEEE10hipError_tT0_T1_T2_jT3_P12ihipStream_tbPNSt15iterator_traitsISJ_E10value_typeEPNSP_ISK_E10value_typeEPSL_NS1_7vsmem_tEENKUlT_SJ_SK_SL_E_clIPiSE_SF_SF_EESI_SY_SJ_SK_SL_EUlSY_E_NS1_11comp_targetILNS1_3genE5ELNS1_11target_archE942ELNS1_3gpuE9ELNS1_3repE0EEENS1_48merge_mergepath_partition_config_static_selectorELNS0_4arch9wavefront6targetE0EEEvSK_, .Lfunc_end431-_ZN7rocprim17ROCPRIM_400000_NS6detail17trampoline_kernelINS0_14default_configENS1_38merge_sort_block_merge_config_selectorIiNS0_10empty_typeEEEZZNS1_27merge_sort_block_merge_implIS3_N6thrust23THRUST_200600_302600_NS6detail15normal_iteratorINS9_10device_ptrIiEEEEPS5_m11less_div_10IiEEE10hipError_tT0_T1_T2_jT3_P12ihipStream_tbPNSt15iterator_traitsISJ_E10value_typeEPNSP_ISK_E10value_typeEPSL_NS1_7vsmem_tEENKUlT_SJ_SK_SL_E_clIPiSE_SF_SF_EESI_SY_SJ_SK_SL_EUlSY_E_NS1_11comp_targetILNS1_3genE5ELNS1_11target_archE942ELNS1_3gpuE9ELNS1_3repE0EEENS1_48merge_mergepath_partition_config_static_selectorELNS0_4arch9wavefront6targetE0EEEvSK_
                                        ; -- End function
	.set _ZN7rocprim17ROCPRIM_400000_NS6detail17trampoline_kernelINS0_14default_configENS1_38merge_sort_block_merge_config_selectorIiNS0_10empty_typeEEEZZNS1_27merge_sort_block_merge_implIS3_N6thrust23THRUST_200600_302600_NS6detail15normal_iteratorINS9_10device_ptrIiEEEEPS5_m11less_div_10IiEEE10hipError_tT0_T1_T2_jT3_P12ihipStream_tbPNSt15iterator_traitsISJ_E10value_typeEPNSP_ISK_E10value_typeEPSL_NS1_7vsmem_tEENKUlT_SJ_SK_SL_E_clIPiSE_SF_SF_EESI_SY_SJ_SK_SL_EUlSY_E_NS1_11comp_targetILNS1_3genE5ELNS1_11target_archE942ELNS1_3gpuE9ELNS1_3repE0EEENS1_48merge_mergepath_partition_config_static_selectorELNS0_4arch9wavefront6targetE0EEEvSK_.num_vgpr, 0
	.set _ZN7rocprim17ROCPRIM_400000_NS6detail17trampoline_kernelINS0_14default_configENS1_38merge_sort_block_merge_config_selectorIiNS0_10empty_typeEEEZZNS1_27merge_sort_block_merge_implIS3_N6thrust23THRUST_200600_302600_NS6detail15normal_iteratorINS9_10device_ptrIiEEEEPS5_m11less_div_10IiEEE10hipError_tT0_T1_T2_jT3_P12ihipStream_tbPNSt15iterator_traitsISJ_E10value_typeEPNSP_ISK_E10value_typeEPSL_NS1_7vsmem_tEENKUlT_SJ_SK_SL_E_clIPiSE_SF_SF_EESI_SY_SJ_SK_SL_EUlSY_E_NS1_11comp_targetILNS1_3genE5ELNS1_11target_archE942ELNS1_3gpuE9ELNS1_3repE0EEENS1_48merge_mergepath_partition_config_static_selectorELNS0_4arch9wavefront6targetE0EEEvSK_.num_agpr, 0
	.set _ZN7rocprim17ROCPRIM_400000_NS6detail17trampoline_kernelINS0_14default_configENS1_38merge_sort_block_merge_config_selectorIiNS0_10empty_typeEEEZZNS1_27merge_sort_block_merge_implIS3_N6thrust23THRUST_200600_302600_NS6detail15normal_iteratorINS9_10device_ptrIiEEEEPS5_m11less_div_10IiEEE10hipError_tT0_T1_T2_jT3_P12ihipStream_tbPNSt15iterator_traitsISJ_E10value_typeEPNSP_ISK_E10value_typeEPSL_NS1_7vsmem_tEENKUlT_SJ_SK_SL_E_clIPiSE_SF_SF_EESI_SY_SJ_SK_SL_EUlSY_E_NS1_11comp_targetILNS1_3genE5ELNS1_11target_archE942ELNS1_3gpuE9ELNS1_3repE0EEENS1_48merge_mergepath_partition_config_static_selectorELNS0_4arch9wavefront6targetE0EEEvSK_.numbered_sgpr, 0
	.set _ZN7rocprim17ROCPRIM_400000_NS6detail17trampoline_kernelINS0_14default_configENS1_38merge_sort_block_merge_config_selectorIiNS0_10empty_typeEEEZZNS1_27merge_sort_block_merge_implIS3_N6thrust23THRUST_200600_302600_NS6detail15normal_iteratorINS9_10device_ptrIiEEEEPS5_m11less_div_10IiEEE10hipError_tT0_T1_T2_jT3_P12ihipStream_tbPNSt15iterator_traitsISJ_E10value_typeEPNSP_ISK_E10value_typeEPSL_NS1_7vsmem_tEENKUlT_SJ_SK_SL_E_clIPiSE_SF_SF_EESI_SY_SJ_SK_SL_EUlSY_E_NS1_11comp_targetILNS1_3genE5ELNS1_11target_archE942ELNS1_3gpuE9ELNS1_3repE0EEENS1_48merge_mergepath_partition_config_static_selectorELNS0_4arch9wavefront6targetE0EEEvSK_.num_named_barrier, 0
	.set _ZN7rocprim17ROCPRIM_400000_NS6detail17trampoline_kernelINS0_14default_configENS1_38merge_sort_block_merge_config_selectorIiNS0_10empty_typeEEEZZNS1_27merge_sort_block_merge_implIS3_N6thrust23THRUST_200600_302600_NS6detail15normal_iteratorINS9_10device_ptrIiEEEEPS5_m11less_div_10IiEEE10hipError_tT0_T1_T2_jT3_P12ihipStream_tbPNSt15iterator_traitsISJ_E10value_typeEPNSP_ISK_E10value_typeEPSL_NS1_7vsmem_tEENKUlT_SJ_SK_SL_E_clIPiSE_SF_SF_EESI_SY_SJ_SK_SL_EUlSY_E_NS1_11comp_targetILNS1_3genE5ELNS1_11target_archE942ELNS1_3gpuE9ELNS1_3repE0EEENS1_48merge_mergepath_partition_config_static_selectorELNS0_4arch9wavefront6targetE0EEEvSK_.private_seg_size, 0
	.set _ZN7rocprim17ROCPRIM_400000_NS6detail17trampoline_kernelINS0_14default_configENS1_38merge_sort_block_merge_config_selectorIiNS0_10empty_typeEEEZZNS1_27merge_sort_block_merge_implIS3_N6thrust23THRUST_200600_302600_NS6detail15normal_iteratorINS9_10device_ptrIiEEEEPS5_m11less_div_10IiEEE10hipError_tT0_T1_T2_jT3_P12ihipStream_tbPNSt15iterator_traitsISJ_E10value_typeEPNSP_ISK_E10value_typeEPSL_NS1_7vsmem_tEENKUlT_SJ_SK_SL_E_clIPiSE_SF_SF_EESI_SY_SJ_SK_SL_EUlSY_E_NS1_11comp_targetILNS1_3genE5ELNS1_11target_archE942ELNS1_3gpuE9ELNS1_3repE0EEENS1_48merge_mergepath_partition_config_static_selectorELNS0_4arch9wavefront6targetE0EEEvSK_.uses_vcc, 0
	.set _ZN7rocprim17ROCPRIM_400000_NS6detail17trampoline_kernelINS0_14default_configENS1_38merge_sort_block_merge_config_selectorIiNS0_10empty_typeEEEZZNS1_27merge_sort_block_merge_implIS3_N6thrust23THRUST_200600_302600_NS6detail15normal_iteratorINS9_10device_ptrIiEEEEPS5_m11less_div_10IiEEE10hipError_tT0_T1_T2_jT3_P12ihipStream_tbPNSt15iterator_traitsISJ_E10value_typeEPNSP_ISK_E10value_typeEPSL_NS1_7vsmem_tEENKUlT_SJ_SK_SL_E_clIPiSE_SF_SF_EESI_SY_SJ_SK_SL_EUlSY_E_NS1_11comp_targetILNS1_3genE5ELNS1_11target_archE942ELNS1_3gpuE9ELNS1_3repE0EEENS1_48merge_mergepath_partition_config_static_selectorELNS0_4arch9wavefront6targetE0EEEvSK_.uses_flat_scratch, 0
	.set _ZN7rocprim17ROCPRIM_400000_NS6detail17trampoline_kernelINS0_14default_configENS1_38merge_sort_block_merge_config_selectorIiNS0_10empty_typeEEEZZNS1_27merge_sort_block_merge_implIS3_N6thrust23THRUST_200600_302600_NS6detail15normal_iteratorINS9_10device_ptrIiEEEEPS5_m11less_div_10IiEEE10hipError_tT0_T1_T2_jT3_P12ihipStream_tbPNSt15iterator_traitsISJ_E10value_typeEPNSP_ISK_E10value_typeEPSL_NS1_7vsmem_tEENKUlT_SJ_SK_SL_E_clIPiSE_SF_SF_EESI_SY_SJ_SK_SL_EUlSY_E_NS1_11comp_targetILNS1_3genE5ELNS1_11target_archE942ELNS1_3gpuE9ELNS1_3repE0EEENS1_48merge_mergepath_partition_config_static_selectorELNS0_4arch9wavefront6targetE0EEEvSK_.has_dyn_sized_stack, 0
	.set _ZN7rocprim17ROCPRIM_400000_NS6detail17trampoline_kernelINS0_14default_configENS1_38merge_sort_block_merge_config_selectorIiNS0_10empty_typeEEEZZNS1_27merge_sort_block_merge_implIS3_N6thrust23THRUST_200600_302600_NS6detail15normal_iteratorINS9_10device_ptrIiEEEEPS5_m11less_div_10IiEEE10hipError_tT0_T1_T2_jT3_P12ihipStream_tbPNSt15iterator_traitsISJ_E10value_typeEPNSP_ISK_E10value_typeEPSL_NS1_7vsmem_tEENKUlT_SJ_SK_SL_E_clIPiSE_SF_SF_EESI_SY_SJ_SK_SL_EUlSY_E_NS1_11comp_targetILNS1_3genE5ELNS1_11target_archE942ELNS1_3gpuE9ELNS1_3repE0EEENS1_48merge_mergepath_partition_config_static_selectorELNS0_4arch9wavefront6targetE0EEEvSK_.has_recursion, 0
	.set _ZN7rocprim17ROCPRIM_400000_NS6detail17trampoline_kernelINS0_14default_configENS1_38merge_sort_block_merge_config_selectorIiNS0_10empty_typeEEEZZNS1_27merge_sort_block_merge_implIS3_N6thrust23THRUST_200600_302600_NS6detail15normal_iteratorINS9_10device_ptrIiEEEEPS5_m11less_div_10IiEEE10hipError_tT0_T1_T2_jT3_P12ihipStream_tbPNSt15iterator_traitsISJ_E10value_typeEPNSP_ISK_E10value_typeEPSL_NS1_7vsmem_tEENKUlT_SJ_SK_SL_E_clIPiSE_SF_SF_EESI_SY_SJ_SK_SL_EUlSY_E_NS1_11comp_targetILNS1_3genE5ELNS1_11target_archE942ELNS1_3gpuE9ELNS1_3repE0EEENS1_48merge_mergepath_partition_config_static_selectorELNS0_4arch9wavefront6targetE0EEEvSK_.has_indirect_call, 0
	.section	.AMDGPU.csdata,"",@progbits
; Kernel info:
; codeLenInByte = 0
; TotalNumSgprs: 0
; NumVgprs: 0
; ScratchSize: 0
; MemoryBound: 0
; FloatMode: 240
; IeeeMode: 1
; LDSByteSize: 0 bytes/workgroup (compile time only)
; SGPRBlocks: 0
; VGPRBlocks: 0
; NumSGPRsForWavesPerEU: 1
; NumVGPRsForWavesPerEU: 1
; Occupancy: 16
; WaveLimiterHint : 0
; COMPUTE_PGM_RSRC2:SCRATCH_EN: 0
; COMPUTE_PGM_RSRC2:USER_SGPR: 6
; COMPUTE_PGM_RSRC2:TRAP_HANDLER: 0
; COMPUTE_PGM_RSRC2:TGID_X_EN: 1
; COMPUTE_PGM_RSRC2:TGID_Y_EN: 0
; COMPUTE_PGM_RSRC2:TGID_Z_EN: 0
; COMPUTE_PGM_RSRC2:TIDIG_COMP_CNT: 0
	.section	.text._ZN7rocprim17ROCPRIM_400000_NS6detail17trampoline_kernelINS0_14default_configENS1_38merge_sort_block_merge_config_selectorIiNS0_10empty_typeEEEZZNS1_27merge_sort_block_merge_implIS3_N6thrust23THRUST_200600_302600_NS6detail15normal_iteratorINS9_10device_ptrIiEEEEPS5_m11less_div_10IiEEE10hipError_tT0_T1_T2_jT3_P12ihipStream_tbPNSt15iterator_traitsISJ_E10value_typeEPNSP_ISK_E10value_typeEPSL_NS1_7vsmem_tEENKUlT_SJ_SK_SL_E_clIPiSE_SF_SF_EESI_SY_SJ_SK_SL_EUlSY_E_NS1_11comp_targetILNS1_3genE4ELNS1_11target_archE910ELNS1_3gpuE8ELNS1_3repE0EEENS1_48merge_mergepath_partition_config_static_selectorELNS0_4arch9wavefront6targetE0EEEvSK_,"axG",@progbits,_ZN7rocprim17ROCPRIM_400000_NS6detail17trampoline_kernelINS0_14default_configENS1_38merge_sort_block_merge_config_selectorIiNS0_10empty_typeEEEZZNS1_27merge_sort_block_merge_implIS3_N6thrust23THRUST_200600_302600_NS6detail15normal_iteratorINS9_10device_ptrIiEEEEPS5_m11less_div_10IiEEE10hipError_tT0_T1_T2_jT3_P12ihipStream_tbPNSt15iterator_traitsISJ_E10value_typeEPNSP_ISK_E10value_typeEPSL_NS1_7vsmem_tEENKUlT_SJ_SK_SL_E_clIPiSE_SF_SF_EESI_SY_SJ_SK_SL_EUlSY_E_NS1_11comp_targetILNS1_3genE4ELNS1_11target_archE910ELNS1_3gpuE8ELNS1_3repE0EEENS1_48merge_mergepath_partition_config_static_selectorELNS0_4arch9wavefront6targetE0EEEvSK_,comdat
	.protected	_ZN7rocprim17ROCPRIM_400000_NS6detail17trampoline_kernelINS0_14default_configENS1_38merge_sort_block_merge_config_selectorIiNS0_10empty_typeEEEZZNS1_27merge_sort_block_merge_implIS3_N6thrust23THRUST_200600_302600_NS6detail15normal_iteratorINS9_10device_ptrIiEEEEPS5_m11less_div_10IiEEE10hipError_tT0_T1_T2_jT3_P12ihipStream_tbPNSt15iterator_traitsISJ_E10value_typeEPNSP_ISK_E10value_typeEPSL_NS1_7vsmem_tEENKUlT_SJ_SK_SL_E_clIPiSE_SF_SF_EESI_SY_SJ_SK_SL_EUlSY_E_NS1_11comp_targetILNS1_3genE4ELNS1_11target_archE910ELNS1_3gpuE8ELNS1_3repE0EEENS1_48merge_mergepath_partition_config_static_selectorELNS0_4arch9wavefront6targetE0EEEvSK_ ; -- Begin function _ZN7rocprim17ROCPRIM_400000_NS6detail17trampoline_kernelINS0_14default_configENS1_38merge_sort_block_merge_config_selectorIiNS0_10empty_typeEEEZZNS1_27merge_sort_block_merge_implIS3_N6thrust23THRUST_200600_302600_NS6detail15normal_iteratorINS9_10device_ptrIiEEEEPS5_m11less_div_10IiEEE10hipError_tT0_T1_T2_jT3_P12ihipStream_tbPNSt15iterator_traitsISJ_E10value_typeEPNSP_ISK_E10value_typeEPSL_NS1_7vsmem_tEENKUlT_SJ_SK_SL_E_clIPiSE_SF_SF_EESI_SY_SJ_SK_SL_EUlSY_E_NS1_11comp_targetILNS1_3genE4ELNS1_11target_archE910ELNS1_3gpuE8ELNS1_3repE0EEENS1_48merge_mergepath_partition_config_static_selectorELNS0_4arch9wavefront6targetE0EEEvSK_
	.globl	_ZN7rocprim17ROCPRIM_400000_NS6detail17trampoline_kernelINS0_14default_configENS1_38merge_sort_block_merge_config_selectorIiNS0_10empty_typeEEEZZNS1_27merge_sort_block_merge_implIS3_N6thrust23THRUST_200600_302600_NS6detail15normal_iteratorINS9_10device_ptrIiEEEEPS5_m11less_div_10IiEEE10hipError_tT0_T1_T2_jT3_P12ihipStream_tbPNSt15iterator_traitsISJ_E10value_typeEPNSP_ISK_E10value_typeEPSL_NS1_7vsmem_tEENKUlT_SJ_SK_SL_E_clIPiSE_SF_SF_EESI_SY_SJ_SK_SL_EUlSY_E_NS1_11comp_targetILNS1_3genE4ELNS1_11target_archE910ELNS1_3gpuE8ELNS1_3repE0EEENS1_48merge_mergepath_partition_config_static_selectorELNS0_4arch9wavefront6targetE0EEEvSK_
	.p2align	8
	.type	_ZN7rocprim17ROCPRIM_400000_NS6detail17trampoline_kernelINS0_14default_configENS1_38merge_sort_block_merge_config_selectorIiNS0_10empty_typeEEEZZNS1_27merge_sort_block_merge_implIS3_N6thrust23THRUST_200600_302600_NS6detail15normal_iteratorINS9_10device_ptrIiEEEEPS5_m11less_div_10IiEEE10hipError_tT0_T1_T2_jT3_P12ihipStream_tbPNSt15iterator_traitsISJ_E10value_typeEPNSP_ISK_E10value_typeEPSL_NS1_7vsmem_tEENKUlT_SJ_SK_SL_E_clIPiSE_SF_SF_EESI_SY_SJ_SK_SL_EUlSY_E_NS1_11comp_targetILNS1_3genE4ELNS1_11target_archE910ELNS1_3gpuE8ELNS1_3repE0EEENS1_48merge_mergepath_partition_config_static_selectorELNS0_4arch9wavefront6targetE0EEEvSK_,@function
_ZN7rocprim17ROCPRIM_400000_NS6detail17trampoline_kernelINS0_14default_configENS1_38merge_sort_block_merge_config_selectorIiNS0_10empty_typeEEEZZNS1_27merge_sort_block_merge_implIS3_N6thrust23THRUST_200600_302600_NS6detail15normal_iteratorINS9_10device_ptrIiEEEEPS5_m11less_div_10IiEEE10hipError_tT0_T1_T2_jT3_P12ihipStream_tbPNSt15iterator_traitsISJ_E10value_typeEPNSP_ISK_E10value_typeEPSL_NS1_7vsmem_tEENKUlT_SJ_SK_SL_E_clIPiSE_SF_SF_EESI_SY_SJ_SK_SL_EUlSY_E_NS1_11comp_targetILNS1_3genE4ELNS1_11target_archE910ELNS1_3gpuE8ELNS1_3repE0EEENS1_48merge_mergepath_partition_config_static_selectorELNS0_4arch9wavefront6targetE0EEEvSK_: ; @_ZN7rocprim17ROCPRIM_400000_NS6detail17trampoline_kernelINS0_14default_configENS1_38merge_sort_block_merge_config_selectorIiNS0_10empty_typeEEEZZNS1_27merge_sort_block_merge_implIS3_N6thrust23THRUST_200600_302600_NS6detail15normal_iteratorINS9_10device_ptrIiEEEEPS5_m11less_div_10IiEEE10hipError_tT0_T1_T2_jT3_P12ihipStream_tbPNSt15iterator_traitsISJ_E10value_typeEPNSP_ISK_E10value_typeEPSL_NS1_7vsmem_tEENKUlT_SJ_SK_SL_E_clIPiSE_SF_SF_EESI_SY_SJ_SK_SL_EUlSY_E_NS1_11comp_targetILNS1_3genE4ELNS1_11target_archE910ELNS1_3gpuE8ELNS1_3repE0EEENS1_48merge_mergepath_partition_config_static_selectorELNS0_4arch9wavefront6targetE0EEEvSK_
; %bb.0:
	.section	.rodata,"a",@progbits
	.p2align	6, 0x0
	.amdhsa_kernel _ZN7rocprim17ROCPRIM_400000_NS6detail17trampoline_kernelINS0_14default_configENS1_38merge_sort_block_merge_config_selectorIiNS0_10empty_typeEEEZZNS1_27merge_sort_block_merge_implIS3_N6thrust23THRUST_200600_302600_NS6detail15normal_iteratorINS9_10device_ptrIiEEEEPS5_m11less_div_10IiEEE10hipError_tT0_T1_T2_jT3_P12ihipStream_tbPNSt15iterator_traitsISJ_E10value_typeEPNSP_ISK_E10value_typeEPSL_NS1_7vsmem_tEENKUlT_SJ_SK_SL_E_clIPiSE_SF_SF_EESI_SY_SJ_SK_SL_EUlSY_E_NS1_11comp_targetILNS1_3genE4ELNS1_11target_archE910ELNS1_3gpuE8ELNS1_3repE0EEENS1_48merge_mergepath_partition_config_static_selectorELNS0_4arch9wavefront6targetE0EEEvSK_
		.amdhsa_group_segment_fixed_size 0
		.amdhsa_private_segment_fixed_size 0
		.amdhsa_kernarg_size 48
		.amdhsa_user_sgpr_count 6
		.amdhsa_user_sgpr_private_segment_buffer 1
		.amdhsa_user_sgpr_dispatch_ptr 0
		.amdhsa_user_sgpr_queue_ptr 0
		.amdhsa_user_sgpr_kernarg_segment_ptr 1
		.amdhsa_user_sgpr_dispatch_id 0
		.amdhsa_user_sgpr_flat_scratch_init 0
		.amdhsa_user_sgpr_private_segment_size 0
		.amdhsa_wavefront_size32 1
		.amdhsa_uses_dynamic_stack 0
		.amdhsa_system_sgpr_private_segment_wavefront_offset 0
		.amdhsa_system_sgpr_workgroup_id_x 1
		.amdhsa_system_sgpr_workgroup_id_y 0
		.amdhsa_system_sgpr_workgroup_id_z 0
		.amdhsa_system_sgpr_workgroup_info 0
		.amdhsa_system_vgpr_workitem_id 0
		.amdhsa_next_free_vgpr 1
		.amdhsa_next_free_sgpr 1
		.amdhsa_reserve_vcc 0
		.amdhsa_reserve_flat_scratch 0
		.amdhsa_float_round_mode_32 0
		.amdhsa_float_round_mode_16_64 0
		.amdhsa_float_denorm_mode_32 3
		.amdhsa_float_denorm_mode_16_64 3
		.amdhsa_dx10_clamp 1
		.amdhsa_ieee_mode 1
		.amdhsa_fp16_overflow 0
		.amdhsa_workgroup_processor_mode 1
		.amdhsa_memory_ordered 1
		.amdhsa_forward_progress 1
		.amdhsa_shared_vgpr_count 0
		.amdhsa_exception_fp_ieee_invalid_op 0
		.amdhsa_exception_fp_denorm_src 0
		.amdhsa_exception_fp_ieee_div_zero 0
		.amdhsa_exception_fp_ieee_overflow 0
		.amdhsa_exception_fp_ieee_underflow 0
		.amdhsa_exception_fp_ieee_inexact 0
		.amdhsa_exception_int_div_zero 0
	.end_amdhsa_kernel
	.section	.text._ZN7rocprim17ROCPRIM_400000_NS6detail17trampoline_kernelINS0_14default_configENS1_38merge_sort_block_merge_config_selectorIiNS0_10empty_typeEEEZZNS1_27merge_sort_block_merge_implIS3_N6thrust23THRUST_200600_302600_NS6detail15normal_iteratorINS9_10device_ptrIiEEEEPS5_m11less_div_10IiEEE10hipError_tT0_T1_T2_jT3_P12ihipStream_tbPNSt15iterator_traitsISJ_E10value_typeEPNSP_ISK_E10value_typeEPSL_NS1_7vsmem_tEENKUlT_SJ_SK_SL_E_clIPiSE_SF_SF_EESI_SY_SJ_SK_SL_EUlSY_E_NS1_11comp_targetILNS1_3genE4ELNS1_11target_archE910ELNS1_3gpuE8ELNS1_3repE0EEENS1_48merge_mergepath_partition_config_static_selectorELNS0_4arch9wavefront6targetE0EEEvSK_,"axG",@progbits,_ZN7rocprim17ROCPRIM_400000_NS6detail17trampoline_kernelINS0_14default_configENS1_38merge_sort_block_merge_config_selectorIiNS0_10empty_typeEEEZZNS1_27merge_sort_block_merge_implIS3_N6thrust23THRUST_200600_302600_NS6detail15normal_iteratorINS9_10device_ptrIiEEEEPS5_m11less_div_10IiEEE10hipError_tT0_T1_T2_jT3_P12ihipStream_tbPNSt15iterator_traitsISJ_E10value_typeEPNSP_ISK_E10value_typeEPSL_NS1_7vsmem_tEENKUlT_SJ_SK_SL_E_clIPiSE_SF_SF_EESI_SY_SJ_SK_SL_EUlSY_E_NS1_11comp_targetILNS1_3genE4ELNS1_11target_archE910ELNS1_3gpuE8ELNS1_3repE0EEENS1_48merge_mergepath_partition_config_static_selectorELNS0_4arch9wavefront6targetE0EEEvSK_,comdat
.Lfunc_end432:
	.size	_ZN7rocprim17ROCPRIM_400000_NS6detail17trampoline_kernelINS0_14default_configENS1_38merge_sort_block_merge_config_selectorIiNS0_10empty_typeEEEZZNS1_27merge_sort_block_merge_implIS3_N6thrust23THRUST_200600_302600_NS6detail15normal_iteratorINS9_10device_ptrIiEEEEPS5_m11less_div_10IiEEE10hipError_tT0_T1_T2_jT3_P12ihipStream_tbPNSt15iterator_traitsISJ_E10value_typeEPNSP_ISK_E10value_typeEPSL_NS1_7vsmem_tEENKUlT_SJ_SK_SL_E_clIPiSE_SF_SF_EESI_SY_SJ_SK_SL_EUlSY_E_NS1_11comp_targetILNS1_3genE4ELNS1_11target_archE910ELNS1_3gpuE8ELNS1_3repE0EEENS1_48merge_mergepath_partition_config_static_selectorELNS0_4arch9wavefront6targetE0EEEvSK_, .Lfunc_end432-_ZN7rocprim17ROCPRIM_400000_NS6detail17trampoline_kernelINS0_14default_configENS1_38merge_sort_block_merge_config_selectorIiNS0_10empty_typeEEEZZNS1_27merge_sort_block_merge_implIS3_N6thrust23THRUST_200600_302600_NS6detail15normal_iteratorINS9_10device_ptrIiEEEEPS5_m11less_div_10IiEEE10hipError_tT0_T1_T2_jT3_P12ihipStream_tbPNSt15iterator_traitsISJ_E10value_typeEPNSP_ISK_E10value_typeEPSL_NS1_7vsmem_tEENKUlT_SJ_SK_SL_E_clIPiSE_SF_SF_EESI_SY_SJ_SK_SL_EUlSY_E_NS1_11comp_targetILNS1_3genE4ELNS1_11target_archE910ELNS1_3gpuE8ELNS1_3repE0EEENS1_48merge_mergepath_partition_config_static_selectorELNS0_4arch9wavefront6targetE0EEEvSK_
                                        ; -- End function
	.set _ZN7rocprim17ROCPRIM_400000_NS6detail17trampoline_kernelINS0_14default_configENS1_38merge_sort_block_merge_config_selectorIiNS0_10empty_typeEEEZZNS1_27merge_sort_block_merge_implIS3_N6thrust23THRUST_200600_302600_NS6detail15normal_iteratorINS9_10device_ptrIiEEEEPS5_m11less_div_10IiEEE10hipError_tT0_T1_T2_jT3_P12ihipStream_tbPNSt15iterator_traitsISJ_E10value_typeEPNSP_ISK_E10value_typeEPSL_NS1_7vsmem_tEENKUlT_SJ_SK_SL_E_clIPiSE_SF_SF_EESI_SY_SJ_SK_SL_EUlSY_E_NS1_11comp_targetILNS1_3genE4ELNS1_11target_archE910ELNS1_3gpuE8ELNS1_3repE0EEENS1_48merge_mergepath_partition_config_static_selectorELNS0_4arch9wavefront6targetE0EEEvSK_.num_vgpr, 0
	.set _ZN7rocprim17ROCPRIM_400000_NS6detail17trampoline_kernelINS0_14default_configENS1_38merge_sort_block_merge_config_selectorIiNS0_10empty_typeEEEZZNS1_27merge_sort_block_merge_implIS3_N6thrust23THRUST_200600_302600_NS6detail15normal_iteratorINS9_10device_ptrIiEEEEPS5_m11less_div_10IiEEE10hipError_tT0_T1_T2_jT3_P12ihipStream_tbPNSt15iterator_traitsISJ_E10value_typeEPNSP_ISK_E10value_typeEPSL_NS1_7vsmem_tEENKUlT_SJ_SK_SL_E_clIPiSE_SF_SF_EESI_SY_SJ_SK_SL_EUlSY_E_NS1_11comp_targetILNS1_3genE4ELNS1_11target_archE910ELNS1_3gpuE8ELNS1_3repE0EEENS1_48merge_mergepath_partition_config_static_selectorELNS0_4arch9wavefront6targetE0EEEvSK_.num_agpr, 0
	.set _ZN7rocprim17ROCPRIM_400000_NS6detail17trampoline_kernelINS0_14default_configENS1_38merge_sort_block_merge_config_selectorIiNS0_10empty_typeEEEZZNS1_27merge_sort_block_merge_implIS3_N6thrust23THRUST_200600_302600_NS6detail15normal_iteratorINS9_10device_ptrIiEEEEPS5_m11less_div_10IiEEE10hipError_tT0_T1_T2_jT3_P12ihipStream_tbPNSt15iterator_traitsISJ_E10value_typeEPNSP_ISK_E10value_typeEPSL_NS1_7vsmem_tEENKUlT_SJ_SK_SL_E_clIPiSE_SF_SF_EESI_SY_SJ_SK_SL_EUlSY_E_NS1_11comp_targetILNS1_3genE4ELNS1_11target_archE910ELNS1_3gpuE8ELNS1_3repE0EEENS1_48merge_mergepath_partition_config_static_selectorELNS0_4arch9wavefront6targetE0EEEvSK_.numbered_sgpr, 0
	.set _ZN7rocprim17ROCPRIM_400000_NS6detail17trampoline_kernelINS0_14default_configENS1_38merge_sort_block_merge_config_selectorIiNS0_10empty_typeEEEZZNS1_27merge_sort_block_merge_implIS3_N6thrust23THRUST_200600_302600_NS6detail15normal_iteratorINS9_10device_ptrIiEEEEPS5_m11less_div_10IiEEE10hipError_tT0_T1_T2_jT3_P12ihipStream_tbPNSt15iterator_traitsISJ_E10value_typeEPNSP_ISK_E10value_typeEPSL_NS1_7vsmem_tEENKUlT_SJ_SK_SL_E_clIPiSE_SF_SF_EESI_SY_SJ_SK_SL_EUlSY_E_NS1_11comp_targetILNS1_3genE4ELNS1_11target_archE910ELNS1_3gpuE8ELNS1_3repE0EEENS1_48merge_mergepath_partition_config_static_selectorELNS0_4arch9wavefront6targetE0EEEvSK_.num_named_barrier, 0
	.set _ZN7rocprim17ROCPRIM_400000_NS6detail17trampoline_kernelINS0_14default_configENS1_38merge_sort_block_merge_config_selectorIiNS0_10empty_typeEEEZZNS1_27merge_sort_block_merge_implIS3_N6thrust23THRUST_200600_302600_NS6detail15normal_iteratorINS9_10device_ptrIiEEEEPS5_m11less_div_10IiEEE10hipError_tT0_T1_T2_jT3_P12ihipStream_tbPNSt15iterator_traitsISJ_E10value_typeEPNSP_ISK_E10value_typeEPSL_NS1_7vsmem_tEENKUlT_SJ_SK_SL_E_clIPiSE_SF_SF_EESI_SY_SJ_SK_SL_EUlSY_E_NS1_11comp_targetILNS1_3genE4ELNS1_11target_archE910ELNS1_3gpuE8ELNS1_3repE0EEENS1_48merge_mergepath_partition_config_static_selectorELNS0_4arch9wavefront6targetE0EEEvSK_.private_seg_size, 0
	.set _ZN7rocprim17ROCPRIM_400000_NS6detail17trampoline_kernelINS0_14default_configENS1_38merge_sort_block_merge_config_selectorIiNS0_10empty_typeEEEZZNS1_27merge_sort_block_merge_implIS3_N6thrust23THRUST_200600_302600_NS6detail15normal_iteratorINS9_10device_ptrIiEEEEPS5_m11less_div_10IiEEE10hipError_tT0_T1_T2_jT3_P12ihipStream_tbPNSt15iterator_traitsISJ_E10value_typeEPNSP_ISK_E10value_typeEPSL_NS1_7vsmem_tEENKUlT_SJ_SK_SL_E_clIPiSE_SF_SF_EESI_SY_SJ_SK_SL_EUlSY_E_NS1_11comp_targetILNS1_3genE4ELNS1_11target_archE910ELNS1_3gpuE8ELNS1_3repE0EEENS1_48merge_mergepath_partition_config_static_selectorELNS0_4arch9wavefront6targetE0EEEvSK_.uses_vcc, 0
	.set _ZN7rocprim17ROCPRIM_400000_NS6detail17trampoline_kernelINS0_14default_configENS1_38merge_sort_block_merge_config_selectorIiNS0_10empty_typeEEEZZNS1_27merge_sort_block_merge_implIS3_N6thrust23THRUST_200600_302600_NS6detail15normal_iteratorINS9_10device_ptrIiEEEEPS5_m11less_div_10IiEEE10hipError_tT0_T1_T2_jT3_P12ihipStream_tbPNSt15iterator_traitsISJ_E10value_typeEPNSP_ISK_E10value_typeEPSL_NS1_7vsmem_tEENKUlT_SJ_SK_SL_E_clIPiSE_SF_SF_EESI_SY_SJ_SK_SL_EUlSY_E_NS1_11comp_targetILNS1_3genE4ELNS1_11target_archE910ELNS1_3gpuE8ELNS1_3repE0EEENS1_48merge_mergepath_partition_config_static_selectorELNS0_4arch9wavefront6targetE0EEEvSK_.uses_flat_scratch, 0
	.set _ZN7rocprim17ROCPRIM_400000_NS6detail17trampoline_kernelINS0_14default_configENS1_38merge_sort_block_merge_config_selectorIiNS0_10empty_typeEEEZZNS1_27merge_sort_block_merge_implIS3_N6thrust23THRUST_200600_302600_NS6detail15normal_iteratorINS9_10device_ptrIiEEEEPS5_m11less_div_10IiEEE10hipError_tT0_T1_T2_jT3_P12ihipStream_tbPNSt15iterator_traitsISJ_E10value_typeEPNSP_ISK_E10value_typeEPSL_NS1_7vsmem_tEENKUlT_SJ_SK_SL_E_clIPiSE_SF_SF_EESI_SY_SJ_SK_SL_EUlSY_E_NS1_11comp_targetILNS1_3genE4ELNS1_11target_archE910ELNS1_3gpuE8ELNS1_3repE0EEENS1_48merge_mergepath_partition_config_static_selectorELNS0_4arch9wavefront6targetE0EEEvSK_.has_dyn_sized_stack, 0
	.set _ZN7rocprim17ROCPRIM_400000_NS6detail17trampoline_kernelINS0_14default_configENS1_38merge_sort_block_merge_config_selectorIiNS0_10empty_typeEEEZZNS1_27merge_sort_block_merge_implIS3_N6thrust23THRUST_200600_302600_NS6detail15normal_iteratorINS9_10device_ptrIiEEEEPS5_m11less_div_10IiEEE10hipError_tT0_T1_T2_jT3_P12ihipStream_tbPNSt15iterator_traitsISJ_E10value_typeEPNSP_ISK_E10value_typeEPSL_NS1_7vsmem_tEENKUlT_SJ_SK_SL_E_clIPiSE_SF_SF_EESI_SY_SJ_SK_SL_EUlSY_E_NS1_11comp_targetILNS1_3genE4ELNS1_11target_archE910ELNS1_3gpuE8ELNS1_3repE0EEENS1_48merge_mergepath_partition_config_static_selectorELNS0_4arch9wavefront6targetE0EEEvSK_.has_recursion, 0
	.set _ZN7rocprim17ROCPRIM_400000_NS6detail17trampoline_kernelINS0_14default_configENS1_38merge_sort_block_merge_config_selectorIiNS0_10empty_typeEEEZZNS1_27merge_sort_block_merge_implIS3_N6thrust23THRUST_200600_302600_NS6detail15normal_iteratorINS9_10device_ptrIiEEEEPS5_m11less_div_10IiEEE10hipError_tT0_T1_T2_jT3_P12ihipStream_tbPNSt15iterator_traitsISJ_E10value_typeEPNSP_ISK_E10value_typeEPSL_NS1_7vsmem_tEENKUlT_SJ_SK_SL_E_clIPiSE_SF_SF_EESI_SY_SJ_SK_SL_EUlSY_E_NS1_11comp_targetILNS1_3genE4ELNS1_11target_archE910ELNS1_3gpuE8ELNS1_3repE0EEENS1_48merge_mergepath_partition_config_static_selectorELNS0_4arch9wavefront6targetE0EEEvSK_.has_indirect_call, 0
	.section	.AMDGPU.csdata,"",@progbits
; Kernel info:
; codeLenInByte = 0
; TotalNumSgprs: 0
; NumVgprs: 0
; ScratchSize: 0
; MemoryBound: 0
; FloatMode: 240
; IeeeMode: 1
; LDSByteSize: 0 bytes/workgroup (compile time only)
; SGPRBlocks: 0
; VGPRBlocks: 0
; NumSGPRsForWavesPerEU: 1
; NumVGPRsForWavesPerEU: 1
; Occupancy: 16
; WaveLimiterHint : 0
; COMPUTE_PGM_RSRC2:SCRATCH_EN: 0
; COMPUTE_PGM_RSRC2:USER_SGPR: 6
; COMPUTE_PGM_RSRC2:TRAP_HANDLER: 0
; COMPUTE_PGM_RSRC2:TGID_X_EN: 1
; COMPUTE_PGM_RSRC2:TGID_Y_EN: 0
; COMPUTE_PGM_RSRC2:TGID_Z_EN: 0
; COMPUTE_PGM_RSRC2:TIDIG_COMP_CNT: 0
	.section	.text._ZN7rocprim17ROCPRIM_400000_NS6detail17trampoline_kernelINS0_14default_configENS1_38merge_sort_block_merge_config_selectorIiNS0_10empty_typeEEEZZNS1_27merge_sort_block_merge_implIS3_N6thrust23THRUST_200600_302600_NS6detail15normal_iteratorINS9_10device_ptrIiEEEEPS5_m11less_div_10IiEEE10hipError_tT0_T1_T2_jT3_P12ihipStream_tbPNSt15iterator_traitsISJ_E10value_typeEPNSP_ISK_E10value_typeEPSL_NS1_7vsmem_tEENKUlT_SJ_SK_SL_E_clIPiSE_SF_SF_EESI_SY_SJ_SK_SL_EUlSY_E_NS1_11comp_targetILNS1_3genE3ELNS1_11target_archE908ELNS1_3gpuE7ELNS1_3repE0EEENS1_48merge_mergepath_partition_config_static_selectorELNS0_4arch9wavefront6targetE0EEEvSK_,"axG",@progbits,_ZN7rocprim17ROCPRIM_400000_NS6detail17trampoline_kernelINS0_14default_configENS1_38merge_sort_block_merge_config_selectorIiNS0_10empty_typeEEEZZNS1_27merge_sort_block_merge_implIS3_N6thrust23THRUST_200600_302600_NS6detail15normal_iteratorINS9_10device_ptrIiEEEEPS5_m11less_div_10IiEEE10hipError_tT0_T1_T2_jT3_P12ihipStream_tbPNSt15iterator_traitsISJ_E10value_typeEPNSP_ISK_E10value_typeEPSL_NS1_7vsmem_tEENKUlT_SJ_SK_SL_E_clIPiSE_SF_SF_EESI_SY_SJ_SK_SL_EUlSY_E_NS1_11comp_targetILNS1_3genE3ELNS1_11target_archE908ELNS1_3gpuE7ELNS1_3repE0EEENS1_48merge_mergepath_partition_config_static_selectorELNS0_4arch9wavefront6targetE0EEEvSK_,comdat
	.protected	_ZN7rocprim17ROCPRIM_400000_NS6detail17trampoline_kernelINS0_14default_configENS1_38merge_sort_block_merge_config_selectorIiNS0_10empty_typeEEEZZNS1_27merge_sort_block_merge_implIS3_N6thrust23THRUST_200600_302600_NS6detail15normal_iteratorINS9_10device_ptrIiEEEEPS5_m11less_div_10IiEEE10hipError_tT0_T1_T2_jT3_P12ihipStream_tbPNSt15iterator_traitsISJ_E10value_typeEPNSP_ISK_E10value_typeEPSL_NS1_7vsmem_tEENKUlT_SJ_SK_SL_E_clIPiSE_SF_SF_EESI_SY_SJ_SK_SL_EUlSY_E_NS1_11comp_targetILNS1_3genE3ELNS1_11target_archE908ELNS1_3gpuE7ELNS1_3repE0EEENS1_48merge_mergepath_partition_config_static_selectorELNS0_4arch9wavefront6targetE0EEEvSK_ ; -- Begin function _ZN7rocprim17ROCPRIM_400000_NS6detail17trampoline_kernelINS0_14default_configENS1_38merge_sort_block_merge_config_selectorIiNS0_10empty_typeEEEZZNS1_27merge_sort_block_merge_implIS3_N6thrust23THRUST_200600_302600_NS6detail15normal_iteratorINS9_10device_ptrIiEEEEPS5_m11less_div_10IiEEE10hipError_tT0_T1_T2_jT3_P12ihipStream_tbPNSt15iterator_traitsISJ_E10value_typeEPNSP_ISK_E10value_typeEPSL_NS1_7vsmem_tEENKUlT_SJ_SK_SL_E_clIPiSE_SF_SF_EESI_SY_SJ_SK_SL_EUlSY_E_NS1_11comp_targetILNS1_3genE3ELNS1_11target_archE908ELNS1_3gpuE7ELNS1_3repE0EEENS1_48merge_mergepath_partition_config_static_selectorELNS0_4arch9wavefront6targetE0EEEvSK_
	.globl	_ZN7rocprim17ROCPRIM_400000_NS6detail17trampoline_kernelINS0_14default_configENS1_38merge_sort_block_merge_config_selectorIiNS0_10empty_typeEEEZZNS1_27merge_sort_block_merge_implIS3_N6thrust23THRUST_200600_302600_NS6detail15normal_iteratorINS9_10device_ptrIiEEEEPS5_m11less_div_10IiEEE10hipError_tT0_T1_T2_jT3_P12ihipStream_tbPNSt15iterator_traitsISJ_E10value_typeEPNSP_ISK_E10value_typeEPSL_NS1_7vsmem_tEENKUlT_SJ_SK_SL_E_clIPiSE_SF_SF_EESI_SY_SJ_SK_SL_EUlSY_E_NS1_11comp_targetILNS1_3genE3ELNS1_11target_archE908ELNS1_3gpuE7ELNS1_3repE0EEENS1_48merge_mergepath_partition_config_static_selectorELNS0_4arch9wavefront6targetE0EEEvSK_
	.p2align	8
	.type	_ZN7rocprim17ROCPRIM_400000_NS6detail17trampoline_kernelINS0_14default_configENS1_38merge_sort_block_merge_config_selectorIiNS0_10empty_typeEEEZZNS1_27merge_sort_block_merge_implIS3_N6thrust23THRUST_200600_302600_NS6detail15normal_iteratorINS9_10device_ptrIiEEEEPS5_m11less_div_10IiEEE10hipError_tT0_T1_T2_jT3_P12ihipStream_tbPNSt15iterator_traitsISJ_E10value_typeEPNSP_ISK_E10value_typeEPSL_NS1_7vsmem_tEENKUlT_SJ_SK_SL_E_clIPiSE_SF_SF_EESI_SY_SJ_SK_SL_EUlSY_E_NS1_11comp_targetILNS1_3genE3ELNS1_11target_archE908ELNS1_3gpuE7ELNS1_3repE0EEENS1_48merge_mergepath_partition_config_static_selectorELNS0_4arch9wavefront6targetE0EEEvSK_,@function
_ZN7rocprim17ROCPRIM_400000_NS6detail17trampoline_kernelINS0_14default_configENS1_38merge_sort_block_merge_config_selectorIiNS0_10empty_typeEEEZZNS1_27merge_sort_block_merge_implIS3_N6thrust23THRUST_200600_302600_NS6detail15normal_iteratorINS9_10device_ptrIiEEEEPS5_m11less_div_10IiEEE10hipError_tT0_T1_T2_jT3_P12ihipStream_tbPNSt15iterator_traitsISJ_E10value_typeEPNSP_ISK_E10value_typeEPSL_NS1_7vsmem_tEENKUlT_SJ_SK_SL_E_clIPiSE_SF_SF_EESI_SY_SJ_SK_SL_EUlSY_E_NS1_11comp_targetILNS1_3genE3ELNS1_11target_archE908ELNS1_3gpuE7ELNS1_3repE0EEENS1_48merge_mergepath_partition_config_static_selectorELNS0_4arch9wavefront6targetE0EEEvSK_: ; @_ZN7rocprim17ROCPRIM_400000_NS6detail17trampoline_kernelINS0_14default_configENS1_38merge_sort_block_merge_config_selectorIiNS0_10empty_typeEEEZZNS1_27merge_sort_block_merge_implIS3_N6thrust23THRUST_200600_302600_NS6detail15normal_iteratorINS9_10device_ptrIiEEEEPS5_m11less_div_10IiEEE10hipError_tT0_T1_T2_jT3_P12ihipStream_tbPNSt15iterator_traitsISJ_E10value_typeEPNSP_ISK_E10value_typeEPSL_NS1_7vsmem_tEENKUlT_SJ_SK_SL_E_clIPiSE_SF_SF_EESI_SY_SJ_SK_SL_EUlSY_E_NS1_11comp_targetILNS1_3genE3ELNS1_11target_archE908ELNS1_3gpuE7ELNS1_3repE0EEENS1_48merge_mergepath_partition_config_static_selectorELNS0_4arch9wavefront6targetE0EEEvSK_
; %bb.0:
	.section	.rodata,"a",@progbits
	.p2align	6, 0x0
	.amdhsa_kernel _ZN7rocprim17ROCPRIM_400000_NS6detail17trampoline_kernelINS0_14default_configENS1_38merge_sort_block_merge_config_selectorIiNS0_10empty_typeEEEZZNS1_27merge_sort_block_merge_implIS3_N6thrust23THRUST_200600_302600_NS6detail15normal_iteratorINS9_10device_ptrIiEEEEPS5_m11less_div_10IiEEE10hipError_tT0_T1_T2_jT3_P12ihipStream_tbPNSt15iterator_traitsISJ_E10value_typeEPNSP_ISK_E10value_typeEPSL_NS1_7vsmem_tEENKUlT_SJ_SK_SL_E_clIPiSE_SF_SF_EESI_SY_SJ_SK_SL_EUlSY_E_NS1_11comp_targetILNS1_3genE3ELNS1_11target_archE908ELNS1_3gpuE7ELNS1_3repE0EEENS1_48merge_mergepath_partition_config_static_selectorELNS0_4arch9wavefront6targetE0EEEvSK_
		.amdhsa_group_segment_fixed_size 0
		.amdhsa_private_segment_fixed_size 0
		.amdhsa_kernarg_size 48
		.amdhsa_user_sgpr_count 6
		.amdhsa_user_sgpr_private_segment_buffer 1
		.amdhsa_user_sgpr_dispatch_ptr 0
		.amdhsa_user_sgpr_queue_ptr 0
		.amdhsa_user_sgpr_kernarg_segment_ptr 1
		.amdhsa_user_sgpr_dispatch_id 0
		.amdhsa_user_sgpr_flat_scratch_init 0
		.amdhsa_user_sgpr_private_segment_size 0
		.amdhsa_wavefront_size32 1
		.amdhsa_uses_dynamic_stack 0
		.amdhsa_system_sgpr_private_segment_wavefront_offset 0
		.amdhsa_system_sgpr_workgroup_id_x 1
		.amdhsa_system_sgpr_workgroup_id_y 0
		.amdhsa_system_sgpr_workgroup_id_z 0
		.amdhsa_system_sgpr_workgroup_info 0
		.amdhsa_system_vgpr_workitem_id 0
		.amdhsa_next_free_vgpr 1
		.amdhsa_next_free_sgpr 1
		.amdhsa_reserve_vcc 0
		.amdhsa_reserve_flat_scratch 0
		.amdhsa_float_round_mode_32 0
		.amdhsa_float_round_mode_16_64 0
		.amdhsa_float_denorm_mode_32 3
		.amdhsa_float_denorm_mode_16_64 3
		.amdhsa_dx10_clamp 1
		.amdhsa_ieee_mode 1
		.amdhsa_fp16_overflow 0
		.amdhsa_workgroup_processor_mode 1
		.amdhsa_memory_ordered 1
		.amdhsa_forward_progress 1
		.amdhsa_shared_vgpr_count 0
		.amdhsa_exception_fp_ieee_invalid_op 0
		.amdhsa_exception_fp_denorm_src 0
		.amdhsa_exception_fp_ieee_div_zero 0
		.amdhsa_exception_fp_ieee_overflow 0
		.amdhsa_exception_fp_ieee_underflow 0
		.amdhsa_exception_fp_ieee_inexact 0
		.amdhsa_exception_int_div_zero 0
	.end_amdhsa_kernel
	.section	.text._ZN7rocprim17ROCPRIM_400000_NS6detail17trampoline_kernelINS0_14default_configENS1_38merge_sort_block_merge_config_selectorIiNS0_10empty_typeEEEZZNS1_27merge_sort_block_merge_implIS3_N6thrust23THRUST_200600_302600_NS6detail15normal_iteratorINS9_10device_ptrIiEEEEPS5_m11less_div_10IiEEE10hipError_tT0_T1_T2_jT3_P12ihipStream_tbPNSt15iterator_traitsISJ_E10value_typeEPNSP_ISK_E10value_typeEPSL_NS1_7vsmem_tEENKUlT_SJ_SK_SL_E_clIPiSE_SF_SF_EESI_SY_SJ_SK_SL_EUlSY_E_NS1_11comp_targetILNS1_3genE3ELNS1_11target_archE908ELNS1_3gpuE7ELNS1_3repE0EEENS1_48merge_mergepath_partition_config_static_selectorELNS0_4arch9wavefront6targetE0EEEvSK_,"axG",@progbits,_ZN7rocprim17ROCPRIM_400000_NS6detail17trampoline_kernelINS0_14default_configENS1_38merge_sort_block_merge_config_selectorIiNS0_10empty_typeEEEZZNS1_27merge_sort_block_merge_implIS3_N6thrust23THRUST_200600_302600_NS6detail15normal_iteratorINS9_10device_ptrIiEEEEPS5_m11less_div_10IiEEE10hipError_tT0_T1_T2_jT3_P12ihipStream_tbPNSt15iterator_traitsISJ_E10value_typeEPNSP_ISK_E10value_typeEPSL_NS1_7vsmem_tEENKUlT_SJ_SK_SL_E_clIPiSE_SF_SF_EESI_SY_SJ_SK_SL_EUlSY_E_NS1_11comp_targetILNS1_3genE3ELNS1_11target_archE908ELNS1_3gpuE7ELNS1_3repE0EEENS1_48merge_mergepath_partition_config_static_selectorELNS0_4arch9wavefront6targetE0EEEvSK_,comdat
.Lfunc_end433:
	.size	_ZN7rocprim17ROCPRIM_400000_NS6detail17trampoline_kernelINS0_14default_configENS1_38merge_sort_block_merge_config_selectorIiNS0_10empty_typeEEEZZNS1_27merge_sort_block_merge_implIS3_N6thrust23THRUST_200600_302600_NS6detail15normal_iteratorINS9_10device_ptrIiEEEEPS5_m11less_div_10IiEEE10hipError_tT0_T1_T2_jT3_P12ihipStream_tbPNSt15iterator_traitsISJ_E10value_typeEPNSP_ISK_E10value_typeEPSL_NS1_7vsmem_tEENKUlT_SJ_SK_SL_E_clIPiSE_SF_SF_EESI_SY_SJ_SK_SL_EUlSY_E_NS1_11comp_targetILNS1_3genE3ELNS1_11target_archE908ELNS1_3gpuE7ELNS1_3repE0EEENS1_48merge_mergepath_partition_config_static_selectorELNS0_4arch9wavefront6targetE0EEEvSK_, .Lfunc_end433-_ZN7rocprim17ROCPRIM_400000_NS6detail17trampoline_kernelINS0_14default_configENS1_38merge_sort_block_merge_config_selectorIiNS0_10empty_typeEEEZZNS1_27merge_sort_block_merge_implIS3_N6thrust23THRUST_200600_302600_NS6detail15normal_iteratorINS9_10device_ptrIiEEEEPS5_m11less_div_10IiEEE10hipError_tT0_T1_T2_jT3_P12ihipStream_tbPNSt15iterator_traitsISJ_E10value_typeEPNSP_ISK_E10value_typeEPSL_NS1_7vsmem_tEENKUlT_SJ_SK_SL_E_clIPiSE_SF_SF_EESI_SY_SJ_SK_SL_EUlSY_E_NS1_11comp_targetILNS1_3genE3ELNS1_11target_archE908ELNS1_3gpuE7ELNS1_3repE0EEENS1_48merge_mergepath_partition_config_static_selectorELNS0_4arch9wavefront6targetE0EEEvSK_
                                        ; -- End function
	.set _ZN7rocprim17ROCPRIM_400000_NS6detail17trampoline_kernelINS0_14default_configENS1_38merge_sort_block_merge_config_selectorIiNS0_10empty_typeEEEZZNS1_27merge_sort_block_merge_implIS3_N6thrust23THRUST_200600_302600_NS6detail15normal_iteratorINS9_10device_ptrIiEEEEPS5_m11less_div_10IiEEE10hipError_tT0_T1_T2_jT3_P12ihipStream_tbPNSt15iterator_traitsISJ_E10value_typeEPNSP_ISK_E10value_typeEPSL_NS1_7vsmem_tEENKUlT_SJ_SK_SL_E_clIPiSE_SF_SF_EESI_SY_SJ_SK_SL_EUlSY_E_NS1_11comp_targetILNS1_3genE3ELNS1_11target_archE908ELNS1_3gpuE7ELNS1_3repE0EEENS1_48merge_mergepath_partition_config_static_selectorELNS0_4arch9wavefront6targetE0EEEvSK_.num_vgpr, 0
	.set _ZN7rocprim17ROCPRIM_400000_NS6detail17trampoline_kernelINS0_14default_configENS1_38merge_sort_block_merge_config_selectorIiNS0_10empty_typeEEEZZNS1_27merge_sort_block_merge_implIS3_N6thrust23THRUST_200600_302600_NS6detail15normal_iteratorINS9_10device_ptrIiEEEEPS5_m11less_div_10IiEEE10hipError_tT0_T1_T2_jT3_P12ihipStream_tbPNSt15iterator_traitsISJ_E10value_typeEPNSP_ISK_E10value_typeEPSL_NS1_7vsmem_tEENKUlT_SJ_SK_SL_E_clIPiSE_SF_SF_EESI_SY_SJ_SK_SL_EUlSY_E_NS1_11comp_targetILNS1_3genE3ELNS1_11target_archE908ELNS1_3gpuE7ELNS1_3repE0EEENS1_48merge_mergepath_partition_config_static_selectorELNS0_4arch9wavefront6targetE0EEEvSK_.num_agpr, 0
	.set _ZN7rocprim17ROCPRIM_400000_NS6detail17trampoline_kernelINS0_14default_configENS1_38merge_sort_block_merge_config_selectorIiNS0_10empty_typeEEEZZNS1_27merge_sort_block_merge_implIS3_N6thrust23THRUST_200600_302600_NS6detail15normal_iteratorINS9_10device_ptrIiEEEEPS5_m11less_div_10IiEEE10hipError_tT0_T1_T2_jT3_P12ihipStream_tbPNSt15iterator_traitsISJ_E10value_typeEPNSP_ISK_E10value_typeEPSL_NS1_7vsmem_tEENKUlT_SJ_SK_SL_E_clIPiSE_SF_SF_EESI_SY_SJ_SK_SL_EUlSY_E_NS1_11comp_targetILNS1_3genE3ELNS1_11target_archE908ELNS1_3gpuE7ELNS1_3repE0EEENS1_48merge_mergepath_partition_config_static_selectorELNS0_4arch9wavefront6targetE0EEEvSK_.numbered_sgpr, 0
	.set _ZN7rocprim17ROCPRIM_400000_NS6detail17trampoline_kernelINS0_14default_configENS1_38merge_sort_block_merge_config_selectorIiNS0_10empty_typeEEEZZNS1_27merge_sort_block_merge_implIS3_N6thrust23THRUST_200600_302600_NS6detail15normal_iteratorINS9_10device_ptrIiEEEEPS5_m11less_div_10IiEEE10hipError_tT0_T1_T2_jT3_P12ihipStream_tbPNSt15iterator_traitsISJ_E10value_typeEPNSP_ISK_E10value_typeEPSL_NS1_7vsmem_tEENKUlT_SJ_SK_SL_E_clIPiSE_SF_SF_EESI_SY_SJ_SK_SL_EUlSY_E_NS1_11comp_targetILNS1_3genE3ELNS1_11target_archE908ELNS1_3gpuE7ELNS1_3repE0EEENS1_48merge_mergepath_partition_config_static_selectorELNS0_4arch9wavefront6targetE0EEEvSK_.num_named_barrier, 0
	.set _ZN7rocprim17ROCPRIM_400000_NS6detail17trampoline_kernelINS0_14default_configENS1_38merge_sort_block_merge_config_selectorIiNS0_10empty_typeEEEZZNS1_27merge_sort_block_merge_implIS3_N6thrust23THRUST_200600_302600_NS6detail15normal_iteratorINS9_10device_ptrIiEEEEPS5_m11less_div_10IiEEE10hipError_tT0_T1_T2_jT3_P12ihipStream_tbPNSt15iterator_traitsISJ_E10value_typeEPNSP_ISK_E10value_typeEPSL_NS1_7vsmem_tEENKUlT_SJ_SK_SL_E_clIPiSE_SF_SF_EESI_SY_SJ_SK_SL_EUlSY_E_NS1_11comp_targetILNS1_3genE3ELNS1_11target_archE908ELNS1_3gpuE7ELNS1_3repE0EEENS1_48merge_mergepath_partition_config_static_selectorELNS0_4arch9wavefront6targetE0EEEvSK_.private_seg_size, 0
	.set _ZN7rocprim17ROCPRIM_400000_NS6detail17trampoline_kernelINS0_14default_configENS1_38merge_sort_block_merge_config_selectorIiNS0_10empty_typeEEEZZNS1_27merge_sort_block_merge_implIS3_N6thrust23THRUST_200600_302600_NS6detail15normal_iteratorINS9_10device_ptrIiEEEEPS5_m11less_div_10IiEEE10hipError_tT0_T1_T2_jT3_P12ihipStream_tbPNSt15iterator_traitsISJ_E10value_typeEPNSP_ISK_E10value_typeEPSL_NS1_7vsmem_tEENKUlT_SJ_SK_SL_E_clIPiSE_SF_SF_EESI_SY_SJ_SK_SL_EUlSY_E_NS1_11comp_targetILNS1_3genE3ELNS1_11target_archE908ELNS1_3gpuE7ELNS1_3repE0EEENS1_48merge_mergepath_partition_config_static_selectorELNS0_4arch9wavefront6targetE0EEEvSK_.uses_vcc, 0
	.set _ZN7rocprim17ROCPRIM_400000_NS6detail17trampoline_kernelINS0_14default_configENS1_38merge_sort_block_merge_config_selectorIiNS0_10empty_typeEEEZZNS1_27merge_sort_block_merge_implIS3_N6thrust23THRUST_200600_302600_NS6detail15normal_iteratorINS9_10device_ptrIiEEEEPS5_m11less_div_10IiEEE10hipError_tT0_T1_T2_jT3_P12ihipStream_tbPNSt15iterator_traitsISJ_E10value_typeEPNSP_ISK_E10value_typeEPSL_NS1_7vsmem_tEENKUlT_SJ_SK_SL_E_clIPiSE_SF_SF_EESI_SY_SJ_SK_SL_EUlSY_E_NS1_11comp_targetILNS1_3genE3ELNS1_11target_archE908ELNS1_3gpuE7ELNS1_3repE0EEENS1_48merge_mergepath_partition_config_static_selectorELNS0_4arch9wavefront6targetE0EEEvSK_.uses_flat_scratch, 0
	.set _ZN7rocprim17ROCPRIM_400000_NS6detail17trampoline_kernelINS0_14default_configENS1_38merge_sort_block_merge_config_selectorIiNS0_10empty_typeEEEZZNS1_27merge_sort_block_merge_implIS3_N6thrust23THRUST_200600_302600_NS6detail15normal_iteratorINS9_10device_ptrIiEEEEPS5_m11less_div_10IiEEE10hipError_tT0_T1_T2_jT3_P12ihipStream_tbPNSt15iterator_traitsISJ_E10value_typeEPNSP_ISK_E10value_typeEPSL_NS1_7vsmem_tEENKUlT_SJ_SK_SL_E_clIPiSE_SF_SF_EESI_SY_SJ_SK_SL_EUlSY_E_NS1_11comp_targetILNS1_3genE3ELNS1_11target_archE908ELNS1_3gpuE7ELNS1_3repE0EEENS1_48merge_mergepath_partition_config_static_selectorELNS0_4arch9wavefront6targetE0EEEvSK_.has_dyn_sized_stack, 0
	.set _ZN7rocprim17ROCPRIM_400000_NS6detail17trampoline_kernelINS0_14default_configENS1_38merge_sort_block_merge_config_selectorIiNS0_10empty_typeEEEZZNS1_27merge_sort_block_merge_implIS3_N6thrust23THRUST_200600_302600_NS6detail15normal_iteratorINS9_10device_ptrIiEEEEPS5_m11less_div_10IiEEE10hipError_tT0_T1_T2_jT3_P12ihipStream_tbPNSt15iterator_traitsISJ_E10value_typeEPNSP_ISK_E10value_typeEPSL_NS1_7vsmem_tEENKUlT_SJ_SK_SL_E_clIPiSE_SF_SF_EESI_SY_SJ_SK_SL_EUlSY_E_NS1_11comp_targetILNS1_3genE3ELNS1_11target_archE908ELNS1_3gpuE7ELNS1_3repE0EEENS1_48merge_mergepath_partition_config_static_selectorELNS0_4arch9wavefront6targetE0EEEvSK_.has_recursion, 0
	.set _ZN7rocprim17ROCPRIM_400000_NS6detail17trampoline_kernelINS0_14default_configENS1_38merge_sort_block_merge_config_selectorIiNS0_10empty_typeEEEZZNS1_27merge_sort_block_merge_implIS3_N6thrust23THRUST_200600_302600_NS6detail15normal_iteratorINS9_10device_ptrIiEEEEPS5_m11less_div_10IiEEE10hipError_tT0_T1_T2_jT3_P12ihipStream_tbPNSt15iterator_traitsISJ_E10value_typeEPNSP_ISK_E10value_typeEPSL_NS1_7vsmem_tEENKUlT_SJ_SK_SL_E_clIPiSE_SF_SF_EESI_SY_SJ_SK_SL_EUlSY_E_NS1_11comp_targetILNS1_3genE3ELNS1_11target_archE908ELNS1_3gpuE7ELNS1_3repE0EEENS1_48merge_mergepath_partition_config_static_selectorELNS0_4arch9wavefront6targetE0EEEvSK_.has_indirect_call, 0
	.section	.AMDGPU.csdata,"",@progbits
; Kernel info:
; codeLenInByte = 0
; TotalNumSgprs: 0
; NumVgprs: 0
; ScratchSize: 0
; MemoryBound: 0
; FloatMode: 240
; IeeeMode: 1
; LDSByteSize: 0 bytes/workgroup (compile time only)
; SGPRBlocks: 0
; VGPRBlocks: 0
; NumSGPRsForWavesPerEU: 1
; NumVGPRsForWavesPerEU: 1
; Occupancy: 16
; WaveLimiterHint : 0
; COMPUTE_PGM_RSRC2:SCRATCH_EN: 0
; COMPUTE_PGM_RSRC2:USER_SGPR: 6
; COMPUTE_PGM_RSRC2:TRAP_HANDLER: 0
; COMPUTE_PGM_RSRC2:TGID_X_EN: 1
; COMPUTE_PGM_RSRC2:TGID_Y_EN: 0
; COMPUTE_PGM_RSRC2:TGID_Z_EN: 0
; COMPUTE_PGM_RSRC2:TIDIG_COMP_CNT: 0
	.section	.text._ZN7rocprim17ROCPRIM_400000_NS6detail17trampoline_kernelINS0_14default_configENS1_38merge_sort_block_merge_config_selectorIiNS0_10empty_typeEEEZZNS1_27merge_sort_block_merge_implIS3_N6thrust23THRUST_200600_302600_NS6detail15normal_iteratorINS9_10device_ptrIiEEEEPS5_m11less_div_10IiEEE10hipError_tT0_T1_T2_jT3_P12ihipStream_tbPNSt15iterator_traitsISJ_E10value_typeEPNSP_ISK_E10value_typeEPSL_NS1_7vsmem_tEENKUlT_SJ_SK_SL_E_clIPiSE_SF_SF_EESI_SY_SJ_SK_SL_EUlSY_E_NS1_11comp_targetILNS1_3genE2ELNS1_11target_archE906ELNS1_3gpuE6ELNS1_3repE0EEENS1_48merge_mergepath_partition_config_static_selectorELNS0_4arch9wavefront6targetE0EEEvSK_,"axG",@progbits,_ZN7rocprim17ROCPRIM_400000_NS6detail17trampoline_kernelINS0_14default_configENS1_38merge_sort_block_merge_config_selectorIiNS0_10empty_typeEEEZZNS1_27merge_sort_block_merge_implIS3_N6thrust23THRUST_200600_302600_NS6detail15normal_iteratorINS9_10device_ptrIiEEEEPS5_m11less_div_10IiEEE10hipError_tT0_T1_T2_jT3_P12ihipStream_tbPNSt15iterator_traitsISJ_E10value_typeEPNSP_ISK_E10value_typeEPSL_NS1_7vsmem_tEENKUlT_SJ_SK_SL_E_clIPiSE_SF_SF_EESI_SY_SJ_SK_SL_EUlSY_E_NS1_11comp_targetILNS1_3genE2ELNS1_11target_archE906ELNS1_3gpuE6ELNS1_3repE0EEENS1_48merge_mergepath_partition_config_static_selectorELNS0_4arch9wavefront6targetE0EEEvSK_,comdat
	.protected	_ZN7rocprim17ROCPRIM_400000_NS6detail17trampoline_kernelINS0_14default_configENS1_38merge_sort_block_merge_config_selectorIiNS0_10empty_typeEEEZZNS1_27merge_sort_block_merge_implIS3_N6thrust23THRUST_200600_302600_NS6detail15normal_iteratorINS9_10device_ptrIiEEEEPS5_m11less_div_10IiEEE10hipError_tT0_T1_T2_jT3_P12ihipStream_tbPNSt15iterator_traitsISJ_E10value_typeEPNSP_ISK_E10value_typeEPSL_NS1_7vsmem_tEENKUlT_SJ_SK_SL_E_clIPiSE_SF_SF_EESI_SY_SJ_SK_SL_EUlSY_E_NS1_11comp_targetILNS1_3genE2ELNS1_11target_archE906ELNS1_3gpuE6ELNS1_3repE0EEENS1_48merge_mergepath_partition_config_static_selectorELNS0_4arch9wavefront6targetE0EEEvSK_ ; -- Begin function _ZN7rocprim17ROCPRIM_400000_NS6detail17trampoline_kernelINS0_14default_configENS1_38merge_sort_block_merge_config_selectorIiNS0_10empty_typeEEEZZNS1_27merge_sort_block_merge_implIS3_N6thrust23THRUST_200600_302600_NS6detail15normal_iteratorINS9_10device_ptrIiEEEEPS5_m11less_div_10IiEEE10hipError_tT0_T1_T2_jT3_P12ihipStream_tbPNSt15iterator_traitsISJ_E10value_typeEPNSP_ISK_E10value_typeEPSL_NS1_7vsmem_tEENKUlT_SJ_SK_SL_E_clIPiSE_SF_SF_EESI_SY_SJ_SK_SL_EUlSY_E_NS1_11comp_targetILNS1_3genE2ELNS1_11target_archE906ELNS1_3gpuE6ELNS1_3repE0EEENS1_48merge_mergepath_partition_config_static_selectorELNS0_4arch9wavefront6targetE0EEEvSK_
	.globl	_ZN7rocprim17ROCPRIM_400000_NS6detail17trampoline_kernelINS0_14default_configENS1_38merge_sort_block_merge_config_selectorIiNS0_10empty_typeEEEZZNS1_27merge_sort_block_merge_implIS3_N6thrust23THRUST_200600_302600_NS6detail15normal_iteratorINS9_10device_ptrIiEEEEPS5_m11less_div_10IiEEE10hipError_tT0_T1_T2_jT3_P12ihipStream_tbPNSt15iterator_traitsISJ_E10value_typeEPNSP_ISK_E10value_typeEPSL_NS1_7vsmem_tEENKUlT_SJ_SK_SL_E_clIPiSE_SF_SF_EESI_SY_SJ_SK_SL_EUlSY_E_NS1_11comp_targetILNS1_3genE2ELNS1_11target_archE906ELNS1_3gpuE6ELNS1_3repE0EEENS1_48merge_mergepath_partition_config_static_selectorELNS0_4arch9wavefront6targetE0EEEvSK_
	.p2align	8
	.type	_ZN7rocprim17ROCPRIM_400000_NS6detail17trampoline_kernelINS0_14default_configENS1_38merge_sort_block_merge_config_selectorIiNS0_10empty_typeEEEZZNS1_27merge_sort_block_merge_implIS3_N6thrust23THRUST_200600_302600_NS6detail15normal_iteratorINS9_10device_ptrIiEEEEPS5_m11less_div_10IiEEE10hipError_tT0_T1_T2_jT3_P12ihipStream_tbPNSt15iterator_traitsISJ_E10value_typeEPNSP_ISK_E10value_typeEPSL_NS1_7vsmem_tEENKUlT_SJ_SK_SL_E_clIPiSE_SF_SF_EESI_SY_SJ_SK_SL_EUlSY_E_NS1_11comp_targetILNS1_3genE2ELNS1_11target_archE906ELNS1_3gpuE6ELNS1_3repE0EEENS1_48merge_mergepath_partition_config_static_selectorELNS0_4arch9wavefront6targetE0EEEvSK_,@function
_ZN7rocprim17ROCPRIM_400000_NS6detail17trampoline_kernelINS0_14default_configENS1_38merge_sort_block_merge_config_selectorIiNS0_10empty_typeEEEZZNS1_27merge_sort_block_merge_implIS3_N6thrust23THRUST_200600_302600_NS6detail15normal_iteratorINS9_10device_ptrIiEEEEPS5_m11less_div_10IiEEE10hipError_tT0_T1_T2_jT3_P12ihipStream_tbPNSt15iterator_traitsISJ_E10value_typeEPNSP_ISK_E10value_typeEPSL_NS1_7vsmem_tEENKUlT_SJ_SK_SL_E_clIPiSE_SF_SF_EESI_SY_SJ_SK_SL_EUlSY_E_NS1_11comp_targetILNS1_3genE2ELNS1_11target_archE906ELNS1_3gpuE6ELNS1_3repE0EEENS1_48merge_mergepath_partition_config_static_selectorELNS0_4arch9wavefront6targetE0EEEvSK_: ; @_ZN7rocprim17ROCPRIM_400000_NS6detail17trampoline_kernelINS0_14default_configENS1_38merge_sort_block_merge_config_selectorIiNS0_10empty_typeEEEZZNS1_27merge_sort_block_merge_implIS3_N6thrust23THRUST_200600_302600_NS6detail15normal_iteratorINS9_10device_ptrIiEEEEPS5_m11less_div_10IiEEE10hipError_tT0_T1_T2_jT3_P12ihipStream_tbPNSt15iterator_traitsISJ_E10value_typeEPNSP_ISK_E10value_typeEPSL_NS1_7vsmem_tEENKUlT_SJ_SK_SL_E_clIPiSE_SF_SF_EESI_SY_SJ_SK_SL_EUlSY_E_NS1_11comp_targetILNS1_3genE2ELNS1_11target_archE906ELNS1_3gpuE6ELNS1_3repE0EEENS1_48merge_mergepath_partition_config_static_selectorELNS0_4arch9wavefront6targetE0EEEvSK_
; %bb.0:
	.section	.rodata,"a",@progbits
	.p2align	6, 0x0
	.amdhsa_kernel _ZN7rocprim17ROCPRIM_400000_NS6detail17trampoline_kernelINS0_14default_configENS1_38merge_sort_block_merge_config_selectorIiNS0_10empty_typeEEEZZNS1_27merge_sort_block_merge_implIS3_N6thrust23THRUST_200600_302600_NS6detail15normal_iteratorINS9_10device_ptrIiEEEEPS5_m11less_div_10IiEEE10hipError_tT0_T1_T2_jT3_P12ihipStream_tbPNSt15iterator_traitsISJ_E10value_typeEPNSP_ISK_E10value_typeEPSL_NS1_7vsmem_tEENKUlT_SJ_SK_SL_E_clIPiSE_SF_SF_EESI_SY_SJ_SK_SL_EUlSY_E_NS1_11comp_targetILNS1_3genE2ELNS1_11target_archE906ELNS1_3gpuE6ELNS1_3repE0EEENS1_48merge_mergepath_partition_config_static_selectorELNS0_4arch9wavefront6targetE0EEEvSK_
		.amdhsa_group_segment_fixed_size 0
		.amdhsa_private_segment_fixed_size 0
		.amdhsa_kernarg_size 48
		.amdhsa_user_sgpr_count 6
		.amdhsa_user_sgpr_private_segment_buffer 1
		.amdhsa_user_sgpr_dispatch_ptr 0
		.amdhsa_user_sgpr_queue_ptr 0
		.amdhsa_user_sgpr_kernarg_segment_ptr 1
		.amdhsa_user_sgpr_dispatch_id 0
		.amdhsa_user_sgpr_flat_scratch_init 0
		.amdhsa_user_sgpr_private_segment_size 0
		.amdhsa_wavefront_size32 1
		.amdhsa_uses_dynamic_stack 0
		.amdhsa_system_sgpr_private_segment_wavefront_offset 0
		.amdhsa_system_sgpr_workgroup_id_x 1
		.amdhsa_system_sgpr_workgroup_id_y 0
		.amdhsa_system_sgpr_workgroup_id_z 0
		.amdhsa_system_sgpr_workgroup_info 0
		.amdhsa_system_vgpr_workitem_id 0
		.amdhsa_next_free_vgpr 1
		.amdhsa_next_free_sgpr 1
		.amdhsa_reserve_vcc 0
		.amdhsa_reserve_flat_scratch 0
		.amdhsa_float_round_mode_32 0
		.amdhsa_float_round_mode_16_64 0
		.amdhsa_float_denorm_mode_32 3
		.amdhsa_float_denorm_mode_16_64 3
		.amdhsa_dx10_clamp 1
		.amdhsa_ieee_mode 1
		.amdhsa_fp16_overflow 0
		.amdhsa_workgroup_processor_mode 1
		.amdhsa_memory_ordered 1
		.amdhsa_forward_progress 1
		.amdhsa_shared_vgpr_count 0
		.amdhsa_exception_fp_ieee_invalid_op 0
		.amdhsa_exception_fp_denorm_src 0
		.amdhsa_exception_fp_ieee_div_zero 0
		.amdhsa_exception_fp_ieee_overflow 0
		.amdhsa_exception_fp_ieee_underflow 0
		.amdhsa_exception_fp_ieee_inexact 0
		.amdhsa_exception_int_div_zero 0
	.end_amdhsa_kernel
	.section	.text._ZN7rocprim17ROCPRIM_400000_NS6detail17trampoline_kernelINS0_14default_configENS1_38merge_sort_block_merge_config_selectorIiNS0_10empty_typeEEEZZNS1_27merge_sort_block_merge_implIS3_N6thrust23THRUST_200600_302600_NS6detail15normal_iteratorINS9_10device_ptrIiEEEEPS5_m11less_div_10IiEEE10hipError_tT0_T1_T2_jT3_P12ihipStream_tbPNSt15iterator_traitsISJ_E10value_typeEPNSP_ISK_E10value_typeEPSL_NS1_7vsmem_tEENKUlT_SJ_SK_SL_E_clIPiSE_SF_SF_EESI_SY_SJ_SK_SL_EUlSY_E_NS1_11comp_targetILNS1_3genE2ELNS1_11target_archE906ELNS1_3gpuE6ELNS1_3repE0EEENS1_48merge_mergepath_partition_config_static_selectorELNS0_4arch9wavefront6targetE0EEEvSK_,"axG",@progbits,_ZN7rocprim17ROCPRIM_400000_NS6detail17trampoline_kernelINS0_14default_configENS1_38merge_sort_block_merge_config_selectorIiNS0_10empty_typeEEEZZNS1_27merge_sort_block_merge_implIS3_N6thrust23THRUST_200600_302600_NS6detail15normal_iteratorINS9_10device_ptrIiEEEEPS5_m11less_div_10IiEEE10hipError_tT0_T1_T2_jT3_P12ihipStream_tbPNSt15iterator_traitsISJ_E10value_typeEPNSP_ISK_E10value_typeEPSL_NS1_7vsmem_tEENKUlT_SJ_SK_SL_E_clIPiSE_SF_SF_EESI_SY_SJ_SK_SL_EUlSY_E_NS1_11comp_targetILNS1_3genE2ELNS1_11target_archE906ELNS1_3gpuE6ELNS1_3repE0EEENS1_48merge_mergepath_partition_config_static_selectorELNS0_4arch9wavefront6targetE0EEEvSK_,comdat
.Lfunc_end434:
	.size	_ZN7rocprim17ROCPRIM_400000_NS6detail17trampoline_kernelINS0_14default_configENS1_38merge_sort_block_merge_config_selectorIiNS0_10empty_typeEEEZZNS1_27merge_sort_block_merge_implIS3_N6thrust23THRUST_200600_302600_NS6detail15normal_iteratorINS9_10device_ptrIiEEEEPS5_m11less_div_10IiEEE10hipError_tT0_T1_T2_jT3_P12ihipStream_tbPNSt15iterator_traitsISJ_E10value_typeEPNSP_ISK_E10value_typeEPSL_NS1_7vsmem_tEENKUlT_SJ_SK_SL_E_clIPiSE_SF_SF_EESI_SY_SJ_SK_SL_EUlSY_E_NS1_11comp_targetILNS1_3genE2ELNS1_11target_archE906ELNS1_3gpuE6ELNS1_3repE0EEENS1_48merge_mergepath_partition_config_static_selectorELNS0_4arch9wavefront6targetE0EEEvSK_, .Lfunc_end434-_ZN7rocprim17ROCPRIM_400000_NS6detail17trampoline_kernelINS0_14default_configENS1_38merge_sort_block_merge_config_selectorIiNS0_10empty_typeEEEZZNS1_27merge_sort_block_merge_implIS3_N6thrust23THRUST_200600_302600_NS6detail15normal_iteratorINS9_10device_ptrIiEEEEPS5_m11less_div_10IiEEE10hipError_tT0_T1_T2_jT3_P12ihipStream_tbPNSt15iterator_traitsISJ_E10value_typeEPNSP_ISK_E10value_typeEPSL_NS1_7vsmem_tEENKUlT_SJ_SK_SL_E_clIPiSE_SF_SF_EESI_SY_SJ_SK_SL_EUlSY_E_NS1_11comp_targetILNS1_3genE2ELNS1_11target_archE906ELNS1_3gpuE6ELNS1_3repE0EEENS1_48merge_mergepath_partition_config_static_selectorELNS0_4arch9wavefront6targetE0EEEvSK_
                                        ; -- End function
	.set _ZN7rocprim17ROCPRIM_400000_NS6detail17trampoline_kernelINS0_14default_configENS1_38merge_sort_block_merge_config_selectorIiNS0_10empty_typeEEEZZNS1_27merge_sort_block_merge_implIS3_N6thrust23THRUST_200600_302600_NS6detail15normal_iteratorINS9_10device_ptrIiEEEEPS5_m11less_div_10IiEEE10hipError_tT0_T1_T2_jT3_P12ihipStream_tbPNSt15iterator_traitsISJ_E10value_typeEPNSP_ISK_E10value_typeEPSL_NS1_7vsmem_tEENKUlT_SJ_SK_SL_E_clIPiSE_SF_SF_EESI_SY_SJ_SK_SL_EUlSY_E_NS1_11comp_targetILNS1_3genE2ELNS1_11target_archE906ELNS1_3gpuE6ELNS1_3repE0EEENS1_48merge_mergepath_partition_config_static_selectorELNS0_4arch9wavefront6targetE0EEEvSK_.num_vgpr, 0
	.set _ZN7rocprim17ROCPRIM_400000_NS6detail17trampoline_kernelINS0_14default_configENS1_38merge_sort_block_merge_config_selectorIiNS0_10empty_typeEEEZZNS1_27merge_sort_block_merge_implIS3_N6thrust23THRUST_200600_302600_NS6detail15normal_iteratorINS9_10device_ptrIiEEEEPS5_m11less_div_10IiEEE10hipError_tT0_T1_T2_jT3_P12ihipStream_tbPNSt15iterator_traitsISJ_E10value_typeEPNSP_ISK_E10value_typeEPSL_NS1_7vsmem_tEENKUlT_SJ_SK_SL_E_clIPiSE_SF_SF_EESI_SY_SJ_SK_SL_EUlSY_E_NS1_11comp_targetILNS1_3genE2ELNS1_11target_archE906ELNS1_3gpuE6ELNS1_3repE0EEENS1_48merge_mergepath_partition_config_static_selectorELNS0_4arch9wavefront6targetE0EEEvSK_.num_agpr, 0
	.set _ZN7rocprim17ROCPRIM_400000_NS6detail17trampoline_kernelINS0_14default_configENS1_38merge_sort_block_merge_config_selectorIiNS0_10empty_typeEEEZZNS1_27merge_sort_block_merge_implIS3_N6thrust23THRUST_200600_302600_NS6detail15normal_iteratorINS9_10device_ptrIiEEEEPS5_m11less_div_10IiEEE10hipError_tT0_T1_T2_jT3_P12ihipStream_tbPNSt15iterator_traitsISJ_E10value_typeEPNSP_ISK_E10value_typeEPSL_NS1_7vsmem_tEENKUlT_SJ_SK_SL_E_clIPiSE_SF_SF_EESI_SY_SJ_SK_SL_EUlSY_E_NS1_11comp_targetILNS1_3genE2ELNS1_11target_archE906ELNS1_3gpuE6ELNS1_3repE0EEENS1_48merge_mergepath_partition_config_static_selectorELNS0_4arch9wavefront6targetE0EEEvSK_.numbered_sgpr, 0
	.set _ZN7rocprim17ROCPRIM_400000_NS6detail17trampoline_kernelINS0_14default_configENS1_38merge_sort_block_merge_config_selectorIiNS0_10empty_typeEEEZZNS1_27merge_sort_block_merge_implIS3_N6thrust23THRUST_200600_302600_NS6detail15normal_iteratorINS9_10device_ptrIiEEEEPS5_m11less_div_10IiEEE10hipError_tT0_T1_T2_jT3_P12ihipStream_tbPNSt15iterator_traitsISJ_E10value_typeEPNSP_ISK_E10value_typeEPSL_NS1_7vsmem_tEENKUlT_SJ_SK_SL_E_clIPiSE_SF_SF_EESI_SY_SJ_SK_SL_EUlSY_E_NS1_11comp_targetILNS1_3genE2ELNS1_11target_archE906ELNS1_3gpuE6ELNS1_3repE0EEENS1_48merge_mergepath_partition_config_static_selectorELNS0_4arch9wavefront6targetE0EEEvSK_.num_named_barrier, 0
	.set _ZN7rocprim17ROCPRIM_400000_NS6detail17trampoline_kernelINS0_14default_configENS1_38merge_sort_block_merge_config_selectorIiNS0_10empty_typeEEEZZNS1_27merge_sort_block_merge_implIS3_N6thrust23THRUST_200600_302600_NS6detail15normal_iteratorINS9_10device_ptrIiEEEEPS5_m11less_div_10IiEEE10hipError_tT0_T1_T2_jT3_P12ihipStream_tbPNSt15iterator_traitsISJ_E10value_typeEPNSP_ISK_E10value_typeEPSL_NS1_7vsmem_tEENKUlT_SJ_SK_SL_E_clIPiSE_SF_SF_EESI_SY_SJ_SK_SL_EUlSY_E_NS1_11comp_targetILNS1_3genE2ELNS1_11target_archE906ELNS1_3gpuE6ELNS1_3repE0EEENS1_48merge_mergepath_partition_config_static_selectorELNS0_4arch9wavefront6targetE0EEEvSK_.private_seg_size, 0
	.set _ZN7rocprim17ROCPRIM_400000_NS6detail17trampoline_kernelINS0_14default_configENS1_38merge_sort_block_merge_config_selectorIiNS0_10empty_typeEEEZZNS1_27merge_sort_block_merge_implIS3_N6thrust23THRUST_200600_302600_NS6detail15normal_iteratorINS9_10device_ptrIiEEEEPS5_m11less_div_10IiEEE10hipError_tT0_T1_T2_jT3_P12ihipStream_tbPNSt15iterator_traitsISJ_E10value_typeEPNSP_ISK_E10value_typeEPSL_NS1_7vsmem_tEENKUlT_SJ_SK_SL_E_clIPiSE_SF_SF_EESI_SY_SJ_SK_SL_EUlSY_E_NS1_11comp_targetILNS1_3genE2ELNS1_11target_archE906ELNS1_3gpuE6ELNS1_3repE0EEENS1_48merge_mergepath_partition_config_static_selectorELNS0_4arch9wavefront6targetE0EEEvSK_.uses_vcc, 0
	.set _ZN7rocprim17ROCPRIM_400000_NS6detail17trampoline_kernelINS0_14default_configENS1_38merge_sort_block_merge_config_selectorIiNS0_10empty_typeEEEZZNS1_27merge_sort_block_merge_implIS3_N6thrust23THRUST_200600_302600_NS6detail15normal_iteratorINS9_10device_ptrIiEEEEPS5_m11less_div_10IiEEE10hipError_tT0_T1_T2_jT3_P12ihipStream_tbPNSt15iterator_traitsISJ_E10value_typeEPNSP_ISK_E10value_typeEPSL_NS1_7vsmem_tEENKUlT_SJ_SK_SL_E_clIPiSE_SF_SF_EESI_SY_SJ_SK_SL_EUlSY_E_NS1_11comp_targetILNS1_3genE2ELNS1_11target_archE906ELNS1_3gpuE6ELNS1_3repE0EEENS1_48merge_mergepath_partition_config_static_selectorELNS0_4arch9wavefront6targetE0EEEvSK_.uses_flat_scratch, 0
	.set _ZN7rocprim17ROCPRIM_400000_NS6detail17trampoline_kernelINS0_14default_configENS1_38merge_sort_block_merge_config_selectorIiNS0_10empty_typeEEEZZNS1_27merge_sort_block_merge_implIS3_N6thrust23THRUST_200600_302600_NS6detail15normal_iteratorINS9_10device_ptrIiEEEEPS5_m11less_div_10IiEEE10hipError_tT0_T1_T2_jT3_P12ihipStream_tbPNSt15iterator_traitsISJ_E10value_typeEPNSP_ISK_E10value_typeEPSL_NS1_7vsmem_tEENKUlT_SJ_SK_SL_E_clIPiSE_SF_SF_EESI_SY_SJ_SK_SL_EUlSY_E_NS1_11comp_targetILNS1_3genE2ELNS1_11target_archE906ELNS1_3gpuE6ELNS1_3repE0EEENS1_48merge_mergepath_partition_config_static_selectorELNS0_4arch9wavefront6targetE0EEEvSK_.has_dyn_sized_stack, 0
	.set _ZN7rocprim17ROCPRIM_400000_NS6detail17trampoline_kernelINS0_14default_configENS1_38merge_sort_block_merge_config_selectorIiNS0_10empty_typeEEEZZNS1_27merge_sort_block_merge_implIS3_N6thrust23THRUST_200600_302600_NS6detail15normal_iteratorINS9_10device_ptrIiEEEEPS5_m11less_div_10IiEEE10hipError_tT0_T1_T2_jT3_P12ihipStream_tbPNSt15iterator_traitsISJ_E10value_typeEPNSP_ISK_E10value_typeEPSL_NS1_7vsmem_tEENKUlT_SJ_SK_SL_E_clIPiSE_SF_SF_EESI_SY_SJ_SK_SL_EUlSY_E_NS1_11comp_targetILNS1_3genE2ELNS1_11target_archE906ELNS1_3gpuE6ELNS1_3repE0EEENS1_48merge_mergepath_partition_config_static_selectorELNS0_4arch9wavefront6targetE0EEEvSK_.has_recursion, 0
	.set _ZN7rocprim17ROCPRIM_400000_NS6detail17trampoline_kernelINS0_14default_configENS1_38merge_sort_block_merge_config_selectorIiNS0_10empty_typeEEEZZNS1_27merge_sort_block_merge_implIS3_N6thrust23THRUST_200600_302600_NS6detail15normal_iteratorINS9_10device_ptrIiEEEEPS5_m11less_div_10IiEEE10hipError_tT0_T1_T2_jT3_P12ihipStream_tbPNSt15iterator_traitsISJ_E10value_typeEPNSP_ISK_E10value_typeEPSL_NS1_7vsmem_tEENKUlT_SJ_SK_SL_E_clIPiSE_SF_SF_EESI_SY_SJ_SK_SL_EUlSY_E_NS1_11comp_targetILNS1_3genE2ELNS1_11target_archE906ELNS1_3gpuE6ELNS1_3repE0EEENS1_48merge_mergepath_partition_config_static_selectorELNS0_4arch9wavefront6targetE0EEEvSK_.has_indirect_call, 0
	.section	.AMDGPU.csdata,"",@progbits
; Kernel info:
; codeLenInByte = 0
; TotalNumSgprs: 0
; NumVgprs: 0
; ScratchSize: 0
; MemoryBound: 0
; FloatMode: 240
; IeeeMode: 1
; LDSByteSize: 0 bytes/workgroup (compile time only)
; SGPRBlocks: 0
; VGPRBlocks: 0
; NumSGPRsForWavesPerEU: 1
; NumVGPRsForWavesPerEU: 1
; Occupancy: 16
; WaveLimiterHint : 0
; COMPUTE_PGM_RSRC2:SCRATCH_EN: 0
; COMPUTE_PGM_RSRC2:USER_SGPR: 6
; COMPUTE_PGM_RSRC2:TRAP_HANDLER: 0
; COMPUTE_PGM_RSRC2:TGID_X_EN: 1
; COMPUTE_PGM_RSRC2:TGID_Y_EN: 0
; COMPUTE_PGM_RSRC2:TGID_Z_EN: 0
; COMPUTE_PGM_RSRC2:TIDIG_COMP_CNT: 0
	.section	.text._ZN7rocprim17ROCPRIM_400000_NS6detail17trampoline_kernelINS0_14default_configENS1_38merge_sort_block_merge_config_selectorIiNS0_10empty_typeEEEZZNS1_27merge_sort_block_merge_implIS3_N6thrust23THRUST_200600_302600_NS6detail15normal_iteratorINS9_10device_ptrIiEEEEPS5_m11less_div_10IiEEE10hipError_tT0_T1_T2_jT3_P12ihipStream_tbPNSt15iterator_traitsISJ_E10value_typeEPNSP_ISK_E10value_typeEPSL_NS1_7vsmem_tEENKUlT_SJ_SK_SL_E_clIPiSE_SF_SF_EESI_SY_SJ_SK_SL_EUlSY_E_NS1_11comp_targetILNS1_3genE9ELNS1_11target_archE1100ELNS1_3gpuE3ELNS1_3repE0EEENS1_48merge_mergepath_partition_config_static_selectorELNS0_4arch9wavefront6targetE0EEEvSK_,"axG",@progbits,_ZN7rocprim17ROCPRIM_400000_NS6detail17trampoline_kernelINS0_14default_configENS1_38merge_sort_block_merge_config_selectorIiNS0_10empty_typeEEEZZNS1_27merge_sort_block_merge_implIS3_N6thrust23THRUST_200600_302600_NS6detail15normal_iteratorINS9_10device_ptrIiEEEEPS5_m11less_div_10IiEEE10hipError_tT0_T1_T2_jT3_P12ihipStream_tbPNSt15iterator_traitsISJ_E10value_typeEPNSP_ISK_E10value_typeEPSL_NS1_7vsmem_tEENKUlT_SJ_SK_SL_E_clIPiSE_SF_SF_EESI_SY_SJ_SK_SL_EUlSY_E_NS1_11comp_targetILNS1_3genE9ELNS1_11target_archE1100ELNS1_3gpuE3ELNS1_3repE0EEENS1_48merge_mergepath_partition_config_static_selectorELNS0_4arch9wavefront6targetE0EEEvSK_,comdat
	.protected	_ZN7rocprim17ROCPRIM_400000_NS6detail17trampoline_kernelINS0_14default_configENS1_38merge_sort_block_merge_config_selectorIiNS0_10empty_typeEEEZZNS1_27merge_sort_block_merge_implIS3_N6thrust23THRUST_200600_302600_NS6detail15normal_iteratorINS9_10device_ptrIiEEEEPS5_m11less_div_10IiEEE10hipError_tT0_T1_T2_jT3_P12ihipStream_tbPNSt15iterator_traitsISJ_E10value_typeEPNSP_ISK_E10value_typeEPSL_NS1_7vsmem_tEENKUlT_SJ_SK_SL_E_clIPiSE_SF_SF_EESI_SY_SJ_SK_SL_EUlSY_E_NS1_11comp_targetILNS1_3genE9ELNS1_11target_archE1100ELNS1_3gpuE3ELNS1_3repE0EEENS1_48merge_mergepath_partition_config_static_selectorELNS0_4arch9wavefront6targetE0EEEvSK_ ; -- Begin function _ZN7rocprim17ROCPRIM_400000_NS6detail17trampoline_kernelINS0_14default_configENS1_38merge_sort_block_merge_config_selectorIiNS0_10empty_typeEEEZZNS1_27merge_sort_block_merge_implIS3_N6thrust23THRUST_200600_302600_NS6detail15normal_iteratorINS9_10device_ptrIiEEEEPS5_m11less_div_10IiEEE10hipError_tT0_T1_T2_jT3_P12ihipStream_tbPNSt15iterator_traitsISJ_E10value_typeEPNSP_ISK_E10value_typeEPSL_NS1_7vsmem_tEENKUlT_SJ_SK_SL_E_clIPiSE_SF_SF_EESI_SY_SJ_SK_SL_EUlSY_E_NS1_11comp_targetILNS1_3genE9ELNS1_11target_archE1100ELNS1_3gpuE3ELNS1_3repE0EEENS1_48merge_mergepath_partition_config_static_selectorELNS0_4arch9wavefront6targetE0EEEvSK_
	.globl	_ZN7rocprim17ROCPRIM_400000_NS6detail17trampoline_kernelINS0_14default_configENS1_38merge_sort_block_merge_config_selectorIiNS0_10empty_typeEEEZZNS1_27merge_sort_block_merge_implIS3_N6thrust23THRUST_200600_302600_NS6detail15normal_iteratorINS9_10device_ptrIiEEEEPS5_m11less_div_10IiEEE10hipError_tT0_T1_T2_jT3_P12ihipStream_tbPNSt15iterator_traitsISJ_E10value_typeEPNSP_ISK_E10value_typeEPSL_NS1_7vsmem_tEENKUlT_SJ_SK_SL_E_clIPiSE_SF_SF_EESI_SY_SJ_SK_SL_EUlSY_E_NS1_11comp_targetILNS1_3genE9ELNS1_11target_archE1100ELNS1_3gpuE3ELNS1_3repE0EEENS1_48merge_mergepath_partition_config_static_selectorELNS0_4arch9wavefront6targetE0EEEvSK_
	.p2align	8
	.type	_ZN7rocprim17ROCPRIM_400000_NS6detail17trampoline_kernelINS0_14default_configENS1_38merge_sort_block_merge_config_selectorIiNS0_10empty_typeEEEZZNS1_27merge_sort_block_merge_implIS3_N6thrust23THRUST_200600_302600_NS6detail15normal_iteratorINS9_10device_ptrIiEEEEPS5_m11less_div_10IiEEE10hipError_tT0_T1_T2_jT3_P12ihipStream_tbPNSt15iterator_traitsISJ_E10value_typeEPNSP_ISK_E10value_typeEPSL_NS1_7vsmem_tEENKUlT_SJ_SK_SL_E_clIPiSE_SF_SF_EESI_SY_SJ_SK_SL_EUlSY_E_NS1_11comp_targetILNS1_3genE9ELNS1_11target_archE1100ELNS1_3gpuE3ELNS1_3repE0EEENS1_48merge_mergepath_partition_config_static_selectorELNS0_4arch9wavefront6targetE0EEEvSK_,@function
_ZN7rocprim17ROCPRIM_400000_NS6detail17trampoline_kernelINS0_14default_configENS1_38merge_sort_block_merge_config_selectorIiNS0_10empty_typeEEEZZNS1_27merge_sort_block_merge_implIS3_N6thrust23THRUST_200600_302600_NS6detail15normal_iteratorINS9_10device_ptrIiEEEEPS5_m11less_div_10IiEEE10hipError_tT0_T1_T2_jT3_P12ihipStream_tbPNSt15iterator_traitsISJ_E10value_typeEPNSP_ISK_E10value_typeEPSL_NS1_7vsmem_tEENKUlT_SJ_SK_SL_E_clIPiSE_SF_SF_EESI_SY_SJ_SK_SL_EUlSY_E_NS1_11comp_targetILNS1_3genE9ELNS1_11target_archE1100ELNS1_3gpuE3ELNS1_3repE0EEENS1_48merge_mergepath_partition_config_static_selectorELNS0_4arch9wavefront6targetE0EEEvSK_: ; @_ZN7rocprim17ROCPRIM_400000_NS6detail17trampoline_kernelINS0_14default_configENS1_38merge_sort_block_merge_config_selectorIiNS0_10empty_typeEEEZZNS1_27merge_sort_block_merge_implIS3_N6thrust23THRUST_200600_302600_NS6detail15normal_iteratorINS9_10device_ptrIiEEEEPS5_m11less_div_10IiEEE10hipError_tT0_T1_T2_jT3_P12ihipStream_tbPNSt15iterator_traitsISJ_E10value_typeEPNSP_ISK_E10value_typeEPSL_NS1_7vsmem_tEENKUlT_SJ_SK_SL_E_clIPiSE_SF_SF_EESI_SY_SJ_SK_SL_EUlSY_E_NS1_11comp_targetILNS1_3genE9ELNS1_11target_archE1100ELNS1_3gpuE3ELNS1_3repE0EEENS1_48merge_mergepath_partition_config_static_selectorELNS0_4arch9wavefront6targetE0EEEvSK_
; %bb.0:
	.section	.rodata,"a",@progbits
	.p2align	6, 0x0
	.amdhsa_kernel _ZN7rocprim17ROCPRIM_400000_NS6detail17trampoline_kernelINS0_14default_configENS1_38merge_sort_block_merge_config_selectorIiNS0_10empty_typeEEEZZNS1_27merge_sort_block_merge_implIS3_N6thrust23THRUST_200600_302600_NS6detail15normal_iteratorINS9_10device_ptrIiEEEEPS5_m11less_div_10IiEEE10hipError_tT0_T1_T2_jT3_P12ihipStream_tbPNSt15iterator_traitsISJ_E10value_typeEPNSP_ISK_E10value_typeEPSL_NS1_7vsmem_tEENKUlT_SJ_SK_SL_E_clIPiSE_SF_SF_EESI_SY_SJ_SK_SL_EUlSY_E_NS1_11comp_targetILNS1_3genE9ELNS1_11target_archE1100ELNS1_3gpuE3ELNS1_3repE0EEENS1_48merge_mergepath_partition_config_static_selectorELNS0_4arch9wavefront6targetE0EEEvSK_
		.amdhsa_group_segment_fixed_size 0
		.amdhsa_private_segment_fixed_size 0
		.amdhsa_kernarg_size 48
		.amdhsa_user_sgpr_count 6
		.amdhsa_user_sgpr_private_segment_buffer 1
		.amdhsa_user_sgpr_dispatch_ptr 0
		.amdhsa_user_sgpr_queue_ptr 0
		.amdhsa_user_sgpr_kernarg_segment_ptr 1
		.amdhsa_user_sgpr_dispatch_id 0
		.amdhsa_user_sgpr_flat_scratch_init 0
		.amdhsa_user_sgpr_private_segment_size 0
		.amdhsa_wavefront_size32 1
		.amdhsa_uses_dynamic_stack 0
		.amdhsa_system_sgpr_private_segment_wavefront_offset 0
		.amdhsa_system_sgpr_workgroup_id_x 1
		.amdhsa_system_sgpr_workgroup_id_y 0
		.amdhsa_system_sgpr_workgroup_id_z 0
		.amdhsa_system_sgpr_workgroup_info 0
		.amdhsa_system_vgpr_workitem_id 0
		.amdhsa_next_free_vgpr 1
		.amdhsa_next_free_sgpr 1
		.amdhsa_reserve_vcc 0
		.amdhsa_reserve_flat_scratch 0
		.amdhsa_float_round_mode_32 0
		.amdhsa_float_round_mode_16_64 0
		.amdhsa_float_denorm_mode_32 3
		.amdhsa_float_denorm_mode_16_64 3
		.amdhsa_dx10_clamp 1
		.amdhsa_ieee_mode 1
		.amdhsa_fp16_overflow 0
		.amdhsa_workgroup_processor_mode 1
		.amdhsa_memory_ordered 1
		.amdhsa_forward_progress 1
		.amdhsa_shared_vgpr_count 0
		.amdhsa_exception_fp_ieee_invalid_op 0
		.amdhsa_exception_fp_denorm_src 0
		.amdhsa_exception_fp_ieee_div_zero 0
		.amdhsa_exception_fp_ieee_overflow 0
		.amdhsa_exception_fp_ieee_underflow 0
		.amdhsa_exception_fp_ieee_inexact 0
		.amdhsa_exception_int_div_zero 0
	.end_amdhsa_kernel
	.section	.text._ZN7rocprim17ROCPRIM_400000_NS6detail17trampoline_kernelINS0_14default_configENS1_38merge_sort_block_merge_config_selectorIiNS0_10empty_typeEEEZZNS1_27merge_sort_block_merge_implIS3_N6thrust23THRUST_200600_302600_NS6detail15normal_iteratorINS9_10device_ptrIiEEEEPS5_m11less_div_10IiEEE10hipError_tT0_T1_T2_jT3_P12ihipStream_tbPNSt15iterator_traitsISJ_E10value_typeEPNSP_ISK_E10value_typeEPSL_NS1_7vsmem_tEENKUlT_SJ_SK_SL_E_clIPiSE_SF_SF_EESI_SY_SJ_SK_SL_EUlSY_E_NS1_11comp_targetILNS1_3genE9ELNS1_11target_archE1100ELNS1_3gpuE3ELNS1_3repE0EEENS1_48merge_mergepath_partition_config_static_selectorELNS0_4arch9wavefront6targetE0EEEvSK_,"axG",@progbits,_ZN7rocprim17ROCPRIM_400000_NS6detail17trampoline_kernelINS0_14default_configENS1_38merge_sort_block_merge_config_selectorIiNS0_10empty_typeEEEZZNS1_27merge_sort_block_merge_implIS3_N6thrust23THRUST_200600_302600_NS6detail15normal_iteratorINS9_10device_ptrIiEEEEPS5_m11less_div_10IiEEE10hipError_tT0_T1_T2_jT3_P12ihipStream_tbPNSt15iterator_traitsISJ_E10value_typeEPNSP_ISK_E10value_typeEPSL_NS1_7vsmem_tEENKUlT_SJ_SK_SL_E_clIPiSE_SF_SF_EESI_SY_SJ_SK_SL_EUlSY_E_NS1_11comp_targetILNS1_3genE9ELNS1_11target_archE1100ELNS1_3gpuE3ELNS1_3repE0EEENS1_48merge_mergepath_partition_config_static_selectorELNS0_4arch9wavefront6targetE0EEEvSK_,comdat
.Lfunc_end435:
	.size	_ZN7rocprim17ROCPRIM_400000_NS6detail17trampoline_kernelINS0_14default_configENS1_38merge_sort_block_merge_config_selectorIiNS0_10empty_typeEEEZZNS1_27merge_sort_block_merge_implIS3_N6thrust23THRUST_200600_302600_NS6detail15normal_iteratorINS9_10device_ptrIiEEEEPS5_m11less_div_10IiEEE10hipError_tT0_T1_T2_jT3_P12ihipStream_tbPNSt15iterator_traitsISJ_E10value_typeEPNSP_ISK_E10value_typeEPSL_NS1_7vsmem_tEENKUlT_SJ_SK_SL_E_clIPiSE_SF_SF_EESI_SY_SJ_SK_SL_EUlSY_E_NS1_11comp_targetILNS1_3genE9ELNS1_11target_archE1100ELNS1_3gpuE3ELNS1_3repE0EEENS1_48merge_mergepath_partition_config_static_selectorELNS0_4arch9wavefront6targetE0EEEvSK_, .Lfunc_end435-_ZN7rocprim17ROCPRIM_400000_NS6detail17trampoline_kernelINS0_14default_configENS1_38merge_sort_block_merge_config_selectorIiNS0_10empty_typeEEEZZNS1_27merge_sort_block_merge_implIS3_N6thrust23THRUST_200600_302600_NS6detail15normal_iteratorINS9_10device_ptrIiEEEEPS5_m11less_div_10IiEEE10hipError_tT0_T1_T2_jT3_P12ihipStream_tbPNSt15iterator_traitsISJ_E10value_typeEPNSP_ISK_E10value_typeEPSL_NS1_7vsmem_tEENKUlT_SJ_SK_SL_E_clIPiSE_SF_SF_EESI_SY_SJ_SK_SL_EUlSY_E_NS1_11comp_targetILNS1_3genE9ELNS1_11target_archE1100ELNS1_3gpuE3ELNS1_3repE0EEENS1_48merge_mergepath_partition_config_static_selectorELNS0_4arch9wavefront6targetE0EEEvSK_
                                        ; -- End function
	.set _ZN7rocprim17ROCPRIM_400000_NS6detail17trampoline_kernelINS0_14default_configENS1_38merge_sort_block_merge_config_selectorIiNS0_10empty_typeEEEZZNS1_27merge_sort_block_merge_implIS3_N6thrust23THRUST_200600_302600_NS6detail15normal_iteratorINS9_10device_ptrIiEEEEPS5_m11less_div_10IiEEE10hipError_tT0_T1_T2_jT3_P12ihipStream_tbPNSt15iterator_traitsISJ_E10value_typeEPNSP_ISK_E10value_typeEPSL_NS1_7vsmem_tEENKUlT_SJ_SK_SL_E_clIPiSE_SF_SF_EESI_SY_SJ_SK_SL_EUlSY_E_NS1_11comp_targetILNS1_3genE9ELNS1_11target_archE1100ELNS1_3gpuE3ELNS1_3repE0EEENS1_48merge_mergepath_partition_config_static_selectorELNS0_4arch9wavefront6targetE0EEEvSK_.num_vgpr, 0
	.set _ZN7rocprim17ROCPRIM_400000_NS6detail17trampoline_kernelINS0_14default_configENS1_38merge_sort_block_merge_config_selectorIiNS0_10empty_typeEEEZZNS1_27merge_sort_block_merge_implIS3_N6thrust23THRUST_200600_302600_NS6detail15normal_iteratorINS9_10device_ptrIiEEEEPS5_m11less_div_10IiEEE10hipError_tT0_T1_T2_jT3_P12ihipStream_tbPNSt15iterator_traitsISJ_E10value_typeEPNSP_ISK_E10value_typeEPSL_NS1_7vsmem_tEENKUlT_SJ_SK_SL_E_clIPiSE_SF_SF_EESI_SY_SJ_SK_SL_EUlSY_E_NS1_11comp_targetILNS1_3genE9ELNS1_11target_archE1100ELNS1_3gpuE3ELNS1_3repE0EEENS1_48merge_mergepath_partition_config_static_selectorELNS0_4arch9wavefront6targetE0EEEvSK_.num_agpr, 0
	.set _ZN7rocprim17ROCPRIM_400000_NS6detail17trampoline_kernelINS0_14default_configENS1_38merge_sort_block_merge_config_selectorIiNS0_10empty_typeEEEZZNS1_27merge_sort_block_merge_implIS3_N6thrust23THRUST_200600_302600_NS6detail15normal_iteratorINS9_10device_ptrIiEEEEPS5_m11less_div_10IiEEE10hipError_tT0_T1_T2_jT3_P12ihipStream_tbPNSt15iterator_traitsISJ_E10value_typeEPNSP_ISK_E10value_typeEPSL_NS1_7vsmem_tEENKUlT_SJ_SK_SL_E_clIPiSE_SF_SF_EESI_SY_SJ_SK_SL_EUlSY_E_NS1_11comp_targetILNS1_3genE9ELNS1_11target_archE1100ELNS1_3gpuE3ELNS1_3repE0EEENS1_48merge_mergepath_partition_config_static_selectorELNS0_4arch9wavefront6targetE0EEEvSK_.numbered_sgpr, 0
	.set _ZN7rocprim17ROCPRIM_400000_NS6detail17trampoline_kernelINS0_14default_configENS1_38merge_sort_block_merge_config_selectorIiNS0_10empty_typeEEEZZNS1_27merge_sort_block_merge_implIS3_N6thrust23THRUST_200600_302600_NS6detail15normal_iteratorINS9_10device_ptrIiEEEEPS5_m11less_div_10IiEEE10hipError_tT0_T1_T2_jT3_P12ihipStream_tbPNSt15iterator_traitsISJ_E10value_typeEPNSP_ISK_E10value_typeEPSL_NS1_7vsmem_tEENKUlT_SJ_SK_SL_E_clIPiSE_SF_SF_EESI_SY_SJ_SK_SL_EUlSY_E_NS1_11comp_targetILNS1_3genE9ELNS1_11target_archE1100ELNS1_3gpuE3ELNS1_3repE0EEENS1_48merge_mergepath_partition_config_static_selectorELNS0_4arch9wavefront6targetE0EEEvSK_.num_named_barrier, 0
	.set _ZN7rocprim17ROCPRIM_400000_NS6detail17trampoline_kernelINS0_14default_configENS1_38merge_sort_block_merge_config_selectorIiNS0_10empty_typeEEEZZNS1_27merge_sort_block_merge_implIS3_N6thrust23THRUST_200600_302600_NS6detail15normal_iteratorINS9_10device_ptrIiEEEEPS5_m11less_div_10IiEEE10hipError_tT0_T1_T2_jT3_P12ihipStream_tbPNSt15iterator_traitsISJ_E10value_typeEPNSP_ISK_E10value_typeEPSL_NS1_7vsmem_tEENKUlT_SJ_SK_SL_E_clIPiSE_SF_SF_EESI_SY_SJ_SK_SL_EUlSY_E_NS1_11comp_targetILNS1_3genE9ELNS1_11target_archE1100ELNS1_3gpuE3ELNS1_3repE0EEENS1_48merge_mergepath_partition_config_static_selectorELNS0_4arch9wavefront6targetE0EEEvSK_.private_seg_size, 0
	.set _ZN7rocprim17ROCPRIM_400000_NS6detail17trampoline_kernelINS0_14default_configENS1_38merge_sort_block_merge_config_selectorIiNS0_10empty_typeEEEZZNS1_27merge_sort_block_merge_implIS3_N6thrust23THRUST_200600_302600_NS6detail15normal_iteratorINS9_10device_ptrIiEEEEPS5_m11less_div_10IiEEE10hipError_tT0_T1_T2_jT3_P12ihipStream_tbPNSt15iterator_traitsISJ_E10value_typeEPNSP_ISK_E10value_typeEPSL_NS1_7vsmem_tEENKUlT_SJ_SK_SL_E_clIPiSE_SF_SF_EESI_SY_SJ_SK_SL_EUlSY_E_NS1_11comp_targetILNS1_3genE9ELNS1_11target_archE1100ELNS1_3gpuE3ELNS1_3repE0EEENS1_48merge_mergepath_partition_config_static_selectorELNS0_4arch9wavefront6targetE0EEEvSK_.uses_vcc, 0
	.set _ZN7rocprim17ROCPRIM_400000_NS6detail17trampoline_kernelINS0_14default_configENS1_38merge_sort_block_merge_config_selectorIiNS0_10empty_typeEEEZZNS1_27merge_sort_block_merge_implIS3_N6thrust23THRUST_200600_302600_NS6detail15normal_iteratorINS9_10device_ptrIiEEEEPS5_m11less_div_10IiEEE10hipError_tT0_T1_T2_jT3_P12ihipStream_tbPNSt15iterator_traitsISJ_E10value_typeEPNSP_ISK_E10value_typeEPSL_NS1_7vsmem_tEENKUlT_SJ_SK_SL_E_clIPiSE_SF_SF_EESI_SY_SJ_SK_SL_EUlSY_E_NS1_11comp_targetILNS1_3genE9ELNS1_11target_archE1100ELNS1_3gpuE3ELNS1_3repE0EEENS1_48merge_mergepath_partition_config_static_selectorELNS0_4arch9wavefront6targetE0EEEvSK_.uses_flat_scratch, 0
	.set _ZN7rocprim17ROCPRIM_400000_NS6detail17trampoline_kernelINS0_14default_configENS1_38merge_sort_block_merge_config_selectorIiNS0_10empty_typeEEEZZNS1_27merge_sort_block_merge_implIS3_N6thrust23THRUST_200600_302600_NS6detail15normal_iteratorINS9_10device_ptrIiEEEEPS5_m11less_div_10IiEEE10hipError_tT0_T1_T2_jT3_P12ihipStream_tbPNSt15iterator_traitsISJ_E10value_typeEPNSP_ISK_E10value_typeEPSL_NS1_7vsmem_tEENKUlT_SJ_SK_SL_E_clIPiSE_SF_SF_EESI_SY_SJ_SK_SL_EUlSY_E_NS1_11comp_targetILNS1_3genE9ELNS1_11target_archE1100ELNS1_3gpuE3ELNS1_3repE0EEENS1_48merge_mergepath_partition_config_static_selectorELNS0_4arch9wavefront6targetE0EEEvSK_.has_dyn_sized_stack, 0
	.set _ZN7rocprim17ROCPRIM_400000_NS6detail17trampoline_kernelINS0_14default_configENS1_38merge_sort_block_merge_config_selectorIiNS0_10empty_typeEEEZZNS1_27merge_sort_block_merge_implIS3_N6thrust23THRUST_200600_302600_NS6detail15normal_iteratorINS9_10device_ptrIiEEEEPS5_m11less_div_10IiEEE10hipError_tT0_T1_T2_jT3_P12ihipStream_tbPNSt15iterator_traitsISJ_E10value_typeEPNSP_ISK_E10value_typeEPSL_NS1_7vsmem_tEENKUlT_SJ_SK_SL_E_clIPiSE_SF_SF_EESI_SY_SJ_SK_SL_EUlSY_E_NS1_11comp_targetILNS1_3genE9ELNS1_11target_archE1100ELNS1_3gpuE3ELNS1_3repE0EEENS1_48merge_mergepath_partition_config_static_selectorELNS0_4arch9wavefront6targetE0EEEvSK_.has_recursion, 0
	.set _ZN7rocprim17ROCPRIM_400000_NS6detail17trampoline_kernelINS0_14default_configENS1_38merge_sort_block_merge_config_selectorIiNS0_10empty_typeEEEZZNS1_27merge_sort_block_merge_implIS3_N6thrust23THRUST_200600_302600_NS6detail15normal_iteratorINS9_10device_ptrIiEEEEPS5_m11less_div_10IiEEE10hipError_tT0_T1_T2_jT3_P12ihipStream_tbPNSt15iterator_traitsISJ_E10value_typeEPNSP_ISK_E10value_typeEPSL_NS1_7vsmem_tEENKUlT_SJ_SK_SL_E_clIPiSE_SF_SF_EESI_SY_SJ_SK_SL_EUlSY_E_NS1_11comp_targetILNS1_3genE9ELNS1_11target_archE1100ELNS1_3gpuE3ELNS1_3repE0EEENS1_48merge_mergepath_partition_config_static_selectorELNS0_4arch9wavefront6targetE0EEEvSK_.has_indirect_call, 0
	.section	.AMDGPU.csdata,"",@progbits
; Kernel info:
; codeLenInByte = 0
; TotalNumSgprs: 0
; NumVgprs: 0
; ScratchSize: 0
; MemoryBound: 0
; FloatMode: 240
; IeeeMode: 1
; LDSByteSize: 0 bytes/workgroup (compile time only)
; SGPRBlocks: 0
; VGPRBlocks: 0
; NumSGPRsForWavesPerEU: 1
; NumVGPRsForWavesPerEU: 1
; Occupancy: 16
; WaveLimiterHint : 0
; COMPUTE_PGM_RSRC2:SCRATCH_EN: 0
; COMPUTE_PGM_RSRC2:USER_SGPR: 6
; COMPUTE_PGM_RSRC2:TRAP_HANDLER: 0
; COMPUTE_PGM_RSRC2:TGID_X_EN: 1
; COMPUTE_PGM_RSRC2:TGID_Y_EN: 0
; COMPUTE_PGM_RSRC2:TGID_Z_EN: 0
; COMPUTE_PGM_RSRC2:TIDIG_COMP_CNT: 0
	.section	.text._ZN7rocprim17ROCPRIM_400000_NS6detail17trampoline_kernelINS0_14default_configENS1_38merge_sort_block_merge_config_selectorIiNS0_10empty_typeEEEZZNS1_27merge_sort_block_merge_implIS3_N6thrust23THRUST_200600_302600_NS6detail15normal_iteratorINS9_10device_ptrIiEEEEPS5_m11less_div_10IiEEE10hipError_tT0_T1_T2_jT3_P12ihipStream_tbPNSt15iterator_traitsISJ_E10value_typeEPNSP_ISK_E10value_typeEPSL_NS1_7vsmem_tEENKUlT_SJ_SK_SL_E_clIPiSE_SF_SF_EESI_SY_SJ_SK_SL_EUlSY_E_NS1_11comp_targetILNS1_3genE8ELNS1_11target_archE1030ELNS1_3gpuE2ELNS1_3repE0EEENS1_48merge_mergepath_partition_config_static_selectorELNS0_4arch9wavefront6targetE0EEEvSK_,"axG",@progbits,_ZN7rocprim17ROCPRIM_400000_NS6detail17trampoline_kernelINS0_14default_configENS1_38merge_sort_block_merge_config_selectorIiNS0_10empty_typeEEEZZNS1_27merge_sort_block_merge_implIS3_N6thrust23THRUST_200600_302600_NS6detail15normal_iteratorINS9_10device_ptrIiEEEEPS5_m11less_div_10IiEEE10hipError_tT0_T1_T2_jT3_P12ihipStream_tbPNSt15iterator_traitsISJ_E10value_typeEPNSP_ISK_E10value_typeEPSL_NS1_7vsmem_tEENKUlT_SJ_SK_SL_E_clIPiSE_SF_SF_EESI_SY_SJ_SK_SL_EUlSY_E_NS1_11comp_targetILNS1_3genE8ELNS1_11target_archE1030ELNS1_3gpuE2ELNS1_3repE0EEENS1_48merge_mergepath_partition_config_static_selectorELNS0_4arch9wavefront6targetE0EEEvSK_,comdat
	.protected	_ZN7rocprim17ROCPRIM_400000_NS6detail17trampoline_kernelINS0_14default_configENS1_38merge_sort_block_merge_config_selectorIiNS0_10empty_typeEEEZZNS1_27merge_sort_block_merge_implIS3_N6thrust23THRUST_200600_302600_NS6detail15normal_iteratorINS9_10device_ptrIiEEEEPS5_m11less_div_10IiEEE10hipError_tT0_T1_T2_jT3_P12ihipStream_tbPNSt15iterator_traitsISJ_E10value_typeEPNSP_ISK_E10value_typeEPSL_NS1_7vsmem_tEENKUlT_SJ_SK_SL_E_clIPiSE_SF_SF_EESI_SY_SJ_SK_SL_EUlSY_E_NS1_11comp_targetILNS1_3genE8ELNS1_11target_archE1030ELNS1_3gpuE2ELNS1_3repE0EEENS1_48merge_mergepath_partition_config_static_selectorELNS0_4arch9wavefront6targetE0EEEvSK_ ; -- Begin function _ZN7rocprim17ROCPRIM_400000_NS6detail17trampoline_kernelINS0_14default_configENS1_38merge_sort_block_merge_config_selectorIiNS0_10empty_typeEEEZZNS1_27merge_sort_block_merge_implIS3_N6thrust23THRUST_200600_302600_NS6detail15normal_iteratorINS9_10device_ptrIiEEEEPS5_m11less_div_10IiEEE10hipError_tT0_T1_T2_jT3_P12ihipStream_tbPNSt15iterator_traitsISJ_E10value_typeEPNSP_ISK_E10value_typeEPSL_NS1_7vsmem_tEENKUlT_SJ_SK_SL_E_clIPiSE_SF_SF_EESI_SY_SJ_SK_SL_EUlSY_E_NS1_11comp_targetILNS1_3genE8ELNS1_11target_archE1030ELNS1_3gpuE2ELNS1_3repE0EEENS1_48merge_mergepath_partition_config_static_selectorELNS0_4arch9wavefront6targetE0EEEvSK_
	.globl	_ZN7rocprim17ROCPRIM_400000_NS6detail17trampoline_kernelINS0_14default_configENS1_38merge_sort_block_merge_config_selectorIiNS0_10empty_typeEEEZZNS1_27merge_sort_block_merge_implIS3_N6thrust23THRUST_200600_302600_NS6detail15normal_iteratorINS9_10device_ptrIiEEEEPS5_m11less_div_10IiEEE10hipError_tT0_T1_T2_jT3_P12ihipStream_tbPNSt15iterator_traitsISJ_E10value_typeEPNSP_ISK_E10value_typeEPSL_NS1_7vsmem_tEENKUlT_SJ_SK_SL_E_clIPiSE_SF_SF_EESI_SY_SJ_SK_SL_EUlSY_E_NS1_11comp_targetILNS1_3genE8ELNS1_11target_archE1030ELNS1_3gpuE2ELNS1_3repE0EEENS1_48merge_mergepath_partition_config_static_selectorELNS0_4arch9wavefront6targetE0EEEvSK_
	.p2align	8
	.type	_ZN7rocprim17ROCPRIM_400000_NS6detail17trampoline_kernelINS0_14default_configENS1_38merge_sort_block_merge_config_selectorIiNS0_10empty_typeEEEZZNS1_27merge_sort_block_merge_implIS3_N6thrust23THRUST_200600_302600_NS6detail15normal_iteratorINS9_10device_ptrIiEEEEPS5_m11less_div_10IiEEE10hipError_tT0_T1_T2_jT3_P12ihipStream_tbPNSt15iterator_traitsISJ_E10value_typeEPNSP_ISK_E10value_typeEPSL_NS1_7vsmem_tEENKUlT_SJ_SK_SL_E_clIPiSE_SF_SF_EESI_SY_SJ_SK_SL_EUlSY_E_NS1_11comp_targetILNS1_3genE8ELNS1_11target_archE1030ELNS1_3gpuE2ELNS1_3repE0EEENS1_48merge_mergepath_partition_config_static_selectorELNS0_4arch9wavefront6targetE0EEEvSK_,@function
_ZN7rocprim17ROCPRIM_400000_NS6detail17trampoline_kernelINS0_14default_configENS1_38merge_sort_block_merge_config_selectorIiNS0_10empty_typeEEEZZNS1_27merge_sort_block_merge_implIS3_N6thrust23THRUST_200600_302600_NS6detail15normal_iteratorINS9_10device_ptrIiEEEEPS5_m11less_div_10IiEEE10hipError_tT0_T1_T2_jT3_P12ihipStream_tbPNSt15iterator_traitsISJ_E10value_typeEPNSP_ISK_E10value_typeEPSL_NS1_7vsmem_tEENKUlT_SJ_SK_SL_E_clIPiSE_SF_SF_EESI_SY_SJ_SK_SL_EUlSY_E_NS1_11comp_targetILNS1_3genE8ELNS1_11target_archE1030ELNS1_3gpuE2ELNS1_3repE0EEENS1_48merge_mergepath_partition_config_static_selectorELNS0_4arch9wavefront6targetE0EEEvSK_: ; @_ZN7rocprim17ROCPRIM_400000_NS6detail17trampoline_kernelINS0_14default_configENS1_38merge_sort_block_merge_config_selectorIiNS0_10empty_typeEEEZZNS1_27merge_sort_block_merge_implIS3_N6thrust23THRUST_200600_302600_NS6detail15normal_iteratorINS9_10device_ptrIiEEEEPS5_m11less_div_10IiEEE10hipError_tT0_T1_T2_jT3_P12ihipStream_tbPNSt15iterator_traitsISJ_E10value_typeEPNSP_ISK_E10value_typeEPSL_NS1_7vsmem_tEENKUlT_SJ_SK_SL_E_clIPiSE_SF_SF_EESI_SY_SJ_SK_SL_EUlSY_E_NS1_11comp_targetILNS1_3genE8ELNS1_11target_archE1030ELNS1_3gpuE2ELNS1_3repE0EEENS1_48merge_mergepath_partition_config_static_selectorELNS0_4arch9wavefront6targetE0EEEvSK_
; %bb.0:
	s_load_dword s0, s[4:5], 0x0
	v_lshl_or_b32 v0, s6, 7, v0
	s_waitcnt lgkmcnt(0)
	v_cmp_gt_u32_e32 vcc_lo, s0, v0
	s_and_saveexec_b32 s0, vcc_lo
	s_cbranch_execz .LBB436_6
; %bb.1:
	s_load_dwordx4 s[0:3], s[4:5], 0x8
	v_mov_b32_e32 v2, 0
	v_mov_b32_e32 v11, v2
	s_waitcnt lgkmcnt(0)
	s_lshr_b64 s[6:7], s[0:1], 9
	s_and_b32 s6, s6, -2
	s_sub_i32 s7, 0, s6
	s_add_i32 s6, s6, -1
	v_and_b32_e32 v1, s7, v0
	v_and_b32_e32 v10, s6, v0
	v_lshlrev_b64 v[4:5], 10, v[1:2]
	v_add_co_u32 v6, vcc_lo, v4, s0
	v_add_co_ci_u32_e64 v7, null, s1, v5, vcc_lo
	v_cmp_lt_u64_e32 vcc_lo, s[2:3], v[6:7]
	v_cndmask_b32_e64 v8, v6, s2, vcc_lo
	v_cndmask_b32_e64 v9, v7, s3, vcc_lo
	v_add_co_u32 v6, vcc_lo, v8, s0
	v_add_co_ci_u32_e64 v7, null, s1, v9, vcc_lo
	v_cmp_lt_u64_e32 vcc_lo, s[2:3], v[4:5]
	s_mov_b32 s1, 0
	v_cmp_lt_u64_e64 s0, s[2:3], v[6:7]
	v_cndmask_b32_e64 v2, v4, s2, vcc_lo
	v_cndmask_b32_e64 v3, v5, s3, vcc_lo
	v_lshlrev_b64 v[4:5], 10, v[10:11]
	v_cndmask_b32_e64 v12, v6, s2, s0
	v_cndmask_b32_e64 v1, v7, s3, s0
	s_load_dwordx2 s[2:3], s[4:5], 0x28
	v_sub_co_u32 v6, vcc_lo, v12, v2
	v_sub_co_ci_u32_e64 v7, null, v1, v3, vcc_lo
	v_cmp_lt_u64_e32 vcc_lo, v[6:7], v[4:5]
	v_cndmask_b32_e32 v11, v5, v7, vcc_lo
	v_cndmask_b32_e32 v10, v4, v6, vcc_lo
	v_sub_co_u32 v4, vcc_lo, v8, v12
	v_sub_co_ci_u32_e64 v1, null, v9, v1, vcc_lo
	v_add_co_u32 v4, vcc_lo, v10, v4
	v_add_co_ci_u32_e64 v5, null, v11, v1, vcc_lo
	v_sub_co_u32 v6, vcc_lo, v8, v2
	v_sub_co_ci_u32_e64 v7, null, v9, v3, vcc_lo
	v_cmp_gt_u64_e32 vcc_lo, v[4:5], v[10:11]
	v_cmp_lt_u64_e64 s0, v[10:11], v[6:7]
	v_cndmask_b32_e64 v5, v5, 0, vcc_lo
	v_cndmask_b32_e64 v4, v4, 0, vcc_lo
	v_cndmask_b32_e64 v7, v7, v11, s0
	v_cndmask_b32_e64 v6, v6, v10, s0
	s_mov_b32 s0, exec_lo
	v_cmpx_lt_u64_e64 v[4:5], v[6:7]
	s_cbranch_execz .LBB436_5
; %bb.2:
	s_load_dwordx2 s[4:5], s[4:5], 0x18
	v_lshlrev_b64 v[8:9], 2, v[8:9]
	v_lshlrev_b64 v[12:13], 2, v[2:3]
	;; [unrolled: 1-line block ×3, first 2 shown]
	s_waitcnt lgkmcnt(0)
	v_add_co_u32 v14, vcc_lo, s4, v8
	v_add_co_ci_u32_e64 v15, null, s5, v9, vcc_lo
	v_add_co_u32 v1, vcc_lo, s4, v12
	v_add_co_ci_u32_e64 v8, null, s5, v13, vcc_lo
	;; [unrolled: 2-line block ×3, first 2 shown]
	s_inst_prefetch 0x1
	.p2align	6
.LBB436_3:                              ; =>This Inner Loop Header: Depth=1
	v_add_co_u32 v11, vcc_lo, v6, v4
	v_add_co_ci_u32_e64 v12, null, v7, v5, vcc_lo
	v_lshrrev_b64 v[11:12], 1, v[11:12]
	v_lshlrev_b64 v[13:14], 2, v[11:12]
	v_xor_b32_e32 v15, -4, v13
	v_xor_b32_e32 v16, -1, v14
	v_add_co_u32 v13, vcc_lo, v1, v13
	v_add_co_ci_u32_e64 v14, null, v8, v14, vcc_lo
	v_add_co_u32 v15, vcc_lo, v9, v15
	v_add_co_ci_u32_e64 v16, null, v10, v16, vcc_lo
	v_add_co_u32 v17, vcc_lo, v11, 1
	s_clause 0x1
	global_load_dword v13, v[13:14], off
	global_load_dword v14, v[15:16], off
	s_waitcnt vmcnt(1)
	v_mul_hi_i32 v13, 0x66666667, v13
	s_waitcnt vmcnt(0)
	v_mul_hi_i32 v14, 0x66666667, v14
	v_lshrrev_b32_e32 v15, 31, v13
	v_ashrrev_i32_e32 v13, 2, v13
	v_lshrrev_b32_e32 v16, 31, v14
	v_ashrrev_i32_e32 v14, 2, v14
	v_add_nc_u32_e32 v13, v13, v15
	v_add_co_ci_u32_e64 v15, null, 0, v12, vcc_lo
	v_add_nc_u32_e32 v14, v14, v16
	v_cmp_lt_i32_e32 vcc_lo, v14, v13
	v_cndmask_b32_e32 v7, v7, v12, vcc_lo
	v_cndmask_b32_e32 v6, v6, v11, vcc_lo
	;; [unrolled: 1-line block ×4, first 2 shown]
	v_cmp_ge_u64_e32 vcc_lo, v[4:5], v[6:7]
	s_or_b32 s1, vcc_lo, s1
	s_andn2_b32 exec_lo, exec_lo, s1
	s_cbranch_execnz .LBB436_3
; %bb.4:
	s_inst_prefetch 0x2
	s_or_b32 exec_lo, exec_lo, s1
.LBB436_5:
	s_or_b32 exec_lo, exec_lo, s0
	v_mov_b32_e32 v1, 0
	v_add_co_u32 v2, vcc_lo, v4, v2
	v_add_co_ci_u32_e64 v3, null, v5, v3, vcc_lo
	v_lshlrev_b64 v[0:1], 3, v[0:1]
	s_waitcnt lgkmcnt(0)
	v_add_co_u32 v0, vcc_lo, s2, v0
	v_add_co_ci_u32_e64 v1, null, s3, v1, vcc_lo
	global_store_dwordx2 v[0:1], v[2:3], off
.LBB436_6:
	s_endpgm
	.section	.rodata,"a",@progbits
	.p2align	6, 0x0
	.amdhsa_kernel _ZN7rocprim17ROCPRIM_400000_NS6detail17trampoline_kernelINS0_14default_configENS1_38merge_sort_block_merge_config_selectorIiNS0_10empty_typeEEEZZNS1_27merge_sort_block_merge_implIS3_N6thrust23THRUST_200600_302600_NS6detail15normal_iteratorINS9_10device_ptrIiEEEEPS5_m11less_div_10IiEEE10hipError_tT0_T1_T2_jT3_P12ihipStream_tbPNSt15iterator_traitsISJ_E10value_typeEPNSP_ISK_E10value_typeEPSL_NS1_7vsmem_tEENKUlT_SJ_SK_SL_E_clIPiSE_SF_SF_EESI_SY_SJ_SK_SL_EUlSY_E_NS1_11comp_targetILNS1_3genE8ELNS1_11target_archE1030ELNS1_3gpuE2ELNS1_3repE0EEENS1_48merge_mergepath_partition_config_static_selectorELNS0_4arch9wavefront6targetE0EEEvSK_
		.amdhsa_group_segment_fixed_size 0
		.amdhsa_private_segment_fixed_size 0
		.amdhsa_kernarg_size 48
		.amdhsa_user_sgpr_count 6
		.amdhsa_user_sgpr_private_segment_buffer 1
		.amdhsa_user_sgpr_dispatch_ptr 0
		.amdhsa_user_sgpr_queue_ptr 0
		.amdhsa_user_sgpr_kernarg_segment_ptr 1
		.amdhsa_user_sgpr_dispatch_id 0
		.amdhsa_user_sgpr_flat_scratch_init 0
		.amdhsa_user_sgpr_private_segment_size 0
		.amdhsa_wavefront_size32 1
		.amdhsa_uses_dynamic_stack 0
		.amdhsa_system_sgpr_private_segment_wavefront_offset 0
		.amdhsa_system_sgpr_workgroup_id_x 1
		.amdhsa_system_sgpr_workgroup_id_y 0
		.amdhsa_system_sgpr_workgroup_id_z 0
		.amdhsa_system_sgpr_workgroup_info 0
		.amdhsa_system_vgpr_workitem_id 0
		.amdhsa_next_free_vgpr 18
		.amdhsa_next_free_sgpr 8
		.amdhsa_reserve_vcc 1
		.amdhsa_reserve_flat_scratch 0
		.amdhsa_float_round_mode_32 0
		.amdhsa_float_round_mode_16_64 0
		.amdhsa_float_denorm_mode_32 3
		.amdhsa_float_denorm_mode_16_64 3
		.amdhsa_dx10_clamp 1
		.amdhsa_ieee_mode 1
		.amdhsa_fp16_overflow 0
		.amdhsa_workgroup_processor_mode 1
		.amdhsa_memory_ordered 1
		.amdhsa_forward_progress 1
		.amdhsa_shared_vgpr_count 0
		.amdhsa_exception_fp_ieee_invalid_op 0
		.amdhsa_exception_fp_denorm_src 0
		.amdhsa_exception_fp_ieee_div_zero 0
		.amdhsa_exception_fp_ieee_overflow 0
		.amdhsa_exception_fp_ieee_underflow 0
		.amdhsa_exception_fp_ieee_inexact 0
		.amdhsa_exception_int_div_zero 0
	.end_amdhsa_kernel
	.section	.text._ZN7rocprim17ROCPRIM_400000_NS6detail17trampoline_kernelINS0_14default_configENS1_38merge_sort_block_merge_config_selectorIiNS0_10empty_typeEEEZZNS1_27merge_sort_block_merge_implIS3_N6thrust23THRUST_200600_302600_NS6detail15normal_iteratorINS9_10device_ptrIiEEEEPS5_m11less_div_10IiEEE10hipError_tT0_T1_T2_jT3_P12ihipStream_tbPNSt15iterator_traitsISJ_E10value_typeEPNSP_ISK_E10value_typeEPSL_NS1_7vsmem_tEENKUlT_SJ_SK_SL_E_clIPiSE_SF_SF_EESI_SY_SJ_SK_SL_EUlSY_E_NS1_11comp_targetILNS1_3genE8ELNS1_11target_archE1030ELNS1_3gpuE2ELNS1_3repE0EEENS1_48merge_mergepath_partition_config_static_selectorELNS0_4arch9wavefront6targetE0EEEvSK_,"axG",@progbits,_ZN7rocprim17ROCPRIM_400000_NS6detail17trampoline_kernelINS0_14default_configENS1_38merge_sort_block_merge_config_selectorIiNS0_10empty_typeEEEZZNS1_27merge_sort_block_merge_implIS3_N6thrust23THRUST_200600_302600_NS6detail15normal_iteratorINS9_10device_ptrIiEEEEPS5_m11less_div_10IiEEE10hipError_tT0_T1_T2_jT3_P12ihipStream_tbPNSt15iterator_traitsISJ_E10value_typeEPNSP_ISK_E10value_typeEPSL_NS1_7vsmem_tEENKUlT_SJ_SK_SL_E_clIPiSE_SF_SF_EESI_SY_SJ_SK_SL_EUlSY_E_NS1_11comp_targetILNS1_3genE8ELNS1_11target_archE1030ELNS1_3gpuE2ELNS1_3repE0EEENS1_48merge_mergepath_partition_config_static_selectorELNS0_4arch9wavefront6targetE0EEEvSK_,comdat
.Lfunc_end436:
	.size	_ZN7rocprim17ROCPRIM_400000_NS6detail17trampoline_kernelINS0_14default_configENS1_38merge_sort_block_merge_config_selectorIiNS0_10empty_typeEEEZZNS1_27merge_sort_block_merge_implIS3_N6thrust23THRUST_200600_302600_NS6detail15normal_iteratorINS9_10device_ptrIiEEEEPS5_m11less_div_10IiEEE10hipError_tT0_T1_T2_jT3_P12ihipStream_tbPNSt15iterator_traitsISJ_E10value_typeEPNSP_ISK_E10value_typeEPSL_NS1_7vsmem_tEENKUlT_SJ_SK_SL_E_clIPiSE_SF_SF_EESI_SY_SJ_SK_SL_EUlSY_E_NS1_11comp_targetILNS1_3genE8ELNS1_11target_archE1030ELNS1_3gpuE2ELNS1_3repE0EEENS1_48merge_mergepath_partition_config_static_selectorELNS0_4arch9wavefront6targetE0EEEvSK_, .Lfunc_end436-_ZN7rocprim17ROCPRIM_400000_NS6detail17trampoline_kernelINS0_14default_configENS1_38merge_sort_block_merge_config_selectorIiNS0_10empty_typeEEEZZNS1_27merge_sort_block_merge_implIS3_N6thrust23THRUST_200600_302600_NS6detail15normal_iteratorINS9_10device_ptrIiEEEEPS5_m11less_div_10IiEEE10hipError_tT0_T1_T2_jT3_P12ihipStream_tbPNSt15iterator_traitsISJ_E10value_typeEPNSP_ISK_E10value_typeEPSL_NS1_7vsmem_tEENKUlT_SJ_SK_SL_E_clIPiSE_SF_SF_EESI_SY_SJ_SK_SL_EUlSY_E_NS1_11comp_targetILNS1_3genE8ELNS1_11target_archE1030ELNS1_3gpuE2ELNS1_3repE0EEENS1_48merge_mergepath_partition_config_static_selectorELNS0_4arch9wavefront6targetE0EEEvSK_
                                        ; -- End function
	.set _ZN7rocprim17ROCPRIM_400000_NS6detail17trampoline_kernelINS0_14default_configENS1_38merge_sort_block_merge_config_selectorIiNS0_10empty_typeEEEZZNS1_27merge_sort_block_merge_implIS3_N6thrust23THRUST_200600_302600_NS6detail15normal_iteratorINS9_10device_ptrIiEEEEPS5_m11less_div_10IiEEE10hipError_tT0_T1_T2_jT3_P12ihipStream_tbPNSt15iterator_traitsISJ_E10value_typeEPNSP_ISK_E10value_typeEPSL_NS1_7vsmem_tEENKUlT_SJ_SK_SL_E_clIPiSE_SF_SF_EESI_SY_SJ_SK_SL_EUlSY_E_NS1_11comp_targetILNS1_3genE8ELNS1_11target_archE1030ELNS1_3gpuE2ELNS1_3repE0EEENS1_48merge_mergepath_partition_config_static_selectorELNS0_4arch9wavefront6targetE0EEEvSK_.num_vgpr, 18
	.set _ZN7rocprim17ROCPRIM_400000_NS6detail17trampoline_kernelINS0_14default_configENS1_38merge_sort_block_merge_config_selectorIiNS0_10empty_typeEEEZZNS1_27merge_sort_block_merge_implIS3_N6thrust23THRUST_200600_302600_NS6detail15normal_iteratorINS9_10device_ptrIiEEEEPS5_m11less_div_10IiEEE10hipError_tT0_T1_T2_jT3_P12ihipStream_tbPNSt15iterator_traitsISJ_E10value_typeEPNSP_ISK_E10value_typeEPSL_NS1_7vsmem_tEENKUlT_SJ_SK_SL_E_clIPiSE_SF_SF_EESI_SY_SJ_SK_SL_EUlSY_E_NS1_11comp_targetILNS1_3genE8ELNS1_11target_archE1030ELNS1_3gpuE2ELNS1_3repE0EEENS1_48merge_mergepath_partition_config_static_selectorELNS0_4arch9wavefront6targetE0EEEvSK_.num_agpr, 0
	.set _ZN7rocprim17ROCPRIM_400000_NS6detail17trampoline_kernelINS0_14default_configENS1_38merge_sort_block_merge_config_selectorIiNS0_10empty_typeEEEZZNS1_27merge_sort_block_merge_implIS3_N6thrust23THRUST_200600_302600_NS6detail15normal_iteratorINS9_10device_ptrIiEEEEPS5_m11less_div_10IiEEE10hipError_tT0_T1_T2_jT3_P12ihipStream_tbPNSt15iterator_traitsISJ_E10value_typeEPNSP_ISK_E10value_typeEPSL_NS1_7vsmem_tEENKUlT_SJ_SK_SL_E_clIPiSE_SF_SF_EESI_SY_SJ_SK_SL_EUlSY_E_NS1_11comp_targetILNS1_3genE8ELNS1_11target_archE1030ELNS1_3gpuE2ELNS1_3repE0EEENS1_48merge_mergepath_partition_config_static_selectorELNS0_4arch9wavefront6targetE0EEEvSK_.numbered_sgpr, 8
	.set _ZN7rocprim17ROCPRIM_400000_NS6detail17trampoline_kernelINS0_14default_configENS1_38merge_sort_block_merge_config_selectorIiNS0_10empty_typeEEEZZNS1_27merge_sort_block_merge_implIS3_N6thrust23THRUST_200600_302600_NS6detail15normal_iteratorINS9_10device_ptrIiEEEEPS5_m11less_div_10IiEEE10hipError_tT0_T1_T2_jT3_P12ihipStream_tbPNSt15iterator_traitsISJ_E10value_typeEPNSP_ISK_E10value_typeEPSL_NS1_7vsmem_tEENKUlT_SJ_SK_SL_E_clIPiSE_SF_SF_EESI_SY_SJ_SK_SL_EUlSY_E_NS1_11comp_targetILNS1_3genE8ELNS1_11target_archE1030ELNS1_3gpuE2ELNS1_3repE0EEENS1_48merge_mergepath_partition_config_static_selectorELNS0_4arch9wavefront6targetE0EEEvSK_.num_named_barrier, 0
	.set _ZN7rocprim17ROCPRIM_400000_NS6detail17trampoline_kernelINS0_14default_configENS1_38merge_sort_block_merge_config_selectorIiNS0_10empty_typeEEEZZNS1_27merge_sort_block_merge_implIS3_N6thrust23THRUST_200600_302600_NS6detail15normal_iteratorINS9_10device_ptrIiEEEEPS5_m11less_div_10IiEEE10hipError_tT0_T1_T2_jT3_P12ihipStream_tbPNSt15iterator_traitsISJ_E10value_typeEPNSP_ISK_E10value_typeEPSL_NS1_7vsmem_tEENKUlT_SJ_SK_SL_E_clIPiSE_SF_SF_EESI_SY_SJ_SK_SL_EUlSY_E_NS1_11comp_targetILNS1_3genE8ELNS1_11target_archE1030ELNS1_3gpuE2ELNS1_3repE0EEENS1_48merge_mergepath_partition_config_static_selectorELNS0_4arch9wavefront6targetE0EEEvSK_.private_seg_size, 0
	.set _ZN7rocprim17ROCPRIM_400000_NS6detail17trampoline_kernelINS0_14default_configENS1_38merge_sort_block_merge_config_selectorIiNS0_10empty_typeEEEZZNS1_27merge_sort_block_merge_implIS3_N6thrust23THRUST_200600_302600_NS6detail15normal_iteratorINS9_10device_ptrIiEEEEPS5_m11less_div_10IiEEE10hipError_tT0_T1_T2_jT3_P12ihipStream_tbPNSt15iterator_traitsISJ_E10value_typeEPNSP_ISK_E10value_typeEPSL_NS1_7vsmem_tEENKUlT_SJ_SK_SL_E_clIPiSE_SF_SF_EESI_SY_SJ_SK_SL_EUlSY_E_NS1_11comp_targetILNS1_3genE8ELNS1_11target_archE1030ELNS1_3gpuE2ELNS1_3repE0EEENS1_48merge_mergepath_partition_config_static_selectorELNS0_4arch9wavefront6targetE0EEEvSK_.uses_vcc, 1
	.set _ZN7rocprim17ROCPRIM_400000_NS6detail17trampoline_kernelINS0_14default_configENS1_38merge_sort_block_merge_config_selectorIiNS0_10empty_typeEEEZZNS1_27merge_sort_block_merge_implIS3_N6thrust23THRUST_200600_302600_NS6detail15normal_iteratorINS9_10device_ptrIiEEEEPS5_m11less_div_10IiEEE10hipError_tT0_T1_T2_jT3_P12ihipStream_tbPNSt15iterator_traitsISJ_E10value_typeEPNSP_ISK_E10value_typeEPSL_NS1_7vsmem_tEENKUlT_SJ_SK_SL_E_clIPiSE_SF_SF_EESI_SY_SJ_SK_SL_EUlSY_E_NS1_11comp_targetILNS1_3genE8ELNS1_11target_archE1030ELNS1_3gpuE2ELNS1_3repE0EEENS1_48merge_mergepath_partition_config_static_selectorELNS0_4arch9wavefront6targetE0EEEvSK_.uses_flat_scratch, 0
	.set _ZN7rocprim17ROCPRIM_400000_NS6detail17trampoline_kernelINS0_14default_configENS1_38merge_sort_block_merge_config_selectorIiNS0_10empty_typeEEEZZNS1_27merge_sort_block_merge_implIS3_N6thrust23THRUST_200600_302600_NS6detail15normal_iteratorINS9_10device_ptrIiEEEEPS5_m11less_div_10IiEEE10hipError_tT0_T1_T2_jT3_P12ihipStream_tbPNSt15iterator_traitsISJ_E10value_typeEPNSP_ISK_E10value_typeEPSL_NS1_7vsmem_tEENKUlT_SJ_SK_SL_E_clIPiSE_SF_SF_EESI_SY_SJ_SK_SL_EUlSY_E_NS1_11comp_targetILNS1_3genE8ELNS1_11target_archE1030ELNS1_3gpuE2ELNS1_3repE0EEENS1_48merge_mergepath_partition_config_static_selectorELNS0_4arch9wavefront6targetE0EEEvSK_.has_dyn_sized_stack, 0
	.set _ZN7rocprim17ROCPRIM_400000_NS6detail17trampoline_kernelINS0_14default_configENS1_38merge_sort_block_merge_config_selectorIiNS0_10empty_typeEEEZZNS1_27merge_sort_block_merge_implIS3_N6thrust23THRUST_200600_302600_NS6detail15normal_iteratorINS9_10device_ptrIiEEEEPS5_m11less_div_10IiEEE10hipError_tT0_T1_T2_jT3_P12ihipStream_tbPNSt15iterator_traitsISJ_E10value_typeEPNSP_ISK_E10value_typeEPSL_NS1_7vsmem_tEENKUlT_SJ_SK_SL_E_clIPiSE_SF_SF_EESI_SY_SJ_SK_SL_EUlSY_E_NS1_11comp_targetILNS1_3genE8ELNS1_11target_archE1030ELNS1_3gpuE2ELNS1_3repE0EEENS1_48merge_mergepath_partition_config_static_selectorELNS0_4arch9wavefront6targetE0EEEvSK_.has_recursion, 0
	.set _ZN7rocprim17ROCPRIM_400000_NS6detail17trampoline_kernelINS0_14default_configENS1_38merge_sort_block_merge_config_selectorIiNS0_10empty_typeEEEZZNS1_27merge_sort_block_merge_implIS3_N6thrust23THRUST_200600_302600_NS6detail15normal_iteratorINS9_10device_ptrIiEEEEPS5_m11less_div_10IiEEE10hipError_tT0_T1_T2_jT3_P12ihipStream_tbPNSt15iterator_traitsISJ_E10value_typeEPNSP_ISK_E10value_typeEPSL_NS1_7vsmem_tEENKUlT_SJ_SK_SL_E_clIPiSE_SF_SF_EESI_SY_SJ_SK_SL_EUlSY_E_NS1_11comp_targetILNS1_3genE8ELNS1_11target_archE1030ELNS1_3gpuE2ELNS1_3repE0EEENS1_48merge_mergepath_partition_config_static_selectorELNS0_4arch9wavefront6targetE0EEEvSK_.has_indirect_call, 0
	.section	.AMDGPU.csdata,"",@progbits
; Kernel info:
; codeLenInByte = 720
; TotalNumSgprs: 10
; NumVgprs: 18
; ScratchSize: 0
; MemoryBound: 0
; FloatMode: 240
; IeeeMode: 1
; LDSByteSize: 0 bytes/workgroup (compile time only)
; SGPRBlocks: 0
; VGPRBlocks: 2
; NumSGPRsForWavesPerEU: 10
; NumVGPRsForWavesPerEU: 18
; Occupancy: 16
; WaveLimiterHint : 0
; COMPUTE_PGM_RSRC2:SCRATCH_EN: 0
; COMPUTE_PGM_RSRC2:USER_SGPR: 6
; COMPUTE_PGM_RSRC2:TRAP_HANDLER: 0
; COMPUTE_PGM_RSRC2:TGID_X_EN: 1
; COMPUTE_PGM_RSRC2:TGID_Y_EN: 0
; COMPUTE_PGM_RSRC2:TGID_Z_EN: 0
; COMPUTE_PGM_RSRC2:TIDIG_COMP_CNT: 0
	.section	.text._ZN7rocprim17ROCPRIM_400000_NS6detail17trampoline_kernelINS0_14default_configENS1_38merge_sort_block_merge_config_selectorIiNS0_10empty_typeEEEZZNS1_27merge_sort_block_merge_implIS3_N6thrust23THRUST_200600_302600_NS6detail15normal_iteratorINS9_10device_ptrIiEEEEPS5_m11less_div_10IiEEE10hipError_tT0_T1_T2_jT3_P12ihipStream_tbPNSt15iterator_traitsISJ_E10value_typeEPNSP_ISK_E10value_typeEPSL_NS1_7vsmem_tEENKUlT_SJ_SK_SL_E_clIPiSE_SF_SF_EESI_SY_SJ_SK_SL_EUlSY_E0_NS1_11comp_targetILNS1_3genE0ELNS1_11target_archE4294967295ELNS1_3gpuE0ELNS1_3repE0EEENS1_38merge_mergepath_config_static_selectorELNS0_4arch9wavefront6targetE0EEEvSK_,"axG",@progbits,_ZN7rocprim17ROCPRIM_400000_NS6detail17trampoline_kernelINS0_14default_configENS1_38merge_sort_block_merge_config_selectorIiNS0_10empty_typeEEEZZNS1_27merge_sort_block_merge_implIS3_N6thrust23THRUST_200600_302600_NS6detail15normal_iteratorINS9_10device_ptrIiEEEEPS5_m11less_div_10IiEEE10hipError_tT0_T1_T2_jT3_P12ihipStream_tbPNSt15iterator_traitsISJ_E10value_typeEPNSP_ISK_E10value_typeEPSL_NS1_7vsmem_tEENKUlT_SJ_SK_SL_E_clIPiSE_SF_SF_EESI_SY_SJ_SK_SL_EUlSY_E0_NS1_11comp_targetILNS1_3genE0ELNS1_11target_archE4294967295ELNS1_3gpuE0ELNS1_3repE0EEENS1_38merge_mergepath_config_static_selectorELNS0_4arch9wavefront6targetE0EEEvSK_,comdat
	.protected	_ZN7rocprim17ROCPRIM_400000_NS6detail17trampoline_kernelINS0_14default_configENS1_38merge_sort_block_merge_config_selectorIiNS0_10empty_typeEEEZZNS1_27merge_sort_block_merge_implIS3_N6thrust23THRUST_200600_302600_NS6detail15normal_iteratorINS9_10device_ptrIiEEEEPS5_m11less_div_10IiEEE10hipError_tT0_T1_T2_jT3_P12ihipStream_tbPNSt15iterator_traitsISJ_E10value_typeEPNSP_ISK_E10value_typeEPSL_NS1_7vsmem_tEENKUlT_SJ_SK_SL_E_clIPiSE_SF_SF_EESI_SY_SJ_SK_SL_EUlSY_E0_NS1_11comp_targetILNS1_3genE0ELNS1_11target_archE4294967295ELNS1_3gpuE0ELNS1_3repE0EEENS1_38merge_mergepath_config_static_selectorELNS0_4arch9wavefront6targetE0EEEvSK_ ; -- Begin function _ZN7rocprim17ROCPRIM_400000_NS6detail17trampoline_kernelINS0_14default_configENS1_38merge_sort_block_merge_config_selectorIiNS0_10empty_typeEEEZZNS1_27merge_sort_block_merge_implIS3_N6thrust23THRUST_200600_302600_NS6detail15normal_iteratorINS9_10device_ptrIiEEEEPS5_m11less_div_10IiEEE10hipError_tT0_T1_T2_jT3_P12ihipStream_tbPNSt15iterator_traitsISJ_E10value_typeEPNSP_ISK_E10value_typeEPSL_NS1_7vsmem_tEENKUlT_SJ_SK_SL_E_clIPiSE_SF_SF_EESI_SY_SJ_SK_SL_EUlSY_E0_NS1_11comp_targetILNS1_3genE0ELNS1_11target_archE4294967295ELNS1_3gpuE0ELNS1_3repE0EEENS1_38merge_mergepath_config_static_selectorELNS0_4arch9wavefront6targetE0EEEvSK_
	.globl	_ZN7rocprim17ROCPRIM_400000_NS6detail17trampoline_kernelINS0_14default_configENS1_38merge_sort_block_merge_config_selectorIiNS0_10empty_typeEEEZZNS1_27merge_sort_block_merge_implIS3_N6thrust23THRUST_200600_302600_NS6detail15normal_iteratorINS9_10device_ptrIiEEEEPS5_m11less_div_10IiEEE10hipError_tT0_T1_T2_jT3_P12ihipStream_tbPNSt15iterator_traitsISJ_E10value_typeEPNSP_ISK_E10value_typeEPSL_NS1_7vsmem_tEENKUlT_SJ_SK_SL_E_clIPiSE_SF_SF_EESI_SY_SJ_SK_SL_EUlSY_E0_NS1_11comp_targetILNS1_3genE0ELNS1_11target_archE4294967295ELNS1_3gpuE0ELNS1_3repE0EEENS1_38merge_mergepath_config_static_selectorELNS0_4arch9wavefront6targetE0EEEvSK_
	.p2align	8
	.type	_ZN7rocprim17ROCPRIM_400000_NS6detail17trampoline_kernelINS0_14default_configENS1_38merge_sort_block_merge_config_selectorIiNS0_10empty_typeEEEZZNS1_27merge_sort_block_merge_implIS3_N6thrust23THRUST_200600_302600_NS6detail15normal_iteratorINS9_10device_ptrIiEEEEPS5_m11less_div_10IiEEE10hipError_tT0_T1_T2_jT3_P12ihipStream_tbPNSt15iterator_traitsISJ_E10value_typeEPNSP_ISK_E10value_typeEPSL_NS1_7vsmem_tEENKUlT_SJ_SK_SL_E_clIPiSE_SF_SF_EESI_SY_SJ_SK_SL_EUlSY_E0_NS1_11comp_targetILNS1_3genE0ELNS1_11target_archE4294967295ELNS1_3gpuE0ELNS1_3repE0EEENS1_38merge_mergepath_config_static_selectorELNS0_4arch9wavefront6targetE0EEEvSK_,@function
_ZN7rocprim17ROCPRIM_400000_NS6detail17trampoline_kernelINS0_14default_configENS1_38merge_sort_block_merge_config_selectorIiNS0_10empty_typeEEEZZNS1_27merge_sort_block_merge_implIS3_N6thrust23THRUST_200600_302600_NS6detail15normal_iteratorINS9_10device_ptrIiEEEEPS5_m11less_div_10IiEEE10hipError_tT0_T1_T2_jT3_P12ihipStream_tbPNSt15iterator_traitsISJ_E10value_typeEPNSP_ISK_E10value_typeEPSL_NS1_7vsmem_tEENKUlT_SJ_SK_SL_E_clIPiSE_SF_SF_EESI_SY_SJ_SK_SL_EUlSY_E0_NS1_11comp_targetILNS1_3genE0ELNS1_11target_archE4294967295ELNS1_3gpuE0ELNS1_3repE0EEENS1_38merge_mergepath_config_static_selectorELNS0_4arch9wavefront6targetE0EEEvSK_: ; @_ZN7rocprim17ROCPRIM_400000_NS6detail17trampoline_kernelINS0_14default_configENS1_38merge_sort_block_merge_config_selectorIiNS0_10empty_typeEEEZZNS1_27merge_sort_block_merge_implIS3_N6thrust23THRUST_200600_302600_NS6detail15normal_iteratorINS9_10device_ptrIiEEEEPS5_m11less_div_10IiEEE10hipError_tT0_T1_T2_jT3_P12ihipStream_tbPNSt15iterator_traitsISJ_E10value_typeEPNSP_ISK_E10value_typeEPSL_NS1_7vsmem_tEENKUlT_SJ_SK_SL_E_clIPiSE_SF_SF_EESI_SY_SJ_SK_SL_EUlSY_E0_NS1_11comp_targetILNS1_3genE0ELNS1_11target_archE4294967295ELNS1_3gpuE0ELNS1_3repE0EEENS1_38merge_mergepath_config_static_selectorELNS0_4arch9wavefront6targetE0EEEvSK_
; %bb.0:
	.section	.rodata,"a",@progbits
	.p2align	6, 0x0
	.amdhsa_kernel _ZN7rocprim17ROCPRIM_400000_NS6detail17trampoline_kernelINS0_14default_configENS1_38merge_sort_block_merge_config_selectorIiNS0_10empty_typeEEEZZNS1_27merge_sort_block_merge_implIS3_N6thrust23THRUST_200600_302600_NS6detail15normal_iteratorINS9_10device_ptrIiEEEEPS5_m11less_div_10IiEEE10hipError_tT0_T1_T2_jT3_P12ihipStream_tbPNSt15iterator_traitsISJ_E10value_typeEPNSP_ISK_E10value_typeEPSL_NS1_7vsmem_tEENKUlT_SJ_SK_SL_E_clIPiSE_SF_SF_EESI_SY_SJ_SK_SL_EUlSY_E0_NS1_11comp_targetILNS1_3genE0ELNS1_11target_archE4294967295ELNS1_3gpuE0ELNS1_3repE0EEENS1_38merge_mergepath_config_static_selectorELNS0_4arch9wavefront6targetE0EEEvSK_
		.amdhsa_group_segment_fixed_size 0
		.amdhsa_private_segment_fixed_size 0
		.amdhsa_kernarg_size 72
		.amdhsa_user_sgpr_count 6
		.amdhsa_user_sgpr_private_segment_buffer 1
		.amdhsa_user_sgpr_dispatch_ptr 0
		.amdhsa_user_sgpr_queue_ptr 0
		.amdhsa_user_sgpr_kernarg_segment_ptr 1
		.amdhsa_user_sgpr_dispatch_id 0
		.amdhsa_user_sgpr_flat_scratch_init 0
		.amdhsa_user_sgpr_private_segment_size 0
		.amdhsa_wavefront_size32 1
		.amdhsa_uses_dynamic_stack 0
		.amdhsa_system_sgpr_private_segment_wavefront_offset 0
		.amdhsa_system_sgpr_workgroup_id_x 1
		.amdhsa_system_sgpr_workgroup_id_y 0
		.amdhsa_system_sgpr_workgroup_id_z 0
		.amdhsa_system_sgpr_workgroup_info 0
		.amdhsa_system_vgpr_workitem_id 0
		.amdhsa_next_free_vgpr 1
		.amdhsa_next_free_sgpr 1
		.amdhsa_reserve_vcc 0
		.amdhsa_reserve_flat_scratch 0
		.amdhsa_float_round_mode_32 0
		.amdhsa_float_round_mode_16_64 0
		.amdhsa_float_denorm_mode_32 3
		.amdhsa_float_denorm_mode_16_64 3
		.amdhsa_dx10_clamp 1
		.amdhsa_ieee_mode 1
		.amdhsa_fp16_overflow 0
		.amdhsa_workgroup_processor_mode 1
		.amdhsa_memory_ordered 1
		.amdhsa_forward_progress 1
		.amdhsa_shared_vgpr_count 0
		.amdhsa_exception_fp_ieee_invalid_op 0
		.amdhsa_exception_fp_denorm_src 0
		.amdhsa_exception_fp_ieee_div_zero 0
		.amdhsa_exception_fp_ieee_overflow 0
		.amdhsa_exception_fp_ieee_underflow 0
		.amdhsa_exception_fp_ieee_inexact 0
		.amdhsa_exception_int_div_zero 0
	.end_amdhsa_kernel
	.section	.text._ZN7rocprim17ROCPRIM_400000_NS6detail17trampoline_kernelINS0_14default_configENS1_38merge_sort_block_merge_config_selectorIiNS0_10empty_typeEEEZZNS1_27merge_sort_block_merge_implIS3_N6thrust23THRUST_200600_302600_NS6detail15normal_iteratorINS9_10device_ptrIiEEEEPS5_m11less_div_10IiEEE10hipError_tT0_T1_T2_jT3_P12ihipStream_tbPNSt15iterator_traitsISJ_E10value_typeEPNSP_ISK_E10value_typeEPSL_NS1_7vsmem_tEENKUlT_SJ_SK_SL_E_clIPiSE_SF_SF_EESI_SY_SJ_SK_SL_EUlSY_E0_NS1_11comp_targetILNS1_3genE0ELNS1_11target_archE4294967295ELNS1_3gpuE0ELNS1_3repE0EEENS1_38merge_mergepath_config_static_selectorELNS0_4arch9wavefront6targetE0EEEvSK_,"axG",@progbits,_ZN7rocprim17ROCPRIM_400000_NS6detail17trampoline_kernelINS0_14default_configENS1_38merge_sort_block_merge_config_selectorIiNS0_10empty_typeEEEZZNS1_27merge_sort_block_merge_implIS3_N6thrust23THRUST_200600_302600_NS6detail15normal_iteratorINS9_10device_ptrIiEEEEPS5_m11less_div_10IiEEE10hipError_tT0_T1_T2_jT3_P12ihipStream_tbPNSt15iterator_traitsISJ_E10value_typeEPNSP_ISK_E10value_typeEPSL_NS1_7vsmem_tEENKUlT_SJ_SK_SL_E_clIPiSE_SF_SF_EESI_SY_SJ_SK_SL_EUlSY_E0_NS1_11comp_targetILNS1_3genE0ELNS1_11target_archE4294967295ELNS1_3gpuE0ELNS1_3repE0EEENS1_38merge_mergepath_config_static_selectorELNS0_4arch9wavefront6targetE0EEEvSK_,comdat
.Lfunc_end437:
	.size	_ZN7rocprim17ROCPRIM_400000_NS6detail17trampoline_kernelINS0_14default_configENS1_38merge_sort_block_merge_config_selectorIiNS0_10empty_typeEEEZZNS1_27merge_sort_block_merge_implIS3_N6thrust23THRUST_200600_302600_NS6detail15normal_iteratorINS9_10device_ptrIiEEEEPS5_m11less_div_10IiEEE10hipError_tT0_T1_T2_jT3_P12ihipStream_tbPNSt15iterator_traitsISJ_E10value_typeEPNSP_ISK_E10value_typeEPSL_NS1_7vsmem_tEENKUlT_SJ_SK_SL_E_clIPiSE_SF_SF_EESI_SY_SJ_SK_SL_EUlSY_E0_NS1_11comp_targetILNS1_3genE0ELNS1_11target_archE4294967295ELNS1_3gpuE0ELNS1_3repE0EEENS1_38merge_mergepath_config_static_selectorELNS0_4arch9wavefront6targetE0EEEvSK_, .Lfunc_end437-_ZN7rocprim17ROCPRIM_400000_NS6detail17trampoline_kernelINS0_14default_configENS1_38merge_sort_block_merge_config_selectorIiNS0_10empty_typeEEEZZNS1_27merge_sort_block_merge_implIS3_N6thrust23THRUST_200600_302600_NS6detail15normal_iteratorINS9_10device_ptrIiEEEEPS5_m11less_div_10IiEEE10hipError_tT0_T1_T2_jT3_P12ihipStream_tbPNSt15iterator_traitsISJ_E10value_typeEPNSP_ISK_E10value_typeEPSL_NS1_7vsmem_tEENKUlT_SJ_SK_SL_E_clIPiSE_SF_SF_EESI_SY_SJ_SK_SL_EUlSY_E0_NS1_11comp_targetILNS1_3genE0ELNS1_11target_archE4294967295ELNS1_3gpuE0ELNS1_3repE0EEENS1_38merge_mergepath_config_static_selectorELNS0_4arch9wavefront6targetE0EEEvSK_
                                        ; -- End function
	.set _ZN7rocprim17ROCPRIM_400000_NS6detail17trampoline_kernelINS0_14default_configENS1_38merge_sort_block_merge_config_selectorIiNS0_10empty_typeEEEZZNS1_27merge_sort_block_merge_implIS3_N6thrust23THRUST_200600_302600_NS6detail15normal_iteratorINS9_10device_ptrIiEEEEPS5_m11less_div_10IiEEE10hipError_tT0_T1_T2_jT3_P12ihipStream_tbPNSt15iterator_traitsISJ_E10value_typeEPNSP_ISK_E10value_typeEPSL_NS1_7vsmem_tEENKUlT_SJ_SK_SL_E_clIPiSE_SF_SF_EESI_SY_SJ_SK_SL_EUlSY_E0_NS1_11comp_targetILNS1_3genE0ELNS1_11target_archE4294967295ELNS1_3gpuE0ELNS1_3repE0EEENS1_38merge_mergepath_config_static_selectorELNS0_4arch9wavefront6targetE0EEEvSK_.num_vgpr, 0
	.set _ZN7rocprim17ROCPRIM_400000_NS6detail17trampoline_kernelINS0_14default_configENS1_38merge_sort_block_merge_config_selectorIiNS0_10empty_typeEEEZZNS1_27merge_sort_block_merge_implIS3_N6thrust23THRUST_200600_302600_NS6detail15normal_iteratorINS9_10device_ptrIiEEEEPS5_m11less_div_10IiEEE10hipError_tT0_T1_T2_jT3_P12ihipStream_tbPNSt15iterator_traitsISJ_E10value_typeEPNSP_ISK_E10value_typeEPSL_NS1_7vsmem_tEENKUlT_SJ_SK_SL_E_clIPiSE_SF_SF_EESI_SY_SJ_SK_SL_EUlSY_E0_NS1_11comp_targetILNS1_3genE0ELNS1_11target_archE4294967295ELNS1_3gpuE0ELNS1_3repE0EEENS1_38merge_mergepath_config_static_selectorELNS0_4arch9wavefront6targetE0EEEvSK_.num_agpr, 0
	.set _ZN7rocprim17ROCPRIM_400000_NS6detail17trampoline_kernelINS0_14default_configENS1_38merge_sort_block_merge_config_selectorIiNS0_10empty_typeEEEZZNS1_27merge_sort_block_merge_implIS3_N6thrust23THRUST_200600_302600_NS6detail15normal_iteratorINS9_10device_ptrIiEEEEPS5_m11less_div_10IiEEE10hipError_tT0_T1_T2_jT3_P12ihipStream_tbPNSt15iterator_traitsISJ_E10value_typeEPNSP_ISK_E10value_typeEPSL_NS1_7vsmem_tEENKUlT_SJ_SK_SL_E_clIPiSE_SF_SF_EESI_SY_SJ_SK_SL_EUlSY_E0_NS1_11comp_targetILNS1_3genE0ELNS1_11target_archE4294967295ELNS1_3gpuE0ELNS1_3repE0EEENS1_38merge_mergepath_config_static_selectorELNS0_4arch9wavefront6targetE0EEEvSK_.numbered_sgpr, 0
	.set _ZN7rocprim17ROCPRIM_400000_NS6detail17trampoline_kernelINS0_14default_configENS1_38merge_sort_block_merge_config_selectorIiNS0_10empty_typeEEEZZNS1_27merge_sort_block_merge_implIS3_N6thrust23THRUST_200600_302600_NS6detail15normal_iteratorINS9_10device_ptrIiEEEEPS5_m11less_div_10IiEEE10hipError_tT0_T1_T2_jT3_P12ihipStream_tbPNSt15iterator_traitsISJ_E10value_typeEPNSP_ISK_E10value_typeEPSL_NS1_7vsmem_tEENKUlT_SJ_SK_SL_E_clIPiSE_SF_SF_EESI_SY_SJ_SK_SL_EUlSY_E0_NS1_11comp_targetILNS1_3genE0ELNS1_11target_archE4294967295ELNS1_3gpuE0ELNS1_3repE0EEENS1_38merge_mergepath_config_static_selectorELNS0_4arch9wavefront6targetE0EEEvSK_.num_named_barrier, 0
	.set _ZN7rocprim17ROCPRIM_400000_NS6detail17trampoline_kernelINS0_14default_configENS1_38merge_sort_block_merge_config_selectorIiNS0_10empty_typeEEEZZNS1_27merge_sort_block_merge_implIS3_N6thrust23THRUST_200600_302600_NS6detail15normal_iteratorINS9_10device_ptrIiEEEEPS5_m11less_div_10IiEEE10hipError_tT0_T1_T2_jT3_P12ihipStream_tbPNSt15iterator_traitsISJ_E10value_typeEPNSP_ISK_E10value_typeEPSL_NS1_7vsmem_tEENKUlT_SJ_SK_SL_E_clIPiSE_SF_SF_EESI_SY_SJ_SK_SL_EUlSY_E0_NS1_11comp_targetILNS1_3genE0ELNS1_11target_archE4294967295ELNS1_3gpuE0ELNS1_3repE0EEENS1_38merge_mergepath_config_static_selectorELNS0_4arch9wavefront6targetE0EEEvSK_.private_seg_size, 0
	.set _ZN7rocprim17ROCPRIM_400000_NS6detail17trampoline_kernelINS0_14default_configENS1_38merge_sort_block_merge_config_selectorIiNS0_10empty_typeEEEZZNS1_27merge_sort_block_merge_implIS3_N6thrust23THRUST_200600_302600_NS6detail15normal_iteratorINS9_10device_ptrIiEEEEPS5_m11less_div_10IiEEE10hipError_tT0_T1_T2_jT3_P12ihipStream_tbPNSt15iterator_traitsISJ_E10value_typeEPNSP_ISK_E10value_typeEPSL_NS1_7vsmem_tEENKUlT_SJ_SK_SL_E_clIPiSE_SF_SF_EESI_SY_SJ_SK_SL_EUlSY_E0_NS1_11comp_targetILNS1_3genE0ELNS1_11target_archE4294967295ELNS1_3gpuE0ELNS1_3repE0EEENS1_38merge_mergepath_config_static_selectorELNS0_4arch9wavefront6targetE0EEEvSK_.uses_vcc, 0
	.set _ZN7rocprim17ROCPRIM_400000_NS6detail17trampoline_kernelINS0_14default_configENS1_38merge_sort_block_merge_config_selectorIiNS0_10empty_typeEEEZZNS1_27merge_sort_block_merge_implIS3_N6thrust23THRUST_200600_302600_NS6detail15normal_iteratorINS9_10device_ptrIiEEEEPS5_m11less_div_10IiEEE10hipError_tT0_T1_T2_jT3_P12ihipStream_tbPNSt15iterator_traitsISJ_E10value_typeEPNSP_ISK_E10value_typeEPSL_NS1_7vsmem_tEENKUlT_SJ_SK_SL_E_clIPiSE_SF_SF_EESI_SY_SJ_SK_SL_EUlSY_E0_NS1_11comp_targetILNS1_3genE0ELNS1_11target_archE4294967295ELNS1_3gpuE0ELNS1_3repE0EEENS1_38merge_mergepath_config_static_selectorELNS0_4arch9wavefront6targetE0EEEvSK_.uses_flat_scratch, 0
	.set _ZN7rocprim17ROCPRIM_400000_NS6detail17trampoline_kernelINS0_14default_configENS1_38merge_sort_block_merge_config_selectorIiNS0_10empty_typeEEEZZNS1_27merge_sort_block_merge_implIS3_N6thrust23THRUST_200600_302600_NS6detail15normal_iteratorINS9_10device_ptrIiEEEEPS5_m11less_div_10IiEEE10hipError_tT0_T1_T2_jT3_P12ihipStream_tbPNSt15iterator_traitsISJ_E10value_typeEPNSP_ISK_E10value_typeEPSL_NS1_7vsmem_tEENKUlT_SJ_SK_SL_E_clIPiSE_SF_SF_EESI_SY_SJ_SK_SL_EUlSY_E0_NS1_11comp_targetILNS1_3genE0ELNS1_11target_archE4294967295ELNS1_3gpuE0ELNS1_3repE0EEENS1_38merge_mergepath_config_static_selectorELNS0_4arch9wavefront6targetE0EEEvSK_.has_dyn_sized_stack, 0
	.set _ZN7rocprim17ROCPRIM_400000_NS6detail17trampoline_kernelINS0_14default_configENS1_38merge_sort_block_merge_config_selectorIiNS0_10empty_typeEEEZZNS1_27merge_sort_block_merge_implIS3_N6thrust23THRUST_200600_302600_NS6detail15normal_iteratorINS9_10device_ptrIiEEEEPS5_m11less_div_10IiEEE10hipError_tT0_T1_T2_jT3_P12ihipStream_tbPNSt15iterator_traitsISJ_E10value_typeEPNSP_ISK_E10value_typeEPSL_NS1_7vsmem_tEENKUlT_SJ_SK_SL_E_clIPiSE_SF_SF_EESI_SY_SJ_SK_SL_EUlSY_E0_NS1_11comp_targetILNS1_3genE0ELNS1_11target_archE4294967295ELNS1_3gpuE0ELNS1_3repE0EEENS1_38merge_mergepath_config_static_selectorELNS0_4arch9wavefront6targetE0EEEvSK_.has_recursion, 0
	.set _ZN7rocprim17ROCPRIM_400000_NS6detail17trampoline_kernelINS0_14default_configENS1_38merge_sort_block_merge_config_selectorIiNS0_10empty_typeEEEZZNS1_27merge_sort_block_merge_implIS3_N6thrust23THRUST_200600_302600_NS6detail15normal_iteratorINS9_10device_ptrIiEEEEPS5_m11less_div_10IiEEE10hipError_tT0_T1_T2_jT3_P12ihipStream_tbPNSt15iterator_traitsISJ_E10value_typeEPNSP_ISK_E10value_typeEPSL_NS1_7vsmem_tEENKUlT_SJ_SK_SL_E_clIPiSE_SF_SF_EESI_SY_SJ_SK_SL_EUlSY_E0_NS1_11comp_targetILNS1_3genE0ELNS1_11target_archE4294967295ELNS1_3gpuE0ELNS1_3repE0EEENS1_38merge_mergepath_config_static_selectorELNS0_4arch9wavefront6targetE0EEEvSK_.has_indirect_call, 0
	.section	.AMDGPU.csdata,"",@progbits
; Kernel info:
; codeLenInByte = 0
; TotalNumSgprs: 0
; NumVgprs: 0
; ScratchSize: 0
; MemoryBound: 0
; FloatMode: 240
; IeeeMode: 1
; LDSByteSize: 0 bytes/workgroup (compile time only)
; SGPRBlocks: 0
; VGPRBlocks: 0
; NumSGPRsForWavesPerEU: 1
; NumVGPRsForWavesPerEU: 1
; Occupancy: 16
; WaveLimiterHint : 0
; COMPUTE_PGM_RSRC2:SCRATCH_EN: 0
; COMPUTE_PGM_RSRC2:USER_SGPR: 6
; COMPUTE_PGM_RSRC2:TRAP_HANDLER: 0
; COMPUTE_PGM_RSRC2:TGID_X_EN: 1
; COMPUTE_PGM_RSRC2:TGID_Y_EN: 0
; COMPUTE_PGM_RSRC2:TGID_Z_EN: 0
; COMPUTE_PGM_RSRC2:TIDIG_COMP_CNT: 0
	.section	.text._ZN7rocprim17ROCPRIM_400000_NS6detail17trampoline_kernelINS0_14default_configENS1_38merge_sort_block_merge_config_selectorIiNS0_10empty_typeEEEZZNS1_27merge_sort_block_merge_implIS3_N6thrust23THRUST_200600_302600_NS6detail15normal_iteratorINS9_10device_ptrIiEEEEPS5_m11less_div_10IiEEE10hipError_tT0_T1_T2_jT3_P12ihipStream_tbPNSt15iterator_traitsISJ_E10value_typeEPNSP_ISK_E10value_typeEPSL_NS1_7vsmem_tEENKUlT_SJ_SK_SL_E_clIPiSE_SF_SF_EESI_SY_SJ_SK_SL_EUlSY_E0_NS1_11comp_targetILNS1_3genE10ELNS1_11target_archE1201ELNS1_3gpuE5ELNS1_3repE0EEENS1_38merge_mergepath_config_static_selectorELNS0_4arch9wavefront6targetE0EEEvSK_,"axG",@progbits,_ZN7rocprim17ROCPRIM_400000_NS6detail17trampoline_kernelINS0_14default_configENS1_38merge_sort_block_merge_config_selectorIiNS0_10empty_typeEEEZZNS1_27merge_sort_block_merge_implIS3_N6thrust23THRUST_200600_302600_NS6detail15normal_iteratorINS9_10device_ptrIiEEEEPS5_m11less_div_10IiEEE10hipError_tT0_T1_T2_jT3_P12ihipStream_tbPNSt15iterator_traitsISJ_E10value_typeEPNSP_ISK_E10value_typeEPSL_NS1_7vsmem_tEENKUlT_SJ_SK_SL_E_clIPiSE_SF_SF_EESI_SY_SJ_SK_SL_EUlSY_E0_NS1_11comp_targetILNS1_3genE10ELNS1_11target_archE1201ELNS1_3gpuE5ELNS1_3repE0EEENS1_38merge_mergepath_config_static_selectorELNS0_4arch9wavefront6targetE0EEEvSK_,comdat
	.protected	_ZN7rocprim17ROCPRIM_400000_NS6detail17trampoline_kernelINS0_14default_configENS1_38merge_sort_block_merge_config_selectorIiNS0_10empty_typeEEEZZNS1_27merge_sort_block_merge_implIS3_N6thrust23THRUST_200600_302600_NS6detail15normal_iteratorINS9_10device_ptrIiEEEEPS5_m11less_div_10IiEEE10hipError_tT0_T1_T2_jT3_P12ihipStream_tbPNSt15iterator_traitsISJ_E10value_typeEPNSP_ISK_E10value_typeEPSL_NS1_7vsmem_tEENKUlT_SJ_SK_SL_E_clIPiSE_SF_SF_EESI_SY_SJ_SK_SL_EUlSY_E0_NS1_11comp_targetILNS1_3genE10ELNS1_11target_archE1201ELNS1_3gpuE5ELNS1_3repE0EEENS1_38merge_mergepath_config_static_selectorELNS0_4arch9wavefront6targetE0EEEvSK_ ; -- Begin function _ZN7rocprim17ROCPRIM_400000_NS6detail17trampoline_kernelINS0_14default_configENS1_38merge_sort_block_merge_config_selectorIiNS0_10empty_typeEEEZZNS1_27merge_sort_block_merge_implIS3_N6thrust23THRUST_200600_302600_NS6detail15normal_iteratorINS9_10device_ptrIiEEEEPS5_m11less_div_10IiEEE10hipError_tT0_T1_T2_jT3_P12ihipStream_tbPNSt15iterator_traitsISJ_E10value_typeEPNSP_ISK_E10value_typeEPSL_NS1_7vsmem_tEENKUlT_SJ_SK_SL_E_clIPiSE_SF_SF_EESI_SY_SJ_SK_SL_EUlSY_E0_NS1_11comp_targetILNS1_3genE10ELNS1_11target_archE1201ELNS1_3gpuE5ELNS1_3repE0EEENS1_38merge_mergepath_config_static_selectorELNS0_4arch9wavefront6targetE0EEEvSK_
	.globl	_ZN7rocprim17ROCPRIM_400000_NS6detail17trampoline_kernelINS0_14default_configENS1_38merge_sort_block_merge_config_selectorIiNS0_10empty_typeEEEZZNS1_27merge_sort_block_merge_implIS3_N6thrust23THRUST_200600_302600_NS6detail15normal_iteratorINS9_10device_ptrIiEEEEPS5_m11less_div_10IiEEE10hipError_tT0_T1_T2_jT3_P12ihipStream_tbPNSt15iterator_traitsISJ_E10value_typeEPNSP_ISK_E10value_typeEPSL_NS1_7vsmem_tEENKUlT_SJ_SK_SL_E_clIPiSE_SF_SF_EESI_SY_SJ_SK_SL_EUlSY_E0_NS1_11comp_targetILNS1_3genE10ELNS1_11target_archE1201ELNS1_3gpuE5ELNS1_3repE0EEENS1_38merge_mergepath_config_static_selectorELNS0_4arch9wavefront6targetE0EEEvSK_
	.p2align	8
	.type	_ZN7rocprim17ROCPRIM_400000_NS6detail17trampoline_kernelINS0_14default_configENS1_38merge_sort_block_merge_config_selectorIiNS0_10empty_typeEEEZZNS1_27merge_sort_block_merge_implIS3_N6thrust23THRUST_200600_302600_NS6detail15normal_iteratorINS9_10device_ptrIiEEEEPS5_m11less_div_10IiEEE10hipError_tT0_T1_T2_jT3_P12ihipStream_tbPNSt15iterator_traitsISJ_E10value_typeEPNSP_ISK_E10value_typeEPSL_NS1_7vsmem_tEENKUlT_SJ_SK_SL_E_clIPiSE_SF_SF_EESI_SY_SJ_SK_SL_EUlSY_E0_NS1_11comp_targetILNS1_3genE10ELNS1_11target_archE1201ELNS1_3gpuE5ELNS1_3repE0EEENS1_38merge_mergepath_config_static_selectorELNS0_4arch9wavefront6targetE0EEEvSK_,@function
_ZN7rocprim17ROCPRIM_400000_NS6detail17trampoline_kernelINS0_14default_configENS1_38merge_sort_block_merge_config_selectorIiNS0_10empty_typeEEEZZNS1_27merge_sort_block_merge_implIS3_N6thrust23THRUST_200600_302600_NS6detail15normal_iteratorINS9_10device_ptrIiEEEEPS5_m11less_div_10IiEEE10hipError_tT0_T1_T2_jT3_P12ihipStream_tbPNSt15iterator_traitsISJ_E10value_typeEPNSP_ISK_E10value_typeEPSL_NS1_7vsmem_tEENKUlT_SJ_SK_SL_E_clIPiSE_SF_SF_EESI_SY_SJ_SK_SL_EUlSY_E0_NS1_11comp_targetILNS1_3genE10ELNS1_11target_archE1201ELNS1_3gpuE5ELNS1_3repE0EEENS1_38merge_mergepath_config_static_selectorELNS0_4arch9wavefront6targetE0EEEvSK_: ; @_ZN7rocprim17ROCPRIM_400000_NS6detail17trampoline_kernelINS0_14default_configENS1_38merge_sort_block_merge_config_selectorIiNS0_10empty_typeEEEZZNS1_27merge_sort_block_merge_implIS3_N6thrust23THRUST_200600_302600_NS6detail15normal_iteratorINS9_10device_ptrIiEEEEPS5_m11less_div_10IiEEE10hipError_tT0_T1_T2_jT3_P12ihipStream_tbPNSt15iterator_traitsISJ_E10value_typeEPNSP_ISK_E10value_typeEPSL_NS1_7vsmem_tEENKUlT_SJ_SK_SL_E_clIPiSE_SF_SF_EESI_SY_SJ_SK_SL_EUlSY_E0_NS1_11comp_targetILNS1_3genE10ELNS1_11target_archE1201ELNS1_3gpuE5ELNS1_3repE0EEENS1_38merge_mergepath_config_static_selectorELNS0_4arch9wavefront6targetE0EEEvSK_
; %bb.0:
	.section	.rodata,"a",@progbits
	.p2align	6, 0x0
	.amdhsa_kernel _ZN7rocprim17ROCPRIM_400000_NS6detail17trampoline_kernelINS0_14default_configENS1_38merge_sort_block_merge_config_selectorIiNS0_10empty_typeEEEZZNS1_27merge_sort_block_merge_implIS3_N6thrust23THRUST_200600_302600_NS6detail15normal_iteratorINS9_10device_ptrIiEEEEPS5_m11less_div_10IiEEE10hipError_tT0_T1_T2_jT3_P12ihipStream_tbPNSt15iterator_traitsISJ_E10value_typeEPNSP_ISK_E10value_typeEPSL_NS1_7vsmem_tEENKUlT_SJ_SK_SL_E_clIPiSE_SF_SF_EESI_SY_SJ_SK_SL_EUlSY_E0_NS1_11comp_targetILNS1_3genE10ELNS1_11target_archE1201ELNS1_3gpuE5ELNS1_3repE0EEENS1_38merge_mergepath_config_static_selectorELNS0_4arch9wavefront6targetE0EEEvSK_
		.amdhsa_group_segment_fixed_size 0
		.amdhsa_private_segment_fixed_size 0
		.amdhsa_kernarg_size 72
		.amdhsa_user_sgpr_count 6
		.amdhsa_user_sgpr_private_segment_buffer 1
		.amdhsa_user_sgpr_dispatch_ptr 0
		.amdhsa_user_sgpr_queue_ptr 0
		.amdhsa_user_sgpr_kernarg_segment_ptr 1
		.amdhsa_user_sgpr_dispatch_id 0
		.amdhsa_user_sgpr_flat_scratch_init 0
		.amdhsa_user_sgpr_private_segment_size 0
		.amdhsa_wavefront_size32 1
		.amdhsa_uses_dynamic_stack 0
		.amdhsa_system_sgpr_private_segment_wavefront_offset 0
		.amdhsa_system_sgpr_workgroup_id_x 1
		.amdhsa_system_sgpr_workgroup_id_y 0
		.amdhsa_system_sgpr_workgroup_id_z 0
		.amdhsa_system_sgpr_workgroup_info 0
		.amdhsa_system_vgpr_workitem_id 0
		.amdhsa_next_free_vgpr 1
		.amdhsa_next_free_sgpr 1
		.amdhsa_reserve_vcc 0
		.amdhsa_reserve_flat_scratch 0
		.amdhsa_float_round_mode_32 0
		.amdhsa_float_round_mode_16_64 0
		.amdhsa_float_denorm_mode_32 3
		.amdhsa_float_denorm_mode_16_64 3
		.amdhsa_dx10_clamp 1
		.amdhsa_ieee_mode 1
		.amdhsa_fp16_overflow 0
		.amdhsa_workgroup_processor_mode 1
		.amdhsa_memory_ordered 1
		.amdhsa_forward_progress 1
		.amdhsa_shared_vgpr_count 0
		.amdhsa_exception_fp_ieee_invalid_op 0
		.amdhsa_exception_fp_denorm_src 0
		.amdhsa_exception_fp_ieee_div_zero 0
		.amdhsa_exception_fp_ieee_overflow 0
		.amdhsa_exception_fp_ieee_underflow 0
		.amdhsa_exception_fp_ieee_inexact 0
		.amdhsa_exception_int_div_zero 0
	.end_amdhsa_kernel
	.section	.text._ZN7rocprim17ROCPRIM_400000_NS6detail17trampoline_kernelINS0_14default_configENS1_38merge_sort_block_merge_config_selectorIiNS0_10empty_typeEEEZZNS1_27merge_sort_block_merge_implIS3_N6thrust23THRUST_200600_302600_NS6detail15normal_iteratorINS9_10device_ptrIiEEEEPS5_m11less_div_10IiEEE10hipError_tT0_T1_T2_jT3_P12ihipStream_tbPNSt15iterator_traitsISJ_E10value_typeEPNSP_ISK_E10value_typeEPSL_NS1_7vsmem_tEENKUlT_SJ_SK_SL_E_clIPiSE_SF_SF_EESI_SY_SJ_SK_SL_EUlSY_E0_NS1_11comp_targetILNS1_3genE10ELNS1_11target_archE1201ELNS1_3gpuE5ELNS1_3repE0EEENS1_38merge_mergepath_config_static_selectorELNS0_4arch9wavefront6targetE0EEEvSK_,"axG",@progbits,_ZN7rocprim17ROCPRIM_400000_NS6detail17trampoline_kernelINS0_14default_configENS1_38merge_sort_block_merge_config_selectorIiNS0_10empty_typeEEEZZNS1_27merge_sort_block_merge_implIS3_N6thrust23THRUST_200600_302600_NS6detail15normal_iteratorINS9_10device_ptrIiEEEEPS5_m11less_div_10IiEEE10hipError_tT0_T1_T2_jT3_P12ihipStream_tbPNSt15iterator_traitsISJ_E10value_typeEPNSP_ISK_E10value_typeEPSL_NS1_7vsmem_tEENKUlT_SJ_SK_SL_E_clIPiSE_SF_SF_EESI_SY_SJ_SK_SL_EUlSY_E0_NS1_11comp_targetILNS1_3genE10ELNS1_11target_archE1201ELNS1_3gpuE5ELNS1_3repE0EEENS1_38merge_mergepath_config_static_selectorELNS0_4arch9wavefront6targetE0EEEvSK_,comdat
.Lfunc_end438:
	.size	_ZN7rocprim17ROCPRIM_400000_NS6detail17trampoline_kernelINS0_14default_configENS1_38merge_sort_block_merge_config_selectorIiNS0_10empty_typeEEEZZNS1_27merge_sort_block_merge_implIS3_N6thrust23THRUST_200600_302600_NS6detail15normal_iteratorINS9_10device_ptrIiEEEEPS5_m11less_div_10IiEEE10hipError_tT0_T1_T2_jT3_P12ihipStream_tbPNSt15iterator_traitsISJ_E10value_typeEPNSP_ISK_E10value_typeEPSL_NS1_7vsmem_tEENKUlT_SJ_SK_SL_E_clIPiSE_SF_SF_EESI_SY_SJ_SK_SL_EUlSY_E0_NS1_11comp_targetILNS1_3genE10ELNS1_11target_archE1201ELNS1_3gpuE5ELNS1_3repE0EEENS1_38merge_mergepath_config_static_selectorELNS0_4arch9wavefront6targetE0EEEvSK_, .Lfunc_end438-_ZN7rocprim17ROCPRIM_400000_NS6detail17trampoline_kernelINS0_14default_configENS1_38merge_sort_block_merge_config_selectorIiNS0_10empty_typeEEEZZNS1_27merge_sort_block_merge_implIS3_N6thrust23THRUST_200600_302600_NS6detail15normal_iteratorINS9_10device_ptrIiEEEEPS5_m11less_div_10IiEEE10hipError_tT0_T1_T2_jT3_P12ihipStream_tbPNSt15iterator_traitsISJ_E10value_typeEPNSP_ISK_E10value_typeEPSL_NS1_7vsmem_tEENKUlT_SJ_SK_SL_E_clIPiSE_SF_SF_EESI_SY_SJ_SK_SL_EUlSY_E0_NS1_11comp_targetILNS1_3genE10ELNS1_11target_archE1201ELNS1_3gpuE5ELNS1_3repE0EEENS1_38merge_mergepath_config_static_selectorELNS0_4arch9wavefront6targetE0EEEvSK_
                                        ; -- End function
	.set _ZN7rocprim17ROCPRIM_400000_NS6detail17trampoline_kernelINS0_14default_configENS1_38merge_sort_block_merge_config_selectorIiNS0_10empty_typeEEEZZNS1_27merge_sort_block_merge_implIS3_N6thrust23THRUST_200600_302600_NS6detail15normal_iteratorINS9_10device_ptrIiEEEEPS5_m11less_div_10IiEEE10hipError_tT0_T1_T2_jT3_P12ihipStream_tbPNSt15iterator_traitsISJ_E10value_typeEPNSP_ISK_E10value_typeEPSL_NS1_7vsmem_tEENKUlT_SJ_SK_SL_E_clIPiSE_SF_SF_EESI_SY_SJ_SK_SL_EUlSY_E0_NS1_11comp_targetILNS1_3genE10ELNS1_11target_archE1201ELNS1_3gpuE5ELNS1_3repE0EEENS1_38merge_mergepath_config_static_selectorELNS0_4arch9wavefront6targetE0EEEvSK_.num_vgpr, 0
	.set _ZN7rocprim17ROCPRIM_400000_NS6detail17trampoline_kernelINS0_14default_configENS1_38merge_sort_block_merge_config_selectorIiNS0_10empty_typeEEEZZNS1_27merge_sort_block_merge_implIS3_N6thrust23THRUST_200600_302600_NS6detail15normal_iteratorINS9_10device_ptrIiEEEEPS5_m11less_div_10IiEEE10hipError_tT0_T1_T2_jT3_P12ihipStream_tbPNSt15iterator_traitsISJ_E10value_typeEPNSP_ISK_E10value_typeEPSL_NS1_7vsmem_tEENKUlT_SJ_SK_SL_E_clIPiSE_SF_SF_EESI_SY_SJ_SK_SL_EUlSY_E0_NS1_11comp_targetILNS1_3genE10ELNS1_11target_archE1201ELNS1_3gpuE5ELNS1_3repE0EEENS1_38merge_mergepath_config_static_selectorELNS0_4arch9wavefront6targetE0EEEvSK_.num_agpr, 0
	.set _ZN7rocprim17ROCPRIM_400000_NS6detail17trampoline_kernelINS0_14default_configENS1_38merge_sort_block_merge_config_selectorIiNS0_10empty_typeEEEZZNS1_27merge_sort_block_merge_implIS3_N6thrust23THRUST_200600_302600_NS6detail15normal_iteratorINS9_10device_ptrIiEEEEPS5_m11less_div_10IiEEE10hipError_tT0_T1_T2_jT3_P12ihipStream_tbPNSt15iterator_traitsISJ_E10value_typeEPNSP_ISK_E10value_typeEPSL_NS1_7vsmem_tEENKUlT_SJ_SK_SL_E_clIPiSE_SF_SF_EESI_SY_SJ_SK_SL_EUlSY_E0_NS1_11comp_targetILNS1_3genE10ELNS1_11target_archE1201ELNS1_3gpuE5ELNS1_3repE0EEENS1_38merge_mergepath_config_static_selectorELNS0_4arch9wavefront6targetE0EEEvSK_.numbered_sgpr, 0
	.set _ZN7rocprim17ROCPRIM_400000_NS6detail17trampoline_kernelINS0_14default_configENS1_38merge_sort_block_merge_config_selectorIiNS0_10empty_typeEEEZZNS1_27merge_sort_block_merge_implIS3_N6thrust23THRUST_200600_302600_NS6detail15normal_iteratorINS9_10device_ptrIiEEEEPS5_m11less_div_10IiEEE10hipError_tT0_T1_T2_jT3_P12ihipStream_tbPNSt15iterator_traitsISJ_E10value_typeEPNSP_ISK_E10value_typeEPSL_NS1_7vsmem_tEENKUlT_SJ_SK_SL_E_clIPiSE_SF_SF_EESI_SY_SJ_SK_SL_EUlSY_E0_NS1_11comp_targetILNS1_3genE10ELNS1_11target_archE1201ELNS1_3gpuE5ELNS1_3repE0EEENS1_38merge_mergepath_config_static_selectorELNS0_4arch9wavefront6targetE0EEEvSK_.num_named_barrier, 0
	.set _ZN7rocprim17ROCPRIM_400000_NS6detail17trampoline_kernelINS0_14default_configENS1_38merge_sort_block_merge_config_selectorIiNS0_10empty_typeEEEZZNS1_27merge_sort_block_merge_implIS3_N6thrust23THRUST_200600_302600_NS6detail15normal_iteratorINS9_10device_ptrIiEEEEPS5_m11less_div_10IiEEE10hipError_tT0_T1_T2_jT3_P12ihipStream_tbPNSt15iterator_traitsISJ_E10value_typeEPNSP_ISK_E10value_typeEPSL_NS1_7vsmem_tEENKUlT_SJ_SK_SL_E_clIPiSE_SF_SF_EESI_SY_SJ_SK_SL_EUlSY_E0_NS1_11comp_targetILNS1_3genE10ELNS1_11target_archE1201ELNS1_3gpuE5ELNS1_3repE0EEENS1_38merge_mergepath_config_static_selectorELNS0_4arch9wavefront6targetE0EEEvSK_.private_seg_size, 0
	.set _ZN7rocprim17ROCPRIM_400000_NS6detail17trampoline_kernelINS0_14default_configENS1_38merge_sort_block_merge_config_selectorIiNS0_10empty_typeEEEZZNS1_27merge_sort_block_merge_implIS3_N6thrust23THRUST_200600_302600_NS6detail15normal_iteratorINS9_10device_ptrIiEEEEPS5_m11less_div_10IiEEE10hipError_tT0_T1_T2_jT3_P12ihipStream_tbPNSt15iterator_traitsISJ_E10value_typeEPNSP_ISK_E10value_typeEPSL_NS1_7vsmem_tEENKUlT_SJ_SK_SL_E_clIPiSE_SF_SF_EESI_SY_SJ_SK_SL_EUlSY_E0_NS1_11comp_targetILNS1_3genE10ELNS1_11target_archE1201ELNS1_3gpuE5ELNS1_3repE0EEENS1_38merge_mergepath_config_static_selectorELNS0_4arch9wavefront6targetE0EEEvSK_.uses_vcc, 0
	.set _ZN7rocprim17ROCPRIM_400000_NS6detail17trampoline_kernelINS0_14default_configENS1_38merge_sort_block_merge_config_selectorIiNS0_10empty_typeEEEZZNS1_27merge_sort_block_merge_implIS3_N6thrust23THRUST_200600_302600_NS6detail15normal_iteratorINS9_10device_ptrIiEEEEPS5_m11less_div_10IiEEE10hipError_tT0_T1_T2_jT3_P12ihipStream_tbPNSt15iterator_traitsISJ_E10value_typeEPNSP_ISK_E10value_typeEPSL_NS1_7vsmem_tEENKUlT_SJ_SK_SL_E_clIPiSE_SF_SF_EESI_SY_SJ_SK_SL_EUlSY_E0_NS1_11comp_targetILNS1_3genE10ELNS1_11target_archE1201ELNS1_3gpuE5ELNS1_3repE0EEENS1_38merge_mergepath_config_static_selectorELNS0_4arch9wavefront6targetE0EEEvSK_.uses_flat_scratch, 0
	.set _ZN7rocprim17ROCPRIM_400000_NS6detail17trampoline_kernelINS0_14default_configENS1_38merge_sort_block_merge_config_selectorIiNS0_10empty_typeEEEZZNS1_27merge_sort_block_merge_implIS3_N6thrust23THRUST_200600_302600_NS6detail15normal_iteratorINS9_10device_ptrIiEEEEPS5_m11less_div_10IiEEE10hipError_tT0_T1_T2_jT3_P12ihipStream_tbPNSt15iterator_traitsISJ_E10value_typeEPNSP_ISK_E10value_typeEPSL_NS1_7vsmem_tEENKUlT_SJ_SK_SL_E_clIPiSE_SF_SF_EESI_SY_SJ_SK_SL_EUlSY_E0_NS1_11comp_targetILNS1_3genE10ELNS1_11target_archE1201ELNS1_3gpuE5ELNS1_3repE0EEENS1_38merge_mergepath_config_static_selectorELNS0_4arch9wavefront6targetE0EEEvSK_.has_dyn_sized_stack, 0
	.set _ZN7rocprim17ROCPRIM_400000_NS6detail17trampoline_kernelINS0_14default_configENS1_38merge_sort_block_merge_config_selectorIiNS0_10empty_typeEEEZZNS1_27merge_sort_block_merge_implIS3_N6thrust23THRUST_200600_302600_NS6detail15normal_iteratorINS9_10device_ptrIiEEEEPS5_m11less_div_10IiEEE10hipError_tT0_T1_T2_jT3_P12ihipStream_tbPNSt15iterator_traitsISJ_E10value_typeEPNSP_ISK_E10value_typeEPSL_NS1_7vsmem_tEENKUlT_SJ_SK_SL_E_clIPiSE_SF_SF_EESI_SY_SJ_SK_SL_EUlSY_E0_NS1_11comp_targetILNS1_3genE10ELNS1_11target_archE1201ELNS1_3gpuE5ELNS1_3repE0EEENS1_38merge_mergepath_config_static_selectorELNS0_4arch9wavefront6targetE0EEEvSK_.has_recursion, 0
	.set _ZN7rocprim17ROCPRIM_400000_NS6detail17trampoline_kernelINS0_14default_configENS1_38merge_sort_block_merge_config_selectorIiNS0_10empty_typeEEEZZNS1_27merge_sort_block_merge_implIS3_N6thrust23THRUST_200600_302600_NS6detail15normal_iteratorINS9_10device_ptrIiEEEEPS5_m11less_div_10IiEEE10hipError_tT0_T1_T2_jT3_P12ihipStream_tbPNSt15iterator_traitsISJ_E10value_typeEPNSP_ISK_E10value_typeEPSL_NS1_7vsmem_tEENKUlT_SJ_SK_SL_E_clIPiSE_SF_SF_EESI_SY_SJ_SK_SL_EUlSY_E0_NS1_11comp_targetILNS1_3genE10ELNS1_11target_archE1201ELNS1_3gpuE5ELNS1_3repE0EEENS1_38merge_mergepath_config_static_selectorELNS0_4arch9wavefront6targetE0EEEvSK_.has_indirect_call, 0
	.section	.AMDGPU.csdata,"",@progbits
; Kernel info:
; codeLenInByte = 0
; TotalNumSgprs: 0
; NumVgprs: 0
; ScratchSize: 0
; MemoryBound: 0
; FloatMode: 240
; IeeeMode: 1
; LDSByteSize: 0 bytes/workgroup (compile time only)
; SGPRBlocks: 0
; VGPRBlocks: 0
; NumSGPRsForWavesPerEU: 1
; NumVGPRsForWavesPerEU: 1
; Occupancy: 16
; WaveLimiterHint : 0
; COMPUTE_PGM_RSRC2:SCRATCH_EN: 0
; COMPUTE_PGM_RSRC2:USER_SGPR: 6
; COMPUTE_PGM_RSRC2:TRAP_HANDLER: 0
; COMPUTE_PGM_RSRC2:TGID_X_EN: 1
; COMPUTE_PGM_RSRC2:TGID_Y_EN: 0
; COMPUTE_PGM_RSRC2:TGID_Z_EN: 0
; COMPUTE_PGM_RSRC2:TIDIG_COMP_CNT: 0
	.section	.text._ZN7rocprim17ROCPRIM_400000_NS6detail17trampoline_kernelINS0_14default_configENS1_38merge_sort_block_merge_config_selectorIiNS0_10empty_typeEEEZZNS1_27merge_sort_block_merge_implIS3_N6thrust23THRUST_200600_302600_NS6detail15normal_iteratorINS9_10device_ptrIiEEEEPS5_m11less_div_10IiEEE10hipError_tT0_T1_T2_jT3_P12ihipStream_tbPNSt15iterator_traitsISJ_E10value_typeEPNSP_ISK_E10value_typeEPSL_NS1_7vsmem_tEENKUlT_SJ_SK_SL_E_clIPiSE_SF_SF_EESI_SY_SJ_SK_SL_EUlSY_E0_NS1_11comp_targetILNS1_3genE5ELNS1_11target_archE942ELNS1_3gpuE9ELNS1_3repE0EEENS1_38merge_mergepath_config_static_selectorELNS0_4arch9wavefront6targetE0EEEvSK_,"axG",@progbits,_ZN7rocprim17ROCPRIM_400000_NS6detail17trampoline_kernelINS0_14default_configENS1_38merge_sort_block_merge_config_selectorIiNS0_10empty_typeEEEZZNS1_27merge_sort_block_merge_implIS3_N6thrust23THRUST_200600_302600_NS6detail15normal_iteratorINS9_10device_ptrIiEEEEPS5_m11less_div_10IiEEE10hipError_tT0_T1_T2_jT3_P12ihipStream_tbPNSt15iterator_traitsISJ_E10value_typeEPNSP_ISK_E10value_typeEPSL_NS1_7vsmem_tEENKUlT_SJ_SK_SL_E_clIPiSE_SF_SF_EESI_SY_SJ_SK_SL_EUlSY_E0_NS1_11comp_targetILNS1_3genE5ELNS1_11target_archE942ELNS1_3gpuE9ELNS1_3repE0EEENS1_38merge_mergepath_config_static_selectorELNS0_4arch9wavefront6targetE0EEEvSK_,comdat
	.protected	_ZN7rocprim17ROCPRIM_400000_NS6detail17trampoline_kernelINS0_14default_configENS1_38merge_sort_block_merge_config_selectorIiNS0_10empty_typeEEEZZNS1_27merge_sort_block_merge_implIS3_N6thrust23THRUST_200600_302600_NS6detail15normal_iteratorINS9_10device_ptrIiEEEEPS5_m11less_div_10IiEEE10hipError_tT0_T1_T2_jT3_P12ihipStream_tbPNSt15iterator_traitsISJ_E10value_typeEPNSP_ISK_E10value_typeEPSL_NS1_7vsmem_tEENKUlT_SJ_SK_SL_E_clIPiSE_SF_SF_EESI_SY_SJ_SK_SL_EUlSY_E0_NS1_11comp_targetILNS1_3genE5ELNS1_11target_archE942ELNS1_3gpuE9ELNS1_3repE0EEENS1_38merge_mergepath_config_static_selectorELNS0_4arch9wavefront6targetE0EEEvSK_ ; -- Begin function _ZN7rocprim17ROCPRIM_400000_NS6detail17trampoline_kernelINS0_14default_configENS1_38merge_sort_block_merge_config_selectorIiNS0_10empty_typeEEEZZNS1_27merge_sort_block_merge_implIS3_N6thrust23THRUST_200600_302600_NS6detail15normal_iteratorINS9_10device_ptrIiEEEEPS5_m11less_div_10IiEEE10hipError_tT0_T1_T2_jT3_P12ihipStream_tbPNSt15iterator_traitsISJ_E10value_typeEPNSP_ISK_E10value_typeEPSL_NS1_7vsmem_tEENKUlT_SJ_SK_SL_E_clIPiSE_SF_SF_EESI_SY_SJ_SK_SL_EUlSY_E0_NS1_11comp_targetILNS1_3genE5ELNS1_11target_archE942ELNS1_3gpuE9ELNS1_3repE0EEENS1_38merge_mergepath_config_static_selectorELNS0_4arch9wavefront6targetE0EEEvSK_
	.globl	_ZN7rocprim17ROCPRIM_400000_NS6detail17trampoline_kernelINS0_14default_configENS1_38merge_sort_block_merge_config_selectorIiNS0_10empty_typeEEEZZNS1_27merge_sort_block_merge_implIS3_N6thrust23THRUST_200600_302600_NS6detail15normal_iteratorINS9_10device_ptrIiEEEEPS5_m11less_div_10IiEEE10hipError_tT0_T1_T2_jT3_P12ihipStream_tbPNSt15iterator_traitsISJ_E10value_typeEPNSP_ISK_E10value_typeEPSL_NS1_7vsmem_tEENKUlT_SJ_SK_SL_E_clIPiSE_SF_SF_EESI_SY_SJ_SK_SL_EUlSY_E0_NS1_11comp_targetILNS1_3genE5ELNS1_11target_archE942ELNS1_3gpuE9ELNS1_3repE0EEENS1_38merge_mergepath_config_static_selectorELNS0_4arch9wavefront6targetE0EEEvSK_
	.p2align	8
	.type	_ZN7rocprim17ROCPRIM_400000_NS6detail17trampoline_kernelINS0_14default_configENS1_38merge_sort_block_merge_config_selectorIiNS0_10empty_typeEEEZZNS1_27merge_sort_block_merge_implIS3_N6thrust23THRUST_200600_302600_NS6detail15normal_iteratorINS9_10device_ptrIiEEEEPS5_m11less_div_10IiEEE10hipError_tT0_T1_T2_jT3_P12ihipStream_tbPNSt15iterator_traitsISJ_E10value_typeEPNSP_ISK_E10value_typeEPSL_NS1_7vsmem_tEENKUlT_SJ_SK_SL_E_clIPiSE_SF_SF_EESI_SY_SJ_SK_SL_EUlSY_E0_NS1_11comp_targetILNS1_3genE5ELNS1_11target_archE942ELNS1_3gpuE9ELNS1_3repE0EEENS1_38merge_mergepath_config_static_selectorELNS0_4arch9wavefront6targetE0EEEvSK_,@function
_ZN7rocprim17ROCPRIM_400000_NS6detail17trampoline_kernelINS0_14default_configENS1_38merge_sort_block_merge_config_selectorIiNS0_10empty_typeEEEZZNS1_27merge_sort_block_merge_implIS3_N6thrust23THRUST_200600_302600_NS6detail15normal_iteratorINS9_10device_ptrIiEEEEPS5_m11less_div_10IiEEE10hipError_tT0_T1_T2_jT3_P12ihipStream_tbPNSt15iterator_traitsISJ_E10value_typeEPNSP_ISK_E10value_typeEPSL_NS1_7vsmem_tEENKUlT_SJ_SK_SL_E_clIPiSE_SF_SF_EESI_SY_SJ_SK_SL_EUlSY_E0_NS1_11comp_targetILNS1_3genE5ELNS1_11target_archE942ELNS1_3gpuE9ELNS1_3repE0EEENS1_38merge_mergepath_config_static_selectorELNS0_4arch9wavefront6targetE0EEEvSK_: ; @_ZN7rocprim17ROCPRIM_400000_NS6detail17trampoline_kernelINS0_14default_configENS1_38merge_sort_block_merge_config_selectorIiNS0_10empty_typeEEEZZNS1_27merge_sort_block_merge_implIS3_N6thrust23THRUST_200600_302600_NS6detail15normal_iteratorINS9_10device_ptrIiEEEEPS5_m11less_div_10IiEEE10hipError_tT0_T1_T2_jT3_P12ihipStream_tbPNSt15iterator_traitsISJ_E10value_typeEPNSP_ISK_E10value_typeEPSL_NS1_7vsmem_tEENKUlT_SJ_SK_SL_E_clIPiSE_SF_SF_EESI_SY_SJ_SK_SL_EUlSY_E0_NS1_11comp_targetILNS1_3genE5ELNS1_11target_archE942ELNS1_3gpuE9ELNS1_3repE0EEENS1_38merge_mergepath_config_static_selectorELNS0_4arch9wavefront6targetE0EEEvSK_
; %bb.0:
	.section	.rodata,"a",@progbits
	.p2align	6, 0x0
	.amdhsa_kernel _ZN7rocprim17ROCPRIM_400000_NS6detail17trampoline_kernelINS0_14default_configENS1_38merge_sort_block_merge_config_selectorIiNS0_10empty_typeEEEZZNS1_27merge_sort_block_merge_implIS3_N6thrust23THRUST_200600_302600_NS6detail15normal_iteratorINS9_10device_ptrIiEEEEPS5_m11less_div_10IiEEE10hipError_tT0_T1_T2_jT3_P12ihipStream_tbPNSt15iterator_traitsISJ_E10value_typeEPNSP_ISK_E10value_typeEPSL_NS1_7vsmem_tEENKUlT_SJ_SK_SL_E_clIPiSE_SF_SF_EESI_SY_SJ_SK_SL_EUlSY_E0_NS1_11comp_targetILNS1_3genE5ELNS1_11target_archE942ELNS1_3gpuE9ELNS1_3repE0EEENS1_38merge_mergepath_config_static_selectorELNS0_4arch9wavefront6targetE0EEEvSK_
		.amdhsa_group_segment_fixed_size 0
		.amdhsa_private_segment_fixed_size 0
		.amdhsa_kernarg_size 72
		.amdhsa_user_sgpr_count 6
		.amdhsa_user_sgpr_private_segment_buffer 1
		.amdhsa_user_sgpr_dispatch_ptr 0
		.amdhsa_user_sgpr_queue_ptr 0
		.amdhsa_user_sgpr_kernarg_segment_ptr 1
		.amdhsa_user_sgpr_dispatch_id 0
		.amdhsa_user_sgpr_flat_scratch_init 0
		.amdhsa_user_sgpr_private_segment_size 0
		.amdhsa_wavefront_size32 1
		.amdhsa_uses_dynamic_stack 0
		.amdhsa_system_sgpr_private_segment_wavefront_offset 0
		.amdhsa_system_sgpr_workgroup_id_x 1
		.amdhsa_system_sgpr_workgroup_id_y 0
		.amdhsa_system_sgpr_workgroup_id_z 0
		.amdhsa_system_sgpr_workgroup_info 0
		.amdhsa_system_vgpr_workitem_id 0
		.amdhsa_next_free_vgpr 1
		.amdhsa_next_free_sgpr 1
		.amdhsa_reserve_vcc 0
		.amdhsa_reserve_flat_scratch 0
		.amdhsa_float_round_mode_32 0
		.amdhsa_float_round_mode_16_64 0
		.amdhsa_float_denorm_mode_32 3
		.amdhsa_float_denorm_mode_16_64 3
		.amdhsa_dx10_clamp 1
		.amdhsa_ieee_mode 1
		.amdhsa_fp16_overflow 0
		.amdhsa_workgroup_processor_mode 1
		.amdhsa_memory_ordered 1
		.amdhsa_forward_progress 1
		.amdhsa_shared_vgpr_count 0
		.amdhsa_exception_fp_ieee_invalid_op 0
		.amdhsa_exception_fp_denorm_src 0
		.amdhsa_exception_fp_ieee_div_zero 0
		.amdhsa_exception_fp_ieee_overflow 0
		.amdhsa_exception_fp_ieee_underflow 0
		.amdhsa_exception_fp_ieee_inexact 0
		.amdhsa_exception_int_div_zero 0
	.end_amdhsa_kernel
	.section	.text._ZN7rocprim17ROCPRIM_400000_NS6detail17trampoline_kernelINS0_14default_configENS1_38merge_sort_block_merge_config_selectorIiNS0_10empty_typeEEEZZNS1_27merge_sort_block_merge_implIS3_N6thrust23THRUST_200600_302600_NS6detail15normal_iteratorINS9_10device_ptrIiEEEEPS5_m11less_div_10IiEEE10hipError_tT0_T1_T2_jT3_P12ihipStream_tbPNSt15iterator_traitsISJ_E10value_typeEPNSP_ISK_E10value_typeEPSL_NS1_7vsmem_tEENKUlT_SJ_SK_SL_E_clIPiSE_SF_SF_EESI_SY_SJ_SK_SL_EUlSY_E0_NS1_11comp_targetILNS1_3genE5ELNS1_11target_archE942ELNS1_3gpuE9ELNS1_3repE0EEENS1_38merge_mergepath_config_static_selectorELNS0_4arch9wavefront6targetE0EEEvSK_,"axG",@progbits,_ZN7rocprim17ROCPRIM_400000_NS6detail17trampoline_kernelINS0_14default_configENS1_38merge_sort_block_merge_config_selectorIiNS0_10empty_typeEEEZZNS1_27merge_sort_block_merge_implIS3_N6thrust23THRUST_200600_302600_NS6detail15normal_iteratorINS9_10device_ptrIiEEEEPS5_m11less_div_10IiEEE10hipError_tT0_T1_T2_jT3_P12ihipStream_tbPNSt15iterator_traitsISJ_E10value_typeEPNSP_ISK_E10value_typeEPSL_NS1_7vsmem_tEENKUlT_SJ_SK_SL_E_clIPiSE_SF_SF_EESI_SY_SJ_SK_SL_EUlSY_E0_NS1_11comp_targetILNS1_3genE5ELNS1_11target_archE942ELNS1_3gpuE9ELNS1_3repE0EEENS1_38merge_mergepath_config_static_selectorELNS0_4arch9wavefront6targetE0EEEvSK_,comdat
.Lfunc_end439:
	.size	_ZN7rocprim17ROCPRIM_400000_NS6detail17trampoline_kernelINS0_14default_configENS1_38merge_sort_block_merge_config_selectorIiNS0_10empty_typeEEEZZNS1_27merge_sort_block_merge_implIS3_N6thrust23THRUST_200600_302600_NS6detail15normal_iteratorINS9_10device_ptrIiEEEEPS5_m11less_div_10IiEEE10hipError_tT0_T1_T2_jT3_P12ihipStream_tbPNSt15iterator_traitsISJ_E10value_typeEPNSP_ISK_E10value_typeEPSL_NS1_7vsmem_tEENKUlT_SJ_SK_SL_E_clIPiSE_SF_SF_EESI_SY_SJ_SK_SL_EUlSY_E0_NS1_11comp_targetILNS1_3genE5ELNS1_11target_archE942ELNS1_3gpuE9ELNS1_3repE0EEENS1_38merge_mergepath_config_static_selectorELNS0_4arch9wavefront6targetE0EEEvSK_, .Lfunc_end439-_ZN7rocprim17ROCPRIM_400000_NS6detail17trampoline_kernelINS0_14default_configENS1_38merge_sort_block_merge_config_selectorIiNS0_10empty_typeEEEZZNS1_27merge_sort_block_merge_implIS3_N6thrust23THRUST_200600_302600_NS6detail15normal_iteratorINS9_10device_ptrIiEEEEPS5_m11less_div_10IiEEE10hipError_tT0_T1_T2_jT3_P12ihipStream_tbPNSt15iterator_traitsISJ_E10value_typeEPNSP_ISK_E10value_typeEPSL_NS1_7vsmem_tEENKUlT_SJ_SK_SL_E_clIPiSE_SF_SF_EESI_SY_SJ_SK_SL_EUlSY_E0_NS1_11comp_targetILNS1_3genE5ELNS1_11target_archE942ELNS1_3gpuE9ELNS1_3repE0EEENS1_38merge_mergepath_config_static_selectorELNS0_4arch9wavefront6targetE0EEEvSK_
                                        ; -- End function
	.set _ZN7rocprim17ROCPRIM_400000_NS6detail17trampoline_kernelINS0_14default_configENS1_38merge_sort_block_merge_config_selectorIiNS0_10empty_typeEEEZZNS1_27merge_sort_block_merge_implIS3_N6thrust23THRUST_200600_302600_NS6detail15normal_iteratorINS9_10device_ptrIiEEEEPS5_m11less_div_10IiEEE10hipError_tT0_T1_T2_jT3_P12ihipStream_tbPNSt15iterator_traitsISJ_E10value_typeEPNSP_ISK_E10value_typeEPSL_NS1_7vsmem_tEENKUlT_SJ_SK_SL_E_clIPiSE_SF_SF_EESI_SY_SJ_SK_SL_EUlSY_E0_NS1_11comp_targetILNS1_3genE5ELNS1_11target_archE942ELNS1_3gpuE9ELNS1_3repE0EEENS1_38merge_mergepath_config_static_selectorELNS0_4arch9wavefront6targetE0EEEvSK_.num_vgpr, 0
	.set _ZN7rocprim17ROCPRIM_400000_NS6detail17trampoline_kernelINS0_14default_configENS1_38merge_sort_block_merge_config_selectorIiNS0_10empty_typeEEEZZNS1_27merge_sort_block_merge_implIS3_N6thrust23THRUST_200600_302600_NS6detail15normal_iteratorINS9_10device_ptrIiEEEEPS5_m11less_div_10IiEEE10hipError_tT0_T1_T2_jT3_P12ihipStream_tbPNSt15iterator_traitsISJ_E10value_typeEPNSP_ISK_E10value_typeEPSL_NS1_7vsmem_tEENKUlT_SJ_SK_SL_E_clIPiSE_SF_SF_EESI_SY_SJ_SK_SL_EUlSY_E0_NS1_11comp_targetILNS1_3genE5ELNS1_11target_archE942ELNS1_3gpuE9ELNS1_3repE0EEENS1_38merge_mergepath_config_static_selectorELNS0_4arch9wavefront6targetE0EEEvSK_.num_agpr, 0
	.set _ZN7rocprim17ROCPRIM_400000_NS6detail17trampoline_kernelINS0_14default_configENS1_38merge_sort_block_merge_config_selectorIiNS0_10empty_typeEEEZZNS1_27merge_sort_block_merge_implIS3_N6thrust23THRUST_200600_302600_NS6detail15normal_iteratorINS9_10device_ptrIiEEEEPS5_m11less_div_10IiEEE10hipError_tT0_T1_T2_jT3_P12ihipStream_tbPNSt15iterator_traitsISJ_E10value_typeEPNSP_ISK_E10value_typeEPSL_NS1_7vsmem_tEENKUlT_SJ_SK_SL_E_clIPiSE_SF_SF_EESI_SY_SJ_SK_SL_EUlSY_E0_NS1_11comp_targetILNS1_3genE5ELNS1_11target_archE942ELNS1_3gpuE9ELNS1_3repE0EEENS1_38merge_mergepath_config_static_selectorELNS0_4arch9wavefront6targetE0EEEvSK_.numbered_sgpr, 0
	.set _ZN7rocprim17ROCPRIM_400000_NS6detail17trampoline_kernelINS0_14default_configENS1_38merge_sort_block_merge_config_selectorIiNS0_10empty_typeEEEZZNS1_27merge_sort_block_merge_implIS3_N6thrust23THRUST_200600_302600_NS6detail15normal_iteratorINS9_10device_ptrIiEEEEPS5_m11less_div_10IiEEE10hipError_tT0_T1_T2_jT3_P12ihipStream_tbPNSt15iterator_traitsISJ_E10value_typeEPNSP_ISK_E10value_typeEPSL_NS1_7vsmem_tEENKUlT_SJ_SK_SL_E_clIPiSE_SF_SF_EESI_SY_SJ_SK_SL_EUlSY_E0_NS1_11comp_targetILNS1_3genE5ELNS1_11target_archE942ELNS1_3gpuE9ELNS1_3repE0EEENS1_38merge_mergepath_config_static_selectorELNS0_4arch9wavefront6targetE0EEEvSK_.num_named_barrier, 0
	.set _ZN7rocprim17ROCPRIM_400000_NS6detail17trampoline_kernelINS0_14default_configENS1_38merge_sort_block_merge_config_selectorIiNS0_10empty_typeEEEZZNS1_27merge_sort_block_merge_implIS3_N6thrust23THRUST_200600_302600_NS6detail15normal_iteratorINS9_10device_ptrIiEEEEPS5_m11less_div_10IiEEE10hipError_tT0_T1_T2_jT3_P12ihipStream_tbPNSt15iterator_traitsISJ_E10value_typeEPNSP_ISK_E10value_typeEPSL_NS1_7vsmem_tEENKUlT_SJ_SK_SL_E_clIPiSE_SF_SF_EESI_SY_SJ_SK_SL_EUlSY_E0_NS1_11comp_targetILNS1_3genE5ELNS1_11target_archE942ELNS1_3gpuE9ELNS1_3repE0EEENS1_38merge_mergepath_config_static_selectorELNS0_4arch9wavefront6targetE0EEEvSK_.private_seg_size, 0
	.set _ZN7rocprim17ROCPRIM_400000_NS6detail17trampoline_kernelINS0_14default_configENS1_38merge_sort_block_merge_config_selectorIiNS0_10empty_typeEEEZZNS1_27merge_sort_block_merge_implIS3_N6thrust23THRUST_200600_302600_NS6detail15normal_iteratorINS9_10device_ptrIiEEEEPS5_m11less_div_10IiEEE10hipError_tT0_T1_T2_jT3_P12ihipStream_tbPNSt15iterator_traitsISJ_E10value_typeEPNSP_ISK_E10value_typeEPSL_NS1_7vsmem_tEENKUlT_SJ_SK_SL_E_clIPiSE_SF_SF_EESI_SY_SJ_SK_SL_EUlSY_E0_NS1_11comp_targetILNS1_3genE5ELNS1_11target_archE942ELNS1_3gpuE9ELNS1_3repE0EEENS1_38merge_mergepath_config_static_selectorELNS0_4arch9wavefront6targetE0EEEvSK_.uses_vcc, 0
	.set _ZN7rocprim17ROCPRIM_400000_NS6detail17trampoline_kernelINS0_14default_configENS1_38merge_sort_block_merge_config_selectorIiNS0_10empty_typeEEEZZNS1_27merge_sort_block_merge_implIS3_N6thrust23THRUST_200600_302600_NS6detail15normal_iteratorINS9_10device_ptrIiEEEEPS5_m11less_div_10IiEEE10hipError_tT0_T1_T2_jT3_P12ihipStream_tbPNSt15iterator_traitsISJ_E10value_typeEPNSP_ISK_E10value_typeEPSL_NS1_7vsmem_tEENKUlT_SJ_SK_SL_E_clIPiSE_SF_SF_EESI_SY_SJ_SK_SL_EUlSY_E0_NS1_11comp_targetILNS1_3genE5ELNS1_11target_archE942ELNS1_3gpuE9ELNS1_3repE0EEENS1_38merge_mergepath_config_static_selectorELNS0_4arch9wavefront6targetE0EEEvSK_.uses_flat_scratch, 0
	.set _ZN7rocprim17ROCPRIM_400000_NS6detail17trampoline_kernelINS0_14default_configENS1_38merge_sort_block_merge_config_selectorIiNS0_10empty_typeEEEZZNS1_27merge_sort_block_merge_implIS3_N6thrust23THRUST_200600_302600_NS6detail15normal_iteratorINS9_10device_ptrIiEEEEPS5_m11less_div_10IiEEE10hipError_tT0_T1_T2_jT3_P12ihipStream_tbPNSt15iterator_traitsISJ_E10value_typeEPNSP_ISK_E10value_typeEPSL_NS1_7vsmem_tEENKUlT_SJ_SK_SL_E_clIPiSE_SF_SF_EESI_SY_SJ_SK_SL_EUlSY_E0_NS1_11comp_targetILNS1_3genE5ELNS1_11target_archE942ELNS1_3gpuE9ELNS1_3repE0EEENS1_38merge_mergepath_config_static_selectorELNS0_4arch9wavefront6targetE0EEEvSK_.has_dyn_sized_stack, 0
	.set _ZN7rocprim17ROCPRIM_400000_NS6detail17trampoline_kernelINS0_14default_configENS1_38merge_sort_block_merge_config_selectorIiNS0_10empty_typeEEEZZNS1_27merge_sort_block_merge_implIS3_N6thrust23THRUST_200600_302600_NS6detail15normal_iteratorINS9_10device_ptrIiEEEEPS5_m11less_div_10IiEEE10hipError_tT0_T1_T2_jT3_P12ihipStream_tbPNSt15iterator_traitsISJ_E10value_typeEPNSP_ISK_E10value_typeEPSL_NS1_7vsmem_tEENKUlT_SJ_SK_SL_E_clIPiSE_SF_SF_EESI_SY_SJ_SK_SL_EUlSY_E0_NS1_11comp_targetILNS1_3genE5ELNS1_11target_archE942ELNS1_3gpuE9ELNS1_3repE0EEENS1_38merge_mergepath_config_static_selectorELNS0_4arch9wavefront6targetE0EEEvSK_.has_recursion, 0
	.set _ZN7rocprim17ROCPRIM_400000_NS6detail17trampoline_kernelINS0_14default_configENS1_38merge_sort_block_merge_config_selectorIiNS0_10empty_typeEEEZZNS1_27merge_sort_block_merge_implIS3_N6thrust23THRUST_200600_302600_NS6detail15normal_iteratorINS9_10device_ptrIiEEEEPS5_m11less_div_10IiEEE10hipError_tT0_T1_T2_jT3_P12ihipStream_tbPNSt15iterator_traitsISJ_E10value_typeEPNSP_ISK_E10value_typeEPSL_NS1_7vsmem_tEENKUlT_SJ_SK_SL_E_clIPiSE_SF_SF_EESI_SY_SJ_SK_SL_EUlSY_E0_NS1_11comp_targetILNS1_3genE5ELNS1_11target_archE942ELNS1_3gpuE9ELNS1_3repE0EEENS1_38merge_mergepath_config_static_selectorELNS0_4arch9wavefront6targetE0EEEvSK_.has_indirect_call, 0
	.section	.AMDGPU.csdata,"",@progbits
; Kernel info:
; codeLenInByte = 0
; TotalNumSgprs: 0
; NumVgprs: 0
; ScratchSize: 0
; MemoryBound: 0
; FloatMode: 240
; IeeeMode: 1
; LDSByteSize: 0 bytes/workgroup (compile time only)
; SGPRBlocks: 0
; VGPRBlocks: 0
; NumSGPRsForWavesPerEU: 1
; NumVGPRsForWavesPerEU: 1
; Occupancy: 16
; WaveLimiterHint : 0
; COMPUTE_PGM_RSRC2:SCRATCH_EN: 0
; COMPUTE_PGM_RSRC2:USER_SGPR: 6
; COMPUTE_PGM_RSRC2:TRAP_HANDLER: 0
; COMPUTE_PGM_RSRC2:TGID_X_EN: 1
; COMPUTE_PGM_RSRC2:TGID_Y_EN: 0
; COMPUTE_PGM_RSRC2:TGID_Z_EN: 0
; COMPUTE_PGM_RSRC2:TIDIG_COMP_CNT: 0
	.section	.text._ZN7rocprim17ROCPRIM_400000_NS6detail17trampoline_kernelINS0_14default_configENS1_38merge_sort_block_merge_config_selectorIiNS0_10empty_typeEEEZZNS1_27merge_sort_block_merge_implIS3_N6thrust23THRUST_200600_302600_NS6detail15normal_iteratorINS9_10device_ptrIiEEEEPS5_m11less_div_10IiEEE10hipError_tT0_T1_T2_jT3_P12ihipStream_tbPNSt15iterator_traitsISJ_E10value_typeEPNSP_ISK_E10value_typeEPSL_NS1_7vsmem_tEENKUlT_SJ_SK_SL_E_clIPiSE_SF_SF_EESI_SY_SJ_SK_SL_EUlSY_E0_NS1_11comp_targetILNS1_3genE4ELNS1_11target_archE910ELNS1_3gpuE8ELNS1_3repE0EEENS1_38merge_mergepath_config_static_selectorELNS0_4arch9wavefront6targetE0EEEvSK_,"axG",@progbits,_ZN7rocprim17ROCPRIM_400000_NS6detail17trampoline_kernelINS0_14default_configENS1_38merge_sort_block_merge_config_selectorIiNS0_10empty_typeEEEZZNS1_27merge_sort_block_merge_implIS3_N6thrust23THRUST_200600_302600_NS6detail15normal_iteratorINS9_10device_ptrIiEEEEPS5_m11less_div_10IiEEE10hipError_tT0_T1_T2_jT3_P12ihipStream_tbPNSt15iterator_traitsISJ_E10value_typeEPNSP_ISK_E10value_typeEPSL_NS1_7vsmem_tEENKUlT_SJ_SK_SL_E_clIPiSE_SF_SF_EESI_SY_SJ_SK_SL_EUlSY_E0_NS1_11comp_targetILNS1_3genE4ELNS1_11target_archE910ELNS1_3gpuE8ELNS1_3repE0EEENS1_38merge_mergepath_config_static_selectorELNS0_4arch9wavefront6targetE0EEEvSK_,comdat
	.protected	_ZN7rocprim17ROCPRIM_400000_NS6detail17trampoline_kernelINS0_14default_configENS1_38merge_sort_block_merge_config_selectorIiNS0_10empty_typeEEEZZNS1_27merge_sort_block_merge_implIS3_N6thrust23THRUST_200600_302600_NS6detail15normal_iteratorINS9_10device_ptrIiEEEEPS5_m11less_div_10IiEEE10hipError_tT0_T1_T2_jT3_P12ihipStream_tbPNSt15iterator_traitsISJ_E10value_typeEPNSP_ISK_E10value_typeEPSL_NS1_7vsmem_tEENKUlT_SJ_SK_SL_E_clIPiSE_SF_SF_EESI_SY_SJ_SK_SL_EUlSY_E0_NS1_11comp_targetILNS1_3genE4ELNS1_11target_archE910ELNS1_3gpuE8ELNS1_3repE0EEENS1_38merge_mergepath_config_static_selectorELNS0_4arch9wavefront6targetE0EEEvSK_ ; -- Begin function _ZN7rocprim17ROCPRIM_400000_NS6detail17trampoline_kernelINS0_14default_configENS1_38merge_sort_block_merge_config_selectorIiNS0_10empty_typeEEEZZNS1_27merge_sort_block_merge_implIS3_N6thrust23THRUST_200600_302600_NS6detail15normal_iteratorINS9_10device_ptrIiEEEEPS5_m11less_div_10IiEEE10hipError_tT0_T1_T2_jT3_P12ihipStream_tbPNSt15iterator_traitsISJ_E10value_typeEPNSP_ISK_E10value_typeEPSL_NS1_7vsmem_tEENKUlT_SJ_SK_SL_E_clIPiSE_SF_SF_EESI_SY_SJ_SK_SL_EUlSY_E0_NS1_11comp_targetILNS1_3genE4ELNS1_11target_archE910ELNS1_3gpuE8ELNS1_3repE0EEENS1_38merge_mergepath_config_static_selectorELNS0_4arch9wavefront6targetE0EEEvSK_
	.globl	_ZN7rocprim17ROCPRIM_400000_NS6detail17trampoline_kernelINS0_14default_configENS1_38merge_sort_block_merge_config_selectorIiNS0_10empty_typeEEEZZNS1_27merge_sort_block_merge_implIS3_N6thrust23THRUST_200600_302600_NS6detail15normal_iteratorINS9_10device_ptrIiEEEEPS5_m11less_div_10IiEEE10hipError_tT0_T1_T2_jT3_P12ihipStream_tbPNSt15iterator_traitsISJ_E10value_typeEPNSP_ISK_E10value_typeEPSL_NS1_7vsmem_tEENKUlT_SJ_SK_SL_E_clIPiSE_SF_SF_EESI_SY_SJ_SK_SL_EUlSY_E0_NS1_11comp_targetILNS1_3genE4ELNS1_11target_archE910ELNS1_3gpuE8ELNS1_3repE0EEENS1_38merge_mergepath_config_static_selectorELNS0_4arch9wavefront6targetE0EEEvSK_
	.p2align	8
	.type	_ZN7rocprim17ROCPRIM_400000_NS6detail17trampoline_kernelINS0_14default_configENS1_38merge_sort_block_merge_config_selectorIiNS0_10empty_typeEEEZZNS1_27merge_sort_block_merge_implIS3_N6thrust23THRUST_200600_302600_NS6detail15normal_iteratorINS9_10device_ptrIiEEEEPS5_m11less_div_10IiEEE10hipError_tT0_T1_T2_jT3_P12ihipStream_tbPNSt15iterator_traitsISJ_E10value_typeEPNSP_ISK_E10value_typeEPSL_NS1_7vsmem_tEENKUlT_SJ_SK_SL_E_clIPiSE_SF_SF_EESI_SY_SJ_SK_SL_EUlSY_E0_NS1_11comp_targetILNS1_3genE4ELNS1_11target_archE910ELNS1_3gpuE8ELNS1_3repE0EEENS1_38merge_mergepath_config_static_selectorELNS0_4arch9wavefront6targetE0EEEvSK_,@function
_ZN7rocprim17ROCPRIM_400000_NS6detail17trampoline_kernelINS0_14default_configENS1_38merge_sort_block_merge_config_selectorIiNS0_10empty_typeEEEZZNS1_27merge_sort_block_merge_implIS3_N6thrust23THRUST_200600_302600_NS6detail15normal_iteratorINS9_10device_ptrIiEEEEPS5_m11less_div_10IiEEE10hipError_tT0_T1_T2_jT3_P12ihipStream_tbPNSt15iterator_traitsISJ_E10value_typeEPNSP_ISK_E10value_typeEPSL_NS1_7vsmem_tEENKUlT_SJ_SK_SL_E_clIPiSE_SF_SF_EESI_SY_SJ_SK_SL_EUlSY_E0_NS1_11comp_targetILNS1_3genE4ELNS1_11target_archE910ELNS1_3gpuE8ELNS1_3repE0EEENS1_38merge_mergepath_config_static_selectorELNS0_4arch9wavefront6targetE0EEEvSK_: ; @_ZN7rocprim17ROCPRIM_400000_NS6detail17trampoline_kernelINS0_14default_configENS1_38merge_sort_block_merge_config_selectorIiNS0_10empty_typeEEEZZNS1_27merge_sort_block_merge_implIS3_N6thrust23THRUST_200600_302600_NS6detail15normal_iteratorINS9_10device_ptrIiEEEEPS5_m11less_div_10IiEEE10hipError_tT0_T1_T2_jT3_P12ihipStream_tbPNSt15iterator_traitsISJ_E10value_typeEPNSP_ISK_E10value_typeEPSL_NS1_7vsmem_tEENKUlT_SJ_SK_SL_E_clIPiSE_SF_SF_EESI_SY_SJ_SK_SL_EUlSY_E0_NS1_11comp_targetILNS1_3genE4ELNS1_11target_archE910ELNS1_3gpuE8ELNS1_3repE0EEENS1_38merge_mergepath_config_static_selectorELNS0_4arch9wavefront6targetE0EEEvSK_
; %bb.0:
	.section	.rodata,"a",@progbits
	.p2align	6, 0x0
	.amdhsa_kernel _ZN7rocprim17ROCPRIM_400000_NS6detail17trampoline_kernelINS0_14default_configENS1_38merge_sort_block_merge_config_selectorIiNS0_10empty_typeEEEZZNS1_27merge_sort_block_merge_implIS3_N6thrust23THRUST_200600_302600_NS6detail15normal_iteratorINS9_10device_ptrIiEEEEPS5_m11less_div_10IiEEE10hipError_tT0_T1_T2_jT3_P12ihipStream_tbPNSt15iterator_traitsISJ_E10value_typeEPNSP_ISK_E10value_typeEPSL_NS1_7vsmem_tEENKUlT_SJ_SK_SL_E_clIPiSE_SF_SF_EESI_SY_SJ_SK_SL_EUlSY_E0_NS1_11comp_targetILNS1_3genE4ELNS1_11target_archE910ELNS1_3gpuE8ELNS1_3repE0EEENS1_38merge_mergepath_config_static_selectorELNS0_4arch9wavefront6targetE0EEEvSK_
		.amdhsa_group_segment_fixed_size 0
		.amdhsa_private_segment_fixed_size 0
		.amdhsa_kernarg_size 72
		.amdhsa_user_sgpr_count 6
		.amdhsa_user_sgpr_private_segment_buffer 1
		.amdhsa_user_sgpr_dispatch_ptr 0
		.amdhsa_user_sgpr_queue_ptr 0
		.amdhsa_user_sgpr_kernarg_segment_ptr 1
		.amdhsa_user_sgpr_dispatch_id 0
		.amdhsa_user_sgpr_flat_scratch_init 0
		.amdhsa_user_sgpr_private_segment_size 0
		.amdhsa_wavefront_size32 1
		.amdhsa_uses_dynamic_stack 0
		.amdhsa_system_sgpr_private_segment_wavefront_offset 0
		.amdhsa_system_sgpr_workgroup_id_x 1
		.amdhsa_system_sgpr_workgroup_id_y 0
		.amdhsa_system_sgpr_workgroup_id_z 0
		.amdhsa_system_sgpr_workgroup_info 0
		.amdhsa_system_vgpr_workitem_id 0
		.amdhsa_next_free_vgpr 1
		.amdhsa_next_free_sgpr 1
		.amdhsa_reserve_vcc 0
		.amdhsa_reserve_flat_scratch 0
		.amdhsa_float_round_mode_32 0
		.amdhsa_float_round_mode_16_64 0
		.amdhsa_float_denorm_mode_32 3
		.amdhsa_float_denorm_mode_16_64 3
		.amdhsa_dx10_clamp 1
		.amdhsa_ieee_mode 1
		.amdhsa_fp16_overflow 0
		.amdhsa_workgroup_processor_mode 1
		.amdhsa_memory_ordered 1
		.amdhsa_forward_progress 1
		.amdhsa_shared_vgpr_count 0
		.amdhsa_exception_fp_ieee_invalid_op 0
		.amdhsa_exception_fp_denorm_src 0
		.amdhsa_exception_fp_ieee_div_zero 0
		.amdhsa_exception_fp_ieee_overflow 0
		.amdhsa_exception_fp_ieee_underflow 0
		.amdhsa_exception_fp_ieee_inexact 0
		.amdhsa_exception_int_div_zero 0
	.end_amdhsa_kernel
	.section	.text._ZN7rocprim17ROCPRIM_400000_NS6detail17trampoline_kernelINS0_14default_configENS1_38merge_sort_block_merge_config_selectorIiNS0_10empty_typeEEEZZNS1_27merge_sort_block_merge_implIS3_N6thrust23THRUST_200600_302600_NS6detail15normal_iteratorINS9_10device_ptrIiEEEEPS5_m11less_div_10IiEEE10hipError_tT0_T1_T2_jT3_P12ihipStream_tbPNSt15iterator_traitsISJ_E10value_typeEPNSP_ISK_E10value_typeEPSL_NS1_7vsmem_tEENKUlT_SJ_SK_SL_E_clIPiSE_SF_SF_EESI_SY_SJ_SK_SL_EUlSY_E0_NS1_11comp_targetILNS1_3genE4ELNS1_11target_archE910ELNS1_3gpuE8ELNS1_3repE0EEENS1_38merge_mergepath_config_static_selectorELNS0_4arch9wavefront6targetE0EEEvSK_,"axG",@progbits,_ZN7rocprim17ROCPRIM_400000_NS6detail17trampoline_kernelINS0_14default_configENS1_38merge_sort_block_merge_config_selectorIiNS0_10empty_typeEEEZZNS1_27merge_sort_block_merge_implIS3_N6thrust23THRUST_200600_302600_NS6detail15normal_iteratorINS9_10device_ptrIiEEEEPS5_m11less_div_10IiEEE10hipError_tT0_T1_T2_jT3_P12ihipStream_tbPNSt15iterator_traitsISJ_E10value_typeEPNSP_ISK_E10value_typeEPSL_NS1_7vsmem_tEENKUlT_SJ_SK_SL_E_clIPiSE_SF_SF_EESI_SY_SJ_SK_SL_EUlSY_E0_NS1_11comp_targetILNS1_3genE4ELNS1_11target_archE910ELNS1_3gpuE8ELNS1_3repE0EEENS1_38merge_mergepath_config_static_selectorELNS0_4arch9wavefront6targetE0EEEvSK_,comdat
.Lfunc_end440:
	.size	_ZN7rocprim17ROCPRIM_400000_NS6detail17trampoline_kernelINS0_14default_configENS1_38merge_sort_block_merge_config_selectorIiNS0_10empty_typeEEEZZNS1_27merge_sort_block_merge_implIS3_N6thrust23THRUST_200600_302600_NS6detail15normal_iteratorINS9_10device_ptrIiEEEEPS5_m11less_div_10IiEEE10hipError_tT0_T1_T2_jT3_P12ihipStream_tbPNSt15iterator_traitsISJ_E10value_typeEPNSP_ISK_E10value_typeEPSL_NS1_7vsmem_tEENKUlT_SJ_SK_SL_E_clIPiSE_SF_SF_EESI_SY_SJ_SK_SL_EUlSY_E0_NS1_11comp_targetILNS1_3genE4ELNS1_11target_archE910ELNS1_3gpuE8ELNS1_3repE0EEENS1_38merge_mergepath_config_static_selectorELNS0_4arch9wavefront6targetE0EEEvSK_, .Lfunc_end440-_ZN7rocprim17ROCPRIM_400000_NS6detail17trampoline_kernelINS0_14default_configENS1_38merge_sort_block_merge_config_selectorIiNS0_10empty_typeEEEZZNS1_27merge_sort_block_merge_implIS3_N6thrust23THRUST_200600_302600_NS6detail15normal_iteratorINS9_10device_ptrIiEEEEPS5_m11less_div_10IiEEE10hipError_tT0_T1_T2_jT3_P12ihipStream_tbPNSt15iterator_traitsISJ_E10value_typeEPNSP_ISK_E10value_typeEPSL_NS1_7vsmem_tEENKUlT_SJ_SK_SL_E_clIPiSE_SF_SF_EESI_SY_SJ_SK_SL_EUlSY_E0_NS1_11comp_targetILNS1_3genE4ELNS1_11target_archE910ELNS1_3gpuE8ELNS1_3repE0EEENS1_38merge_mergepath_config_static_selectorELNS0_4arch9wavefront6targetE0EEEvSK_
                                        ; -- End function
	.set _ZN7rocprim17ROCPRIM_400000_NS6detail17trampoline_kernelINS0_14default_configENS1_38merge_sort_block_merge_config_selectorIiNS0_10empty_typeEEEZZNS1_27merge_sort_block_merge_implIS3_N6thrust23THRUST_200600_302600_NS6detail15normal_iteratorINS9_10device_ptrIiEEEEPS5_m11less_div_10IiEEE10hipError_tT0_T1_T2_jT3_P12ihipStream_tbPNSt15iterator_traitsISJ_E10value_typeEPNSP_ISK_E10value_typeEPSL_NS1_7vsmem_tEENKUlT_SJ_SK_SL_E_clIPiSE_SF_SF_EESI_SY_SJ_SK_SL_EUlSY_E0_NS1_11comp_targetILNS1_3genE4ELNS1_11target_archE910ELNS1_3gpuE8ELNS1_3repE0EEENS1_38merge_mergepath_config_static_selectorELNS0_4arch9wavefront6targetE0EEEvSK_.num_vgpr, 0
	.set _ZN7rocprim17ROCPRIM_400000_NS6detail17trampoline_kernelINS0_14default_configENS1_38merge_sort_block_merge_config_selectorIiNS0_10empty_typeEEEZZNS1_27merge_sort_block_merge_implIS3_N6thrust23THRUST_200600_302600_NS6detail15normal_iteratorINS9_10device_ptrIiEEEEPS5_m11less_div_10IiEEE10hipError_tT0_T1_T2_jT3_P12ihipStream_tbPNSt15iterator_traitsISJ_E10value_typeEPNSP_ISK_E10value_typeEPSL_NS1_7vsmem_tEENKUlT_SJ_SK_SL_E_clIPiSE_SF_SF_EESI_SY_SJ_SK_SL_EUlSY_E0_NS1_11comp_targetILNS1_3genE4ELNS1_11target_archE910ELNS1_3gpuE8ELNS1_3repE0EEENS1_38merge_mergepath_config_static_selectorELNS0_4arch9wavefront6targetE0EEEvSK_.num_agpr, 0
	.set _ZN7rocprim17ROCPRIM_400000_NS6detail17trampoline_kernelINS0_14default_configENS1_38merge_sort_block_merge_config_selectorIiNS0_10empty_typeEEEZZNS1_27merge_sort_block_merge_implIS3_N6thrust23THRUST_200600_302600_NS6detail15normal_iteratorINS9_10device_ptrIiEEEEPS5_m11less_div_10IiEEE10hipError_tT0_T1_T2_jT3_P12ihipStream_tbPNSt15iterator_traitsISJ_E10value_typeEPNSP_ISK_E10value_typeEPSL_NS1_7vsmem_tEENKUlT_SJ_SK_SL_E_clIPiSE_SF_SF_EESI_SY_SJ_SK_SL_EUlSY_E0_NS1_11comp_targetILNS1_3genE4ELNS1_11target_archE910ELNS1_3gpuE8ELNS1_3repE0EEENS1_38merge_mergepath_config_static_selectorELNS0_4arch9wavefront6targetE0EEEvSK_.numbered_sgpr, 0
	.set _ZN7rocprim17ROCPRIM_400000_NS6detail17trampoline_kernelINS0_14default_configENS1_38merge_sort_block_merge_config_selectorIiNS0_10empty_typeEEEZZNS1_27merge_sort_block_merge_implIS3_N6thrust23THRUST_200600_302600_NS6detail15normal_iteratorINS9_10device_ptrIiEEEEPS5_m11less_div_10IiEEE10hipError_tT0_T1_T2_jT3_P12ihipStream_tbPNSt15iterator_traitsISJ_E10value_typeEPNSP_ISK_E10value_typeEPSL_NS1_7vsmem_tEENKUlT_SJ_SK_SL_E_clIPiSE_SF_SF_EESI_SY_SJ_SK_SL_EUlSY_E0_NS1_11comp_targetILNS1_3genE4ELNS1_11target_archE910ELNS1_3gpuE8ELNS1_3repE0EEENS1_38merge_mergepath_config_static_selectorELNS0_4arch9wavefront6targetE0EEEvSK_.num_named_barrier, 0
	.set _ZN7rocprim17ROCPRIM_400000_NS6detail17trampoline_kernelINS0_14default_configENS1_38merge_sort_block_merge_config_selectorIiNS0_10empty_typeEEEZZNS1_27merge_sort_block_merge_implIS3_N6thrust23THRUST_200600_302600_NS6detail15normal_iteratorINS9_10device_ptrIiEEEEPS5_m11less_div_10IiEEE10hipError_tT0_T1_T2_jT3_P12ihipStream_tbPNSt15iterator_traitsISJ_E10value_typeEPNSP_ISK_E10value_typeEPSL_NS1_7vsmem_tEENKUlT_SJ_SK_SL_E_clIPiSE_SF_SF_EESI_SY_SJ_SK_SL_EUlSY_E0_NS1_11comp_targetILNS1_3genE4ELNS1_11target_archE910ELNS1_3gpuE8ELNS1_3repE0EEENS1_38merge_mergepath_config_static_selectorELNS0_4arch9wavefront6targetE0EEEvSK_.private_seg_size, 0
	.set _ZN7rocprim17ROCPRIM_400000_NS6detail17trampoline_kernelINS0_14default_configENS1_38merge_sort_block_merge_config_selectorIiNS0_10empty_typeEEEZZNS1_27merge_sort_block_merge_implIS3_N6thrust23THRUST_200600_302600_NS6detail15normal_iteratorINS9_10device_ptrIiEEEEPS5_m11less_div_10IiEEE10hipError_tT0_T1_T2_jT3_P12ihipStream_tbPNSt15iterator_traitsISJ_E10value_typeEPNSP_ISK_E10value_typeEPSL_NS1_7vsmem_tEENKUlT_SJ_SK_SL_E_clIPiSE_SF_SF_EESI_SY_SJ_SK_SL_EUlSY_E0_NS1_11comp_targetILNS1_3genE4ELNS1_11target_archE910ELNS1_3gpuE8ELNS1_3repE0EEENS1_38merge_mergepath_config_static_selectorELNS0_4arch9wavefront6targetE0EEEvSK_.uses_vcc, 0
	.set _ZN7rocprim17ROCPRIM_400000_NS6detail17trampoline_kernelINS0_14default_configENS1_38merge_sort_block_merge_config_selectorIiNS0_10empty_typeEEEZZNS1_27merge_sort_block_merge_implIS3_N6thrust23THRUST_200600_302600_NS6detail15normal_iteratorINS9_10device_ptrIiEEEEPS5_m11less_div_10IiEEE10hipError_tT0_T1_T2_jT3_P12ihipStream_tbPNSt15iterator_traitsISJ_E10value_typeEPNSP_ISK_E10value_typeEPSL_NS1_7vsmem_tEENKUlT_SJ_SK_SL_E_clIPiSE_SF_SF_EESI_SY_SJ_SK_SL_EUlSY_E0_NS1_11comp_targetILNS1_3genE4ELNS1_11target_archE910ELNS1_3gpuE8ELNS1_3repE0EEENS1_38merge_mergepath_config_static_selectorELNS0_4arch9wavefront6targetE0EEEvSK_.uses_flat_scratch, 0
	.set _ZN7rocprim17ROCPRIM_400000_NS6detail17trampoline_kernelINS0_14default_configENS1_38merge_sort_block_merge_config_selectorIiNS0_10empty_typeEEEZZNS1_27merge_sort_block_merge_implIS3_N6thrust23THRUST_200600_302600_NS6detail15normal_iteratorINS9_10device_ptrIiEEEEPS5_m11less_div_10IiEEE10hipError_tT0_T1_T2_jT3_P12ihipStream_tbPNSt15iterator_traitsISJ_E10value_typeEPNSP_ISK_E10value_typeEPSL_NS1_7vsmem_tEENKUlT_SJ_SK_SL_E_clIPiSE_SF_SF_EESI_SY_SJ_SK_SL_EUlSY_E0_NS1_11comp_targetILNS1_3genE4ELNS1_11target_archE910ELNS1_3gpuE8ELNS1_3repE0EEENS1_38merge_mergepath_config_static_selectorELNS0_4arch9wavefront6targetE0EEEvSK_.has_dyn_sized_stack, 0
	.set _ZN7rocprim17ROCPRIM_400000_NS6detail17trampoline_kernelINS0_14default_configENS1_38merge_sort_block_merge_config_selectorIiNS0_10empty_typeEEEZZNS1_27merge_sort_block_merge_implIS3_N6thrust23THRUST_200600_302600_NS6detail15normal_iteratorINS9_10device_ptrIiEEEEPS5_m11less_div_10IiEEE10hipError_tT0_T1_T2_jT3_P12ihipStream_tbPNSt15iterator_traitsISJ_E10value_typeEPNSP_ISK_E10value_typeEPSL_NS1_7vsmem_tEENKUlT_SJ_SK_SL_E_clIPiSE_SF_SF_EESI_SY_SJ_SK_SL_EUlSY_E0_NS1_11comp_targetILNS1_3genE4ELNS1_11target_archE910ELNS1_3gpuE8ELNS1_3repE0EEENS1_38merge_mergepath_config_static_selectorELNS0_4arch9wavefront6targetE0EEEvSK_.has_recursion, 0
	.set _ZN7rocprim17ROCPRIM_400000_NS6detail17trampoline_kernelINS0_14default_configENS1_38merge_sort_block_merge_config_selectorIiNS0_10empty_typeEEEZZNS1_27merge_sort_block_merge_implIS3_N6thrust23THRUST_200600_302600_NS6detail15normal_iteratorINS9_10device_ptrIiEEEEPS5_m11less_div_10IiEEE10hipError_tT0_T1_T2_jT3_P12ihipStream_tbPNSt15iterator_traitsISJ_E10value_typeEPNSP_ISK_E10value_typeEPSL_NS1_7vsmem_tEENKUlT_SJ_SK_SL_E_clIPiSE_SF_SF_EESI_SY_SJ_SK_SL_EUlSY_E0_NS1_11comp_targetILNS1_3genE4ELNS1_11target_archE910ELNS1_3gpuE8ELNS1_3repE0EEENS1_38merge_mergepath_config_static_selectorELNS0_4arch9wavefront6targetE0EEEvSK_.has_indirect_call, 0
	.section	.AMDGPU.csdata,"",@progbits
; Kernel info:
; codeLenInByte = 0
; TotalNumSgprs: 0
; NumVgprs: 0
; ScratchSize: 0
; MemoryBound: 0
; FloatMode: 240
; IeeeMode: 1
; LDSByteSize: 0 bytes/workgroup (compile time only)
; SGPRBlocks: 0
; VGPRBlocks: 0
; NumSGPRsForWavesPerEU: 1
; NumVGPRsForWavesPerEU: 1
; Occupancy: 16
; WaveLimiterHint : 0
; COMPUTE_PGM_RSRC2:SCRATCH_EN: 0
; COMPUTE_PGM_RSRC2:USER_SGPR: 6
; COMPUTE_PGM_RSRC2:TRAP_HANDLER: 0
; COMPUTE_PGM_RSRC2:TGID_X_EN: 1
; COMPUTE_PGM_RSRC2:TGID_Y_EN: 0
; COMPUTE_PGM_RSRC2:TGID_Z_EN: 0
; COMPUTE_PGM_RSRC2:TIDIG_COMP_CNT: 0
	.section	.text._ZN7rocprim17ROCPRIM_400000_NS6detail17trampoline_kernelINS0_14default_configENS1_38merge_sort_block_merge_config_selectorIiNS0_10empty_typeEEEZZNS1_27merge_sort_block_merge_implIS3_N6thrust23THRUST_200600_302600_NS6detail15normal_iteratorINS9_10device_ptrIiEEEEPS5_m11less_div_10IiEEE10hipError_tT0_T1_T2_jT3_P12ihipStream_tbPNSt15iterator_traitsISJ_E10value_typeEPNSP_ISK_E10value_typeEPSL_NS1_7vsmem_tEENKUlT_SJ_SK_SL_E_clIPiSE_SF_SF_EESI_SY_SJ_SK_SL_EUlSY_E0_NS1_11comp_targetILNS1_3genE3ELNS1_11target_archE908ELNS1_3gpuE7ELNS1_3repE0EEENS1_38merge_mergepath_config_static_selectorELNS0_4arch9wavefront6targetE0EEEvSK_,"axG",@progbits,_ZN7rocprim17ROCPRIM_400000_NS6detail17trampoline_kernelINS0_14default_configENS1_38merge_sort_block_merge_config_selectorIiNS0_10empty_typeEEEZZNS1_27merge_sort_block_merge_implIS3_N6thrust23THRUST_200600_302600_NS6detail15normal_iteratorINS9_10device_ptrIiEEEEPS5_m11less_div_10IiEEE10hipError_tT0_T1_T2_jT3_P12ihipStream_tbPNSt15iterator_traitsISJ_E10value_typeEPNSP_ISK_E10value_typeEPSL_NS1_7vsmem_tEENKUlT_SJ_SK_SL_E_clIPiSE_SF_SF_EESI_SY_SJ_SK_SL_EUlSY_E0_NS1_11comp_targetILNS1_3genE3ELNS1_11target_archE908ELNS1_3gpuE7ELNS1_3repE0EEENS1_38merge_mergepath_config_static_selectorELNS0_4arch9wavefront6targetE0EEEvSK_,comdat
	.protected	_ZN7rocprim17ROCPRIM_400000_NS6detail17trampoline_kernelINS0_14default_configENS1_38merge_sort_block_merge_config_selectorIiNS0_10empty_typeEEEZZNS1_27merge_sort_block_merge_implIS3_N6thrust23THRUST_200600_302600_NS6detail15normal_iteratorINS9_10device_ptrIiEEEEPS5_m11less_div_10IiEEE10hipError_tT0_T1_T2_jT3_P12ihipStream_tbPNSt15iterator_traitsISJ_E10value_typeEPNSP_ISK_E10value_typeEPSL_NS1_7vsmem_tEENKUlT_SJ_SK_SL_E_clIPiSE_SF_SF_EESI_SY_SJ_SK_SL_EUlSY_E0_NS1_11comp_targetILNS1_3genE3ELNS1_11target_archE908ELNS1_3gpuE7ELNS1_3repE0EEENS1_38merge_mergepath_config_static_selectorELNS0_4arch9wavefront6targetE0EEEvSK_ ; -- Begin function _ZN7rocprim17ROCPRIM_400000_NS6detail17trampoline_kernelINS0_14default_configENS1_38merge_sort_block_merge_config_selectorIiNS0_10empty_typeEEEZZNS1_27merge_sort_block_merge_implIS3_N6thrust23THRUST_200600_302600_NS6detail15normal_iteratorINS9_10device_ptrIiEEEEPS5_m11less_div_10IiEEE10hipError_tT0_T1_T2_jT3_P12ihipStream_tbPNSt15iterator_traitsISJ_E10value_typeEPNSP_ISK_E10value_typeEPSL_NS1_7vsmem_tEENKUlT_SJ_SK_SL_E_clIPiSE_SF_SF_EESI_SY_SJ_SK_SL_EUlSY_E0_NS1_11comp_targetILNS1_3genE3ELNS1_11target_archE908ELNS1_3gpuE7ELNS1_3repE0EEENS1_38merge_mergepath_config_static_selectorELNS0_4arch9wavefront6targetE0EEEvSK_
	.globl	_ZN7rocprim17ROCPRIM_400000_NS6detail17trampoline_kernelINS0_14default_configENS1_38merge_sort_block_merge_config_selectorIiNS0_10empty_typeEEEZZNS1_27merge_sort_block_merge_implIS3_N6thrust23THRUST_200600_302600_NS6detail15normal_iteratorINS9_10device_ptrIiEEEEPS5_m11less_div_10IiEEE10hipError_tT0_T1_T2_jT3_P12ihipStream_tbPNSt15iterator_traitsISJ_E10value_typeEPNSP_ISK_E10value_typeEPSL_NS1_7vsmem_tEENKUlT_SJ_SK_SL_E_clIPiSE_SF_SF_EESI_SY_SJ_SK_SL_EUlSY_E0_NS1_11comp_targetILNS1_3genE3ELNS1_11target_archE908ELNS1_3gpuE7ELNS1_3repE0EEENS1_38merge_mergepath_config_static_selectorELNS0_4arch9wavefront6targetE0EEEvSK_
	.p2align	8
	.type	_ZN7rocprim17ROCPRIM_400000_NS6detail17trampoline_kernelINS0_14default_configENS1_38merge_sort_block_merge_config_selectorIiNS0_10empty_typeEEEZZNS1_27merge_sort_block_merge_implIS3_N6thrust23THRUST_200600_302600_NS6detail15normal_iteratorINS9_10device_ptrIiEEEEPS5_m11less_div_10IiEEE10hipError_tT0_T1_T2_jT3_P12ihipStream_tbPNSt15iterator_traitsISJ_E10value_typeEPNSP_ISK_E10value_typeEPSL_NS1_7vsmem_tEENKUlT_SJ_SK_SL_E_clIPiSE_SF_SF_EESI_SY_SJ_SK_SL_EUlSY_E0_NS1_11comp_targetILNS1_3genE3ELNS1_11target_archE908ELNS1_3gpuE7ELNS1_3repE0EEENS1_38merge_mergepath_config_static_selectorELNS0_4arch9wavefront6targetE0EEEvSK_,@function
_ZN7rocprim17ROCPRIM_400000_NS6detail17trampoline_kernelINS0_14default_configENS1_38merge_sort_block_merge_config_selectorIiNS0_10empty_typeEEEZZNS1_27merge_sort_block_merge_implIS3_N6thrust23THRUST_200600_302600_NS6detail15normal_iteratorINS9_10device_ptrIiEEEEPS5_m11less_div_10IiEEE10hipError_tT0_T1_T2_jT3_P12ihipStream_tbPNSt15iterator_traitsISJ_E10value_typeEPNSP_ISK_E10value_typeEPSL_NS1_7vsmem_tEENKUlT_SJ_SK_SL_E_clIPiSE_SF_SF_EESI_SY_SJ_SK_SL_EUlSY_E0_NS1_11comp_targetILNS1_3genE3ELNS1_11target_archE908ELNS1_3gpuE7ELNS1_3repE0EEENS1_38merge_mergepath_config_static_selectorELNS0_4arch9wavefront6targetE0EEEvSK_: ; @_ZN7rocprim17ROCPRIM_400000_NS6detail17trampoline_kernelINS0_14default_configENS1_38merge_sort_block_merge_config_selectorIiNS0_10empty_typeEEEZZNS1_27merge_sort_block_merge_implIS3_N6thrust23THRUST_200600_302600_NS6detail15normal_iteratorINS9_10device_ptrIiEEEEPS5_m11less_div_10IiEEE10hipError_tT0_T1_T2_jT3_P12ihipStream_tbPNSt15iterator_traitsISJ_E10value_typeEPNSP_ISK_E10value_typeEPSL_NS1_7vsmem_tEENKUlT_SJ_SK_SL_E_clIPiSE_SF_SF_EESI_SY_SJ_SK_SL_EUlSY_E0_NS1_11comp_targetILNS1_3genE3ELNS1_11target_archE908ELNS1_3gpuE7ELNS1_3repE0EEENS1_38merge_mergepath_config_static_selectorELNS0_4arch9wavefront6targetE0EEEvSK_
; %bb.0:
	.section	.rodata,"a",@progbits
	.p2align	6, 0x0
	.amdhsa_kernel _ZN7rocprim17ROCPRIM_400000_NS6detail17trampoline_kernelINS0_14default_configENS1_38merge_sort_block_merge_config_selectorIiNS0_10empty_typeEEEZZNS1_27merge_sort_block_merge_implIS3_N6thrust23THRUST_200600_302600_NS6detail15normal_iteratorINS9_10device_ptrIiEEEEPS5_m11less_div_10IiEEE10hipError_tT0_T1_T2_jT3_P12ihipStream_tbPNSt15iterator_traitsISJ_E10value_typeEPNSP_ISK_E10value_typeEPSL_NS1_7vsmem_tEENKUlT_SJ_SK_SL_E_clIPiSE_SF_SF_EESI_SY_SJ_SK_SL_EUlSY_E0_NS1_11comp_targetILNS1_3genE3ELNS1_11target_archE908ELNS1_3gpuE7ELNS1_3repE0EEENS1_38merge_mergepath_config_static_selectorELNS0_4arch9wavefront6targetE0EEEvSK_
		.amdhsa_group_segment_fixed_size 0
		.amdhsa_private_segment_fixed_size 0
		.amdhsa_kernarg_size 72
		.amdhsa_user_sgpr_count 6
		.amdhsa_user_sgpr_private_segment_buffer 1
		.amdhsa_user_sgpr_dispatch_ptr 0
		.amdhsa_user_sgpr_queue_ptr 0
		.amdhsa_user_sgpr_kernarg_segment_ptr 1
		.amdhsa_user_sgpr_dispatch_id 0
		.amdhsa_user_sgpr_flat_scratch_init 0
		.amdhsa_user_sgpr_private_segment_size 0
		.amdhsa_wavefront_size32 1
		.amdhsa_uses_dynamic_stack 0
		.amdhsa_system_sgpr_private_segment_wavefront_offset 0
		.amdhsa_system_sgpr_workgroup_id_x 1
		.amdhsa_system_sgpr_workgroup_id_y 0
		.amdhsa_system_sgpr_workgroup_id_z 0
		.amdhsa_system_sgpr_workgroup_info 0
		.amdhsa_system_vgpr_workitem_id 0
		.amdhsa_next_free_vgpr 1
		.amdhsa_next_free_sgpr 1
		.amdhsa_reserve_vcc 0
		.amdhsa_reserve_flat_scratch 0
		.amdhsa_float_round_mode_32 0
		.amdhsa_float_round_mode_16_64 0
		.amdhsa_float_denorm_mode_32 3
		.amdhsa_float_denorm_mode_16_64 3
		.amdhsa_dx10_clamp 1
		.amdhsa_ieee_mode 1
		.amdhsa_fp16_overflow 0
		.amdhsa_workgroup_processor_mode 1
		.amdhsa_memory_ordered 1
		.amdhsa_forward_progress 1
		.amdhsa_shared_vgpr_count 0
		.amdhsa_exception_fp_ieee_invalid_op 0
		.amdhsa_exception_fp_denorm_src 0
		.amdhsa_exception_fp_ieee_div_zero 0
		.amdhsa_exception_fp_ieee_overflow 0
		.amdhsa_exception_fp_ieee_underflow 0
		.amdhsa_exception_fp_ieee_inexact 0
		.amdhsa_exception_int_div_zero 0
	.end_amdhsa_kernel
	.section	.text._ZN7rocprim17ROCPRIM_400000_NS6detail17trampoline_kernelINS0_14default_configENS1_38merge_sort_block_merge_config_selectorIiNS0_10empty_typeEEEZZNS1_27merge_sort_block_merge_implIS3_N6thrust23THRUST_200600_302600_NS6detail15normal_iteratorINS9_10device_ptrIiEEEEPS5_m11less_div_10IiEEE10hipError_tT0_T1_T2_jT3_P12ihipStream_tbPNSt15iterator_traitsISJ_E10value_typeEPNSP_ISK_E10value_typeEPSL_NS1_7vsmem_tEENKUlT_SJ_SK_SL_E_clIPiSE_SF_SF_EESI_SY_SJ_SK_SL_EUlSY_E0_NS1_11comp_targetILNS1_3genE3ELNS1_11target_archE908ELNS1_3gpuE7ELNS1_3repE0EEENS1_38merge_mergepath_config_static_selectorELNS0_4arch9wavefront6targetE0EEEvSK_,"axG",@progbits,_ZN7rocprim17ROCPRIM_400000_NS6detail17trampoline_kernelINS0_14default_configENS1_38merge_sort_block_merge_config_selectorIiNS0_10empty_typeEEEZZNS1_27merge_sort_block_merge_implIS3_N6thrust23THRUST_200600_302600_NS6detail15normal_iteratorINS9_10device_ptrIiEEEEPS5_m11less_div_10IiEEE10hipError_tT0_T1_T2_jT3_P12ihipStream_tbPNSt15iterator_traitsISJ_E10value_typeEPNSP_ISK_E10value_typeEPSL_NS1_7vsmem_tEENKUlT_SJ_SK_SL_E_clIPiSE_SF_SF_EESI_SY_SJ_SK_SL_EUlSY_E0_NS1_11comp_targetILNS1_3genE3ELNS1_11target_archE908ELNS1_3gpuE7ELNS1_3repE0EEENS1_38merge_mergepath_config_static_selectorELNS0_4arch9wavefront6targetE0EEEvSK_,comdat
.Lfunc_end441:
	.size	_ZN7rocprim17ROCPRIM_400000_NS6detail17trampoline_kernelINS0_14default_configENS1_38merge_sort_block_merge_config_selectorIiNS0_10empty_typeEEEZZNS1_27merge_sort_block_merge_implIS3_N6thrust23THRUST_200600_302600_NS6detail15normal_iteratorINS9_10device_ptrIiEEEEPS5_m11less_div_10IiEEE10hipError_tT0_T1_T2_jT3_P12ihipStream_tbPNSt15iterator_traitsISJ_E10value_typeEPNSP_ISK_E10value_typeEPSL_NS1_7vsmem_tEENKUlT_SJ_SK_SL_E_clIPiSE_SF_SF_EESI_SY_SJ_SK_SL_EUlSY_E0_NS1_11comp_targetILNS1_3genE3ELNS1_11target_archE908ELNS1_3gpuE7ELNS1_3repE0EEENS1_38merge_mergepath_config_static_selectorELNS0_4arch9wavefront6targetE0EEEvSK_, .Lfunc_end441-_ZN7rocprim17ROCPRIM_400000_NS6detail17trampoline_kernelINS0_14default_configENS1_38merge_sort_block_merge_config_selectorIiNS0_10empty_typeEEEZZNS1_27merge_sort_block_merge_implIS3_N6thrust23THRUST_200600_302600_NS6detail15normal_iteratorINS9_10device_ptrIiEEEEPS5_m11less_div_10IiEEE10hipError_tT0_T1_T2_jT3_P12ihipStream_tbPNSt15iterator_traitsISJ_E10value_typeEPNSP_ISK_E10value_typeEPSL_NS1_7vsmem_tEENKUlT_SJ_SK_SL_E_clIPiSE_SF_SF_EESI_SY_SJ_SK_SL_EUlSY_E0_NS1_11comp_targetILNS1_3genE3ELNS1_11target_archE908ELNS1_3gpuE7ELNS1_3repE0EEENS1_38merge_mergepath_config_static_selectorELNS0_4arch9wavefront6targetE0EEEvSK_
                                        ; -- End function
	.set _ZN7rocprim17ROCPRIM_400000_NS6detail17trampoline_kernelINS0_14default_configENS1_38merge_sort_block_merge_config_selectorIiNS0_10empty_typeEEEZZNS1_27merge_sort_block_merge_implIS3_N6thrust23THRUST_200600_302600_NS6detail15normal_iteratorINS9_10device_ptrIiEEEEPS5_m11less_div_10IiEEE10hipError_tT0_T1_T2_jT3_P12ihipStream_tbPNSt15iterator_traitsISJ_E10value_typeEPNSP_ISK_E10value_typeEPSL_NS1_7vsmem_tEENKUlT_SJ_SK_SL_E_clIPiSE_SF_SF_EESI_SY_SJ_SK_SL_EUlSY_E0_NS1_11comp_targetILNS1_3genE3ELNS1_11target_archE908ELNS1_3gpuE7ELNS1_3repE0EEENS1_38merge_mergepath_config_static_selectorELNS0_4arch9wavefront6targetE0EEEvSK_.num_vgpr, 0
	.set _ZN7rocprim17ROCPRIM_400000_NS6detail17trampoline_kernelINS0_14default_configENS1_38merge_sort_block_merge_config_selectorIiNS0_10empty_typeEEEZZNS1_27merge_sort_block_merge_implIS3_N6thrust23THRUST_200600_302600_NS6detail15normal_iteratorINS9_10device_ptrIiEEEEPS5_m11less_div_10IiEEE10hipError_tT0_T1_T2_jT3_P12ihipStream_tbPNSt15iterator_traitsISJ_E10value_typeEPNSP_ISK_E10value_typeEPSL_NS1_7vsmem_tEENKUlT_SJ_SK_SL_E_clIPiSE_SF_SF_EESI_SY_SJ_SK_SL_EUlSY_E0_NS1_11comp_targetILNS1_3genE3ELNS1_11target_archE908ELNS1_3gpuE7ELNS1_3repE0EEENS1_38merge_mergepath_config_static_selectorELNS0_4arch9wavefront6targetE0EEEvSK_.num_agpr, 0
	.set _ZN7rocprim17ROCPRIM_400000_NS6detail17trampoline_kernelINS0_14default_configENS1_38merge_sort_block_merge_config_selectorIiNS0_10empty_typeEEEZZNS1_27merge_sort_block_merge_implIS3_N6thrust23THRUST_200600_302600_NS6detail15normal_iteratorINS9_10device_ptrIiEEEEPS5_m11less_div_10IiEEE10hipError_tT0_T1_T2_jT3_P12ihipStream_tbPNSt15iterator_traitsISJ_E10value_typeEPNSP_ISK_E10value_typeEPSL_NS1_7vsmem_tEENKUlT_SJ_SK_SL_E_clIPiSE_SF_SF_EESI_SY_SJ_SK_SL_EUlSY_E0_NS1_11comp_targetILNS1_3genE3ELNS1_11target_archE908ELNS1_3gpuE7ELNS1_3repE0EEENS1_38merge_mergepath_config_static_selectorELNS0_4arch9wavefront6targetE0EEEvSK_.numbered_sgpr, 0
	.set _ZN7rocprim17ROCPRIM_400000_NS6detail17trampoline_kernelINS0_14default_configENS1_38merge_sort_block_merge_config_selectorIiNS0_10empty_typeEEEZZNS1_27merge_sort_block_merge_implIS3_N6thrust23THRUST_200600_302600_NS6detail15normal_iteratorINS9_10device_ptrIiEEEEPS5_m11less_div_10IiEEE10hipError_tT0_T1_T2_jT3_P12ihipStream_tbPNSt15iterator_traitsISJ_E10value_typeEPNSP_ISK_E10value_typeEPSL_NS1_7vsmem_tEENKUlT_SJ_SK_SL_E_clIPiSE_SF_SF_EESI_SY_SJ_SK_SL_EUlSY_E0_NS1_11comp_targetILNS1_3genE3ELNS1_11target_archE908ELNS1_3gpuE7ELNS1_3repE0EEENS1_38merge_mergepath_config_static_selectorELNS0_4arch9wavefront6targetE0EEEvSK_.num_named_barrier, 0
	.set _ZN7rocprim17ROCPRIM_400000_NS6detail17trampoline_kernelINS0_14default_configENS1_38merge_sort_block_merge_config_selectorIiNS0_10empty_typeEEEZZNS1_27merge_sort_block_merge_implIS3_N6thrust23THRUST_200600_302600_NS6detail15normal_iteratorINS9_10device_ptrIiEEEEPS5_m11less_div_10IiEEE10hipError_tT0_T1_T2_jT3_P12ihipStream_tbPNSt15iterator_traitsISJ_E10value_typeEPNSP_ISK_E10value_typeEPSL_NS1_7vsmem_tEENKUlT_SJ_SK_SL_E_clIPiSE_SF_SF_EESI_SY_SJ_SK_SL_EUlSY_E0_NS1_11comp_targetILNS1_3genE3ELNS1_11target_archE908ELNS1_3gpuE7ELNS1_3repE0EEENS1_38merge_mergepath_config_static_selectorELNS0_4arch9wavefront6targetE0EEEvSK_.private_seg_size, 0
	.set _ZN7rocprim17ROCPRIM_400000_NS6detail17trampoline_kernelINS0_14default_configENS1_38merge_sort_block_merge_config_selectorIiNS0_10empty_typeEEEZZNS1_27merge_sort_block_merge_implIS3_N6thrust23THRUST_200600_302600_NS6detail15normal_iteratorINS9_10device_ptrIiEEEEPS5_m11less_div_10IiEEE10hipError_tT0_T1_T2_jT3_P12ihipStream_tbPNSt15iterator_traitsISJ_E10value_typeEPNSP_ISK_E10value_typeEPSL_NS1_7vsmem_tEENKUlT_SJ_SK_SL_E_clIPiSE_SF_SF_EESI_SY_SJ_SK_SL_EUlSY_E0_NS1_11comp_targetILNS1_3genE3ELNS1_11target_archE908ELNS1_3gpuE7ELNS1_3repE0EEENS1_38merge_mergepath_config_static_selectorELNS0_4arch9wavefront6targetE0EEEvSK_.uses_vcc, 0
	.set _ZN7rocprim17ROCPRIM_400000_NS6detail17trampoline_kernelINS0_14default_configENS1_38merge_sort_block_merge_config_selectorIiNS0_10empty_typeEEEZZNS1_27merge_sort_block_merge_implIS3_N6thrust23THRUST_200600_302600_NS6detail15normal_iteratorINS9_10device_ptrIiEEEEPS5_m11less_div_10IiEEE10hipError_tT0_T1_T2_jT3_P12ihipStream_tbPNSt15iterator_traitsISJ_E10value_typeEPNSP_ISK_E10value_typeEPSL_NS1_7vsmem_tEENKUlT_SJ_SK_SL_E_clIPiSE_SF_SF_EESI_SY_SJ_SK_SL_EUlSY_E0_NS1_11comp_targetILNS1_3genE3ELNS1_11target_archE908ELNS1_3gpuE7ELNS1_3repE0EEENS1_38merge_mergepath_config_static_selectorELNS0_4arch9wavefront6targetE0EEEvSK_.uses_flat_scratch, 0
	.set _ZN7rocprim17ROCPRIM_400000_NS6detail17trampoline_kernelINS0_14default_configENS1_38merge_sort_block_merge_config_selectorIiNS0_10empty_typeEEEZZNS1_27merge_sort_block_merge_implIS3_N6thrust23THRUST_200600_302600_NS6detail15normal_iteratorINS9_10device_ptrIiEEEEPS5_m11less_div_10IiEEE10hipError_tT0_T1_T2_jT3_P12ihipStream_tbPNSt15iterator_traitsISJ_E10value_typeEPNSP_ISK_E10value_typeEPSL_NS1_7vsmem_tEENKUlT_SJ_SK_SL_E_clIPiSE_SF_SF_EESI_SY_SJ_SK_SL_EUlSY_E0_NS1_11comp_targetILNS1_3genE3ELNS1_11target_archE908ELNS1_3gpuE7ELNS1_3repE0EEENS1_38merge_mergepath_config_static_selectorELNS0_4arch9wavefront6targetE0EEEvSK_.has_dyn_sized_stack, 0
	.set _ZN7rocprim17ROCPRIM_400000_NS6detail17trampoline_kernelINS0_14default_configENS1_38merge_sort_block_merge_config_selectorIiNS0_10empty_typeEEEZZNS1_27merge_sort_block_merge_implIS3_N6thrust23THRUST_200600_302600_NS6detail15normal_iteratorINS9_10device_ptrIiEEEEPS5_m11less_div_10IiEEE10hipError_tT0_T1_T2_jT3_P12ihipStream_tbPNSt15iterator_traitsISJ_E10value_typeEPNSP_ISK_E10value_typeEPSL_NS1_7vsmem_tEENKUlT_SJ_SK_SL_E_clIPiSE_SF_SF_EESI_SY_SJ_SK_SL_EUlSY_E0_NS1_11comp_targetILNS1_3genE3ELNS1_11target_archE908ELNS1_3gpuE7ELNS1_3repE0EEENS1_38merge_mergepath_config_static_selectorELNS0_4arch9wavefront6targetE0EEEvSK_.has_recursion, 0
	.set _ZN7rocprim17ROCPRIM_400000_NS6detail17trampoline_kernelINS0_14default_configENS1_38merge_sort_block_merge_config_selectorIiNS0_10empty_typeEEEZZNS1_27merge_sort_block_merge_implIS3_N6thrust23THRUST_200600_302600_NS6detail15normal_iteratorINS9_10device_ptrIiEEEEPS5_m11less_div_10IiEEE10hipError_tT0_T1_T2_jT3_P12ihipStream_tbPNSt15iterator_traitsISJ_E10value_typeEPNSP_ISK_E10value_typeEPSL_NS1_7vsmem_tEENKUlT_SJ_SK_SL_E_clIPiSE_SF_SF_EESI_SY_SJ_SK_SL_EUlSY_E0_NS1_11comp_targetILNS1_3genE3ELNS1_11target_archE908ELNS1_3gpuE7ELNS1_3repE0EEENS1_38merge_mergepath_config_static_selectorELNS0_4arch9wavefront6targetE0EEEvSK_.has_indirect_call, 0
	.section	.AMDGPU.csdata,"",@progbits
; Kernel info:
; codeLenInByte = 0
; TotalNumSgprs: 0
; NumVgprs: 0
; ScratchSize: 0
; MemoryBound: 0
; FloatMode: 240
; IeeeMode: 1
; LDSByteSize: 0 bytes/workgroup (compile time only)
; SGPRBlocks: 0
; VGPRBlocks: 0
; NumSGPRsForWavesPerEU: 1
; NumVGPRsForWavesPerEU: 1
; Occupancy: 16
; WaveLimiterHint : 0
; COMPUTE_PGM_RSRC2:SCRATCH_EN: 0
; COMPUTE_PGM_RSRC2:USER_SGPR: 6
; COMPUTE_PGM_RSRC2:TRAP_HANDLER: 0
; COMPUTE_PGM_RSRC2:TGID_X_EN: 1
; COMPUTE_PGM_RSRC2:TGID_Y_EN: 0
; COMPUTE_PGM_RSRC2:TGID_Z_EN: 0
; COMPUTE_PGM_RSRC2:TIDIG_COMP_CNT: 0
	.section	.text._ZN7rocprim17ROCPRIM_400000_NS6detail17trampoline_kernelINS0_14default_configENS1_38merge_sort_block_merge_config_selectorIiNS0_10empty_typeEEEZZNS1_27merge_sort_block_merge_implIS3_N6thrust23THRUST_200600_302600_NS6detail15normal_iteratorINS9_10device_ptrIiEEEEPS5_m11less_div_10IiEEE10hipError_tT0_T1_T2_jT3_P12ihipStream_tbPNSt15iterator_traitsISJ_E10value_typeEPNSP_ISK_E10value_typeEPSL_NS1_7vsmem_tEENKUlT_SJ_SK_SL_E_clIPiSE_SF_SF_EESI_SY_SJ_SK_SL_EUlSY_E0_NS1_11comp_targetILNS1_3genE2ELNS1_11target_archE906ELNS1_3gpuE6ELNS1_3repE0EEENS1_38merge_mergepath_config_static_selectorELNS0_4arch9wavefront6targetE0EEEvSK_,"axG",@progbits,_ZN7rocprim17ROCPRIM_400000_NS6detail17trampoline_kernelINS0_14default_configENS1_38merge_sort_block_merge_config_selectorIiNS0_10empty_typeEEEZZNS1_27merge_sort_block_merge_implIS3_N6thrust23THRUST_200600_302600_NS6detail15normal_iteratorINS9_10device_ptrIiEEEEPS5_m11less_div_10IiEEE10hipError_tT0_T1_T2_jT3_P12ihipStream_tbPNSt15iterator_traitsISJ_E10value_typeEPNSP_ISK_E10value_typeEPSL_NS1_7vsmem_tEENKUlT_SJ_SK_SL_E_clIPiSE_SF_SF_EESI_SY_SJ_SK_SL_EUlSY_E0_NS1_11comp_targetILNS1_3genE2ELNS1_11target_archE906ELNS1_3gpuE6ELNS1_3repE0EEENS1_38merge_mergepath_config_static_selectorELNS0_4arch9wavefront6targetE0EEEvSK_,comdat
	.protected	_ZN7rocprim17ROCPRIM_400000_NS6detail17trampoline_kernelINS0_14default_configENS1_38merge_sort_block_merge_config_selectorIiNS0_10empty_typeEEEZZNS1_27merge_sort_block_merge_implIS3_N6thrust23THRUST_200600_302600_NS6detail15normal_iteratorINS9_10device_ptrIiEEEEPS5_m11less_div_10IiEEE10hipError_tT0_T1_T2_jT3_P12ihipStream_tbPNSt15iterator_traitsISJ_E10value_typeEPNSP_ISK_E10value_typeEPSL_NS1_7vsmem_tEENKUlT_SJ_SK_SL_E_clIPiSE_SF_SF_EESI_SY_SJ_SK_SL_EUlSY_E0_NS1_11comp_targetILNS1_3genE2ELNS1_11target_archE906ELNS1_3gpuE6ELNS1_3repE0EEENS1_38merge_mergepath_config_static_selectorELNS0_4arch9wavefront6targetE0EEEvSK_ ; -- Begin function _ZN7rocprim17ROCPRIM_400000_NS6detail17trampoline_kernelINS0_14default_configENS1_38merge_sort_block_merge_config_selectorIiNS0_10empty_typeEEEZZNS1_27merge_sort_block_merge_implIS3_N6thrust23THRUST_200600_302600_NS6detail15normal_iteratorINS9_10device_ptrIiEEEEPS5_m11less_div_10IiEEE10hipError_tT0_T1_T2_jT3_P12ihipStream_tbPNSt15iterator_traitsISJ_E10value_typeEPNSP_ISK_E10value_typeEPSL_NS1_7vsmem_tEENKUlT_SJ_SK_SL_E_clIPiSE_SF_SF_EESI_SY_SJ_SK_SL_EUlSY_E0_NS1_11comp_targetILNS1_3genE2ELNS1_11target_archE906ELNS1_3gpuE6ELNS1_3repE0EEENS1_38merge_mergepath_config_static_selectorELNS0_4arch9wavefront6targetE0EEEvSK_
	.globl	_ZN7rocprim17ROCPRIM_400000_NS6detail17trampoline_kernelINS0_14default_configENS1_38merge_sort_block_merge_config_selectorIiNS0_10empty_typeEEEZZNS1_27merge_sort_block_merge_implIS3_N6thrust23THRUST_200600_302600_NS6detail15normal_iteratorINS9_10device_ptrIiEEEEPS5_m11less_div_10IiEEE10hipError_tT0_T1_T2_jT3_P12ihipStream_tbPNSt15iterator_traitsISJ_E10value_typeEPNSP_ISK_E10value_typeEPSL_NS1_7vsmem_tEENKUlT_SJ_SK_SL_E_clIPiSE_SF_SF_EESI_SY_SJ_SK_SL_EUlSY_E0_NS1_11comp_targetILNS1_3genE2ELNS1_11target_archE906ELNS1_3gpuE6ELNS1_3repE0EEENS1_38merge_mergepath_config_static_selectorELNS0_4arch9wavefront6targetE0EEEvSK_
	.p2align	8
	.type	_ZN7rocprim17ROCPRIM_400000_NS6detail17trampoline_kernelINS0_14default_configENS1_38merge_sort_block_merge_config_selectorIiNS0_10empty_typeEEEZZNS1_27merge_sort_block_merge_implIS3_N6thrust23THRUST_200600_302600_NS6detail15normal_iteratorINS9_10device_ptrIiEEEEPS5_m11less_div_10IiEEE10hipError_tT0_T1_T2_jT3_P12ihipStream_tbPNSt15iterator_traitsISJ_E10value_typeEPNSP_ISK_E10value_typeEPSL_NS1_7vsmem_tEENKUlT_SJ_SK_SL_E_clIPiSE_SF_SF_EESI_SY_SJ_SK_SL_EUlSY_E0_NS1_11comp_targetILNS1_3genE2ELNS1_11target_archE906ELNS1_3gpuE6ELNS1_3repE0EEENS1_38merge_mergepath_config_static_selectorELNS0_4arch9wavefront6targetE0EEEvSK_,@function
_ZN7rocprim17ROCPRIM_400000_NS6detail17trampoline_kernelINS0_14default_configENS1_38merge_sort_block_merge_config_selectorIiNS0_10empty_typeEEEZZNS1_27merge_sort_block_merge_implIS3_N6thrust23THRUST_200600_302600_NS6detail15normal_iteratorINS9_10device_ptrIiEEEEPS5_m11less_div_10IiEEE10hipError_tT0_T1_T2_jT3_P12ihipStream_tbPNSt15iterator_traitsISJ_E10value_typeEPNSP_ISK_E10value_typeEPSL_NS1_7vsmem_tEENKUlT_SJ_SK_SL_E_clIPiSE_SF_SF_EESI_SY_SJ_SK_SL_EUlSY_E0_NS1_11comp_targetILNS1_3genE2ELNS1_11target_archE906ELNS1_3gpuE6ELNS1_3repE0EEENS1_38merge_mergepath_config_static_selectorELNS0_4arch9wavefront6targetE0EEEvSK_: ; @_ZN7rocprim17ROCPRIM_400000_NS6detail17trampoline_kernelINS0_14default_configENS1_38merge_sort_block_merge_config_selectorIiNS0_10empty_typeEEEZZNS1_27merge_sort_block_merge_implIS3_N6thrust23THRUST_200600_302600_NS6detail15normal_iteratorINS9_10device_ptrIiEEEEPS5_m11less_div_10IiEEE10hipError_tT0_T1_T2_jT3_P12ihipStream_tbPNSt15iterator_traitsISJ_E10value_typeEPNSP_ISK_E10value_typeEPSL_NS1_7vsmem_tEENKUlT_SJ_SK_SL_E_clIPiSE_SF_SF_EESI_SY_SJ_SK_SL_EUlSY_E0_NS1_11comp_targetILNS1_3genE2ELNS1_11target_archE906ELNS1_3gpuE6ELNS1_3repE0EEENS1_38merge_mergepath_config_static_selectorELNS0_4arch9wavefront6targetE0EEEvSK_
; %bb.0:
	.section	.rodata,"a",@progbits
	.p2align	6, 0x0
	.amdhsa_kernel _ZN7rocprim17ROCPRIM_400000_NS6detail17trampoline_kernelINS0_14default_configENS1_38merge_sort_block_merge_config_selectorIiNS0_10empty_typeEEEZZNS1_27merge_sort_block_merge_implIS3_N6thrust23THRUST_200600_302600_NS6detail15normal_iteratorINS9_10device_ptrIiEEEEPS5_m11less_div_10IiEEE10hipError_tT0_T1_T2_jT3_P12ihipStream_tbPNSt15iterator_traitsISJ_E10value_typeEPNSP_ISK_E10value_typeEPSL_NS1_7vsmem_tEENKUlT_SJ_SK_SL_E_clIPiSE_SF_SF_EESI_SY_SJ_SK_SL_EUlSY_E0_NS1_11comp_targetILNS1_3genE2ELNS1_11target_archE906ELNS1_3gpuE6ELNS1_3repE0EEENS1_38merge_mergepath_config_static_selectorELNS0_4arch9wavefront6targetE0EEEvSK_
		.amdhsa_group_segment_fixed_size 0
		.amdhsa_private_segment_fixed_size 0
		.amdhsa_kernarg_size 72
		.amdhsa_user_sgpr_count 6
		.amdhsa_user_sgpr_private_segment_buffer 1
		.amdhsa_user_sgpr_dispatch_ptr 0
		.amdhsa_user_sgpr_queue_ptr 0
		.amdhsa_user_sgpr_kernarg_segment_ptr 1
		.amdhsa_user_sgpr_dispatch_id 0
		.amdhsa_user_sgpr_flat_scratch_init 0
		.amdhsa_user_sgpr_private_segment_size 0
		.amdhsa_wavefront_size32 1
		.amdhsa_uses_dynamic_stack 0
		.amdhsa_system_sgpr_private_segment_wavefront_offset 0
		.amdhsa_system_sgpr_workgroup_id_x 1
		.amdhsa_system_sgpr_workgroup_id_y 0
		.amdhsa_system_sgpr_workgroup_id_z 0
		.amdhsa_system_sgpr_workgroup_info 0
		.amdhsa_system_vgpr_workitem_id 0
		.amdhsa_next_free_vgpr 1
		.amdhsa_next_free_sgpr 1
		.amdhsa_reserve_vcc 0
		.amdhsa_reserve_flat_scratch 0
		.amdhsa_float_round_mode_32 0
		.amdhsa_float_round_mode_16_64 0
		.amdhsa_float_denorm_mode_32 3
		.amdhsa_float_denorm_mode_16_64 3
		.amdhsa_dx10_clamp 1
		.amdhsa_ieee_mode 1
		.amdhsa_fp16_overflow 0
		.amdhsa_workgroup_processor_mode 1
		.amdhsa_memory_ordered 1
		.amdhsa_forward_progress 1
		.amdhsa_shared_vgpr_count 0
		.amdhsa_exception_fp_ieee_invalid_op 0
		.amdhsa_exception_fp_denorm_src 0
		.amdhsa_exception_fp_ieee_div_zero 0
		.amdhsa_exception_fp_ieee_overflow 0
		.amdhsa_exception_fp_ieee_underflow 0
		.amdhsa_exception_fp_ieee_inexact 0
		.amdhsa_exception_int_div_zero 0
	.end_amdhsa_kernel
	.section	.text._ZN7rocprim17ROCPRIM_400000_NS6detail17trampoline_kernelINS0_14default_configENS1_38merge_sort_block_merge_config_selectorIiNS0_10empty_typeEEEZZNS1_27merge_sort_block_merge_implIS3_N6thrust23THRUST_200600_302600_NS6detail15normal_iteratorINS9_10device_ptrIiEEEEPS5_m11less_div_10IiEEE10hipError_tT0_T1_T2_jT3_P12ihipStream_tbPNSt15iterator_traitsISJ_E10value_typeEPNSP_ISK_E10value_typeEPSL_NS1_7vsmem_tEENKUlT_SJ_SK_SL_E_clIPiSE_SF_SF_EESI_SY_SJ_SK_SL_EUlSY_E0_NS1_11comp_targetILNS1_3genE2ELNS1_11target_archE906ELNS1_3gpuE6ELNS1_3repE0EEENS1_38merge_mergepath_config_static_selectorELNS0_4arch9wavefront6targetE0EEEvSK_,"axG",@progbits,_ZN7rocprim17ROCPRIM_400000_NS6detail17trampoline_kernelINS0_14default_configENS1_38merge_sort_block_merge_config_selectorIiNS0_10empty_typeEEEZZNS1_27merge_sort_block_merge_implIS3_N6thrust23THRUST_200600_302600_NS6detail15normal_iteratorINS9_10device_ptrIiEEEEPS5_m11less_div_10IiEEE10hipError_tT0_T1_T2_jT3_P12ihipStream_tbPNSt15iterator_traitsISJ_E10value_typeEPNSP_ISK_E10value_typeEPSL_NS1_7vsmem_tEENKUlT_SJ_SK_SL_E_clIPiSE_SF_SF_EESI_SY_SJ_SK_SL_EUlSY_E0_NS1_11comp_targetILNS1_3genE2ELNS1_11target_archE906ELNS1_3gpuE6ELNS1_3repE0EEENS1_38merge_mergepath_config_static_selectorELNS0_4arch9wavefront6targetE0EEEvSK_,comdat
.Lfunc_end442:
	.size	_ZN7rocprim17ROCPRIM_400000_NS6detail17trampoline_kernelINS0_14default_configENS1_38merge_sort_block_merge_config_selectorIiNS0_10empty_typeEEEZZNS1_27merge_sort_block_merge_implIS3_N6thrust23THRUST_200600_302600_NS6detail15normal_iteratorINS9_10device_ptrIiEEEEPS5_m11less_div_10IiEEE10hipError_tT0_T1_T2_jT3_P12ihipStream_tbPNSt15iterator_traitsISJ_E10value_typeEPNSP_ISK_E10value_typeEPSL_NS1_7vsmem_tEENKUlT_SJ_SK_SL_E_clIPiSE_SF_SF_EESI_SY_SJ_SK_SL_EUlSY_E0_NS1_11comp_targetILNS1_3genE2ELNS1_11target_archE906ELNS1_3gpuE6ELNS1_3repE0EEENS1_38merge_mergepath_config_static_selectorELNS0_4arch9wavefront6targetE0EEEvSK_, .Lfunc_end442-_ZN7rocprim17ROCPRIM_400000_NS6detail17trampoline_kernelINS0_14default_configENS1_38merge_sort_block_merge_config_selectorIiNS0_10empty_typeEEEZZNS1_27merge_sort_block_merge_implIS3_N6thrust23THRUST_200600_302600_NS6detail15normal_iteratorINS9_10device_ptrIiEEEEPS5_m11less_div_10IiEEE10hipError_tT0_T1_T2_jT3_P12ihipStream_tbPNSt15iterator_traitsISJ_E10value_typeEPNSP_ISK_E10value_typeEPSL_NS1_7vsmem_tEENKUlT_SJ_SK_SL_E_clIPiSE_SF_SF_EESI_SY_SJ_SK_SL_EUlSY_E0_NS1_11comp_targetILNS1_3genE2ELNS1_11target_archE906ELNS1_3gpuE6ELNS1_3repE0EEENS1_38merge_mergepath_config_static_selectorELNS0_4arch9wavefront6targetE0EEEvSK_
                                        ; -- End function
	.set _ZN7rocprim17ROCPRIM_400000_NS6detail17trampoline_kernelINS0_14default_configENS1_38merge_sort_block_merge_config_selectorIiNS0_10empty_typeEEEZZNS1_27merge_sort_block_merge_implIS3_N6thrust23THRUST_200600_302600_NS6detail15normal_iteratorINS9_10device_ptrIiEEEEPS5_m11less_div_10IiEEE10hipError_tT0_T1_T2_jT3_P12ihipStream_tbPNSt15iterator_traitsISJ_E10value_typeEPNSP_ISK_E10value_typeEPSL_NS1_7vsmem_tEENKUlT_SJ_SK_SL_E_clIPiSE_SF_SF_EESI_SY_SJ_SK_SL_EUlSY_E0_NS1_11comp_targetILNS1_3genE2ELNS1_11target_archE906ELNS1_3gpuE6ELNS1_3repE0EEENS1_38merge_mergepath_config_static_selectorELNS0_4arch9wavefront6targetE0EEEvSK_.num_vgpr, 0
	.set _ZN7rocprim17ROCPRIM_400000_NS6detail17trampoline_kernelINS0_14default_configENS1_38merge_sort_block_merge_config_selectorIiNS0_10empty_typeEEEZZNS1_27merge_sort_block_merge_implIS3_N6thrust23THRUST_200600_302600_NS6detail15normal_iteratorINS9_10device_ptrIiEEEEPS5_m11less_div_10IiEEE10hipError_tT0_T1_T2_jT3_P12ihipStream_tbPNSt15iterator_traitsISJ_E10value_typeEPNSP_ISK_E10value_typeEPSL_NS1_7vsmem_tEENKUlT_SJ_SK_SL_E_clIPiSE_SF_SF_EESI_SY_SJ_SK_SL_EUlSY_E0_NS1_11comp_targetILNS1_3genE2ELNS1_11target_archE906ELNS1_3gpuE6ELNS1_3repE0EEENS1_38merge_mergepath_config_static_selectorELNS0_4arch9wavefront6targetE0EEEvSK_.num_agpr, 0
	.set _ZN7rocprim17ROCPRIM_400000_NS6detail17trampoline_kernelINS0_14default_configENS1_38merge_sort_block_merge_config_selectorIiNS0_10empty_typeEEEZZNS1_27merge_sort_block_merge_implIS3_N6thrust23THRUST_200600_302600_NS6detail15normal_iteratorINS9_10device_ptrIiEEEEPS5_m11less_div_10IiEEE10hipError_tT0_T1_T2_jT3_P12ihipStream_tbPNSt15iterator_traitsISJ_E10value_typeEPNSP_ISK_E10value_typeEPSL_NS1_7vsmem_tEENKUlT_SJ_SK_SL_E_clIPiSE_SF_SF_EESI_SY_SJ_SK_SL_EUlSY_E0_NS1_11comp_targetILNS1_3genE2ELNS1_11target_archE906ELNS1_3gpuE6ELNS1_3repE0EEENS1_38merge_mergepath_config_static_selectorELNS0_4arch9wavefront6targetE0EEEvSK_.numbered_sgpr, 0
	.set _ZN7rocprim17ROCPRIM_400000_NS6detail17trampoline_kernelINS0_14default_configENS1_38merge_sort_block_merge_config_selectorIiNS0_10empty_typeEEEZZNS1_27merge_sort_block_merge_implIS3_N6thrust23THRUST_200600_302600_NS6detail15normal_iteratorINS9_10device_ptrIiEEEEPS5_m11less_div_10IiEEE10hipError_tT0_T1_T2_jT3_P12ihipStream_tbPNSt15iterator_traitsISJ_E10value_typeEPNSP_ISK_E10value_typeEPSL_NS1_7vsmem_tEENKUlT_SJ_SK_SL_E_clIPiSE_SF_SF_EESI_SY_SJ_SK_SL_EUlSY_E0_NS1_11comp_targetILNS1_3genE2ELNS1_11target_archE906ELNS1_3gpuE6ELNS1_3repE0EEENS1_38merge_mergepath_config_static_selectorELNS0_4arch9wavefront6targetE0EEEvSK_.num_named_barrier, 0
	.set _ZN7rocprim17ROCPRIM_400000_NS6detail17trampoline_kernelINS0_14default_configENS1_38merge_sort_block_merge_config_selectorIiNS0_10empty_typeEEEZZNS1_27merge_sort_block_merge_implIS3_N6thrust23THRUST_200600_302600_NS6detail15normal_iteratorINS9_10device_ptrIiEEEEPS5_m11less_div_10IiEEE10hipError_tT0_T1_T2_jT3_P12ihipStream_tbPNSt15iterator_traitsISJ_E10value_typeEPNSP_ISK_E10value_typeEPSL_NS1_7vsmem_tEENKUlT_SJ_SK_SL_E_clIPiSE_SF_SF_EESI_SY_SJ_SK_SL_EUlSY_E0_NS1_11comp_targetILNS1_3genE2ELNS1_11target_archE906ELNS1_3gpuE6ELNS1_3repE0EEENS1_38merge_mergepath_config_static_selectorELNS0_4arch9wavefront6targetE0EEEvSK_.private_seg_size, 0
	.set _ZN7rocprim17ROCPRIM_400000_NS6detail17trampoline_kernelINS0_14default_configENS1_38merge_sort_block_merge_config_selectorIiNS0_10empty_typeEEEZZNS1_27merge_sort_block_merge_implIS3_N6thrust23THRUST_200600_302600_NS6detail15normal_iteratorINS9_10device_ptrIiEEEEPS5_m11less_div_10IiEEE10hipError_tT0_T1_T2_jT3_P12ihipStream_tbPNSt15iterator_traitsISJ_E10value_typeEPNSP_ISK_E10value_typeEPSL_NS1_7vsmem_tEENKUlT_SJ_SK_SL_E_clIPiSE_SF_SF_EESI_SY_SJ_SK_SL_EUlSY_E0_NS1_11comp_targetILNS1_3genE2ELNS1_11target_archE906ELNS1_3gpuE6ELNS1_3repE0EEENS1_38merge_mergepath_config_static_selectorELNS0_4arch9wavefront6targetE0EEEvSK_.uses_vcc, 0
	.set _ZN7rocprim17ROCPRIM_400000_NS6detail17trampoline_kernelINS0_14default_configENS1_38merge_sort_block_merge_config_selectorIiNS0_10empty_typeEEEZZNS1_27merge_sort_block_merge_implIS3_N6thrust23THRUST_200600_302600_NS6detail15normal_iteratorINS9_10device_ptrIiEEEEPS5_m11less_div_10IiEEE10hipError_tT0_T1_T2_jT3_P12ihipStream_tbPNSt15iterator_traitsISJ_E10value_typeEPNSP_ISK_E10value_typeEPSL_NS1_7vsmem_tEENKUlT_SJ_SK_SL_E_clIPiSE_SF_SF_EESI_SY_SJ_SK_SL_EUlSY_E0_NS1_11comp_targetILNS1_3genE2ELNS1_11target_archE906ELNS1_3gpuE6ELNS1_3repE0EEENS1_38merge_mergepath_config_static_selectorELNS0_4arch9wavefront6targetE0EEEvSK_.uses_flat_scratch, 0
	.set _ZN7rocprim17ROCPRIM_400000_NS6detail17trampoline_kernelINS0_14default_configENS1_38merge_sort_block_merge_config_selectorIiNS0_10empty_typeEEEZZNS1_27merge_sort_block_merge_implIS3_N6thrust23THRUST_200600_302600_NS6detail15normal_iteratorINS9_10device_ptrIiEEEEPS5_m11less_div_10IiEEE10hipError_tT0_T1_T2_jT3_P12ihipStream_tbPNSt15iterator_traitsISJ_E10value_typeEPNSP_ISK_E10value_typeEPSL_NS1_7vsmem_tEENKUlT_SJ_SK_SL_E_clIPiSE_SF_SF_EESI_SY_SJ_SK_SL_EUlSY_E0_NS1_11comp_targetILNS1_3genE2ELNS1_11target_archE906ELNS1_3gpuE6ELNS1_3repE0EEENS1_38merge_mergepath_config_static_selectorELNS0_4arch9wavefront6targetE0EEEvSK_.has_dyn_sized_stack, 0
	.set _ZN7rocprim17ROCPRIM_400000_NS6detail17trampoline_kernelINS0_14default_configENS1_38merge_sort_block_merge_config_selectorIiNS0_10empty_typeEEEZZNS1_27merge_sort_block_merge_implIS3_N6thrust23THRUST_200600_302600_NS6detail15normal_iteratorINS9_10device_ptrIiEEEEPS5_m11less_div_10IiEEE10hipError_tT0_T1_T2_jT3_P12ihipStream_tbPNSt15iterator_traitsISJ_E10value_typeEPNSP_ISK_E10value_typeEPSL_NS1_7vsmem_tEENKUlT_SJ_SK_SL_E_clIPiSE_SF_SF_EESI_SY_SJ_SK_SL_EUlSY_E0_NS1_11comp_targetILNS1_3genE2ELNS1_11target_archE906ELNS1_3gpuE6ELNS1_3repE0EEENS1_38merge_mergepath_config_static_selectorELNS0_4arch9wavefront6targetE0EEEvSK_.has_recursion, 0
	.set _ZN7rocprim17ROCPRIM_400000_NS6detail17trampoline_kernelINS0_14default_configENS1_38merge_sort_block_merge_config_selectorIiNS0_10empty_typeEEEZZNS1_27merge_sort_block_merge_implIS3_N6thrust23THRUST_200600_302600_NS6detail15normal_iteratorINS9_10device_ptrIiEEEEPS5_m11less_div_10IiEEE10hipError_tT0_T1_T2_jT3_P12ihipStream_tbPNSt15iterator_traitsISJ_E10value_typeEPNSP_ISK_E10value_typeEPSL_NS1_7vsmem_tEENKUlT_SJ_SK_SL_E_clIPiSE_SF_SF_EESI_SY_SJ_SK_SL_EUlSY_E0_NS1_11comp_targetILNS1_3genE2ELNS1_11target_archE906ELNS1_3gpuE6ELNS1_3repE0EEENS1_38merge_mergepath_config_static_selectorELNS0_4arch9wavefront6targetE0EEEvSK_.has_indirect_call, 0
	.section	.AMDGPU.csdata,"",@progbits
; Kernel info:
; codeLenInByte = 0
; TotalNumSgprs: 0
; NumVgprs: 0
; ScratchSize: 0
; MemoryBound: 0
; FloatMode: 240
; IeeeMode: 1
; LDSByteSize: 0 bytes/workgroup (compile time only)
; SGPRBlocks: 0
; VGPRBlocks: 0
; NumSGPRsForWavesPerEU: 1
; NumVGPRsForWavesPerEU: 1
; Occupancy: 16
; WaveLimiterHint : 0
; COMPUTE_PGM_RSRC2:SCRATCH_EN: 0
; COMPUTE_PGM_RSRC2:USER_SGPR: 6
; COMPUTE_PGM_RSRC2:TRAP_HANDLER: 0
; COMPUTE_PGM_RSRC2:TGID_X_EN: 1
; COMPUTE_PGM_RSRC2:TGID_Y_EN: 0
; COMPUTE_PGM_RSRC2:TGID_Z_EN: 0
; COMPUTE_PGM_RSRC2:TIDIG_COMP_CNT: 0
	.section	.text._ZN7rocprim17ROCPRIM_400000_NS6detail17trampoline_kernelINS0_14default_configENS1_38merge_sort_block_merge_config_selectorIiNS0_10empty_typeEEEZZNS1_27merge_sort_block_merge_implIS3_N6thrust23THRUST_200600_302600_NS6detail15normal_iteratorINS9_10device_ptrIiEEEEPS5_m11less_div_10IiEEE10hipError_tT0_T1_T2_jT3_P12ihipStream_tbPNSt15iterator_traitsISJ_E10value_typeEPNSP_ISK_E10value_typeEPSL_NS1_7vsmem_tEENKUlT_SJ_SK_SL_E_clIPiSE_SF_SF_EESI_SY_SJ_SK_SL_EUlSY_E0_NS1_11comp_targetILNS1_3genE9ELNS1_11target_archE1100ELNS1_3gpuE3ELNS1_3repE0EEENS1_38merge_mergepath_config_static_selectorELNS0_4arch9wavefront6targetE0EEEvSK_,"axG",@progbits,_ZN7rocprim17ROCPRIM_400000_NS6detail17trampoline_kernelINS0_14default_configENS1_38merge_sort_block_merge_config_selectorIiNS0_10empty_typeEEEZZNS1_27merge_sort_block_merge_implIS3_N6thrust23THRUST_200600_302600_NS6detail15normal_iteratorINS9_10device_ptrIiEEEEPS5_m11less_div_10IiEEE10hipError_tT0_T1_T2_jT3_P12ihipStream_tbPNSt15iterator_traitsISJ_E10value_typeEPNSP_ISK_E10value_typeEPSL_NS1_7vsmem_tEENKUlT_SJ_SK_SL_E_clIPiSE_SF_SF_EESI_SY_SJ_SK_SL_EUlSY_E0_NS1_11comp_targetILNS1_3genE9ELNS1_11target_archE1100ELNS1_3gpuE3ELNS1_3repE0EEENS1_38merge_mergepath_config_static_selectorELNS0_4arch9wavefront6targetE0EEEvSK_,comdat
	.protected	_ZN7rocprim17ROCPRIM_400000_NS6detail17trampoline_kernelINS0_14default_configENS1_38merge_sort_block_merge_config_selectorIiNS0_10empty_typeEEEZZNS1_27merge_sort_block_merge_implIS3_N6thrust23THRUST_200600_302600_NS6detail15normal_iteratorINS9_10device_ptrIiEEEEPS5_m11less_div_10IiEEE10hipError_tT0_T1_T2_jT3_P12ihipStream_tbPNSt15iterator_traitsISJ_E10value_typeEPNSP_ISK_E10value_typeEPSL_NS1_7vsmem_tEENKUlT_SJ_SK_SL_E_clIPiSE_SF_SF_EESI_SY_SJ_SK_SL_EUlSY_E0_NS1_11comp_targetILNS1_3genE9ELNS1_11target_archE1100ELNS1_3gpuE3ELNS1_3repE0EEENS1_38merge_mergepath_config_static_selectorELNS0_4arch9wavefront6targetE0EEEvSK_ ; -- Begin function _ZN7rocprim17ROCPRIM_400000_NS6detail17trampoline_kernelINS0_14default_configENS1_38merge_sort_block_merge_config_selectorIiNS0_10empty_typeEEEZZNS1_27merge_sort_block_merge_implIS3_N6thrust23THRUST_200600_302600_NS6detail15normal_iteratorINS9_10device_ptrIiEEEEPS5_m11less_div_10IiEEE10hipError_tT0_T1_T2_jT3_P12ihipStream_tbPNSt15iterator_traitsISJ_E10value_typeEPNSP_ISK_E10value_typeEPSL_NS1_7vsmem_tEENKUlT_SJ_SK_SL_E_clIPiSE_SF_SF_EESI_SY_SJ_SK_SL_EUlSY_E0_NS1_11comp_targetILNS1_3genE9ELNS1_11target_archE1100ELNS1_3gpuE3ELNS1_3repE0EEENS1_38merge_mergepath_config_static_selectorELNS0_4arch9wavefront6targetE0EEEvSK_
	.globl	_ZN7rocprim17ROCPRIM_400000_NS6detail17trampoline_kernelINS0_14default_configENS1_38merge_sort_block_merge_config_selectorIiNS0_10empty_typeEEEZZNS1_27merge_sort_block_merge_implIS3_N6thrust23THRUST_200600_302600_NS6detail15normal_iteratorINS9_10device_ptrIiEEEEPS5_m11less_div_10IiEEE10hipError_tT0_T1_T2_jT3_P12ihipStream_tbPNSt15iterator_traitsISJ_E10value_typeEPNSP_ISK_E10value_typeEPSL_NS1_7vsmem_tEENKUlT_SJ_SK_SL_E_clIPiSE_SF_SF_EESI_SY_SJ_SK_SL_EUlSY_E0_NS1_11comp_targetILNS1_3genE9ELNS1_11target_archE1100ELNS1_3gpuE3ELNS1_3repE0EEENS1_38merge_mergepath_config_static_selectorELNS0_4arch9wavefront6targetE0EEEvSK_
	.p2align	8
	.type	_ZN7rocprim17ROCPRIM_400000_NS6detail17trampoline_kernelINS0_14default_configENS1_38merge_sort_block_merge_config_selectorIiNS0_10empty_typeEEEZZNS1_27merge_sort_block_merge_implIS3_N6thrust23THRUST_200600_302600_NS6detail15normal_iteratorINS9_10device_ptrIiEEEEPS5_m11less_div_10IiEEE10hipError_tT0_T1_T2_jT3_P12ihipStream_tbPNSt15iterator_traitsISJ_E10value_typeEPNSP_ISK_E10value_typeEPSL_NS1_7vsmem_tEENKUlT_SJ_SK_SL_E_clIPiSE_SF_SF_EESI_SY_SJ_SK_SL_EUlSY_E0_NS1_11comp_targetILNS1_3genE9ELNS1_11target_archE1100ELNS1_3gpuE3ELNS1_3repE0EEENS1_38merge_mergepath_config_static_selectorELNS0_4arch9wavefront6targetE0EEEvSK_,@function
_ZN7rocprim17ROCPRIM_400000_NS6detail17trampoline_kernelINS0_14default_configENS1_38merge_sort_block_merge_config_selectorIiNS0_10empty_typeEEEZZNS1_27merge_sort_block_merge_implIS3_N6thrust23THRUST_200600_302600_NS6detail15normal_iteratorINS9_10device_ptrIiEEEEPS5_m11less_div_10IiEEE10hipError_tT0_T1_T2_jT3_P12ihipStream_tbPNSt15iterator_traitsISJ_E10value_typeEPNSP_ISK_E10value_typeEPSL_NS1_7vsmem_tEENKUlT_SJ_SK_SL_E_clIPiSE_SF_SF_EESI_SY_SJ_SK_SL_EUlSY_E0_NS1_11comp_targetILNS1_3genE9ELNS1_11target_archE1100ELNS1_3gpuE3ELNS1_3repE0EEENS1_38merge_mergepath_config_static_selectorELNS0_4arch9wavefront6targetE0EEEvSK_: ; @_ZN7rocprim17ROCPRIM_400000_NS6detail17trampoline_kernelINS0_14default_configENS1_38merge_sort_block_merge_config_selectorIiNS0_10empty_typeEEEZZNS1_27merge_sort_block_merge_implIS3_N6thrust23THRUST_200600_302600_NS6detail15normal_iteratorINS9_10device_ptrIiEEEEPS5_m11less_div_10IiEEE10hipError_tT0_T1_T2_jT3_P12ihipStream_tbPNSt15iterator_traitsISJ_E10value_typeEPNSP_ISK_E10value_typeEPSL_NS1_7vsmem_tEENKUlT_SJ_SK_SL_E_clIPiSE_SF_SF_EESI_SY_SJ_SK_SL_EUlSY_E0_NS1_11comp_targetILNS1_3genE9ELNS1_11target_archE1100ELNS1_3gpuE3ELNS1_3repE0EEENS1_38merge_mergepath_config_static_selectorELNS0_4arch9wavefront6targetE0EEEvSK_
; %bb.0:
	.section	.rodata,"a",@progbits
	.p2align	6, 0x0
	.amdhsa_kernel _ZN7rocprim17ROCPRIM_400000_NS6detail17trampoline_kernelINS0_14default_configENS1_38merge_sort_block_merge_config_selectorIiNS0_10empty_typeEEEZZNS1_27merge_sort_block_merge_implIS3_N6thrust23THRUST_200600_302600_NS6detail15normal_iteratorINS9_10device_ptrIiEEEEPS5_m11less_div_10IiEEE10hipError_tT0_T1_T2_jT3_P12ihipStream_tbPNSt15iterator_traitsISJ_E10value_typeEPNSP_ISK_E10value_typeEPSL_NS1_7vsmem_tEENKUlT_SJ_SK_SL_E_clIPiSE_SF_SF_EESI_SY_SJ_SK_SL_EUlSY_E0_NS1_11comp_targetILNS1_3genE9ELNS1_11target_archE1100ELNS1_3gpuE3ELNS1_3repE0EEENS1_38merge_mergepath_config_static_selectorELNS0_4arch9wavefront6targetE0EEEvSK_
		.amdhsa_group_segment_fixed_size 0
		.amdhsa_private_segment_fixed_size 0
		.amdhsa_kernarg_size 72
		.amdhsa_user_sgpr_count 6
		.amdhsa_user_sgpr_private_segment_buffer 1
		.amdhsa_user_sgpr_dispatch_ptr 0
		.amdhsa_user_sgpr_queue_ptr 0
		.amdhsa_user_sgpr_kernarg_segment_ptr 1
		.amdhsa_user_sgpr_dispatch_id 0
		.amdhsa_user_sgpr_flat_scratch_init 0
		.amdhsa_user_sgpr_private_segment_size 0
		.amdhsa_wavefront_size32 1
		.amdhsa_uses_dynamic_stack 0
		.amdhsa_system_sgpr_private_segment_wavefront_offset 0
		.amdhsa_system_sgpr_workgroup_id_x 1
		.amdhsa_system_sgpr_workgroup_id_y 0
		.amdhsa_system_sgpr_workgroup_id_z 0
		.amdhsa_system_sgpr_workgroup_info 0
		.amdhsa_system_vgpr_workitem_id 0
		.amdhsa_next_free_vgpr 1
		.amdhsa_next_free_sgpr 1
		.amdhsa_reserve_vcc 0
		.amdhsa_reserve_flat_scratch 0
		.amdhsa_float_round_mode_32 0
		.amdhsa_float_round_mode_16_64 0
		.amdhsa_float_denorm_mode_32 3
		.amdhsa_float_denorm_mode_16_64 3
		.amdhsa_dx10_clamp 1
		.amdhsa_ieee_mode 1
		.amdhsa_fp16_overflow 0
		.amdhsa_workgroup_processor_mode 1
		.amdhsa_memory_ordered 1
		.amdhsa_forward_progress 1
		.amdhsa_shared_vgpr_count 0
		.amdhsa_exception_fp_ieee_invalid_op 0
		.amdhsa_exception_fp_denorm_src 0
		.amdhsa_exception_fp_ieee_div_zero 0
		.amdhsa_exception_fp_ieee_overflow 0
		.amdhsa_exception_fp_ieee_underflow 0
		.amdhsa_exception_fp_ieee_inexact 0
		.amdhsa_exception_int_div_zero 0
	.end_amdhsa_kernel
	.section	.text._ZN7rocprim17ROCPRIM_400000_NS6detail17trampoline_kernelINS0_14default_configENS1_38merge_sort_block_merge_config_selectorIiNS0_10empty_typeEEEZZNS1_27merge_sort_block_merge_implIS3_N6thrust23THRUST_200600_302600_NS6detail15normal_iteratorINS9_10device_ptrIiEEEEPS5_m11less_div_10IiEEE10hipError_tT0_T1_T2_jT3_P12ihipStream_tbPNSt15iterator_traitsISJ_E10value_typeEPNSP_ISK_E10value_typeEPSL_NS1_7vsmem_tEENKUlT_SJ_SK_SL_E_clIPiSE_SF_SF_EESI_SY_SJ_SK_SL_EUlSY_E0_NS1_11comp_targetILNS1_3genE9ELNS1_11target_archE1100ELNS1_3gpuE3ELNS1_3repE0EEENS1_38merge_mergepath_config_static_selectorELNS0_4arch9wavefront6targetE0EEEvSK_,"axG",@progbits,_ZN7rocprim17ROCPRIM_400000_NS6detail17trampoline_kernelINS0_14default_configENS1_38merge_sort_block_merge_config_selectorIiNS0_10empty_typeEEEZZNS1_27merge_sort_block_merge_implIS3_N6thrust23THRUST_200600_302600_NS6detail15normal_iteratorINS9_10device_ptrIiEEEEPS5_m11less_div_10IiEEE10hipError_tT0_T1_T2_jT3_P12ihipStream_tbPNSt15iterator_traitsISJ_E10value_typeEPNSP_ISK_E10value_typeEPSL_NS1_7vsmem_tEENKUlT_SJ_SK_SL_E_clIPiSE_SF_SF_EESI_SY_SJ_SK_SL_EUlSY_E0_NS1_11comp_targetILNS1_3genE9ELNS1_11target_archE1100ELNS1_3gpuE3ELNS1_3repE0EEENS1_38merge_mergepath_config_static_selectorELNS0_4arch9wavefront6targetE0EEEvSK_,comdat
.Lfunc_end443:
	.size	_ZN7rocprim17ROCPRIM_400000_NS6detail17trampoline_kernelINS0_14default_configENS1_38merge_sort_block_merge_config_selectorIiNS0_10empty_typeEEEZZNS1_27merge_sort_block_merge_implIS3_N6thrust23THRUST_200600_302600_NS6detail15normal_iteratorINS9_10device_ptrIiEEEEPS5_m11less_div_10IiEEE10hipError_tT0_T1_T2_jT3_P12ihipStream_tbPNSt15iterator_traitsISJ_E10value_typeEPNSP_ISK_E10value_typeEPSL_NS1_7vsmem_tEENKUlT_SJ_SK_SL_E_clIPiSE_SF_SF_EESI_SY_SJ_SK_SL_EUlSY_E0_NS1_11comp_targetILNS1_3genE9ELNS1_11target_archE1100ELNS1_3gpuE3ELNS1_3repE0EEENS1_38merge_mergepath_config_static_selectorELNS0_4arch9wavefront6targetE0EEEvSK_, .Lfunc_end443-_ZN7rocprim17ROCPRIM_400000_NS6detail17trampoline_kernelINS0_14default_configENS1_38merge_sort_block_merge_config_selectorIiNS0_10empty_typeEEEZZNS1_27merge_sort_block_merge_implIS3_N6thrust23THRUST_200600_302600_NS6detail15normal_iteratorINS9_10device_ptrIiEEEEPS5_m11less_div_10IiEEE10hipError_tT0_T1_T2_jT3_P12ihipStream_tbPNSt15iterator_traitsISJ_E10value_typeEPNSP_ISK_E10value_typeEPSL_NS1_7vsmem_tEENKUlT_SJ_SK_SL_E_clIPiSE_SF_SF_EESI_SY_SJ_SK_SL_EUlSY_E0_NS1_11comp_targetILNS1_3genE9ELNS1_11target_archE1100ELNS1_3gpuE3ELNS1_3repE0EEENS1_38merge_mergepath_config_static_selectorELNS0_4arch9wavefront6targetE0EEEvSK_
                                        ; -- End function
	.set _ZN7rocprim17ROCPRIM_400000_NS6detail17trampoline_kernelINS0_14default_configENS1_38merge_sort_block_merge_config_selectorIiNS0_10empty_typeEEEZZNS1_27merge_sort_block_merge_implIS3_N6thrust23THRUST_200600_302600_NS6detail15normal_iteratorINS9_10device_ptrIiEEEEPS5_m11less_div_10IiEEE10hipError_tT0_T1_T2_jT3_P12ihipStream_tbPNSt15iterator_traitsISJ_E10value_typeEPNSP_ISK_E10value_typeEPSL_NS1_7vsmem_tEENKUlT_SJ_SK_SL_E_clIPiSE_SF_SF_EESI_SY_SJ_SK_SL_EUlSY_E0_NS1_11comp_targetILNS1_3genE9ELNS1_11target_archE1100ELNS1_3gpuE3ELNS1_3repE0EEENS1_38merge_mergepath_config_static_selectorELNS0_4arch9wavefront6targetE0EEEvSK_.num_vgpr, 0
	.set _ZN7rocprim17ROCPRIM_400000_NS6detail17trampoline_kernelINS0_14default_configENS1_38merge_sort_block_merge_config_selectorIiNS0_10empty_typeEEEZZNS1_27merge_sort_block_merge_implIS3_N6thrust23THRUST_200600_302600_NS6detail15normal_iteratorINS9_10device_ptrIiEEEEPS5_m11less_div_10IiEEE10hipError_tT0_T1_T2_jT3_P12ihipStream_tbPNSt15iterator_traitsISJ_E10value_typeEPNSP_ISK_E10value_typeEPSL_NS1_7vsmem_tEENKUlT_SJ_SK_SL_E_clIPiSE_SF_SF_EESI_SY_SJ_SK_SL_EUlSY_E0_NS1_11comp_targetILNS1_3genE9ELNS1_11target_archE1100ELNS1_3gpuE3ELNS1_3repE0EEENS1_38merge_mergepath_config_static_selectorELNS0_4arch9wavefront6targetE0EEEvSK_.num_agpr, 0
	.set _ZN7rocprim17ROCPRIM_400000_NS6detail17trampoline_kernelINS0_14default_configENS1_38merge_sort_block_merge_config_selectorIiNS0_10empty_typeEEEZZNS1_27merge_sort_block_merge_implIS3_N6thrust23THRUST_200600_302600_NS6detail15normal_iteratorINS9_10device_ptrIiEEEEPS5_m11less_div_10IiEEE10hipError_tT0_T1_T2_jT3_P12ihipStream_tbPNSt15iterator_traitsISJ_E10value_typeEPNSP_ISK_E10value_typeEPSL_NS1_7vsmem_tEENKUlT_SJ_SK_SL_E_clIPiSE_SF_SF_EESI_SY_SJ_SK_SL_EUlSY_E0_NS1_11comp_targetILNS1_3genE9ELNS1_11target_archE1100ELNS1_3gpuE3ELNS1_3repE0EEENS1_38merge_mergepath_config_static_selectorELNS0_4arch9wavefront6targetE0EEEvSK_.numbered_sgpr, 0
	.set _ZN7rocprim17ROCPRIM_400000_NS6detail17trampoline_kernelINS0_14default_configENS1_38merge_sort_block_merge_config_selectorIiNS0_10empty_typeEEEZZNS1_27merge_sort_block_merge_implIS3_N6thrust23THRUST_200600_302600_NS6detail15normal_iteratorINS9_10device_ptrIiEEEEPS5_m11less_div_10IiEEE10hipError_tT0_T1_T2_jT3_P12ihipStream_tbPNSt15iterator_traitsISJ_E10value_typeEPNSP_ISK_E10value_typeEPSL_NS1_7vsmem_tEENKUlT_SJ_SK_SL_E_clIPiSE_SF_SF_EESI_SY_SJ_SK_SL_EUlSY_E0_NS1_11comp_targetILNS1_3genE9ELNS1_11target_archE1100ELNS1_3gpuE3ELNS1_3repE0EEENS1_38merge_mergepath_config_static_selectorELNS0_4arch9wavefront6targetE0EEEvSK_.num_named_barrier, 0
	.set _ZN7rocprim17ROCPRIM_400000_NS6detail17trampoline_kernelINS0_14default_configENS1_38merge_sort_block_merge_config_selectorIiNS0_10empty_typeEEEZZNS1_27merge_sort_block_merge_implIS3_N6thrust23THRUST_200600_302600_NS6detail15normal_iteratorINS9_10device_ptrIiEEEEPS5_m11less_div_10IiEEE10hipError_tT0_T1_T2_jT3_P12ihipStream_tbPNSt15iterator_traitsISJ_E10value_typeEPNSP_ISK_E10value_typeEPSL_NS1_7vsmem_tEENKUlT_SJ_SK_SL_E_clIPiSE_SF_SF_EESI_SY_SJ_SK_SL_EUlSY_E0_NS1_11comp_targetILNS1_3genE9ELNS1_11target_archE1100ELNS1_3gpuE3ELNS1_3repE0EEENS1_38merge_mergepath_config_static_selectorELNS0_4arch9wavefront6targetE0EEEvSK_.private_seg_size, 0
	.set _ZN7rocprim17ROCPRIM_400000_NS6detail17trampoline_kernelINS0_14default_configENS1_38merge_sort_block_merge_config_selectorIiNS0_10empty_typeEEEZZNS1_27merge_sort_block_merge_implIS3_N6thrust23THRUST_200600_302600_NS6detail15normal_iteratorINS9_10device_ptrIiEEEEPS5_m11less_div_10IiEEE10hipError_tT0_T1_T2_jT3_P12ihipStream_tbPNSt15iterator_traitsISJ_E10value_typeEPNSP_ISK_E10value_typeEPSL_NS1_7vsmem_tEENKUlT_SJ_SK_SL_E_clIPiSE_SF_SF_EESI_SY_SJ_SK_SL_EUlSY_E0_NS1_11comp_targetILNS1_3genE9ELNS1_11target_archE1100ELNS1_3gpuE3ELNS1_3repE0EEENS1_38merge_mergepath_config_static_selectorELNS0_4arch9wavefront6targetE0EEEvSK_.uses_vcc, 0
	.set _ZN7rocprim17ROCPRIM_400000_NS6detail17trampoline_kernelINS0_14default_configENS1_38merge_sort_block_merge_config_selectorIiNS0_10empty_typeEEEZZNS1_27merge_sort_block_merge_implIS3_N6thrust23THRUST_200600_302600_NS6detail15normal_iteratorINS9_10device_ptrIiEEEEPS5_m11less_div_10IiEEE10hipError_tT0_T1_T2_jT3_P12ihipStream_tbPNSt15iterator_traitsISJ_E10value_typeEPNSP_ISK_E10value_typeEPSL_NS1_7vsmem_tEENKUlT_SJ_SK_SL_E_clIPiSE_SF_SF_EESI_SY_SJ_SK_SL_EUlSY_E0_NS1_11comp_targetILNS1_3genE9ELNS1_11target_archE1100ELNS1_3gpuE3ELNS1_3repE0EEENS1_38merge_mergepath_config_static_selectorELNS0_4arch9wavefront6targetE0EEEvSK_.uses_flat_scratch, 0
	.set _ZN7rocprim17ROCPRIM_400000_NS6detail17trampoline_kernelINS0_14default_configENS1_38merge_sort_block_merge_config_selectorIiNS0_10empty_typeEEEZZNS1_27merge_sort_block_merge_implIS3_N6thrust23THRUST_200600_302600_NS6detail15normal_iteratorINS9_10device_ptrIiEEEEPS5_m11less_div_10IiEEE10hipError_tT0_T1_T2_jT3_P12ihipStream_tbPNSt15iterator_traitsISJ_E10value_typeEPNSP_ISK_E10value_typeEPSL_NS1_7vsmem_tEENKUlT_SJ_SK_SL_E_clIPiSE_SF_SF_EESI_SY_SJ_SK_SL_EUlSY_E0_NS1_11comp_targetILNS1_3genE9ELNS1_11target_archE1100ELNS1_3gpuE3ELNS1_3repE0EEENS1_38merge_mergepath_config_static_selectorELNS0_4arch9wavefront6targetE0EEEvSK_.has_dyn_sized_stack, 0
	.set _ZN7rocprim17ROCPRIM_400000_NS6detail17trampoline_kernelINS0_14default_configENS1_38merge_sort_block_merge_config_selectorIiNS0_10empty_typeEEEZZNS1_27merge_sort_block_merge_implIS3_N6thrust23THRUST_200600_302600_NS6detail15normal_iteratorINS9_10device_ptrIiEEEEPS5_m11less_div_10IiEEE10hipError_tT0_T1_T2_jT3_P12ihipStream_tbPNSt15iterator_traitsISJ_E10value_typeEPNSP_ISK_E10value_typeEPSL_NS1_7vsmem_tEENKUlT_SJ_SK_SL_E_clIPiSE_SF_SF_EESI_SY_SJ_SK_SL_EUlSY_E0_NS1_11comp_targetILNS1_3genE9ELNS1_11target_archE1100ELNS1_3gpuE3ELNS1_3repE0EEENS1_38merge_mergepath_config_static_selectorELNS0_4arch9wavefront6targetE0EEEvSK_.has_recursion, 0
	.set _ZN7rocprim17ROCPRIM_400000_NS6detail17trampoline_kernelINS0_14default_configENS1_38merge_sort_block_merge_config_selectorIiNS0_10empty_typeEEEZZNS1_27merge_sort_block_merge_implIS3_N6thrust23THRUST_200600_302600_NS6detail15normal_iteratorINS9_10device_ptrIiEEEEPS5_m11less_div_10IiEEE10hipError_tT0_T1_T2_jT3_P12ihipStream_tbPNSt15iterator_traitsISJ_E10value_typeEPNSP_ISK_E10value_typeEPSL_NS1_7vsmem_tEENKUlT_SJ_SK_SL_E_clIPiSE_SF_SF_EESI_SY_SJ_SK_SL_EUlSY_E0_NS1_11comp_targetILNS1_3genE9ELNS1_11target_archE1100ELNS1_3gpuE3ELNS1_3repE0EEENS1_38merge_mergepath_config_static_selectorELNS0_4arch9wavefront6targetE0EEEvSK_.has_indirect_call, 0
	.section	.AMDGPU.csdata,"",@progbits
; Kernel info:
; codeLenInByte = 0
; TotalNumSgprs: 0
; NumVgprs: 0
; ScratchSize: 0
; MemoryBound: 0
; FloatMode: 240
; IeeeMode: 1
; LDSByteSize: 0 bytes/workgroup (compile time only)
; SGPRBlocks: 0
; VGPRBlocks: 0
; NumSGPRsForWavesPerEU: 1
; NumVGPRsForWavesPerEU: 1
; Occupancy: 16
; WaveLimiterHint : 0
; COMPUTE_PGM_RSRC2:SCRATCH_EN: 0
; COMPUTE_PGM_RSRC2:USER_SGPR: 6
; COMPUTE_PGM_RSRC2:TRAP_HANDLER: 0
; COMPUTE_PGM_RSRC2:TGID_X_EN: 1
; COMPUTE_PGM_RSRC2:TGID_Y_EN: 0
; COMPUTE_PGM_RSRC2:TGID_Z_EN: 0
; COMPUTE_PGM_RSRC2:TIDIG_COMP_CNT: 0
	.section	.text._ZN7rocprim17ROCPRIM_400000_NS6detail17trampoline_kernelINS0_14default_configENS1_38merge_sort_block_merge_config_selectorIiNS0_10empty_typeEEEZZNS1_27merge_sort_block_merge_implIS3_N6thrust23THRUST_200600_302600_NS6detail15normal_iteratorINS9_10device_ptrIiEEEEPS5_m11less_div_10IiEEE10hipError_tT0_T1_T2_jT3_P12ihipStream_tbPNSt15iterator_traitsISJ_E10value_typeEPNSP_ISK_E10value_typeEPSL_NS1_7vsmem_tEENKUlT_SJ_SK_SL_E_clIPiSE_SF_SF_EESI_SY_SJ_SK_SL_EUlSY_E0_NS1_11comp_targetILNS1_3genE8ELNS1_11target_archE1030ELNS1_3gpuE2ELNS1_3repE0EEENS1_38merge_mergepath_config_static_selectorELNS0_4arch9wavefront6targetE0EEEvSK_,"axG",@progbits,_ZN7rocprim17ROCPRIM_400000_NS6detail17trampoline_kernelINS0_14default_configENS1_38merge_sort_block_merge_config_selectorIiNS0_10empty_typeEEEZZNS1_27merge_sort_block_merge_implIS3_N6thrust23THRUST_200600_302600_NS6detail15normal_iteratorINS9_10device_ptrIiEEEEPS5_m11less_div_10IiEEE10hipError_tT0_T1_T2_jT3_P12ihipStream_tbPNSt15iterator_traitsISJ_E10value_typeEPNSP_ISK_E10value_typeEPSL_NS1_7vsmem_tEENKUlT_SJ_SK_SL_E_clIPiSE_SF_SF_EESI_SY_SJ_SK_SL_EUlSY_E0_NS1_11comp_targetILNS1_3genE8ELNS1_11target_archE1030ELNS1_3gpuE2ELNS1_3repE0EEENS1_38merge_mergepath_config_static_selectorELNS0_4arch9wavefront6targetE0EEEvSK_,comdat
	.protected	_ZN7rocprim17ROCPRIM_400000_NS6detail17trampoline_kernelINS0_14default_configENS1_38merge_sort_block_merge_config_selectorIiNS0_10empty_typeEEEZZNS1_27merge_sort_block_merge_implIS3_N6thrust23THRUST_200600_302600_NS6detail15normal_iteratorINS9_10device_ptrIiEEEEPS5_m11less_div_10IiEEE10hipError_tT0_T1_T2_jT3_P12ihipStream_tbPNSt15iterator_traitsISJ_E10value_typeEPNSP_ISK_E10value_typeEPSL_NS1_7vsmem_tEENKUlT_SJ_SK_SL_E_clIPiSE_SF_SF_EESI_SY_SJ_SK_SL_EUlSY_E0_NS1_11comp_targetILNS1_3genE8ELNS1_11target_archE1030ELNS1_3gpuE2ELNS1_3repE0EEENS1_38merge_mergepath_config_static_selectorELNS0_4arch9wavefront6targetE0EEEvSK_ ; -- Begin function _ZN7rocprim17ROCPRIM_400000_NS6detail17trampoline_kernelINS0_14default_configENS1_38merge_sort_block_merge_config_selectorIiNS0_10empty_typeEEEZZNS1_27merge_sort_block_merge_implIS3_N6thrust23THRUST_200600_302600_NS6detail15normal_iteratorINS9_10device_ptrIiEEEEPS5_m11less_div_10IiEEE10hipError_tT0_T1_T2_jT3_P12ihipStream_tbPNSt15iterator_traitsISJ_E10value_typeEPNSP_ISK_E10value_typeEPSL_NS1_7vsmem_tEENKUlT_SJ_SK_SL_E_clIPiSE_SF_SF_EESI_SY_SJ_SK_SL_EUlSY_E0_NS1_11comp_targetILNS1_3genE8ELNS1_11target_archE1030ELNS1_3gpuE2ELNS1_3repE0EEENS1_38merge_mergepath_config_static_selectorELNS0_4arch9wavefront6targetE0EEEvSK_
	.globl	_ZN7rocprim17ROCPRIM_400000_NS6detail17trampoline_kernelINS0_14default_configENS1_38merge_sort_block_merge_config_selectorIiNS0_10empty_typeEEEZZNS1_27merge_sort_block_merge_implIS3_N6thrust23THRUST_200600_302600_NS6detail15normal_iteratorINS9_10device_ptrIiEEEEPS5_m11less_div_10IiEEE10hipError_tT0_T1_T2_jT3_P12ihipStream_tbPNSt15iterator_traitsISJ_E10value_typeEPNSP_ISK_E10value_typeEPSL_NS1_7vsmem_tEENKUlT_SJ_SK_SL_E_clIPiSE_SF_SF_EESI_SY_SJ_SK_SL_EUlSY_E0_NS1_11comp_targetILNS1_3genE8ELNS1_11target_archE1030ELNS1_3gpuE2ELNS1_3repE0EEENS1_38merge_mergepath_config_static_selectorELNS0_4arch9wavefront6targetE0EEEvSK_
	.p2align	8
	.type	_ZN7rocprim17ROCPRIM_400000_NS6detail17trampoline_kernelINS0_14default_configENS1_38merge_sort_block_merge_config_selectorIiNS0_10empty_typeEEEZZNS1_27merge_sort_block_merge_implIS3_N6thrust23THRUST_200600_302600_NS6detail15normal_iteratorINS9_10device_ptrIiEEEEPS5_m11less_div_10IiEEE10hipError_tT0_T1_T2_jT3_P12ihipStream_tbPNSt15iterator_traitsISJ_E10value_typeEPNSP_ISK_E10value_typeEPSL_NS1_7vsmem_tEENKUlT_SJ_SK_SL_E_clIPiSE_SF_SF_EESI_SY_SJ_SK_SL_EUlSY_E0_NS1_11comp_targetILNS1_3genE8ELNS1_11target_archE1030ELNS1_3gpuE2ELNS1_3repE0EEENS1_38merge_mergepath_config_static_selectorELNS0_4arch9wavefront6targetE0EEEvSK_,@function
_ZN7rocprim17ROCPRIM_400000_NS6detail17trampoline_kernelINS0_14default_configENS1_38merge_sort_block_merge_config_selectorIiNS0_10empty_typeEEEZZNS1_27merge_sort_block_merge_implIS3_N6thrust23THRUST_200600_302600_NS6detail15normal_iteratorINS9_10device_ptrIiEEEEPS5_m11less_div_10IiEEE10hipError_tT0_T1_T2_jT3_P12ihipStream_tbPNSt15iterator_traitsISJ_E10value_typeEPNSP_ISK_E10value_typeEPSL_NS1_7vsmem_tEENKUlT_SJ_SK_SL_E_clIPiSE_SF_SF_EESI_SY_SJ_SK_SL_EUlSY_E0_NS1_11comp_targetILNS1_3genE8ELNS1_11target_archE1030ELNS1_3gpuE2ELNS1_3repE0EEENS1_38merge_mergepath_config_static_selectorELNS0_4arch9wavefront6targetE0EEEvSK_: ; @_ZN7rocprim17ROCPRIM_400000_NS6detail17trampoline_kernelINS0_14default_configENS1_38merge_sort_block_merge_config_selectorIiNS0_10empty_typeEEEZZNS1_27merge_sort_block_merge_implIS3_N6thrust23THRUST_200600_302600_NS6detail15normal_iteratorINS9_10device_ptrIiEEEEPS5_m11less_div_10IiEEE10hipError_tT0_T1_T2_jT3_P12ihipStream_tbPNSt15iterator_traitsISJ_E10value_typeEPNSP_ISK_E10value_typeEPSL_NS1_7vsmem_tEENKUlT_SJ_SK_SL_E_clIPiSE_SF_SF_EESI_SY_SJ_SK_SL_EUlSY_E0_NS1_11comp_targetILNS1_3genE8ELNS1_11target_archE1030ELNS1_3gpuE2ELNS1_3repE0EEENS1_38merge_mergepath_config_static_selectorELNS0_4arch9wavefront6targetE0EEEvSK_
; %bb.0:
	s_clause 0x1
	s_load_dwordx2 s[22:23], s[4:5], 0x48
	s_load_dword s0, s[4:5], 0x38
	s_add_u32 s20, s4, 0x48
	s_addc_u32 s21, s5, 0
	s_waitcnt lgkmcnt(0)
	s_mul_i32 s1, s23, s8
	s_add_i32 s1, s1, s7
	s_mul_i32 s1, s1, s22
	s_add_i32 s18, s1, s6
	s_cmp_ge_u32 s18, s0
	s_cbranch_scc1 .LBB444_35
; %bb.1:
	s_clause 0x1
	s_load_dwordx2 s[0:1], s[4:5], 0x40
	s_load_dwordx4 s[8:11], s[4:5], 0x28
	s_mov_b32 s19, 0
	s_lshl_b64 s[2:3], s[18:19], 3
	s_waitcnt lgkmcnt(0)
	s_add_u32 s0, s0, s2
	s_addc_u32 s1, s1, s3
	s_lshl_b64 s[16:17], s[18:19], 10
	s_load_dwordx4 s[12:15], s[0:1], 0x0
	s_lshr_b64 s[0:1], s[10:11], 9
	s_mov_b32 s1, s19
	s_and_b32 s0, s0, -2
	s_sub_i32 s30, 0, s0
	s_and_b32 s0, s18, s30
	s_lshl_b64 s[24:25], s[0:1], 10
	s_sub_u32 s7, s16, s24
	s_subb_u32 s23, s17, s25
	s_lshl_b64 s[26:27], s[0:1], 11
	s_load_dwordx4 s[0:3], s[4:5], 0x8
	s_add_u32 s4, s26, s10
	s_addc_u32 s26, s27, s11
	s_add_u32 s5, s4, s7
	s_addc_u32 s23, s26, s23
	s_waitcnt lgkmcnt(0)
	s_sub_u32 s7, s5, s14
	s_subb_u32 s15, s23, s15
	s_add_u32 s28, s7, 0x400
	s_addc_u32 s29, s15, 0
	v_cmp_lt_u64_e64 s7, s[8:9], s[28:29]
	s_and_b32 s7, s7, exec_lo
	s_cselect_b32 s7, s8, s28
	s_or_b32 s15, s18, s30
	s_cmp_lg_u32 s15, -1
	s_mov_b32 s15, -1
	s_cbranch_scc1 .LBB444_3
; %bb.2:
	s_sub_u32 s24, s4, s24
	s_subb_u32 s25, s26, s25
	v_cmp_lt_u64_e64 s4, s[8:9], s[24:25]
	s_and_b32 s4, s4, exec_lo
	s_cselect_b32 s14, s8, s24
	s_add_u32 s10, s24, s10
	s_addc_u32 s11, s25, s11
	v_cmp_lt_u64_e64 s4, s[8:9], s[10:11]
	s_and_b32 s4, s4, exec_lo
	s_cselect_b32 s7, s8, s10
.LBB444_3:
	s_lshr_b64 s[24:25], s[8:9], 10
	v_mov_b32_e32 v4, 0
	s_cmp_lg_u64 s[24:25], s[18:19]
	v_lshlrev_b32_e32 v5, 2, v0
	s_cselect_b32 s4, -1, 0
	s_sub_u32 s10, s5, s12
	s_subb_u32 s11, s23, s13
	global_load_dword v1, v4, s[20:21] offset:14
	v_cmp_lt_u64_e64 s5, s[8:9], s[10:11]
                                        ; implicit-def: $vgpr6
	s_and_b32 s5, s5, exec_lo
	s_cselect_b32 s26, s8, s10
	s_cselect_b32 s27, s9, s11
	s_sub_i32 s5, s14, s12
	s_lshl_b64 s[12:13], s[12:13], 2
	s_sub_i32 s7, s7, s26
	s_add_u32 s11, s0, s12
	s_addc_u32 s12, s1, s13
	s_lshl_b64 s[26:27], s[26:27], 2
	s_add_u32 s9, s0, s26
	s_addc_u32 s10, s1, s27
	s_cmp_lt_u32 s6, s22
	s_cselect_b32 s0, 12, 18
	s_add_u32 s0, s20, s0
	s_addc_u32 s1, s21, 0
	s_cmp_eq_u64 s[24:25], s[18:19]
	global_load_ushort v2, v4, s[0:1]
	s_waitcnt vmcnt(1)
	v_lshrrev_b32_e32 v3, 16, v1
	v_and_b32_e32 v1, 0xffff, v1
	v_mul_lo_u32 v1, v1, v3
                                        ; implicit-def: $vgpr3
	s_waitcnt vmcnt(0)
	v_mul_lo_u32 v1, v1, v2
                                        ; implicit-def: $vgpr2
	v_add_nc_u32_e32 v1, v1, v0
	s_cbranch_scc1 .LBB444_5
; %bb.4:
	v_mov_b32_e32 v2, v4
	v_sub_co_u32 v3, vcc_lo, v0, s5
	v_add_co_u32 v10, s0, s11, v5
	v_lshlrev_b64 v[6:7], 2, v[1:2]
	v_add_co_ci_u32_e64 v11, null, s12, 0, s0
	v_lshlrev_b64 v[8:9], 2, v[3:4]
	s_mov_b32 s15, 0
	v_add_co_u32 v6, s0, s11, v6
	v_add_co_ci_u32_e64 v7, null, s12, v7, s0
	v_sub_co_u32 v3, s0, v1, s5
	v_lshlrev_b64 v[2:3], 2, v[3:4]
	v_add_co_u32 v4, s1, s9, v8
	v_add_co_ci_u32_e64 v8, null, s10, v9, s1
	v_add_co_u32 v9, s1, s9, v2
	v_add_co_ci_u32_e64 v12, null, s10, v3, s1
	v_cndmask_b32_e32 v3, v8, v11, vcc_lo
	v_cndmask_b32_e32 v2, v4, v10, vcc_lo
	v_cndmask_b32_e64 v6, v9, v6, s0
	v_cndmask_b32_e64 v7, v12, v7, s0
	s_add_i32 s0, s5, s7
	global_load_dword v3, v[2:3], off
	global_load_dword v2, v[6:7], off
	v_mov_b32_e32 v6, s0
.LBB444_5:
	s_andn2_b32 vcc_lo, exec_lo, s15
	s_cbranch_vccnz .LBB444_11
; %bb.6:
	s_waitcnt vmcnt(0)
	v_mov_b32_e32 v2, 0
	v_mov_b32_e32 v3, 0
	s_add_i32 s1, s5, s7
	s_mov_b32 s6, exec_lo
	v_cmpx_gt_u32_e64 s1, v0
	s_cbranch_execz .LBB444_8
; %bb.7:
	v_sub_co_u32 v3, vcc_lo, v0, s5
	v_mov_b32_e32 v4, 0
	v_add_co_u32 v6, s0, s11, v5
	v_add_co_ci_u32_e64 v7, null, s12, 0, s0
	v_lshlrev_b64 v[3:4], 2, v[3:4]
	v_add_co_u32 v3, s0, s9, v3
	v_add_co_ci_u32_e64 v4, null, s10, v4, s0
	v_cndmask_b32_e32 v3, v3, v6, vcc_lo
	v_cndmask_b32_e32 v4, v4, v7, vcc_lo
	global_load_dword v3, v[3:4], off
.LBB444_8:
	s_or_b32 exec_lo, exec_lo, s6
	s_mov_b32 s6, exec_lo
	v_cmpx_gt_u32_e64 s1, v1
	s_cbranch_execz .LBB444_10
; %bb.9:
	v_mov_b32_e32 v2, 0
	v_lshlrev_b64 v[6:7], 2, v[1:2]
	v_add_co_u32 v4, vcc_lo, s11, v6
	v_add_co_ci_u32_e64 v6, null, s12, v7, vcc_lo
	v_sub_co_u32 v1, vcc_lo, v1, s5
	v_lshlrev_b64 v[1:2], 2, v[1:2]
	v_add_co_u32 v1, s0, s9, v1
	v_add_co_ci_u32_e64 v2, null, s10, v2, s0
	v_cndmask_b32_e32 v1, v1, v4, vcc_lo
	v_cndmask_b32_e32 v2, v2, v6, vcc_lo
	global_load_dword v2, v[1:2], off
.LBB444_10:
	s_or_b32 exec_lo, exec_lo, s6
	v_mov_b32_e32 v6, s1
.LBB444_11:
	v_lshlrev_b32_e32 v1, 1, v0
	s_mov_b32 s0, exec_lo
	s_waitcnt vmcnt(0)
	ds_write2st64_b32 v5, v3, v2 offset1:8
	s_waitcnt lgkmcnt(0)
	s_barrier
	v_min_u32_e32 v7, v6, v1
	buffer_gl0_inv
	v_sub_nc_u32_e64 v4, v7, s7 clamp
	v_min_u32_e32 v8, s5, v7
	v_cmpx_lt_u32_e64 v4, v8
	s_cbranch_execz .LBB444_15
; %bb.12:
	v_lshlrev_b32_e32 v9, 2, v7
	s_mov_b32 s1, 0
	v_lshl_add_u32 v9, s5, 2, v9
	.p2align	6
.LBB444_13:                             ; =>This Inner Loop Header: Depth=1
	v_add_nc_u32_e32 v10, v8, v4
	v_lshrrev_b32_e32 v10, 1, v10
	v_not_b32_e32 v11, v10
	v_lshlrev_b32_e32 v12, 2, v10
	v_lshl_add_u32 v11, v11, 2, v9
	ds_read_b32 v12, v12
	ds_read_b32 v11, v11
	s_waitcnt lgkmcnt(1)
	v_mul_hi_i32 v12, 0x66666667, v12
	s_waitcnt lgkmcnt(0)
	v_mul_hi_i32 v11, 0x66666667, v11
	v_lshrrev_b32_e32 v13, 31, v12
	v_ashrrev_i32_e32 v12, 2, v12
	v_lshrrev_b32_e32 v14, 31, v11
	v_ashrrev_i32_e32 v11, 2, v11
	v_add_nc_u32_e32 v12, v12, v13
	v_add_nc_u32_e32 v13, 1, v10
	;; [unrolled: 1-line block ×3, first 2 shown]
	v_cmp_lt_i32_e32 vcc_lo, v11, v12
	v_cndmask_b32_e32 v8, v8, v10, vcc_lo
	v_cndmask_b32_e32 v4, v13, v4, vcc_lo
	v_cmp_ge_u32_e32 vcc_lo, v4, v8
	s_or_b32 s1, vcc_lo, s1
	s_andn2_b32 exec_lo, exec_lo, s1
	s_cbranch_execnz .LBB444_13
; %bb.14:
	s_or_b32 exec_lo, exec_lo, s1
.LBB444_15:
	s_or_b32 exec_lo, exec_lo, s0
	v_sub_nc_u32_e32 v7, v7, v4
	v_cmp_ge_u32_e32 vcc_lo, s5, v4
	v_add_nc_u32_e32 v8, s5, v7
	v_cmp_le_u32_e64 s0, v8, v6
	s_or_b32 s0, vcc_lo, s0
	s_and_saveexec_b32 s1, s0
	s_cbranch_execz .LBB444_27
; %bb.16:
	s_mov_b32 s6, exec_lo
	v_cmp_le_u32_e32 vcc_lo, s5, v4
                                        ; implicit-def: $vgpr3
	v_cmpx_gt_u32_e64 s5, v4
; %bb.17:
	v_lshlrev_b32_e32 v2, 2, v4
	ds_read_b32 v3, v2
; %bb.18:
	s_or_b32 exec_lo, exec_lo, s6
	v_cmp_ge_u32_e64 s6, v8, v6
	s_mov_b32 s7, exec_lo
                                        ; implicit-def: $vgpr7
	v_cmpx_lt_u32_e64 v8, v6
; %bb.19:
	v_lshlrev_b32_e32 v2, 2, v8
	ds_read_b32 v7, v2
; %bb.20:
	s_or_b32 exec_lo, exec_lo, s7
	s_nor_b32 s7, vcc_lo, s6
	s_and_saveexec_b32 s0, s7
	s_cbranch_execz .LBB444_22
; %bb.21:
	s_waitcnt lgkmcnt(0)
	v_mul_hi_i32 v2, 0x66666667, v7
	v_mul_hi_i32 v9, 0x66666667, v3
	s_andn2_b32 s6, s6, exec_lo
	v_lshrrev_b32_e32 v10, 31, v2
	v_ashrrev_i32_e32 v2, 2, v2
	v_lshrrev_b32_e32 v11, 31, v9
	v_ashrrev_i32_e32 v9, 2, v9
	v_add_nc_u32_e32 v2, v2, v10
	v_add_nc_u32_e32 v9, v9, v11
	v_cmp_ge_i32_e32 vcc_lo, v2, v9
	s_and_b32 s7, vcc_lo, exec_lo
	s_or_b32 s6, s6, s7
.LBB444_22:
	s_or_b32 exec_lo, exec_lo, s0
	v_cndmask_b32_e64 v2, v8, v4, s6
	v_cndmask_b32_e64 v10, v6, s5, s6
	s_mov_b32 s0, exec_lo
	v_add_nc_u32_e32 v9, 1, v2
	v_add_nc_u32_e32 v2, -1, v10
	v_cndmask_b32_e64 v8, v9, v8, s6
	v_min_u32_e32 v2, v9, v2
	v_lshlrev_b32_e32 v2, 2, v2
	ds_read_b32 v10, v2
	s_waitcnt lgkmcnt(0)
	v_cndmask_b32_e64 v2, v3, v10, s6
	v_cmpx_lt_u32_e64 v8, v6
	s_cbranch_execz .LBB444_26
; %bb.23:
	v_cndmask_b32_e64 v6, v4, v9, s6
	v_cndmask_b32_e64 v4, v10, v7, s6
	v_cmp_gt_u32_e32 vcc_lo, s5, v6
	s_and_saveexec_b32 s5, vcc_lo
	s_cbranch_execz .LBB444_25
; %bb.24:
	v_mul_hi_i32 v6, 0x66666667, v4
	v_mul_hi_i32 v8, 0x66666667, v2
	v_lshrrev_b32_e32 v9, 31, v6
	v_ashrrev_i32_e32 v6, 2, v6
	v_lshrrev_b32_e32 v10, 31, v8
	v_ashrrev_i32_e32 v8, 2, v8
	v_add_nc_u32_e32 v6, v6, v9
	v_add_nc_u32_e32 v8, v8, v10
	v_cmp_lt_i32_e32 vcc_lo, v6, v8
	v_cndmask_b32_e32 v4, v2, v4, vcc_lo
.LBB444_25:
	s_or_b32 exec_lo, exec_lo, s5
	v_mov_b32_e32 v2, v4
.LBB444_26:
	s_or_b32 exec_lo, exec_lo, s0
	v_cndmask_b32_e64 v3, v7, v3, s6
.LBB444_27:
	s_or_b32 exec_lo, exec_lo, s1
	v_lshrrev_b32_e32 v6, 2, v0
	v_or_b32_e32 v4, 0x200, v0
	v_lshrrev_b32_e32 v7, 3, v0
	s_lshl_b64 s[0:1], s[16:17], 2
	v_and_b32_e32 v6, 0x7c, v6
	v_lshrrev_b32_e32 v8, 3, v4
	s_add_u32 s0, s2, s0
	s_barrier
	buffer_gl0_inv
	v_lshl_add_u32 v1, v1, 2, v6
	v_and_b32_e32 v6, 60, v7
	v_and_b32_e32 v7, 0x7c, v8
	s_barrier
	buffer_gl0_inv
	s_addc_u32 s1, s3, s1
	ds_write2_b32 v1, v3, v2 offset1:1
	v_add_co_u32 v1, s0, s0, v5
	v_add_nc_u32_e32 v6, v6, v5
	v_add_nc_u32_e32 v7, v7, v5
	v_add_co_ci_u32_e64 v2, null, s1, 0, s0
	s_and_b32 vcc_lo, exec_lo, s4
	s_waitcnt lgkmcnt(0)
	s_cbranch_vccz .LBB444_29
; %bb.28:
	s_barrier
	buffer_gl0_inv
	ds_read_b32 v5, v6
	ds_read_b32 v3, v7 offset:2048
	s_mov_b32 s0, -1
	s_waitcnt lgkmcnt(1)
	global_store_dword v[1:2], v5, off
	s_cbranch_execz .LBB444_30
	s_branch .LBB444_33
.LBB444_29:
	s_mov_b32 s0, 0
                                        ; implicit-def: $vgpr3
.LBB444_30:
	s_barrier
	s_waitcnt lgkmcnt(0)
	s_waitcnt_vscnt null, 0x0
	buffer_gl0_inv
	ds_read_b32 v3, v7 offset:2048
	s_sub_i32 s0, s8, s16
	s_mov_b32 s1, exec_lo
	v_cmpx_gt_u32_e64 s0, v0
	s_cbranch_execz .LBB444_32
; %bb.31:
	ds_read_b32 v0, v6
	s_waitcnt lgkmcnt(0)
	global_store_dword v[1:2], v0, off
.LBB444_32:
	s_or_b32 exec_lo, exec_lo, s1
	v_cmp_gt_u32_e64 s0, s0, v4
.LBB444_33:
	s_and_saveexec_b32 s1, s0
	s_cbranch_execz .LBB444_35
; %bb.34:
	v_add_co_u32 v0, vcc_lo, 0x800, v1
	v_add_co_ci_u32_e64 v1, null, 0, v2, vcc_lo
	s_waitcnt lgkmcnt(0)
	global_store_dword v[0:1], v3, off
.LBB444_35:
	s_endpgm
	.section	.rodata,"a",@progbits
	.p2align	6, 0x0
	.amdhsa_kernel _ZN7rocprim17ROCPRIM_400000_NS6detail17trampoline_kernelINS0_14default_configENS1_38merge_sort_block_merge_config_selectorIiNS0_10empty_typeEEEZZNS1_27merge_sort_block_merge_implIS3_N6thrust23THRUST_200600_302600_NS6detail15normal_iteratorINS9_10device_ptrIiEEEEPS5_m11less_div_10IiEEE10hipError_tT0_T1_T2_jT3_P12ihipStream_tbPNSt15iterator_traitsISJ_E10value_typeEPNSP_ISK_E10value_typeEPSL_NS1_7vsmem_tEENKUlT_SJ_SK_SL_E_clIPiSE_SF_SF_EESI_SY_SJ_SK_SL_EUlSY_E0_NS1_11comp_targetILNS1_3genE8ELNS1_11target_archE1030ELNS1_3gpuE2ELNS1_3repE0EEENS1_38merge_mergepath_config_static_selectorELNS0_4arch9wavefront6targetE0EEEvSK_
		.amdhsa_group_segment_fixed_size 4224
		.amdhsa_private_segment_fixed_size 0
		.amdhsa_kernarg_size 328
		.amdhsa_user_sgpr_count 6
		.amdhsa_user_sgpr_private_segment_buffer 1
		.amdhsa_user_sgpr_dispatch_ptr 0
		.amdhsa_user_sgpr_queue_ptr 0
		.amdhsa_user_sgpr_kernarg_segment_ptr 1
		.amdhsa_user_sgpr_dispatch_id 0
		.amdhsa_user_sgpr_flat_scratch_init 0
		.amdhsa_user_sgpr_private_segment_size 0
		.amdhsa_wavefront_size32 1
		.amdhsa_uses_dynamic_stack 0
		.amdhsa_system_sgpr_private_segment_wavefront_offset 0
		.amdhsa_system_sgpr_workgroup_id_x 1
		.amdhsa_system_sgpr_workgroup_id_y 1
		.amdhsa_system_sgpr_workgroup_id_z 1
		.amdhsa_system_sgpr_workgroup_info 0
		.amdhsa_system_vgpr_workitem_id 0
		.amdhsa_next_free_vgpr 15
		.amdhsa_next_free_sgpr 31
		.amdhsa_reserve_vcc 1
		.amdhsa_reserve_flat_scratch 0
		.amdhsa_float_round_mode_32 0
		.amdhsa_float_round_mode_16_64 0
		.amdhsa_float_denorm_mode_32 3
		.amdhsa_float_denorm_mode_16_64 3
		.amdhsa_dx10_clamp 1
		.amdhsa_ieee_mode 1
		.amdhsa_fp16_overflow 0
		.amdhsa_workgroup_processor_mode 1
		.amdhsa_memory_ordered 1
		.amdhsa_forward_progress 1
		.amdhsa_shared_vgpr_count 0
		.amdhsa_exception_fp_ieee_invalid_op 0
		.amdhsa_exception_fp_denorm_src 0
		.amdhsa_exception_fp_ieee_div_zero 0
		.amdhsa_exception_fp_ieee_overflow 0
		.amdhsa_exception_fp_ieee_underflow 0
		.amdhsa_exception_fp_ieee_inexact 0
		.amdhsa_exception_int_div_zero 0
	.end_amdhsa_kernel
	.section	.text._ZN7rocprim17ROCPRIM_400000_NS6detail17trampoline_kernelINS0_14default_configENS1_38merge_sort_block_merge_config_selectorIiNS0_10empty_typeEEEZZNS1_27merge_sort_block_merge_implIS3_N6thrust23THRUST_200600_302600_NS6detail15normal_iteratorINS9_10device_ptrIiEEEEPS5_m11less_div_10IiEEE10hipError_tT0_T1_T2_jT3_P12ihipStream_tbPNSt15iterator_traitsISJ_E10value_typeEPNSP_ISK_E10value_typeEPSL_NS1_7vsmem_tEENKUlT_SJ_SK_SL_E_clIPiSE_SF_SF_EESI_SY_SJ_SK_SL_EUlSY_E0_NS1_11comp_targetILNS1_3genE8ELNS1_11target_archE1030ELNS1_3gpuE2ELNS1_3repE0EEENS1_38merge_mergepath_config_static_selectorELNS0_4arch9wavefront6targetE0EEEvSK_,"axG",@progbits,_ZN7rocprim17ROCPRIM_400000_NS6detail17trampoline_kernelINS0_14default_configENS1_38merge_sort_block_merge_config_selectorIiNS0_10empty_typeEEEZZNS1_27merge_sort_block_merge_implIS3_N6thrust23THRUST_200600_302600_NS6detail15normal_iteratorINS9_10device_ptrIiEEEEPS5_m11less_div_10IiEEE10hipError_tT0_T1_T2_jT3_P12ihipStream_tbPNSt15iterator_traitsISJ_E10value_typeEPNSP_ISK_E10value_typeEPSL_NS1_7vsmem_tEENKUlT_SJ_SK_SL_E_clIPiSE_SF_SF_EESI_SY_SJ_SK_SL_EUlSY_E0_NS1_11comp_targetILNS1_3genE8ELNS1_11target_archE1030ELNS1_3gpuE2ELNS1_3repE0EEENS1_38merge_mergepath_config_static_selectorELNS0_4arch9wavefront6targetE0EEEvSK_,comdat
.Lfunc_end444:
	.size	_ZN7rocprim17ROCPRIM_400000_NS6detail17trampoline_kernelINS0_14default_configENS1_38merge_sort_block_merge_config_selectorIiNS0_10empty_typeEEEZZNS1_27merge_sort_block_merge_implIS3_N6thrust23THRUST_200600_302600_NS6detail15normal_iteratorINS9_10device_ptrIiEEEEPS5_m11less_div_10IiEEE10hipError_tT0_T1_T2_jT3_P12ihipStream_tbPNSt15iterator_traitsISJ_E10value_typeEPNSP_ISK_E10value_typeEPSL_NS1_7vsmem_tEENKUlT_SJ_SK_SL_E_clIPiSE_SF_SF_EESI_SY_SJ_SK_SL_EUlSY_E0_NS1_11comp_targetILNS1_3genE8ELNS1_11target_archE1030ELNS1_3gpuE2ELNS1_3repE0EEENS1_38merge_mergepath_config_static_selectorELNS0_4arch9wavefront6targetE0EEEvSK_, .Lfunc_end444-_ZN7rocprim17ROCPRIM_400000_NS6detail17trampoline_kernelINS0_14default_configENS1_38merge_sort_block_merge_config_selectorIiNS0_10empty_typeEEEZZNS1_27merge_sort_block_merge_implIS3_N6thrust23THRUST_200600_302600_NS6detail15normal_iteratorINS9_10device_ptrIiEEEEPS5_m11less_div_10IiEEE10hipError_tT0_T1_T2_jT3_P12ihipStream_tbPNSt15iterator_traitsISJ_E10value_typeEPNSP_ISK_E10value_typeEPSL_NS1_7vsmem_tEENKUlT_SJ_SK_SL_E_clIPiSE_SF_SF_EESI_SY_SJ_SK_SL_EUlSY_E0_NS1_11comp_targetILNS1_3genE8ELNS1_11target_archE1030ELNS1_3gpuE2ELNS1_3repE0EEENS1_38merge_mergepath_config_static_selectorELNS0_4arch9wavefront6targetE0EEEvSK_
                                        ; -- End function
	.set _ZN7rocprim17ROCPRIM_400000_NS6detail17trampoline_kernelINS0_14default_configENS1_38merge_sort_block_merge_config_selectorIiNS0_10empty_typeEEEZZNS1_27merge_sort_block_merge_implIS3_N6thrust23THRUST_200600_302600_NS6detail15normal_iteratorINS9_10device_ptrIiEEEEPS5_m11less_div_10IiEEE10hipError_tT0_T1_T2_jT3_P12ihipStream_tbPNSt15iterator_traitsISJ_E10value_typeEPNSP_ISK_E10value_typeEPSL_NS1_7vsmem_tEENKUlT_SJ_SK_SL_E_clIPiSE_SF_SF_EESI_SY_SJ_SK_SL_EUlSY_E0_NS1_11comp_targetILNS1_3genE8ELNS1_11target_archE1030ELNS1_3gpuE2ELNS1_3repE0EEENS1_38merge_mergepath_config_static_selectorELNS0_4arch9wavefront6targetE0EEEvSK_.num_vgpr, 15
	.set _ZN7rocprim17ROCPRIM_400000_NS6detail17trampoline_kernelINS0_14default_configENS1_38merge_sort_block_merge_config_selectorIiNS0_10empty_typeEEEZZNS1_27merge_sort_block_merge_implIS3_N6thrust23THRUST_200600_302600_NS6detail15normal_iteratorINS9_10device_ptrIiEEEEPS5_m11less_div_10IiEEE10hipError_tT0_T1_T2_jT3_P12ihipStream_tbPNSt15iterator_traitsISJ_E10value_typeEPNSP_ISK_E10value_typeEPSL_NS1_7vsmem_tEENKUlT_SJ_SK_SL_E_clIPiSE_SF_SF_EESI_SY_SJ_SK_SL_EUlSY_E0_NS1_11comp_targetILNS1_3genE8ELNS1_11target_archE1030ELNS1_3gpuE2ELNS1_3repE0EEENS1_38merge_mergepath_config_static_selectorELNS0_4arch9wavefront6targetE0EEEvSK_.num_agpr, 0
	.set _ZN7rocprim17ROCPRIM_400000_NS6detail17trampoline_kernelINS0_14default_configENS1_38merge_sort_block_merge_config_selectorIiNS0_10empty_typeEEEZZNS1_27merge_sort_block_merge_implIS3_N6thrust23THRUST_200600_302600_NS6detail15normal_iteratorINS9_10device_ptrIiEEEEPS5_m11less_div_10IiEEE10hipError_tT0_T1_T2_jT3_P12ihipStream_tbPNSt15iterator_traitsISJ_E10value_typeEPNSP_ISK_E10value_typeEPSL_NS1_7vsmem_tEENKUlT_SJ_SK_SL_E_clIPiSE_SF_SF_EESI_SY_SJ_SK_SL_EUlSY_E0_NS1_11comp_targetILNS1_3genE8ELNS1_11target_archE1030ELNS1_3gpuE2ELNS1_3repE0EEENS1_38merge_mergepath_config_static_selectorELNS0_4arch9wavefront6targetE0EEEvSK_.numbered_sgpr, 31
	.set _ZN7rocprim17ROCPRIM_400000_NS6detail17trampoline_kernelINS0_14default_configENS1_38merge_sort_block_merge_config_selectorIiNS0_10empty_typeEEEZZNS1_27merge_sort_block_merge_implIS3_N6thrust23THRUST_200600_302600_NS6detail15normal_iteratorINS9_10device_ptrIiEEEEPS5_m11less_div_10IiEEE10hipError_tT0_T1_T2_jT3_P12ihipStream_tbPNSt15iterator_traitsISJ_E10value_typeEPNSP_ISK_E10value_typeEPSL_NS1_7vsmem_tEENKUlT_SJ_SK_SL_E_clIPiSE_SF_SF_EESI_SY_SJ_SK_SL_EUlSY_E0_NS1_11comp_targetILNS1_3genE8ELNS1_11target_archE1030ELNS1_3gpuE2ELNS1_3repE0EEENS1_38merge_mergepath_config_static_selectorELNS0_4arch9wavefront6targetE0EEEvSK_.num_named_barrier, 0
	.set _ZN7rocprim17ROCPRIM_400000_NS6detail17trampoline_kernelINS0_14default_configENS1_38merge_sort_block_merge_config_selectorIiNS0_10empty_typeEEEZZNS1_27merge_sort_block_merge_implIS3_N6thrust23THRUST_200600_302600_NS6detail15normal_iteratorINS9_10device_ptrIiEEEEPS5_m11less_div_10IiEEE10hipError_tT0_T1_T2_jT3_P12ihipStream_tbPNSt15iterator_traitsISJ_E10value_typeEPNSP_ISK_E10value_typeEPSL_NS1_7vsmem_tEENKUlT_SJ_SK_SL_E_clIPiSE_SF_SF_EESI_SY_SJ_SK_SL_EUlSY_E0_NS1_11comp_targetILNS1_3genE8ELNS1_11target_archE1030ELNS1_3gpuE2ELNS1_3repE0EEENS1_38merge_mergepath_config_static_selectorELNS0_4arch9wavefront6targetE0EEEvSK_.private_seg_size, 0
	.set _ZN7rocprim17ROCPRIM_400000_NS6detail17trampoline_kernelINS0_14default_configENS1_38merge_sort_block_merge_config_selectorIiNS0_10empty_typeEEEZZNS1_27merge_sort_block_merge_implIS3_N6thrust23THRUST_200600_302600_NS6detail15normal_iteratorINS9_10device_ptrIiEEEEPS5_m11less_div_10IiEEE10hipError_tT0_T1_T2_jT3_P12ihipStream_tbPNSt15iterator_traitsISJ_E10value_typeEPNSP_ISK_E10value_typeEPSL_NS1_7vsmem_tEENKUlT_SJ_SK_SL_E_clIPiSE_SF_SF_EESI_SY_SJ_SK_SL_EUlSY_E0_NS1_11comp_targetILNS1_3genE8ELNS1_11target_archE1030ELNS1_3gpuE2ELNS1_3repE0EEENS1_38merge_mergepath_config_static_selectorELNS0_4arch9wavefront6targetE0EEEvSK_.uses_vcc, 1
	.set _ZN7rocprim17ROCPRIM_400000_NS6detail17trampoline_kernelINS0_14default_configENS1_38merge_sort_block_merge_config_selectorIiNS0_10empty_typeEEEZZNS1_27merge_sort_block_merge_implIS3_N6thrust23THRUST_200600_302600_NS6detail15normal_iteratorINS9_10device_ptrIiEEEEPS5_m11less_div_10IiEEE10hipError_tT0_T1_T2_jT3_P12ihipStream_tbPNSt15iterator_traitsISJ_E10value_typeEPNSP_ISK_E10value_typeEPSL_NS1_7vsmem_tEENKUlT_SJ_SK_SL_E_clIPiSE_SF_SF_EESI_SY_SJ_SK_SL_EUlSY_E0_NS1_11comp_targetILNS1_3genE8ELNS1_11target_archE1030ELNS1_3gpuE2ELNS1_3repE0EEENS1_38merge_mergepath_config_static_selectorELNS0_4arch9wavefront6targetE0EEEvSK_.uses_flat_scratch, 0
	.set _ZN7rocprim17ROCPRIM_400000_NS6detail17trampoline_kernelINS0_14default_configENS1_38merge_sort_block_merge_config_selectorIiNS0_10empty_typeEEEZZNS1_27merge_sort_block_merge_implIS3_N6thrust23THRUST_200600_302600_NS6detail15normal_iteratorINS9_10device_ptrIiEEEEPS5_m11less_div_10IiEEE10hipError_tT0_T1_T2_jT3_P12ihipStream_tbPNSt15iterator_traitsISJ_E10value_typeEPNSP_ISK_E10value_typeEPSL_NS1_7vsmem_tEENKUlT_SJ_SK_SL_E_clIPiSE_SF_SF_EESI_SY_SJ_SK_SL_EUlSY_E0_NS1_11comp_targetILNS1_3genE8ELNS1_11target_archE1030ELNS1_3gpuE2ELNS1_3repE0EEENS1_38merge_mergepath_config_static_selectorELNS0_4arch9wavefront6targetE0EEEvSK_.has_dyn_sized_stack, 0
	.set _ZN7rocprim17ROCPRIM_400000_NS6detail17trampoline_kernelINS0_14default_configENS1_38merge_sort_block_merge_config_selectorIiNS0_10empty_typeEEEZZNS1_27merge_sort_block_merge_implIS3_N6thrust23THRUST_200600_302600_NS6detail15normal_iteratorINS9_10device_ptrIiEEEEPS5_m11less_div_10IiEEE10hipError_tT0_T1_T2_jT3_P12ihipStream_tbPNSt15iterator_traitsISJ_E10value_typeEPNSP_ISK_E10value_typeEPSL_NS1_7vsmem_tEENKUlT_SJ_SK_SL_E_clIPiSE_SF_SF_EESI_SY_SJ_SK_SL_EUlSY_E0_NS1_11comp_targetILNS1_3genE8ELNS1_11target_archE1030ELNS1_3gpuE2ELNS1_3repE0EEENS1_38merge_mergepath_config_static_selectorELNS0_4arch9wavefront6targetE0EEEvSK_.has_recursion, 0
	.set _ZN7rocprim17ROCPRIM_400000_NS6detail17trampoline_kernelINS0_14default_configENS1_38merge_sort_block_merge_config_selectorIiNS0_10empty_typeEEEZZNS1_27merge_sort_block_merge_implIS3_N6thrust23THRUST_200600_302600_NS6detail15normal_iteratorINS9_10device_ptrIiEEEEPS5_m11less_div_10IiEEE10hipError_tT0_T1_T2_jT3_P12ihipStream_tbPNSt15iterator_traitsISJ_E10value_typeEPNSP_ISK_E10value_typeEPSL_NS1_7vsmem_tEENKUlT_SJ_SK_SL_E_clIPiSE_SF_SF_EESI_SY_SJ_SK_SL_EUlSY_E0_NS1_11comp_targetILNS1_3genE8ELNS1_11target_archE1030ELNS1_3gpuE2ELNS1_3repE0EEENS1_38merge_mergepath_config_static_selectorELNS0_4arch9wavefront6targetE0EEEvSK_.has_indirect_call, 0
	.section	.AMDGPU.csdata,"",@progbits
; Kernel info:
; codeLenInByte = 1708
; TotalNumSgprs: 33
; NumVgprs: 15
; ScratchSize: 0
; MemoryBound: 0
; FloatMode: 240
; IeeeMode: 1
; LDSByteSize: 4224 bytes/workgroup (compile time only)
; SGPRBlocks: 0
; VGPRBlocks: 1
; NumSGPRsForWavesPerEU: 33
; NumVGPRsForWavesPerEU: 15
; Occupancy: 16
; WaveLimiterHint : 1
; COMPUTE_PGM_RSRC2:SCRATCH_EN: 0
; COMPUTE_PGM_RSRC2:USER_SGPR: 6
; COMPUTE_PGM_RSRC2:TRAP_HANDLER: 0
; COMPUTE_PGM_RSRC2:TGID_X_EN: 1
; COMPUTE_PGM_RSRC2:TGID_Y_EN: 1
; COMPUTE_PGM_RSRC2:TGID_Z_EN: 1
; COMPUTE_PGM_RSRC2:TIDIG_COMP_CNT: 0
	.section	.text._ZN7rocprim17ROCPRIM_400000_NS6detail17trampoline_kernelINS0_14default_configENS1_38merge_sort_block_merge_config_selectorIiNS0_10empty_typeEEEZZNS1_27merge_sort_block_merge_implIS3_N6thrust23THRUST_200600_302600_NS6detail15normal_iteratorINS9_10device_ptrIiEEEEPS5_m11less_div_10IiEEE10hipError_tT0_T1_T2_jT3_P12ihipStream_tbPNSt15iterator_traitsISJ_E10value_typeEPNSP_ISK_E10value_typeEPSL_NS1_7vsmem_tEENKUlT_SJ_SK_SL_E_clIPiSE_SF_SF_EESI_SY_SJ_SK_SL_EUlSY_E1_NS1_11comp_targetILNS1_3genE0ELNS1_11target_archE4294967295ELNS1_3gpuE0ELNS1_3repE0EEENS1_36merge_oddeven_config_static_selectorELNS0_4arch9wavefront6targetE0EEEvSK_,"axG",@progbits,_ZN7rocprim17ROCPRIM_400000_NS6detail17trampoline_kernelINS0_14default_configENS1_38merge_sort_block_merge_config_selectorIiNS0_10empty_typeEEEZZNS1_27merge_sort_block_merge_implIS3_N6thrust23THRUST_200600_302600_NS6detail15normal_iteratorINS9_10device_ptrIiEEEEPS5_m11less_div_10IiEEE10hipError_tT0_T1_T2_jT3_P12ihipStream_tbPNSt15iterator_traitsISJ_E10value_typeEPNSP_ISK_E10value_typeEPSL_NS1_7vsmem_tEENKUlT_SJ_SK_SL_E_clIPiSE_SF_SF_EESI_SY_SJ_SK_SL_EUlSY_E1_NS1_11comp_targetILNS1_3genE0ELNS1_11target_archE4294967295ELNS1_3gpuE0ELNS1_3repE0EEENS1_36merge_oddeven_config_static_selectorELNS0_4arch9wavefront6targetE0EEEvSK_,comdat
	.protected	_ZN7rocprim17ROCPRIM_400000_NS6detail17trampoline_kernelINS0_14default_configENS1_38merge_sort_block_merge_config_selectorIiNS0_10empty_typeEEEZZNS1_27merge_sort_block_merge_implIS3_N6thrust23THRUST_200600_302600_NS6detail15normal_iteratorINS9_10device_ptrIiEEEEPS5_m11less_div_10IiEEE10hipError_tT0_T1_T2_jT3_P12ihipStream_tbPNSt15iterator_traitsISJ_E10value_typeEPNSP_ISK_E10value_typeEPSL_NS1_7vsmem_tEENKUlT_SJ_SK_SL_E_clIPiSE_SF_SF_EESI_SY_SJ_SK_SL_EUlSY_E1_NS1_11comp_targetILNS1_3genE0ELNS1_11target_archE4294967295ELNS1_3gpuE0ELNS1_3repE0EEENS1_36merge_oddeven_config_static_selectorELNS0_4arch9wavefront6targetE0EEEvSK_ ; -- Begin function _ZN7rocprim17ROCPRIM_400000_NS6detail17trampoline_kernelINS0_14default_configENS1_38merge_sort_block_merge_config_selectorIiNS0_10empty_typeEEEZZNS1_27merge_sort_block_merge_implIS3_N6thrust23THRUST_200600_302600_NS6detail15normal_iteratorINS9_10device_ptrIiEEEEPS5_m11less_div_10IiEEE10hipError_tT0_T1_T2_jT3_P12ihipStream_tbPNSt15iterator_traitsISJ_E10value_typeEPNSP_ISK_E10value_typeEPSL_NS1_7vsmem_tEENKUlT_SJ_SK_SL_E_clIPiSE_SF_SF_EESI_SY_SJ_SK_SL_EUlSY_E1_NS1_11comp_targetILNS1_3genE0ELNS1_11target_archE4294967295ELNS1_3gpuE0ELNS1_3repE0EEENS1_36merge_oddeven_config_static_selectorELNS0_4arch9wavefront6targetE0EEEvSK_
	.globl	_ZN7rocprim17ROCPRIM_400000_NS6detail17trampoline_kernelINS0_14default_configENS1_38merge_sort_block_merge_config_selectorIiNS0_10empty_typeEEEZZNS1_27merge_sort_block_merge_implIS3_N6thrust23THRUST_200600_302600_NS6detail15normal_iteratorINS9_10device_ptrIiEEEEPS5_m11less_div_10IiEEE10hipError_tT0_T1_T2_jT3_P12ihipStream_tbPNSt15iterator_traitsISJ_E10value_typeEPNSP_ISK_E10value_typeEPSL_NS1_7vsmem_tEENKUlT_SJ_SK_SL_E_clIPiSE_SF_SF_EESI_SY_SJ_SK_SL_EUlSY_E1_NS1_11comp_targetILNS1_3genE0ELNS1_11target_archE4294967295ELNS1_3gpuE0ELNS1_3repE0EEENS1_36merge_oddeven_config_static_selectorELNS0_4arch9wavefront6targetE0EEEvSK_
	.p2align	8
	.type	_ZN7rocprim17ROCPRIM_400000_NS6detail17trampoline_kernelINS0_14default_configENS1_38merge_sort_block_merge_config_selectorIiNS0_10empty_typeEEEZZNS1_27merge_sort_block_merge_implIS3_N6thrust23THRUST_200600_302600_NS6detail15normal_iteratorINS9_10device_ptrIiEEEEPS5_m11less_div_10IiEEE10hipError_tT0_T1_T2_jT3_P12ihipStream_tbPNSt15iterator_traitsISJ_E10value_typeEPNSP_ISK_E10value_typeEPSL_NS1_7vsmem_tEENKUlT_SJ_SK_SL_E_clIPiSE_SF_SF_EESI_SY_SJ_SK_SL_EUlSY_E1_NS1_11comp_targetILNS1_3genE0ELNS1_11target_archE4294967295ELNS1_3gpuE0ELNS1_3repE0EEENS1_36merge_oddeven_config_static_selectorELNS0_4arch9wavefront6targetE0EEEvSK_,@function
_ZN7rocprim17ROCPRIM_400000_NS6detail17trampoline_kernelINS0_14default_configENS1_38merge_sort_block_merge_config_selectorIiNS0_10empty_typeEEEZZNS1_27merge_sort_block_merge_implIS3_N6thrust23THRUST_200600_302600_NS6detail15normal_iteratorINS9_10device_ptrIiEEEEPS5_m11less_div_10IiEEE10hipError_tT0_T1_T2_jT3_P12ihipStream_tbPNSt15iterator_traitsISJ_E10value_typeEPNSP_ISK_E10value_typeEPSL_NS1_7vsmem_tEENKUlT_SJ_SK_SL_E_clIPiSE_SF_SF_EESI_SY_SJ_SK_SL_EUlSY_E1_NS1_11comp_targetILNS1_3genE0ELNS1_11target_archE4294967295ELNS1_3gpuE0ELNS1_3repE0EEENS1_36merge_oddeven_config_static_selectorELNS0_4arch9wavefront6targetE0EEEvSK_: ; @_ZN7rocprim17ROCPRIM_400000_NS6detail17trampoline_kernelINS0_14default_configENS1_38merge_sort_block_merge_config_selectorIiNS0_10empty_typeEEEZZNS1_27merge_sort_block_merge_implIS3_N6thrust23THRUST_200600_302600_NS6detail15normal_iteratorINS9_10device_ptrIiEEEEPS5_m11less_div_10IiEEE10hipError_tT0_T1_T2_jT3_P12ihipStream_tbPNSt15iterator_traitsISJ_E10value_typeEPNSP_ISK_E10value_typeEPSL_NS1_7vsmem_tEENKUlT_SJ_SK_SL_E_clIPiSE_SF_SF_EESI_SY_SJ_SK_SL_EUlSY_E1_NS1_11comp_targetILNS1_3genE0ELNS1_11target_archE4294967295ELNS1_3gpuE0ELNS1_3repE0EEENS1_36merge_oddeven_config_static_selectorELNS0_4arch9wavefront6targetE0EEEvSK_
; %bb.0:
	.section	.rodata,"a",@progbits
	.p2align	6, 0x0
	.amdhsa_kernel _ZN7rocprim17ROCPRIM_400000_NS6detail17trampoline_kernelINS0_14default_configENS1_38merge_sort_block_merge_config_selectorIiNS0_10empty_typeEEEZZNS1_27merge_sort_block_merge_implIS3_N6thrust23THRUST_200600_302600_NS6detail15normal_iteratorINS9_10device_ptrIiEEEEPS5_m11less_div_10IiEEE10hipError_tT0_T1_T2_jT3_P12ihipStream_tbPNSt15iterator_traitsISJ_E10value_typeEPNSP_ISK_E10value_typeEPSL_NS1_7vsmem_tEENKUlT_SJ_SK_SL_E_clIPiSE_SF_SF_EESI_SY_SJ_SK_SL_EUlSY_E1_NS1_11comp_targetILNS1_3genE0ELNS1_11target_archE4294967295ELNS1_3gpuE0ELNS1_3repE0EEENS1_36merge_oddeven_config_static_selectorELNS0_4arch9wavefront6targetE0EEEvSK_
		.amdhsa_group_segment_fixed_size 0
		.amdhsa_private_segment_fixed_size 0
		.amdhsa_kernarg_size 56
		.amdhsa_user_sgpr_count 6
		.amdhsa_user_sgpr_private_segment_buffer 1
		.amdhsa_user_sgpr_dispatch_ptr 0
		.amdhsa_user_sgpr_queue_ptr 0
		.amdhsa_user_sgpr_kernarg_segment_ptr 1
		.amdhsa_user_sgpr_dispatch_id 0
		.amdhsa_user_sgpr_flat_scratch_init 0
		.amdhsa_user_sgpr_private_segment_size 0
		.amdhsa_wavefront_size32 1
		.amdhsa_uses_dynamic_stack 0
		.amdhsa_system_sgpr_private_segment_wavefront_offset 0
		.amdhsa_system_sgpr_workgroup_id_x 1
		.amdhsa_system_sgpr_workgroup_id_y 0
		.amdhsa_system_sgpr_workgroup_id_z 0
		.amdhsa_system_sgpr_workgroup_info 0
		.amdhsa_system_vgpr_workitem_id 0
		.amdhsa_next_free_vgpr 1
		.amdhsa_next_free_sgpr 1
		.amdhsa_reserve_vcc 0
		.amdhsa_reserve_flat_scratch 0
		.amdhsa_float_round_mode_32 0
		.amdhsa_float_round_mode_16_64 0
		.amdhsa_float_denorm_mode_32 3
		.amdhsa_float_denorm_mode_16_64 3
		.amdhsa_dx10_clamp 1
		.amdhsa_ieee_mode 1
		.amdhsa_fp16_overflow 0
		.amdhsa_workgroup_processor_mode 1
		.amdhsa_memory_ordered 1
		.amdhsa_forward_progress 1
		.amdhsa_shared_vgpr_count 0
		.amdhsa_exception_fp_ieee_invalid_op 0
		.amdhsa_exception_fp_denorm_src 0
		.amdhsa_exception_fp_ieee_div_zero 0
		.amdhsa_exception_fp_ieee_overflow 0
		.amdhsa_exception_fp_ieee_underflow 0
		.amdhsa_exception_fp_ieee_inexact 0
		.amdhsa_exception_int_div_zero 0
	.end_amdhsa_kernel
	.section	.text._ZN7rocprim17ROCPRIM_400000_NS6detail17trampoline_kernelINS0_14default_configENS1_38merge_sort_block_merge_config_selectorIiNS0_10empty_typeEEEZZNS1_27merge_sort_block_merge_implIS3_N6thrust23THRUST_200600_302600_NS6detail15normal_iteratorINS9_10device_ptrIiEEEEPS5_m11less_div_10IiEEE10hipError_tT0_T1_T2_jT3_P12ihipStream_tbPNSt15iterator_traitsISJ_E10value_typeEPNSP_ISK_E10value_typeEPSL_NS1_7vsmem_tEENKUlT_SJ_SK_SL_E_clIPiSE_SF_SF_EESI_SY_SJ_SK_SL_EUlSY_E1_NS1_11comp_targetILNS1_3genE0ELNS1_11target_archE4294967295ELNS1_3gpuE0ELNS1_3repE0EEENS1_36merge_oddeven_config_static_selectorELNS0_4arch9wavefront6targetE0EEEvSK_,"axG",@progbits,_ZN7rocprim17ROCPRIM_400000_NS6detail17trampoline_kernelINS0_14default_configENS1_38merge_sort_block_merge_config_selectorIiNS0_10empty_typeEEEZZNS1_27merge_sort_block_merge_implIS3_N6thrust23THRUST_200600_302600_NS6detail15normal_iteratorINS9_10device_ptrIiEEEEPS5_m11less_div_10IiEEE10hipError_tT0_T1_T2_jT3_P12ihipStream_tbPNSt15iterator_traitsISJ_E10value_typeEPNSP_ISK_E10value_typeEPSL_NS1_7vsmem_tEENKUlT_SJ_SK_SL_E_clIPiSE_SF_SF_EESI_SY_SJ_SK_SL_EUlSY_E1_NS1_11comp_targetILNS1_3genE0ELNS1_11target_archE4294967295ELNS1_3gpuE0ELNS1_3repE0EEENS1_36merge_oddeven_config_static_selectorELNS0_4arch9wavefront6targetE0EEEvSK_,comdat
.Lfunc_end445:
	.size	_ZN7rocprim17ROCPRIM_400000_NS6detail17trampoline_kernelINS0_14default_configENS1_38merge_sort_block_merge_config_selectorIiNS0_10empty_typeEEEZZNS1_27merge_sort_block_merge_implIS3_N6thrust23THRUST_200600_302600_NS6detail15normal_iteratorINS9_10device_ptrIiEEEEPS5_m11less_div_10IiEEE10hipError_tT0_T1_T2_jT3_P12ihipStream_tbPNSt15iterator_traitsISJ_E10value_typeEPNSP_ISK_E10value_typeEPSL_NS1_7vsmem_tEENKUlT_SJ_SK_SL_E_clIPiSE_SF_SF_EESI_SY_SJ_SK_SL_EUlSY_E1_NS1_11comp_targetILNS1_3genE0ELNS1_11target_archE4294967295ELNS1_3gpuE0ELNS1_3repE0EEENS1_36merge_oddeven_config_static_selectorELNS0_4arch9wavefront6targetE0EEEvSK_, .Lfunc_end445-_ZN7rocprim17ROCPRIM_400000_NS6detail17trampoline_kernelINS0_14default_configENS1_38merge_sort_block_merge_config_selectorIiNS0_10empty_typeEEEZZNS1_27merge_sort_block_merge_implIS3_N6thrust23THRUST_200600_302600_NS6detail15normal_iteratorINS9_10device_ptrIiEEEEPS5_m11less_div_10IiEEE10hipError_tT0_T1_T2_jT3_P12ihipStream_tbPNSt15iterator_traitsISJ_E10value_typeEPNSP_ISK_E10value_typeEPSL_NS1_7vsmem_tEENKUlT_SJ_SK_SL_E_clIPiSE_SF_SF_EESI_SY_SJ_SK_SL_EUlSY_E1_NS1_11comp_targetILNS1_3genE0ELNS1_11target_archE4294967295ELNS1_3gpuE0ELNS1_3repE0EEENS1_36merge_oddeven_config_static_selectorELNS0_4arch9wavefront6targetE0EEEvSK_
                                        ; -- End function
	.set _ZN7rocprim17ROCPRIM_400000_NS6detail17trampoline_kernelINS0_14default_configENS1_38merge_sort_block_merge_config_selectorIiNS0_10empty_typeEEEZZNS1_27merge_sort_block_merge_implIS3_N6thrust23THRUST_200600_302600_NS6detail15normal_iteratorINS9_10device_ptrIiEEEEPS5_m11less_div_10IiEEE10hipError_tT0_T1_T2_jT3_P12ihipStream_tbPNSt15iterator_traitsISJ_E10value_typeEPNSP_ISK_E10value_typeEPSL_NS1_7vsmem_tEENKUlT_SJ_SK_SL_E_clIPiSE_SF_SF_EESI_SY_SJ_SK_SL_EUlSY_E1_NS1_11comp_targetILNS1_3genE0ELNS1_11target_archE4294967295ELNS1_3gpuE0ELNS1_3repE0EEENS1_36merge_oddeven_config_static_selectorELNS0_4arch9wavefront6targetE0EEEvSK_.num_vgpr, 0
	.set _ZN7rocprim17ROCPRIM_400000_NS6detail17trampoline_kernelINS0_14default_configENS1_38merge_sort_block_merge_config_selectorIiNS0_10empty_typeEEEZZNS1_27merge_sort_block_merge_implIS3_N6thrust23THRUST_200600_302600_NS6detail15normal_iteratorINS9_10device_ptrIiEEEEPS5_m11less_div_10IiEEE10hipError_tT0_T1_T2_jT3_P12ihipStream_tbPNSt15iterator_traitsISJ_E10value_typeEPNSP_ISK_E10value_typeEPSL_NS1_7vsmem_tEENKUlT_SJ_SK_SL_E_clIPiSE_SF_SF_EESI_SY_SJ_SK_SL_EUlSY_E1_NS1_11comp_targetILNS1_3genE0ELNS1_11target_archE4294967295ELNS1_3gpuE0ELNS1_3repE0EEENS1_36merge_oddeven_config_static_selectorELNS0_4arch9wavefront6targetE0EEEvSK_.num_agpr, 0
	.set _ZN7rocprim17ROCPRIM_400000_NS6detail17trampoline_kernelINS0_14default_configENS1_38merge_sort_block_merge_config_selectorIiNS0_10empty_typeEEEZZNS1_27merge_sort_block_merge_implIS3_N6thrust23THRUST_200600_302600_NS6detail15normal_iteratorINS9_10device_ptrIiEEEEPS5_m11less_div_10IiEEE10hipError_tT0_T1_T2_jT3_P12ihipStream_tbPNSt15iterator_traitsISJ_E10value_typeEPNSP_ISK_E10value_typeEPSL_NS1_7vsmem_tEENKUlT_SJ_SK_SL_E_clIPiSE_SF_SF_EESI_SY_SJ_SK_SL_EUlSY_E1_NS1_11comp_targetILNS1_3genE0ELNS1_11target_archE4294967295ELNS1_3gpuE0ELNS1_3repE0EEENS1_36merge_oddeven_config_static_selectorELNS0_4arch9wavefront6targetE0EEEvSK_.numbered_sgpr, 0
	.set _ZN7rocprim17ROCPRIM_400000_NS6detail17trampoline_kernelINS0_14default_configENS1_38merge_sort_block_merge_config_selectorIiNS0_10empty_typeEEEZZNS1_27merge_sort_block_merge_implIS3_N6thrust23THRUST_200600_302600_NS6detail15normal_iteratorINS9_10device_ptrIiEEEEPS5_m11less_div_10IiEEE10hipError_tT0_T1_T2_jT3_P12ihipStream_tbPNSt15iterator_traitsISJ_E10value_typeEPNSP_ISK_E10value_typeEPSL_NS1_7vsmem_tEENKUlT_SJ_SK_SL_E_clIPiSE_SF_SF_EESI_SY_SJ_SK_SL_EUlSY_E1_NS1_11comp_targetILNS1_3genE0ELNS1_11target_archE4294967295ELNS1_3gpuE0ELNS1_3repE0EEENS1_36merge_oddeven_config_static_selectorELNS0_4arch9wavefront6targetE0EEEvSK_.num_named_barrier, 0
	.set _ZN7rocprim17ROCPRIM_400000_NS6detail17trampoline_kernelINS0_14default_configENS1_38merge_sort_block_merge_config_selectorIiNS0_10empty_typeEEEZZNS1_27merge_sort_block_merge_implIS3_N6thrust23THRUST_200600_302600_NS6detail15normal_iteratorINS9_10device_ptrIiEEEEPS5_m11less_div_10IiEEE10hipError_tT0_T1_T2_jT3_P12ihipStream_tbPNSt15iterator_traitsISJ_E10value_typeEPNSP_ISK_E10value_typeEPSL_NS1_7vsmem_tEENKUlT_SJ_SK_SL_E_clIPiSE_SF_SF_EESI_SY_SJ_SK_SL_EUlSY_E1_NS1_11comp_targetILNS1_3genE0ELNS1_11target_archE4294967295ELNS1_3gpuE0ELNS1_3repE0EEENS1_36merge_oddeven_config_static_selectorELNS0_4arch9wavefront6targetE0EEEvSK_.private_seg_size, 0
	.set _ZN7rocprim17ROCPRIM_400000_NS6detail17trampoline_kernelINS0_14default_configENS1_38merge_sort_block_merge_config_selectorIiNS0_10empty_typeEEEZZNS1_27merge_sort_block_merge_implIS3_N6thrust23THRUST_200600_302600_NS6detail15normal_iteratorINS9_10device_ptrIiEEEEPS5_m11less_div_10IiEEE10hipError_tT0_T1_T2_jT3_P12ihipStream_tbPNSt15iterator_traitsISJ_E10value_typeEPNSP_ISK_E10value_typeEPSL_NS1_7vsmem_tEENKUlT_SJ_SK_SL_E_clIPiSE_SF_SF_EESI_SY_SJ_SK_SL_EUlSY_E1_NS1_11comp_targetILNS1_3genE0ELNS1_11target_archE4294967295ELNS1_3gpuE0ELNS1_3repE0EEENS1_36merge_oddeven_config_static_selectorELNS0_4arch9wavefront6targetE0EEEvSK_.uses_vcc, 0
	.set _ZN7rocprim17ROCPRIM_400000_NS6detail17trampoline_kernelINS0_14default_configENS1_38merge_sort_block_merge_config_selectorIiNS0_10empty_typeEEEZZNS1_27merge_sort_block_merge_implIS3_N6thrust23THRUST_200600_302600_NS6detail15normal_iteratorINS9_10device_ptrIiEEEEPS5_m11less_div_10IiEEE10hipError_tT0_T1_T2_jT3_P12ihipStream_tbPNSt15iterator_traitsISJ_E10value_typeEPNSP_ISK_E10value_typeEPSL_NS1_7vsmem_tEENKUlT_SJ_SK_SL_E_clIPiSE_SF_SF_EESI_SY_SJ_SK_SL_EUlSY_E1_NS1_11comp_targetILNS1_3genE0ELNS1_11target_archE4294967295ELNS1_3gpuE0ELNS1_3repE0EEENS1_36merge_oddeven_config_static_selectorELNS0_4arch9wavefront6targetE0EEEvSK_.uses_flat_scratch, 0
	.set _ZN7rocprim17ROCPRIM_400000_NS6detail17trampoline_kernelINS0_14default_configENS1_38merge_sort_block_merge_config_selectorIiNS0_10empty_typeEEEZZNS1_27merge_sort_block_merge_implIS3_N6thrust23THRUST_200600_302600_NS6detail15normal_iteratorINS9_10device_ptrIiEEEEPS5_m11less_div_10IiEEE10hipError_tT0_T1_T2_jT3_P12ihipStream_tbPNSt15iterator_traitsISJ_E10value_typeEPNSP_ISK_E10value_typeEPSL_NS1_7vsmem_tEENKUlT_SJ_SK_SL_E_clIPiSE_SF_SF_EESI_SY_SJ_SK_SL_EUlSY_E1_NS1_11comp_targetILNS1_3genE0ELNS1_11target_archE4294967295ELNS1_3gpuE0ELNS1_3repE0EEENS1_36merge_oddeven_config_static_selectorELNS0_4arch9wavefront6targetE0EEEvSK_.has_dyn_sized_stack, 0
	.set _ZN7rocprim17ROCPRIM_400000_NS6detail17trampoline_kernelINS0_14default_configENS1_38merge_sort_block_merge_config_selectorIiNS0_10empty_typeEEEZZNS1_27merge_sort_block_merge_implIS3_N6thrust23THRUST_200600_302600_NS6detail15normal_iteratorINS9_10device_ptrIiEEEEPS5_m11less_div_10IiEEE10hipError_tT0_T1_T2_jT3_P12ihipStream_tbPNSt15iterator_traitsISJ_E10value_typeEPNSP_ISK_E10value_typeEPSL_NS1_7vsmem_tEENKUlT_SJ_SK_SL_E_clIPiSE_SF_SF_EESI_SY_SJ_SK_SL_EUlSY_E1_NS1_11comp_targetILNS1_3genE0ELNS1_11target_archE4294967295ELNS1_3gpuE0ELNS1_3repE0EEENS1_36merge_oddeven_config_static_selectorELNS0_4arch9wavefront6targetE0EEEvSK_.has_recursion, 0
	.set _ZN7rocprim17ROCPRIM_400000_NS6detail17trampoline_kernelINS0_14default_configENS1_38merge_sort_block_merge_config_selectorIiNS0_10empty_typeEEEZZNS1_27merge_sort_block_merge_implIS3_N6thrust23THRUST_200600_302600_NS6detail15normal_iteratorINS9_10device_ptrIiEEEEPS5_m11less_div_10IiEEE10hipError_tT0_T1_T2_jT3_P12ihipStream_tbPNSt15iterator_traitsISJ_E10value_typeEPNSP_ISK_E10value_typeEPSL_NS1_7vsmem_tEENKUlT_SJ_SK_SL_E_clIPiSE_SF_SF_EESI_SY_SJ_SK_SL_EUlSY_E1_NS1_11comp_targetILNS1_3genE0ELNS1_11target_archE4294967295ELNS1_3gpuE0ELNS1_3repE0EEENS1_36merge_oddeven_config_static_selectorELNS0_4arch9wavefront6targetE0EEEvSK_.has_indirect_call, 0
	.section	.AMDGPU.csdata,"",@progbits
; Kernel info:
; codeLenInByte = 0
; TotalNumSgprs: 0
; NumVgprs: 0
; ScratchSize: 0
; MemoryBound: 0
; FloatMode: 240
; IeeeMode: 1
; LDSByteSize: 0 bytes/workgroup (compile time only)
; SGPRBlocks: 0
; VGPRBlocks: 0
; NumSGPRsForWavesPerEU: 1
; NumVGPRsForWavesPerEU: 1
; Occupancy: 16
; WaveLimiterHint : 0
; COMPUTE_PGM_RSRC2:SCRATCH_EN: 0
; COMPUTE_PGM_RSRC2:USER_SGPR: 6
; COMPUTE_PGM_RSRC2:TRAP_HANDLER: 0
; COMPUTE_PGM_RSRC2:TGID_X_EN: 1
; COMPUTE_PGM_RSRC2:TGID_Y_EN: 0
; COMPUTE_PGM_RSRC2:TGID_Z_EN: 0
; COMPUTE_PGM_RSRC2:TIDIG_COMP_CNT: 0
	.section	.text._ZN7rocprim17ROCPRIM_400000_NS6detail17trampoline_kernelINS0_14default_configENS1_38merge_sort_block_merge_config_selectorIiNS0_10empty_typeEEEZZNS1_27merge_sort_block_merge_implIS3_N6thrust23THRUST_200600_302600_NS6detail15normal_iteratorINS9_10device_ptrIiEEEEPS5_m11less_div_10IiEEE10hipError_tT0_T1_T2_jT3_P12ihipStream_tbPNSt15iterator_traitsISJ_E10value_typeEPNSP_ISK_E10value_typeEPSL_NS1_7vsmem_tEENKUlT_SJ_SK_SL_E_clIPiSE_SF_SF_EESI_SY_SJ_SK_SL_EUlSY_E1_NS1_11comp_targetILNS1_3genE10ELNS1_11target_archE1201ELNS1_3gpuE5ELNS1_3repE0EEENS1_36merge_oddeven_config_static_selectorELNS0_4arch9wavefront6targetE0EEEvSK_,"axG",@progbits,_ZN7rocprim17ROCPRIM_400000_NS6detail17trampoline_kernelINS0_14default_configENS1_38merge_sort_block_merge_config_selectorIiNS0_10empty_typeEEEZZNS1_27merge_sort_block_merge_implIS3_N6thrust23THRUST_200600_302600_NS6detail15normal_iteratorINS9_10device_ptrIiEEEEPS5_m11less_div_10IiEEE10hipError_tT0_T1_T2_jT3_P12ihipStream_tbPNSt15iterator_traitsISJ_E10value_typeEPNSP_ISK_E10value_typeEPSL_NS1_7vsmem_tEENKUlT_SJ_SK_SL_E_clIPiSE_SF_SF_EESI_SY_SJ_SK_SL_EUlSY_E1_NS1_11comp_targetILNS1_3genE10ELNS1_11target_archE1201ELNS1_3gpuE5ELNS1_3repE0EEENS1_36merge_oddeven_config_static_selectorELNS0_4arch9wavefront6targetE0EEEvSK_,comdat
	.protected	_ZN7rocprim17ROCPRIM_400000_NS6detail17trampoline_kernelINS0_14default_configENS1_38merge_sort_block_merge_config_selectorIiNS0_10empty_typeEEEZZNS1_27merge_sort_block_merge_implIS3_N6thrust23THRUST_200600_302600_NS6detail15normal_iteratorINS9_10device_ptrIiEEEEPS5_m11less_div_10IiEEE10hipError_tT0_T1_T2_jT3_P12ihipStream_tbPNSt15iterator_traitsISJ_E10value_typeEPNSP_ISK_E10value_typeEPSL_NS1_7vsmem_tEENKUlT_SJ_SK_SL_E_clIPiSE_SF_SF_EESI_SY_SJ_SK_SL_EUlSY_E1_NS1_11comp_targetILNS1_3genE10ELNS1_11target_archE1201ELNS1_3gpuE5ELNS1_3repE0EEENS1_36merge_oddeven_config_static_selectorELNS0_4arch9wavefront6targetE0EEEvSK_ ; -- Begin function _ZN7rocprim17ROCPRIM_400000_NS6detail17trampoline_kernelINS0_14default_configENS1_38merge_sort_block_merge_config_selectorIiNS0_10empty_typeEEEZZNS1_27merge_sort_block_merge_implIS3_N6thrust23THRUST_200600_302600_NS6detail15normal_iteratorINS9_10device_ptrIiEEEEPS5_m11less_div_10IiEEE10hipError_tT0_T1_T2_jT3_P12ihipStream_tbPNSt15iterator_traitsISJ_E10value_typeEPNSP_ISK_E10value_typeEPSL_NS1_7vsmem_tEENKUlT_SJ_SK_SL_E_clIPiSE_SF_SF_EESI_SY_SJ_SK_SL_EUlSY_E1_NS1_11comp_targetILNS1_3genE10ELNS1_11target_archE1201ELNS1_3gpuE5ELNS1_3repE0EEENS1_36merge_oddeven_config_static_selectorELNS0_4arch9wavefront6targetE0EEEvSK_
	.globl	_ZN7rocprim17ROCPRIM_400000_NS6detail17trampoline_kernelINS0_14default_configENS1_38merge_sort_block_merge_config_selectorIiNS0_10empty_typeEEEZZNS1_27merge_sort_block_merge_implIS3_N6thrust23THRUST_200600_302600_NS6detail15normal_iteratorINS9_10device_ptrIiEEEEPS5_m11less_div_10IiEEE10hipError_tT0_T1_T2_jT3_P12ihipStream_tbPNSt15iterator_traitsISJ_E10value_typeEPNSP_ISK_E10value_typeEPSL_NS1_7vsmem_tEENKUlT_SJ_SK_SL_E_clIPiSE_SF_SF_EESI_SY_SJ_SK_SL_EUlSY_E1_NS1_11comp_targetILNS1_3genE10ELNS1_11target_archE1201ELNS1_3gpuE5ELNS1_3repE0EEENS1_36merge_oddeven_config_static_selectorELNS0_4arch9wavefront6targetE0EEEvSK_
	.p2align	8
	.type	_ZN7rocprim17ROCPRIM_400000_NS6detail17trampoline_kernelINS0_14default_configENS1_38merge_sort_block_merge_config_selectorIiNS0_10empty_typeEEEZZNS1_27merge_sort_block_merge_implIS3_N6thrust23THRUST_200600_302600_NS6detail15normal_iteratorINS9_10device_ptrIiEEEEPS5_m11less_div_10IiEEE10hipError_tT0_T1_T2_jT3_P12ihipStream_tbPNSt15iterator_traitsISJ_E10value_typeEPNSP_ISK_E10value_typeEPSL_NS1_7vsmem_tEENKUlT_SJ_SK_SL_E_clIPiSE_SF_SF_EESI_SY_SJ_SK_SL_EUlSY_E1_NS1_11comp_targetILNS1_3genE10ELNS1_11target_archE1201ELNS1_3gpuE5ELNS1_3repE0EEENS1_36merge_oddeven_config_static_selectorELNS0_4arch9wavefront6targetE0EEEvSK_,@function
_ZN7rocprim17ROCPRIM_400000_NS6detail17trampoline_kernelINS0_14default_configENS1_38merge_sort_block_merge_config_selectorIiNS0_10empty_typeEEEZZNS1_27merge_sort_block_merge_implIS3_N6thrust23THRUST_200600_302600_NS6detail15normal_iteratorINS9_10device_ptrIiEEEEPS5_m11less_div_10IiEEE10hipError_tT0_T1_T2_jT3_P12ihipStream_tbPNSt15iterator_traitsISJ_E10value_typeEPNSP_ISK_E10value_typeEPSL_NS1_7vsmem_tEENKUlT_SJ_SK_SL_E_clIPiSE_SF_SF_EESI_SY_SJ_SK_SL_EUlSY_E1_NS1_11comp_targetILNS1_3genE10ELNS1_11target_archE1201ELNS1_3gpuE5ELNS1_3repE0EEENS1_36merge_oddeven_config_static_selectorELNS0_4arch9wavefront6targetE0EEEvSK_: ; @_ZN7rocprim17ROCPRIM_400000_NS6detail17trampoline_kernelINS0_14default_configENS1_38merge_sort_block_merge_config_selectorIiNS0_10empty_typeEEEZZNS1_27merge_sort_block_merge_implIS3_N6thrust23THRUST_200600_302600_NS6detail15normal_iteratorINS9_10device_ptrIiEEEEPS5_m11less_div_10IiEEE10hipError_tT0_T1_T2_jT3_P12ihipStream_tbPNSt15iterator_traitsISJ_E10value_typeEPNSP_ISK_E10value_typeEPSL_NS1_7vsmem_tEENKUlT_SJ_SK_SL_E_clIPiSE_SF_SF_EESI_SY_SJ_SK_SL_EUlSY_E1_NS1_11comp_targetILNS1_3genE10ELNS1_11target_archE1201ELNS1_3gpuE5ELNS1_3repE0EEENS1_36merge_oddeven_config_static_selectorELNS0_4arch9wavefront6targetE0EEEvSK_
; %bb.0:
	.section	.rodata,"a",@progbits
	.p2align	6, 0x0
	.amdhsa_kernel _ZN7rocprim17ROCPRIM_400000_NS6detail17trampoline_kernelINS0_14default_configENS1_38merge_sort_block_merge_config_selectorIiNS0_10empty_typeEEEZZNS1_27merge_sort_block_merge_implIS3_N6thrust23THRUST_200600_302600_NS6detail15normal_iteratorINS9_10device_ptrIiEEEEPS5_m11less_div_10IiEEE10hipError_tT0_T1_T2_jT3_P12ihipStream_tbPNSt15iterator_traitsISJ_E10value_typeEPNSP_ISK_E10value_typeEPSL_NS1_7vsmem_tEENKUlT_SJ_SK_SL_E_clIPiSE_SF_SF_EESI_SY_SJ_SK_SL_EUlSY_E1_NS1_11comp_targetILNS1_3genE10ELNS1_11target_archE1201ELNS1_3gpuE5ELNS1_3repE0EEENS1_36merge_oddeven_config_static_selectorELNS0_4arch9wavefront6targetE0EEEvSK_
		.amdhsa_group_segment_fixed_size 0
		.amdhsa_private_segment_fixed_size 0
		.amdhsa_kernarg_size 56
		.amdhsa_user_sgpr_count 6
		.amdhsa_user_sgpr_private_segment_buffer 1
		.amdhsa_user_sgpr_dispatch_ptr 0
		.amdhsa_user_sgpr_queue_ptr 0
		.amdhsa_user_sgpr_kernarg_segment_ptr 1
		.amdhsa_user_sgpr_dispatch_id 0
		.amdhsa_user_sgpr_flat_scratch_init 0
		.amdhsa_user_sgpr_private_segment_size 0
		.amdhsa_wavefront_size32 1
		.amdhsa_uses_dynamic_stack 0
		.amdhsa_system_sgpr_private_segment_wavefront_offset 0
		.amdhsa_system_sgpr_workgroup_id_x 1
		.amdhsa_system_sgpr_workgroup_id_y 0
		.amdhsa_system_sgpr_workgroup_id_z 0
		.amdhsa_system_sgpr_workgroup_info 0
		.amdhsa_system_vgpr_workitem_id 0
		.amdhsa_next_free_vgpr 1
		.amdhsa_next_free_sgpr 1
		.amdhsa_reserve_vcc 0
		.amdhsa_reserve_flat_scratch 0
		.amdhsa_float_round_mode_32 0
		.amdhsa_float_round_mode_16_64 0
		.amdhsa_float_denorm_mode_32 3
		.amdhsa_float_denorm_mode_16_64 3
		.amdhsa_dx10_clamp 1
		.amdhsa_ieee_mode 1
		.amdhsa_fp16_overflow 0
		.amdhsa_workgroup_processor_mode 1
		.amdhsa_memory_ordered 1
		.amdhsa_forward_progress 1
		.amdhsa_shared_vgpr_count 0
		.amdhsa_exception_fp_ieee_invalid_op 0
		.amdhsa_exception_fp_denorm_src 0
		.amdhsa_exception_fp_ieee_div_zero 0
		.amdhsa_exception_fp_ieee_overflow 0
		.amdhsa_exception_fp_ieee_underflow 0
		.amdhsa_exception_fp_ieee_inexact 0
		.amdhsa_exception_int_div_zero 0
	.end_amdhsa_kernel
	.section	.text._ZN7rocprim17ROCPRIM_400000_NS6detail17trampoline_kernelINS0_14default_configENS1_38merge_sort_block_merge_config_selectorIiNS0_10empty_typeEEEZZNS1_27merge_sort_block_merge_implIS3_N6thrust23THRUST_200600_302600_NS6detail15normal_iteratorINS9_10device_ptrIiEEEEPS5_m11less_div_10IiEEE10hipError_tT0_T1_T2_jT3_P12ihipStream_tbPNSt15iterator_traitsISJ_E10value_typeEPNSP_ISK_E10value_typeEPSL_NS1_7vsmem_tEENKUlT_SJ_SK_SL_E_clIPiSE_SF_SF_EESI_SY_SJ_SK_SL_EUlSY_E1_NS1_11comp_targetILNS1_3genE10ELNS1_11target_archE1201ELNS1_3gpuE5ELNS1_3repE0EEENS1_36merge_oddeven_config_static_selectorELNS0_4arch9wavefront6targetE0EEEvSK_,"axG",@progbits,_ZN7rocprim17ROCPRIM_400000_NS6detail17trampoline_kernelINS0_14default_configENS1_38merge_sort_block_merge_config_selectorIiNS0_10empty_typeEEEZZNS1_27merge_sort_block_merge_implIS3_N6thrust23THRUST_200600_302600_NS6detail15normal_iteratorINS9_10device_ptrIiEEEEPS5_m11less_div_10IiEEE10hipError_tT0_T1_T2_jT3_P12ihipStream_tbPNSt15iterator_traitsISJ_E10value_typeEPNSP_ISK_E10value_typeEPSL_NS1_7vsmem_tEENKUlT_SJ_SK_SL_E_clIPiSE_SF_SF_EESI_SY_SJ_SK_SL_EUlSY_E1_NS1_11comp_targetILNS1_3genE10ELNS1_11target_archE1201ELNS1_3gpuE5ELNS1_3repE0EEENS1_36merge_oddeven_config_static_selectorELNS0_4arch9wavefront6targetE0EEEvSK_,comdat
.Lfunc_end446:
	.size	_ZN7rocprim17ROCPRIM_400000_NS6detail17trampoline_kernelINS0_14default_configENS1_38merge_sort_block_merge_config_selectorIiNS0_10empty_typeEEEZZNS1_27merge_sort_block_merge_implIS3_N6thrust23THRUST_200600_302600_NS6detail15normal_iteratorINS9_10device_ptrIiEEEEPS5_m11less_div_10IiEEE10hipError_tT0_T1_T2_jT3_P12ihipStream_tbPNSt15iterator_traitsISJ_E10value_typeEPNSP_ISK_E10value_typeEPSL_NS1_7vsmem_tEENKUlT_SJ_SK_SL_E_clIPiSE_SF_SF_EESI_SY_SJ_SK_SL_EUlSY_E1_NS1_11comp_targetILNS1_3genE10ELNS1_11target_archE1201ELNS1_3gpuE5ELNS1_3repE0EEENS1_36merge_oddeven_config_static_selectorELNS0_4arch9wavefront6targetE0EEEvSK_, .Lfunc_end446-_ZN7rocprim17ROCPRIM_400000_NS6detail17trampoline_kernelINS0_14default_configENS1_38merge_sort_block_merge_config_selectorIiNS0_10empty_typeEEEZZNS1_27merge_sort_block_merge_implIS3_N6thrust23THRUST_200600_302600_NS6detail15normal_iteratorINS9_10device_ptrIiEEEEPS5_m11less_div_10IiEEE10hipError_tT0_T1_T2_jT3_P12ihipStream_tbPNSt15iterator_traitsISJ_E10value_typeEPNSP_ISK_E10value_typeEPSL_NS1_7vsmem_tEENKUlT_SJ_SK_SL_E_clIPiSE_SF_SF_EESI_SY_SJ_SK_SL_EUlSY_E1_NS1_11comp_targetILNS1_3genE10ELNS1_11target_archE1201ELNS1_3gpuE5ELNS1_3repE0EEENS1_36merge_oddeven_config_static_selectorELNS0_4arch9wavefront6targetE0EEEvSK_
                                        ; -- End function
	.set _ZN7rocprim17ROCPRIM_400000_NS6detail17trampoline_kernelINS0_14default_configENS1_38merge_sort_block_merge_config_selectorIiNS0_10empty_typeEEEZZNS1_27merge_sort_block_merge_implIS3_N6thrust23THRUST_200600_302600_NS6detail15normal_iteratorINS9_10device_ptrIiEEEEPS5_m11less_div_10IiEEE10hipError_tT0_T1_T2_jT3_P12ihipStream_tbPNSt15iterator_traitsISJ_E10value_typeEPNSP_ISK_E10value_typeEPSL_NS1_7vsmem_tEENKUlT_SJ_SK_SL_E_clIPiSE_SF_SF_EESI_SY_SJ_SK_SL_EUlSY_E1_NS1_11comp_targetILNS1_3genE10ELNS1_11target_archE1201ELNS1_3gpuE5ELNS1_3repE0EEENS1_36merge_oddeven_config_static_selectorELNS0_4arch9wavefront6targetE0EEEvSK_.num_vgpr, 0
	.set _ZN7rocprim17ROCPRIM_400000_NS6detail17trampoline_kernelINS0_14default_configENS1_38merge_sort_block_merge_config_selectorIiNS0_10empty_typeEEEZZNS1_27merge_sort_block_merge_implIS3_N6thrust23THRUST_200600_302600_NS6detail15normal_iteratorINS9_10device_ptrIiEEEEPS5_m11less_div_10IiEEE10hipError_tT0_T1_T2_jT3_P12ihipStream_tbPNSt15iterator_traitsISJ_E10value_typeEPNSP_ISK_E10value_typeEPSL_NS1_7vsmem_tEENKUlT_SJ_SK_SL_E_clIPiSE_SF_SF_EESI_SY_SJ_SK_SL_EUlSY_E1_NS1_11comp_targetILNS1_3genE10ELNS1_11target_archE1201ELNS1_3gpuE5ELNS1_3repE0EEENS1_36merge_oddeven_config_static_selectorELNS0_4arch9wavefront6targetE0EEEvSK_.num_agpr, 0
	.set _ZN7rocprim17ROCPRIM_400000_NS6detail17trampoline_kernelINS0_14default_configENS1_38merge_sort_block_merge_config_selectorIiNS0_10empty_typeEEEZZNS1_27merge_sort_block_merge_implIS3_N6thrust23THRUST_200600_302600_NS6detail15normal_iteratorINS9_10device_ptrIiEEEEPS5_m11less_div_10IiEEE10hipError_tT0_T1_T2_jT3_P12ihipStream_tbPNSt15iterator_traitsISJ_E10value_typeEPNSP_ISK_E10value_typeEPSL_NS1_7vsmem_tEENKUlT_SJ_SK_SL_E_clIPiSE_SF_SF_EESI_SY_SJ_SK_SL_EUlSY_E1_NS1_11comp_targetILNS1_3genE10ELNS1_11target_archE1201ELNS1_3gpuE5ELNS1_3repE0EEENS1_36merge_oddeven_config_static_selectorELNS0_4arch9wavefront6targetE0EEEvSK_.numbered_sgpr, 0
	.set _ZN7rocprim17ROCPRIM_400000_NS6detail17trampoline_kernelINS0_14default_configENS1_38merge_sort_block_merge_config_selectorIiNS0_10empty_typeEEEZZNS1_27merge_sort_block_merge_implIS3_N6thrust23THRUST_200600_302600_NS6detail15normal_iteratorINS9_10device_ptrIiEEEEPS5_m11less_div_10IiEEE10hipError_tT0_T1_T2_jT3_P12ihipStream_tbPNSt15iterator_traitsISJ_E10value_typeEPNSP_ISK_E10value_typeEPSL_NS1_7vsmem_tEENKUlT_SJ_SK_SL_E_clIPiSE_SF_SF_EESI_SY_SJ_SK_SL_EUlSY_E1_NS1_11comp_targetILNS1_3genE10ELNS1_11target_archE1201ELNS1_3gpuE5ELNS1_3repE0EEENS1_36merge_oddeven_config_static_selectorELNS0_4arch9wavefront6targetE0EEEvSK_.num_named_barrier, 0
	.set _ZN7rocprim17ROCPRIM_400000_NS6detail17trampoline_kernelINS0_14default_configENS1_38merge_sort_block_merge_config_selectorIiNS0_10empty_typeEEEZZNS1_27merge_sort_block_merge_implIS3_N6thrust23THRUST_200600_302600_NS6detail15normal_iteratorINS9_10device_ptrIiEEEEPS5_m11less_div_10IiEEE10hipError_tT0_T1_T2_jT3_P12ihipStream_tbPNSt15iterator_traitsISJ_E10value_typeEPNSP_ISK_E10value_typeEPSL_NS1_7vsmem_tEENKUlT_SJ_SK_SL_E_clIPiSE_SF_SF_EESI_SY_SJ_SK_SL_EUlSY_E1_NS1_11comp_targetILNS1_3genE10ELNS1_11target_archE1201ELNS1_3gpuE5ELNS1_3repE0EEENS1_36merge_oddeven_config_static_selectorELNS0_4arch9wavefront6targetE0EEEvSK_.private_seg_size, 0
	.set _ZN7rocprim17ROCPRIM_400000_NS6detail17trampoline_kernelINS0_14default_configENS1_38merge_sort_block_merge_config_selectorIiNS0_10empty_typeEEEZZNS1_27merge_sort_block_merge_implIS3_N6thrust23THRUST_200600_302600_NS6detail15normal_iteratorINS9_10device_ptrIiEEEEPS5_m11less_div_10IiEEE10hipError_tT0_T1_T2_jT3_P12ihipStream_tbPNSt15iterator_traitsISJ_E10value_typeEPNSP_ISK_E10value_typeEPSL_NS1_7vsmem_tEENKUlT_SJ_SK_SL_E_clIPiSE_SF_SF_EESI_SY_SJ_SK_SL_EUlSY_E1_NS1_11comp_targetILNS1_3genE10ELNS1_11target_archE1201ELNS1_3gpuE5ELNS1_3repE0EEENS1_36merge_oddeven_config_static_selectorELNS0_4arch9wavefront6targetE0EEEvSK_.uses_vcc, 0
	.set _ZN7rocprim17ROCPRIM_400000_NS6detail17trampoline_kernelINS0_14default_configENS1_38merge_sort_block_merge_config_selectorIiNS0_10empty_typeEEEZZNS1_27merge_sort_block_merge_implIS3_N6thrust23THRUST_200600_302600_NS6detail15normal_iteratorINS9_10device_ptrIiEEEEPS5_m11less_div_10IiEEE10hipError_tT0_T1_T2_jT3_P12ihipStream_tbPNSt15iterator_traitsISJ_E10value_typeEPNSP_ISK_E10value_typeEPSL_NS1_7vsmem_tEENKUlT_SJ_SK_SL_E_clIPiSE_SF_SF_EESI_SY_SJ_SK_SL_EUlSY_E1_NS1_11comp_targetILNS1_3genE10ELNS1_11target_archE1201ELNS1_3gpuE5ELNS1_3repE0EEENS1_36merge_oddeven_config_static_selectorELNS0_4arch9wavefront6targetE0EEEvSK_.uses_flat_scratch, 0
	.set _ZN7rocprim17ROCPRIM_400000_NS6detail17trampoline_kernelINS0_14default_configENS1_38merge_sort_block_merge_config_selectorIiNS0_10empty_typeEEEZZNS1_27merge_sort_block_merge_implIS3_N6thrust23THRUST_200600_302600_NS6detail15normal_iteratorINS9_10device_ptrIiEEEEPS5_m11less_div_10IiEEE10hipError_tT0_T1_T2_jT3_P12ihipStream_tbPNSt15iterator_traitsISJ_E10value_typeEPNSP_ISK_E10value_typeEPSL_NS1_7vsmem_tEENKUlT_SJ_SK_SL_E_clIPiSE_SF_SF_EESI_SY_SJ_SK_SL_EUlSY_E1_NS1_11comp_targetILNS1_3genE10ELNS1_11target_archE1201ELNS1_3gpuE5ELNS1_3repE0EEENS1_36merge_oddeven_config_static_selectorELNS0_4arch9wavefront6targetE0EEEvSK_.has_dyn_sized_stack, 0
	.set _ZN7rocprim17ROCPRIM_400000_NS6detail17trampoline_kernelINS0_14default_configENS1_38merge_sort_block_merge_config_selectorIiNS0_10empty_typeEEEZZNS1_27merge_sort_block_merge_implIS3_N6thrust23THRUST_200600_302600_NS6detail15normal_iteratorINS9_10device_ptrIiEEEEPS5_m11less_div_10IiEEE10hipError_tT0_T1_T2_jT3_P12ihipStream_tbPNSt15iterator_traitsISJ_E10value_typeEPNSP_ISK_E10value_typeEPSL_NS1_7vsmem_tEENKUlT_SJ_SK_SL_E_clIPiSE_SF_SF_EESI_SY_SJ_SK_SL_EUlSY_E1_NS1_11comp_targetILNS1_3genE10ELNS1_11target_archE1201ELNS1_3gpuE5ELNS1_3repE0EEENS1_36merge_oddeven_config_static_selectorELNS0_4arch9wavefront6targetE0EEEvSK_.has_recursion, 0
	.set _ZN7rocprim17ROCPRIM_400000_NS6detail17trampoline_kernelINS0_14default_configENS1_38merge_sort_block_merge_config_selectorIiNS0_10empty_typeEEEZZNS1_27merge_sort_block_merge_implIS3_N6thrust23THRUST_200600_302600_NS6detail15normal_iteratorINS9_10device_ptrIiEEEEPS5_m11less_div_10IiEEE10hipError_tT0_T1_T2_jT3_P12ihipStream_tbPNSt15iterator_traitsISJ_E10value_typeEPNSP_ISK_E10value_typeEPSL_NS1_7vsmem_tEENKUlT_SJ_SK_SL_E_clIPiSE_SF_SF_EESI_SY_SJ_SK_SL_EUlSY_E1_NS1_11comp_targetILNS1_3genE10ELNS1_11target_archE1201ELNS1_3gpuE5ELNS1_3repE0EEENS1_36merge_oddeven_config_static_selectorELNS0_4arch9wavefront6targetE0EEEvSK_.has_indirect_call, 0
	.section	.AMDGPU.csdata,"",@progbits
; Kernel info:
; codeLenInByte = 0
; TotalNumSgprs: 0
; NumVgprs: 0
; ScratchSize: 0
; MemoryBound: 0
; FloatMode: 240
; IeeeMode: 1
; LDSByteSize: 0 bytes/workgroup (compile time only)
; SGPRBlocks: 0
; VGPRBlocks: 0
; NumSGPRsForWavesPerEU: 1
; NumVGPRsForWavesPerEU: 1
; Occupancy: 16
; WaveLimiterHint : 0
; COMPUTE_PGM_RSRC2:SCRATCH_EN: 0
; COMPUTE_PGM_RSRC2:USER_SGPR: 6
; COMPUTE_PGM_RSRC2:TRAP_HANDLER: 0
; COMPUTE_PGM_RSRC2:TGID_X_EN: 1
; COMPUTE_PGM_RSRC2:TGID_Y_EN: 0
; COMPUTE_PGM_RSRC2:TGID_Z_EN: 0
; COMPUTE_PGM_RSRC2:TIDIG_COMP_CNT: 0
	.section	.text._ZN7rocprim17ROCPRIM_400000_NS6detail17trampoline_kernelINS0_14default_configENS1_38merge_sort_block_merge_config_selectorIiNS0_10empty_typeEEEZZNS1_27merge_sort_block_merge_implIS3_N6thrust23THRUST_200600_302600_NS6detail15normal_iteratorINS9_10device_ptrIiEEEEPS5_m11less_div_10IiEEE10hipError_tT0_T1_T2_jT3_P12ihipStream_tbPNSt15iterator_traitsISJ_E10value_typeEPNSP_ISK_E10value_typeEPSL_NS1_7vsmem_tEENKUlT_SJ_SK_SL_E_clIPiSE_SF_SF_EESI_SY_SJ_SK_SL_EUlSY_E1_NS1_11comp_targetILNS1_3genE5ELNS1_11target_archE942ELNS1_3gpuE9ELNS1_3repE0EEENS1_36merge_oddeven_config_static_selectorELNS0_4arch9wavefront6targetE0EEEvSK_,"axG",@progbits,_ZN7rocprim17ROCPRIM_400000_NS6detail17trampoline_kernelINS0_14default_configENS1_38merge_sort_block_merge_config_selectorIiNS0_10empty_typeEEEZZNS1_27merge_sort_block_merge_implIS3_N6thrust23THRUST_200600_302600_NS6detail15normal_iteratorINS9_10device_ptrIiEEEEPS5_m11less_div_10IiEEE10hipError_tT0_T1_T2_jT3_P12ihipStream_tbPNSt15iterator_traitsISJ_E10value_typeEPNSP_ISK_E10value_typeEPSL_NS1_7vsmem_tEENKUlT_SJ_SK_SL_E_clIPiSE_SF_SF_EESI_SY_SJ_SK_SL_EUlSY_E1_NS1_11comp_targetILNS1_3genE5ELNS1_11target_archE942ELNS1_3gpuE9ELNS1_3repE0EEENS1_36merge_oddeven_config_static_selectorELNS0_4arch9wavefront6targetE0EEEvSK_,comdat
	.protected	_ZN7rocprim17ROCPRIM_400000_NS6detail17trampoline_kernelINS0_14default_configENS1_38merge_sort_block_merge_config_selectorIiNS0_10empty_typeEEEZZNS1_27merge_sort_block_merge_implIS3_N6thrust23THRUST_200600_302600_NS6detail15normal_iteratorINS9_10device_ptrIiEEEEPS5_m11less_div_10IiEEE10hipError_tT0_T1_T2_jT3_P12ihipStream_tbPNSt15iterator_traitsISJ_E10value_typeEPNSP_ISK_E10value_typeEPSL_NS1_7vsmem_tEENKUlT_SJ_SK_SL_E_clIPiSE_SF_SF_EESI_SY_SJ_SK_SL_EUlSY_E1_NS1_11comp_targetILNS1_3genE5ELNS1_11target_archE942ELNS1_3gpuE9ELNS1_3repE0EEENS1_36merge_oddeven_config_static_selectorELNS0_4arch9wavefront6targetE0EEEvSK_ ; -- Begin function _ZN7rocprim17ROCPRIM_400000_NS6detail17trampoline_kernelINS0_14default_configENS1_38merge_sort_block_merge_config_selectorIiNS0_10empty_typeEEEZZNS1_27merge_sort_block_merge_implIS3_N6thrust23THRUST_200600_302600_NS6detail15normal_iteratorINS9_10device_ptrIiEEEEPS5_m11less_div_10IiEEE10hipError_tT0_T1_T2_jT3_P12ihipStream_tbPNSt15iterator_traitsISJ_E10value_typeEPNSP_ISK_E10value_typeEPSL_NS1_7vsmem_tEENKUlT_SJ_SK_SL_E_clIPiSE_SF_SF_EESI_SY_SJ_SK_SL_EUlSY_E1_NS1_11comp_targetILNS1_3genE5ELNS1_11target_archE942ELNS1_3gpuE9ELNS1_3repE0EEENS1_36merge_oddeven_config_static_selectorELNS0_4arch9wavefront6targetE0EEEvSK_
	.globl	_ZN7rocprim17ROCPRIM_400000_NS6detail17trampoline_kernelINS0_14default_configENS1_38merge_sort_block_merge_config_selectorIiNS0_10empty_typeEEEZZNS1_27merge_sort_block_merge_implIS3_N6thrust23THRUST_200600_302600_NS6detail15normal_iteratorINS9_10device_ptrIiEEEEPS5_m11less_div_10IiEEE10hipError_tT0_T1_T2_jT3_P12ihipStream_tbPNSt15iterator_traitsISJ_E10value_typeEPNSP_ISK_E10value_typeEPSL_NS1_7vsmem_tEENKUlT_SJ_SK_SL_E_clIPiSE_SF_SF_EESI_SY_SJ_SK_SL_EUlSY_E1_NS1_11comp_targetILNS1_3genE5ELNS1_11target_archE942ELNS1_3gpuE9ELNS1_3repE0EEENS1_36merge_oddeven_config_static_selectorELNS0_4arch9wavefront6targetE0EEEvSK_
	.p2align	8
	.type	_ZN7rocprim17ROCPRIM_400000_NS6detail17trampoline_kernelINS0_14default_configENS1_38merge_sort_block_merge_config_selectorIiNS0_10empty_typeEEEZZNS1_27merge_sort_block_merge_implIS3_N6thrust23THRUST_200600_302600_NS6detail15normal_iteratorINS9_10device_ptrIiEEEEPS5_m11less_div_10IiEEE10hipError_tT0_T1_T2_jT3_P12ihipStream_tbPNSt15iterator_traitsISJ_E10value_typeEPNSP_ISK_E10value_typeEPSL_NS1_7vsmem_tEENKUlT_SJ_SK_SL_E_clIPiSE_SF_SF_EESI_SY_SJ_SK_SL_EUlSY_E1_NS1_11comp_targetILNS1_3genE5ELNS1_11target_archE942ELNS1_3gpuE9ELNS1_3repE0EEENS1_36merge_oddeven_config_static_selectorELNS0_4arch9wavefront6targetE0EEEvSK_,@function
_ZN7rocprim17ROCPRIM_400000_NS6detail17trampoline_kernelINS0_14default_configENS1_38merge_sort_block_merge_config_selectorIiNS0_10empty_typeEEEZZNS1_27merge_sort_block_merge_implIS3_N6thrust23THRUST_200600_302600_NS6detail15normal_iteratorINS9_10device_ptrIiEEEEPS5_m11less_div_10IiEEE10hipError_tT0_T1_T2_jT3_P12ihipStream_tbPNSt15iterator_traitsISJ_E10value_typeEPNSP_ISK_E10value_typeEPSL_NS1_7vsmem_tEENKUlT_SJ_SK_SL_E_clIPiSE_SF_SF_EESI_SY_SJ_SK_SL_EUlSY_E1_NS1_11comp_targetILNS1_3genE5ELNS1_11target_archE942ELNS1_3gpuE9ELNS1_3repE0EEENS1_36merge_oddeven_config_static_selectorELNS0_4arch9wavefront6targetE0EEEvSK_: ; @_ZN7rocprim17ROCPRIM_400000_NS6detail17trampoline_kernelINS0_14default_configENS1_38merge_sort_block_merge_config_selectorIiNS0_10empty_typeEEEZZNS1_27merge_sort_block_merge_implIS3_N6thrust23THRUST_200600_302600_NS6detail15normal_iteratorINS9_10device_ptrIiEEEEPS5_m11less_div_10IiEEE10hipError_tT0_T1_T2_jT3_P12ihipStream_tbPNSt15iterator_traitsISJ_E10value_typeEPNSP_ISK_E10value_typeEPSL_NS1_7vsmem_tEENKUlT_SJ_SK_SL_E_clIPiSE_SF_SF_EESI_SY_SJ_SK_SL_EUlSY_E1_NS1_11comp_targetILNS1_3genE5ELNS1_11target_archE942ELNS1_3gpuE9ELNS1_3repE0EEENS1_36merge_oddeven_config_static_selectorELNS0_4arch9wavefront6targetE0EEEvSK_
; %bb.0:
	.section	.rodata,"a",@progbits
	.p2align	6, 0x0
	.amdhsa_kernel _ZN7rocprim17ROCPRIM_400000_NS6detail17trampoline_kernelINS0_14default_configENS1_38merge_sort_block_merge_config_selectorIiNS0_10empty_typeEEEZZNS1_27merge_sort_block_merge_implIS3_N6thrust23THRUST_200600_302600_NS6detail15normal_iteratorINS9_10device_ptrIiEEEEPS5_m11less_div_10IiEEE10hipError_tT0_T1_T2_jT3_P12ihipStream_tbPNSt15iterator_traitsISJ_E10value_typeEPNSP_ISK_E10value_typeEPSL_NS1_7vsmem_tEENKUlT_SJ_SK_SL_E_clIPiSE_SF_SF_EESI_SY_SJ_SK_SL_EUlSY_E1_NS1_11comp_targetILNS1_3genE5ELNS1_11target_archE942ELNS1_3gpuE9ELNS1_3repE0EEENS1_36merge_oddeven_config_static_selectorELNS0_4arch9wavefront6targetE0EEEvSK_
		.amdhsa_group_segment_fixed_size 0
		.amdhsa_private_segment_fixed_size 0
		.amdhsa_kernarg_size 56
		.amdhsa_user_sgpr_count 6
		.amdhsa_user_sgpr_private_segment_buffer 1
		.amdhsa_user_sgpr_dispatch_ptr 0
		.amdhsa_user_sgpr_queue_ptr 0
		.amdhsa_user_sgpr_kernarg_segment_ptr 1
		.amdhsa_user_sgpr_dispatch_id 0
		.amdhsa_user_sgpr_flat_scratch_init 0
		.amdhsa_user_sgpr_private_segment_size 0
		.amdhsa_wavefront_size32 1
		.amdhsa_uses_dynamic_stack 0
		.amdhsa_system_sgpr_private_segment_wavefront_offset 0
		.amdhsa_system_sgpr_workgroup_id_x 1
		.amdhsa_system_sgpr_workgroup_id_y 0
		.amdhsa_system_sgpr_workgroup_id_z 0
		.amdhsa_system_sgpr_workgroup_info 0
		.amdhsa_system_vgpr_workitem_id 0
		.amdhsa_next_free_vgpr 1
		.amdhsa_next_free_sgpr 1
		.amdhsa_reserve_vcc 0
		.amdhsa_reserve_flat_scratch 0
		.amdhsa_float_round_mode_32 0
		.amdhsa_float_round_mode_16_64 0
		.amdhsa_float_denorm_mode_32 3
		.amdhsa_float_denorm_mode_16_64 3
		.amdhsa_dx10_clamp 1
		.amdhsa_ieee_mode 1
		.amdhsa_fp16_overflow 0
		.amdhsa_workgroup_processor_mode 1
		.amdhsa_memory_ordered 1
		.amdhsa_forward_progress 1
		.amdhsa_shared_vgpr_count 0
		.amdhsa_exception_fp_ieee_invalid_op 0
		.amdhsa_exception_fp_denorm_src 0
		.amdhsa_exception_fp_ieee_div_zero 0
		.amdhsa_exception_fp_ieee_overflow 0
		.amdhsa_exception_fp_ieee_underflow 0
		.amdhsa_exception_fp_ieee_inexact 0
		.amdhsa_exception_int_div_zero 0
	.end_amdhsa_kernel
	.section	.text._ZN7rocprim17ROCPRIM_400000_NS6detail17trampoline_kernelINS0_14default_configENS1_38merge_sort_block_merge_config_selectorIiNS0_10empty_typeEEEZZNS1_27merge_sort_block_merge_implIS3_N6thrust23THRUST_200600_302600_NS6detail15normal_iteratorINS9_10device_ptrIiEEEEPS5_m11less_div_10IiEEE10hipError_tT0_T1_T2_jT3_P12ihipStream_tbPNSt15iterator_traitsISJ_E10value_typeEPNSP_ISK_E10value_typeEPSL_NS1_7vsmem_tEENKUlT_SJ_SK_SL_E_clIPiSE_SF_SF_EESI_SY_SJ_SK_SL_EUlSY_E1_NS1_11comp_targetILNS1_3genE5ELNS1_11target_archE942ELNS1_3gpuE9ELNS1_3repE0EEENS1_36merge_oddeven_config_static_selectorELNS0_4arch9wavefront6targetE0EEEvSK_,"axG",@progbits,_ZN7rocprim17ROCPRIM_400000_NS6detail17trampoline_kernelINS0_14default_configENS1_38merge_sort_block_merge_config_selectorIiNS0_10empty_typeEEEZZNS1_27merge_sort_block_merge_implIS3_N6thrust23THRUST_200600_302600_NS6detail15normal_iteratorINS9_10device_ptrIiEEEEPS5_m11less_div_10IiEEE10hipError_tT0_T1_T2_jT3_P12ihipStream_tbPNSt15iterator_traitsISJ_E10value_typeEPNSP_ISK_E10value_typeEPSL_NS1_7vsmem_tEENKUlT_SJ_SK_SL_E_clIPiSE_SF_SF_EESI_SY_SJ_SK_SL_EUlSY_E1_NS1_11comp_targetILNS1_3genE5ELNS1_11target_archE942ELNS1_3gpuE9ELNS1_3repE0EEENS1_36merge_oddeven_config_static_selectorELNS0_4arch9wavefront6targetE0EEEvSK_,comdat
.Lfunc_end447:
	.size	_ZN7rocprim17ROCPRIM_400000_NS6detail17trampoline_kernelINS0_14default_configENS1_38merge_sort_block_merge_config_selectorIiNS0_10empty_typeEEEZZNS1_27merge_sort_block_merge_implIS3_N6thrust23THRUST_200600_302600_NS6detail15normal_iteratorINS9_10device_ptrIiEEEEPS5_m11less_div_10IiEEE10hipError_tT0_T1_T2_jT3_P12ihipStream_tbPNSt15iterator_traitsISJ_E10value_typeEPNSP_ISK_E10value_typeEPSL_NS1_7vsmem_tEENKUlT_SJ_SK_SL_E_clIPiSE_SF_SF_EESI_SY_SJ_SK_SL_EUlSY_E1_NS1_11comp_targetILNS1_3genE5ELNS1_11target_archE942ELNS1_3gpuE9ELNS1_3repE0EEENS1_36merge_oddeven_config_static_selectorELNS0_4arch9wavefront6targetE0EEEvSK_, .Lfunc_end447-_ZN7rocprim17ROCPRIM_400000_NS6detail17trampoline_kernelINS0_14default_configENS1_38merge_sort_block_merge_config_selectorIiNS0_10empty_typeEEEZZNS1_27merge_sort_block_merge_implIS3_N6thrust23THRUST_200600_302600_NS6detail15normal_iteratorINS9_10device_ptrIiEEEEPS5_m11less_div_10IiEEE10hipError_tT0_T1_T2_jT3_P12ihipStream_tbPNSt15iterator_traitsISJ_E10value_typeEPNSP_ISK_E10value_typeEPSL_NS1_7vsmem_tEENKUlT_SJ_SK_SL_E_clIPiSE_SF_SF_EESI_SY_SJ_SK_SL_EUlSY_E1_NS1_11comp_targetILNS1_3genE5ELNS1_11target_archE942ELNS1_3gpuE9ELNS1_3repE0EEENS1_36merge_oddeven_config_static_selectorELNS0_4arch9wavefront6targetE0EEEvSK_
                                        ; -- End function
	.set _ZN7rocprim17ROCPRIM_400000_NS6detail17trampoline_kernelINS0_14default_configENS1_38merge_sort_block_merge_config_selectorIiNS0_10empty_typeEEEZZNS1_27merge_sort_block_merge_implIS3_N6thrust23THRUST_200600_302600_NS6detail15normal_iteratorINS9_10device_ptrIiEEEEPS5_m11less_div_10IiEEE10hipError_tT0_T1_T2_jT3_P12ihipStream_tbPNSt15iterator_traitsISJ_E10value_typeEPNSP_ISK_E10value_typeEPSL_NS1_7vsmem_tEENKUlT_SJ_SK_SL_E_clIPiSE_SF_SF_EESI_SY_SJ_SK_SL_EUlSY_E1_NS1_11comp_targetILNS1_3genE5ELNS1_11target_archE942ELNS1_3gpuE9ELNS1_3repE0EEENS1_36merge_oddeven_config_static_selectorELNS0_4arch9wavefront6targetE0EEEvSK_.num_vgpr, 0
	.set _ZN7rocprim17ROCPRIM_400000_NS6detail17trampoline_kernelINS0_14default_configENS1_38merge_sort_block_merge_config_selectorIiNS0_10empty_typeEEEZZNS1_27merge_sort_block_merge_implIS3_N6thrust23THRUST_200600_302600_NS6detail15normal_iteratorINS9_10device_ptrIiEEEEPS5_m11less_div_10IiEEE10hipError_tT0_T1_T2_jT3_P12ihipStream_tbPNSt15iterator_traitsISJ_E10value_typeEPNSP_ISK_E10value_typeEPSL_NS1_7vsmem_tEENKUlT_SJ_SK_SL_E_clIPiSE_SF_SF_EESI_SY_SJ_SK_SL_EUlSY_E1_NS1_11comp_targetILNS1_3genE5ELNS1_11target_archE942ELNS1_3gpuE9ELNS1_3repE0EEENS1_36merge_oddeven_config_static_selectorELNS0_4arch9wavefront6targetE0EEEvSK_.num_agpr, 0
	.set _ZN7rocprim17ROCPRIM_400000_NS6detail17trampoline_kernelINS0_14default_configENS1_38merge_sort_block_merge_config_selectorIiNS0_10empty_typeEEEZZNS1_27merge_sort_block_merge_implIS3_N6thrust23THRUST_200600_302600_NS6detail15normal_iteratorINS9_10device_ptrIiEEEEPS5_m11less_div_10IiEEE10hipError_tT0_T1_T2_jT3_P12ihipStream_tbPNSt15iterator_traitsISJ_E10value_typeEPNSP_ISK_E10value_typeEPSL_NS1_7vsmem_tEENKUlT_SJ_SK_SL_E_clIPiSE_SF_SF_EESI_SY_SJ_SK_SL_EUlSY_E1_NS1_11comp_targetILNS1_3genE5ELNS1_11target_archE942ELNS1_3gpuE9ELNS1_3repE0EEENS1_36merge_oddeven_config_static_selectorELNS0_4arch9wavefront6targetE0EEEvSK_.numbered_sgpr, 0
	.set _ZN7rocprim17ROCPRIM_400000_NS6detail17trampoline_kernelINS0_14default_configENS1_38merge_sort_block_merge_config_selectorIiNS0_10empty_typeEEEZZNS1_27merge_sort_block_merge_implIS3_N6thrust23THRUST_200600_302600_NS6detail15normal_iteratorINS9_10device_ptrIiEEEEPS5_m11less_div_10IiEEE10hipError_tT0_T1_T2_jT3_P12ihipStream_tbPNSt15iterator_traitsISJ_E10value_typeEPNSP_ISK_E10value_typeEPSL_NS1_7vsmem_tEENKUlT_SJ_SK_SL_E_clIPiSE_SF_SF_EESI_SY_SJ_SK_SL_EUlSY_E1_NS1_11comp_targetILNS1_3genE5ELNS1_11target_archE942ELNS1_3gpuE9ELNS1_3repE0EEENS1_36merge_oddeven_config_static_selectorELNS0_4arch9wavefront6targetE0EEEvSK_.num_named_barrier, 0
	.set _ZN7rocprim17ROCPRIM_400000_NS6detail17trampoline_kernelINS0_14default_configENS1_38merge_sort_block_merge_config_selectorIiNS0_10empty_typeEEEZZNS1_27merge_sort_block_merge_implIS3_N6thrust23THRUST_200600_302600_NS6detail15normal_iteratorINS9_10device_ptrIiEEEEPS5_m11less_div_10IiEEE10hipError_tT0_T1_T2_jT3_P12ihipStream_tbPNSt15iterator_traitsISJ_E10value_typeEPNSP_ISK_E10value_typeEPSL_NS1_7vsmem_tEENKUlT_SJ_SK_SL_E_clIPiSE_SF_SF_EESI_SY_SJ_SK_SL_EUlSY_E1_NS1_11comp_targetILNS1_3genE5ELNS1_11target_archE942ELNS1_3gpuE9ELNS1_3repE0EEENS1_36merge_oddeven_config_static_selectorELNS0_4arch9wavefront6targetE0EEEvSK_.private_seg_size, 0
	.set _ZN7rocprim17ROCPRIM_400000_NS6detail17trampoline_kernelINS0_14default_configENS1_38merge_sort_block_merge_config_selectorIiNS0_10empty_typeEEEZZNS1_27merge_sort_block_merge_implIS3_N6thrust23THRUST_200600_302600_NS6detail15normal_iteratorINS9_10device_ptrIiEEEEPS5_m11less_div_10IiEEE10hipError_tT0_T1_T2_jT3_P12ihipStream_tbPNSt15iterator_traitsISJ_E10value_typeEPNSP_ISK_E10value_typeEPSL_NS1_7vsmem_tEENKUlT_SJ_SK_SL_E_clIPiSE_SF_SF_EESI_SY_SJ_SK_SL_EUlSY_E1_NS1_11comp_targetILNS1_3genE5ELNS1_11target_archE942ELNS1_3gpuE9ELNS1_3repE0EEENS1_36merge_oddeven_config_static_selectorELNS0_4arch9wavefront6targetE0EEEvSK_.uses_vcc, 0
	.set _ZN7rocprim17ROCPRIM_400000_NS6detail17trampoline_kernelINS0_14default_configENS1_38merge_sort_block_merge_config_selectorIiNS0_10empty_typeEEEZZNS1_27merge_sort_block_merge_implIS3_N6thrust23THRUST_200600_302600_NS6detail15normal_iteratorINS9_10device_ptrIiEEEEPS5_m11less_div_10IiEEE10hipError_tT0_T1_T2_jT3_P12ihipStream_tbPNSt15iterator_traitsISJ_E10value_typeEPNSP_ISK_E10value_typeEPSL_NS1_7vsmem_tEENKUlT_SJ_SK_SL_E_clIPiSE_SF_SF_EESI_SY_SJ_SK_SL_EUlSY_E1_NS1_11comp_targetILNS1_3genE5ELNS1_11target_archE942ELNS1_3gpuE9ELNS1_3repE0EEENS1_36merge_oddeven_config_static_selectorELNS0_4arch9wavefront6targetE0EEEvSK_.uses_flat_scratch, 0
	.set _ZN7rocprim17ROCPRIM_400000_NS6detail17trampoline_kernelINS0_14default_configENS1_38merge_sort_block_merge_config_selectorIiNS0_10empty_typeEEEZZNS1_27merge_sort_block_merge_implIS3_N6thrust23THRUST_200600_302600_NS6detail15normal_iteratorINS9_10device_ptrIiEEEEPS5_m11less_div_10IiEEE10hipError_tT0_T1_T2_jT3_P12ihipStream_tbPNSt15iterator_traitsISJ_E10value_typeEPNSP_ISK_E10value_typeEPSL_NS1_7vsmem_tEENKUlT_SJ_SK_SL_E_clIPiSE_SF_SF_EESI_SY_SJ_SK_SL_EUlSY_E1_NS1_11comp_targetILNS1_3genE5ELNS1_11target_archE942ELNS1_3gpuE9ELNS1_3repE0EEENS1_36merge_oddeven_config_static_selectorELNS0_4arch9wavefront6targetE0EEEvSK_.has_dyn_sized_stack, 0
	.set _ZN7rocprim17ROCPRIM_400000_NS6detail17trampoline_kernelINS0_14default_configENS1_38merge_sort_block_merge_config_selectorIiNS0_10empty_typeEEEZZNS1_27merge_sort_block_merge_implIS3_N6thrust23THRUST_200600_302600_NS6detail15normal_iteratorINS9_10device_ptrIiEEEEPS5_m11less_div_10IiEEE10hipError_tT0_T1_T2_jT3_P12ihipStream_tbPNSt15iterator_traitsISJ_E10value_typeEPNSP_ISK_E10value_typeEPSL_NS1_7vsmem_tEENKUlT_SJ_SK_SL_E_clIPiSE_SF_SF_EESI_SY_SJ_SK_SL_EUlSY_E1_NS1_11comp_targetILNS1_3genE5ELNS1_11target_archE942ELNS1_3gpuE9ELNS1_3repE0EEENS1_36merge_oddeven_config_static_selectorELNS0_4arch9wavefront6targetE0EEEvSK_.has_recursion, 0
	.set _ZN7rocprim17ROCPRIM_400000_NS6detail17trampoline_kernelINS0_14default_configENS1_38merge_sort_block_merge_config_selectorIiNS0_10empty_typeEEEZZNS1_27merge_sort_block_merge_implIS3_N6thrust23THRUST_200600_302600_NS6detail15normal_iteratorINS9_10device_ptrIiEEEEPS5_m11less_div_10IiEEE10hipError_tT0_T1_T2_jT3_P12ihipStream_tbPNSt15iterator_traitsISJ_E10value_typeEPNSP_ISK_E10value_typeEPSL_NS1_7vsmem_tEENKUlT_SJ_SK_SL_E_clIPiSE_SF_SF_EESI_SY_SJ_SK_SL_EUlSY_E1_NS1_11comp_targetILNS1_3genE5ELNS1_11target_archE942ELNS1_3gpuE9ELNS1_3repE0EEENS1_36merge_oddeven_config_static_selectorELNS0_4arch9wavefront6targetE0EEEvSK_.has_indirect_call, 0
	.section	.AMDGPU.csdata,"",@progbits
; Kernel info:
; codeLenInByte = 0
; TotalNumSgprs: 0
; NumVgprs: 0
; ScratchSize: 0
; MemoryBound: 0
; FloatMode: 240
; IeeeMode: 1
; LDSByteSize: 0 bytes/workgroup (compile time only)
; SGPRBlocks: 0
; VGPRBlocks: 0
; NumSGPRsForWavesPerEU: 1
; NumVGPRsForWavesPerEU: 1
; Occupancy: 16
; WaveLimiterHint : 0
; COMPUTE_PGM_RSRC2:SCRATCH_EN: 0
; COMPUTE_PGM_RSRC2:USER_SGPR: 6
; COMPUTE_PGM_RSRC2:TRAP_HANDLER: 0
; COMPUTE_PGM_RSRC2:TGID_X_EN: 1
; COMPUTE_PGM_RSRC2:TGID_Y_EN: 0
; COMPUTE_PGM_RSRC2:TGID_Z_EN: 0
; COMPUTE_PGM_RSRC2:TIDIG_COMP_CNT: 0
	.section	.text._ZN7rocprim17ROCPRIM_400000_NS6detail17trampoline_kernelINS0_14default_configENS1_38merge_sort_block_merge_config_selectorIiNS0_10empty_typeEEEZZNS1_27merge_sort_block_merge_implIS3_N6thrust23THRUST_200600_302600_NS6detail15normal_iteratorINS9_10device_ptrIiEEEEPS5_m11less_div_10IiEEE10hipError_tT0_T1_T2_jT3_P12ihipStream_tbPNSt15iterator_traitsISJ_E10value_typeEPNSP_ISK_E10value_typeEPSL_NS1_7vsmem_tEENKUlT_SJ_SK_SL_E_clIPiSE_SF_SF_EESI_SY_SJ_SK_SL_EUlSY_E1_NS1_11comp_targetILNS1_3genE4ELNS1_11target_archE910ELNS1_3gpuE8ELNS1_3repE0EEENS1_36merge_oddeven_config_static_selectorELNS0_4arch9wavefront6targetE0EEEvSK_,"axG",@progbits,_ZN7rocprim17ROCPRIM_400000_NS6detail17trampoline_kernelINS0_14default_configENS1_38merge_sort_block_merge_config_selectorIiNS0_10empty_typeEEEZZNS1_27merge_sort_block_merge_implIS3_N6thrust23THRUST_200600_302600_NS6detail15normal_iteratorINS9_10device_ptrIiEEEEPS5_m11less_div_10IiEEE10hipError_tT0_T1_T2_jT3_P12ihipStream_tbPNSt15iterator_traitsISJ_E10value_typeEPNSP_ISK_E10value_typeEPSL_NS1_7vsmem_tEENKUlT_SJ_SK_SL_E_clIPiSE_SF_SF_EESI_SY_SJ_SK_SL_EUlSY_E1_NS1_11comp_targetILNS1_3genE4ELNS1_11target_archE910ELNS1_3gpuE8ELNS1_3repE0EEENS1_36merge_oddeven_config_static_selectorELNS0_4arch9wavefront6targetE0EEEvSK_,comdat
	.protected	_ZN7rocprim17ROCPRIM_400000_NS6detail17trampoline_kernelINS0_14default_configENS1_38merge_sort_block_merge_config_selectorIiNS0_10empty_typeEEEZZNS1_27merge_sort_block_merge_implIS3_N6thrust23THRUST_200600_302600_NS6detail15normal_iteratorINS9_10device_ptrIiEEEEPS5_m11less_div_10IiEEE10hipError_tT0_T1_T2_jT3_P12ihipStream_tbPNSt15iterator_traitsISJ_E10value_typeEPNSP_ISK_E10value_typeEPSL_NS1_7vsmem_tEENKUlT_SJ_SK_SL_E_clIPiSE_SF_SF_EESI_SY_SJ_SK_SL_EUlSY_E1_NS1_11comp_targetILNS1_3genE4ELNS1_11target_archE910ELNS1_3gpuE8ELNS1_3repE0EEENS1_36merge_oddeven_config_static_selectorELNS0_4arch9wavefront6targetE0EEEvSK_ ; -- Begin function _ZN7rocprim17ROCPRIM_400000_NS6detail17trampoline_kernelINS0_14default_configENS1_38merge_sort_block_merge_config_selectorIiNS0_10empty_typeEEEZZNS1_27merge_sort_block_merge_implIS3_N6thrust23THRUST_200600_302600_NS6detail15normal_iteratorINS9_10device_ptrIiEEEEPS5_m11less_div_10IiEEE10hipError_tT0_T1_T2_jT3_P12ihipStream_tbPNSt15iterator_traitsISJ_E10value_typeEPNSP_ISK_E10value_typeEPSL_NS1_7vsmem_tEENKUlT_SJ_SK_SL_E_clIPiSE_SF_SF_EESI_SY_SJ_SK_SL_EUlSY_E1_NS1_11comp_targetILNS1_3genE4ELNS1_11target_archE910ELNS1_3gpuE8ELNS1_3repE0EEENS1_36merge_oddeven_config_static_selectorELNS0_4arch9wavefront6targetE0EEEvSK_
	.globl	_ZN7rocprim17ROCPRIM_400000_NS6detail17trampoline_kernelINS0_14default_configENS1_38merge_sort_block_merge_config_selectorIiNS0_10empty_typeEEEZZNS1_27merge_sort_block_merge_implIS3_N6thrust23THRUST_200600_302600_NS6detail15normal_iteratorINS9_10device_ptrIiEEEEPS5_m11less_div_10IiEEE10hipError_tT0_T1_T2_jT3_P12ihipStream_tbPNSt15iterator_traitsISJ_E10value_typeEPNSP_ISK_E10value_typeEPSL_NS1_7vsmem_tEENKUlT_SJ_SK_SL_E_clIPiSE_SF_SF_EESI_SY_SJ_SK_SL_EUlSY_E1_NS1_11comp_targetILNS1_3genE4ELNS1_11target_archE910ELNS1_3gpuE8ELNS1_3repE0EEENS1_36merge_oddeven_config_static_selectorELNS0_4arch9wavefront6targetE0EEEvSK_
	.p2align	8
	.type	_ZN7rocprim17ROCPRIM_400000_NS6detail17trampoline_kernelINS0_14default_configENS1_38merge_sort_block_merge_config_selectorIiNS0_10empty_typeEEEZZNS1_27merge_sort_block_merge_implIS3_N6thrust23THRUST_200600_302600_NS6detail15normal_iteratorINS9_10device_ptrIiEEEEPS5_m11less_div_10IiEEE10hipError_tT0_T1_T2_jT3_P12ihipStream_tbPNSt15iterator_traitsISJ_E10value_typeEPNSP_ISK_E10value_typeEPSL_NS1_7vsmem_tEENKUlT_SJ_SK_SL_E_clIPiSE_SF_SF_EESI_SY_SJ_SK_SL_EUlSY_E1_NS1_11comp_targetILNS1_3genE4ELNS1_11target_archE910ELNS1_3gpuE8ELNS1_3repE0EEENS1_36merge_oddeven_config_static_selectorELNS0_4arch9wavefront6targetE0EEEvSK_,@function
_ZN7rocprim17ROCPRIM_400000_NS6detail17trampoline_kernelINS0_14default_configENS1_38merge_sort_block_merge_config_selectorIiNS0_10empty_typeEEEZZNS1_27merge_sort_block_merge_implIS3_N6thrust23THRUST_200600_302600_NS6detail15normal_iteratorINS9_10device_ptrIiEEEEPS5_m11less_div_10IiEEE10hipError_tT0_T1_T2_jT3_P12ihipStream_tbPNSt15iterator_traitsISJ_E10value_typeEPNSP_ISK_E10value_typeEPSL_NS1_7vsmem_tEENKUlT_SJ_SK_SL_E_clIPiSE_SF_SF_EESI_SY_SJ_SK_SL_EUlSY_E1_NS1_11comp_targetILNS1_3genE4ELNS1_11target_archE910ELNS1_3gpuE8ELNS1_3repE0EEENS1_36merge_oddeven_config_static_selectorELNS0_4arch9wavefront6targetE0EEEvSK_: ; @_ZN7rocprim17ROCPRIM_400000_NS6detail17trampoline_kernelINS0_14default_configENS1_38merge_sort_block_merge_config_selectorIiNS0_10empty_typeEEEZZNS1_27merge_sort_block_merge_implIS3_N6thrust23THRUST_200600_302600_NS6detail15normal_iteratorINS9_10device_ptrIiEEEEPS5_m11less_div_10IiEEE10hipError_tT0_T1_T2_jT3_P12ihipStream_tbPNSt15iterator_traitsISJ_E10value_typeEPNSP_ISK_E10value_typeEPSL_NS1_7vsmem_tEENKUlT_SJ_SK_SL_E_clIPiSE_SF_SF_EESI_SY_SJ_SK_SL_EUlSY_E1_NS1_11comp_targetILNS1_3genE4ELNS1_11target_archE910ELNS1_3gpuE8ELNS1_3repE0EEENS1_36merge_oddeven_config_static_selectorELNS0_4arch9wavefront6targetE0EEEvSK_
; %bb.0:
	.section	.rodata,"a",@progbits
	.p2align	6, 0x0
	.amdhsa_kernel _ZN7rocprim17ROCPRIM_400000_NS6detail17trampoline_kernelINS0_14default_configENS1_38merge_sort_block_merge_config_selectorIiNS0_10empty_typeEEEZZNS1_27merge_sort_block_merge_implIS3_N6thrust23THRUST_200600_302600_NS6detail15normal_iteratorINS9_10device_ptrIiEEEEPS5_m11less_div_10IiEEE10hipError_tT0_T1_T2_jT3_P12ihipStream_tbPNSt15iterator_traitsISJ_E10value_typeEPNSP_ISK_E10value_typeEPSL_NS1_7vsmem_tEENKUlT_SJ_SK_SL_E_clIPiSE_SF_SF_EESI_SY_SJ_SK_SL_EUlSY_E1_NS1_11comp_targetILNS1_3genE4ELNS1_11target_archE910ELNS1_3gpuE8ELNS1_3repE0EEENS1_36merge_oddeven_config_static_selectorELNS0_4arch9wavefront6targetE0EEEvSK_
		.amdhsa_group_segment_fixed_size 0
		.amdhsa_private_segment_fixed_size 0
		.amdhsa_kernarg_size 56
		.amdhsa_user_sgpr_count 6
		.amdhsa_user_sgpr_private_segment_buffer 1
		.amdhsa_user_sgpr_dispatch_ptr 0
		.amdhsa_user_sgpr_queue_ptr 0
		.amdhsa_user_sgpr_kernarg_segment_ptr 1
		.amdhsa_user_sgpr_dispatch_id 0
		.amdhsa_user_sgpr_flat_scratch_init 0
		.amdhsa_user_sgpr_private_segment_size 0
		.amdhsa_wavefront_size32 1
		.amdhsa_uses_dynamic_stack 0
		.amdhsa_system_sgpr_private_segment_wavefront_offset 0
		.amdhsa_system_sgpr_workgroup_id_x 1
		.amdhsa_system_sgpr_workgroup_id_y 0
		.amdhsa_system_sgpr_workgroup_id_z 0
		.amdhsa_system_sgpr_workgroup_info 0
		.amdhsa_system_vgpr_workitem_id 0
		.amdhsa_next_free_vgpr 1
		.amdhsa_next_free_sgpr 1
		.amdhsa_reserve_vcc 0
		.amdhsa_reserve_flat_scratch 0
		.amdhsa_float_round_mode_32 0
		.amdhsa_float_round_mode_16_64 0
		.amdhsa_float_denorm_mode_32 3
		.amdhsa_float_denorm_mode_16_64 3
		.amdhsa_dx10_clamp 1
		.amdhsa_ieee_mode 1
		.amdhsa_fp16_overflow 0
		.amdhsa_workgroup_processor_mode 1
		.amdhsa_memory_ordered 1
		.amdhsa_forward_progress 1
		.amdhsa_shared_vgpr_count 0
		.amdhsa_exception_fp_ieee_invalid_op 0
		.amdhsa_exception_fp_denorm_src 0
		.amdhsa_exception_fp_ieee_div_zero 0
		.amdhsa_exception_fp_ieee_overflow 0
		.amdhsa_exception_fp_ieee_underflow 0
		.amdhsa_exception_fp_ieee_inexact 0
		.amdhsa_exception_int_div_zero 0
	.end_amdhsa_kernel
	.section	.text._ZN7rocprim17ROCPRIM_400000_NS6detail17trampoline_kernelINS0_14default_configENS1_38merge_sort_block_merge_config_selectorIiNS0_10empty_typeEEEZZNS1_27merge_sort_block_merge_implIS3_N6thrust23THRUST_200600_302600_NS6detail15normal_iteratorINS9_10device_ptrIiEEEEPS5_m11less_div_10IiEEE10hipError_tT0_T1_T2_jT3_P12ihipStream_tbPNSt15iterator_traitsISJ_E10value_typeEPNSP_ISK_E10value_typeEPSL_NS1_7vsmem_tEENKUlT_SJ_SK_SL_E_clIPiSE_SF_SF_EESI_SY_SJ_SK_SL_EUlSY_E1_NS1_11comp_targetILNS1_3genE4ELNS1_11target_archE910ELNS1_3gpuE8ELNS1_3repE0EEENS1_36merge_oddeven_config_static_selectorELNS0_4arch9wavefront6targetE0EEEvSK_,"axG",@progbits,_ZN7rocprim17ROCPRIM_400000_NS6detail17trampoline_kernelINS0_14default_configENS1_38merge_sort_block_merge_config_selectorIiNS0_10empty_typeEEEZZNS1_27merge_sort_block_merge_implIS3_N6thrust23THRUST_200600_302600_NS6detail15normal_iteratorINS9_10device_ptrIiEEEEPS5_m11less_div_10IiEEE10hipError_tT0_T1_T2_jT3_P12ihipStream_tbPNSt15iterator_traitsISJ_E10value_typeEPNSP_ISK_E10value_typeEPSL_NS1_7vsmem_tEENKUlT_SJ_SK_SL_E_clIPiSE_SF_SF_EESI_SY_SJ_SK_SL_EUlSY_E1_NS1_11comp_targetILNS1_3genE4ELNS1_11target_archE910ELNS1_3gpuE8ELNS1_3repE0EEENS1_36merge_oddeven_config_static_selectorELNS0_4arch9wavefront6targetE0EEEvSK_,comdat
.Lfunc_end448:
	.size	_ZN7rocprim17ROCPRIM_400000_NS6detail17trampoline_kernelINS0_14default_configENS1_38merge_sort_block_merge_config_selectorIiNS0_10empty_typeEEEZZNS1_27merge_sort_block_merge_implIS3_N6thrust23THRUST_200600_302600_NS6detail15normal_iteratorINS9_10device_ptrIiEEEEPS5_m11less_div_10IiEEE10hipError_tT0_T1_T2_jT3_P12ihipStream_tbPNSt15iterator_traitsISJ_E10value_typeEPNSP_ISK_E10value_typeEPSL_NS1_7vsmem_tEENKUlT_SJ_SK_SL_E_clIPiSE_SF_SF_EESI_SY_SJ_SK_SL_EUlSY_E1_NS1_11comp_targetILNS1_3genE4ELNS1_11target_archE910ELNS1_3gpuE8ELNS1_3repE0EEENS1_36merge_oddeven_config_static_selectorELNS0_4arch9wavefront6targetE0EEEvSK_, .Lfunc_end448-_ZN7rocprim17ROCPRIM_400000_NS6detail17trampoline_kernelINS0_14default_configENS1_38merge_sort_block_merge_config_selectorIiNS0_10empty_typeEEEZZNS1_27merge_sort_block_merge_implIS3_N6thrust23THRUST_200600_302600_NS6detail15normal_iteratorINS9_10device_ptrIiEEEEPS5_m11less_div_10IiEEE10hipError_tT0_T1_T2_jT3_P12ihipStream_tbPNSt15iterator_traitsISJ_E10value_typeEPNSP_ISK_E10value_typeEPSL_NS1_7vsmem_tEENKUlT_SJ_SK_SL_E_clIPiSE_SF_SF_EESI_SY_SJ_SK_SL_EUlSY_E1_NS1_11comp_targetILNS1_3genE4ELNS1_11target_archE910ELNS1_3gpuE8ELNS1_3repE0EEENS1_36merge_oddeven_config_static_selectorELNS0_4arch9wavefront6targetE0EEEvSK_
                                        ; -- End function
	.set _ZN7rocprim17ROCPRIM_400000_NS6detail17trampoline_kernelINS0_14default_configENS1_38merge_sort_block_merge_config_selectorIiNS0_10empty_typeEEEZZNS1_27merge_sort_block_merge_implIS3_N6thrust23THRUST_200600_302600_NS6detail15normal_iteratorINS9_10device_ptrIiEEEEPS5_m11less_div_10IiEEE10hipError_tT0_T1_T2_jT3_P12ihipStream_tbPNSt15iterator_traitsISJ_E10value_typeEPNSP_ISK_E10value_typeEPSL_NS1_7vsmem_tEENKUlT_SJ_SK_SL_E_clIPiSE_SF_SF_EESI_SY_SJ_SK_SL_EUlSY_E1_NS1_11comp_targetILNS1_3genE4ELNS1_11target_archE910ELNS1_3gpuE8ELNS1_3repE0EEENS1_36merge_oddeven_config_static_selectorELNS0_4arch9wavefront6targetE0EEEvSK_.num_vgpr, 0
	.set _ZN7rocprim17ROCPRIM_400000_NS6detail17trampoline_kernelINS0_14default_configENS1_38merge_sort_block_merge_config_selectorIiNS0_10empty_typeEEEZZNS1_27merge_sort_block_merge_implIS3_N6thrust23THRUST_200600_302600_NS6detail15normal_iteratorINS9_10device_ptrIiEEEEPS5_m11less_div_10IiEEE10hipError_tT0_T1_T2_jT3_P12ihipStream_tbPNSt15iterator_traitsISJ_E10value_typeEPNSP_ISK_E10value_typeEPSL_NS1_7vsmem_tEENKUlT_SJ_SK_SL_E_clIPiSE_SF_SF_EESI_SY_SJ_SK_SL_EUlSY_E1_NS1_11comp_targetILNS1_3genE4ELNS1_11target_archE910ELNS1_3gpuE8ELNS1_3repE0EEENS1_36merge_oddeven_config_static_selectorELNS0_4arch9wavefront6targetE0EEEvSK_.num_agpr, 0
	.set _ZN7rocprim17ROCPRIM_400000_NS6detail17trampoline_kernelINS0_14default_configENS1_38merge_sort_block_merge_config_selectorIiNS0_10empty_typeEEEZZNS1_27merge_sort_block_merge_implIS3_N6thrust23THRUST_200600_302600_NS6detail15normal_iteratorINS9_10device_ptrIiEEEEPS5_m11less_div_10IiEEE10hipError_tT0_T1_T2_jT3_P12ihipStream_tbPNSt15iterator_traitsISJ_E10value_typeEPNSP_ISK_E10value_typeEPSL_NS1_7vsmem_tEENKUlT_SJ_SK_SL_E_clIPiSE_SF_SF_EESI_SY_SJ_SK_SL_EUlSY_E1_NS1_11comp_targetILNS1_3genE4ELNS1_11target_archE910ELNS1_3gpuE8ELNS1_3repE0EEENS1_36merge_oddeven_config_static_selectorELNS0_4arch9wavefront6targetE0EEEvSK_.numbered_sgpr, 0
	.set _ZN7rocprim17ROCPRIM_400000_NS6detail17trampoline_kernelINS0_14default_configENS1_38merge_sort_block_merge_config_selectorIiNS0_10empty_typeEEEZZNS1_27merge_sort_block_merge_implIS3_N6thrust23THRUST_200600_302600_NS6detail15normal_iteratorINS9_10device_ptrIiEEEEPS5_m11less_div_10IiEEE10hipError_tT0_T1_T2_jT3_P12ihipStream_tbPNSt15iterator_traitsISJ_E10value_typeEPNSP_ISK_E10value_typeEPSL_NS1_7vsmem_tEENKUlT_SJ_SK_SL_E_clIPiSE_SF_SF_EESI_SY_SJ_SK_SL_EUlSY_E1_NS1_11comp_targetILNS1_3genE4ELNS1_11target_archE910ELNS1_3gpuE8ELNS1_3repE0EEENS1_36merge_oddeven_config_static_selectorELNS0_4arch9wavefront6targetE0EEEvSK_.num_named_barrier, 0
	.set _ZN7rocprim17ROCPRIM_400000_NS6detail17trampoline_kernelINS0_14default_configENS1_38merge_sort_block_merge_config_selectorIiNS0_10empty_typeEEEZZNS1_27merge_sort_block_merge_implIS3_N6thrust23THRUST_200600_302600_NS6detail15normal_iteratorINS9_10device_ptrIiEEEEPS5_m11less_div_10IiEEE10hipError_tT0_T1_T2_jT3_P12ihipStream_tbPNSt15iterator_traitsISJ_E10value_typeEPNSP_ISK_E10value_typeEPSL_NS1_7vsmem_tEENKUlT_SJ_SK_SL_E_clIPiSE_SF_SF_EESI_SY_SJ_SK_SL_EUlSY_E1_NS1_11comp_targetILNS1_3genE4ELNS1_11target_archE910ELNS1_3gpuE8ELNS1_3repE0EEENS1_36merge_oddeven_config_static_selectorELNS0_4arch9wavefront6targetE0EEEvSK_.private_seg_size, 0
	.set _ZN7rocprim17ROCPRIM_400000_NS6detail17trampoline_kernelINS0_14default_configENS1_38merge_sort_block_merge_config_selectorIiNS0_10empty_typeEEEZZNS1_27merge_sort_block_merge_implIS3_N6thrust23THRUST_200600_302600_NS6detail15normal_iteratorINS9_10device_ptrIiEEEEPS5_m11less_div_10IiEEE10hipError_tT0_T1_T2_jT3_P12ihipStream_tbPNSt15iterator_traitsISJ_E10value_typeEPNSP_ISK_E10value_typeEPSL_NS1_7vsmem_tEENKUlT_SJ_SK_SL_E_clIPiSE_SF_SF_EESI_SY_SJ_SK_SL_EUlSY_E1_NS1_11comp_targetILNS1_3genE4ELNS1_11target_archE910ELNS1_3gpuE8ELNS1_3repE0EEENS1_36merge_oddeven_config_static_selectorELNS0_4arch9wavefront6targetE0EEEvSK_.uses_vcc, 0
	.set _ZN7rocprim17ROCPRIM_400000_NS6detail17trampoline_kernelINS0_14default_configENS1_38merge_sort_block_merge_config_selectorIiNS0_10empty_typeEEEZZNS1_27merge_sort_block_merge_implIS3_N6thrust23THRUST_200600_302600_NS6detail15normal_iteratorINS9_10device_ptrIiEEEEPS5_m11less_div_10IiEEE10hipError_tT0_T1_T2_jT3_P12ihipStream_tbPNSt15iterator_traitsISJ_E10value_typeEPNSP_ISK_E10value_typeEPSL_NS1_7vsmem_tEENKUlT_SJ_SK_SL_E_clIPiSE_SF_SF_EESI_SY_SJ_SK_SL_EUlSY_E1_NS1_11comp_targetILNS1_3genE4ELNS1_11target_archE910ELNS1_3gpuE8ELNS1_3repE0EEENS1_36merge_oddeven_config_static_selectorELNS0_4arch9wavefront6targetE0EEEvSK_.uses_flat_scratch, 0
	.set _ZN7rocprim17ROCPRIM_400000_NS6detail17trampoline_kernelINS0_14default_configENS1_38merge_sort_block_merge_config_selectorIiNS0_10empty_typeEEEZZNS1_27merge_sort_block_merge_implIS3_N6thrust23THRUST_200600_302600_NS6detail15normal_iteratorINS9_10device_ptrIiEEEEPS5_m11less_div_10IiEEE10hipError_tT0_T1_T2_jT3_P12ihipStream_tbPNSt15iterator_traitsISJ_E10value_typeEPNSP_ISK_E10value_typeEPSL_NS1_7vsmem_tEENKUlT_SJ_SK_SL_E_clIPiSE_SF_SF_EESI_SY_SJ_SK_SL_EUlSY_E1_NS1_11comp_targetILNS1_3genE4ELNS1_11target_archE910ELNS1_3gpuE8ELNS1_3repE0EEENS1_36merge_oddeven_config_static_selectorELNS0_4arch9wavefront6targetE0EEEvSK_.has_dyn_sized_stack, 0
	.set _ZN7rocprim17ROCPRIM_400000_NS6detail17trampoline_kernelINS0_14default_configENS1_38merge_sort_block_merge_config_selectorIiNS0_10empty_typeEEEZZNS1_27merge_sort_block_merge_implIS3_N6thrust23THRUST_200600_302600_NS6detail15normal_iteratorINS9_10device_ptrIiEEEEPS5_m11less_div_10IiEEE10hipError_tT0_T1_T2_jT3_P12ihipStream_tbPNSt15iterator_traitsISJ_E10value_typeEPNSP_ISK_E10value_typeEPSL_NS1_7vsmem_tEENKUlT_SJ_SK_SL_E_clIPiSE_SF_SF_EESI_SY_SJ_SK_SL_EUlSY_E1_NS1_11comp_targetILNS1_3genE4ELNS1_11target_archE910ELNS1_3gpuE8ELNS1_3repE0EEENS1_36merge_oddeven_config_static_selectorELNS0_4arch9wavefront6targetE0EEEvSK_.has_recursion, 0
	.set _ZN7rocprim17ROCPRIM_400000_NS6detail17trampoline_kernelINS0_14default_configENS1_38merge_sort_block_merge_config_selectorIiNS0_10empty_typeEEEZZNS1_27merge_sort_block_merge_implIS3_N6thrust23THRUST_200600_302600_NS6detail15normal_iteratorINS9_10device_ptrIiEEEEPS5_m11less_div_10IiEEE10hipError_tT0_T1_T2_jT3_P12ihipStream_tbPNSt15iterator_traitsISJ_E10value_typeEPNSP_ISK_E10value_typeEPSL_NS1_7vsmem_tEENKUlT_SJ_SK_SL_E_clIPiSE_SF_SF_EESI_SY_SJ_SK_SL_EUlSY_E1_NS1_11comp_targetILNS1_3genE4ELNS1_11target_archE910ELNS1_3gpuE8ELNS1_3repE0EEENS1_36merge_oddeven_config_static_selectorELNS0_4arch9wavefront6targetE0EEEvSK_.has_indirect_call, 0
	.section	.AMDGPU.csdata,"",@progbits
; Kernel info:
; codeLenInByte = 0
; TotalNumSgprs: 0
; NumVgprs: 0
; ScratchSize: 0
; MemoryBound: 0
; FloatMode: 240
; IeeeMode: 1
; LDSByteSize: 0 bytes/workgroup (compile time only)
; SGPRBlocks: 0
; VGPRBlocks: 0
; NumSGPRsForWavesPerEU: 1
; NumVGPRsForWavesPerEU: 1
; Occupancy: 16
; WaveLimiterHint : 0
; COMPUTE_PGM_RSRC2:SCRATCH_EN: 0
; COMPUTE_PGM_RSRC2:USER_SGPR: 6
; COMPUTE_PGM_RSRC2:TRAP_HANDLER: 0
; COMPUTE_PGM_RSRC2:TGID_X_EN: 1
; COMPUTE_PGM_RSRC2:TGID_Y_EN: 0
; COMPUTE_PGM_RSRC2:TGID_Z_EN: 0
; COMPUTE_PGM_RSRC2:TIDIG_COMP_CNT: 0
	.section	.text._ZN7rocprim17ROCPRIM_400000_NS6detail17trampoline_kernelINS0_14default_configENS1_38merge_sort_block_merge_config_selectorIiNS0_10empty_typeEEEZZNS1_27merge_sort_block_merge_implIS3_N6thrust23THRUST_200600_302600_NS6detail15normal_iteratorINS9_10device_ptrIiEEEEPS5_m11less_div_10IiEEE10hipError_tT0_T1_T2_jT3_P12ihipStream_tbPNSt15iterator_traitsISJ_E10value_typeEPNSP_ISK_E10value_typeEPSL_NS1_7vsmem_tEENKUlT_SJ_SK_SL_E_clIPiSE_SF_SF_EESI_SY_SJ_SK_SL_EUlSY_E1_NS1_11comp_targetILNS1_3genE3ELNS1_11target_archE908ELNS1_3gpuE7ELNS1_3repE0EEENS1_36merge_oddeven_config_static_selectorELNS0_4arch9wavefront6targetE0EEEvSK_,"axG",@progbits,_ZN7rocprim17ROCPRIM_400000_NS6detail17trampoline_kernelINS0_14default_configENS1_38merge_sort_block_merge_config_selectorIiNS0_10empty_typeEEEZZNS1_27merge_sort_block_merge_implIS3_N6thrust23THRUST_200600_302600_NS6detail15normal_iteratorINS9_10device_ptrIiEEEEPS5_m11less_div_10IiEEE10hipError_tT0_T1_T2_jT3_P12ihipStream_tbPNSt15iterator_traitsISJ_E10value_typeEPNSP_ISK_E10value_typeEPSL_NS1_7vsmem_tEENKUlT_SJ_SK_SL_E_clIPiSE_SF_SF_EESI_SY_SJ_SK_SL_EUlSY_E1_NS1_11comp_targetILNS1_3genE3ELNS1_11target_archE908ELNS1_3gpuE7ELNS1_3repE0EEENS1_36merge_oddeven_config_static_selectorELNS0_4arch9wavefront6targetE0EEEvSK_,comdat
	.protected	_ZN7rocprim17ROCPRIM_400000_NS6detail17trampoline_kernelINS0_14default_configENS1_38merge_sort_block_merge_config_selectorIiNS0_10empty_typeEEEZZNS1_27merge_sort_block_merge_implIS3_N6thrust23THRUST_200600_302600_NS6detail15normal_iteratorINS9_10device_ptrIiEEEEPS5_m11less_div_10IiEEE10hipError_tT0_T1_T2_jT3_P12ihipStream_tbPNSt15iterator_traitsISJ_E10value_typeEPNSP_ISK_E10value_typeEPSL_NS1_7vsmem_tEENKUlT_SJ_SK_SL_E_clIPiSE_SF_SF_EESI_SY_SJ_SK_SL_EUlSY_E1_NS1_11comp_targetILNS1_3genE3ELNS1_11target_archE908ELNS1_3gpuE7ELNS1_3repE0EEENS1_36merge_oddeven_config_static_selectorELNS0_4arch9wavefront6targetE0EEEvSK_ ; -- Begin function _ZN7rocprim17ROCPRIM_400000_NS6detail17trampoline_kernelINS0_14default_configENS1_38merge_sort_block_merge_config_selectorIiNS0_10empty_typeEEEZZNS1_27merge_sort_block_merge_implIS3_N6thrust23THRUST_200600_302600_NS6detail15normal_iteratorINS9_10device_ptrIiEEEEPS5_m11less_div_10IiEEE10hipError_tT0_T1_T2_jT3_P12ihipStream_tbPNSt15iterator_traitsISJ_E10value_typeEPNSP_ISK_E10value_typeEPSL_NS1_7vsmem_tEENKUlT_SJ_SK_SL_E_clIPiSE_SF_SF_EESI_SY_SJ_SK_SL_EUlSY_E1_NS1_11comp_targetILNS1_3genE3ELNS1_11target_archE908ELNS1_3gpuE7ELNS1_3repE0EEENS1_36merge_oddeven_config_static_selectorELNS0_4arch9wavefront6targetE0EEEvSK_
	.globl	_ZN7rocprim17ROCPRIM_400000_NS6detail17trampoline_kernelINS0_14default_configENS1_38merge_sort_block_merge_config_selectorIiNS0_10empty_typeEEEZZNS1_27merge_sort_block_merge_implIS3_N6thrust23THRUST_200600_302600_NS6detail15normal_iteratorINS9_10device_ptrIiEEEEPS5_m11less_div_10IiEEE10hipError_tT0_T1_T2_jT3_P12ihipStream_tbPNSt15iterator_traitsISJ_E10value_typeEPNSP_ISK_E10value_typeEPSL_NS1_7vsmem_tEENKUlT_SJ_SK_SL_E_clIPiSE_SF_SF_EESI_SY_SJ_SK_SL_EUlSY_E1_NS1_11comp_targetILNS1_3genE3ELNS1_11target_archE908ELNS1_3gpuE7ELNS1_3repE0EEENS1_36merge_oddeven_config_static_selectorELNS0_4arch9wavefront6targetE0EEEvSK_
	.p2align	8
	.type	_ZN7rocprim17ROCPRIM_400000_NS6detail17trampoline_kernelINS0_14default_configENS1_38merge_sort_block_merge_config_selectorIiNS0_10empty_typeEEEZZNS1_27merge_sort_block_merge_implIS3_N6thrust23THRUST_200600_302600_NS6detail15normal_iteratorINS9_10device_ptrIiEEEEPS5_m11less_div_10IiEEE10hipError_tT0_T1_T2_jT3_P12ihipStream_tbPNSt15iterator_traitsISJ_E10value_typeEPNSP_ISK_E10value_typeEPSL_NS1_7vsmem_tEENKUlT_SJ_SK_SL_E_clIPiSE_SF_SF_EESI_SY_SJ_SK_SL_EUlSY_E1_NS1_11comp_targetILNS1_3genE3ELNS1_11target_archE908ELNS1_3gpuE7ELNS1_3repE0EEENS1_36merge_oddeven_config_static_selectorELNS0_4arch9wavefront6targetE0EEEvSK_,@function
_ZN7rocprim17ROCPRIM_400000_NS6detail17trampoline_kernelINS0_14default_configENS1_38merge_sort_block_merge_config_selectorIiNS0_10empty_typeEEEZZNS1_27merge_sort_block_merge_implIS3_N6thrust23THRUST_200600_302600_NS6detail15normal_iteratorINS9_10device_ptrIiEEEEPS5_m11less_div_10IiEEE10hipError_tT0_T1_T2_jT3_P12ihipStream_tbPNSt15iterator_traitsISJ_E10value_typeEPNSP_ISK_E10value_typeEPSL_NS1_7vsmem_tEENKUlT_SJ_SK_SL_E_clIPiSE_SF_SF_EESI_SY_SJ_SK_SL_EUlSY_E1_NS1_11comp_targetILNS1_3genE3ELNS1_11target_archE908ELNS1_3gpuE7ELNS1_3repE0EEENS1_36merge_oddeven_config_static_selectorELNS0_4arch9wavefront6targetE0EEEvSK_: ; @_ZN7rocprim17ROCPRIM_400000_NS6detail17trampoline_kernelINS0_14default_configENS1_38merge_sort_block_merge_config_selectorIiNS0_10empty_typeEEEZZNS1_27merge_sort_block_merge_implIS3_N6thrust23THRUST_200600_302600_NS6detail15normal_iteratorINS9_10device_ptrIiEEEEPS5_m11less_div_10IiEEE10hipError_tT0_T1_T2_jT3_P12ihipStream_tbPNSt15iterator_traitsISJ_E10value_typeEPNSP_ISK_E10value_typeEPSL_NS1_7vsmem_tEENKUlT_SJ_SK_SL_E_clIPiSE_SF_SF_EESI_SY_SJ_SK_SL_EUlSY_E1_NS1_11comp_targetILNS1_3genE3ELNS1_11target_archE908ELNS1_3gpuE7ELNS1_3repE0EEENS1_36merge_oddeven_config_static_selectorELNS0_4arch9wavefront6targetE0EEEvSK_
; %bb.0:
	.section	.rodata,"a",@progbits
	.p2align	6, 0x0
	.amdhsa_kernel _ZN7rocprim17ROCPRIM_400000_NS6detail17trampoline_kernelINS0_14default_configENS1_38merge_sort_block_merge_config_selectorIiNS0_10empty_typeEEEZZNS1_27merge_sort_block_merge_implIS3_N6thrust23THRUST_200600_302600_NS6detail15normal_iteratorINS9_10device_ptrIiEEEEPS5_m11less_div_10IiEEE10hipError_tT0_T1_T2_jT3_P12ihipStream_tbPNSt15iterator_traitsISJ_E10value_typeEPNSP_ISK_E10value_typeEPSL_NS1_7vsmem_tEENKUlT_SJ_SK_SL_E_clIPiSE_SF_SF_EESI_SY_SJ_SK_SL_EUlSY_E1_NS1_11comp_targetILNS1_3genE3ELNS1_11target_archE908ELNS1_3gpuE7ELNS1_3repE0EEENS1_36merge_oddeven_config_static_selectorELNS0_4arch9wavefront6targetE0EEEvSK_
		.amdhsa_group_segment_fixed_size 0
		.amdhsa_private_segment_fixed_size 0
		.amdhsa_kernarg_size 56
		.amdhsa_user_sgpr_count 6
		.amdhsa_user_sgpr_private_segment_buffer 1
		.amdhsa_user_sgpr_dispatch_ptr 0
		.amdhsa_user_sgpr_queue_ptr 0
		.amdhsa_user_sgpr_kernarg_segment_ptr 1
		.amdhsa_user_sgpr_dispatch_id 0
		.amdhsa_user_sgpr_flat_scratch_init 0
		.amdhsa_user_sgpr_private_segment_size 0
		.amdhsa_wavefront_size32 1
		.amdhsa_uses_dynamic_stack 0
		.amdhsa_system_sgpr_private_segment_wavefront_offset 0
		.amdhsa_system_sgpr_workgroup_id_x 1
		.amdhsa_system_sgpr_workgroup_id_y 0
		.amdhsa_system_sgpr_workgroup_id_z 0
		.amdhsa_system_sgpr_workgroup_info 0
		.amdhsa_system_vgpr_workitem_id 0
		.amdhsa_next_free_vgpr 1
		.amdhsa_next_free_sgpr 1
		.amdhsa_reserve_vcc 0
		.amdhsa_reserve_flat_scratch 0
		.amdhsa_float_round_mode_32 0
		.amdhsa_float_round_mode_16_64 0
		.amdhsa_float_denorm_mode_32 3
		.amdhsa_float_denorm_mode_16_64 3
		.amdhsa_dx10_clamp 1
		.amdhsa_ieee_mode 1
		.amdhsa_fp16_overflow 0
		.amdhsa_workgroup_processor_mode 1
		.amdhsa_memory_ordered 1
		.amdhsa_forward_progress 1
		.amdhsa_shared_vgpr_count 0
		.amdhsa_exception_fp_ieee_invalid_op 0
		.amdhsa_exception_fp_denorm_src 0
		.amdhsa_exception_fp_ieee_div_zero 0
		.amdhsa_exception_fp_ieee_overflow 0
		.amdhsa_exception_fp_ieee_underflow 0
		.amdhsa_exception_fp_ieee_inexact 0
		.amdhsa_exception_int_div_zero 0
	.end_amdhsa_kernel
	.section	.text._ZN7rocprim17ROCPRIM_400000_NS6detail17trampoline_kernelINS0_14default_configENS1_38merge_sort_block_merge_config_selectorIiNS0_10empty_typeEEEZZNS1_27merge_sort_block_merge_implIS3_N6thrust23THRUST_200600_302600_NS6detail15normal_iteratorINS9_10device_ptrIiEEEEPS5_m11less_div_10IiEEE10hipError_tT0_T1_T2_jT3_P12ihipStream_tbPNSt15iterator_traitsISJ_E10value_typeEPNSP_ISK_E10value_typeEPSL_NS1_7vsmem_tEENKUlT_SJ_SK_SL_E_clIPiSE_SF_SF_EESI_SY_SJ_SK_SL_EUlSY_E1_NS1_11comp_targetILNS1_3genE3ELNS1_11target_archE908ELNS1_3gpuE7ELNS1_3repE0EEENS1_36merge_oddeven_config_static_selectorELNS0_4arch9wavefront6targetE0EEEvSK_,"axG",@progbits,_ZN7rocprim17ROCPRIM_400000_NS6detail17trampoline_kernelINS0_14default_configENS1_38merge_sort_block_merge_config_selectorIiNS0_10empty_typeEEEZZNS1_27merge_sort_block_merge_implIS3_N6thrust23THRUST_200600_302600_NS6detail15normal_iteratorINS9_10device_ptrIiEEEEPS5_m11less_div_10IiEEE10hipError_tT0_T1_T2_jT3_P12ihipStream_tbPNSt15iterator_traitsISJ_E10value_typeEPNSP_ISK_E10value_typeEPSL_NS1_7vsmem_tEENKUlT_SJ_SK_SL_E_clIPiSE_SF_SF_EESI_SY_SJ_SK_SL_EUlSY_E1_NS1_11comp_targetILNS1_3genE3ELNS1_11target_archE908ELNS1_3gpuE7ELNS1_3repE0EEENS1_36merge_oddeven_config_static_selectorELNS0_4arch9wavefront6targetE0EEEvSK_,comdat
.Lfunc_end449:
	.size	_ZN7rocprim17ROCPRIM_400000_NS6detail17trampoline_kernelINS0_14default_configENS1_38merge_sort_block_merge_config_selectorIiNS0_10empty_typeEEEZZNS1_27merge_sort_block_merge_implIS3_N6thrust23THRUST_200600_302600_NS6detail15normal_iteratorINS9_10device_ptrIiEEEEPS5_m11less_div_10IiEEE10hipError_tT0_T1_T2_jT3_P12ihipStream_tbPNSt15iterator_traitsISJ_E10value_typeEPNSP_ISK_E10value_typeEPSL_NS1_7vsmem_tEENKUlT_SJ_SK_SL_E_clIPiSE_SF_SF_EESI_SY_SJ_SK_SL_EUlSY_E1_NS1_11comp_targetILNS1_3genE3ELNS1_11target_archE908ELNS1_3gpuE7ELNS1_3repE0EEENS1_36merge_oddeven_config_static_selectorELNS0_4arch9wavefront6targetE0EEEvSK_, .Lfunc_end449-_ZN7rocprim17ROCPRIM_400000_NS6detail17trampoline_kernelINS0_14default_configENS1_38merge_sort_block_merge_config_selectorIiNS0_10empty_typeEEEZZNS1_27merge_sort_block_merge_implIS3_N6thrust23THRUST_200600_302600_NS6detail15normal_iteratorINS9_10device_ptrIiEEEEPS5_m11less_div_10IiEEE10hipError_tT0_T1_T2_jT3_P12ihipStream_tbPNSt15iterator_traitsISJ_E10value_typeEPNSP_ISK_E10value_typeEPSL_NS1_7vsmem_tEENKUlT_SJ_SK_SL_E_clIPiSE_SF_SF_EESI_SY_SJ_SK_SL_EUlSY_E1_NS1_11comp_targetILNS1_3genE3ELNS1_11target_archE908ELNS1_3gpuE7ELNS1_3repE0EEENS1_36merge_oddeven_config_static_selectorELNS0_4arch9wavefront6targetE0EEEvSK_
                                        ; -- End function
	.set _ZN7rocprim17ROCPRIM_400000_NS6detail17trampoline_kernelINS0_14default_configENS1_38merge_sort_block_merge_config_selectorIiNS0_10empty_typeEEEZZNS1_27merge_sort_block_merge_implIS3_N6thrust23THRUST_200600_302600_NS6detail15normal_iteratorINS9_10device_ptrIiEEEEPS5_m11less_div_10IiEEE10hipError_tT0_T1_T2_jT3_P12ihipStream_tbPNSt15iterator_traitsISJ_E10value_typeEPNSP_ISK_E10value_typeEPSL_NS1_7vsmem_tEENKUlT_SJ_SK_SL_E_clIPiSE_SF_SF_EESI_SY_SJ_SK_SL_EUlSY_E1_NS1_11comp_targetILNS1_3genE3ELNS1_11target_archE908ELNS1_3gpuE7ELNS1_3repE0EEENS1_36merge_oddeven_config_static_selectorELNS0_4arch9wavefront6targetE0EEEvSK_.num_vgpr, 0
	.set _ZN7rocprim17ROCPRIM_400000_NS6detail17trampoline_kernelINS0_14default_configENS1_38merge_sort_block_merge_config_selectorIiNS0_10empty_typeEEEZZNS1_27merge_sort_block_merge_implIS3_N6thrust23THRUST_200600_302600_NS6detail15normal_iteratorINS9_10device_ptrIiEEEEPS5_m11less_div_10IiEEE10hipError_tT0_T1_T2_jT3_P12ihipStream_tbPNSt15iterator_traitsISJ_E10value_typeEPNSP_ISK_E10value_typeEPSL_NS1_7vsmem_tEENKUlT_SJ_SK_SL_E_clIPiSE_SF_SF_EESI_SY_SJ_SK_SL_EUlSY_E1_NS1_11comp_targetILNS1_3genE3ELNS1_11target_archE908ELNS1_3gpuE7ELNS1_3repE0EEENS1_36merge_oddeven_config_static_selectorELNS0_4arch9wavefront6targetE0EEEvSK_.num_agpr, 0
	.set _ZN7rocprim17ROCPRIM_400000_NS6detail17trampoline_kernelINS0_14default_configENS1_38merge_sort_block_merge_config_selectorIiNS0_10empty_typeEEEZZNS1_27merge_sort_block_merge_implIS3_N6thrust23THRUST_200600_302600_NS6detail15normal_iteratorINS9_10device_ptrIiEEEEPS5_m11less_div_10IiEEE10hipError_tT0_T1_T2_jT3_P12ihipStream_tbPNSt15iterator_traitsISJ_E10value_typeEPNSP_ISK_E10value_typeEPSL_NS1_7vsmem_tEENKUlT_SJ_SK_SL_E_clIPiSE_SF_SF_EESI_SY_SJ_SK_SL_EUlSY_E1_NS1_11comp_targetILNS1_3genE3ELNS1_11target_archE908ELNS1_3gpuE7ELNS1_3repE0EEENS1_36merge_oddeven_config_static_selectorELNS0_4arch9wavefront6targetE0EEEvSK_.numbered_sgpr, 0
	.set _ZN7rocprim17ROCPRIM_400000_NS6detail17trampoline_kernelINS0_14default_configENS1_38merge_sort_block_merge_config_selectorIiNS0_10empty_typeEEEZZNS1_27merge_sort_block_merge_implIS3_N6thrust23THRUST_200600_302600_NS6detail15normal_iteratorINS9_10device_ptrIiEEEEPS5_m11less_div_10IiEEE10hipError_tT0_T1_T2_jT3_P12ihipStream_tbPNSt15iterator_traitsISJ_E10value_typeEPNSP_ISK_E10value_typeEPSL_NS1_7vsmem_tEENKUlT_SJ_SK_SL_E_clIPiSE_SF_SF_EESI_SY_SJ_SK_SL_EUlSY_E1_NS1_11comp_targetILNS1_3genE3ELNS1_11target_archE908ELNS1_3gpuE7ELNS1_3repE0EEENS1_36merge_oddeven_config_static_selectorELNS0_4arch9wavefront6targetE0EEEvSK_.num_named_barrier, 0
	.set _ZN7rocprim17ROCPRIM_400000_NS6detail17trampoline_kernelINS0_14default_configENS1_38merge_sort_block_merge_config_selectorIiNS0_10empty_typeEEEZZNS1_27merge_sort_block_merge_implIS3_N6thrust23THRUST_200600_302600_NS6detail15normal_iteratorINS9_10device_ptrIiEEEEPS5_m11less_div_10IiEEE10hipError_tT0_T1_T2_jT3_P12ihipStream_tbPNSt15iterator_traitsISJ_E10value_typeEPNSP_ISK_E10value_typeEPSL_NS1_7vsmem_tEENKUlT_SJ_SK_SL_E_clIPiSE_SF_SF_EESI_SY_SJ_SK_SL_EUlSY_E1_NS1_11comp_targetILNS1_3genE3ELNS1_11target_archE908ELNS1_3gpuE7ELNS1_3repE0EEENS1_36merge_oddeven_config_static_selectorELNS0_4arch9wavefront6targetE0EEEvSK_.private_seg_size, 0
	.set _ZN7rocprim17ROCPRIM_400000_NS6detail17trampoline_kernelINS0_14default_configENS1_38merge_sort_block_merge_config_selectorIiNS0_10empty_typeEEEZZNS1_27merge_sort_block_merge_implIS3_N6thrust23THRUST_200600_302600_NS6detail15normal_iteratorINS9_10device_ptrIiEEEEPS5_m11less_div_10IiEEE10hipError_tT0_T1_T2_jT3_P12ihipStream_tbPNSt15iterator_traitsISJ_E10value_typeEPNSP_ISK_E10value_typeEPSL_NS1_7vsmem_tEENKUlT_SJ_SK_SL_E_clIPiSE_SF_SF_EESI_SY_SJ_SK_SL_EUlSY_E1_NS1_11comp_targetILNS1_3genE3ELNS1_11target_archE908ELNS1_3gpuE7ELNS1_3repE0EEENS1_36merge_oddeven_config_static_selectorELNS0_4arch9wavefront6targetE0EEEvSK_.uses_vcc, 0
	.set _ZN7rocprim17ROCPRIM_400000_NS6detail17trampoline_kernelINS0_14default_configENS1_38merge_sort_block_merge_config_selectorIiNS0_10empty_typeEEEZZNS1_27merge_sort_block_merge_implIS3_N6thrust23THRUST_200600_302600_NS6detail15normal_iteratorINS9_10device_ptrIiEEEEPS5_m11less_div_10IiEEE10hipError_tT0_T1_T2_jT3_P12ihipStream_tbPNSt15iterator_traitsISJ_E10value_typeEPNSP_ISK_E10value_typeEPSL_NS1_7vsmem_tEENKUlT_SJ_SK_SL_E_clIPiSE_SF_SF_EESI_SY_SJ_SK_SL_EUlSY_E1_NS1_11comp_targetILNS1_3genE3ELNS1_11target_archE908ELNS1_3gpuE7ELNS1_3repE0EEENS1_36merge_oddeven_config_static_selectorELNS0_4arch9wavefront6targetE0EEEvSK_.uses_flat_scratch, 0
	.set _ZN7rocprim17ROCPRIM_400000_NS6detail17trampoline_kernelINS0_14default_configENS1_38merge_sort_block_merge_config_selectorIiNS0_10empty_typeEEEZZNS1_27merge_sort_block_merge_implIS3_N6thrust23THRUST_200600_302600_NS6detail15normal_iteratorINS9_10device_ptrIiEEEEPS5_m11less_div_10IiEEE10hipError_tT0_T1_T2_jT3_P12ihipStream_tbPNSt15iterator_traitsISJ_E10value_typeEPNSP_ISK_E10value_typeEPSL_NS1_7vsmem_tEENKUlT_SJ_SK_SL_E_clIPiSE_SF_SF_EESI_SY_SJ_SK_SL_EUlSY_E1_NS1_11comp_targetILNS1_3genE3ELNS1_11target_archE908ELNS1_3gpuE7ELNS1_3repE0EEENS1_36merge_oddeven_config_static_selectorELNS0_4arch9wavefront6targetE0EEEvSK_.has_dyn_sized_stack, 0
	.set _ZN7rocprim17ROCPRIM_400000_NS6detail17trampoline_kernelINS0_14default_configENS1_38merge_sort_block_merge_config_selectorIiNS0_10empty_typeEEEZZNS1_27merge_sort_block_merge_implIS3_N6thrust23THRUST_200600_302600_NS6detail15normal_iteratorINS9_10device_ptrIiEEEEPS5_m11less_div_10IiEEE10hipError_tT0_T1_T2_jT3_P12ihipStream_tbPNSt15iterator_traitsISJ_E10value_typeEPNSP_ISK_E10value_typeEPSL_NS1_7vsmem_tEENKUlT_SJ_SK_SL_E_clIPiSE_SF_SF_EESI_SY_SJ_SK_SL_EUlSY_E1_NS1_11comp_targetILNS1_3genE3ELNS1_11target_archE908ELNS1_3gpuE7ELNS1_3repE0EEENS1_36merge_oddeven_config_static_selectorELNS0_4arch9wavefront6targetE0EEEvSK_.has_recursion, 0
	.set _ZN7rocprim17ROCPRIM_400000_NS6detail17trampoline_kernelINS0_14default_configENS1_38merge_sort_block_merge_config_selectorIiNS0_10empty_typeEEEZZNS1_27merge_sort_block_merge_implIS3_N6thrust23THRUST_200600_302600_NS6detail15normal_iteratorINS9_10device_ptrIiEEEEPS5_m11less_div_10IiEEE10hipError_tT0_T1_T2_jT3_P12ihipStream_tbPNSt15iterator_traitsISJ_E10value_typeEPNSP_ISK_E10value_typeEPSL_NS1_7vsmem_tEENKUlT_SJ_SK_SL_E_clIPiSE_SF_SF_EESI_SY_SJ_SK_SL_EUlSY_E1_NS1_11comp_targetILNS1_3genE3ELNS1_11target_archE908ELNS1_3gpuE7ELNS1_3repE0EEENS1_36merge_oddeven_config_static_selectorELNS0_4arch9wavefront6targetE0EEEvSK_.has_indirect_call, 0
	.section	.AMDGPU.csdata,"",@progbits
; Kernel info:
; codeLenInByte = 0
; TotalNumSgprs: 0
; NumVgprs: 0
; ScratchSize: 0
; MemoryBound: 0
; FloatMode: 240
; IeeeMode: 1
; LDSByteSize: 0 bytes/workgroup (compile time only)
; SGPRBlocks: 0
; VGPRBlocks: 0
; NumSGPRsForWavesPerEU: 1
; NumVGPRsForWavesPerEU: 1
; Occupancy: 16
; WaveLimiterHint : 0
; COMPUTE_PGM_RSRC2:SCRATCH_EN: 0
; COMPUTE_PGM_RSRC2:USER_SGPR: 6
; COMPUTE_PGM_RSRC2:TRAP_HANDLER: 0
; COMPUTE_PGM_RSRC2:TGID_X_EN: 1
; COMPUTE_PGM_RSRC2:TGID_Y_EN: 0
; COMPUTE_PGM_RSRC2:TGID_Z_EN: 0
; COMPUTE_PGM_RSRC2:TIDIG_COMP_CNT: 0
	.section	.text._ZN7rocprim17ROCPRIM_400000_NS6detail17trampoline_kernelINS0_14default_configENS1_38merge_sort_block_merge_config_selectorIiNS0_10empty_typeEEEZZNS1_27merge_sort_block_merge_implIS3_N6thrust23THRUST_200600_302600_NS6detail15normal_iteratorINS9_10device_ptrIiEEEEPS5_m11less_div_10IiEEE10hipError_tT0_T1_T2_jT3_P12ihipStream_tbPNSt15iterator_traitsISJ_E10value_typeEPNSP_ISK_E10value_typeEPSL_NS1_7vsmem_tEENKUlT_SJ_SK_SL_E_clIPiSE_SF_SF_EESI_SY_SJ_SK_SL_EUlSY_E1_NS1_11comp_targetILNS1_3genE2ELNS1_11target_archE906ELNS1_3gpuE6ELNS1_3repE0EEENS1_36merge_oddeven_config_static_selectorELNS0_4arch9wavefront6targetE0EEEvSK_,"axG",@progbits,_ZN7rocprim17ROCPRIM_400000_NS6detail17trampoline_kernelINS0_14default_configENS1_38merge_sort_block_merge_config_selectorIiNS0_10empty_typeEEEZZNS1_27merge_sort_block_merge_implIS3_N6thrust23THRUST_200600_302600_NS6detail15normal_iteratorINS9_10device_ptrIiEEEEPS5_m11less_div_10IiEEE10hipError_tT0_T1_T2_jT3_P12ihipStream_tbPNSt15iterator_traitsISJ_E10value_typeEPNSP_ISK_E10value_typeEPSL_NS1_7vsmem_tEENKUlT_SJ_SK_SL_E_clIPiSE_SF_SF_EESI_SY_SJ_SK_SL_EUlSY_E1_NS1_11comp_targetILNS1_3genE2ELNS1_11target_archE906ELNS1_3gpuE6ELNS1_3repE0EEENS1_36merge_oddeven_config_static_selectorELNS0_4arch9wavefront6targetE0EEEvSK_,comdat
	.protected	_ZN7rocprim17ROCPRIM_400000_NS6detail17trampoline_kernelINS0_14default_configENS1_38merge_sort_block_merge_config_selectorIiNS0_10empty_typeEEEZZNS1_27merge_sort_block_merge_implIS3_N6thrust23THRUST_200600_302600_NS6detail15normal_iteratorINS9_10device_ptrIiEEEEPS5_m11less_div_10IiEEE10hipError_tT0_T1_T2_jT3_P12ihipStream_tbPNSt15iterator_traitsISJ_E10value_typeEPNSP_ISK_E10value_typeEPSL_NS1_7vsmem_tEENKUlT_SJ_SK_SL_E_clIPiSE_SF_SF_EESI_SY_SJ_SK_SL_EUlSY_E1_NS1_11comp_targetILNS1_3genE2ELNS1_11target_archE906ELNS1_3gpuE6ELNS1_3repE0EEENS1_36merge_oddeven_config_static_selectorELNS0_4arch9wavefront6targetE0EEEvSK_ ; -- Begin function _ZN7rocprim17ROCPRIM_400000_NS6detail17trampoline_kernelINS0_14default_configENS1_38merge_sort_block_merge_config_selectorIiNS0_10empty_typeEEEZZNS1_27merge_sort_block_merge_implIS3_N6thrust23THRUST_200600_302600_NS6detail15normal_iteratorINS9_10device_ptrIiEEEEPS5_m11less_div_10IiEEE10hipError_tT0_T1_T2_jT3_P12ihipStream_tbPNSt15iterator_traitsISJ_E10value_typeEPNSP_ISK_E10value_typeEPSL_NS1_7vsmem_tEENKUlT_SJ_SK_SL_E_clIPiSE_SF_SF_EESI_SY_SJ_SK_SL_EUlSY_E1_NS1_11comp_targetILNS1_3genE2ELNS1_11target_archE906ELNS1_3gpuE6ELNS1_3repE0EEENS1_36merge_oddeven_config_static_selectorELNS0_4arch9wavefront6targetE0EEEvSK_
	.globl	_ZN7rocprim17ROCPRIM_400000_NS6detail17trampoline_kernelINS0_14default_configENS1_38merge_sort_block_merge_config_selectorIiNS0_10empty_typeEEEZZNS1_27merge_sort_block_merge_implIS3_N6thrust23THRUST_200600_302600_NS6detail15normal_iteratorINS9_10device_ptrIiEEEEPS5_m11less_div_10IiEEE10hipError_tT0_T1_T2_jT3_P12ihipStream_tbPNSt15iterator_traitsISJ_E10value_typeEPNSP_ISK_E10value_typeEPSL_NS1_7vsmem_tEENKUlT_SJ_SK_SL_E_clIPiSE_SF_SF_EESI_SY_SJ_SK_SL_EUlSY_E1_NS1_11comp_targetILNS1_3genE2ELNS1_11target_archE906ELNS1_3gpuE6ELNS1_3repE0EEENS1_36merge_oddeven_config_static_selectorELNS0_4arch9wavefront6targetE0EEEvSK_
	.p2align	8
	.type	_ZN7rocprim17ROCPRIM_400000_NS6detail17trampoline_kernelINS0_14default_configENS1_38merge_sort_block_merge_config_selectorIiNS0_10empty_typeEEEZZNS1_27merge_sort_block_merge_implIS3_N6thrust23THRUST_200600_302600_NS6detail15normal_iteratorINS9_10device_ptrIiEEEEPS5_m11less_div_10IiEEE10hipError_tT0_T1_T2_jT3_P12ihipStream_tbPNSt15iterator_traitsISJ_E10value_typeEPNSP_ISK_E10value_typeEPSL_NS1_7vsmem_tEENKUlT_SJ_SK_SL_E_clIPiSE_SF_SF_EESI_SY_SJ_SK_SL_EUlSY_E1_NS1_11comp_targetILNS1_3genE2ELNS1_11target_archE906ELNS1_3gpuE6ELNS1_3repE0EEENS1_36merge_oddeven_config_static_selectorELNS0_4arch9wavefront6targetE0EEEvSK_,@function
_ZN7rocprim17ROCPRIM_400000_NS6detail17trampoline_kernelINS0_14default_configENS1_38merge_sort_block_merge_config_selectorIiNS0_10empty_typeEEEZZNS1_27merge_sort_block_merge_implIS3_N6thrust23THRUST_200600_302600_NS6detail15normal_iteratorINS9_10device_ptrIiEEEEPS5_m11less_div_10IiEEE10hipError_tT0_T1_T2_jT3_P12ihipStream_tbPNSt15iterator_traitsISJ_E10value_typeEPNSP_ISK_E10value_typeEPSL_NS1_7vsmem_tEENKUlT_SJ_SK_SL_E_clIPiSE_SF_SF_EESI_SY_SJ_SK_SL_EUlSY_E1_NS1_11comp_targetILNS1_3genE2ELNS1_11target_archE906ELNS1_3gpuE6ELNS1_3repE0EEENS1_36merge_oddeven_config_static_selectorELNS0_4arch9wavefront6targetE0EEEvSK_: ; @_ZN7rocprim17ROCPRIM_400000_NS6detail17trampoline_kernelINS0_14default_configENS1_38merge_sort_block_merge_config_selectorIiNS0_10empty_typeEEEZZNS1_27merge_sort_block_merge_implIS3_N6thrust23THRUST_200600_302600_NS6detail15normal_iteratorINS9_10device_ptrIiEEEEPS5_m11less_div_10IiEEE10hipError_tT0_T1_T2_jT3_P12ihipStream_tbPNSt15iterator_traitsISJ_E10value_typeEPNSP_ISK_E10value_typeEPSL_NS1_7vsmem_tEENKUlT_SJ_SK_SL_E_clIPiSE_SF_SF_EESI_SY_SJ_SK_SL_EUlSY_E1_NS1_11comp_targetILNS1_3genE2ELNS1_11target_archE906ELNS1_3gpuE6ELNS1_3repE0EEENS1_36merge_oddeven_config_static_selectorELNS0_4arch9wavefront6targetE0EEEvSK_
; %bb.0:
	.section	.rodata,"a",@progbits
	.p2align	6, 0x0
	.amdhsa_kernel _ZN7rocprim17ROCPRIM_400000_NS6detail17trampoline_kernelINS0_14default_configENS1_38merge_sort_block_merge_config_selectorIiNS0_10empty_typeEEEZZNS1_27merge_sort_block_merge_implIS3_N6thrust23THRUST_200600_302600_NS6detail15normal_iteratorINS9_10device_ptrIiEEEEPS5_m11less_div_10IiEEE10hipError_tT0_T1_T2_jT3_P12ihipStream_tbPNSt15iterator_traitsISJ_E10value_typeEPNSP_ISK_E10value_typeEPSL_NS1_7vsmem_tEENKUlT_SJ_SK_SL_E_clIPiSE_SF_SF_EESI_SY_SJ_SK_SL_EUlSY_E1_NS1_11comp_targetILNS1_3genE2ELNS1_11target_archE906ELNS1_3gpuE6ELNS1_3repE0EEENS1_36merge_oddeven_config_static_selectorELNS0_4arch9wavefront6targetE0EEEvSK_
		.amdhsa_group_segment_fixed_size 0
		.amdhsa_private_segment_fixed_size 0
		.amdhsa_kernarg_size 56
		.amdhsa_user_sgpr_count 6
		.amdhsa_user_sgpr_private_segment_buffer 1
		.amdhsa_user_sgpr_dispatch_ptr 0
		.amdhsa_user_sgpr_queue_ptr 0
		.amdhsa_user_sgpr_kernarg_segment_ptr 1
		.amdhsa_user_sgpr_dispatch_id 0
		.amdhsa_user_sgpr_flat_scratch_init 0
		.amdhsa_user_sgpr_private_segment_size 0
		.amdhsa_wavefront_size32 1
		.amdhsa_uses_dynamic_stack 0
		.amdhsa_system_sgpr_private_segment_wavefront_offset 0
		.amdhsa_system_sgpr_workgroup_id_x 1
		.amdhsa_system_sgpr_workgroup_id_y 0
		.amdhsa_system_sgpr_workgroup_id_z 0
		.amdhsa_system_sgpr_workgroup_info 0
		.amdhsa_system_vgpr_workitem_id 0
		.amdhsa_next_free_vgpr 1
		.amdhsa_next_free_sgpr 1
		.amdhsa_reserve_vcc 0
		.amdhsa_reserve_flat_scratch 0
		.amdhsa_float_round_mode_32 0
		.amdhsa_float_round_mode_16_64 0
		.amdhsa_float_denorm_mode_32 3
		.amdhsa_float_denorm_mode_16_64 3
		.amdhsa_dx10_clamp 1
		.amdhsa_ieee_mode 1
		.amdhsa_fp16_overflow 0
		.amdhsa_workgroup_processor_mode 1
		.amdhsa_memory_ordered 1
		.amdhsa_forward_progress 1
		.amdhsa_shared_vgpr_count 0
		.amdhsa_exception_fp_ieee_invalid_op 0
		.amdhsa_exception_fp_denorm_src 0
		.amdhsa_exception_fp_ieee_div_zero 0
		.amdhsa_exception_fp_ieee_overflow 0
		.amdhsa_exception_fp_ieee_underflow 0
		.amdhsa_exception_fp_ieee_inexact 0
		.amdhsa_exception_int_div_zero 0
	.end_amdhsa_kernel
	.section	.text._ZN7rocprim17ROCPRIM_400000_NS6detail17trampoline_kernelINS0_14default_configENS1_38merge_sort_block_merge_config_selectorIiNS0_10empty_typeEEEZZNS1_27merge_sort_block_merge_implIS3_N6thrust23THRUST_200600_302600_NS6detail15normal_iteratorINS9_10device_ptrIiEEEEPS5_m11less_div_10IiEEE10hipError_tT0_T1_T2_jT3_P12ihipStream_tbPNSt15iterator_traitsISJ_E10value_typeEPNSP_ISK_E10value_typeEPSL_NS1_7vsmem_tEENKUlT_SJ_SK_SL_E_clIPiSE_SF_SF_EESI_SY_SJ_SK_SL_EUlSY_E1_NS1_11comp_targetILNS1_3genE2ELNS1_11target_archE906ELNS1_3gpuE6ELNS1_3repE0EEENS1_36merge_oddeven_config_static_selectorELNS0_4arch9wavefront6targetE0EEEvSK_,"axG",@progbits,_ZN7rocprim17ROCPRIM_400000_NS6detail17trampoline_kernelINS0_14default_configENS1_38merge_sort_block_merge_config_selectorIiNS0_10empty_typeEEEZZNS1_27merge_sort_block_merge_implIS3_N6thrust23THRUST_200600_302600_NS6detail15normal_iteratorINS9_10device_ptrIiEEEEPS5_m11less_div_10IiEEE10hipError_tT0_T1_T2_jT3_P12ihipStream_tbPNSt15iterator_traitsISJ_E10value_typeEPNSP_ISK_E10value_typeEPSL_NS1_7vsmem_tEENKUlT_SJ_SK_SL_E_clIPiSE_SF_SF_EESI_SY_SJ_SK_SL_EUlSY_E1_NS1_11comp_targetILNS1_3genE2ELNS1_11target_archE906ELNS1_3gpuE6ELNS1_3repE0EEENS1_36merge_oddeven_config_static_selectorELNS0_4arch9wavefront6targetE0EEEvSK_,comdat
.Lfunc_end450:
	.size	_ZN7rocprim17ROCPRIM_400000_NS6detail17trampoline_kernelINS0_14default_configENS1_38merge_sort_block_merge_config_selectorIiNS0_10empty_typeEEEZZNS1_27merge_sort_block_merge_implIS3_N6thrust23THRUST_200600_302600_NS6detail15normal_iteratorINS9_10device_ptrIiEEEEPS5_m11less_div_10IiEEE10hipError_tT0_T1_T2_jT3_P12ihipStream_tbPNSt15iterator_traitsISJ_E10value_typeEPNSP_ISK_E10value_typeEPSL_NS1_7vsmem_tEENKUlT_SJ_SK_SL_E_clIPiSE_SF_SF_EESI_SY_SJ_SK_SL_EUlSY_E1_NS1_11comp_targetILNS1_3genE2ELNS1_11target_archE906ELNS1_3gpuE6ELNS1_3repE0EEENS1_36merge_oddeven_config_static_selectorELNS0_4arch9wavefront6targetE0EEEvSK_, .Lfunc_end450-_ZN7rocprim17ROCPRIM_400000_NS6detail17trampoline_kernelINS0_14default_configENS1_38merge_sort_block_merge_config_selectorIiNS0_10empty_typeEEEZZNS1_27merge_sort_block_merge_implIS3_N6thrust23THRUST_200600_302600_NS6detail15normal_iteratorINS9_10device_ptrIiEEEEPS5_m11less_div_10IiEEE10hipError_tT0_T1_T2_jT3_P12ihipStream_tbPNSt15iterator_traitsISJ_E10value_typeEPNSP_ISK_E10value_typeEPSL_NS1_7vsmem_tEENKUlT_SJ_SK_SL_E_clIPiSE_SF_SF_EESI_SY_SJ_SK_SL_EUlSY_E1_NS1_11comp_targetILNS1_3genE2ELNS1_11target_archE906ELNS1_3gpuE6ELNS1_3repE0EEENS1_36merge_oddeven_config_static_selectorELNS0_4arch9wavefront6targetE0EEEvSK_
                                        ; -- End function
	.set _ZN7rocprim17ROCPRIM_400000_NS6detail17trampoline_kernelINS0_14default_configENS1_38merge_sort_block_merge_config_selectorIiNS0_10empty_typeEEEZZNS1_27merge_sort_block_merge_implIS3_N6thrust23THRUST_200600_302600_NS6detail15normal_iteratorINS9_10device_ptrIiEEEEPS5_m11less_div_10IiEEE10hipError_tT0_T1_T2_jT3_P12ihipStream_tbPNSt15iterator_traitsISJ_E10value_typeEPNSP_ISK_E10value_typeEPSL_NS1_7vsmem_tEENKUlT_SJ_SK_SL_E_clIPiSE_SF_SF_EESI_SY_SJ_SK_SL_EUlSY_E1_NS1_11comp_targetILNS1_3genE2ELNS1_11target_archE906ELNS1_3gpuE6ELNS1_3repE0EEENS1_36merge_oddeven_config_static_selectorELNS0_4arch9wavefront6targetE0EEEvSK_.num_vgpr, 0
	.set _ZN7rocprim17ROCPRIM_400000_NS6detail17trampoline_kernelINS0_14default_configENS1_38merge_sort_block_merge_config_selectorIiNS0_10empty_typeEEEZZNS1_27merge_sort_block_merge_implIS3_N6thrust23THRUST_200600_302600_NS6detail15normal_iteratorINS9_10device_ptrIiEEEEPS5_m11less_div_10IiEEE10hipError_tT0_T1_T2_jT3_P12ihipStream_tbPNSt15iterator_traitsISJ_E10value_typeEPNSP_ISK_E10value_typeEPSL_NS1_7vsmem_tEENKUlT_SJ_SK_SL_E_clIPiSE_SF_SF_EESI_SY_SJ_SK_SL_EUlSY_E1_NS1_11comp_targetILNS1_3genE2ELNS1_11target_archE906ELNS1_3gpuE6ELNS1_3repE0EEENS1_36merge_oddeven_config_static_selectorELNS0_4arch9wavefront6targetE0EEEvSK_.num_agpr, 0
	.set _ZN7rocprim17ROCPRIM_400000_NS6detail17trampoline_kernelINS0_14default_configENS1_38merge_sort_block_merge_config_selectorIiNS0_10empty_typeEEEZZNS1_27merge_sort_block_merge_implIS3_N6thrust23THRUST_200600_302600_NS6detail15normal_iteratorINS9_10device_ptrIiEEEEPS5_m11less_div_10IiEEE10hipError_tT0_T1_T2_jT3_P12ihipStream_tbPNSt15iterator_traitsISJ_E10value_typeEPNSP_ISK_E10value_typeEPSL_NS1_7vsmem_tEENKUlT_SJ_SK_SL_E_clIPiSE_SF_SF_EESI_SY_SJ_SK_SL_EUlSY_E1_NS1_11comp_targetILNS1_3genE2ELNS1_11target_archE906ELNS1_3gpuE6ELNS1_3repE0EEENS1_36merge_oddeven_config_static_selectorELNS0_4arch9wavefront6targetE0EEEvSK_.numbered_sgpr, 0
	.set _ZN7rocprim17ROCPRIM_400000_NS6detail17trampoline_kernelINS0_14default_configENS1_38merge_sort_block_merge_config_selectorIiNS0_10empty_typeEEEZZNS1_27merge_sort_block_merge_implIS3_N6thrust23THRUST_200600_302600_NS6detail15normal_iteratorINS9_10device_ptrIiEEEEPS5_m11less_div_10IiEEE10hipError_tT0_T1_T2_jT3_P12ihipStream_tbPNSt15iterator_traitsISJ_E10value_typeEPNSP_ISK_E10value_typeEPSL_NS1_7vsmem_tEENKUlT_SJ_SK_SL_E_clIPiSE_SF_SF_EESI_SY_SJ_SK_SL_EUlSY_E1_NS1_11comp_targetILNS1_3genE2ELNS1_11target_archE906ELNS1_3gpuE6ELNS1_3repE0EEENS1_36merge_oddeven_config_static_selectorELNS0_4arch9wavefront6targetE0EEEvSK_.num_named_barrier, 0
	.set _ZN7rocprim17ROCPRIM_400000_NS6detail17trampoline_kernelINS0_14default_configENS1_38merge_sort_block_merge_config_selectorIiNS0_10empty_typeEEEZZNS1_27merge_sort_block_merge_implIS3_N6thrust23THRUST_200600_302600_NS6detail15normal_iteratorINS9_10device_ptrIiEEEEPS5_m11less_div_10IiEEE10hipError_tT0_T1_T2_jT3_P12ihipStream_tbPNSt15iterator_traitsISJ_E10value_typeEPNSP_ISK_E10value_typeEPSL_NS1_7vsmem_tEENKUlT_SJ_SK_SL_E_clIPiSE_SF_SF_EESI_SY_SJ_SK_SL_EUlSY_E1_NS1_11comp_targetILNS1_3genE2ELNS1_11target_archE906ELNS1_3gpuE6ELNS1_3repE0EEENS1_36merge_oddeven_config_static_selectorELNS0_4arch9wavefront6targetE0EEEvSK_.private_seg_size, 0
	.set _ZN7rocprim17ROCPRIM_400000_NS6detail17trampoline_kernelINS0_14default_configENS1_38merge_sort_block_merge_config_selectorIiNS0_10empty_typeEEEZZNS1_27merge_sort_block_merge_implIS3_N6thrust23THRUST_200600_302600_NS6detail15normal_iteratorINS9_10device_ptrIiEEEEPS5_m11less_div_10IiEEE10hipError_tT0_T1_T2_jT3_P12ihipStream_tbPNSt15iterator_traitsISJ_E10value_typeEPNSP_ISK_E10value_typeEPSL_NS1_7vsmem_tEENKUlT_SJ_SK_SL_E_clIPiSE_SF_SF_EESI_SY_SJ_SK_SL_EUlSY_E1_NS1_11comp_targetILNS1_3genE2ELNS1_11target_archE906ELNS1_3gpuE6ELNS1_3repE0EEENS1_36merge_oddeven_config_static_selectorELNS0_4arch9wavefront6targetE0EEEvSK_.uses_vcc, 0
	.set _ZN7rocprim17ROCPRIM_400000_NS6detail17trampoline_kernelINS0_14default_configENS1_38merge_sort_block_merge_config_selectorIiNS0_10empty_typeEEEZZNS1_27merge_sort_block_merge_implIS3_N6thrust23THRUST_200600_302600_NS6detail15normal_iteratorINS9_10device_ptrIiEEEEPS5_m11less_div_10IiEEE10hipError_tT0_T1_T2_jT3_P12ihipStream_tbPNSt15iterator_traitsISJ_E10value_typeEPNSP_ISK_E10value_typeEPSL_NS1_7vsmem_tEENKUlT_SJ_SK_SL_E_clIPiSE_SF_SF_EESI_SY_SJ_SK_SL_EUlSY_E1_NS1_11comp_targetILNS1_3genE2ELNS1_11target_archE906ELNS1_3gpuE6ELNS1_3repE0EEENS1_36merge_oddeven_config_static_selectorELNS0_4arch9wavefront6targetE0EEEvSK_.uses_flat_scratch, 0
	.set _ZN7rocprim17ROCPRIM_400000_NS6detail17trampoline_kernelINS0_14default_configENS1_38merge_sort_block_merge_config_selectorIiNS0_10empty_typeEEEZZNS1_27merge_sort_block_merge_implIS3_N6thrust23THRUST_200600_302600_NS6detail15normal_iteratorINS9_10device_ptrIiEEEEPS5_m11less_div_10IiEEE10hipError_tT0_T1_T2_jT3_P12ihipStream_tbPNSt15iterator_traitsISJ_E10value_typeEPNSP_ISK_E10value_typeEPSL_NS1_7vsmem_tEENKUlT_SJ_SK_SL_E_clIPiSE_SF_SF_EESI_SY_SJ_SK_SL_EUlSY_E1_NS1_11comp_targetILNS1_3genE2ELNS1_11target_archE906ELNS1_3gpuE6ELNS1_3repE0EEENS1_36merge_oddeven_config_static_selectorELNS0_4arch9wavefront6targetE0EEEvSK_.has_dyn_sized_stack, 0
	.set _ZN7rocprim17ROCPRIM_400000_NS6detail17trampoline_kernelINS0_14default_configENS1_38merge_sort_block_merge_config_selectorIiNS0_10empty_typeEEEZZNS1_27merge_sort_block_merge_implIS3_N6thrust23THRUST_200600_302600_NS6detail15normal_iteratorINS9_10device_ptrIiEEEEPS5_m11less_div_10IiEEE10hipError_tT0_T1_T2_jT3_P12ihipStream_tbPNSt15iterator_traitsISJ_E10value_typeEPNSP_ISK_E10value_typeEPSL_NS1_7vsmem_tEENKUlT_SJ_SK_SL_E_clIPiSE_SF_SF_EESI_SY_SJ_SK_SL_EUlSY_E1_NS1_11comp_targetILNS1_3genE2ELNS1_11target_archE906ELNS1_3gpuE6ELNS1_3repE0EEENS1_36merge_oddeven_config_static_selectorELNS0_4arch9wavefront6targetE0EEEvSK_.has_recursion, 0
	.set _ZN7rocprim17ROCPRIM_400000_NS6detail17trampoline_kernelINS0_14default_configENS1_38merge_sort_block_merge_config_selectorIiNS0_10empty_typeEEEZZNS1_27merge_sort_block_merge_implIS3_N6thrust23THRUST_200600_302600_NS6detail15normal_iteratorINS9_10device_ptrIiEEEEPS5_m11less_div_10IiEEE10hipError_tT0_T1_T2_jT3_P12ihipStream_tbPNSt15iterator_traitsISJ_E10value_typeEPNSP_ISK_E10value_typeEPSL_NS1_7vsmem_tEENKUlT_SJ_SK_SL_E_clIPiSE_SF_SF_EESI_SY_SJ_SK_SL_EUlSY_E1_NS1_11comp_targetILNS1_3genE2ELNS1_11target_archE906ELNS1_3gpuE6ELNS1_3repE0EEENS1_36merge_oddeven_config_static_selectorELNS0_4arch9wavefront6targetE0EEEvSK_.has_indirect_call, 0
	.section	.AMDGPU.csdata,"",@progbits
; Kernel info:
; codeLenInByte = 0
; TotalNumSgprs: 0
; NumVgprs: 0
; ScratchSize: 0
; MemoryBound: 0
; FloatMode: 240
; IeeeMode: 1
; LDSByteSize: 0 bytes/workgroup (compile time only)
; SGPRBlocks: 0
; VGPRBlocks: 0
; NumSGPRsForWavesPerEU: 1
; NumVGPRsForWavesPerEU: 1
; Occupancy: 16
; WaveLimiterHint : 0
; COMPUTE_PGM_RSRC2:SCRATCH_EN: 0
; COMPUTE_PGM_RSRC2:USER_SGPR: 6
; COMPUTE_PGM_RSRC2:TRAP_HANDLER: 0
; COMPUTE_PGM_RSRC2:TGID_X_EN: 1
; COMPUTE_PGM_RSRC2:TGID_Y_EN: 0
; COMPUTE_PGM_RSRC2:TGID_Z_EN: 0
; COMPUTE_PGM_RSRC2:TIDIG_COMP_CNT: 0
	.section	.text._ZN7rocprim17ROCPRIM_400000_NS6detail17trampoline_kernelINS0_14default_configENS1_38merge_sort_block_merge_config_selectorIiNS0_10empty_typeEEEZZNS1_27merge_sort_block_merge_implIS3_N6thrust23THRUST_200600_302600_NS6detail15normal_iteratorINS9_10device_ptrIiEEEEPS5_m11less_div_10IiEEE10hipError_tT0_T1_T2_jT3_P12ihipStream_tbPNSt15iterator_traitsISJ_E10value_typeEPNSP_ISK_E10value_typeEPSL_NS1_7vsmem_tEENKUlT_SJ_SK_SL_E_clIPiSE_SF_SF_EESI_SY_SJ_SK_SL_EUlSY_E1_NS1_11comp_targetILNS1_3genE9ELNS1_11target_archE1100ELNS1_3gpuE3ELNS1_3repE0EEENS1_36merge_oddeven_config_static_selectorELNS0_4arch9wavefront6targetE0EEEvSK_,"axG",@progbits,_ZN7rocprim17ROCPRIM_400000_NS6detail17trampoline_kernelINS0_14default_configENS1_38merge_sort_block_merge_config_selectorIiNS0_10empty_typeEEEZZNS1_27merge_sort_block_merge_implIS3_N6thrust23THRUST_200600_302600_NS6detail15normal_iteratorINS9_10device_ptrIiEEEEPS5_m11less_div_10IiEEE10hipError_tT0_T1_T2_jT3_P12ihipStream_tbPNSt15iterator_traitsISJ_E10value_typeEPNSP_ISK_E10value_typeEPSL_NS1_7vsmem_tEENKUlT_SJ_SK_SL_E_clIPiSE_SF_SF_EESI_SY_SJ_SK_SL_EUlSY_E1_NS1_11comp_targetILNS1_3genE9ELNS1_11target_archE1100ELNS1_3gpuE3ELNS1_3repE0EEENS1_36merge_oddeven_config_static_selectorELNS0_4arch9wavefront6targetE0EEEvSK_,comdat
	.protected	_ZN7rocprim17ROCPRIM_400000_NS6detail17trampoline_kernelINS0_14default_configENS1_38merge_sort_block_merge_config_selectorIiNS0_10empty_typeEEEZZNS1_27merge_sort_block_merge_implIS3_N6thrust23THRUST_200600_302600_NS6detail15normal_iteratorINS9_10device_ptrIiEEEEPS5_m11less_div_10IiEEE10hipError_tT0_T1_T2_jT3_P12ihipStream_tbPNSt15iterator_traitsISJ_E10value_typeEPNSP_ISK_E10value_typeEPSL_NS1_7vsmem_tEENKUlT_SJ_SK_SL_E_clIPiSE_SF_SF_EESI_SY_SJ_SK_SL_EUlSY_E1_NS1_11comp_targetILNS1_3genE9ELNS1_11target_archE1100ELNS1_3gpuE3ELNS1_3repE0EEENS1_36merge_oddeven_config_static_selectorELNS0_4arch9wavefront6targetE0EEEvSK_ ; -- Begin function _ZN7rocprim17ROCPRIM_400000_NS6detail17trampoline_kernelINS0_14default_configENS1_38merge_sort_block_merge_config_selectorIiNS0_10empty_typeEEEZZNS1_27merge_sort_block_merge_implIS3_N6thrust23THRUST_200600_302600_NS6detail15normal_iteratorINS9_10device_ptrIiEEEEPS5_m11less_div_10IiEEE10hipError_tT0_T1_T2_jT3_P12ihipStream_tbPNSt15iterator_traitsISJ_E10value_typeEPNSP_ISK_E10value_typeEPSL_NS1_7vsmem_tEENKUlT_SJ_SK_SL_E_clIPiSE_SF_SF_EESI_SY_SJ_SK_SL_EUlSY_E1_NS1_11comp_targetILNS1_3genE9ELNS1_11target_archE1100ELNS1_3gpuE3ELNS1_3repE0EEENS1_36merge_oddeven_config_static_selectorELNS0_4arch9wavefront6targetE0EEEvSK_
	.globl	_ZN7rocprim17ROCPRIM_400000_NS6detail17trampoline_kernelINS0_14default_configENS1_38merge_sort_block_merge_config_selectorIiNS0_10empty_typeEEEZZNS1_27merge_sort_block_merge_implIS3_N6thrust23THRUST_200600_302600_NS6detail15normal_iteratorINS9_10device_ptrIiEEEEPS5_m11less_div_10IiEEE10hipError_tT0_T1_T2_jT3_P12ihipStream_tbPNSt15iterator_traitsISJ_E10value_typeEPNSP_ISK_E10value_typeEPSL_NS1_7vsmem_tEENKUlT_SJ_SK_SL_E_clIPiSE_SF_SF_EESI_SY_SJ_SK_SL_EUlSY_E1_NS1_11comp_targetILNS1_3genE9ELNS1_11target_archE1100ELNS1_3gpuE3ELNS1_3repE0EEENS1_36merge_oddeven_config_static_selectorELNS0_4arch9wavefront6targetE0EEEvSK_
	.p2align	8
	.type	_ZN7rocprim17ROCPRIM_400000_NS6detail17trampoline_kernelINS0_14default_configENS1_38merge_sort_block_merge_config_selectorIiNS0_10empty_typeEEEZZNS1_27merge_sort_block_merge_implIS3_N6thrust23THRUST_200600_302600_NS6detail15normal_iteratorINS9_10device_ptrIiEEEEPS5_m11less_div_10IiEEE10hipError_tT0_T1_T2_jT3_P12ihipStream_tbPNSt15iterator_traitsISJ_E10value_typeEPNSP_ISK_E10value_typeEPSL_NS1_7vsmem_tEENKUlT_SJ_SK_SL_E_clIPiSE_SF_SF_EESI_SY_SJ_SK_SL_EUlSY_E1_NS1_11comp_targetILNS1_3genE9ELNS1_11target_archE1100ELNS1_3gpuE3ELNS1_3repE0EEENS1_36merge_oddeven_config_static_selectorELNS0_4arch9wavefront6targetE0EEEvSK_,@function
_ZN7rocprim17ROCPRIM_400000_NS6detail17trampoline_kernelINS0_14default_configENS1_38merge_sort_block_merge_config_selectorIiNS0_10empty_typeEEEZZNS1_27merge_sort_block_merge_implIS3_N6thrust23THRUST_200600_302600_NS6detail15normal_iteratorINS9_10device_ptrIiEEEEPS5_m11less_div_10IiEEE10hipError_tT0_T1_T2_jT3_P12ihipStream_tbPNSt15iterator_traitsISJ_E10value_typeEPNSP_ISK_E10value_typeEPSL_NS1_7vsmem_tEENKUlT_SJ_SK_SL_E_clIPiSE_SF_SF_EESI_SY_SJ_SK_SL_EUlSY_E1_NS1_11comp_targetILNS1_3genE9ELNS1_11target_archE1100ELNS1_3gpuE3ELNS1_3repE0EEENS1_36merge_oddeven_config_static_selectorELNS0_4arch9wavefront6targetE0EEEvSK_: ; @_ZN7rocprim17ROCPRIM_400000_NS6detail17trampoline_kernelINS0_14default_configENS1_38merge_sort_block_merge_config_selectorIiNS0_10empty_typeEEEZZNS1_27merge_sort_block_merge_implIS3_N6thrust23THRUST_200600_302600_NS6detail15normal_iteratorINS9_10device_ptrIiEEEEPS5_m11less_div_10IiEEE10hipError_tT0_T1_T2_jT3_P12ihipStream_tbPNSt15iterator_traitsISJ_E10value_typeEPNSP_ISK_E10value_typeEPSL_NS1_7vsmem_tEENKUlT_SJ_SK_SL_E_clIPiSE_SF_SF_EESI_SY_SJ_SK_SL_EUlSY_E1_NS1_11comp_targetILNS1_3genE9ELNS1_11target_archE1100ELNS1_3gpuE3ELNS1_3repE0EEENS1_36merge_oddeven_config_static_selectorELNS0_4arch9wavefront6targetE0EEEvSK_
; %bb.0:
	.section	.rodata,"a",@progbits
	.p2align	6, 0x0
	.amdhsa_kernel _ZN7rocprim17ROCPRIM_400000_NS6detail17trampoline_kernelINS0_14default_configENS1_38merge_sort_block_merge_config_selectorIiNS0_10empty_typeEEEZZNS1_27merge_sort_block_merge_implIS3_N6thrust23THRUST_200600_302600_NS6detail15normal_iteratorINS9_10device_ptrIiEEEEPS5_m11less_div_10IiEEE10hipError_tT0_T1_T2_jT3_P12ihipStream_tbPNSt15iterator_traitsISJ_E10value_typeEPNSP_ISK_E10value_typeEPSL_NS1_7vsmem_tEENKUlT_SJ_SK_SL_E_clIPiSE_SF_SF_EESI_SY_SJ_SK_SL_EUlSY_E1_NS1_11comp_targetILNS1_3genE9ELNS1_11target_archE1100ELNS1_3gpuE3ELNS1_3repE0EEENS1_36merge_oddeven_config_static_selectorELNS0_4arch9wavefront6targetE0EEEvSK_
		.amdhsa_group_segment_fixed_size 0
		.amdhsa_private_segment_fixed_size 0
		.amdhsa_kernarg_size 56
		.amdhsa_user_sgpr_count 6
		.amdhsa_user_sgpr_private_segment_buffer 1
		.amdhsa_user_sgpr_dispatch_ptr 0
		.amdhsa_user_sgpr_queue_ptr 0
		.amdhsa_user_sgpr_kernarg_segment_ptr 1
		.amdhsa_user_sgpr_dispatch_id 0
		.amdhsa_user_sgpr_flat_scratch_init 0
		.amdhsa_user_sgpr_private_segment_size 0
		.amdhsa_wavefront_size32 1
		.amdhsa_uses_dynamic_stack 0
		.amdhsa_system_sgpr_private_segment_wavefront_offset 0
		.amdhsa_system_sgpr_workgroup_id_x 1
		.amdhsa_system_sgpr_workgroup_id_y 0
		.amdhsa_system_sgpr_workgroup_id_z 0
		.amdhsa_system_sgpr_workgroup_info 0
		.amdhsa_system_vgpr_workitem_id 0
		.amdhsa_next_free_vgpr 1
		.amdhsa_next_free_sgpr 1
		.amdhsa_reserve_vcc 0
		.amdhsa_reserve_flat_scratch 0
		.amdhsa_float_round_mode_32 0
		.amdhsa_float_round_mode_16_64 0
		.amdhsa_float_denorm_mode_32 3
		.amdhsa_float_denorm_mode_16_64 3
		.amdhsa_dx10_clamp 1
		.amdhsa_ieee_mode 1
		.amdhsa_fp16_overflow 0
		.amdhsa_workgroup_processor_mode 1
		.amdhsa_memory_ordered 1
		.amdhsa_forward_progress 1
		.amdhsa_shared_vgpr_count 0
		.amdhsa_exception_fp_ieee_invalid_op 0
		.amdhsa_exception_fp_denorm_src 0
		.amdhsa_exception_fp_ieee_div_zero 0
		.amdhsa_exception_fp_ieee_overflow 0
		.amdhsa_exception_fp_ieee_underflow 0
		.amdhsa_exception_fp_ieee_inexact 0
		.amdhsa_exception_int_div_zero 0
	.end_amdhsa_kernel
	.section	.text._ZN7rocprim17ROCPRIM_400000_NS6detail17trampoline_kernelINS0_14default_configENS1_38merge_sort_block_merge_config_selectorIiNS0_10empty_typeEEEZZNS1_27merge_sort_block_merge_implIS3_N6thrust23THRUST_200600_302600_NS6detail15normal_iteratorINS9_10device_ptrIiEEEEPS5_m11less_div_10IiEEE10hipError_tT0_T1_T2_jT3_P12ihipStream_tbPNSt15iterator_traitsISJ_E10value_typeEPNSP_ISK_E10value_typeEPSL_NS1_7vsmem_tEENKUlT_SJ_SK_SL_E_clIPiSE_SF_SF_EESI_SY_SJ_SK_SL_EUlSY_E1_NS1_11comp_targetILNS1_3genE9ELNS1_11target_archE1100ELNS1_3gpuE3ELNS1_3repE0EEENS1_36merge_oddeven_config_static_selectorELNS0_4arch9wavefront6targetE0EEEvSK_,"axG",@progbits,_ZN7rocprim17ROCPRIM_400000_NS6detail17trampoline_kernelINS0_14default_configENS1_38merge_sort_block_merge_config_selectorIiNS0_10empty_typeEEEZZNS1_27merge_sort_block_merge_implIS3_N6thrust23THRUST_200600_302600_NS6detail15normal_iteratorINS9_10device_ptrIiEEEEPS5_m11less_div_10IiEEE10hipError_tT0_T1_T2_jT3_P12ihipStream_tbPNSt15iterator_traitsISJ_E10value_typeEPNSP_ISK_E10value_typeEPSL_NS1_7vsmem_tEENKUlT_SJ_SK_SL_E_clIPiSE_SF_SF_EESI_SY_SJ_SK_SL_EUlSY_E1_NS1_11comp_targetILNS1_3genE9ELNS1_11target_archE1100ELNS1_3gpuE3ELNS1_3repE0EEENS1_36merge_oddeven_config_static_selectorELNS0_4arch9wavefront6targetE0EEEvSK_,comdat
.Lfunc_end451:
	.size	_ZN7rocprim17ROCPRIM_400000_NS6detail17trampoline_kernelINS0_14default_configENS1_38merge_sort_block_merge_config_selectorIiNS0_10empty_typeEEEZZNS1_27merge_sort_block_merge_implIS3_N6thrust23THRUST_200600_302600_NS6detail15normal_iteratorINS9_10device_ptrIiEEEEPS5_m11less_div_10IiEEE10hipError_tT0_T1_T2_jT3_P12ihipStream_tbPNSt15iterator_traitsISJ_E10value_typeEPNSP_ISK_E10value_typeEPSL_NS1_7vsmem_tEENKUlT_SJ_SK_SL_E_clIPiSE_SF_SF_EESI_SY_SJ_SK_SL_EUlSY_E1_NS1_11comp_targetILNS1_3genE9ELNS1_11target_archE1100ELNS1_3gpuE3ELNS1_3repE0EEENS1_36merge_oddeven_config_static_selectorELNS0_4arch9wavefront6targetE0EEEvSK_, .Lfunc_end451-_ZN7rocprim17ROCPRIM_400000_NS6detail17trampoline_kernelINS0_14default_configENS1_38merge_sort_block_merge_config_selectorIiNS0_10empty_typeEEEZZNS1_27merge_sort_block_merge_implIS3_N6thrust23THRUST_200600_302600_NS6detail15normal_iteratorINS9_10device_ptrIiEEEEPS5_m11less_div_10IiEEE10hipError_tT0_T1_T2_jT3_P12ihipStream_tbPNSt15iterator_traitsISJ_E10value_typeEPNSP_ISK_E10value_typeEPSL_NS1_7vsmem_tEENKUlT_SJ_SK_SL_E_clIPiSE_SF_SF_EESI_SY_SJ_SK_SL_EUlSY_E1_NS1_11comp_targetILNS1_3genE9ELNS1_11target_archE1100ELNS1_3gpuE3ELNS1_3repE0EEENS1_36merge_oddeven_config_static_selectorELNS0_4arch9wavefront6targetE0EEEvSK_
                                        ; -- End function
	.set _ZN7rocprim17ROCPRIM_400000_NS6detail17trampoline_kernelINS0_14default_configENS1_38merge_sort_block_merge_config_selectorIiNS0_10empty_typeEEEZZNS1_27merge_sort_block_merge_implIS3_N6thrust23THRUST_200600_302600_NS6detail15normal_iteratorINS9_10device_ptrIiEEEEPS5_m11less_div_10IiEEE10hipError_tT0_T1_T2_jT3_P12ihipStream_tbPNSt15iterator_traitsISJ_E10value_typeEPNSP_ISK_E10value_typeEPSL_NS1_7vsmem_tEENKUlT_SJ_SK_SL_E_clIPiSE_SF_SF_EESI_SY_SJ_SK_SL_EUlSY_E1_NS1_11comp_targetILNS1_3genE9ELNS1_11target_archE1100ELNS1_3gpuE3ELNS1_3repE0EEENS1_36merge_oddeven_config_static_selectorELNS0_4arch9wavefront6targetE0EEEvSK_.num_vgpr, 0
	.set _ZN7rocprim17ROCPRIM_400000_NS6detail17trampoline_kernelINS0_14default_configENS1_38merge_sort_block_merge_config_selectorIiNS0_10empty_typeEEEZZNS1_27merge_sort_block_merge_implIS3_N6thrust23THRUST_200600_302600_NS6detail15normal_iteratorINS9_10device_ptrIiEEEEPS5_m11less_div_10IiEEE10hipError_tT0_T1_T2_jT3_P12ihipStream_tbPNSt15iterator_traitsISJ_E10value_typeEPNSP_ISK_E10value_typeEPSL_NS1_7vsmem_tEENKUlT_SJ_SK_SL_E_clIPiSE_SF_SF_EESI_SY_SJ_SK_SL_EUlSY_E1_NS1_11comp_targetILNS1_3genE9ELNS1_11target_archE1100ELNS1_3gpuE3ELNS1_3repE0EEENS1_36merge_oddeven_config_static_selectorELNS0_4arch9wavefront6targetE0EEEvSK_.num_agpr, 0
	.set _ZN7rocprim17ROCPRIM_400000_NS6detail17trampoline_kernelINS0_14default_configENS1_38merge_sort_block_merge_config_selectorIiNS0_10empty_typeEEEZZNS1_27merge_sort_block_merge_implIS3_N6thrust23THRUST_200600_302600_NS6detail15normal_iteratorINS9_10device_ptrIiEEEEPS5_m11less_div_10IiEEE10hipError_tT0_T1_T2_jT3_P12ihipStream_tbPNSt15iterator_traitsISJ_E10value_typeEPNSP_ISK_E10value_typeEPSL_NS1_7vsmem_tEENKUlT_SJ_SK_SL_E_clIPiSE_SF_SF_EESI_SY_SJ_SK_SL_EUlSY_E1_NS1_11comp_targetILNS1_3genE9ELNS1_11target_archE1100ELNS1_3gpuE3ELNS1_3repE0EEENS1_36merge_oddeven_config_static_selectorELNS0_4arch9wavefront6targetE0EEEvSK_.numbered_sgpr, 0
	.set _ZN7rocprim17ROCPRIM_400000_NS6detail17trampoline_kernelINS0_14default_configENS1_38merge_sort_block_merge_config_selectorIiNS0_10empty_typeEEEZZNS1_27merge_sort_block_merge_implIS3_N6thrust23THRUST_200600_302600_NS6detail15normal_iteratorINS9_10device_ptrIiEEEEPS5_m11less_div_10IiEEE10hipError_tT0_T1_T2_jT3_P12ihipStream_tbPNSt15iterator_traitsISJ_E10value_typeEPNSP_ISK_E10value_typeEPSL_NS1_7vsmem_tEENKUlT_SJ_SK_SL_E_clIPiSE_SF_SF_EESI_SY_SJ_SK_SL_EUlSY_E1_NS1_11comp_targetILNS1_3genE9ELNS1_11target_archE1100ELNS1_3gpuE3ELNS1_3repE0EEENS1_36merge_oddeven_config_static_selectorELNS0_4arch9wavefront6targetE0EEEvSK_.num_named_barrier, 0
	.set _ZN7rocprim17ROCPRIM_400000_NS6detail17trampoline_kernelINS0_14default_configENS1_38merge_sort_block_merge_config_selectorIiNS0_10empty_typeEEEZZNS1_27merge_sort_block_merge_implIS3_N6thrust23THRUST_200600_302600_NS6detail15normal_iteratorINS9_10device_ptrIiEEEEPS5_m11less_div_10IiEEE10hipError_tT0_T1_T2_jT3_P12ihipStream_tbPNSt15iterator_traitsISJ_E10value_typeEPNSP_ISK_E10value_typeEPSL_NS1_7vsmem_tEENKUlT_SJ_SK_SL_E_clIPiSE_SF_SF_EESI_SY_SJ_SK_SL_EUlSY_E1_NS1_11comp_targetILNS1_3genE9ELNS1_11target_archE1100ELNS1_3gpuE3ELNS1_3repE0EEENS1_36merge_oddeven_config_static_selectorELNS0_4arch9wavefront6targetE0EEEvSK_.private_seg_size, 0
	.set _ZN7rocprim17ROCPRIM_400000_NS6detail17trampoline_kernelINS0_14default_configENS1_38merge_sort_block_merge_config_selectorIiNS0_10empty_typeEEEZZNS1_27merge_sort_block_merge_implIS3_N6thrust23THRUST_200600_302600_NS6detail15normal_iteratorINS9_10device_ptrIiEEEEPS5_m11less_div_10IiEEE10hipError_tT0_T1_T2_jT3_P12ihipStream_tbPNSt15iterator_traitsISJ_E10value_typeEPNSP_ISK_E10value_typeEPSL_NS1_7vsmem_tEENKUlT_SJ_SK_SL_E_clIPiSE_SF_SF_EESI_SY_SJ_SK_SL_EUlSY_E1_NS1_11comp_targetILNS1_3genE9ELNS1_11target_archE1100ELNS1_3gpuE3ELNS1_3repE0EEENS1_36merge_oddeven_config_static_selectorELNS0_4arch9wavefront6targetE0EEEvSK_.uses_vcc, 0
	.set _ZN7rocprim17ROCPRIM_400000_NS6detail17trampoline_kernelINS0_14default_configENS1_38merge_sort_block_merge_config_selectorIiNS0_10empty_typeEEEZZNS1_27merge_sort_block_merge_implIS3_N6thrust23THRUST_200600_302600_NS6detail15normal_iteratorINS9_10device_ptrIiEEEEPS5_m11less_div_10IiEEE10hipError_tT0_T1_T2_jT3_P12ihipStream_tbPNSt15iterator_traitsISJ_E10value_typeEPNSP_ISK_E10value_typeEPSL_NS1_7vsmem_tEENKUlT_SJ_SK_SL_E_clIPiSE_SF_SF_EESI_SY_SJ_SK_SL_EUlSY_E1_NS1_11comp_targetILNS1_3genE9ELNS1_11target_archE1100ELNS1_3gpuE3ELNS1_3repE0EEENS1_36merge_oddeven_config_static_selectorELNS0_4arch9wavefront6targetE0EEEvSK_.uses_flat_scratch, 0
	.set _ZN7rocprim17ROCPRIM_400000_NS6detail17trampoline_kernelINS0_14default_configENS1_38merge_sort_block_merge_config_selectorIiNS0_10empty_typeEEEZZNS1_27merge_sort_block_merge_implIS3_N6thrust23THRUST_200600_302600_NS6detail15normal_iteratorINS9_10device_ptrIiEEEEPS5_m11less_div_10IiEEE10hipError_tT0_T1_T2_jT3_P12ihipStream_tbPNSt15iterator_traitsISJ_E10value_typeEPNSP_ISK_E10value_typeEPSL_NS1_7vsmem_tEENKUlT_SJ_SK_SL_E_clIPiSE_SF_SF_EESI_SY_SJ_SK_SL_EUlSY_E1_NS1_11comp_targetILNS1_3genE9ELNS1_11target_archE1100ELNS1_3gpuE3ELNS1_3repE0EEENS1_36merge_oddeven_config_static_selectorELNS0_4arch9wavefront6targetE0EEEvSK_.has_dyn_sized_stack, 0
	.set _ZN7rocprim17ROCPRIM_400000_NS6detail17trampoline_kernelINS0_14default_configENS1_38merge_sort_block_merge_config_selectorIiNS0_10empty_typeEEEZZNS1_27merge_sort_block_merge_implIS3_N6thrust23THRUST_200600_302600_NS6detail15normal_iteratorINS9_10device_ptrIiEEEEPS5_m11less_div_10IiEEE10hipError_tT0_T1_T2_jT3_P12ihipStream_tbPNSt15iterator_traitsISJ_E10value_typeEPNSP_ISK_E10value_typeEPSL_NS1_7vsmem_tEENKUlT_SJ_SK_SL_E_clIPiSE_SF_SF_EESI_SY_SJ_SK_SL_EUlSY_E1_NS1_11comp_targetILNS1_3genE9ELNS1_11target_archE1100ELNS1_3gpuE3ELNS1_3repE0EEENS1_36merge_oddeven_config_static_selectorELNS0_4arch9wavefront6targetE0EEEvSK_.has_recursion, 0
	.set _ZN7rocprim17ROCPRIM_400000_NS6detail17trampoline_kernelINS0_14default_configENS1_38merge_sort_block_merge_config_selectorIiNS0_10empty_typeEEEZZNS1_27merge_sort_block_merge_implIS3_N6thrust23THRUST_200600_302600_NS6detail15normal_iteratorINS9_10device_ptrIiEEEEPS5_m11less_div_10IiEEE10hipError_tT0_T1_T2_jT3_P12ihipStream_tbPNSt15iterator_traitsISJ_E10value_typeEPNSP_ISK_E10value_typeEPSL_NS1_7vsmem_tEENKUlT_SJ_SK_SL_E_clIPiSE_SF_SF_EESI_SY_SJ_SK_SL_EUlSY_E1_NS1_11comp_targetILNS1_3genE9ELNS1_11target_archE1100ELNS1_3gpuE3ELNS1_3repE0EEENS1_36merge_oddeven_config_static_selectorELNS0_4arch9wavefront6targetE0EEEvSK_.has_indirect_call, 0
	.section	.AMDGPU.csdata,"",@progbits
; Kernel info:
; codeLenInByte = 0
; TotalNumSgprs: 0
; NumVgprs: 0
; ScratchSize: 0
; MemoryBound: 0
; FloatMode: 240
; IeeeMode: 1
; LDSByteSize: 0 bytes/workgroup (compile time only)
; SGPRBlocks: 0
; VGPRBlocks: 0
; NumSGPRsForWavesPerEU: 1
; NumVGPRsForWavesPerEU: 1
; Occupancy: 16
; WaveLimiterHint : 0
; COMPUTE_PGM_RSRC2:SCRATCH_EN: 0
; COMPUTE_PGM_RSRC2:USER_SGPR: 6
; COMPUTE_PGM_RSRC2:TRAP_HANDLER: 0
; COMPUTE_PGM_RSRC2:TGID_X_EN: 1
; COMPUTE_PGM_RSRC2:TGID_Y_EN: 0
; COMPUTE_PGM_RSRC2:TGID_Z_EN: 0
; COMPUTE_PGM_RSRC2:TIDIG_COMP_CNT: 0
	.section	.text._ZN7rocprim17ROCPRIM_400000_NS6detail17trampoline_kernelINS0_14default_configENS1_38merge_sort_block_merge_config_selectorIiNS0_10empty_typeEEEZZNS1_27merge_sort_block_merge_implIS3_N6thrust23THRUST_200600_302600_NS6detail15normal_iteratorINS9_10device_ptrIiEEEEPS5_m11less_div_10IiEEE10hipError_tT0_T1_T2_jT3_P12ihipStream_tbPNSt15iterator_traitsISJ_E10value_typeEPNSP_ISK_E10value_typeEPSL_NS1_7vsmem_tEENKUlT_SJ_SK_SL_E_clIPiSE_SF_SF_EESI_SY_SJ_SK_SL_EUlSY_E1_NS1_11comp_targetILNS1_3genE8ELNS1_11target_archE1030ELNS1_3gpuE2ELNS1_3repE0EEENS1_36merge_oddeven_config_static_selectorELNS0_4arch9wavefront6targetE0EEEvSK_,"axG",@progbits,_ZN7rocprim17ROCPRIM_400000_NS6detail17trampoline_kernelINS0_14default_configENS1_38merge_sort_block_merge_config_selectorIiNS0_10empty_typeEEEZZNS1_27merge_sort_block_merge_implIS3_N6thrust23THRUST_200600_302600_NS6detail15normal_iteratorINS9_10device_ptrIiEEEEPS5_m11less_div_10IiEEE10hipError_tT0_T1_T2_jT3_P12ihipStream_tbPNSt15iterator_traitsISJ_E10value_typeEPNSP_ISK_E10value_typeEPSL_NS1_7vsmem_tEENKUlT_SJ_SK_SL_E_clIPiSE_SF_SF_EESI_SY_SJ_SK_SL_EUlSY_E1_NS1_11comp_targetILNS1_3genE8ELNS1_11target_archE1030ELNS1_3gpuE2ELNS1_3repE0EEENS1_36merge_oddeven_config_static_selectorELNS0_4arch9wavefront6targetE0EEEvSK_,comdat
	.protected	_ZN7rocprim17ROCPRIM_400000_NS6detail17trampoline_kernelINS0_14default_configENS1_38merge_sort_block_merge_config_selectorIiNS0_10empty_typeEEEZZNS1_27merge_sort_block_merge_implIS3_N6thrust23THRUST_200600_302600_NS6detail15normal_iteratorINS9_10device_ptrIiEEEEPS5_m11less_div_10IiEEE10hipError_tT0_T1_T2_jT3_P12ihipStream_tbPNSt15iterator_traitsISJ_E10value_typeEPNSP_ISK_E10value_typeEPSL_NS1_7vsmem_tEENKUlT_SJ_SK_SL_E_clIPiSE_SF_SF_EESI_SY_SJ_SK_SL_EUlSY_E1_NS1_11comp_targetILNS1_3genE8ELNS1_11target_archE1030ELNS1_3gpuE2ELNS1_3repE0EEENS1_36merge_oddeven_config_static_selectorELNS0_4arch9wavefront6targetE0EEEvSK_ ; -- Begin function _ZN7rocprim17ROCPRIM_400000_NS6detail17trampoline_kernelINS0_14default_configENS1_38merge_sort_block_merge_config_selectorIiNS0_10empty_typeEEEZZNS1_27merge_sort_block_merge_implIS3_N6thrust23THRUST_200600_302600_NS6detail15normal_iteratorINS9_10device_ptrIiEEEEPS5_m11less_div_10IiEEE10hipError_tT0_T1_T2_jT3_P12ihipStream_tbPNSt15iterator_traitsISJ_E10value_typeEPNSP_ISK_E10value_typeEPSL_NS1_7vsmem_tEENKUlT_SJ_SK_SL_E_clIPiSE_SF_SF_EESI_SY_SJ_SK_SL_EUlSY_E1_NS1_11comp_targetILNS1_3genE8ELNS1_11target_archE1030ELNS1_3gpuE2ELNS1_3repE0EEENS1_36merge_oddeven_config_static_selectorELNS0_4arch9wavefront6targetE0EEEvSK_
	.globl	_ZN7rocprim17ROCPRIM_400000_NS6detail17trampoline_kernelINS0_14default_configENS1_38merge_sort_block_merge_config_selectorIiNS0_10empty_typeEEEZZNS1_27merge_sort_block_merge_implIS3_N6thrust23THRUST_200600_302600_NS6detail15normal_iteratorINS9_10device_ptrIiEEEEPS5_m11less_div_10IiEEE10hipError_tT0_T1_T2_jT3_P12ihipStream_tbPNSt15iterator_traitsISJ_E10value_typeEPNSP_ISK_E10value_typeEPSL_NS1_7vsmem_tEENKUlT_SJ_SK_SL_E_clIPiSE_SF_SF_EESI_SY_SJ_SK_SL_EUlSY_E1_NS1_11comp_targetILNS1_3genE8ELNS1_11target_archE1030ELNS1_3gpuE2ELNS1_3repE0EEENS1_36merge_oddeven_config_static_selectorELNS0_4arch9wavefront6targetE0EEEvSK_
	.p2align	8
	.type	_ZN7rocprim17ROCPRIM_400000_NS6detail17trampoline_kernelINS0_14default_configENS1_38merge_sort_block_merge_config_selectorIiNS0_10empty_typeEEEZZNS1_27merge_sort_block_merge_implIS3_N6thrust23THRUST_200600_302600_NS6detail15normal_iteratorINS9_10device_ptrIiEEEEPS5_m11less_div_10IiEEE10hipError_tT0_T1_T2_jT3_P12ihipStream_tbPNSt15iterator_traitsISJ_E10value_typeEPNSP_ISK_E10value_typeEPSL_NS1_7vsmem_tEENKUlT_SJ_SK_SL_E_clIPiSE_SF_SF_EESI_SY_SJ_SK_SL_EUlSY_E1_NS1_11comp_targetILNS1_3genE8ELNS1_11target_archE1030ELNS1_3gpuE2ELNS1_3repE0EEENS1_36merge_oddeven_config_static_selectorELNS0_4arch9wavefront6targetE0EEEvSK_,@function
_ZN7rocprim17ROCPRIM_400000_NS6detail17trampoline_kernelINS0_14default_configENS1_38merge_sort_block_merge_config_selectorIiNS0_10empty_typeEEEZZNS1_27merge_sort_block_merge_implIS3_N6thrust23THRUST_200600_302600_NS6detail15normal_iteratorINS9_10device_ptrIiEEEEPS5_m11less_div_10IiEEE10hipError_tT0_T1_T2_jT3_P12ihipStream_tbPNSt15iterator_traitsISJ_E10value_typeEPNSP_ISK_E10value_typeEPSL_NS1_7vsmem_tEENKUlT_SJ_SK_SL_E_clIPiSE_SF_SF_EESI_SY_SJ_SK_SL_EUlSY_E1_NS1_11comp_targetILNS1_3genE8ELNS1_11target_archE1030ELNS1_3gpuE2ELNS1_3repE0EEENS1_36merge_oddeven_config_static_selectorELNS0_4arch9wavefront6targetE0EEEvSK_: ; @_ZN7rocprim17ROCPRIM_400000_NS6detail17trampoline_kernelINS0_14default_configENS1_38merge_sort_block_merge_config_selectorIiNS0_10empty_typeEEEZZNS1_27merge_sort_block_merge_implIS3_N6thrust23THRUST_200600_302600_NS6detail15normal_iteratorINS9_10device_ptrIiEEEEPS5_m11less_div_10IiEEE10hipError_tT0_T1_T2_jT3_P12ihipStream_tbPNSt15iterator_traitsISJ_E10value_typeEPNSP_ISK_E10value_typeEPSL_NS1_7vsmem_tEENKUlT_SJ_SK_SL_E_clIPiSE_SF_SF_EESI_SY_SJ_SK_SL_EUlSY_E1_NS1_11comp_targetILNS1_3genE8ELNS1_11target_archE1030ELNS1_3gpuE2ELNS1_3repE0EEENS1_36merge_oddeven_config_static_selectorELNS0_4arch9wavefront6targetE0EEEvSK_
; %bb.0:
	s_load_dword s7, s[4:5], 0x20
	s_waitcnt lgkmcnt(0)
	s_lshr_b32 s0, s7, 8
	s_cmp_lg_u32 s6, s0
	s_cselect_b32 s13, -1, 0
	s_cmp_eq_u32 s6, s0
	s_cselect_b32 s12, -1, 0
	s_lshl_b32 s2, s6, 8
	s_sub_i32 s0, s7, s2
	v_cmp_gt_u32_e64 s1, s0, v0
	s_or_b32 s0, s13, s1
	s_and_saveexec_b32 s3, s0
	s_cbranch_execz .LBB452_20
; %bb.1:
	s_load_dwordx4 s[8:11], s[4:5], 0x0
	s_mov_b32 s3, 0
	v_lshlrev_b32_e32 v1, 2, v0
	s_lshl_b64 s[14:15], s[2:3], 2
	s_load_dword s5, s[4:5], 0x28
	v_add_nc_u32_e32 v0, s2, v0
	s_waitcnt lgkmcnt(0)
	s_add_u32 s14, s8, s14
	s_addc_u32 s15, s9, s15
	global_load_dword v2, v1, s[14:15]
	s_lshr_b32 s0, s5, 8
	s_sub_i32 s4, 0, s0
	s_and_b32 s4, s6, s4
	s_and_b32 s0, s4, s0
	s_lshl_b32 s6, s4, 8
	s_sub_i32 s4, 0, s5
	s_cmp_eq_u32 s0, 0
	s_cselect_b32 s0, -1, 0
	s_and_b32 s14, s0, exec_lo
	s_cselect_b32 s4, s5, s4
	s_add_i32 s4, s4, s6
	s_cmp_lt_u32 s4, s7
	s_cbranch_scc1 .LBB452_3
; %bb.2:
	v_cmp_gt_u32_e32 vcc_lo, s7, v0
	s_or_b32 s3, vcc_lo, s13
	s_and_b32 s3, s3, exec_lo
	s_cbranch_execz .LBB452_4
	s_branch .LBB452_18
.LBB452_3:
.LBB452_4:
	s_waitcnt vmcnt(0)
	v_mul_hi_i32 v1, 0x66666667, v2
	s_min_u32 s2, s4, s7
	s_and_b32 vcc_lo, exec_lo, s12
	s_add_i32 s13, s6, s2
	s_min_u32 s6, s6, s2
	v_subrev_nc_u32_e32 v0, s13, v0
	s_add_i32 s5, s2, s5
	s_min_u32 s5, s5, s7
	v_lshrrev_b32_e32 v4, 31, v1
	v_ashrrev_i32_e32 v1, 2, v1
	v_add_nc_u32_e32 v3, s6, v0
	v_add_nc_u32_e32 v4, v1, v4
	s_cbranch_vccz .LBB452_12
; %bb.5:
                                        ; implicit-def: $vgpr0
	s_and_saveexec_b32 s6, s1
	s_cbranch_execz .LBB452_11
; %bb.6:
	v_mov_b32_e32 v5, s2
	s_cmp_ge_u32 s4, s5
	s_cbranch_scc1 .LBB452_10
; %bb.7:
	v_mov_b32_e32 v6, s5
	v_mov_b32_e32 v5, s2
	;; [unrolled: 1-line block ×3, first 2 shown]
	s_mov_b32 s1, 0
	s_inst_prefetch 0x1
	.p2align	6
.LBB452_8:                              ; =>This Inner Loop Header: Depth=1
	v_add_nc_u32_e32 v0, v5, v6
	v_lshrrev_b32_e32 v0, 1, v0
	v_lshlrev_b64 v[7:8], 2, v[0:1]
	v_add_co_u32 v7, vcc_lo, s8, v7
	v_add_co_ci_u32_e64 v8, null, s9, v8, vcc_lo
	global_load_dword v7, v[7:8], off
	s_waitcnt vmcnt(0)
	v_mul_hi_i32 v7, 0x66666667, v7
	v_lshrrev_b32_e32 v8, 31, v7
	v_ashrrev_i32_e32 v7, 2, v7
	v_add_nc_u32_e32 v7, v7, v8
	v_cmp_lt_i32_e32 vcc_lo, v7, v4
	v_cndmask_b32_e64 v8, 0, 1, vcc_lo
	v_cmp_ge_i32_e32 vcc_lo, v4, v7
	v_cndmask_b32_e64 v7, 0, 1, vcc_lo
	v_cndmask_b32_e64 v7, v7, v8, s0
	v_add_nc_u32_e32 v8, 1, v0
	v_and_b32_e32 v7, 1, v7
	v_cmp_eq_u32_e32 vcc_lo, 1, v7
	v_cndmask_b32_e32 v6, v0, v6, vcc_lo
	v_cndmask_b32_e32 v5, v5, v8, vcc_lo
	v_cmp_ge_u32_e32 vcc_lo, v5, v6
	s_or_b32 s1, vcc_lo, s1
	s_andn2_b32 exec_lo, exec_lo, s1
	s_cbranch_execnz .LBB452_8
; %bb.9:
	s_inst_prefetch 0x2
	s_or_b32 exec_lo, exec_lo, s1
.LBB452_10:
	v_add_nc_u32_e32 v0, v5, v3
	s_or_b32 s3, s3, exec_lo
.LBB452_11:
	s_or_b32 exec_lo, exec_lo, s6
	s_branch .LBB452_18
.LBB452_12:
                                        ; implicit-def: $vgpr0
	s_cbranch_execz .LBB452_18
; %bb.13:
	v_mov_b32_e32 v5, s2
	s_cmp_ge_u32 s4, s5
	s_cbranch_scc1 .LBB452_17
; %bb.14:
	v_mov_b32_e32 v6, s5
	v_mov_b32_e32 v5, s2
	;; [unrolled: 1-line block ×3, first 2 shown]
	s_mov_b32 s1, 0
	s_inst_prefetch 0x1
	.p2align	6
.LBB452_15:                             ; =>This Inner Loop Header: Depth=1
	v_add_nc_u32_e32 v0, v5, v6
	v_lshrrev_b32_e32 v0, 1, v0
	v_lshlrev_b64 v[7:8], 2, v[0:1]
	v_add_co_u32 v7, vcc_lo, s8, v7
	v_add_co_ci_u32_e64 v8, null, s9, v8, vcc_lo
	global_load_dword v7, v[7:8], off
	s_waitcnt vmcnt(0)
	v_mul_hi_i32 v7, 0x66666667, v7
	v_lshrrev_b32_e32 v8, 31, v7
	v_ashrrev_i32_e32 v7, 2, v7
	v_add_nc_u32_e32 v7, v7, v8
	v_cmp_lt_i32_e32 vcc_lo, v7, v4
	v_cndmask_b32_e64 v8, 0, 1, vcc_lo
	v_cmp_ge_i32_e32 vcc_lo, v4, v7
	v_cndmask_b32_e64 v7, 0, 1, vcc_lo
	v_cndmask_b32_e64 v7, v7, v8, s0
	v_add_nc_u32_e32 v8, 1, v0
	v_and_b32_e32 v7, 1, v7
	v_cmp_eq_u32_e32 vcc_lo, 1, v7
	v_cndmask_b32_e32 v6, v0, v6, vcc_lo
	v_cndmask_b32_e32 v5, v5, v8, vcc_lo
	v_cmp_ge_u32_e32 vcc_lo, v5, v6
	s_or_b32 s1, vcc_lo, s1
	s_andn2_b32 exec_lo, exec_lo, s1
	s_cbranch_execnz .LBB452_15
; %bb.16:
	s_inst_prefetch 0x2
	s_or_b32 exec_lo, exec_lo, s1
.LBB452_17:
	v_add_nc_u32_e32 v0, v5, v3
	s_mov_b32 s3, -1
.LBB452_18:
	s_and_b32 exec_lo, exec_lo, s3
	s_cbranch_execz .LBB452_20
; %bb.19:
	v_mov_b32_e32 v1, 0
	v_lshlrev_b64 v[0:1], 2, v[0:1]
	v_add_co_u32 v0, vcc_lo, s10, v0
	v_add_co_ci_u32_e64 v1, null, s11, v1, vcc_lo
	s_waitcnt vmcnt(0)
	global_store_dword v[0:1], v2, off
.LBB452_20:
	s_endpgm
	.section	.rodata,"a",@progbits
	.p2align	6, 0x0
	.amdhsa_kernel _ZN7rocprim17ROCPRIM_400000_NS6detail17trampoline_kernelINS0_14default_configENS1_38merge_sort_block_merge_config_selectorIiNS0_10empty_typeEEEZZNS1_27merge_sort_block_merge_implIS3_N6thrust23THRUST_200600_302600_NS6detail15normal_iteratorINS9_10device_ptrIiEEEEPS5_m11less_div_10IiEEE10hipError_tT0_T1_T2_jT3_P12ihipStream_tbPNSt15iterator_traitsISJ_E10value_typeEPNSP_ISK_E10value_typeEPSL_NS1_7vsmem_tEENKUlT_SJ_SK_SL_E_clIPiSE_SF_SF_EESI_SY_SJ_SK_SL_EUlSY_E1_NS1_11comp_targetILNS1_3genE8ELNS1_11target_archE1030ELNS1_3gpuE2ELNS1_3repE0EEENS1_36merge_oddeven_config_static_selectorELNS0_4arch9wavefront6targetE0EEEvSK_
		.amdhsa_group_segment_fixed_size 0
		.amdhsa_private_segment_fixed_size 0
		.amdhsa_kernarg_size 56
		.amdhsa_user_sgpr_count 6
		.amdhsa_user_sgpr_private_segment_buffer 1
		.amdhsa_user_sgpr_dispatch_ptr 0
		.amdhsa_user_sgpr_queue_ptr 0
		.amdhsa_user_sgpr_kernarg_segment_ptr 1
		.amdhsa_user_sgpr_dispatch_id 0
		.amdhsa_user_sgpr_flat_scratch_init 0
		.amdhsa_user_sgpr_private_segment_size 0
		.amdhsa_wavefront_size32 1
		.amdhsa_uses_dynamic_stack 0
		.amdhsa_system_sgpr_private_segment_wavefront_offset 0
		.amdhsa_system_sgpr_workgroup_id_x 1
		.amdhsa_system_sgpr_workgroup_id_y 0
		.amdhsa_system_sgpr_workgroup_id_z 0
		.amdhsa_system_sgpr_workgroup_info 0
		.amdhsa_system_vgpr_workitem_id 0
		.amdhsa_next_free_vgpr 9
		.amdhsa_next_free_sgpr 16
		.amdhsa_reserve_vcc 1
		.amdhsa_reserve_flat_scratch 0
		.amdhsa_float_round_mode_32 0
		.amdhsa_float_round_mode_16_64 0
		.amdhsa_float_denorm_mode_32 3
		.amdhsa_float_denorm_mode_16_64 3
		.amdhsa_dx10_clamp 1
		.amdhsa_ieee_mode 1
		.amdhsa_fp16_overflow 0
		.amdhsa_workgroup_processor_mode 1
		.amdhsa_memory_ordered 1
		.amdhsa_forward_progress 1
		.amdhsa_shared_vgpr_count 0
		.amdhsa_exception_fp_ieee_invalid_op 0
		.amdhsa_exception_fp_denorm_src 0
		.amdhsa_exception_fp_ieee_div_zero 0
		.amdhsa_exception_fp_ieee_overflow 0
		.amdhsa_exception_fp_ieee_underflow 0
		.amdhsa_exception_fp_ieee_inexact 0
		.amdhsa_exception_int_div_zero 0
	.end_amdhsa_kernel
	.section	.text._ZN7rocprim17ROCPRIM_400000_NS6detail17trampoline_kernelINS0_14default_configENS1_38merge_sort_block_merge_config_selectorIiNS0_10empty_typeEEEZZNS1_27merge_sort_block_merge_implIS3_N6thrust23THRUST_200600_302600_NS6detail15normal_iteratorINS9_10device_ptrIiEEEEPS5_m11less_div_10IiEEE10hipError_tT0_T1_T2_jT3_P12ihipStream_tbPNSt15iterator_traitsISJ_E10value_typeEPNSP_ISK_E10value_typeEPSL_NS1_7vsmem_tEENKUlT_SJ_SK_SL_E_clIPiSE_SF_SF_EESI_SY_SJ_SK_SL_EUlSY_E1_NS1_11comp_targetILNS1_3genE8ELNS1_11target_archE1030ELNS1_3gpuE2ELNS1_3repE0EEENS1_36merge_oddeven_config_static_selectorELNS0_4arch9wavefront6targetE0EEEvSK_,"axG",@progbits,_ZN7rocprim17ROCPRIM_400000_NS6detail17trampoline_kernelINS0_14default_configENS1_38merge_sort_block_merge_config_selectorIiNS0_10empty_typeEEEZZNS1_27merge_sort_block_merge_implIS3_N6thrust23THRUST_200600_302600_NS6detail15normal_iteratorINS9_10device_ptrIiEEEEPS5_m11less_div_10IiEEE10hipError_tT0_T1_T2_jT3_P12ihipStream_tbPNSt15iterator_traitsISJ_E10value_typeEPNSP_ISK_E10value_typeEPSL_NS1_7vsmem_tEENKUlT_SJ_SK_SL_E_clIPiSE_SF_SF_EESI_SY_SJ_SK_SL_EUlSY_E1_NS1_11comp_targetILNS1_3genE8ELNS1_11target_archE1030ELNS1_3gpuE2ELNS1_3repE0EEENS1_36merge_oddeven_config_static_selectorELNS0_4arch9wavefront6targetE0EEEvSK_,comdat
.Lfunc_end452:
	.size	_ZN7rocprim17ROCPRIM_400000_NS6detail17trampoline_kernelINS0_14default_configENS1_38merge_sort_block_merge_config_selectorIiNS0_10empty_typeEEEZZNS1_27merge_sort_block_merge_implIS3_N6thrust23THRUST_200600_302600_NS6detail15normal_iteratorINS9_10device_ptrIiEEEEPS5_m11less_div_10IiEEE10hipError_tT0_T1_T2_jT3_P12ihipStream_tbPNSt15iterator_traitsISJ_E10value_typeEPNSP_ISK_E10value_typeEPSL_NS1_7vsmem_tEENKUlT_SJ_SK_SL_E_clIPiSE_SF_SF_EESI_SY_SJ_SK_SL_EUlSY_E1_NS1_11comp_targetILNS1_3genE8ELNS1_11target_archE1030ELNS1_3gpuE2ELNS1_3repE0EEENS1_36merge_oddeven_config_static_selectorELNS0_4arch9wavefront6targetE0EEEvSK_, .Lfunc_end452-_ZN7rocprim17ROCPRIM_400000_NS6detail17trampoline_kernelINS0_14default_configENS1_38merge_sort_block_merge_config_selectorIiNS0_10empty_typeEEEZZNS1_27merge_sort_block_merge_implIS3_N6thrust23THRUST_200600_302600_NS6detail15normal_iteratorINS9_10device_ptrIiEEEEPS5_m11less_div_10IiEEE10hipError_tT0_T1_T2_jT3_P12ihipStream_tbPNSt15iterator_traitsISJ_E10value_typeEPNSP_ISK_E10value_typeEPSL_NS1_7vsmem_tEENKUlT_SJ_SK_SL_E_clIPiSE_SF_SF_EESI_SY_SJ_SK_SL_EUlSY_E1_NS1_11comp_targetILNS1_3genE8ELNS1_11target_archE1030ELNS1_3gpuE2ELNS1_3repE0EEENS1_36merge_oddeven_config_static_selectorELNS0_4arch9wavefront6targetE0EEEvSK_
                                        ; -- End function
	.set _ZN7rocprim17ROCPRIM_400000_NS6detail17trampoline_kernelINS0_14default_configENS1_38merge_sort_block_merge_config_selectorIiNS0_10empty_typeEEEZZNS1_27merge_sort_block_merge_implIS3_N6thrust23THRUST_200600_302600_NS6detail15normal_iteratorINS9_10device_ptrIiEEEEPS5_m11less_div_10IiEEE10hipError_tT0_T1_T2_jT3_P12ihipStream_tbPNSt15iterator_traitsISJ_E10value_typeEPNSP_ISK_E10value_typeEPSL_NS1_7vsmem_tEENKUlT_SJ_SK_SL_E_clIPiSE_SF_SF_EESI_SY_SJ_SK_SL_EUlSY_E1_NS1_11comp_targetILNS1_3genE8ELNS1_11target_archE1030ELNS1_3gpuE2ELNS1_3repE0EEENS1_36merge_oddeven_config_static_selectorELNS0_4arch9wavefront6targetE0EEEvSK_.num_vgpr, 9
	.set _ZN7rocprim17ROCPRIM_400000_NS6detail17trampoline_kernelINS0_14default_configENS1_38merge_sort_block_merge_config_selectorIiNS0_10empty_typeEEEZZNS1_27merge_sort_block_merge_implIS3_N6thrust23THRUST_200600_302600_NS6detail15normal_iteratorINS9_10device_ptrIiEEEEPS5_m11less_div_10IiEEE10hipError_tT0_T1_T2_jT3_P12ihipStream_tbPNSt15iterator_traitsISJ_E10value_typeEPNSP_ISK_E10value_typeEPSL_NS1_7vsmem_tEENKUlT_SJ_SK_SL_E_clIPiSE_SF_SF_EESI_SY_SJ_SK_SL_EUlSY_E1_NS1_11comp_targetILNS1_3genE8ELNS1_11target_archE1030ELNS1_3gpuE2ELNS1_3repE0EEENS1_36merge_oddeven_config_static_selectorELNS0_4arch9wavefront6targetE0EEEvSK_.num_agpr, 0
	.set _ZN7rocprim17ROCPRIM_400000_NS6detail17trampoline_kernelINS0_14default_configENS1_38merge_sort_block_merge_config_selectorIiNS0_10empty_typeEEEZZNS1_27merge_sort_block_merge_implIS3_N6thrust23THRUST_200600_302600_NS6detail15normal_iteratorINS9_10device_ptrIiEEEEPS5_m11less_div_10IiEEE10hipError_tT0_T1_T2_jT3_P12ihipStream_tbPNSt15iterator_traitsISJ_E10value_typeEPNSP_ISK_E10value_typeEPSL_NS1_7vsmem_tEENKUlT_SJ_SK_SL_E_clIPiSE_SF_SF_EESI_SY_SJ_SK_SL_EUlSY_E1_NS1_11comp_targetILNS1_3genE8ELNS1_11target_archE1030ELNS1_3gpuE2ELNS1_3repE0EEENS1_36merge_oddeven_config_static_selectorELNS0_4arch9wavefront6targetE0EEEvSK_.numbered_sgpr, 16
	.set _ZN7rocprim17ROCPRIM_400000_NS6detail17trampoline_kernelINS0_14default_configENS1_38merge_sort_block_merge_config_selectorIiNS0_10empty_typeEEEZZNS1_27merge_sort_block_merge_implIS3_N6thrust23THRUST_200600_302600_NS6detail15normal_iteratorINS9_10device_ptrIiEEEEPS5_m11less_div_10IiEEE10hipError_tT0_T1_T2_jT3_P12ihipStream_tbPNSt15iterator_traitsISJ_E10value_typeEPNSP_ISK_E10value_typeEPSL_NS1_7vsmem_tEENKUlT_SJ_SK_SL_E_clIPiSE_SF_SF_EESI_SY_SJ_SK_SL_EUlSY_E1_NS1_11comp_targetILNS1_3genE8ELNS1_11target_archE1030ELNS1_3gpuE2ELNS1_3repE0EEENS1_36merge_oddeven_config_static_selectorELNS0_4arch9wavefront6targetE0EEEvSK_.num_named_barrier, 0
	.set _ZN7rocprim17ROCPRIM_400000_NS6detail17trampoline_kernelINS0_14default_configENS1_38merge_sort_block_merge_config_selectorIiNS0_10empty_typeEEEZZNS1_27merge_sort_block_merge_implIS3_N6thrust23THRUST_200600_302600_NS6detail15normal_iteratorINS9_10device_ptrIiEEEEPS5_m11less_div_10IiEEE10hipError_tT0_T1_T2_jT3_P12ihipStream_tbPNSt15iterator_traitsISJ_E10value_typeEPNSP_ISK_E10value_typeEPSL_NS1_7vsmem_tEENKUlT_SJ_SK_SL_E_clIPiSE_SF_SF_EESI_SY_SJ_SK_SL_EUlSY_E1_NS1_11comp_targetILNS1_3genE8ELNS1_11target_archE1030ELNS1_3gpuE2ELNS1_3repE0EEENS1_36merge_oddeven_config_static_selectorELNS0_4arch9wavefront6targetE0EEEvSK_.private_seg_size, 0
	.set _ZN7rocprim17ROCPRIM_400000_NS6detail17trampoline_kernelINS0_14default_configENS1_38merge_sort_block_merge_config_selectorIiNS0_10empty_typeEEEZZNS1_27merge_sort_block_merge_implIS3_N6thrust23THRUST_200600_302600_NS6detail15normal_iteratorINS9_10device_ptrIiEEEEPS5_m11less_div_10IiEEE10hipError_tT0_T1_T2_jT3_P12ihipStream_tbPNSt15iterator_traitsISJ_E10value_typeEPNSP_ISK_E10value_typeEPSL_NS1_7vsmem_tEENKUlT_SJ_SK_SL_E_clIPiSE_SF_SF_EESI_SY_SJ_SK_SL_EUlSY_E1_NS1_11comp_targetILNS1_3genE8ELNS1_11target_archE1030ELNS1_3gpuE2ELNS1_3repE0EEENS1_36merge_oddeven_config_static_selectorELNS0_4arch9wavefront6targetE0EEEvSK_.uses_vcc, 1
	.set _ZN7rocprim17ROCPRIM_400000_NS6detail17trampoline_kernelINS0_14default_configENS1_38merge_sort_block_merge_config_selectorIiNS0_10empty_typeEEEZZNS1_27merge_sort_block_merge_implIS3_N6thrust23THRUST_200600_302600_NS6detail15normal_iteratorINS9_10device_ptrIiEEEEPS5_m11less_div_10IiEEE10hipError_tT0_T1_T2_jT3_P12ihipStream_tbPNSt15iterator_traitsISJ_E10value_typeEPNSP_ISK_E10value_typeEPSL_NS1_7vsmem_tEENKUlT_SJ_SK_SL_E_clIPiSE_SF_SF_EESI_SY_SJ_SK_SL_EUlSY_E1_NS1_11comp_targetILNS1_3genE8ELNS1_11target_archE1030ELNS1_3gpuE2ELNS1_3repE0EEENS1_36merge_oddeven_config_static_selectorELNS0_4arch9wavefront6targetE0EEEvSK_.uses_flat_scratch, 0
	.set _ZN7rocprim17ROCPRIM_400000_NS6detail17trampoline_kernelINS0_14default_configENS1_38merge_sort_block_merge_config_selectorIiNS0_10empty_typeEEEZZNS1_27merge_sort_block_merge_implIS3_N6thrust23THRUST_200600_302600_NS6detail15normal_iteratorINS9_10device_ptrIiEEEEPS5_m11less_div_10IiEEE10hipError_tT0_T1_T2_jT3_P12ihipStream_tbPNSt15iterator_traitsISJ_E10value_typeEPNSP_ISK_E10value_typeEPSL_NS1_7vsmem_tEENKUlT_SJ_SK_SL_E_clIPiSE_SF_SF_EESI_SY_SJ_SK_SL_EUlSY_E1_NS1_11comp_targetILNS1_3genE8ELNS1_11target_archE1030ELNS1_3gpuE2ELNS1_3repE0EEENS1_36merge_oddeven_config_static_selectorELNS0_4arch9wavefront6targetE0EEEvSK_.has_dyn_sized_stack, 0
	.set _ZN7rocprim17ROCPRIM_400000_NS6detail17trampoline_kernelINS0_14default_configENS1_38merge_sort_block_merge_config_selectorIiNS0_10empty_typeEEEZZNS1_27merge_sort_block_merge_implIS3_N6thrust23THRUST_200600_302600_NS6detail15normal_iteratorINS9_10device_ptrIiEEEEPS5_m11less_div_10IiEEE10hipError_tT0_T1_T2_jT3_P12ihipStream_tbPNSt15iterator_traitsISJ_E10value_typeEPNSP_ISK_E10value_typeEPSL_NS1_7vsmem_tEENKUlT_SJ_SK_SL_E_clIPiSE_SF_SF_EESI_SY_SJ_SK_SL_EUlSY_E1_NS1_11comp_targetILNS1_3genE8ELNS1_11target_archE1030ELNS1_3gpuE2ELNS1_3repE0EEENS1_36merge_oddeven_config_static_selectorELNS0_4arch9wavefront6targetE0EEEvSK_.has_recursion, 0
	.set _ZN7rocprim17ROCPRIM_400000_NS6detail17trampoline_kernelINS0_14default_configENS1_38merge_sort_block_merge_config_selectorIiNS0_10empty_typeEEEZZNS1_27merge_sort_block_merge_implIS3_N6thrust23THRUST_200600_302600_NS6detail15normal_iteratorINS9_10device_ptrIiEEEEPS5_m11less_div_10IiEEE10hipError_tT0_T1_T2_jT3_P12ihipStream_tbPNSt15iterator_traitsISJ_E10value_typeEPNSP_ISK_E10value_typeEPSL_NS1_7vsmem_tEENKUlT_SJ_SK_SL_E_clIPiSE_SF_SF_EESI_SY_SJ_SK_SL_EUlSY_E1_NS1_11comp_targetILNS1_3genE8ELNS1_11target_archE1030ELNS1_3gpuE2ELNS1_3repE0EEENS1_36merge_oddeven_config_static_selectorELNS0_4arch9wavefront6targetE0EEEvSK_.has_indirect_call, 0
	.section	.AMDGPU.csdata,"",@progbits
; Kernel info:
; codeLenInByte = 780
; TotalNumSgprs: 18
; NumVgprs: 9
; ScratchSize: 0
; MemoryBound: 0
; FloatMode: 240
; IeeeMode: 1
; LDSByteSize: 0 bytes/workgroup (compile time only)
; SGPRBlocks: 0
; VGPRBlocks: 1
; NumSGPRsForWavesPerEU: 18
; NumVGPRsForWavesPerEU: 9
; Occupancy: 16
; WaveLimiterHint : 0
; COMPUTE_PGM_RSRC2:SCRATCH_EN: 0
; COMPUTE_PGM_RSRC2:USER_SGPR: 6
; COMPUTE_PGM_RSRC2:TRAP_HANDLER: 0
; COMPUTE_PGM_RSRC2:TGID_X_EN: 1
; COMPUTE_PGM_RSRC2:TGID_Y_EN: 0
; COMPUTE_PGM_RSRC2:TGID_Z_EN: 0
; COMPUTE_PGM_RSRC2:TIDIG_COMP_CNT: 0
	.section	.text._ZN7rocprim17ROCPRIM_400000_NS6detail17trampoline_kernelINS0_14default_configENS1_38merge_sort_block_merge_config_selectorIiNS0_10empty_typeEEEZZNS1_27merge_sort_block_merge_implIS3_N6thrust23THRUST_200600_302600_NS6detail15normal_iteratorINS9_10device_ptrIiEEEEPS5_m11less_div_10IiEEE10hipError_tT0_T1_T2_jT3_P12ihipStream_tbPNSt15iterator_traitsISJ_E10value_typeEPNSP_ISK_E10value_typeEPSL_NS1_7vsmem_tEENKUlT_SJ_SK_SL_E_clISE_PiSF_SF_EESI_SY_SJ_SK_SL_EUlSY_E_NS1_11comp_targetILNS1_3genE0ELNS1_11target_archE4294967295ELNS1_3gpuE0ELNS1_3repE0EEENS1_48merge_mergepath_partition_config_static_selectorELNS0_4arch9wavefront6targetE0EEEvSK_,"axG",@progbits,_ZN7rocprim17ROCPRIM_400000_NS6detail17trampoline_kernelINS0_14default_configENS1_38merge_sort_block_merge_config_selectorIiNS0_10empty_typeEEEZZNS1_27merge_sort_block_merge_implIS3_N6thrust23THRUST_200600_302600_NS6detail15normal_iteratorINS9_10device_ptrIiEEEEPS5_m11less_div_10IiEEE10hipError_tT0_T1_T2_jT3_P12ihipStream_tbPNSt15iterator_traitsISJ_E10value_typeEPNSP_ISK_E10value_typeEPSL_NS1_7vsmem_tEENKUlT_SJ_SK_SL_E_clISE_PiSF_SF_EESI_SY_SJ_SK_SL_EUlSY_E_NS1_11comp_targetILNS1_3genE0ELNS1_11target_archE4294967295ELNS1_3gpuE0ELNS1_3repE0EEENS1_48merge_mergepath_partition_config_static_selectorELNS0_4arch9wavefront6targetE0EEEvSK_,comdat
	.protected	_ZN7rocprim17ROCPRIM_400000_NS6detail17trampoline_kernelINS0_14default_configENS1_38merge_sort_block_merge_config_selectorIiNS0_10empty_typeEEEZZNS1_27merge_sort_block_merge_implIS3_N6thrust23THRUST_200600_302600_NS6detail15normal_iteratorINS9_10device_ptrIiEEEEPS5_m11less_div_10IiEEE10hipError_tT0_T1_T2_jT3_P12ihipStream_tbPNSt15iterator_traitsISJ_E10value_typeEPNSP_ISK_E10value_typeEPSL_NS1_7vsmem_tEENKUlT_SJ_SK_SL_E_clISE_PiSF_SF_EESI_SY_SJ_SK_SL_EUlSY_E_NS1_11comp_targetILNS1_3genE0ELNS1_11target_archE4294967295ELNS1_3gpuE0ELNS1_3repE0EEENS1_48merge_mergepath_partition_config_static_selectorELNS0_4arch9wavefront6targetE0EEEvSK_ ; -- Begin function _ZN7rocprim17ROCPRIM_400000_NS6detail17trampoline_kernelINS0_14default_configENS1_38merge_sort_block_merge_config_selectorIiNS0_10empty_typeEEEZZNS1_27merge_sort_block_merge_implIS3_N6thrust23THRUST_200600_302600_NS6detail15normal_iteratorINS9_10device_ptrIiEEEEPS5_m11less_div_10IiEEE10hipError_tT0_T1_T2_jT3_P12ihipStream_tbPNSt15iterator_traitsISJ_E10value_typeEPNSP_ISK_E10value_typeEPSL_NS1_7vsmem_tEENKUlT_SJ_SK_SL_E_clISE_PiSF_SF_EESI_SY_SJ_SK_SL_EUlSY_E_NS1_11comp_targetILNS1_3genE0ELNS1_11target_archE4294967295ELNS1_3gpuE0ELNS1_3repE0EEENS1_48merge_mergepath_partition_config_static_selectorELNS0_4arch9wavefront6targetE0EEEvSK_
	.globl	_ZN7rocprim17ROCPRIM_400000_NS6detail17trampoline_kernelINS0_14default_configENS1_38merge_sort_block_merge_config_selectorIiNS0_10empty_typeEEEZZNS1_27merge_sort_block_merge_implIS3_N6thrust23THRUST_200600_302600_NS6detail15normal_iteratorINS9_10device_ptrIiEEEEPS5_m11less_div_10IiEEE10hipError_tT0_T1_T2_jT3_P12ihipStream_tbPNSt15iterator_traitsISJ_E10value_typeEPNSP_ISK_E10value_typeEPSL_NS1_7vsmem_tEENKUlT_SJ_SK_SL_E_clISE_PiSF_SF_EESI_SY_SJ_SK_SL_EUlSY_E_NS1_11comp_targetILNS1_3genE0ELNS1_11target_archE4294967295ELNS1_3gpuE0ELNS1_3repE0EEENS1_48merge_mergepath_partition_config_static_selectorELNS0_4arch9wavefront6targetE0EEEvSK_
	.p2align	8
	.type	_ZN7rocprim17ROCPRIM_400000_NS6detail17trampoline_kernelINS0_14default_configENS1_38merge_sort_block_merge_config_selectorIiNS0_10empty_typeEEEZZNS1_27merge_sort_block_merge_implIS3_N6thrust23THRUST_200600_302600_NS6detail15normal_iteratorINS9_10device_ptrIiEEEEPS5_m11less_div_10IiEEE10hipError_tT0_T1_T2_jT3_P12ihipStream_tbPNSt15iterator_traitsISJ_E10value_typeEPNSP_ISK_E10value_typeEPSL_NS1_7vsmem_tEENKUlT_SJ_SK_SL_E_clISE_PiSF_SF_EESI_SY_SJ_SK_SL_EUlSY_E_NS1_11comp_targetILNS1_3genE0ELNS1_11target_archE4294967295ELNS1_3gpuE0ELNS1_3repE0EEENS1_48merge_mergepath_partition_config_static_selectorELNS0_4arch9wavefront6targetE0EEEvSK_,@function
_ZN7rocprim17ROCPRIM_400000_NS6detail17trampoline_kernelINS0_14default_configENS1_38merge_sort_block_merge_config_selectorIiNS0_10empty_typeEEEZZNS1_27merge_sort_block_merge_implIS3_N6thrust23THRUST_200600_302600_NS6detail15normal_iteratorINS9_10device_ptrIiEEEEPS5_m11less_div_10IiEEE10hipError_tT0_T1_T2_jT3_P12ihipStream_tbPNSt15iterator_traitsISJ_E10value_typeEPNSP_ISK_E10value_typeEPSL_NS1_7vsmem_tEENKUlT_SJ_SK_SL_E_clISE_PiSF_SF_EESI_SY_SJ_SK_SL_EUlSY_E_NS1_11comp_targetILNS1_3genE0ELNS1_11target_archE4294967295ELNS1_3gpuE0ELNS1_3repE0EEENS1_48merge_mergepath_partition_config_static_selectorELNS0_4arch9wavefront6targetE0EEEvSK_: ; @_ZN7rocprim17ROCPRIM_400000_NS6detail17trampoline_kernelINS0_14default_configENS1_38merge_sort_block_merge_config_selectorIiNS0_10empty_typeEEEZZNS1_27merge_sort_block_merge_implIS3_N6thrust23THRUST_200600_302600_NS6detail15normal_iteratorINS9_10device_ptrIiEEEEPS5_m11less_div_10IiEEE10hipError_tT0_T1_T2_jT3_P12ihipStream_tbPNSt15iterator_traitsISJ_E10value_typeEPNSP_ISK_E10value_typeEPSL_NS1_7vsmem_tEENKUlT_SJ_SK_SL_E_clISE_PiSF_SF_EESI_SY_SJ_SK_SL_EUlSY_E_NS1_11comp_targetILNS1_3genE0ELNS1_11target_archE4294967295ELNS1_3gpuE0ELNS1_3repE0EEENS1_48merge_mergepath_partition_config_static_selectorELNS0_4arch9wavefront6targetE0EEEvSK_
; %bb.0:
	.section	.rodata,"a",@progbits
	.p2align	6, 0x0
	.amdhsa_kernel _ZN7rocprim17ROCPRIM_400000_NS6detail17trampoline_kernelINS0_14default_configENS1_38merge_sort_block_merge_config_selectorIiNS0_10empty_typeEEEZZNS1_27merge_sort_block_merge_implIS3_N6thrust23THRUST_200600_302600_NS6detail15normal_iteratorINS9_10device_ptrIiEEEEPS5_m11less_div_10IiEEE10hipError_tT0_T1_T2_jT3_P12ihipStream_tbPNSt15iterator_traitsISJ_E10value_typeEPNSP_ISK_E10value_typeEPSL_NS1_7vsmem_tEENKUlT_SJ_SK_SL_E_clISE_PiSF_SF_EESI_SY_SJ_SK_SL_EUlSY_E_NS1_11comp_targetILNS1_3genE0ELNS1_11target_archE4294967295ELNS1_3gpuE0ELNS1_3repE0EEENS1_48merge_mergepath_partition_config_static_selectorELNS0_4arch9wavefront6targetE0EEEvSK_
		.amdhsa_group_segment_fixed_size 0
		.amdhsa_private_segment_fixed_size 0
		.amdhsa_kernarg_size 48
		.amdhsa_user_sgpr_count 6
		.amdhsa_user_sgpr_private_segment_buffer 1
		.amdhsa_user_sgpr_dispatch_ptr 0
		.amdhsa_user_sgpr_queue_ptr 0
		.amdhsa_user_sgpr_kernarg_segment_ptr 1
		.amdhsa_user_sgpr_dispatch_id 0
		.amdhsa_user_sgpr_flat_scratch_init 0
		.amdhsa_user_sgpr_private_segment_size 0
		.amdhsa_wavefront_size32 1
		.amdhsa_uses_dynamic_stack 0
		.amdhsa_system_sgpr_private_segment_wavefront_offset 0
		.amdhsa_system_sgpr_workgroup_id_x 1
		.amdhsa_system_sgpr_workgroup_id_y 0
		.amdhsa_system_sgpr_workgroup_id_z 0
		.amdhsa_system_sgpr_workgroup_info 0
		.amdhsa_system_vgpr_workitem_id 0
		.amdhsa_next_free_vgpr 1
		.amdhsa_next_free_sgpr 1
		.amdhsa_reserve_vcc 0
		.amdhsa_reserve_flat_scratch 0
		.amdhsa_float_round_mode_32 0
		.amdhsa_float_round_mode_16_64 0
		.amdhsa_float_denorm_mode_32 3
		.amdhsa_float_denorm_mode_16_64 3
		.amdhsa_dx10_clamp 1
		.amdhsa_ieee_mode 1
		.amdhsa_fp16_overflow 0
		.amdhsa_workgroup_processor_mode 1
		.amdhsa_memory_ordered 1
		.amdhsa_forward_progress 1
		.amdhsa_shared_vgpr_count 0
		.amdhsa_exception_fp_ieee_invalid_op 0
		.amdhsa_exception_fp_denorm_src 0
		.amdhsa_exception_fp_ieee_div_zero 0
		.amdhsa_exception_fp_ieee_overflow 0
		.amdhsa_exception_fp_ieee_underflow 0
		.amdhsa_exception_fp_ieee_inexact 0
		.amdhsa_exception_int_div_zero 0
	.end_amdhsa_kernel
	.section	.text._ZN7rocprim17ROCPRIM_400000_NS6detail17trampoline_kernelINS0_14default_configENS1_38merge_sort_block_merge_config_selectorIiNS0_10empty_typeEEEZZNS1_27merge_sort_block_merge_implIS3_N6thrust23THRUST_200600_302600_NS6detail15normal_iteratorINS9_10device_ptrIiEEEEPS5_m11less_div_10IiEEE10hipError_tT0_T1_T2_jT3_P12ihipStream_tbPNSt15iterator_traitsISJ_E10value_typeEPNSP_ISK_E10value_typeEPSL_NS1_7vsmem_tEENKUlT_SJ_SK_SL_E_clISE_PiSF_SF_EESI_SY_SJ_SK_SL_EUlSY_E_NS1_11comp_targetILNS1_3genE0ELNS1_11target_archE4294967295ELNS1_3gpuE0ELNS1_3repE0EEENS1_48merge_mergepath_partition_config_static_selectorELNS0_4arch9wavefront6targetE0EEEvSK_,"axG",@progbits,_ZN7rocprim17ROCPRIM_400000_NS6detail17trampoline_kernelINS0_14default_configENS1_38merge_sort_block_merge_config_selectorIiNS0_10empty_typeEEEZZNS1_27merge_sort_block_merge_implIS3_N6thrust23THRUST_200600_302600_NS6detail15normal_iteratorINS9_10device_ptrIiEEEEPS5_m11less_div_10IiEEE10hipError_tT0_T1_T2_jT3_P12ihipStream_tbPNSt15iterator_traitsISJ_E10value_typeEPNSP_ISK_E10value_typeEPSL_NS1_7vsmem_tEENKUlT_SJ_SK_SL_E_clISE_PiSF_SF_EESI_SY_SJ_SK_SL_EUlSY_E_NS1_11comp_targetILNS1_3genE0ELNS1_11target_archE4294967295ELNS1_3gpuE0ELNS1_3repE0EEENS1_48merge_mergepath_partition_config_static_selectorELNS0_4arch9wavefront6targetE0EEEvSK_,comdat
.Lfunc_end453:
	.size	_ZN7rocprim17ROCPRIM_400000_NS6detail17trampoline_kernelINS0_14default_configENS1_38merge_sort_block_merge_config_selectorIiNS0_10empty_typeEEEZZNS1_27merge_sort_block_merge_implIS3_N6thrust23THRUST_200600_302600_NS6detail15normal_iteratorINS9_10device_ptrIiEEEEPS5_m11less_div_10IiEEE10hipError_tT0_T1_T2_jT3_P12ihipStream_tbPNSt15iterator_traitsISJ_E10value_typeEPNSP_ISK_E10value_typeEPSL_NS1_7vsmem_tEENKUlT_SJ_SK_SL_E_clISE_PiSF_SF_EESI_SY_SJ_SK_SL_EUlSY_E_NS1_11comp_targetILNS1_3genE0ELNS1_11target_archE4294967295ELNS1_3gpuE0ELNS1_3repE0EEENS1_48merge_mergepath_partition_config_static_selectorELNS0_4arch9wavefront6targetE0EEEvSK_, .Lfunc_end453-_ZN7rocprim17ROCPRIM_400000_NS6detail17trampoline_kernelINS0_14default_configENS1_38merge_sort_block_merge_config_selectorIiNS0_10empty_typeEEEZZNS1_27merge_sort_block_merge_implIS3_N6thrust23THRUST_200600_302600_NS6detail15normal_iteratorINS9_10device_ptrIiEEEEPS5_m11less_div_10IiEEE10hipError_tT0_T1_T2_jT3_P12ihipStream_tbPNSt15iterator_traitsISJ_E10value_typeEPNSP_ISK_E10value_typeEPSL_NS1_7vsmem_tEENKUlT_SJ_SK_SL_E_clISE_PiSF_SF_EESI_SY_SJ_SK_SL_EUlSY_E_NS1_11comp_targetILNS1_3genE0ELNS1_11target_archE4294967295ELNS1_3gpuE0ELNS1_3repE0EEENS1_48merge_mergepath_partition_config_static_selectorELNS0_4arch9wavefront6targetE0EEEvSK_
                                        ; -- End function
	.set _ZN7rocprim17ROCPRIM_400000_NS6detail17trampoline_kernelINS0_14default_configENS1_38merge_sort_block_merge_config_selectorIiNS0_10empty_typeEEEZZNS1_27merge_sort_block_merge_implIS3_N6thrust23THRUST_200600_302600_NS6detail15normal_iteratorINS9_10device_ptrIiEEEEPS5_m11less_div_10IiEEE10hipError_tT0_T1_T2_jT3_P12ihipStream_tbPNSt15iterator_traitsISJ_E10value_typeEPNSP_ISK_E10value_typeEPSL_NS1_7vsmem_tEENKUlT_SJ_SK_SL_E_clISE_PiSF_SF_EESI_SY_SJ_SK_SL_EUlSY_E_NS1_11comp_targetILNS1_3genE0ELNS1_11target_archE4294967295ELNS1_3gpuE0ELNS1_3repE0EEENS1_48merge_mergepath_partition_config_static_selectorELNS0_4arch9wavefront6targetE0EEEvSK_.num_vgpr, 0
	.set _ZN7rocprim17ROCPRIM_400000_NS6detail17trampoline_kernelINS0_14default_configENS1_38merge_sort_block_merge_config_selectorIiNS0_10empty_typeEEEZZNS1_27merge_sort_block_merge_implIS3_N6thrust23THRUST_200600_302600_NS6detail15normal_iteratorINS9_10device_ptrIiEEEEPS5_m11less_div_10IiEEE10hipError_tT0_T1_T2_jT3_P12ihipStream_tbPNSt15iterator_traitsISJ_E10value_typeEPNSP_ISK_E10value_typeEPSL_NS1_7vsmem_tEENKUlT_SJ_SK_SL_E_clISE_PiSF_SF_EESI_SY_SJ_SK_SL_EUlSY_E_NS1_11comp_targetILNS1_3genE0ELNS1_11target_archE4294967295ELNS1_3gpuE0ELNS1_3repE0EEENS1_48merge_mergepath_partition_config_static_selectorELNS0_4arch9wavefront6targetE0EEEvSK_.num_agpr, 0
	.set _ZN7rocprim17ROCPRIM_400000_NS6detail17trampoline_kernelINS0_14default_configENS1_38merge_sort_block_merge_config_selectorIiNS0_10empty_typeEEEZZNS1_27merge_sort_block_merge_implIS3_N6thrust23THRUST_200600_302600_NS6detail15normal_iteratorINS9_10device_ptrIiEEEEPS5_m11less_div_10IiEEE10hipError_tT0_T1_T2_jT3_P12ihipStream_tbPNSt15iterator_traitsISJ_E10value_typeEPNSP_ISK_E10value_typeEPSL_NS1_7vsmem_tEENKUlT_SJ_SK_SL_E_clISE_PiSF_SF_EESI_SY_SJ_SK_SL_EUlSY_E_NS1_11comp_targetILNS1_3genE0ELNS1_11target_archE4294967295ELNS1_3gpuE0ELNS1_3repE0EEENS1_48merge_mergepath_partition_config_static_selectorELNS0_4arch9wavefront6targetE0EEEvSK_.numbered_sgpr, 0
	.set _ZN7rocprim17ROCPRIM_400000_NS6detail17trampoline_kernelINS0_14default_configENS1_38merge_sort_block_merge_config_selectorIiNS0_10empty_typeEEEZZNS1_27merge_sort_block_merge_implIS3_N6thrust23THRUST_200600_302600_NS6detail15normal_iteratorINS9_10device_ptrIiEEEEPS5_m11less_div_10IiEEE10hipError_tT0_T1_T2_jT3_P12ihipStream_tbPNSt15iterator_traitsISJ_E10value_typeEPNSP_ISK_E10value_typeEPSL_NS1_7vsmem_tEENKUlT_SJ_SK_SL_E_clISE_PiSF_SF_EESI_SY_SJ_SK_SL_EUlSY_E_NS1_11comp_targetILNS1_3genE0ELNS1_11target_archE4294967295ELNS1_3gpuE0ELNS1_3repE0EEENS1_48merge_mergepath_partition_config_static_selectorELNS0_4arch9wavefront6targetE0EEEvSK_.num_named_barrier, 0
	.set _ZN7rocprim17ROCPRIM_400000_NS6detail17trampoline_kernelINS0_14default_configENS1_38merge_sort_block_merge_config_selectorIiNS0_10empty_typeEEEZZNS1_27merge_sort_block_merge_implIS3_N6thrust23THRUST_200600_302600_NS6detail15normal_iteratorINS9_10device_ptrIiEEEEPS5_m11less_div_10IiEEE10hipError_tT0_T1_T2_jT3_P12ihipStream_tbPNSt15iterator_traitsISJ_E10value_typeEPNSP_ISK_E10value_typeEPSL_NS1_7vsmem_tEENKUlT_SJ_SK_SL_E_clISE_PiSF_SF_EESI_SY_SJ_SK_SL_EUlSY_E_NS1_11comp_targetILNS1_3genE0ELNS1_11target_archE4294967295ELNS1_3gpuE0ELNS1_3repE0EEENS1_48merge_mergepath_partition_config_static_selectorELNS0_4arch9wavefront6targetE0EEEvSK_.private_seg_size, 0
	.set _ZN7rocprim17ROCPRIM_400000_NS6detail17trampoline_kernelINS0_14default_configENS1_38merge_sort_block_merge_config_selectorIiNS0_10empty_typeEEEZZNS1_27merge_sort_block_merge_implIS3_N6thrust23THRUST_200600_302600_NS6detail15normal_iteratorINS9_10device_ptrIiEEEEPS5_m11less_div_10IiEEE10hipError_tT0_T1_T2_jT3_P12ihipStream_tbPNSt15iterator_traitsISJ_E10value_typeEPNSP_ISK_E10value_typeEPSL_NS1_7vsmem_tEENKUlT_SJ_SK_SL_E_clISE_PiSF_SF_EESI_SY_SJ_SK_SL_EUlSY_E_NS1_11comp_targetILNS1_3genE0ELNS1_11target_archE4294967295ELNS1_3gpuE0ELNS1_3repE0EEENS1_48merge_mergepath_partition_config_static_selectorELNS0_4arch9wavefront6targetE0EEEvSK_.uses_vcc, 0
	.set _ZN7rocprim17ROCPRIM_400000_NS6detail17trampoline_kernelINS0_14default_configENS1_38merge_sort_block_merge_config_selectorIiNS0_10empty_typeEEEZZNS1_27merge_sort_block_merge_implIS3_N6thrust23THRUST_200600_302600_NS6detail15normal_iteratorINS9_10device_ptrIiEEEEPS5_m11less_div_10IiEEE10hipError_tT0_T1_T2_jT3_P12ihipStream_tbPNSt15iterator_traitsISJ_E10value_typeEPNSP_ISK_E10value_typeEPSL_NS1_7vsmem_tEENKUlT_SJ_SK_SL_E_clISE_PiSF_SF_EESI_SY_SJ_SK_SL_EUlSY_E_NS1_11comp_targetILNS1_3genE0ELNS1_11target_archE4294967295ELNS1_3gpuE0ELNS1_3repE0EEENS1_48merge_mergepath_partition_config_static_selectorELNS0_4arch9wavefront6targetE0EEEvSK_.uses_flat_scratch, 0
	.set _ZN7rocprim17ROCPRIM_400000_NS6detail17trampoline_kernelINS0_14default_configENS1_38merge_sort_block_merge_config_selectorIiNS0_10empty_typeEEEZZNS1_27merge_sort_block_merge_implIS3_N6thrust23THRUST_200600_302600_NS6detail15normal_iteratorINS9_10device_ptrIiEEEEPS5_m11less_div_10IiEEE10hipError_tT0_T1_T2_jT3_P12ihipStream_tbPNSt15iterator_traitsISJ_E10value_typeEPNSP_ISK_E10value_typeEPSL_NS1_7vsmem_tEENKUlT_SJ_SK_SL_E_clISE_PiSF_SF_EESI_SY_SJ_SK_SL_EUlSY_E_NS1_11comp_targetILNS1_3genE0ELNS1_11target_archE4294967295ELNS1_3gpuE0ELNS1_3repE0EEENS1_48merge_mergepath_partition_config_static_selectorELNS0_4arch9wavefront6targetE0EEEvSK_.has_dyn_sized_stack, 0
	.set _ZN7rocprim17ROCPRIM_400000_NS6detail17trampoline_kernelINS0_14default_configENS1_38merge_sort_block_merge_config_selectorIiNS0_10empty_typeEEEZZNS1_27merge_sort_block_merge_implIS3_N6thrust23THRUST_200600_302600_NS6detail15normal_iteratorINS9_10device_ptrIiEEEEPS5_m11less_div_10IiEEE10hipError_tT0_T1_T2_jT3_P12ihipStream_tbPNSt15iterator_traitsISJ_E10value_typeEPNSP_ISK_E10value_typeEPSL_NS1_7vsmem_tEENKUlT_SJ_SK_SL_E_clISE_PiSF_SF_EESI_SY_SJ_SK_SL_EUlSY_E_NS1_11comp_targetILNS1_3genE0ELNS1_11target_archE4294967295ELNS1_3gpuE0ELNS1_3repE0EEENS1_48merge_mergepath_partition_config_static_selectorELNS0_4arch9wavefront6targetE0EEEvSK_.has_recursion, 0
	.set _ZN7rocprim17ROCPRIM_400000_NS6detail17trampoline_kernelINS0_14default_configENS1_38merge_sort_block_merge_config_selectorIiNS0_10empty_typeEEEZZNS1_27merge_sort_block_merge_implIS3_N6thrust23THRUST_200600_302600_NS6detail15normal_iteratorINS9_10device_ptrIiEEEEPS5_m11less_div_10IiEEE10hipError_tT0_T1_T2_jT3_P12ihipStream_tbPNSt15iterator_traitsISJ_E10value_typeEPNSP_ISK_E10value_typeEPSL_NS1_7vsmem_tEENKUlT_SJ_SK_SL_E_clISE_PiSF_SF_EESI_SY_SJ_SK_SL_EUlSY_E_NS1_11comp_targetILNS1_3genE0ELNS1_11target_archE4294967295ELNS1_3gpuE0ELNS1_3repE0EEENS1_48merge_mergepath_partition_config_static_selectorELNS0_4arch9wavefront6targetE0EEEvSK_.has_indirect_call, 0
	.section	.AMDGPU.csdata,"",@progbits
; Kernel info:
; codeLenInByte = 0
; TotalNumSgprs: 0
; NumVgprs: 0
; ScratchSize: 0
; MemoryBound: 0
; FloatMode: 240
; IeeeMode: 1
; LDSByteSize: 0 bytes/workgroup (compile time only)
; SGPRBlocks: 0
; VGPRBlocks: 0
; NumSGPRsForWavesPerEU: 1
; NumVGPRsForWavesPerEU: 1
; Occupancy: 16
; WaveLimiterHint : 0
; COMPUTE_PGM_RSRC2:SCRATCH_EN: 0
; COMPUTE_PGM_RSRC2:USER_SGPR: 6
; COMPUTE_PGM_RSRC2:TRAP_HANDLER: 0
; COMPUTE_PGM_RSRC2:TGID_X_EN: 1
; COMPUTE_PGM_RSRC2:TGID_Y_EN: 0
; COMPUTE_PGM_RSRC2:TGID_Z_EN: 0
; COMPUTE_PGM_RSRC2:TIDIG_COMP_CNT: 0
	.section	.text._ZN7rocprim17ROCPRIM_400000_NS6detail17trampoline_kernelINS0_14default_configENS1_38merge_sort_block_merge_config_selectorIiNS0_10empty_typeEEEZZNS1_27merge_sort_block_merge_implIS3_N6thrust23THRUST_200600_302600_NS6detail15normal_iteratorINS9_10device_ptrIiEEEEPS5_m11less_div_10IiEEE10hipError_tT0_T1_T2_jT3_P12ihipStream_tbPNSt15iterator_traitsISJ_E10value_typeEPNSP_ISK_E10value_typeEPSL_NS1_7vsmem_tEENKUlT_SJ_SK_SL_E_clISE_PiSF_SF_EESI_SY_SJ_SK_SL_EUlSY_E_NS1_11comp_targetILNS1_3genE10ELNS1_11target_archE1201ELNS1_3gpuE5ELNS1_3repE0EEENS1_48merge_mergepath_partition_config_static_selectorELNS0_4arch9wavefront6targetE0EEEvSK_,"axG",@progbits,_ZN7rocprim17ROCPRIM_400000_NS6detail17trampoline_kernelINS0_14default_configENS1_38merge_sort_block_merge_config_selectorIiNS0_10empty_typeEEEZZNS1_27merge_sort_block_merge_implIS3_N6thrust23THRUST_200600_302600_NS6detail15normal_iteratorINS9_10device_ptrIiEEEEPS5_m11less_div_10IiEEE10hipError_tT0_T1_T2_jT3_P12ihipStream_tbPNSt15iterator_traitsISJ_E10value_typeEPNSP_ISK_E10value_typeEPSL_NS1_7vsmem_tEENKUlT_SJ_SK_SL_E_clISE_PiSF_SF_EESI_SY_SJ_SK_SL_EUlSY_E_NS1_11comp_targetILNS1_3genE10ELNS1_11target_archE1201ELNS1_3gpuE5ELNS1_3repE0EEENS1_48merge_mergepath_partition_config_static_selectorELNS0_4arch9wavefront6targetE0EEEvSK_,comdat
	.protected	_ZN7rocprim17ROCPRIM_400000_NS6detail17trampoline_kernelINS0_14default_configENS1_38merge_sort_block_merge_config_selectorIiNS0_10empty_typeEEEZZNS1_27merge_sort_block_merge_implIS3_N6thrust23THRUST_200600_302600_NS6detail15normal_iteratorINS9_10device_ptrIiEEEEPS5_m11less_div_10IiEEE10hipError_tT0_T1_T2_jT3_P12ihipStream_tbPNSt15iterator_traitsISJ_E10value_typeEPNSP_ISK_E10value_typeEPSL_NS1_7vsmem_tEENKUlT_SJ_SK_SL_E_clISE_PiSF_SF_EESI_SY_SJ_SK_SL_EUlSY_E_NS1_11comp_targetILNS1_3genE10ELNS1_11target_archE1201ELNS1_3gpuE5ELNS1_3repE0EEENS1_48merge_mergepath_partition_config_static_selectorELNS0_4arch9wavefront6targetE0EEEvSK_ ; -- Begin function _ZN7rocprim17ROCPRIM_400000_NS6detail17trampoline_kernelINS0_14default_configENS1_38merge_sort_block_merge_config_selectorIiNS0_10empty_typeEEEZZNS1_27merge_sort_block_merge_implIS3_N6thrust23THRUST_200600_302600_NS6detail15normal_iteratorINS9_10device_ptrIiEEEEPS5_m11less_div_10IiEEE10hipError_tT0_T1_T2_jT3_P12ihipStream_tbPNSt15iterator_traitsISJ_E10value_typeEPNSP_ISK_E10value_typeEPSL_NS1_7vsmem_tEENKUlT_SJ_SK_SL_E_clISE_PiSF_SF_EESI_SY_SJ_SK_SL_EUlSY_E_NS1_11comp_targetILNS1_3genE10ELNS1_11target_archE1201ELNS1_3gpuE5ELNS1_3repE0EEENS1_48merge_mergepath_partition_config_static_selectorELNS0_4arch9wavefront6targetE0EEEvSK_
	.globl	_ZN7rocprim17ROCPRIM_400000_NS6detail17trampoline_kernelINS0_14default_configENS1_38merge_sort_block_merge_config_selectorIiNS0_10empty_typeEEEZZNS1_27merge_sort_block_merge_implIS3_N6thrust23THRUST_200600_302600_NS6detail15normal_iteratorINS9_10device_ptrIiEEEEPS5_m11less_div_10IiEEE10hipError_tT0_T1_T2_jT3_P12ihipStream_tbPNSt15iterator_traitsISJ_E10value_typeEPNSP_ISK_E10value_typeEPSL_NS1_7vsmem_tEENKUlT_SJ_SK_SL_E_clISE_PiSF_SF_EESI_SY_SJ_SK_SL_EUlSY_E_NS1_11comp_targetILNS1_3genE10ELNS1_11target_archE1201ELNS1_3gpuE5ELNS1_3repE0EEENS1_48merge_mergepath_partition_config_static_selectorELNS0_4arch9wavefront6targetE0EEEvSK_
	.p2align	8
	.type	_ZN7rocprim17ROCPRIM_400000_NS6detail17trampoline_kernelINS0_14default_configENS1_38merge_sort_block_merge_config_selectorIiNS0_10empty_typeEEEZZNS1_27merge_sort_block_merge_implIS3_N6thrust23THRUST_200600_302600_NS6detail15normal_iteratorINS9_10device_ptrIiEEEEPS5_m11less_div_10IiEEE10hipError_tT0_T1_T2_jT3_P12ihipStream_tbPNSt15iterator_traitsISJ_E10value_typeEPNSP_ISK_E10value_typeEPSL_NS1_7vsmem_tEENKUlT_SJ_SK_SL_E_clISE_PiSF_SF_EESI_SY_SJ_SK_SL_EUlSY_E_NS1_11comp_targetILNS1_3genE10ELNS1_11target_archE1201ELNS1_3gpuE5ELNS1_3repE0EEENS1_48merge_mergepath_partition_config_static_selectorELNS0_4arch9wavefront6targetE0EEEvSK_,@function
_ZN7rocprim17ROCPRIM_400000_NS6detail17trampoline_kernelINS0_14default_configENS1_38merge_sort_block_merge_config_selectorIiNS0_10empty_typeEEEZZNS1_27merge_sort_block_merge_implIS3_N6thrust23THRUST_200600_302600_NS6detail15normal_iteratorINS9_10device_ptrIiEEEEPS5_m11less_div_10IiEEE10hipError_tT0_T1_T2_jT3_P12ihipStream_tbPNSt15iterator_traitsISJ_E10value_typeEPNSP_ISK_E10value_typeEPSL_NS1_7vsmem_tEENKUlT_SJ_SK_SL_E_clISE_PiSF_SF_EESI_SY_SJ_SK_SL_EUlSY_E_NS1_11comp_targetILNS1_3genE10ELNS1_11target_archE1201ELNS1_3gpuE5ELNS1_3repE0EEENS1_48merge_mergepath_partition_config_static_selectorELNS0_4arch9wavefront6targetE0EEEvSK_: ; @_ZN7rocprim17ROCPRIM_400000_NS6detail17trampoline_kernelINS0_14default_configENS1_38merge_sort_block_merge_config_selectorIiNS0_10empty_typeEEEZZNS1_27merge_sort_block_merge_implIS3_N6thrust23THRUST_200600_302600_NS6detail15normal_iteratorINS9_10device_ptrIiEEEEPS5_m11less_div_10IiEEE10hipError_tT0_T1_T2_jT3_P12ihipStream_tbPNSt15iterator_traitsISJ_E10value_typeEPNSP_ISK_E10value_typeEPSL_NS1_7vsmem_tEENKUlT_SJ_SK_SL_E_clISE_PiSF_SF_EESI_SY_SJ_SK_SL_EUlSY_E_NS1_11comp_targetILNS1_3genE10ELNS1_11target_archE1201ELNS1_3gpuE5ELNS1_3repE0EEENS1_48merge_mergepath_partition_config_static_selectorELNS0_4arch9wavefront6targetE0EEEvSK_
; %bb.0:
	.section	.rodata,"a",@progbits
	.p2align	6, 0x0
	.amdhsa_kernel _ZN7rocprim17ROCPRIM_400000_NS6detail17trampoline_kernelINS0_14default_configENS1_38merge_sort_block_merge_config_selectorIiNS0_10empty_typeEEEZZNS1_27merge_sort_block_merge_implIS3_N6thrust23THRUST_200600_302600_NS6detail15normal_iteratorINS9_10device_ptrIiEEEEPS5_m11less_div_10IiEEE10hipError_tT0_T1_T2_jT3_P12ihipStream_tbPNSt15iterator_traitsISJ_E10value_typeEPNSP_ISK_E10value_typeEPSL_NS1_7vsmem_tEENKUlT_SJ_SK_SL_E_clISE_PiSF_SF_EESI_SY_SJ_SK_SL_EUlSY_E_NS1_11comp_targetILNS1_3genE10ELNS1_11target_archE1201ELNS1_3gpuE5ELNS1_3repE0EEENS1_48merge_mergepath_partition_config_static_selectorELNS0_4arch9wavefront6targetE0EEEvSK_
		.amdhsa_group_segment_fixed_size 0
		.amdhsa_private_segment_fixed_size 0
		.amdhsa_kernarg_size 48
		.amdhsa_user_sgpr_count 6
		.amdhsa_user_sgpr_private_segment_buffer 1
		.amdhsa_user_sgpr_dispatch_ptr 0
		.amdhsa_user_sgpr_queue_ptr 0
		.amdhsa_user_sgpr_kernarg_segment_ptr 1
		.amdhsa_user_sgpr_dispatch_id 0
		.amdhsa_user_sgpr_flat_scratch_init 0
		.amdhsa_user_sgpr_private_segment_size 0
		.amdhsa_wavefront_size32 1
		.amdhsa_uses_dynamic_stack 0
		.amdhsa_system_sgpr_private_segment_wavefront_offset 0
		.amdhsa_system_sgpr_workgroup_id_x 1
		.amdhsa_system_sgpr_workgroup_id_y 0
		.amdhsa_system_sgpr_workgroup_id_z 0
		.amdhsa_system_sgpr_workgroup_info 0
		.amdhsa_system_vgpr_workitem_id 0
		.amdhsa_next_free_vgpr 1
		.amdhsa_next_free_sgpr 1
		.amdhsa_reserve_vcc 0
		.amdhsa_reserve_flat_scratch 0
		.amdhsa_float_round_mode_32 0
		.amdhsa_float_round_mode_16_64 0
		.amdhsa_float_denorm_mode_32 3
		.amdhsa_float_denorm_mode_16_64 3
		.amdhsa_dx10_clamp 1
		.amdhsa_ieee_mode 1
		.amdhsa_fp16_overflow 0
		.amdhsa_workgroup_processor_mode 1
		.amdhsa_memory_ordered 1
		.amdhsa_forward_progress 1
		.amdhsa_shared_vgpr_count 0
		.amdhsa_exception_fp_ieee_invalid_op 0
		.amdhsa_exception_fp_denorm_src 0
		.amdhsa_exception_fp_ieee_div_zero 0
		.amdhsa_exception_fp_ieee_overflow 0
		.amdhsa_exception_fp_ieee_underflow 0
		.amdhsa_exception_fp_ieee_inexact 0
		.amdhsa_exception_int_div_zero 0
	.end_amdhsa_kernel
	.section	.text._ZN7rocprim17ROCPRIM_400000_NS6detail17trampoline_kernelINS0_14default_configENS1_38merge_sort_block_merge_config_selectorIiNS0_10empty_typeEEEZZNS1_27merge_sort_block_merge_implIS3_N6thrust23THRUST_200600_302600_NS6detail15normal_iteratorINS9_10device_ptrIiEEEEPS5_m11less_div_10IiEEE10hipError_tT0_T1_T2_jT3_P12ihipStream_tbPNSt15iterator_traitsISJ_E10value_typeEPNSP_ISK_E10value_typeEPSL_NS1_7vsmem_tEENKUlT_SJ_SK_SL_E_clISE_PiSF_SF_EESI_SY_SJ_SK_SL_EUlSY_E_NS1_11comp_targetILNS1_3genE10ELNS1_11target_archE1201ELNS1_3gpuE5ELNS1_3repE0EEENS1_48merge_mergepath_partition_config_static_selectorELNS0_4arch9wavefront6targetE0EEEvSK_,"axG",@progbits,_ZN7rocprim17ROCPRIM_400000_NS6detail17trampoline_kernelINS0_14default_configENS1_38merge_sort_block_merge_config_selectorIiNS0_10empty_typeEEEZZNS1_27merge_sort_block_merge_implIS3_N6thrust23THRUST_200600_302600_NS6detail15normal_iteratorINS9_10device_ptrIiEEEEPS5_m11less_div_10IiEEE10hipError_tT0_T1_T2_jT3_P12ihipStream_tbPNSt15iterator_traitsISJ_E10value_typeEPNSP_ISK_E10value_typeEPSL_NS1_7vsmem_tEENKUlT_SJ_SK_SL_E_clISE_PiSF_SF_EESI_SY_SJ_SK_SL_EUlSY_E_NS1_11comp_targetILNS1_3genE10ELNS1_11target_archE1201ELNS1_3gpuE5ELNS1_3repE0EEENS1_48merge_mergepath_partition_config_static_selectorELNS0_4arch9wavefront6targetE0EEEvSK_,comdat
.Lfunc_end454:
	.size	_ZN7rocprim17ROCPRIM_400000_NS6detail17trampoline_kernelINS0_14default_configENS1_38merge_sort_block_merge_config_selectorIiNS0_10empty_typeEEEZZNS1_27merge_sort_block_merge_implIS3_N6thrust23THRUST_200600_302600_NS6detail15normal_iteratorINS9_10device_ptrIiEEEEPS5_m11less_div_10IiEEE10hipError_tT0_T1_T2_jT3_P12ihipStream_tbPNSt15iterator_traitsISJ_E10value_typeEPNSP_ISK_E10value_typeEPSL_NS1_7vsmem_tEENKUlT_SJ_SK_SL_E_clISE_PiSF_SF_EESI_SY_SJ_SK_SL_EUlSY_E_NS1_11comp_targetILNS1_3genE10ELNS1_11target_archE1201ELNS1_3gpuE5ELNS1_3repE0EEENS1_48merge_mergepath_partition_config_static_selectorELNS0_4arch9wavefront6targetE0EEEvSK_, .Lfunc_end454-_ZN7rocprim17ROCPRIM_400000_NS6detail17trampoline_kernelINS0_14default_configENS1_38merge_sort_block_merge_config_selectorIiNS0_10empty_typeEEEZZNS1_27merge_sort_block_merge_implIS3_N6thrust23THRUST_200600_302600_NS6detail15normal_iteratorINS9_10device_ptrIiEEEEPS5_m11less_div_10IiEEE10hipError_tT0_T1_T2_jT3_P12ihipStream_tbPNSt15iterator_traitsISJ_E10value_typeEPNSP_ISK_E10value_typeEPSL_NS1_7vsmem_tEENKUlT_SJ_SK_SL_E_clISE_PiSF_SF_EESI_SY_SJ_SK_SL_EUlSY_E_NS1_11comp_targetILNS1_3genE10ELNS1_11target_archE1201ELNS1_3gpuE5ELNS1_3repE0EEENS1_48merge_mergepath_partition_config_static_selectorELNS0_4arch9wavefront6targetE0EEEvSK_
                                        ; -- End function
	.set _ZN7rocprim17ROCPRIM_400000_NS6detail17trampoline_kernelINS0_14default_configENS1_38merge_sort_block_merge_config_selectorIiNS0_10empty_typeEEEZZNS1_27merge_sort_block_merge_implIS3_N6thrust23THRUST_200600_302600_NS6detail15normal_iteratorINS9_10device_ptrIiEEEEPS5_m11less_div_10IiEEE10hipError_tT0_T1_T2_jT3_P12ihipStream_tbPNSt15iterator_traitsISJ_E10value_typeEPNSP_ISK_E10value_typeEPSL_NS1_7vsmem_tEENKUlT_SJ_SK_SL_E_clISE_PiSF_SF_EESI_SY_SJ_SK_SL_EUlSY_E_NS1_11comp_targetILNS1_3genE10ELNS1_11target_archE1201ELNS1_3gpuE5ELNS1_3repE0EEENS1_48merge_mergepath_partition_config_static_selectorELNS0_4arch9wavefront6targetE0EEEvSK_.num_vgpr, 0
	.set _ZN7rocprim17ROCPRIM_400000_NS6detail17trampoline_kernelINS0_14default_configENS1_38merge_sort_block_merge_config_selectorIiNS0_10empty_typeEEEZZNS1_27merge_sort_block_merge_implIS3_N6thrust23THRUST_200600_302600_NS6detail15normal_iteratorINS9_10device_ptrIiEEEEPS5_m11less_div_10IiEEE10hipError_tT0_T1_T2_jT3_P12ihipStream_tbPNSt15iterator_traitsISJ_E10value_typeEPNSP_ISK_E10value_typeEPSL_NS1_7vsmem_tEENKUlT_SJ_SK_SL_E_clISE_PiSF_SF_EESI_SY_SJ_SK_SL_EUlSY_E_NS1_11comp_targetILNS1_3genE10ELNS1_11target_archE1201ELNS1_3gpuE5ELNS1_3repE0EEENS1_48merge_mergepath_partition_config_static_selectorELNS0_4arch9wavefront6targetE0EEEvSK_.num_agpr, 0
	.set _ZN7rocprim17ROCPRIM_400000_NS6detail17trampoline_kernelINS0_14default_configENS1_38merge_sort_block_merge_config_selectorIiNS0_10empty_typeEEEZZNS1_27merge_sort_block_merge_implIS3_N6thrust23THRUST_200600_302600_NS6detail15normal_iteratorINS9_10device_ptrIiEEEEPS5_m11less_div_10IiEEE10hipError_tT0_T1_T2_jT3_P12ihipStream_tbPNSt15iterator_traitsISJ_E10value_typeEPNSP_ISK_E10value_typeEPSL_NS1_7vsmem_tEENKUlT_SJ_SK_SL_E_clISE_PiSF_SF_EESI_SY_SJ_SK_SL_EUlSY_E_NS1_11comp_targetILNS1_3genE10ELNS1_11target_archE1201ELNS1_3gpuE5ELNS1_3repE0EEENS1_48merge_mergepath_partition_config_static_selectorELNS0_4arch9wavefront6targetE0EEEvSK_.numbered_sgpr, 0
	.set _ZN7rocprim17ROCPRIM_400000_NS6detail17trampoline_kernelINS0_14default_configENS1_38merge_sort_block_merge_config_selectorIiNS0_10empty_typeEEEZZNS1_27merge_sort_block_merge_implIS3_N6thrust23THRUST_200600_302600_NS6detail15normal_iteratorINS9_10device_ptrIiEEEEPS5_m11less_div_10IiEEE10hipError_tT0_T1_T2_jT3_P12ihipStream_tbPNSt15iterator_traitsISJ_E10value_typeEPNSP_ISK_E10value_typeEPSL_NS1_7vsmem_tEENKUlT_SJ_SK_SL_E_clISE_PiSF_SF_EESI_SY_SJ_SK_SL_EUlSY_E_NS1_11comp_targetILNS1_3genE10ELNS1_11target_archE1201ELNS1_3gpuE5ELNS1_3repE0EEENS1_48merge_mergepath_partition_config_static_selectorELNS0_4arch9wavefront6targetE0EEEvSK_.num_named_barrier, 0
	.set _ZN7rocprim17ROCPRIM_400000_NS6detail17trampoline_kernelINS0_14default_configENS1_38merge_sort_block_merge_config_selectorIiNS0_10empty_typeEEEZZNS1_27merge_sort_block_merge_implIS3_N6thrust23THRUST_200600_302600_NS6detail15normal_iteratorINS9_10device_ptrIiEEEEPS5_m11less_div_10IiEEE10hipError_tT0_T1_T2_jT3_P12ihipStream_tbPNSt15iterator_traitsISJ_E10value_typeEPNSP_ISK_E10value_typeEPSL_NS1_7vsmem_tEENKUlT_SJ_SK_SL_E_clISE_PiSF_SF_EESI_SY_SJ_SK_SL_EUlSY_E_NS1_11comp_targetILNS1_3genE10ELNS1_11target_archE1201ELNS1_3gpuE5ELNS1_3repE0EEENS1_48merge_mergepath_partition_config_static_selectorELNS0_4arch9wavefront6targetE0EEEvSK_.private_seg_size, 0
	.set _ZN7rocprim17ROCPRIM_400000_NS6detail17trampoline_kernelINS0_14default_configENS1_38merge_sort_block_merge_config_selectorIiNS0_10empty_typeEEEZZNS1_27merge_sort_block_merge_implIS3_N6thrust23THRUST_200600_302600_NS6detail15normal_iteratorINS9_10device_ptrIiEEEEPS5_m11less_div_10IiEEE10hipError_tT0_T1_T2_jT3_P12ihipStream_tbPNSt15iterator_traitsISJ_E10value_typeEPNSP_ISK_E10value_typeEPSL_NS1_7vsmem_tEENKUlT_SJ_SK_SL_E_clISE_PiSF_SF_EESI_SY_SJ_SK_SL_EUlSY_E_NS1_11comp_targetILNS1_3genE10ELNS1_11target_archE1201ELNS1_3gpuE5ELNS1_3repE0EEENS1_48merge_mergepath_partition_config_static_selectorELNS0_4arch9wavefront6targetE0EEEvSK_.uses_vcc, 0
	.set _ZN7rocprim17ROCPRIM_400000_NS6detail17trampoline_kernelINS0_14default_configENS1_38merge_sort_block_merge_config_selectorIiNS0_10empty_typeEEEZZNS1_27merge_sort_block_merge_implIS3_N6thrust23THRUST_200600_302600_NS6detail15normal_iteratorINS9_10device_ptrIiEEEEPS5_m11less_div_10IiEEE10hipError_tT0_T1_T2_jT3_P12ihipStream_tbPNSt15iterator_traitsISJ_E10value_typeEPNSP_ISK_E10value_typeEPSL_NS1_7vsmem_tEENKUlT_SJ_SK_SL_E_clISE_PiSF_SF_EESI_SY_SJ_SK_SL_EUlSY_E_NS1_11comp_targetILNS1_3genE10ELNS1_11target_archE1201ELNS1_3gpuE5ELNS1_3repE0EEENS1_48merge_mergepath_partition_config_static_selectorELNS0_4arch9wavefront6targetE0EEEvSK_.uses_flat_scratch, 0
	.set _ZN7rocprim17ROCPRIM_400000_NS6detail17trampoline_kernelINS0_14default_configENS1_38merge_sort_block_merge_config_selectorIiNS0_10empty_typeEEEZZNS1_27merge_sort_block_merge_implIS3_N6thrust23THRUST_200600_302600_NS6detail15normal_iteratorINS9_10device_ptrIiEEEEPS5_m11less_div_10IiEEE10hipError_tT0_T1_T2_jT3_P12ihipStream_tbPNSt15iterator_traitsISJ_E10value_typeEPNSP_ISK_E10value_typeEPSL_NS1_7vsmem_tEENKUlT_SJ_SK_SL_E_clISE_PiSF_SF_EESI_SY_SJ_SK_SL_EUlSY_E_NS1_11comp_targetILNS1_3genE10ELNS1_11target_archE1201ELNS1_3gpuE5ELNS1_3repE0EEENS1_48merge_mergepath_partition_config_static_selectorELNS0_4arch9wavefront6targetE0EEEvSK_.has_dyn_sized_stack, 0
	.set _ZN7rocprim17ROCPRIM_400000_NS6detail17trampoline_kernelINS0_14default_configENS1_38merge_sort_block_merge_config_selectorIiNS0_10empty_typeEEEZZNS1_27merge_sort_block_merge_implIS3_N6thrust23THRUST_200600_302600_NS6detail15normal_iteratorINS9_10device_ptrIiEEEEPS5_m11less_div_10IiEEE10hipError_tT0_T1_T2_jT3_P12ihipStream_tbPNSt15iterator_traitsISJ_E10value_typeEPNSP_ISK_E10value_typeEPSL_NS1_7vsmem_tEENKUlT_SJ_SK_SL_E_clISE_PiSF_SF_EESI_SY_SJ_SK_SL_EUlSY_E_NS1_11comp_targetILNS1_3genE10ELNS1_11target_archE1201ELNS1_3gpuE5ELNS1_3repE0EEENS1_48merge_mergepath_partition_config_static_selectorELNS0_4arch9wavefront6targetE0EEEvSK_.has_recursion, 0
	.set _ZN7rocprim17ROCPRIM_400000_NS6detail17trampoline_kernelINS0_14default_configENS1_38merge_sort_block_merge_config_selectorIiNS0_10empty_typeEEEZZNS1_27merge_sort_block_merge_implIS3_N6thrust23THRUST_200600_302600_NS6detail15normal_iteratorINS9_10device_ptrIiEEEEPS5_m11less_div_10IiEEE10hipError_tT0_T1_T2_jT3_P12ihipStream_tbPNSt15iterator_traitsISJ_E10value_typeEPNSP_ISK_E10value_typeEPSL_NS1_7vsmem_tEENKUlT_SJ_SK_SL_E_clISE_PiSF_SF_EESI_SY_SJ_SK_SL_EUlSY_E_NS1_11comp_targetILNS1_3genE10ELNS1_11target_archE1201ELNS1_3gpuE5ELNS1_3repE0EEENS1_48merge_mergepath_partition_config_static_selectorELNS0_4arch9wavefront6targetE0EEEvSK_.has_indirect_call, 0
	.section	.AMDGPU.csdata,"",@progbits
; Kernel info:
; codeLenInByte = 0
; TotalNumSgprs: 0
; NumVgprs: 0
; ScratchSize: 0
; MemoryBound: 0
; FloatMode: 240
; IeeeMode: 1
; LDSByteSize: 0 bytes/workgroup (compile time only)
; SGPRBlocks: 0
; VGPRBlocks: 0
; NumSGPRsForWavesPerEU: 1
; NumVGPRsForWavesPerEU: 1
; Occupancy: 16
; WaveLimiterHint : 0
; COMPUTE_PGM_RSRC2:SCRATCH_EN: 0
; COMPUTE_PGM_RSRC2:USER_SGPR: 6
; COMPUTE_PGM_RSRC2:TRAP_HANDLER: 0
; COMPUTE_PGM_RSRC2:TGID_X_EN: 1
; COMPUTE_PGM_RSRC2:TGID_Y_EN: 0
; COMPUTE_PGM_RSRC2:TGID_Z_EN: 0
; COMPUTE_PGM_RSRC2:TIDIG_COMP_CNT: 0
	.section	.text._ZN7rocprim17ROCPRIM_400000_NS6detail17trampoline_kernelINS0_14default_configENS1_38merge_sort_block_merge_config_selectorIiNS0_10empty_typeEEEZZNS1_27merge_sort_block_merge_implIS3_N6thrust23THRUST_200600_302600_NS6detail15normal_iteratorINS9_10device_ptrIiEEEEPS5_m11less_div_10IiEEE10hipError_tT0_T1_T2_jT3_P12ihipStream_tbPNSt15iterator_traitsISJ_E10value_typeEPNSP_ISK_E10value_typeEPSL_NS1_7vsmem_tEENKUlT_SJ_SK_SL_E_clISE_PiSF_SF_EESI_SY_SJ_SK_SL_EUlSY_E_NS1_11comp_targetILNS1_3genE5ELNS1_11target_archE942ELNS1_3gpuE9ELNS1_3repE0EEENS1_48merge_mergepath_partition_config_static_selectorELNS0_4arch9wavefront6targetE0EEEvSK_,"axG",@progbits,_ZN7rocprim17ROCPRIM_400000_NS6detail17trampoline_kernelINS0_14default_configENS1_38merge_sort_block_merge_config_selectorIiNS0_10empty_typeEEEZZNS1_27merge_sort_block_merge_implIS3_N6thrust23THRUST_200600_302600_NS6detail15normal_iteratorINS9_10device_ptrIiEEEEPS5_m11less_div_10IiEEE10hipError_tT0_T1_T2_jT3_P12ihipStream_tbPNSt15iterator_traitsISJ_E10value_typeEPNSP_ISK_E10value_typeEPSL_NS1_7vsmem_tEENKUlT_SJ_SK_SL_E_clISE_PiSF_SF_EESI_SY_SJ_SK_SL_EUlSY_E_NS1_11comp_targetILNS1_3genE5ELNS1_11target_archE942ELNS1_3gpuE9ELNS1_3repE0EEENS1_48merge_mergepath_partition_config_static_selectorELNS0_4arch9wavefront6targetE0EEEvSK_,comdat
	.protected	_ZN7rocprim17ROCPRIM_400000_NS6detail17trampoline_kernelINS0_14default_configENS1_38merge_sort_block_merge_config_selectorIiNS0_10empty_typeEEEZZNS1_27merge_sort_block_merge_implIS3_N6thrust23THRUST_200600_302600_NS6detail15normal_iteratorINS9_10device_ptrIiEEEEPS5_m11less_div_10IiEEE10hipError_tT0_T1_T2_jT3_P12ihipStream_tbPNSt15iterator_traitsISJ_E10value_typeEPNSP_ISK_E10value_typeEPSL_NS1_7vsmem_tEENKUlT_SJ_SK_SL_E_clISE_PiSF_SF_EESI_SY_SJ_SK_SL_EUlSY_E_NS1_11comp_targetILNS1_3genE5ELNS1_11target_archE942ELNS1_3gpuE9ELNS1_3repE0EEENS1_48merge_mergepath_partition_config_static_selectorELNS0_4arch9wavefront6targetE0EEEvSK_ ; -- Begin function _ZN7rocprim17ROCPRIM_400000_NS6detail17trampoline_kernelINS0_14default_configENS1_38merge_sort_block_merge_config_selectorIiNS0_10empty_typeEEEZZNS1_27merge_sort_block_merge_implIS3_N6thrust23THRUST_200600_302600_NS6detail15normal_iteratorINS9_10device_ptrIiEEEEPS5_m11less_div_10IiEEE10hipError_tT0_T1_T2_jT3_P12ihipStream_tbPNSt15iterator_traitsISJ_E10value_typeEPNSP_ISK_E10value_typeEPSL_NS1_7vsmem_tEENKUlT_SJ_SK_SL_E_clISE_PiSF_SF_EESI_SY_SJ_SK_SL_EUlSY_E_NS1_11comp_targetILNS1_3genE5ELNS1_11target_archE942ELNS1_3gpuE9ELNS1_3repE0EEENS1_48merge_mergepath_partition_config_static_selectorELNS0_4arch9wavefront6targetE0EEEvSK_
	.globl	_ZN7rocprim17ROCPRIM_400000_NS6detail17trampoline_kernelINS0_14default_configENS1_38merge_sort_block_merge_config_selectorIiNS0_10empty_typeEEEZZNS1_27merge_sort_block_merge_implIS3_N6thrust23THRUST_200600_302600_NS6detail15normal_iteratorINS9_10device_ptrIiEEEEPS5_m11less_div_10IiEEE10hipError_tT0_T1_T2_jT3_P12ihipStream_tbPNSt15iterator_traitsISJ_E10value_typeEPNSP_ISK_E10value_typeEPSL_NS1_7vsmem_tEENKUlT_SJ_SK_SL_E_clISE_PiSF_SF_EESI_SY_SJ_SK_SL_EUlSY_E_NS1_11comp_targetILNS1_3genE5ELNS1_11target_archE942ELNS1_3gpuE9ELNS1_3repE0EEENS1_48merge_mergepath_partition_config_static_selectorELNS0_4arch9wavefront6targetE0EEEvSK_
	.p2align	8
	.type	_ZN7rocprim17ROCPRIM_400000_NS6detail17trampoline_kernelINS0_14default_configENS1_38merge_sort_block_merge_config_selectorIiNS0_10empty_typeEEEZZNS1_27merge_sort_block_merge_implIS3_N6thrust23THRUST_200600_302600_NS6detail15normal_iteratorINS9_10device_ptrIiEEEEPS5_m11less_div_10IiEEE10hipError_tT0_T1_T2_jT3_P12ihipStream_tbPNSt15iterator_traitsISJ_E10value_typeEPNSP_ISK_E10value_typeEPSL_NS1_7vsmem_tEENKUlT_SJ_SK_SL_E_clISE_PiSF_SF_EESI_SY_SJ_SK_SL_EUlSY_E_NS1_11comp_targetILNS1_3genE5ELNS1_11target_archE942ELNS1_3gpuE9ELNS1_3repE0EEENS1_48merge_mergepath_partition_config_static_selectorELNS0_4arch9wavefront6targetE0EEEvSK_,@function
_ZN7rocprim17ROCPRIM_400000_NS6detail17trampoline_kernelINS0_14default_configENS1_38merge_sort_block_merge_config_selectorIiNS0_10empty_typeEEEZZNS1_27merge_sort_block_merge_implIS3_N6thrust23THRUST_200600_302600_NS6detail15normal_iteratorINS9_10device_ptrIiEEEEPS5_m11less_div_10IiEEE10hipError_tT0_T1_T2_jT3_P12ihipStream_tbPNSt15iterator_traitsISJ_E10value_typeEPNSP_ISK_E10value_typeEPSL_NS1_7vsmem_tEENKUlT_SJ_SK_SL_E_clISE_PiSF_SF_EESI_SY_SJ_SK_SL_EUlSY_E_NS1_11comp_targetILNS1_3genE5ELNS1_11target_archE942ELNS1_3gpuE9ELNS1_3repE0EEENS1_48merge_mergepath_partition_config_static_selectorELNS0_4arch9wavefront6targetE0EEEvSK_: ; @_ZN7rocprim17ROCPRIM_400000_NS6detail17trampoline_kernelINS0_14default_configENS1_38merge_sort_block_merge_config_selectorIiNS0_10empty_typeEEEZZNS1_27merge_sort_block_merge_implIS3_N6thrust23THRUST_200600_302600_NS6detail15normal_iteratorINS9_10device_ptrIiEEEEPS5_m11less_div_10IiEEE10hipError_tT0_T1_T2_jT3_P12ihipStream_tbPNSt15iterator_traitsISJ_E10value_typeEPNSP_ISK_E10value_typeEPSL_NS1_7vsmem_tEENKUlT_SJ_SK_SL_E_clISE_PiSF_SF_EESI_SY_SJ_SK_SL_EUlSY_E_NS1_11comp_targetILNS1_3genE5ELNS1_11target_archE942ELNS1_3gpuE9ELNS1_3repE0EEENS1_48merge_mergepath_partition_config_static_selectorELNS0_4arch9wavefront6targetE0EEEvSK_
; %bb.0:
	.section	.rodata,"a",@progbits
	.p2align	6, 0x0
	.amdhsa_kernel _ZN7rocprim17ROCPRIM_400000_NS6detail17trampoline_kernelINS0_14default_configENS1_38merge_sort_block_merge_config_selectorIiNS0_10empty_typeEEEZZNS1_27merge_sort_block_merge_implIS3_N6thrust23THRUST_200600_302600_NS6detail15normal_iteratorINS9_10device_ptrIiEEEEPS5_m11less_div_10IiEEE10hipError_tT0_T1_T2_jT3_P12ihipStream_tbPNSt15iterator_traitsISJ_E10value_typeEPNSP_ISK_E10value_typeEPSL_NS1_7vsmem_tEENKUlT_SJ_SK_SL_E_clISE_PiSF_SF_EESI_SY_SJ_SK_SL_EUlSY_E_NS1_11comp_targetILNS1_3genE5ELNS1_11target_archE942ELNS1_3gpuE9ELNS1_3repE0EEENS1_48merge_mergepath_partition_config_static_selectorELNS0_4arch9wavefront6targetE0EEEvSK_
		.amdhsa_group_segment_fixed_size 0
		.amdhsa_private_segment_fixed_size 0
		.amdhsa_kernarg_size 48
		.amdhsa_user_sgpr_count 6
		.amdhsa_user_sgpr_private_segment_buffer 1
		.amdhsa_user_sgpr_dispatch_ptr 0
		.amdhsa_user_sgpr_queue_ptr 0
		.amdhsa_user_sgpr_kernarg_segment_ptr 1
		.amdhsa_user_sgpr_dispatch_id 0
		.amdhsa_user_sgpr_flat_scratch_init 0
		.amdhsa_user_sgpr_private_segment_size 0
		.amdhsa_wavefront_size32 1
		.amdhsa_uses_dynamic_stack 0
		.amdhsa_system_sgpr_private_segment_wavefront_offset 0
		.amdhsa_system_sgpr_workgroup_id_x 1
		.amdhsa_system_sgpr_workgroup_id_y 0
		.amdhsa_system_sgpr_workgroup_id_z 0
		.amdhsa_system_sgpr_workgroup_info 0
		.amdhsa_system_vgpr_workitem_id 0
		.amdhsa_next_free_vgpr 1
		.amdhsa_next_free_sgpr 1
		.amdhsa_reserve_vcc 0
		.amdhsa_reserve_flat_scratch 0
		.amdhsa_float_round_mode_32 0
		.amdhsa_float_round_mode_16_64 0
		.amdhsa_float_denorm_mode_32 3
		.amdhsa_float_denorm_mode_16_64 3
		.amdhsa_dx10_clamp 1
		.amdhsa_ieee_mode 1
		.amdhsa_fp16_overflow 0
		.amdhsa_workgroup_processor_mode 1
		.amdhsa_memory_ordered 1
		.amdhsa_forward_progress 1
		.amdhsa_shared_vgpr_count 0
		.amdhsa_exception_fp_ieee_invalid_op 0
		.amdhsa_exception_fp_denorm_src 0
		.amdhsa_exception_fp_ieee_div_zero 0
		.amdhsa_exception_fp_ieee_overflow 0
		.amdhsa_exception_fp_ieee_underflow 0
		.amdhsa_exception_fp_ieee_inexact 0
		.amdhsa_exception_int_div_zero 0
	.end_amdhsa_kernel
	.section	.text._ZN7rocprim17ROCPRIM_400000_NS6detail17trampoline_kernelINS0_14default_configENS1_38merge_sort_block_merge_config_selectorIiNS0_10empty_typeEEEZZNS1_27merge_sort_block_merge_implIS3_N6thrust23THRUST_200600_302600_NS6detail15normal_iteratorINS9_10device_ptrIiEEEEPS5_m11less_div_10IiEEE10hipError_tT0_T1_T2_jT3_P12ihipStream_tbPNSt15iterator_traitsISJ_E10value_typeEPNSP_ISK_E10value_typeEPSL_NS1_7vsmem_tEENKUlT_SJ_SK_SL_E_clISE_PiSF_SF_EESI_SY_SJ_SK_SL_EUlSY_E_NS1_11comp_targetILNS1_3genE5ELNS1_11target_archE942ELNS1_3gpuE9ELNS1_3repE0EEENS1_48merge_mergepath_partition_config_static_selectorELNS0_4arch9wavefront6targetE0EEEvSK_,"axG",@progbits,_ZN7rocprim17ROCPRIM_400000_NS6detail17trampoline_kernelINS0_14default_configENS1_38merge_sort_block_merge_config_selectorIiNS0_10empty_typeEEEZZNS1_27merge_sort_block_merge_implIS3_N6thrust23THRUST_200600_302600_NS6detail15normal_iteratorINS9_10device_ptrIiEEEEPS5_m11less_div_10IiEEE10hipError_tT0_T1_T2_jT3_P12ihipStream_tbPNSt15iterator_traitsISJ_E10value_typeEPNSP_ISK_E10value_typeEPSL_NS1_7vsmem_tEENKUlT_SJ_SK_SL_E_clISE_PiSF_SF_EESI_SY_SJ_SK_SL_EUlSY_E_NS1_11comp_targetILNS1_3genE5ELNS1_11target_archE942ELNS1_3gpuE9ELNS1_3repE0EEENS1_48merge_mergepath_partition_config_static_selectorELNS0_4arch9wavefront6targetE0EEEvSK_,comdat
.Lfunc_end455:
	.size	_ZN7rocprim17ROCPRIM_400000_NS6detail17trampoline_kernelINS0_14default_configENS1_38merge_sort_block_merge_config_selectorIiNS0_10empty_typeEEEZZNS1_27merge_sort_block_merge_implIS3_N6thrust23THRUST_200600_302600_NS6detail15normal_iteratorINS9_10device_ptrIiEEEEPS5_m11less_div_10IiEEE10hipError_tT0_T1_T2_jT3_P12ihipStream_tbPNSt15iterator_traitsISJ_E10value_typeEPNSP_ISK_E10value_typeEPSL_NS1_7vsmem_tEENKUlT_SJ_SK_SL_E_clISE_PiSF_SF_EESI_SY_SJ_SK_SL_EUlSY_E_NS1_11comp_targetILNS1_3genE5ELNS1_11target_archE942ELNS1_3gpuE9ELNS1_3repE0EEENS1_48merge_mergepath_partition_config_static_selectorELNS0_4arch9wavefront6targetE0EEEvSK_, .Lfunc_end455-_ZN7rocprim17ROCPRIM_400000_NS6detail17trampoline_kernelINS0_14default_configENS1_38merge_sort_block_merge_config_selectorIiNS0_10empty_typeEEEZZNS1_27merge_sort_block_merge_implIS3_N6thrust23THRUST_200600_302600_NS6detail15normal_iteratorINS9_10device_ptrIiEEEEPS5_m11less_div_10IiEEE10hipError_tT0_T1_T2_jT3_P12ihipStream_tbPNSt15iterator_traitsISJ_E10value_typeEPNSP_ISK_E10value_typeEPSL_NS1_7vsmem_tEENKUlT_SJ_SK_SL_E_clISE_PiSF_SF_EESI_SY_SJ_SK_SL_EUlSY_E_NS1_11comp_targetILNS1_3genE5ELNS1_11target_archE942ELNS1_3gpuE9ELNS1_3repE0EEENS1_48merge_mergepath_partition_config_static_selectorELNS0_4arch9wavefront6targetE0EEEvSK_
                                        ; -- End function
	.set _ZN7rocprim17ROCPRIM_400000_NS6detail17trampoline_kernelINS0_14default_configENS1_38merge_sort_block_merge_config_selectorIiNS0_10empty_typeEEEZZNS1_27merge_sort_block_merge_implIS3_N6thrust23THRUST_200600_302600_NS6detail15normal_iteratorINS9_10device_ptrIiEEEEPS5_m11less_div_10IiEEE10hipError_tT0_T1_T2_jT3_P12ihipStream_tbPNSt15iterator_traitsISJ_E10value_typeEPNSP_ISK_E10value_typeEPSL_NS1_7vsmem_tEENKUlT_SJ_SK_SL_E_clISE_PiSF_SF_EESI_SY_SJ_SK_SL_EUlSY_E_NS1_11comp_targetILNS1_3genE5ELNS1_11target_archE942ELNS1_3gpuE9ELNS1_3repE0EEENS1_48merge_mergepath_partition_config_static_selectorELNS0_4arch9wavefront6targetE0EEEvSK_.num_vgpr, 0
	.set _ZN7rocprim17ROCPRIM_400000_NS6detail17trampoline_kernelINS0_14default_configENS1_38merge_sort_block_merge_config_selectorIiNS0_10empty_typeEEEZZNS1_27merge_sort_block_merge_implIS3_N6thrust23THRUST_200600_302600_NS6detail15normal_iteratorINS9_10device_ptrIiEEEEPS5_m11less_div_10IiEEE10hipError_tT0_T1_T2_jT3_P12ihipStream_tbPNSt15iterator_traitsISJ_E10value_typeEPNSP_ISK_E10value_typeEPSL_NS1_7vsmem_tEENKUlT_SJ_SK_SL_E_clISE_PiSF_SF_EESI_SY_SJ_SK_SL_EUlSY_E_NS1_11comp_targetILNS1_3genE5ELNS1_11target_archE942ELNS1_3gpuE9ELNS1_3repE0EEENS1_48merge_mergepath_partition_config_static_selectorELNS0_4arch9wavefront6targetE0EEEvSK_.num_agpr, 0
	.set _ZN7rocprim17ROCPRIM_400000_NS6detail17trampoline_kernelINS0_14default_configENS1_38merge_sort_block_merge_config_selectorIiNS0_10empty_typeEEEZZNS1_27merge_sort_block_merge_implIS3_N6thrust23THRUST_200600_302600_NS6detail15normal_iteratorINS9_10device_ptrIiEEEEPS5_m11less_div_10IiEEE10hipError_tT0_T1_T2_jT3_P12ihipStream_tbPNSt15iterator_traitsISJ_E10value_typeEPNSP_ISK_E10value_typeEPSL_NS1_7vsmem_tEENKUlT_SJ_SK_SL_E_clISE_PiSF_SF_EESI_SY_SJ_SK_SL_EUlSY_E_NS1_11comp_targetILNS1_3genE5ELNS1_11target_archE942ELNS1_3gpuE9ELNS1_3repE0EEENS1_48merge_mergepath_partition_config_static_selectorELNS0_4arch9wavefront6targetE0EEEvSK_.numbered_sgpr, 0
	.set _ZN7rocprim17ROCPRIM_400000_NS6detail17trampoline_kernelINS0_14default_configENS1_38merge_sort_block_merge_config_selectorIiNS0_10empty_typeEEEZZNS1_27merge_sort_block_merge_implIS3_N6thrust23THRUST_200600_302600_NS6detail15normal_iteratorINS9_10device_ptrIiEEEEPS5_m11less_div_10IiEEE10hipError_tT0_T1_T2_jT3_P12ihipStream_tbPNSt15iterator_traitsISJ_E10value_typeEPNSP_ISK_E10value_typeEPSL_NS1_7vsmem_tEENKUlT_SJ_SK_SL_E_clISE_PiSF_SF_EESI_SY_SJ_SK_SL_EUlSY_E_NS1_11comp_targetILNS1_3genE5ELNS1_11target_archE942ELNS1_3gpuE9ELNS1_3repE0EEENS1_48merge_mergepath_partition_config_static_selectorELNS0_4arch9wavefront6targetE0EEEvSK_.num_named_barrier, 0
	.set _ZN7rocprim17ROCPRIM_400000_NS6detail17trampoline_kernelINS0_14default_configENS1_38merge_sort_block_merge_config_selectorIiNS0_10empty_typeEEEZZNS1_27merge_sort_block_merge_implIS3_N6thrust23THRUST_200600_302600_NS6detail15normal_iteratorINS9_10device_ptrIiEEEEPS5_m11less_div_10IiEEE10hipError_tT0_T1_T2_jT3_P12ihipStream_tbPNSt15iterator_traitsISJ_E10value_typeEPNSP_ISK_E10value_typeEPSL_NS1_7vsmem_tEENKUlT_SJ_SK_SL_E_clISE_PiSF_SF_EESI_SY_SJ_SK_SL_EUlSY_E_NS1_11comp_targetILNS1_3genE5ELNS1_11target_archE942ELNS1_3gpuE9ELNS1_3repE0EEENS1_48merge_mergepath_partition_config_static_selectorELNS0_4arch9wavefront6targetE0EEEvSK_.private_seg_size, 0
	.set _ZN7rocprim17ROCPRIM_400000_NS6detail17trampoline_kernelINS0_14default_configENS1_38merge_sort_block_merge_config_selectorIiNS0_10empty_typeEEEZZNS1_27merge_sort_block_merge_implIS3_N6thrust23THRUST_200600_302600_NS6detail15normal_iteratorINS9_10device_ptrIiEEEEPS5_m11less_div_10IiEEE10hipError_tT0_T1_T2_jT3_P12ihipStream_tbPNSt15iterator_traitsISJ_E10value_typeEPNSP_ISK_E10value_typeEPSL_NS1_7vsmem_tEENKUlT_SJ_SK_SL_E_clISE_PiSF_SF_EESI_SY_SJ_SK_SL_EUlSY_E_NS1_11comp_targetILNS1_3genE5ELNS1_11target_archE942ELNS1_3gpuE9ELNS1_3repE0EEENS1_48merge_mergepath_partition_config_static_selectorELNS0_4arch9wavefront6targetE0EEEvSK_.uses_vcc, 0
	.set _ZN7rocprim17ROCPRIM_400000_NS6detail17trampoline_kernelINS0_14default_configENS1_38merge_sort_block_merge_config_selectorIiNS0_10empty_typeEEEZZNS1_27merge_sort_block_merge_implIS3_N6thrust23THRUST_200600_302600_NS6detail15normal_iteratorINS9_10device_ptrIiEEEEPS5_m11less_div_10IiEEE10hipError_tT0_T1_T2_jT3_P12ihipStream_tbPNSt15iterator_traitsISJ_E10value_typeEPNSP_ISK_E10value_typeEPSL_NS1_7vsmem_tEENKUlT_SJ_SK_SL_E_clISE_PiSF_SF_EESI_SY_SJ_SK_SL_EUlSY_E_NS1_11comp_targetILNS1_3genE5ELNS1_11target_archE942ELNS1_3gpuE9ELNS1_3repE0EEENS1_48merge_mergepath_partition_config_static_selectorELNS0_4arch9wavefront6targetE0EEEvSK_.uses_flat_scratch, 0
	.set _ZN7rocprim17ROCPRIM_400000_NS6detail17trampoline_kernelINS0_14default_configENS1_38merge_sort_block_merge_config_selectorIiNS0_10empty_typeEEEZZNS1_27merge_sort_block_merge_implIS3_N6thrust23THRUST_200600_302600_NS6detail15normal_iteratorINS9_10device_ptrIiEEEEPS5_m11less_div_10IiEEE10hipError_tT0_T1_T2_jT3_P12ihipStream_tbPNSt15iterator_traitsISJ_E10value_typeEPNSP_ISK_E10value_typeEPSL_NS1_7vsmem_tEENKUlT_SJ_SK_SL_E_clISE_PiSF_SF_EESI_SY_SJ_SK_SL_EUlSY_E_NS1_11comp_targetILNS1_3genE5ELNS1_11target_archE942ELNS1_3gpuE9ELNS1_3repE0EEENS1_48merge_mergepath_partition_config_static_selectorELNS0_4arch9wavefront6targetE0EEEvSK_.has_dyn_sized_stack, 0
	.set _ZN7rocprim17ROCPRIM_400000_NS6detail17trampoline_kernelINS0_14default_configENS1_38merge_sort_block_merge_config_selectorIiNS0_10empty_typeEEEZZNS1_27merge_sort_block_merge_implIS3_N6thrust23THRUST_200600_302600_NS6detail15normal_iteratorINS9_10device_ptrIiEEEEPS5_m11less_div_10IiEEE10hipError_tT0_T1_T2_jT3_P12ihipStream_tbPNSt15iterator_traitsISJ_E10value_typeEPNSP_ISK_E10value_typeEPSL_NS1_7vsmem_tEENKUlT_SJ_SK_SL_E_clISE_PiSF_SF_EESI_SY_SJ_SK_SL_EUlSY_E_NS1_11comp_targetILNS1_3genE5ELNS1_11target_archE942ELNS1_3gpuE9ELNS1_3repE0EEENS1_48merge_mergepath_partition_config_static_selectorELNS0_4arch9wavefront6targetE0EEEvSK_.has_recursion, 0
	.set _ZN7rocprim17ROCPRIM_400000_NS6detail17trampoline_kernelINS0_14default_configENS1_38merge_sort_block_merge_config_selectorIiNS0_10empty_typeEEEZZNS1_27merge_sort_block_merge_implIS3_N6thrust23THRUST_200600_302600_NS6detail15normal_iteratorINS9_10device_ptrIiEEEEPS5_m11less_div_10IiEEE10hipError_tT0_T1_T2_jT3_P12ihipStream_tbPNSt15iterator_traitsISJ_E10value_typeEPNSP_ISK_E10value_typeEPSL_NS1_7vsmem_tEENKUlT_SJ_SK_SL_E_clISE_PiSF_SF_EESI_SY_SJ_SK_SL_EUlSY_E_NS1_11comp_targetILNS1_3genE5ELNS1_11target_archE942ELNS1_3gpuE9ELNS1_3repE0EEENS1_48merge_mergepath_partition_config_static_selectorELNS0_4arch9wavefront6targetE0EEEvSK_.has_indirect_call, 0
	.section	.AMDGPU.csdata,"",@progbits
; Kernel info:
; codeLenInByte = 0
; TotalNumSgprs: 0
; NumVgprs: 0
; ScratchSize: 0
; MemoryBound: 0
; FloatMode: 240
; IeeeMode: 1
; LDSByteSize: 0 bytes/workgroup (compile time only)
; SGPRBlocks: 0
; VGPRBlocks: 0
; NumSGPRsForWavesPerEU: 1
; NumVGPRsForWavesPerEU: 1
; Occupancy: 16
; WaveLimiterHint : 0
; COMPUTE_PGM_RSRC2:SCRATCH_EN: 0
; COMPUTE_PGM_RSRC2:USER_SGPR: 6
; COMPUTE_PGM_RSRC2:TRAP_HANDLER: 0
; COMPUTE_PGM_RSRC2:TGID_X_EN: 1
; COMPUTE_PGM_RSRC2:TGID_Y_EN: 0
; COMPUTE_PGM_RSRC2:TGID_Z_EN: 0
; COMPUTE_PGM_RSRC2:TIDIG_COMP_CNT: 0
	.section	.text._ZN7rocprim17ROCPRIM_400000_NS6detail17trampoline_kernelINS0_14default_configENS1_38merge_sort_block_merge_config_selectorIiNS0_10empty_typeEEEZZNS1_27merge_sort_block_merge_implIS3_N6thrust23THRUST_200600_302600_NS6detail15normal_iteratorINS9_10device_ptrIiEEEEPS5_m11less_div_10IiEEE10hipError_tT0_T1_T2_jT3_P12ihipStream_tbPNSt15iterator_traitsISJ_E10value_typeEPNSP_ISK_E10value_typeEPSL_NS1_7vsmem_tEENKUlT_SJ_SK_SL_E_clISE_PiSF_SF_EESI_SY_SJ_SK_SL_EUlSY_E_NS1_11comp_targetILNS1_3genE4ELNS1_11target_archE910ELNS1_3gpuE8ELNS1_3repE0EEENS1_48merge_mergepath_partition_config_static_selectorELNS0_4arch9wavefront6targetE0EEEvSK_,"axG",@progbits,_ZN7rocprim17ROCPRIM_400000_NS6detail17trampoline_kernelINS0_14default_configENS1_38merge_sort_block_merge_config_selectorIiNS0_10empty_typeEEEZZNS1_27merge_sort_block_merge_implIS3_N6thrust23THRUST_200600_302600_NS6detail15normal_iteratorINS9_10device_ptrIiEEEEPS5_m11less_div_10IiEEE10hipError_tT0_T1_T2_jT3_P12ihipStream_tbPNSt15iterator_traitsISJ_E10value_typeEPNSP_ISK_E10value_typeEPSL_NS1_7vsmem_tEENKUlT_SJ_SK_SL_E_clISE_PiSF_SF_EESI_SY_SJ_SK_SL_EUlSY_E_NS1_11comp_targetILNS1_3genE4ELNS1_11target_archE910ELNS1_3gpuE8ELNS1_3repE0EEENS1_48merge_mergepath_partition_config_static_selectorELNS0_4arch9wavefront6targetE0EEEvSK_,comdat
	.protected	_ZN7rocprim17ROCPRIM_400000_NS6detail17trampoline_kernelINS0_14default_configENS1_38merge_sort_block_merge_config_selectorIiNS0_10empty_typeEEEZZNS1_27merge_sort_block_merge_implIS3_N6thrust23THRUST_200600_302600_NS6detail15normal_iteratorINS9_10device_ptrIiEEEEPS5_m11less_div_10IiEEE10hipError_tT0_T1_T2_jT3_P12ihipStream_tbPNSt15iterator_traitsISJ_E10value_typeEPNSP_ISK_E10value_typeEPSL_NS1_7vsmem_tEENKUlT_SJ_SK_SL_E_clISE_PiSF_SF_EESI_SY_SJ_SK_SL_EUlSY_E_NS1_11comp_targetILNS1_3genE4ELNS1_11target_archE910ELNS1_3gpuE8ELNS1_3repE0EEENS1_48merge_mergepath_partition_config_static_selectorELNS0_4arch9wavefront6targetE0EEEvSK_ ; -- Begin function _ZN7rocprim17ROCPRIM_400000_NS6detail17trampoline_kernelINS0_14default_configENS1_38merge_sort_block_merge_config_selectorIiNS0_10empty_typeEEEZZNS1_27merge_sort_block_merge_implIS3_N6thrust23THRUST_200600_302600_NS6detail15normal_iteratorINS9_10device_ptrIiEEEEPS5_m11less_div_10IiEEE10hipError_tT0_T1_T2_jT3_P12ihipStream_tbPNSt15iterator_traitsISJ_E10value_typeEPNSP_ISK_E10value_typeEPSL_NS1_7vsmem_tEENKUlT_SJ_SK_SL_E_clISE_PiSF_SF_EESI_SY_SJ_SK_SL_EUlSY_E_NS1_11comp_targetILNS1_3genE4ELNS1_11target_archE910ELNS1_3gpuE8ELNS1_3repE0EEENS1_48merge_mergepath_partition_config_static_selectorELNS0_4arch9wavefront6targetE0EEEvSK_
	.globl	_ZN7rocprim17ROCPRIM_400000_NS6detail17trampoline_kernelINS0_14default_configENS1_38merge_sort_block_merge_config_selectorIiNS0_10empty_typeEEEZZNS1_27merge_sort_block_merge_implIS3_N6thrust23THRUST_200600_302600_NS6detail15normal_iteratorINS9_10device_ptrIiEEEEPS5_m11less_div_10IiEEE10hipError_tT0_T1_T2_jT3_P12ihipStream_tbPNSt15iterator_traitsISJ_E10value_typeEPNSP_ISK_E10value_typeEPSL_NS1_7vsmem_tEENKUlT_SJ_SK_SL_E_clISE_PiSF_SF_EESI_SY_SJ_SK_SL_EUlSY_E_NS1_11comp_targetILNS1_3genE4ELNS1_11target_archE910ELNS1_3gpuE8ELNS1_3repE0EEENS1_48merge_mergepath_partition_config_static_selectorELNS0_4arch9wavefront6targetE0EEEvSK_
	.p2align	8
	.type	_ZN7rocprim17ROCPRIM_400000_NS6detail17trampoline_kernelINS0_14default_configENS1_38merge_sort_block_merge_config_selectorIiNS0_10empty_typeEEEZZNS1_27merge_sort_block_merge_implIS3_N6thrust23THRUST_200600_302600_NS6detail15normal_iteratorINS9_10device_ptrIiEEEEPS5_m11less_div_10IiEEE10hipError_tT0_T1_T2_jT3_P12ihipStream_tbPNSt15iterator_traitsISJ_E10value_typeEPNSP_ISK_E10value_typeEPSL_NS1_7vsmem_tEENKUlT_SJ_SK_SL_E_clISE_PiSF_SF_EESI_SY_SJ_SK_SL_EUlSY_E_NS1_11comp_targetILNS1_3genE4ELNS1_11target_archE910ELNS1_3gpuE8ELNS1_3repE0EEENS1_48merge_mergepath_partition_config_static_selectorELNS0_4arch9wavefront6targetE0EEEvSK_,@function
_ZN7rocprim17ROCPRIM_400000_NS6detail17trampoline_kernelINS0_14default_configENS1_38merge_sort_block_merge_config_selectorIiNS0_10empty_typeEEEZZNS1_27merge_sort_block_merge_implIS3_N6thrust23THRUST_200600_302600_NS6detail15normal_iteratorINS9_10device_ptrIiEEEEPS5_m11less_div_10IiEEE10hipError_tT0_T1_T2_jT3_P12ihipStream_tbPNSt15iterator_traitsISJ_E10value_typeEPNSP_ISK_E10value_typeEPSL_NS1_7vsmem_tEENKUlT_SJ_SK_SL_E_clISE_PiSF_SF_EESI_SY_SJ_SK_SL_EUlSY_E_NS1_11comp_targetILNS1_3genE4ELNS1_11target_archE910ELNS1_3gpuE8ELNS1_3repE0EEENS1_48merge_mergepath_partition_config_static_selectorELNS0_4arch9wavefront6targetE0EEEvSK_: ; @_ZN7rocprim17ROCPRIM_400000_NS6detail17trampoline_kernelINS0_14default_configENS1_38merge_sort_block_merge_config_selectorIiNS0_10empty_typeEEEZZNS1_27merge_sort_block_merge_implIS3_N6thrust23THRUST_200600_302600_NS6detail15normal_iteratorINS9_10device_ptrIiEEEEPS5_m11less_div_10IiEEE10hipError_tT0_T1_T2_jT3_P12ihipStream_tbPNSt15iterator_traitsISJ_E10value_typeEPNSP_ISK_E10value_typeEPSL_NS1_7vsmem_tEENKUlT_SJ_SK_SL_E_clISE_PiSF_SF_EESI_SY_SJ_SK_SL_EUlSY_E_NS1_11comp_targetILNS1_3genE4ELNS1_11target_archE910ELNS1_3gpuE8ELNS1_3repE0EEENS1_48merge_mergepath_partition_config_static_selectorELNS0_4arch9wavefront6targetE0EEEvSK_
; %bb.0:
	.section	.rodata,"a",@progbits
	.p2align	6, 0x0
	.amdhsa_kernel _ZN7rocprim17ROCPRIM_400000_NS6detail17trampoline_kernelINS0_14default_configENS1_38merge_sort_block_merge_config_selectorIiNS0_10empty_typeEEEZZNS1_27merge_sort_block_merge_implIS3_N6thrust23THRUST_200600_302600_NS6detail15normal_iteratorINS9_10device_ptrIiEEEEPS5_m11less_div_10IiEEE10hipError_tT0_T1_T2_jT3_P12ihipStream_tbPNSt15iterator_traitsISJ_E10value_typeEPNSP_ISK_E10value_typeEPSL_NS1_7vsmem_tEENKUlT_SJ_SK_SL_E_clISE_PiSF_SF_EESI_SY_SJ_SK_SL_EUlSY_E_NS1_11comp_targetILNS1_3genE4ELNS1_11target_archE910ELNS1_3gpuE8ELNS1_3repE0EEENS1_48merge_mergepath_partition_config_static_selectorELNS0_4arch9wavefront6targetE0EEEvSK_
		.amdhsa_group_segment_fixed_size 0
		.amdhsa_private_segment_fixed_size 0
		.amdhsa_kernarg_size 48
		.amdhsa_user_sgpr_count 6
		.amdhsa_user_sgpr_private_segment_buffer 1
		.amdhsa_user_sgpr_dispatch_ptr 0
		.amdhsa_user_sgpr_queue_ptr 0
		.amdhsa_user_sgpr_kernarg_segment_ptr 1
		.amdhsa_user_sgpr_dispatch_id 0
		.amdhsa_user_sgpr_flat_scratch_init 0
		.amdhsa_user_sgpr_private_segment_size 0
		.amdhsa_wavefront_size32 1
		.amdhsa_uses_dynamic_stack 0
		.amdhsa_system_sgpr_private_segment_wavefront_offset 0
		.amdhsa_system_sgpr_workgroup_id_x 1
		.amdhsa_system_sgpr_workgroup_id_y 0
		.amdhsa_system_sgpr_workgroup_id_z 0
		.amdhsa_system_sgpr_workgroup_info 0
		.amdhsa_system_vgpr_workitem_id 0
		.amdhsa_next_free_vgpr 1
		.amdhsa_next_free_sgpr 1
		.amdhsa_reserve_vcc 0
		.amdhsa_reserve_flat_scratch 0
		.amdhsa_float_round_mode_32 0
		.amdhsa_float_round_mode_16_64 0
		.amdhsa_float_denorm_mode_32 3
		.amdhsa_float_denorm_mode_16_64 3
		.amdhsa_dx10_clamp 1
		.amdhsa_ieee_mode 1
		.amdhsa_fp16_overflow 0
		.amdhsa_workgroup_processor_mode 1
		.amdhsa_memory_ordered 1
		.amdhsa_forward_progress 1
		.amdhsa_shared_vgpr_count 0
		.amdhsa_exception_fp_ieee_invalid_op 0
		.amdhsa_exception_fp_denorm_src 0
		.amdhsa_exception_fp_ieee_div_zero 0
		.amdhsa_exception_fp_ieee_overflow 0
		.amdhsa_exception_fp_ieee_underflow 0
		.amdhsa_exception_fp_ieee_inexact 0
		.amdhsa_exception_int_div_zero 0
	.end_amdhsa_kernel
	.section	.text._ZN7rocprim17ROCPRIM_400000_NS6detail17trampoline_kernelINS0_14default_configENS1_38merge_sort_block_merge_config_selectorIiNS0_10empty_typeEEEZZNS1_27merge_sort_block_merge_implIS3_N6thrust23THRUST_200600_302600_NS6detail15normal_iteratorINS9_10device_ptrIiEEEEPS5_m11less_div_10IiEEE10hipError_tT0_T1_T2_jT3_P12ihipStream_tbPNSt15iterator_traitsISJ_E10value_typeEPNSP_ISK_E10value_typeEPSL_NS1_7vsmem_tEENKUlT_SJ_SK_SL_E_clISE_PiSF_SF_EESI_SY_SJ_SK_SL_EUlSY_E_NS1_11comp_targetILNS1_3genE4ELNS1_11target_archE910ELNS1_3gpuE8ELNS1_3repE0EEENS1_48merge_mergepath_partition_config_static_selectorELNS0_4arch9wavefront6targetE0EEEvSK_,"axG",@progbits,_ZN7rocprim17ROCPRIM_400000_NS6detail17trampoline_kernelINS0_14default_configENS1_38merge_sort_block_merge_config_selectorIiNS0_10empty_typeEEEZZNS1_27merge_sort_block_merge_implIS3_N6thrust23THRUST_200600_302600_NS6detail15normal_iteratorINS9_10device_ptrIiEEEEPS5_m11less_div_10IiEEE10hipError_tT0_T1_T2_jT3_P12ihipStream_tbPNSt15iterator_traitsISJ_E10value_typeEPNSP_ISK_E10value_typeEPSL_NS1_7vsmem_tEENKUlT_SJ_SK_SL_E_clISE_PiSF_SF_EESI_SY_SJ_SK_SL_EUlSY_E_NS1_11comp_targetILNS1_3genE4ELNS1_11target_archE910ELNS1_3gpuE8ELNS1_3repE0EEENS1_48merge_mergepath_partition_config_static_selectorELNS0_4arch9wavefront6targetE0EEEvSK_,comdat
.Lfunc_end456:
	.size	_ZN7rocprim17ROCPRIM_400000_NS6detail17trampoline_kernelINS0_14default_configENS1_38merge_sort_block_merge_config_selectorIiNS0_10empty_typeEEEZZNS1_27merge_sort_block_merge_implIS3_N6thrust23THRUST_200600_302600_NS6detail15normal_iteratorINS9_10device_ptrIiEEEEPS5_m11less_div_10IiEEE10hipError_tT0_T1_T2_jT3_P12ihipStream_tbPNSt15iterator_traitsISJ_E10value_typeEPNSP_ISK_E10value_typeEPSL_NS1_7vsmem_tEENKUlT_SJ_SK_SL_E_clISE_PiSF_SF_EESI_SY_SJ_SK_SL_EUlSY_E_NS1_11comp_targetILNS1_3genE4ELNS1_11target_archE910ELNS1_3gpuE8ELNS1_3repE0EEENS1_48merge_mergepath_partition_config_static_selectorELNS0_4arch9wavefront6targetE0EEEvSK_, .Lfunc_end456-_ZN7rocprim17ROCPRIM_400000_NS6detail17trampoline_kernelINS0_14default_configENS1_38merge_sort_block_merge_config_selectorIiNS0_10empty_typeEEEZZNS1_27merge_sort_block_merge_implIS3_N6thrust23THRUST_200600_302600_NS6detail15normal_iteratorINS9_10device_ptrIiEEEEPS5_m11less_div_10IiEEE10hipError_tT0_T1_T2_jT3_P12ihipStream_tbPNSt15iterator_traitsISJ_E10value_typeEPNSP_ISK_E10value_typeEPSL_NS1_7vsmem_tEENKUlT_SJ_SK_SL_E_clISE_PiSF_SF_EESI_SY_SJ_SK_SL_EUlSY_E_NS1_11comp_targetILNS1_3genE4ELNS1_11target_archE910ELNS1_3gpuE8ELNS1_3repE0EEENS1_48merge_mergepath_partition_config_static_selectorELNS0_4arch9wavefront6targetE0EEEvSK_
                                        ; -- End function
	.set _ZN7rocprim17ROCPRIM_400000_NS6detail17trampoline_kernelINS0_14default_configENS1_38merge_sort_block_merge_config_selectorIiNS0_10empty_typeEEEZZNS1_27merge_sort_block_merge_implIS3_N6thrust23THRUST_200600_302600_NS6detail15normal_iteratorINS9_10device_ptrIiEEEEPS5_m11less_div_10IiEEE10hipError_tT0_T1_T2_jT3_P12ihipStream_tbPNSt15iterator_traitsISJ_E10value_typeEPNSP_ISK_E10value_typeEPSL_NS1_7vsmem_tEENKUlT_SJ_SK_SL_E_clISE_PiSF_SF_EESI_SY_SJ_SK_SL_EUlSY_E_NS1_11comp_targetILNS1_3genE4ELNS1_11target_archE910ELNS1_3gpuE8ELNS1_3repE0EEENS1_48merge_mergepath_partition_config_static_selectorELNS0_4arch9wavefront6targetE0EEEvSK_.num_vgpr, 0
	.set _ZN7rocprim17ROCPRIM_400000_NS6detail17trampoline_kernelINS0_14default_configENS1_38merge_sort_block_merge_config_selectorIiNS0_10empty_typeEEEZZNS1_27merge_sort_block_merge_implIS3_N6thrust23THRUST_200600_302600_NS6detail15normal_iteratorINS9_10device_ptrIiEEEEPS5_m11less_div_10IiEEE10hipError_tT0_T1_T2_jT3_P12ihipStream_tbPNSt15iterator_traitsISJ_E10value_typeEPNSP_ISK_E10value_typeEPSL_NS1_7vsmem_tEENKUlT_SJ_SK_SL_E_clISE_PiSF_SF_EESI_SY_SJ_SK_SL_EUlSY_E_NS1_11comp_targetILNS1_3genE4ELNS1_11target_archE910ELNS1_3gpuE8ELNS1_3repE0EEENS1_48merge_mergepath_partition_config_static_selectorELNS0_4arch9wavefront6targetE0EEEvSK_.num_agpr, 0
	.set _ZN7rocprim17ROCPRIM_400000_NS6detail17trampoline_kernelINS0_14default_configENS1_38merge_sort_block_merge_config_selectorIiNS0_10empty_typeEEEZZNS1_27merge_sort_block_merge_implIS3_N6thrust23THRUST_200600_302600_NS6detail15normal_iteratorINS9_10device_ptrIiEEEEPS5_m11less_div_10IiEEE10hipError_tT0_T1_T2_jT3_P12ihipStream_tbPNSt15iterator_traitsISJ_E10value_typeEPNSP_ISK_E10value_typeEPSL_NS1_7vsmem_tEENKUlT_SJ_SK_SL_E_clISE_PiSF_SF_EESI_SY_SJ_SK_SL_EUlSY_E_NS1_11comp_targetILNS1_3genE4ELNS1_11target_archE910ELNS1_3gpuE8ELNS1_3repE0EEENS1_48merge_mergepath_partition_config_static_selectorELNS0_4arch9wavefront6targetE0EEEvSK_.numbered_sgpr, 0
	.set _ZN7rocprim17ROCPRIM_400000_NS6detail17trampoline_kernelINS0_14default_configENS1_38merge_sort_block_merge_config_selectorIiNS0_10empty_typeEEEZZNS1_27merge_sort_block_merge_implIS3_N6thrust23THRUST_200600_302600_NS6detail15normal_iteratorINS9_10device_ptrIiEEEEPS5_m11less_div_10IiEEE10hipError_tT0_T1_T2_jT3_P12ihipStream_tbPNSt15iterator_traitsISJ_E10value_typeEPNSP_ISK_E10value_typeEPSL_NS1_7vsmem_tEENKUlT_SJ_SK_SL_E_clISE_PiSF_SF_EESI_SY_SJ_SK_SL_EUlSY_E_NS1_11comp_targetILNS1_3genE4ELNS1_11target_archE910ELNS1_3gpuE8ELNS1_3repE0EEENS1_48merge_mergepath_partition_config_static_selectorELNS0_4arch9wavefront6targetE0EEEvSK_.num_named_barrier, 0
	.set _ZN7rocprim17ROCPRIM_400000_NS6detail17trampoline_kernelINS0_14default_configENS1_38merge_sort_block_merge_config_selectorIiNS0_10empty_typeEEEZZNS1_27merge_sort_block_merge_implIS3_N6thrust23THRUST_200600_302600_NS6detail15normal_iteratorINS9_10device_ptrIiEEEEPS5_m11less_div_10IiEEE10hipError_tT0_T1_T2_jT3_P12ihipStream_tbPNSt15iterator_traitsISJ_E10value_typeEPNSP_ISK_E10value_typeEPSL_NS1_7vsmem_tEENKUlT_SJ_SK_SL_E_clISE_PiSF_SF_EESI_SY_SJ_SK_SL_EUlSY_E_NS1_11comp_targetILNS1_3genE4ELNS1_11target_archE910ELNS1_3gpuE8ELNS1_3repE0EEENS1_48merge_mergepath_partition_config_static_selectorELNS0_4arch9wavefront6targetE0EEEvSK_.private_seg_size, 0
	.set _ZN7rocprim17ROCPRIM_400000_NS6detail17trampoline_kernelINS0_14default_configENS1_38merge_sort_block_merge_config_selectorIiNS0_10empty_typeEEEZZNS1_27merge_sort_block_merge_implIS3_N6thrust23THRUST_200600_302600_NS6detail15normal_iteratorINS9_10device_ptrIiEEEEPS5_m11less_div_10IiEEE10hipError_tT0_T1_T2_jT3_P12ihipStream_tbPNSt15iterator_traitsISJ_E10value_typeEPNSP_ISK_E10value_typeEPSL_NS1_7vsmem_tEENKUlT_SJ_SK_SL_E_clISE_PiSF_SF_EESI_SY_SJ_SK_SL_EUlSY_E_NS1_11comp_targetILNS1_3genE4ELNS1_11target_archE910ELNS1_3gpuE8ELNS1_3repE0EEENS1_48merge_mergepath_partition_config_static_selectorELNS0_4arch9wavefront6targetE0EEEvSK_.uses_vcc, 0
	.set _ZN7rocprim17ROCPRIM_400000_NS6detail17trampoline_kernelINS0_14default_configENS1_38merge_sort_block_merge_config_selectorIiNS0_10empty_typeEEEZZNS1_27merge_sort_block_merge_implIS3_N6thrust23THRUST_200600_302600_NS6detail15normal_iteratorINS9_10device_ptrIiEEEEPS5_m11less_div_10IiEEE10hipError_tT0_T1_T2_jT3_P12ihipStream_tbPNSt15iterator_traitsISJ_E10value_typeEPNSP_ISK_E10value_typeEPSL_NS1_7vsmem_tEENKUlT_SJ_SK_SL_E_clISE_PiSF_SF_EESI_SY_SJ_SK_SL_EUlSY_E_NS1_11comp_targetILNS1_3genE4ELNS1_11target_archE910ELNS1_3gpuE8ELNS1_3repE0EEENS1_48merge_mergepath_partition_config_static_selectorELNS0_4arch9wavefront6targetE0EEEvSK_.uses_flat_scratch, 0
	.set _ZN7rocprim17ROCPRIM_400000_NS6detail17trampoline_kernelINS0_14default_configENS1_38merge_sort_block_merge_config_selectorIiNS0_10empty_typeEEEZZNS1_27merge_sort_block_merge_implIS3_N6thrust23THRUST_200600_302600_NS6detail15normal_iteratorINS9_10device_ptrIiEEEEPS5_m11less_div_10IiEEE10hipError_tT0_T1_T2_jT3_P12ihipStream_tbPNSt15iterator_traitsISJ_E10value_typeEPNSP_ISK_E10value_typeEPSL_NS1_7vsmem_tEENKUlT_SJ_SK_SL_E_clISE_PiSF_SF_EESI_SY_SJ_SK_SL_EUlSY_E_NS1_11comp_targetILNS1_3genE4ELNS1_11target_archE910ELNS1_3gpuE8ELNS1_3repE0EEENS1_48merge_mergepath_partition_config_static_selectorELNS0_4arch9wavefront6targetE0EEEvSK_.has_dyn_sized_stack, 0
	.set _ZN7rocprim17ROCPRIM_400000_NS6detail17trampoline_kernelINS0_14default_configENS1_38merge_sort_block_merge_config_selectorIiNS0_10empty_typeEEEZZNS1_27merge_sort_block_merge_implIS3_N6thrust23THRUST_200600_302600_NS6detail15normal_iteratorINS9_10device_ptrIiEEEEPS5_m11less_div_10IiEEE10hipError_tT0_T1_T2_jT3_P12ihipStream_tbPNSt15iterator_traitsISJ_E10value_typeEPNSP_ISK_E10value_typeEPSL_NS1_7vsmem_tEENKUlT_SJ_SK_SL_E_clISE_PiSF_SF_EESI_SY_SJ_SK_SL_EUlSY_E_NS1_11comp_targetILNS1_3genE4ELNS1_11target_archE910ELNS1_3gpuE8ELNS1_3repE0EEENS1_48merge_mergepath_partition_config_static_selectorELNS0_4arch9wavefront6targetE0EEEvSK_.has_recursion, 0
	.set _ZN7rocprim17ROCPRIM_400000_NS6detail17trampoline_kernelINS0_14default_configENS1_38merge_sort_block_merge_config_selectorIiNS0_10empty_typeEEEZZNS1_27merge_sort_block_merge_implIS3_N6thrust23THRUST_200600_302600_NS6detail15normal_iteratorINS9_10device_ptrIiEEEEPS5_m11less_div_10IiEEE10hipError_tT0_T1_T2_jT3_P12ihipStream_tbPNSt15iterator_traitsISJ_E10value_typeEPNSP_ISK_E10value_typeEPSL_NS1_7vsmem_tEENKUlT_SJ_SK_SL_E_clISE_PiSF_SF_EESI_SY_SJ_SK_SL_EUlSY_E_NS1_11comp_targetILNS1_3genE4ELNS1_11target_archE910ELNS1_3gpuE8ELNS1_3repE0EEENS1_48merge_mergepath_partition_config_static_selectorELNS0_4arch9wavefront6targetE0EEEvSK_.has_indirect_call, 0
	.section	.AMDGPU.csdata,"",@progbits
; Kernel info:
; codeLenInByte = 0
; TotalNumSgprs: 0
; NumVgprs: 0
; ScratchSize: 0
; MemoryBound: 0
; FloatMode: 240
; IeeeMode: 1
; LDSByteSize: 0 bytes/workgroup (compile time only)
; SGPRBlocks: 0
; VGPRBlocks: 0
; NumSGPRsForWavesPerEU: 1
; NumVGPRsForWavesPerEU: 1
; Occupancy: 16
; WaveLimiterHint : 0
; COMPUTE_PGM_RSRC2:SCRATCH_EN: 0
; COMPUTE_PGM_RSRC2:USER_SGPR: 6
; COMPUTE_PGM_RSRC2:TRAP_HANDLER: 0
; COMPUTE_PGM_RSRC2:TGID_X_EN: 1
; COMPUTE_PGM_RSRC2:TGID_Y_EN: 0
; COMPUTE_PGM_RSRC2:TGID_Z_EN: 0
; COMPUTE_PGM_RSRC2:TIDIG_COMP_CNT: 0
	.section	.text._ZN7rocprim17ROCPRIM_400000_NS6detail17trampoline_kernelINS0_14default_configENS1_38merge_sort_block_merge_config_selectorIiNS0_10empty_typeEEEZZNS1_27merge_sort_block_merge_implIS3_N6thrust23THRUST_200600_302600_NS6detail15normal_iteratorINS9_10device_ptrIiEEEEPS5_m11less_div_10IiEEE10hipError_tT0_T1_T2_jT3_P12ihipStream_tbPNSt15iterator_traitsISJ_E10value_typeEPNSP_ISK_E10value_typeEPSL_NS1_7vsmem_tEENKUlT_SJ_SK_SL_E_clISE_PiSF_SF_EESI_SY_SJ_SK_SL_EUlSY_E_NS1_11comp_targetILNS1_3genE3ELNS1_11target_archE908ELNS1_3gpuE7ELNS1_3repE0EEENS1_48merge_mergepath_partition_config_static_selectorELNS0_4arch9wavefront6targetE0EEEvSK_,"axG",@progbits,_ZN7rocprim17ROCPRIM_400000_NS6detail17trampoline_kernelINS0_14default_configENS1_38merge_sort_block_merge_config_selectorIiNS0_10empty_typeEEEZZNS1_27merge_sort_block_merge_implIS3_N6thrust23THRUST_200600_302600_NS6detail15normal_iteratorINS9_10device_ptrIiEEEEPS5_m11less_div_10IiEEE10hipError_tT0_T1_T2_jT3_P12ihipStream_tbPNSt15iterator_traitsISJ_E10value_typeEPNSP_ISK_E10value_typeEPSL_NS1_7vsmem_tEENKUlT_SJ_SK_SL_E_clISE_PiSF_SF_EESI_SY_SJ_SK_SL_EUlSY_E_NS1_11comp_targetILNS1_3genE3ELNS1_11target_archE908ELNS1_3gpuE7ELNS1_3repE0EEENS1_48merge_mergepath_partition_config_static_selectorELNS0_4arch9wavefront6targetE0EEEvSK_,comdat
	.protected	_ZN7rocprim17ROCPRIM_400000_NS6detail17trampoline_kernelINS0_14default_configENS1_38merge_sort_block_merge_config_selectorIiNS0_10empty_typeEEEZZNS1_27merge_sort_block_merge_implIS3_N6thrust23THRUST_200600_302600_NS6detail15normal_iteratorINS9_10device_ptrIiEEEEPS5_m11less_div_10IiEEE10hipError_tT0_T1_T2_jT3_P12ihipStream_tbPNSt15iterator_traitsISJ_E10value_typeEPNSP_ISK_E10value_typeEPSL_NS1_7vsmem_tEENKUlT_SJ_SK_SL_E_clISE_PiSF_SF_EESI_SY_SJ_SK_SL_EUlSY_E_NS1_11comp_targetILNS1_3genE3ELNS1_11target_archE908ELNS1_3gpuE7ELNS1_3repE0EEENS1_48merge_mergepath_partition_config_static_selectorELNS0_4arch9wavefront6targetE0EEEvSK_ ; -- Begin function _ZN7rocprim17ROCPRIM_400000_NS6detail17trampoline_kernelINS0_14default_configENS1_38merge_sort_block_merge_config_selectorIiNS0_10empty_typeEEEZZNS1_27merge_sort_block_merge_implIS3_N6thrust23THRUST_200600_302600_NS6detail15normal_iteratorINS9_10device_ptrIiEEEEPS5_m11less_div_10IiEEE10hipError_tT0_T1_T2_jT3_P12ihipStream_tbPNSt15iterator_traitsISJ_E10value_typeEPNSP_ISK_E10value_typeEPSL_NS1_7vsmem_tEENKUlT_SJ_SK_SL_E_clISE_PiSF_SF_EESI_SY_SJ_SK_SL_EUlSY_E_NS1_11comp_targetILNS1_3genE3ELNS1_11target_archE908ELNS1_3gpuE7ELNS1_3repE0EEENS1_48merge_mergepath_partition_config_static_selectorELNS0_4arch9wavefront6targetE0EEEvSK_
	.globl	_ZN7rocprim17ROCPRIM_400000_NS6detail17trampoline_kernelINS0_14default_configENS1_38merge_sort_block_merge_config_selectorIiNS0_10empty_typeEEEZZNS1_27merge_sort_block_merge_implIS3_N6thrust23THRUST_200600_302600_NS6detail15normal_iteratorINS9_10device_ptrIiEEEEPS5_m11less_div_10IiEEE10hipError_tT0_T1_T2_jT3_P12ihipStream_tbPNSt15iterator_traitsISJ_E10value_typeEPNSP_ISK_E10value_typeEPSL_NS1_7vsmem_tEENKUlT_SJ_SK_SL_E_clISE_PiSF_SF_EESI_SY_SJ_SK_SL_EUlSY_E_NS1_11comp_targetILNS1_3genE3ELNS1_11target_archE908ELNS1_3gpuE7ELNS1_3repE0EEENS1_48merge_mergepath_partition_config_static_selectorELNS0_4arch9wavefront6targetE0EEEvSK_
	.p2align	8
	.type	_ZN7rocprim17ROCPRIM_400000_NS6detail17trampoline_kernelINS0_14default_configENS1_38merge_sort_block_merge_config_selectorIiNS0_10empty_typeEEEZZNS1_27merge_sort_block_merge_implIS3_N6thrust23THRUST_200600_302600_NS6detail15normal_iteratorINS9_10device_ptrIiEEEEPS5_m11less_div_10IiEEE10hipError_tT0_T1_T2_jT3_P12ihipStream_tbPNSt15iterator_traitsISJ_E10value_typeEPNSP_ISK_E10value_typeEPSL_NS1_7vsmem_tEENKUlT_SJ_SK_SL_E_clISE_PiSF_SF_EESI_SY_SJ_SK_SL_EUlSY_E_NS1_11comp_targetILNS1_3genE3ELNS1_11target_archE908ELNS1_3gpuE7ELNS1_3repE0EEENS1_48merge_mergepath_partition_config_static_selectorELNS0_4arch9wavefront6targetE0EEEvSK_,@function
_ZN7rocprim17ROCPRIM_400000_NS6detail17trampoline_kernelINS0_14default_configENS1_38merge_sort_block_merge_config_selectorIiNS0_10empty_typeEEEZZNS1_27merge_sort_block_merge_implIS3_N6thrust23THRUST_200600_302600_NS6detail15normal_iteratorINS9_10device_ptrIiEEEEPS5_m11less_div_10IiEEE10hipError_tT0_T1_T2_jT3_P12ihipStream_tbPNSt15iterator_traitsISJ_E10value_typeEPNSP_ISK_E10value_typeEPSL_NS1_7vsmem_tEENKUlT_SJ_SK_SL_E_clISE_PiSF_SF_EESI_SY_SJ_SK_SL_EUlSY_E_NS1_11comp_targetILNS1_3genE3ELNS1_11target_archE908ELNS1_3gpuE7ELNS1_3repE0EEENS1_48merge_mergepath_partition_config_static_selectorELNS0_4arch9wavefront6targetE0EEEvSK_: ; @_ZN7rocprim17ROCPRIM_400000_NS6detail17trampoline_kernelINS0_14default_configENS1_38merge_sort_block_merge_config_selectorIiNS0_10empty_typeEEEZZNS1_27merge_sort_block_merge_implIS3_N6thrust23THRUST_200600_302600_NS6detail15normal_iteratorINS9_10device_ptrIiEEEEPS5_m11less_div_10IiEEE10hipError_tT0_T1_T2_jT3_P12ihipStream_tbPNSt15iterator_traitsISJ_E10value_typeEPNSP_ISK_E10value_typeEPSL_NS1_7vsmem_tEENKUlT_SJ_SK_SL_E_clISE_PiSF_SF_EESI_SY_SJ_SK_SL_EUlSY_E_NS1_11comp_targetILNS1_3genE3ELNS1_11target_archE908ELNS1_3gpuE7ELNS1_3repE0EEENS1_48merge_mergepath_partition_config_static_selectorELNS0_4arch9wavefront6targetE0EEEvSK_
; %bb.0:
	.section	.rodata,"a",@progbits
	.p2align	6, 0x0
	.amdhsa_kernel _ZN7rocprim17ROCPRIM_400000_NS6detail17trampoline_kernelINS0_14default_configENS1_38merge_sort_block_merge_config_selectorIiNS0_10empty_typeEEEZZNS1_27merge_sort_block_merge_implIS3_N6thrust23THRUST_200600_302600_NS6detail15normal_iteratorINS9_10device_ptrIiEEEEPS5_m11less_div_10IiEEE10hipError_tT0_T1_T2_jT3_P12ihipStream_tbPNSt15iterator_traitsISJ_E10value_typeEPNSP_ISK_E10value_typeEPSL_NS1_7vsmem_tEENKUlT_SJ_SK_SL_E_clISE_PiSF_SF_EESI_SY_SJ_SK_SL_EUlSY_E_NS1_11comp_targetILNS1_3genE3ELNS1_11target_archE908ELNS1_3gpuE7ELNS1_3repE0EEENS1_48merge_mergepath_partition_config_static_selectorELNS0_4arch9wavefront6targetE0EEEvSK_
		.amdhsa_group_segment_fixed_size 0
		.amdhsa_private_segment_fixed_size 0
		.amdhsa_kernarg_size 48
		.amdhsa_user_sgpr_count 6
		.amdhsa_user_sgpr_private_segment_buffer 1
		.amdhsa_user_sgpr_dispatch_ptr 0
		.amdhsa_user_sgpr_queue_ptr 0
		.amdhsa_user_sgpr_kernarg_segment_ptr 1
		.amdhsa_user_sgpr_dispatch_id 0
		.amdhsa_user_sgpr_flat_scratch_init 0
		.amdhsa_user_sgpr_private_segment_size 0
		.amdhsa_wavefront_size32 1
		.amdhsa_uses_dynamic_stack 0
		.amdhsa_system_sgpr_private_segment_wavefront_offset 0
		.amdhsa_system_sgpr_workgroup_id_x 1
		.amdhsa_system_sgpr_workgroup_id_y 0
		.amdhsa_system_sgpr_workgroup_id_z 0
		.amdhsa_system_sgpr_workgroup_info 0
		.amdhsa_system_vgpr_workitem_id 0
		.amdhsa_next_free_vgpr 1
		.amdhsa_next_free_sgpr 1
		.amdhsa_reserve_vcc 0
		.amdhsa_reserve_flat_scratch 0
		.amdhsa_float_round_mode_32 0
		.amdhsa_float_round_mode_16_64 0
		.amdhsa_float_denorm_mode_32 3
		.amdhsa_float_denorm_mode_16_64 3
		.amdhsa_dx10_clamp 1
		.amdhsa_ieee_mode 1
		.amdhsa_fp16_overflow 0
		.amdhsa_workgroup_processor_mode 1
		.amdhsa_memory_ordered 1
		.amdhsa_forward_progress 1
		.amdhsa_shared_vgpr_count 0
		.amdhsa_exception_fp_ieee_invalid_op 0
		.amdhsa_exception_fp_denorm_src 0
		.amdhsa_exception_fp_ieee_div_zero 0
		.amdhsa_exception_fp_ieee_overflow 0
		.amdhsa_exception_fp_ieee_underflow 0
		.amdhsa_exception_fp_ieee_inexact 0
		.amdhsa_exception_int_div_zero 0
	.end_amdhsa_kernel
	.section	.text._ZN7rocprim17ROCPRIM_400000_NS6detail17trampoline_kernelINS0_14default_configENS1_38merge_sort_block_merge_config_selectorIiNS0_10empty_typeEEEZZNS1_27merge_sort_block_merge_implIS3_N6thrust23THRUST_200600_302600_NS6detail15normal_iteratorINS9_10device_ptrIiEEEEPS5_m11less_div_10IiEEE10hipError_tT0_T1_T2_jT3_P12ihipStream_tbPNSt15iterator_traitsISJ_E10value_typeEPNSP_ISK_E10value_typeEPSL_NS1_7vsmem_tEENKUlT_SJ_SK_SL_E_clISE_PiSF_SF_EESI_SY_SJ_SK_SL_EUlSY_E_NS1_11comp_targetILNS1_3genE3ELNS1_11target_archE908ELNS1_3gpuE7ELNS1_3repE0EEENS1_48merge_mergepath_partition_config_static_selectorELNS0_4arch9wavefront6targetE0EEEvSK_,"axG",@progbits,_ZN7rocprim17ROCPRIM_400000_NS6detail17trampoline_kernelINS0_14default_configENS1_38merge_sort_block_merge_config_selectorIiNS0_10empty_typeEEEZZNS1_27merge_sort_block_merge_implIS3_N6thrust23THRUST_200600_302600_NS6detail15normal_iteratorINS9_10device_ptrIiEEEEPS5_m11less_div_10IiEEE10hipError_tT0_T1_T2_jT3_P12ihipStream_tbPNSt15iterator_traitsISJ_E10value_typeEPNSP_ISK_E10value_typeEPSL_NS1_7vsmem_tEENKUlT_SJ_SK_SL_E_clISE_PiSF_SF_EESI_SY_SJ_SK_SL_EUlSY_E_NS1_11comp_targetILNS1_3genE3ELNS1_11target_archE908ELNS1_3gpuE7ELNS1_3repE0EEENS1_48merge_mergepath_partition_config_static_selectorELNS0_4arch9wavefront6targetE0EEEvSK_,comdat
.Lfunc_end457:
	.size	_ZN7rocprim17ROCPRIM_400000_NS6detail17trampoline_kernelINS0_14default_configENS1_38merge_sort_block_merge_config_selectorIiNS0_10empty_typeEEEZZNS1_27merge_sort_block_merge_implIS3_N6thrust23THRUST_200600_302600_NS6detail15normal_iteratorINS9_10device_ptrIiEEEEPS5_m11less_div_10IiEEE10hipError_tT0_T1_T2_jT3_P12ihipStream_tbPNSt15iterator_traitsISJ_E10value_typeEPNSP_ISK_E10value_typeEPSL_NS1_7vsmem_tEENKUlT_SJ_SK_SL_E_clISE_PiSF_SF_EESI_SY_SJ_SK_SL_EUlSY_E_NS1_11comp_targetILNS1_3genE3ELNS1_11target_archE908ELNS1_3gpuE7ELNS1_3repE0EEENS1_48merge_mergepath_partition_config_static_selectorELNS0_4arch9wavefront6targetE0EEEvSK_, .Lfunc_end457-_ZN7rocprim17ROCPRIM_400000_NS6detail17trampoline_kernelINS0_14default_configENS1_38merge_sort_block_merge_config_selectorIiNS0_10empty_typeEEEZZNS1_27merge_sort_block_merge_implIS3_N6thrust23THRUST_200600_302600_NS6detail15normal_iteratorINS9_10device_ptrIiEEEEPS5_m11less_div_10IiEEE10hipError_tT0_T1_T2_jT3_P12ihipStream_tbPNSt15iterator_traitsISJ_E10value_typeEPNSP_ISK_E10value_typeEPSL_NS1_7vsmem_tEENKUlT_SJ_SK_SL_E_clISE_PiSF_SF_EESI_SY_SJ_SK_SL_EUlSY_E_NS1_11comp_targetILNS1_3genE3ELNS1_11target_archE908ELNS1_3gpuE7ELNS1_3repE0EEENS1_48merge_mergepath_partition_config_static_selectorELNS0_4arch9wavefront6targetE0EEEvSK_
                                        ; -- End function
	.set _ZN7rocprim17ROCPRIM_400000_NS6detail17trampoline_kernelINS0_14default_configENS1_38merge_sort_block_merge_config_selectorIiNS0_10empty_typeEEEZZNS1_27merge_sort_block_merge_implIS3_N6thrust23THRUST_200600_302600_NS6detail15normal_iteratorINS9_10device_ptrIiEEEEPS5_m11less_div_10IiEEE10hipError_tT0_T1_T2_jT3_P12ihipStream_tbPNSt15iterator_traitsISJ_E10value_typeEPNSP_ISK_E10value_typeEPSL_NS1_7vsmem_tEENKUlT_SJ_SK_SL_E_clISE_PiSF_SF_EESI_SY_SJ_SK_SL_EUlSY_E_NS1_11comp_targetILNS1_3genE3ELNS1_11target_archE908ELNS1_3gpuE7ELNS1_3repE0EEENS1_48merge_mergepath_partition_config_static_selectorELNS0_4arch9wavefront6targetE0EEEvSK_.num_vgpr, 0
	.set _ZN7rocprim17ROCPRIM_400000_NS6detail17trampoline_kernelINS0_14default_configENS1_38merge_sort_block_merge_config_selectorIiNS0_10empty_typeEEEZZNS1_27merge_sort_block_merge_implIS3_N6thrust23THRUST_200600_302600_NS6detail15normal_iteratorINS9_10device_ptrIiEEEEPS5_m11less_div_10IiEEE10hipError_tT0_T1_T2_jT3_P12ihipStream_tbPNSt15iterator_traitsISJ_E10value_typeEPNSP_ISK_E10value_typeEPSL_NS1_7vsmem_tEENKUlT_SJ_SK_SL_E_clISE_PiSF_SF_EESI_SY_SJ_SK_SL_EUlSY_E_NS1_11comp_targetILNS1_3genE3ELNS1_11target_archE908ELNS1_3gpuE7ELNS1_3repE0EEENS1_48merge_mergepath_partition_config_static_selectorELNS0_4arch9wavefront6targetE0EEEvSK_.num_agpr, 0
	.set _ZN7rocprim17ROCPRIM_400000_NS6detail17trampoline_kernelINS0_14default_configENS1_38merge_sort_block_merge_config_selectorIiNS0_10empty_typeEEEZZNS1_27merge_sort_block_merge_implIS3_N6thrust23THRUST_200600_302600_NS6detail15normal_iteratorINS9_10device_ptrIiEEEEPS5_m11less_div_10IiEEE10hipError_tT0_T1_T2_jT3_P12ihipStream_tbPNSt15iterator_traitsISJ_E10value_typeEPNSP_ISK_E10value_typeEPSL_NS1_7vsmem_tEENKUlT_SJ_SK_SL_E_clISE_PiSF_SF_EESI_SY_SJ_SK_SL_EUlSY_E_NS1_11comp_targetILNS1_3genE3ELNS1_11target_archE908ELNS1_3gpuE7ELNS1_3repE0EEENS1_48merge_mergepath_partition_config_static_selectorELNS0_4arch9wavefront6targetE0EEEvSK_.numbered_sgpr, 0
	.set _ZN7rocprim17ROCPRIM_400000_NS6detail17trampoline_kernelINS0_14default_configENS1_38merge_sort_block_merge_config_selectorIiNS0_10empty_typeEEEZZNS1_27merge_sort_block_merge_implIS3_N6thrust23THRUST_200600_302600_NS6detail15normal_iteratorINS9_10device_ptrIiEEEEPS5_m11less_div_10IiEEE10hipError_tT0_T1_T2_jT3_P12ihipStream_tbPNSt15iterator_traitsISJ_E10value_typeEPNSP_ISK_E10value_typeEPSL_NS1_7vsmem_tEENKUlT_SJ_SK_SL_E_clISE_PiSF_SF_EESI_SY_SJ_SK_SL_EUlSY_E_NS1_11comp_targetILNS1_3genE3ELNS1_11target_archE908ELNS1_3gpuE7ELNS1_3repE0EEENS1_48merge_mergepath_partition_config_static_selectorELNS0_4arch9wavefront6targetE0EEEvSK_.num_named_barrier, 0
	.set _ZN7rocprim17ROCPRIM_400000_NS6detail17trampoline_kernelINS0_14default_configENS1_38merge_sort_block_merge_config_selectorIiNS0_10empty_typeEEEZZNS1_27merge_sort_block_merge_implIS3_N6thrust23THRUST_200600_302600_NS6detail15normal_iteratorINS9_10device_ptrIiEEEEPS5_m11less_div_10IiEEE10hipError_tT0_T1_T2_jT3_P12ihipStream_tbPNSt15iterator_traitsISJ_E10value_typeEPNSP_ISK_E10value_typeEPSL_NS1_7vsmem_tEENKUlT_SJ_SK_SL_E_clISE_PiSF_SF_EESI_SY_SJ_SK_SL_EUlSY_E_NS1_11comp_targetILNS1_3genE3ELNS1_11target_archE908ELNS1_3gpuE7ELNS1_3repE0EEENS1_48merge_mergepath_partition_config_static_selectorELNS0_4arch9wavefront6targetE0EEEvSK_.private_seg_size, 0
	.set _ZN7rocprim17ROCPRIM_400000_NS6detail17trampoline_kernelINS0_14default_configENS1_38merge_sort_block_merge_config_selectorIiNS0_10empty_typeEEEZZNS1_27merge_sort_block_merge_implIS3_N6thrust23THRUST_200600_302600_NS6detail15normal_iteratorINS9_10device_ptrIiEEEEPS5_m11less_div_10IiEEE10hipError_tT0_T1_T2_jT3_P12ihipStream_tbPNSt15iterator_traitsISJ_E10value_typeEPNSP_ISK_E10value_typeEPSL_NS1_7vsmem_tEENKUlT_SJ_SK_SL_E_clISE_PiSF_SF_EESI_SY_SJ_SK_SL_EUlSY_E_NS1_11comp_targetILNS1_3genE3ELNS1_11target_archE908ELNS1_3gpuE7ELNS1_3repE0EEENS1_48merge_mergepath_partition_config_static_selectorELNS0_4arch9wavefront6targetE0EEEvSK_.uses_vcc, 0
	.set _ZN7rocprim17ROCPRIM_400000_NS6detail17trampoline_kernelINS0_14default_configENS1_38merge_sort_block_merge_config_selectorIiNS0_10empty_typeEEEZZNS1_27merge_sort_block_merge_implIS3_N6thrust23THRUST_200600_302600_NS6detail15normal_iteratorINS9_10device_ptrIiEEEEPS5_m11less_div_10IiEEE10hipError_tT0_T1_T2_jT3_P12ihipStream_tbPNSt15iterator_traitsISJ_E10value_typeEPNSP_ISK_E10value_typeEPSL_NS1_7vsmem_tEENKUlT_SJ_SK_SL_E_clISE_PiSF_SF_EESI_SY_SJ_SK_SL_EUlSY_E_NS1_11comp_targetILNS1_3genE3ELNS1_11target_archE908ELNS1_3gpuE7ELNS1_3repE0EEENS1_48merge_mergepath_partition_config_static_selectorELNS0_4arch9wavefront6targetE0EEEvSK_.uses_flat_scratch, 0
	.set _ZN7rocprim17ROCPRIM_400000_NS6detail17trampoline_kernelINS0_14default_configENS1_38merge_sort_block_merge_config_selectorIiNS0_10empty_typeEEEZZNS1_27merge_sort_block_merge_implIS3_N6thrust23THRUST_200600_302600_NS6detail15normal_iteratorINS9_10device_ptrIiEEEEPS5_m11less_div_10IiEEE10hipError_tT0_T1_T2_jT3_P12ihipStream_tbPNSt15iterator_traitsISJ_E10value_typeEPNSP_ISK_E10value_typeEPSL_NS1_7vsmem_tEENKUlT_SJ_SK_SL_E_clISE_PiSF_SF_EESI_SY_SJ_SK_SL_EUlSY_E_NS1_11comp_targetILNS1_3genE3ELNS1_11target_archE908ELNS1_3gpuE7ELNS1_3repE0EEENS1_48merge_mergepath_partition_config_static_selectorELNS0_4arch9wavefront6targetE0EEEvSK_.has_dyn_sized_stack, 0
	.set _ZN7rocprim17ROCPRIM_400000_NS6detail17trampoline_kernelINS0_14default_configENS1_38merge_sort_block_merge_config_selectorIiNS0_10empty_typeEEEZZNS1_27merge_sort_block_merge_implIS3_N6thrust23THRUST_200600_302600_NS6detail15normal_iteratorINS9_10device_ptrIiEEEEPS5_m11less_div_10IiEEE10hipError_tT0_T1_T2_jT3_P12ihipStream_tbPNSt15iterator_traitsISJ_E10value_typeEPNSP_ISK_E10value_typeEPSL_NS1_7vsmem_tEENKUlT_SJ_SK_SL_E_clISE_PiSF_SF_EESI_SY_SJ_SK_SL_EUlSY_E_NS1_11comp_targetILNS1_3genE3ELNS1_11target_archE908ELNS1_3gpuE7ELNS1_3repE0EEENS1_48merge_mergepath_partition_config_static_selectorELNS0_4arch9wavefront6targetE0EEEvSK_.has_recursion, 0
	.set _ZN7rocprim17ROCPRIM_400000_NS6detail17trampoline_kernelINS0_14default_configENS1_38merge_sort_block_merge_config_selectorIiNS0_10empty_typeEEEZZNS1_27merge_sort_block_merge_implIS3_N6thrust23THRUST_200600_302600_NS6detail15normal_iteratorINS9_10device_ptrIiEEEEPS5_m11less_div_10IiEEE10hipError_tT0_T1_T2_jT3_P12ihipStream_tbPNSt15iterator_traitsISJ_E10value_typeEPNSP_ISK_E10value_typeEPSL_NS1_7vsmem_tEENKUlT_SJ_SK_SL_E_clISE_PiSF_SF_EESI_SY_SJ_SK_SL_EUlSY_E_NS1_11comp_targetILNS1_3genE3ELNS1_11target_archE908ELNS1_3gpuE7ELNS1_3repE0EEENS1_48merge_mergepath_partition_config_static_selectorELNS0_4arch9wavefront6targetE0EEEvSK_.has_indirect_call, 0
	.section	.AMDGPU.csdata,"",@progbits
; Kernel info:
; codeLenInByte = 0
; TotalNumSgprs: 0
; NumVgprs: 0
; ScratchSize: 0
; MemoryBound: 0
; FloatMode: 240
; IeeeMode: 1
; LDSByteSize: 0 bytes/workgroup (compile time only)
; SGPRBlocks: 0
; VGPRBlocks: 0
; NumSGPRsForWavesPerEU: 1
; NumVGPRsForWavesPerEU: 1
; Occupancy: 16
; WaveLimiterHint : 0
; COMPUTE_PGM_RSRC2:SCRATCH_EN: 0
; COMPUTE_PGM_RSRC2:USER_SGPR: 6
; COMPUTE_PGM_RSRC2:TRAP_HANDLER: 0
; COMPUTE_PGM_RSRC2:TGID_X_EN: 1
; COMPUTE_PGM_RSRC2:TGID_Y_EN: 0
; COMPUTE_PGM_RSRC2:TGID_Z_EN: 0
; COMPUTE_PGM_RSRC2:TIDIG_COMP_CNT: 0
	.section	.text._ZN7rocprim17ROCPRIM_400000_NS6detail17trampoline_kernelINS0_14default_configENS1_38merge_sort_block_merge_config_selectorIiNS0_10empty_typeEEEZZNS1_27merge_sort_block_merge_implIS3_N6thrust23THRUST_200600_302600_NS6detail15normal_iteratorINS9_10device_ptrIiEEEEPS5_m11less_div_10IiEEE10hipError_tT0_T1_T2_jT3_P12ihipStream_tbPNSt15iterator_traitsISJ_E10value_typeEPNSP_ISK_E10value_typeEPSL_NS1_7vsmem_tEENKUlT_SJ_SK_SL_E_clISE_PiSF_SF_EESI_SY_SJ_SK_SL_EUlSY_E_NS1_11comp_targetILNS1_3genE2ELNS1_11target_archE906ELNS1_3gpuE6ELNS1_3repE0EEENS1_48merge_mergepath_partition_config_static_selectorELNS0_4arch9wavefront6targetE0EEEvSK_,"axG",@progbits,_ZN7rocprim17ROCPRIM_400000_NS6detail17trampoline_kernelINS0_14default_configENS1_38merge_sort_block_merge_config_selectorIiNS0_10empty_typeEEEZZNS1_27merge_sort_block_merge_implIS3_N6thrust23THRUST_200600_302600_NS6detail15normal_iteratorINS9_10device_ptrIiEEEEPS5_m11less_div_10IiEEE10hipError_tT0_T1_T2_jT3_P12ihipStream_tbPNSt15iterator_traitsISJ_E10value_typeEPNSP_ISK_E10value_typeEPSL_NS1_7vsmem_tEENKUlT_SJ_SK_SL_E_clISE_PiSF_SF_EESI_SY_SJ_SK_SL_EUlSY_E_NS1_11comp_targetILNS1_3genE2ELNS1_11target_archE906ELNS1_3gpuE6ELNS1_3repE0EEENS1_48merge_mergepath_partition_config_static_selectorELNS0_4arch9wavefront6targetE0EEEvSK_,comdat
	.protected	_ZN7rocprim17ROCPRIM_400000_NS6detail17trampoline_kernelINS0_14default_configENS1_38merge_sort_block_merge_config_selectorIiNS0_10empty_typeEEEZZNS1_27merge_sort_block_merge_implIS3_N6thrust23THRUST_200600_302600_NS6detail15normal_iteratorINS9_10device_ptrIiEEEEPS5_m11less_div_10IiEEE10hipError_tT0_T1_T2_jT3_P12ihipStream_tbPNSt15iterator_traitsISJ_E10value_typeEPNSP_ISK_E10value_typeEPSL_NS1_7vsmem_tEENKUlT_SJ_SK_SL_E_clISE_PiSF_SF_EESI_SY_SJ_SK_SL_EUlSY_E_NS1_11comp_targetILNS1_3genE2ELNS1_11target_archE906ELNS1_3gpuE6ELNS1_3repE0EEENS1_48merge_mergepath_partition_config_static_selectorELNS0_4arch9wavefront6targetE0EEEvSK_ ; -- Begin function _ZN7rocprim17ROCPRIM_400000_NS6detail17trampoline_kernelINS0_14default_configENS1_38merge_sort_block_merge_config_selectorIiNS0_10empty_typeEEEZZNS1_27merge_sort_block_merge_implIS3_N6thrust23THRUST_200600_302600_NS6detail15normal_iteratorINS9_10device_ptrIiEEEEPS5_m11less_div_10IiEEE10hipError_tT0_T1_T2_jT3_P12ihipStream_tbPNSt15iterator_traitsISJ_E10value_typeEPNSP_ISK_E10value_typeEPSL_NS1_7vsmem_tEENKUlT_SJ_SK_SL_E_clISE_PiSF_SF_EESI_SY_SJ_SK_SL_EUlSY_E_NS1_11comp_targetILNS1_3genE2ELNS1_11target_archE906ELNS1_3gpuE6ELNS1_3repE0EEENS1_48merge_mergepath_partition_config_static_selectorELNS0_4arch9wavefront6targetE0EEEvSK_
	.globl	_ZN7rocprim17ROCPRIM_400000_NS6detail17trampoline_kernelINS0_14default_configENS1_38merge_sort_block_merge_config_selectorIiNS0_10empty_typeEEEZZNS1_27merge_sort_block_merge_implIS3_N6thrust23THRUST_200600_302600_NS6detail15normal_iteratorINS9_10device_ptrIiEEEEPS5_m11less_div_10IiEEE10hipError_tT0_T1_T2_jT3_P12ihipStream_tbPNSt15iterator_traitsISJ_E10value_typeEPNSP_ISK_E10value_typeEPSL_NS1_7vsmem_tEENKUlT_SJ_SK_SL_E_clISE_PiSF_SF_EESI_SY_SJ_SK_SL_EUlSY_E_NS1_11comp_targetILNS1_3genE2ELNS1_11target_archE906ELNS1_3gpuE6ELNS1_3repE0EEENS1_48merge_mergepath_partition_config_static_selectorELNS0_4arch9wavefront6targetE0EEEvSK_
	.p2align	8
	.type	_ZN7rocprim17ROCPRIM_400000_NS6detail17trampoline_kernelINS0_14default_configENS1_38merge_sort_block_merge_config_selectorIiNS0_10empty_typeEEEZZNS1_27merge_sort_block_merge_implIS3_N6thrust23THRUST_200600_302600_NS6detail15normal_iteratorINS9_10device_ptrIiEEEEPS5_m11less_div_10IiEEE10hipError_tT0_T1_T2_jT3_P12ihipStream_tbPNSt15iterator_traitsISJ_E10value_typeEPNSP_ISK_E10value_typeEPSL_NS1_7vsmem_tEENKUlT_SJ_SK_SL_E_clISE_PiSF_SF_EESI_SY_SJ_SK_SL_EUlSY_E_NS1_11comp_targetILNS1_3genE2ELNS1_11target_archE906ELNS1_3gpuE6ELNS1_3repE0EEENS1_48merge_mergepath_partition_config_static_selectorELNS0_4arch9wavefront6targetE0EEEvSK_,@function
_ZN7rocprim17ROCPRIM_400000_NS6detail17trampoline_kernelINS0_14default_configENS1_38merge_sort_block_merge_config_selectorIiNS0_10empty_typeEEEZZNS1_27merge_sort_block_merge_implIS3_N6thrust23THRUST_200600_302600_NS6detail15normal_iteratorINS9_10device_ptrIiEEEEPS5_m11less_div_10IiEEE10hipError_tT0_T1_T2_jT3_P12ihipStream_tbPNSt15iterator_traitsISJ_E10value_typeEPNSP_ISK_E10value_typeEPSL_NS1_7vsmem_tEENKUlT_SJ_SK_SL_E_clISE_PiSF_SF_EESI_SY_SJ_SK_SL_EUlSY_E_NS1_11comp_targetILNS1_3genE2ELNS1_11target_archE906ELNS1_3gpuE6ELNS1_3repE0EEENS1_48merge_mergepath_partition_config_static_selectorELNS0_4arch9wavefront6targetE0EEEvSK_: ; @_ZN7rocprim17ROCPRIM_400000_NS6detail17trampoline_kernelINS0_14default_configENS1_38merge_sort_block_merge_config_selectorIiNS0_10empty_typeEEEZZNS1_27merge_sort_block_merge_implIS3_N6thrust23THRUST_200600_302600_NS6detail15normal_iteratorINS9_10device_ptrIiEEEEPS5_m11less_div_10IiEEE10hipError_tT0_T1_T2_jT3_P12ihipStream_tbPNSt15iterator_traitsISJ_E10value_typeEPNSP_ISK_E10value_typeEPSL_NS1_7vsmem_tEENKUlT_SJ_SK_SL_E_clISE_PiSF_SF_EESI_SY_SJ_SK_SL_EUlSY_E_NS1_11comp_targetILNS1_3genE2ELNS1_11target_archE906ELNS1_3gpuE6ELNS1_3repE0EEENS1_48merge_mergepath_partition_config_static_selectorELNS0_4arch9wavefront6targetE0EEEvSK_
; %bb.0:
	.section	.rodata,"a",@progbits
	.p2align	6, 0x0
	.amdhsa_kernel _ZN7rocprim17ROCPRIM_400000_NS6detail17trampoline_kernelINS0_14default_configENS1_38merge_sort_block_merge_config_selectorIiNS0_10empty_typeEEEZZNS1_27merge_sort_block_merge_implIS3_N6thrust23THRUST_200600_302600_NS6detail15normal_iteratorINS9_10device_ptrIiEEEEPS5_m11less_div_10IiEEE10hipError_tT0_T1_T2_jT3_P12ihipStream_tbPNSt15iterator_traitsISJ_E10value_typeEPNSP_ISK_E10value_typeEPSL_NS1_7vsmem_tEENKUlT_SJ_SK_SL_E_clISE_PiSF_SF_EESI_SY_SJ_SK_SL_EUlSY_E_NS1_11comp_targetILNS1_3genE2ELNS1_11target_archE906ELNS1_3gpuE6ELNS1_3repE0EEENS1_48merge_mergepath_partition_config_static_selectorELNS0_4arch9wavefront6targetE0EEEvSK_
		.amdhsa_group_segment_fixed_size 0
		.amdhsa_private_segment_fixed_size 0
		.amdhsa_kernarg_size 48
		.amdhsa_user_sgpr_count 6
		.amdhsa_user_sgpr_private_segment_buffer 1
		.amdhsa_user_sgpr_dispatch_ptr 0
		.amdhsa_user_sgpr_queue_ptr 0
		.amdhsa_user_sgpr_kernarg_segment_ptr 1
		.amdhsa_user_sgpr_dispatch_id 0
		.amdhsa_user_sgpr_flat_scratch_init 0
		.amdhsa_user_sgpr_private_segment_size 0
		.amdhsa_wavefront_size32 1
		.amdhsa_uses_dynamic_stack 0
		.amdhsa_system_sgpr_private_segment_wavefront_offset 0
		.amdhsa_system_sgpr_workgroup_id_x 1
		.amdhsa_system_sgpr_workgroup_id_y 0
		.amdhsa_system_sgpr_workgroup_id_z 0
		.amdhsa_system_sgpr_workgroup_info 0
		.amdhsa_system_vgpr_workitem_id 0
		.amdhsa_next_free_vgpr 1
		.amdhsa_next_free_sgpr 1
		.amdhsa_reserve_vcc 0
		.amdhsa_reserve_flat_scratch 0
		.amdhsa_float_round_mode_32 0
		.amdhsa_float_round_mode_16_64 0
		.amdhsa_float_denorm_mode_32 3
		.amdhsa_float_denorm_mode_16_64 3
		.amdhsa_dx10_clamp 1
		.amdhsa_ieee_mode 1
		.amdhsa_fp16_overflow 0
		.amdhsa_workgroup_processor_mode 1
		.amdhsa_memory_ordered 1
		.amdhsa_forward_progress 1
		.amdhsa_shared_vgpr_count 0
		.amdhsa_exception_fp_ieee_invalid_op 0
		.amdhsa_exception_fp_denorm_src 0
		.amdhsa_exception_fp_ieee_div_zero 0
		.amdhsa_exception_fp_ieee_overflow 0
		.amdhsa_exception_fp_ieee_underflow 0
		.amdhsa_exception_fp_ieee_inexact 0
		.amdhsa_exception_int_div_zero 0
	.end_amdhsa_kernel
	.section	.text._ZN7rocprim17ROCPRIM_400000_NS6detail17trampoline_kernelINS0_14default_configENS1_38merge_sort_block_merge_config_selectorIiNS0_10empty_typeEEEZZNS1_27merge_sort_block_merge_implIS3_N6thrust23THRUST_200600_302600_NS6detail15normal_iteratorINS9_10device_ptrIiEEEEPS5_m11less_div_10IiEEE10hipError_tT0_T1_T2_jT3_P12ihipStream_tbPNSt15iterator_traitsISJ_E10value_typeEPNSP_ISK_E10value_typeEPSL_NS1_7vsmem_tEENKUlT_SJ_SK_SL_E_clISE_PiSF_SF_EESI_SY_SJ_SK_SL_EUlSY_E_NS1_11comp_targetILNS1_3genE2ELNS1_11target_archE906ELNS1_3gpuE6ELNS1_3repE0EEENS1_48merge_mergepath_partition_config_static_selectorELNS0_4arch9wavefront6targetE0EEEvSK_,"axG",@progbits,_ZN7rocprim17ROCPRIM_400000_NS6detail17trampoline_kernelINS0_14default_configENS1_38merge_sort_block_merge_config_selectorIiNS0_10empty_typeEEEZZNS1_27merge_sort_block_merge_implIS3_N6thrust23THRUST_200600_302600_NS6detail15normal_iteratorINS9_10device_ptrIiEEEEPS5_m11less_div_10IiEEE10hipError_tT0_T1_T2_jT3_P12ihipStream_tbPNSt15iterator_traitsISJ_E10value_typeEPNSP_ISK_E10value_typeEPSL_NS1_7vsmem_tEENKUlT_SJ_SK_SL_E_clISE_PiSF_SF_EESI_SY_SJ_SK_SL_EUlSY_E_NS1_11comp_targetILNS1_3genE2ELNS1_11target_archE906ELNS1_3gpuE6ELNS1_3repE0EEENS1_48merge_mergepath_partition_config_static_selectorELNS0_4arch9wavefront6targetE0EEEvSK_,comdat
.Lfunc_end458:
	.size	_ZN7rocprim17ROCPRIM_400000_NS6detail17trampoline_kernelINS0_14default_configENS1_38merge_sort_block_merge_config_selectorIiNS0_10empty_typeEEEZZNS1_27merge_sort_block_merge_implIS3_N6thrust23THRUST_200600_302600_NS6detail15normal_iteratorINS9_10device_ptrIiEEEEPS5_m11less_div_10IiEEE10hipError_tT0_T1_T2_jT3_P12ihipStream_tbPNSt15iterator_traitsISJ_E10value_typeEPNSP_ISK_E10value_typeEPSL_NS1_7vsmem_tEENKUlT_SJ_SK_SL_E_clISE_PiSF_SF_EESI_SY_SJ_SK_SL_EUlSY_E_NS1_11comp_targetILNS1_3genE2ELNS1_11target_archE906ELNS1_3gpuE6ELNS1_3repE0EEENS1_48merge_mergepath_partition_config_static_selectorELNS0_4arch9wavefront6targetE0EEEvSK_, .Lfunc_end458-_ZN7rocprim17ROCPRIM_400000_NS6detail17trampoline_kernelINS0_14default_configENS1_38merge_sort_block_merge_config_selectorIiNS0_10empty_typeEEEZZNS1_27merge_sort_block_merge_implIS3_N6thrust23THRUST_200600_302600_NS6detail15normal_iteratorINS9_10device_ptrIiEEEEPS5_m11less_div_10IiEEE10hipError_tT0_T1_T2_jT3_P12ihipStream_tbPNSt15iterator_traitsISJ_E10value_typeEPNSP_ISK_E10value_typeEPSL_NS1_7vsmem_tEENKUlT_SJ_SK_SL_E_clISE_PiSF_SF_EESI_SY_SJ_SK_SL_EUlSY_E_NS1_11comp_targetILNS1_3genE2ELNS1_11target_archE906ELNS1_3gpuE6ELNS1_3repE0EEENS1_48merge_mergepath_partition_config_static_selectorELNS0_4arch9wavefront6targetE0EEEvSK_
                                        ; -- End function
	.set _ZN7rocprim17ROCPRIM_400000_NS6detail17trampoline_kernelINS0_14default_configENS1_38merge_sort_block_merge_config_selectorIiNS0_10empty_typeEEEZZNS1_27merge_sort_block_merge_implIS3_N6thrust23THRUST_200600_302600_NS6detail15normal_iteratorINS9_10device_ptrIiEEEEPS5_m11less_div_10IiEEE10hipError_tT0_T1_T2_jT3_P12ihipStream_tbPNSt15iterator_traitsISJ_E10value_typeEPNSP_ISK_E10value_typeEPSL_NS1_7vsmem_tEENKUlT_SJ_SK_SL_E_clISE_PiSF_SF_EESI_SY_SJ_SK_SL_EUlSY_E_NS1_11comp_targetILNS1_3genE2ELNS1_11target_archE906ELNS1_3gpuE6ELNS1_3repE0EEENS1_48merge_mergepath_partition_config_static_selectorELNS0_4arch9wavefront6targetE0EEEvSK_.num_vgpr, 0
	.set _ZN7rocprim17ROCPRIM_400000_NS6detail17trampoline_kernelINS0_14default_configENS1_38merge_sort_block_merge_config_selectorIiNS0_10empty_typeEEEZZNS1_27merge_sort_block_merge_implIS3_N6thrust23THRUST_200600_302600_NS6detail15normal_iteratorINS9_10device_ptrIiEEEEPS5_m11less_div_10IiEEE10hipError_tT0_T1_T2_jT3_P12ihipStream_tbPNSt15iterator_traitsISJ_E10value_typeEPNSP_ISK_E10value_typeEPSL_NS1_7vsmem_tEENKUlT_SJ_SK_SL_E_clISE_PiSF_SF_EESI_SY_SJ_SK_SL_EUlSY_E_NS1_11comp_targetILNS1_3genE2ELNS1_11target_archE906ELNS1_3gpuE6ELNS1_3repE0EEENS1_48merge_mergepath_partition_config_static_selectorELNS0_4arch9wavefront6targetE0EEEvSK_.num_agpr, 0
	.set _ZN7rocprim17ROCPRIM_400000_NS6detail17trampoline_kernelINS0_14default_configENS1_38merge_sort_block_merge_config_selectorIiNS0_10empty_typeEEEZZNS1_27merge_sort_block_merge_implIS3_N6thrust23THRUST_200600_302600_NS6detail15normal_iteratorINS9_10device_ptrIiEEEEPS5_m11less_div_10IiEEE10hipError_tT0_T1_T2_jT3_P12ihipStream_tbPNSt15iterator_traitsISJ_E10value_typeEPNSP_ISK_E10value_typeEPSL_NS1_7vsmem_tEENKUlT_SJ_SK_SL_E_clISE_PiSF_SF_EESI_SY_SJ_SK_SL_EUlSY_E_NS1_11comp_targetILNS1_3genE2ELNS1_11target_archE906ELNS1_3gpuE6ELNS1_3repE0EEENS1_48merge_mergepath_partition_config_static_selectorELNS0_4arch9wavefront6targetE0EEEvSK_.numbered_sgpr, 0
	.set _ZN7rocprim17ROCPRIM_400000_NS6detail17trampoline_kernelINS0_14default_configENS1_38merge_sort_block_merge_config_selectorIiNS0_10empty_typeEEEZZNS1_27merge_sort_block_merge_implIS3_N6thrust23THRUST_200600_302600_NS6detail15normal_iteratorINS9_10device_ptrIiEEEEPS5_m11less_div_10IiEEE10hipError_tT0_T1_T2_jT3_P12ihipStream_tbPNSt15iterator_traitsISJ_E10value_typeEPNSP_ISK_E10value_typeEPSL_NS1_7vsmem_tEENKUlT_SJ_SK_SL_E_clISE_PiSF_SF_EESI_SY_SJ_SK_SL_EUlSY_E_NS1_11comp_targetILNS1_3genE2ELNS1_11target_archE906ELNS1_3gpuE6ELNS1_3repE0EEENS1_48merge_mergepath_partition_config_static_selectorELNS0_4arch9wavefront6targetE0EEEvSK_.num_named_barrier, 0
	.set _ZN7rocprim17ROCPRIM_400000_NS6detail17trampoline_kernelINS0_14default_configENS1_38merge_sort_block_merge_config_selectorIiNS0_10empty_typeEEEZZNS1_27merge_sort_block_merge_implIS3_N6thrust23THRUST_200600_302600_NS6detail15normal_iteratorINS9_10device_ptrIiEEEEPS5_m11less_div_10IiEEE10hipError_tT0_T1_T2_jT3_P12ihipStream_tbPNSt15iterator_traitsISJ_E10value_typeEPNSP_ISK_E10value_typeEPSL_NS1_7vsmem_tEENKUlT_SJ_SK_SL_E_clISE_PiSF_SF_EESI_SY_SJ_SK_SL_EUlSY_E_NS1_11comp_targetILNS1_3genE2ELNS1_11target_archE906ELNS1_3gpuE6ELNS1_3repE0EEENS1_48merge_mergepath_partition_config_static_selectorELNS0_4arch9wavefront6targetE0EEEvSK_.private_seg_size, 0
	.set _ZN7rocprim17ROCPRIM_400000_NS6detail17trampoline_kernelINS0_14default_configENS1_38merge_sort_block_merge_config_selectorIiNS0_10empty_typeEEEZZNS1_27merge_sort_block_merge_implIS3_N6thrust23THRUST_200600_302600_NS6detail15normal_iteratorINS9_10device_ptrIiEEEEPS5_m11less_div_10IiEEE10hipError_tT0_T1_T2_jT3_P12ihipStream_tbPNSt15iterator_traitsISJ_E10value_typeEPNSP_ISK_E10value_typeEPSL_NS1_7vsmem_tEENKUlT_SJ_SK_SL_E_clISE_PiSF_SF_EESI_SY_SJ_SK_SL_EUlSY_E_NS1_11comp_targetILNS1_3genE2ELNS1_11target_archE906ELNS1_3gpuE6ELNS1_3repE0EEENS1_48merge_mergepath_partition_config_static_selectorELNS0_4arch9wavefront6targetE0EEEvSK_.uses_vcc, 0
	.set _ZN7rocprim17ROCPRIM_400000_NS6detail17trampoline_kernelINS0_14default_configENS1_38merge_sort_block_merge_config_selectorIiNS0_10empty_typeEEEZZNS1_27merge_sort_block_merge_implIS3_N6thrust23THRUST_200600_302600_NS6detail15normal_iteratorINS9_10device_ptrIiEEEEPS5_m11less_div_10IiEEE10hipError_tT0_T1_T2_jT3_P12ihipStream_tbPNSt15iterator_traitsISJ_E10value_typeEPNSP_ISK_E10value_typeEPSL_NS1_7vsmem_tEENKUlT_SJ_SK_SL_E_clISE_PiSF_SF_EESI_SY_SJ_SK_SL_EUlSY_E_NS1_11comp_targetILNS1_3genE2ELNS1_11target_archE906ELNS1_3gpuE6ELNS1_3repE0EEENS1_48merge_mergepath_partition_config_static_selectorELNS0_4arch9wavefront6targetE0EEEvSK_.uses_flat_scratch, 0
	.set _ZN7rocprim17ROCPRIM_400000_NS6detail17trampoline_kernelINS0_14default_configENS1_38merge_sort_block_merge_config_selectorIiNS0_10empty_typeEEEZZNS1_27merge_sort_block_merge_implIS3_N6thrust23THRUST_200600_302600_NS6detail15normal_iteratorINS9_10device_ptrIiEEEEPS5_m11less_div_10IiEEE10hipError_tT0_T1_T2_jT3_P12ihipStream_tbPNSt15iterator_traitsISJ_E10value_typeEPNSP_ISK_E10value_typeEPSL_NS1_7vsmem_tEENKUlT_SJ_SK_SL_E_clISE_PiSF_SF_EESI_SY_SJ_SK_SL_EUlSY_E_NS1_11comp_targetILNS1_3genE2ELNS1_11target_archE906ELNS1_3gpuE6ELNS1_3repE0EEENS1_48merge_mergepath_partition_config_static_selectorELNS0_4arch9wavefront6targetE0EEEvSK_.has_dyn_sized_stack, 0
	.set _ZN7rocprim17ROCPRIM_400000_NS6detail17trampoline_kernelINS0_14default_configENS1_38merge_sort_block_merge_config_selectorIiNS0_10empty_typeEEEZZNS1_27merge_sort_block_merge_implIS3_N6thrust23THRUST_200600_302600_NS6detail15normal_iteratorINS9_10device_ptrIiEEEEPS5_m11less_div_10IiEEE10hipError_tT0_T1_T2_jT3_P12ihipStream_tbPNSt15iterator_traitsISJ_E10value_typeEPNSP_ISK_E10value_typeEPSL_NS1_7vsmem_tEENKUlT_SJ_SK_SL_E_clISE_PiSF_SF_EESI_SY_SJ_SK_SL_EUlSY_E_NS1_11comp_targetILNS1_3genE2ELNS1_11target_archE906ELNS1_3gpuE6ELNS1_3repE0EEENS1_48merge_mergepath_partition_config_static_selectorELNS0_4arch9wavefront6targetE0EEEvSK_.has_recursion, 0
	.set _ZN7rocprim17ROCPRIM_400000_NS6detail17trampoline_kernelINS0_14default_configENS1_38merge_sort_block_merge_config_selectorIiNS0_10empty_typeEEEZZNS1_27merge_sort_block_merge_implIS3_N6thrust23THRUST_200600_302600_NS6detail15normal_iteratorINS9_10device_ptrIiEEEEPS5_m11less_div_10IiEEE10hipError_tT0_T1_T2_jT3_P12ihipStream_tbPNSt15iterator_traitsISJ_E10value_typeEPNSP_ISK_E10value_typeEPSL_NS1_7vsmem_tEENKUlT_SJ_SK_SL_E_clISE_PiSF_SF_EESI_SY_SJ_SK_SL_EUlSY_E_NS1_11comp_targetILNS1_3genE2ELNS1_11target_archE906ELNS1_3gpuE6ELNS1_3repE0EEENS1_48merge_mergepath_partition_config_static_selectorELNS0_4arch9wavefront6targetE0EEEvSK_.has_indirect_call, 0
	.section	.AMDGPU.csdata,"",@progbits
; Kernel info:
; codeLenInByte = 0
; TotalNumSgprs: 0
; NumVgprs: 0
; ScratchSize: 0
; MemoryBound: 0
; FloatMode: 240
; IeeeMode: 1
; LDSByteSize: 0 bytes/workgroup (compile time only)
; SGPRBlocks: 0
; VGPRBlocks: 0
; NumSGPRsForWavesPerEU: 1
; NumVGPRsForWavesPerEU: 1
; Occupancy: 16
; WaveLimiterHint : 0
; COMPUTE_PGM_RSRC2:SCRATCH_EN: 0
; COMPUTE_PGM_RSRC2:USER_SGPR: 6
; COMPUTE_PGM_RSRC2:TRAP_HANDLER: 0
; COMPUTE_PGM_RSRC2:TGID_X_EN: 1
; COMPUTE_PGM_RSRC2:TGID_Y_EN: 0
; COMPUTE_PGM_RSRC2:TGID_Z_EN: 0
; COMPUTE_PGM_RSRC2:TIDIG_COMP_CNT: 0
	.section	.text._ZN7rocprim17ROCPRIM_400000_NS6detail17trampoline_kernelINS0_14default_configENS1_38merge_sort_block_merge_config_selectorIiNS0_10empty_typeEEEZZNS1_27merge_sort_block_merge_implIS3_N6thrust23THRUST_200600_302600_NS6detail15normal_iteratorINS9_10device_ptrIiEEEEPS5_m11less_div_10IiEEE10hipError_tT0_T1_T2_jT3_P12ihipStream_tbPNSt15iterator_traitsISJ_E10value_typeEPNSP_ISK_E10value_typeEPSL_NS1_7vsmem_tEENKUlT_SJ_SK_SL_E_clISE_PiSF_SF_EESI_SY_SJ_SK_SL_EUlSY_E_NS1_11comp_targetILNS1_3genE9ELNS1_11target_archE1100ELNS1_3gpuE3ELNS1_3repE0EEENS1_48merge_mergepath_partition_config_static_selectorELNS0_4arch9wavefront6targetE0EEEvSK_,"axG",@progbits,_ZN7rocprim17ROCPRIM_400000_NS6detail17trampoline_kernelINS0_14default_configENS1_38merge_sort_block_merge_config_selectorIiNS0_10empty_typeEEEZZNS1_27merge_sort_block_merge_implIS3_N6thrust23THRUST_200600_302600_NS6detail15normal_iteratorINS9_10device_ptrIiEEEEPS5_m11less_div_10IiEEE10hipError_tT0_T1_T2_jT3_P12ihipStream_tbPNSt15iterator_traitsISJ_E10value_typeEPNSP_ISK_E10value_typeEPSL_NS1_7vsmem_tEENKUlT_SJ_SK_SL_E_clISE_PiSF_SF_EESI_SY_SJ_SK_SL_EUlSY_E_NS1_11comp_targetILNS1_3genE9ELNS1_11target_archE1100ELNS1_3gpuE3ELNS1_3repE0EEENS1_48merge_mergepath_partition_config_static_selectorELNS0_4arch9wavefront6targetE0EEEvSK_,comdat
	.protected	_ZN7rocprim17ROCPRIM_400000_NS6detail17trampoline_kernelINS0_14default_configENS1_38merge_sort_block_merge_config_selectorIiNS0_10empty_typeEEEZZNS1_27merge_sort_block_merge_implIS3_N6thrust23THRUST_200600_302600_NS6detail15normal_iteratorINS9_10device_ptrIiEEEEPS5_m11less_div_10IiEEE10hipError_tT0_T1_T2_jT3_P12ihipStream_tbPNSt15iterator_traitsISJ_E10value_typeEPNSP_ISK_E10value_typeEPSL_NS1_7vsmem_tEENKUlT_SJ_SK_SL_E_clISE_PiSF_SF_EESI_SY_SJ_SK_SL_EUlSY_E_NS1_11comp_targetILNS1_3genE9ELNS1_11target_archE1100ELNS1_3gpuE3ELNS1_3repE0EEENS1_48merge_mergepath_partition_config_static_selectorELNS0_4arch9wavefront6targetE0EEEvSK_ ; -- Begin function _ZN7rocprim17ROCPRIM_400000_NS6detail17trampoline_kernelINS0_14default_configENS1_38merge_sort_block_merge_config_selectorIiNS0_10empty_typeEEEZZNS1_27merge_sort_block_merge_implIS3_N6thrust23THRUST_200600_302600_NS6detail15normal_iteratorINS9_10device_ptrIiEEEEPS5_m11less_div_10IiEEE10hipError_tT0_T1_T2_jT3_P12ihipStream_tbPNSt15iterator_traitsISJ_E10value_typeEPNSP_ISK_E10value_typeEPSL_NS1_7vsmem_tEENKUlT_SJ_SK_SL_E_clISE_PiSF_SF_EESI_SY_SJ_SK_SL_EUlSY_E_NS1_11comp_targetILNS1_3genE9ELNS1_11target_archE1100ELNS1_3gpuE3ELNS1_3repE0EEENS1_48merge_mergepath_partition_config_static_selectorELNS0_4arch9wavefront6targetE0EEEvSK_
	.globl	_ZN7rocprim17ROCPRIM_400000_NS6detail17trampoline_kernelINS0_14default_configENS1_38merge_sort_block_merge_config_selectorIiNS0_10empty_typeEEEZZNS1_27merge_sort_block_merge_implIS3_N6thrust23THRUST_200600_302600_NS6detail15normal_iteratorINS9_10device_ptrIiEEEEPS5_m11less_div_10IiEEE10hipError_tT0_T1_T2_jT3_P12ihipStream_tbPNSt15iterator_traitsISJ_E10value_typeEPNSP_ISK_E10value_typeEPSL_NS1_7vsmem_tEENKUlT_SJ_SK_SL_E_clISE_PiSF_SF_EESI_SY_SJ_SK_SL_EUlSY_E_NS1_11comp_targetILNS1_3genE9ELNS1_11target_archE1100ELNS1_3gpuE3ELNS1_3repE0EEENS1_48merge_mergepath_partition_config_static_selectorELNS0_4arch9wavefront6targetE0EEEvSK_
	.p2align	8
	.type	_ZN7rocprim17ROCPRIM_400000_NS6detail17trampoline_kernelINS0_14default_configENS1_38merge_sort_block_merge_config_selectorIiNS0_10empty_typeEEEZZNS1_27merge_sort_block_merge_implIS3_N6thrust23THRUST_200600_302600_NS6detail15normal_iteratorINS9_10device_ptrIiEEEEPS5_m11less_div_10IiEEE10hipError_tT0_T1_T2_jT3_P12ihipStream_tbPNSt15iterator_traitsISJ_E10value_typeEPNSP_ISK_E10value_typeEPSL_NS1_7vsmem_tEENKUlT_SJ_SK_SL_E_clISE_PiSF_SF_EESI_SY_SJ_SK_SL_EUlSY_E_NS1_11comp_targetILNS1_3genE9ELNS1_11target_archE1100ELNS1_3gpuE3ELNS1_3repE0EEENS1_48merge_mergepath_partition_config_static_selectorELNS0_4arch9wavefront6targetE0EEEvSK_,@function
_ZN7rocprim17ROCPRIM_400000_NS6detail17trampoline_kernelINS0_14default_configENS1_38merge_sort_block_merge_config_selectorIiNS0_10empty_typeEEEZZNS1_27merge_sort_block_merge_implIS3_N6thrust23THRUST_200600_302600_NS6detail15normal_iteratorINS9_10device_ptrIiEEEEPS5_m11less_div_10IiEEE10hipError_tT0_T1_T2_jT3_P12ihipStream_tbPNSt15iterator_traitsISJ_E10value_typeEPNSP_ISK_E10value_typeEPSL_NS1_7vsmem_tEENKUlT_SJ_SK_SL_E_clISE_PiSF_SF_EESI_SY_SJ_SK_SL_EUlSY_E_NS1_11comp_targetILNS1_3genE9ELNS1_11target_archE1100ELNS1_3gpuE3ELNS1_3repE0EEENS1_48merge_mergepath_partition_config_static_selectorELNS0_4arch9wavefront6targetE0EEEvSK_: ; @_ZN7rocprim17ROCPRIM_400000_NS6detail17trampoline_kernelINS0_14default_configENS1_38merge_sort_block_merge_config_selectorIiNS0_10empty_typeEEEZZNS1_27merge_sort_block_merge_implIS3_N6thrust23THRUST_200600_302600_NS6detail15normal_iteratorINS9_10device_ptrIiEEEEPS5_m11less_div_10IiEEE10hipError_tT0_T1_T2_jT3_P12ihipStream_tbPNSt15iterator_traitsISJ_E10value_typeEPNSP_ISK_E10value_typeEPSL_NS1_7vsmem_tEENKUlT_SJ_SK_SL_E_clISE_PiSF_SF_EESI_SY_SJ_SK_SL_EUlSY_E_NS1_11comp_targetILNS1_3genE9ELNS1_11target_archE1100ELNS1_3gpuE3ELNS1_3repE0EEENS1_48merge_mergepath_partition_config_static_selectorELNS0_4arch9wavefront6targetE0EEEvSK_
; %bb.0:
	.section	.rodata,"a",@progbits
	.p2align	6, 0x0
	.amdhsa_kernel _ZN7rocprim17ROCPRIM_400000_NS6detail17trampoline_kernelINS0_14default_configENS1_38merge_sort_block_merge_config_selectorIiNS0_10empty_typeEEEZZNS1_27merge_sort_block_merge_implIS3_N6thrust23THRUST_200600_302600_NS6detail15normal_iteratorINS9_10device_ptrIiEEEEPS5_m11less_div_10IiEEE10hipError_tT0_T1_T2_jT3_P12ihipStream_tbPNSt15iterator_traitsISJ_E10value_typeEPNSP_ISK_E10value_typeEPSL_NS1_7vsmem_tEENKUlT_SJ_SK_SL_E_clISE_PiSF_SF_EESI_SY_SJ_SK_SL_EUlSY_E_NS1_11comp_targetILNS1_3genE9ELNS1_11target_archE1100ELNS1_3gpuE3ELNS1_3repE0EEENS1_48merge_mergepath_partition_config_static_selectorELNS0_4arch9wavefront6targetE0EEEvSK_
		.amdhsa_group_segment_fixed_size 0
		.amdhsa_private_segment_fixed_size 0
		.amdhsa_kernarg_size 48
		.amdhsa_user_sgpr_count 6
		.amdhsa_user_sgpr_private_segment_buffer 1
		.amdhsa_user_sgpr_dispatch_ptr 0
		.amdhsa_user_sgpr_queue_ptr 0
		.amdhsa_user_sgpr_kernarg_segment_ptr 1
		.amdhsa_user_sgpr_dispatch_id 0
		.amdhsa_user_sgpr_flat_scratch_init 0
		.amdhsa_user_sgpr_private_segment_size 0
		.amdhsa_wavefront_size32 1
		.amdhsa_uses_dynamic_stack 0
		.amdhsa_system_sgpr_private_segment_wavefront_offset 0
		.amdhsa_system_sgpr_workgroup_id_x 1
		.amdhsa_system_sgpr_workgroup_id_y 0
		.amdhsa_system_sgpr_workgroup_id_z 0
		.amdhsa_system_sgpr_workgroup_info 0
		.amdhsa_system_vgpr_workitem_id 0
		.amdhsa_next_free_vgpr 1
		.amdhsa_next_free_sgpr 1
		.amdhsa_reserve_vcc 0
		.amdhsa_reserve_flat_scratch 0
		.amdhsa_float_round_mode_32 0
		.amdhsa_float_round_mode_16_64 0
		.amdhsa_float_denorm_mode_32 3
		.amdhsa_float_denorm_mode_16_64 3
		.amdhsa_dx10_clamp 1
		.amdhsa_ieee_mode 1
		.amdhsa_fp16_overflow 0
		.amdhsa_workgroup_processor_mode 1
		.amdhsa_memory_ordered 1
		.amdhsa_forward_progress 1
		.amdhsa_shared_vgpr_count 0
		.amdhsa_exception_fp_ieee_invalid_op 0
		.amdhsa_exception_fp_denorm_src 0
		.amdhsa_exception_fp_ieee_div_zero 0
		.amdhsa_exception_fp_ieee_overflow 0
		.amdhsa_exception_fp_ieee_underflow 0
		.amdhsa_exception_fp_ieee_inexact 0
		.amdhsa_exception_int_div_zero 0
	.end_amdhsa_kernel
	.section	.text._ZN7rocprim17ROCPRIM_400000_NS6detail17trampoline_kernelINS0_14default_configENS1_38merge_sort_block_merge_config_selectorIiNS0_10empty_typeEEEZZNS1_27merge_sort_block_merge_implIS3_N6thrust23THRUST_200600_302600_NS6detail15normal_iteratorINS9_10device_ptrIiEEEEPS5_m11less_div_10IiEEE10hipError_tT0_T1_T2_jT3_P12ihipStream_tbPNSt15iterator_traitsISJ_E10value_typeEPNSP_ISK_E10value_typeEPSL_NS1_7vsmem_tEENKUlT_SJ_SK_SL_E_clISE_PiSF_SF_EESI_SY_SJ_SK_SL_EUlSY_E_NS1_11comp_targetILNS1_3genE9ELNS1_11target_archE1100ELNS1_3gpuE3ELNS1_3repE0EEENS1_48merge_mergepath_partition_config_static_selectorELNS0_4arch9wavefront6targetE0EEEvSK_,"axG",@progbits,_ZN7rocprim17ROCPRIM_400000_NS6detail17trampoline_kernelINS0_14default_configENS1_38merge_sort_block_merge_config_selectorIiNS0_10empty_typeEEEZZNS1_27merge_sort_block_merge_implIS3_N6thrust23THRUST_200600_302600_NS6detail15normal_iteratorINS9_10device_ptrIiEEEEPS5_m11less_div_10IiEEE10hipError_tT0_T1_T2_jT3_P12ihipStream_tbPNSt15iterator_traitsISJ_E10value_typeEPNSP_ISK_E10value_typeEPSL_NS1_7vsmem_tEENKUlT_SJ_SK_SL_E_clISE_PiSF_SF_EESI_SY_SJ_SK_SL_EUlSY_E_NS1_11comp_targetILNS1_3genE9ELNS1_11target_archE1100ELNS1_3gpuE3ELNS1_3repE0EEENS1_48merge_mergepath_partition_config_static_selectorELNS0_4arch9wavefront6targetE0EEEvSK_,comdat
.Lfunc_end459:
	.size	_ZN7rocprim17ROCPRIM_400000_NS6detail17trampoline_kernelINS0_14default_configENS1_38merge_sort_block_merge_config_selectorIiNS0_10empty_typeEEEZZNS1_27merge_sort_block_merge_implIS3_N6thrust23THRUST_200600_302600_NS6detail15normal_iteratorINS9_10device_ptrIiEEEEPS5_m11less_div_10IiEEE10hipError_tT0_T1_T2_jT3_P12ihipStream_tbPNSt15iterator_traitsISJ_E10value_typeEPNSP_ISK_E10value_typeEPSL_NS1_7vsmem_tEENKUlT_SJ_SK_SL_E_clISE_PiSF_SF_EESI_SY_SJ_SK_SL_EUlSY_E_NS1_11comp_targetILNS1_3genE9ELNS1_11target_archE1100ELNS1_3gpuE3ELNS1_3repE0EEENS1_48merge_mergepath_partition_config_static_selectorELNS0_4arch9wavefront6targetE0EEEvSK_, .Lfunc_end459-_ZN7rocprim17ROCPRIM_400000_NS6detail17trampoline_kernelINS0_14default_configENS1_38merge_sort_block_merge_config_selectorIiNS0_10empty_typeEEEZZNS1_27merge_sort_block_merge_implIS3_N6thrust23THRUST_200600_302600_NS6detail15normal_iteratorINS9_10device_ptrIiEEEEPS5_m11less_div_10IiEEE10hipError_tT0_T1_T2_jT3_P12ihipStream_tbPNSt15iterator_traitsISJ_E10value_typeEPNSP_ISK_E10value_typeEPSL_NS1_7vsmem_tEENKUlT_SJ_SK_SL_E_clISE_PiSF_SF_EESI_SY_SJ_SK_SL_EUlSY_E_NS1_11comp_targetILNS1_3genE9ELNS1_11target_archE1100ELNS1_3gpuE3ELNS1_3repE0EEENS1_48merge_mergepath_partition_config_static_selectorELNS0_4arch9wavefront6targetE0EEEvSK_
                                        ; -- End function
	.set _ZN7rocprim17ROCPRIM_400000_NS6detail17trampoline_kernelINS0_14default_configENS1_38merge_sort_block_merge_config_selectorIiNS0_10empty_typeEEEZZNS1_27merge_sort_block_merge_implIS3_N6thrust23THRUST_200600_302600_NS6detail15normal_iteratorINS9_10device_ptrIiEEEEPS5_m11less_div_10IiEEE10hipError_tT0_T1_T2_jT3_P12ihipStream_tbPNSt15iterator_traitsISJ_E10value_typeEPNSP_ISK_E10value_typeEPSL_NS1_7vsmem_tEENKUlT_SJ_SK_SL_E_clISE_PiSF_SF_EESI_SY_SJ_SK_SL_EUlSY_E_NS1_11comp_targetILNS1_3genE9ELNS1_11target_archE1100ELNS1_3gpuE3ELNS1_3repE0EEENS1_48merge_mergepath_partition_config_static_selectorELNS0_4arch9wavefront6targetE0EEEvSK_.num_vgpr, 0
	.set _ZN7rocprim17ROCPRIM_400000_NS6detail17trampoline_kernelINS0_14default_configENS1_38merge_sort_block_merge_config_selectorIiNS0_10empty_typeEEEZZNS1_27merge_sort_block_merge_implIS3_N6thrust23THRUST_200600_302600_NS6detail15normal_iteratorINS9_10device_ptrIiEEEEPS5_m11less_div_10IiEEE10hipError_tT0_T1_T2_jT3_P12ihipStream_tbPNSt15iterator_traitsISJ_E10value_typeEPNSP_ISK_E10value_typeEPSL_NS1_7vsmem_tEENKUlT_SJ_SK_SL_E_clISE_PiSF_SF_EESI_SY_SJ_SK_SL_EUlSY_E_NS1_11comp_targetILNS1_3genE9ELNS1_11target_archE1100ELNS1_3gpuE3ELNS1_3repE0EEENS1_48merge_mergepath_partition_config_static_selectorELNS0_4arch9wavefront6targetE0EEEvSK_.num_agpr, 0
	.set _ZN7rocprim17ROCPRIM_400000_NS6detail17trampoline_kernelINS0_14default_configENS1_38merge_sort_block_merge_config_selectorIiNS0_10empty_typeEEEZZNS1_27merge_sort_block_merge_implIS3_N6thrust23THRUST_200600_302600_NS6detail15normal_iteratorINS9_10device_ptrIiEEEEPS5_m11less_div_10IiEEE10hipError_tT0_T1_T2_jT3_P12ihipStream_tbPNSt15iterator_traitsISJ_E10value_typeEPNSP_ISK_E10value_typeEPSL_NS1_7vsmem_tEENKUlT_SJ_SK_SL_E_clISE_PiSF_SF_EESI_SY_SJ_SK_SL_EUlSY_E_NS1_11comp_targetILNS1_3genE9ELNS1_11target_archE1100ELNS1_3gpuE3ELNS1_3repE0EEENS1_48merge_mergepath_partition_config_static_selectorELNS0_4arch9wavefront6targetE0EEEvSK_.numbered_sgpr, 0
	.set _ZN7rocprim17ROCPRIM_400000_NS6detail17trampoline_kernelINS0_14default_configENS1_38merge_sort_block_merge_config_selectorIiNS0_10empty_typeEEEZZNS1_27merge_sort_block_merge_implIS3_N6thrust23THRUST_200600_302600_NS6detail15normal_iteratorINS9_10device_ptrIiEEEEPS5_m11less_div_10IiEEE10hipError_tT0_T1_T2_jT3_P12ihipStream_tbPNSt15iterator_traitsISJ_E10value_typeEPNSP_ISK_E10value_typeEPSL_NS1_7vsmem_tEENKUlT_SJ_SK_SL_E_clISE_PiSF_SF_EESI_SY_SJ_SK_SL_EUlSY_E_NS1_11comp_targetILNS1_3genE9ELNS1_11target_archE1100ELNS1_3gpuE3ELNS1_3repE0EEENS1_48merge_mergepath_partition_config_static_selectorELNS0_4arch9wavefront6targetE0EEEvSK_.num_named_barrier, 0
	.set _ZN7rocprim17ROCPRIM_400000_NS6detail17trampoline_kernelINS0_14default_configENS1_38merge_sort_block_merge_config_selectorIiNS0_10empty_typeEEEZZNS1_27merge_sort_block_merge_implIS3_N6thrust23THRUST_200600_302600_NS6detail15normal_iteratorINS9_10device_ptrIiEEEEPS5_m11less_div_10IiEEE10hipError_tT0_T1_T2_jT3_P12ihipStream_tbPNSt15iterator_traitsISJ_E10value_typeEPNSP_ISK_E10value_typeEPSL_NS1_7vsmem_tEENKUlT_SJ_SK_SL_E_clISE_PiSF_SF_EESI_SY_SJ_SK_SL_EUlSY_E_NS1_11comp_targetILNS1_3genE9ELNS1_11target_archE1100ELNS1_3gpuE3ELNS1_3repE0EEENS1_48merge_mergepath_partition_config_static_selectorELNS0_4arch9wavefront6targetE0EEEvSK_.private_seg_size, 0
	.set _ZN7rocprim17ROCPRIM_400000_NS6detail17trampoline_kernelINS0_14default_configENS1_38merge_sort_block_merge_config_selectorIiNS0_10empty_typeEEEZZNS1_27merge_sort_block_merge_implIS3_N6thrust23THRUST_200600_302600_NS6detail15normal_iteratorINS9_10device_ptrIiEEEEPS5_m11less_div_10IiEEE10hipError_tT0_T1_T2_jT3_P12ihipStream_tbPNSt15iterator_traitsISJ_E10value_typeEPNSP_ISK_E10value_typeEPSL_NS1_7vsmem_tEENKUlT_SJ_SK_SL_E_clISE_PiSF_SF_EESI_SY_SJ_SK_SL_EUlSY_E_NS1_11comp_targetILNS1_3genE9ELNS1_11target_archE1100ELNS1_3gpuE3ELNS1_3repE0EEENS1_48merge_mergepath_partition_config_static_selectorELNS0_4arch9wavefront6targetE0EEEvSK_.uses_vcc, 0
	.set _ZN7rocprim17ROCPRIM_400000_NS6detail17trampoline_kernelINS0_14default_configENS1_38merge_sort_block_merge_config_selectorIiNS0_10empty_typeEEEZZNS1_27merge_sort_block_merge_implIS3_N6thrust23THRUST_200600_302600_NS6detail15normal_iteratorINS9_10device_ptrIiEEEEPS5_m11less_div_10IiEEE10hipError_tT0_T1_T2_jT3_P12ihipStream_tbPNSt15iterator_traitsISJ_E10value_typeEPNSP_ISK_E10value_typeEPSL_NS1_7vsmem_tEENKUlT_SJ_SK_SL_E_clISE_PiSF_SF_EESI_SY_SJ_SK_SL_EUlSY_E_NS1_11comp_targetILNS1_3genE9ELNS1_11target_archE1100ELNS1_3gpuE3ELNS1_3repE0EEENS1_48merge_mergepath_partition_config_static_selectorELNS0_4arch9wavefront6targetE0EEEvSK_.uses_flat_scratch, 0
	.set _ZN7rocprim17ROCPRIM_400000_NS6detail17trampoline_kernelINS0_14default_configENS1_38merge_sort_block_merge_config_selectorIiNS0_10empty_typeEEEZZNS1_27merge_sort_block_merge_implIS3_N6thrust23THRUST_200600_302600_NS6detail15normal_iteratorINS9_10device_ptrIiEEEEPS5_m11less_div_10IiEEE10hipError_tT0_T1_T2_jT3_P12ihipStream_tbPNSt15iterator_traitsISJ_E10value_typeEPNSP_ISK_E10value_typeEPSL_NS1_7vsmem_tEENKUlT_SJ_SK_SL_E_clISE_PiSF_SF_EESI_SY_SJ_SK_SL_EUlSY_E_NS1_11comp_targetILNS1_3genE9ELNS1_11target_archE1100ELNS1_3gpuE3ELNS1_3repE0EEENS1_48merge_mergepath_partition_config_static_selectorELNS0_4arch9wavefront6targetE0EEEvSK_.has_dyn_sized_stack, 0
	.set _ZN7rocprim17ROCPRIM_400000_NS6detail17trampoline_kernelINS0_14default_configENS1_38merge_sort_block_merge_config_selectorIiNS0_10empty_typeEEEZZNS1_27merge_sort_block_merge_implIS3_N6thrust23THRUST_200600_302600_NS6detail15normal_iteratorINS9_10device_ptrIiEEEEPS5_m11less_div_10IiEEE10hipError_tT0_T1_T2_jT3_P12ihipStream_tbPNSt15iterator_traitsISJ_E10value_typeEPNSP_ISK_E10value_typeEPSL_NS1_7vsmem_tEENKUlT_SJ_SK_SL_E_clISE_PiSF_SF_EESI_SY_SJ_SK_SL_EUlSY_E_NS1_11comp_targetILNS1_3genE9ELNS1_11target_archE1100ELNS1_3gpuE3ELNS1_3repE0EEENS1_48merge_mergepath_partition_config_static_selectorELNS0_4arch9wavefront6targetE0EEEvSK_.has_recursion, 0
	.set _ZN7rocprim17ROCPRIM_400000_NS6detail17trampoline_kernelINS0_14default_configENS1_38merge_sort_block_merge_config_selectorIiNS0_10empty_typeEEEZZNS1_27merge_sort_block_merge_implIS3_N6thrust23THRUST_200600_302600_NS6detail15normal_iteratorINS9_10device_ptrIiEEEEPS5_m11less_div_10IiEEE10hipError_tT0_T1_T2_jT3_P12ihipStream_tbPNSt15iterator_traitsISJ_E10value_typeEPNSP_ISK_E10value_typeEPSL_NS1_7vsmem_tEENKUlT_SJ_SK_SL_E_clISE_PiSF_SF_EESI_SY_SJ_SK_SL_EUlSY_E_NS1_11comp_targetILNS1_3genE9ELNS1_11target_archE1100ELNS1_3gpuE3ELNS1_3repE0EEENS1_48merge_mergepath_partition_config_static_selectorELNS0_4arch9wavefront6targetE0EEEvSK_.has_indirect_call, 0
	.section	.AMDGPU.csdata,"",@progbits
; Kernel info:
; codeLenInByte = 0
; TotalNumSgprs: 0
; NumVgprs: 0
; ScratchSize: 0
; MemoryBound: 0
; FloatMode: 240
; IeeeMode: 1
; LDSByteSize: 0 bytes/workgroup (compile time only)
; SGPRBlocks: 0
; VGPRBlocks: 0
; NumSGPRsForWavesPerEU: 1
; NumVGPRsForWavesPerEU: 1
; Occupancy: 16
; WaveLimiterHint : 0
; COMPUTE_PGM_RSRC2:SCRATCH_EN: 0
; COMPUTE_PGM_RSRC2:USER_SGPR: 6
; COMPUTE_PGM_RSRC2:TRAP_HANDLER: 0
; COMPUTE_PGM_RSRC2:TGID_X_EN: 1
; COMPUTE_PGM_RSRC2:TGID_Y_EN: 0
; COMPUTE_PGM_RSRC2:TGID_Z_EN: 0
; COMPUTE_PGM_RSRC2:TIDIG_COMP_CNT: 0
	.section	.text._ZN7rocprim17ROCPRIM_400000_NS6detail17trampoline_kernelINS0_14default_configENS1_38merge_sort_block_merge_config_selectorIiNS0_10empty_typeEEEZZNS1_27merge_sort_block_merge_implIS3_N6thrust23THRUST_200600_302600_NS6detail15normal_iteratorINS9_10device_ptrIiEEEEPS5_m11less_div_10IiEEE10hipError_tT0_T1_T2_jT3_P12ihipStream_tbPNSt15iterator_traitsISJ_E10value_typeEPNSP_ISK_E10value_typeEPSL_NS1_7vsmem_tEENKUlT_SJ_SK_SL_E_clISE_PiSF_SF_EESI_SY_SJ_SK_SL_EUlSY_E_NS1_11comp_targetILNS1_3genE8ELNS1_11target_archE1030ELNS1_3gpuE2ELNS1_3repE0EEENS1_48merge_mergepath_partition_config_static_selectorELNS0_4arch9wavefront6targetE0EEEvSK_,"axG",@progbits,_ZN7rocprim17ROCPRIM_400000_NS6detail17trampoline_kernelINS0_14default_configENS1_38merge_sort_block_merge_config_selectorIiNS0_10empty_typeEEEZZNS1_27merge_sort_block_merge_implIS3_N6thrust23THRUST_200600_302600_NS6detail15normal_iteratorINS9_10device_ptrIiEEEEPS5_m11less_div_10IiEEE10hipError_tT0_T1_T2_jT3_P12ihipStream_tbPNSt15iterator_traitsISJ_E10value_typeEPNSP_ISK_E10value_typeEPSL_NS1_7vsmem_tEENKUlT_SJ_SK_SL_E_clISE_PiSF_SF_EESI_SY_SJ_SK_SL_EUlSY_E_NS1_11comp_targetILNS1_3genE8ELNS1_11target_archE1030ELNS1_3gpuE2ELNS1_3repE0EEENS1_48merge_mergepath_partition_config_static_selectorELNS0_4arch9wavefront6targetE0EEEvSK_,comdat
	.protected	_ZN7rocprim17ROCPRIM_400000_NS6detail17trampoline_kernelINS0_14default_configENS1_38merge_sort_block_merge_config_selectorIiNS0_10empty_typeEEEZZNS1_27merge_sort_block_merge_implIS3_N6thrust23THRUST_200600_302600_NS6detail15normal_iteratorINS9_10device_ptrIiEEEEPS5_m11less_div_10IiEEE10hipError_tT0_T1_T2_jT3_P12ihipStream_tbPNSt15iterator_traitsISJ_E10value_typeEPNSP_ISK_E10value_typeEPSL_NS1_7vsmem_tEENKUlT_SJ_SK_SL_E_clISE_PiSF_SF_EESI_SY_SJ_SK_SL_EUlSY_E_NS1_11comp_targetILNS1_3genE8ELNS1_11target_archE1030ELNS1_3gpuE2ELNS1_3repE0EEENS1_48merge_mergepath_partition_config_static_selectorELNS0_4arch9wavefront6targetE0EEEvSK_ ; -- Begin function _ZN7rocprim17ROCPRIM_400000_NS6detail17trampoline_kernelINS0_14default_configENS1_38merge_sort_block_merge_config_selectorIiNS0_10empty_typeEEEZZNS1_27merge_sort_block_merge_implIS3_N6thrust23THRUST_200600_302600_NS6detail15normal_iteratorINS9_10device_ptrIiEEEEPS5_m11less_div_10IiEEE10hipError_tT0_T1_T2_jT3_P12ihipStream_tbPNSt15iterator_traitsISJ_E10value_typeEPNSP_ISK_E10value_typeEPSL_NS1_7vsmem_tEENKUlT_SJ_SK_SL_E_clISE_PiSF_SF_EESI_SY_SJ_SK_SL_EUlSY_E_NS1_11comp_targetILNS1_3genE8ELNS1_11target_archE1030ELNS1_3gpuE2ELNS1_3repE0EEENS1_48merge_mergepath_partition_config_static_selectorELNS0_4arch9wavefront6targetE0EEEvSK_
	.globl	_ZN7rocprim17ROCPRIM_400000_NS6detail17trampoline_kernelINS0_14default_configENS1_38merge_sort_block_merge_config_selectorIiNS0_10empty_typeEEEZZNS1_27merge_sort_block_merge_implIS3_N6thrust23THRUST_200600_302600_NS6detail15normal_iteratorINS9_10device_ptrIiEEEEPS5_m11less_div_10IiEEE10hipError_tT0_T1_T2_jT3_P12ihipStream_tbPNSt15iterator_traitsISJ_E10value_typeEPNSP_ISK_E10value_typeEPSL_NS1_7vsmem_tEENKUlT_SJ_SK_SL_E_clISE_PiSF_SF_EESI_SY_SJ_SK_SL_EUlSY_E_NS1_11comp_targetILNS1_3genE8ELNS1_11target_archE1030ELNS1_3gpuE2ELNS1_3repE0EEENS1_48merge_mergepath_partition_config_static_selectorELNS0_4arch9wavefront6targetE0EEEvSK_
	.p2align	8
	.type	_ZN7rocprim17ROCPRIM_400000_NS6detail17trampoline_kernelINS0_14default_configENS1_38merge_sort_block_merge_config_selectorIiNS0_10empty_typeEEEZZNS1_27merge_sort_block_merge_implIS3_N6thrust23THRUST_200600_302600_NS6detail15normal_iteratorINS9_10device_ptrIiEEEEPS5_m11less_div_10IiEEE10hipError_tT0_T1_T2_jT3_P12ihipStream_tbPNSt15iterator_traitsISJ_E10value_typeEPNSP_ISK_E10value_typeEPSL_NS1_7vsmem_tEENKUlT_SJ_SK_SL_E_clISE_PiSF_SF_EESI_SY_SJ_SK_SL_EUlSY_E_NS1_11comp_targetILNS1_3genE8ELNS1_11target_archE1030ELNS1_3gpuE2ELNS1_3repE0EEENS1_48merge_mergepath_partition_config_static_selectorELNS0_4arch9wavefront6targetE0EEEvSK_,@function
_ZN7rocprim17ROCPRIM_400000_NS6detail17trampoline_kernelINS0_14default_configENS1_38merge_sort_block_merge_config_selectorIiNS0_10empty_typeEEEZZNS1_27merge_sort_block_merge_implIS3_N6thrust23THRUST_200600_302600_NS6detail15normal_iteratorINS9_10device_ptrIiEEEEPS5_m11less_div_10IiEEE10hipError_tT0_T1_T2_jT3_P12ihipStream_tbPNSt15iterator_traitsISJ_E10value_typeEPNSP_ISK_E10value_typeEPSL_NS1_7vsmem_tEENKUlT_SJ_SK_SL_E_clISE_PiSF_SF_EESI_SY_SJ_SK_SL_EUlSY_E_NS1_11comp_targetILNS1_3genE8ELNS1_11target_archE1030ELNS1_3gpuE2ELNS1_3repE0EEENS1_48merge_mergepath_partition_config_static_selectorELNS0_4arch9wavefront6targetE0EEEvSK_: ; @_ZN7rocprim17ROCPRIM_400000_NS6detail17trampoline_kernelINS0_14default_configENS1_38merge_sort_block_merge_config_selectorIiNS0_10empty_typeEEEZZNS1_27merge_sort_block_merge_implIS3_N6thrust23THRUST_200600_302600_NS6detail15normal_iteratorINS9_10device_ptrIiEEEEPS5_m11less_div_10IiEEE10hipError_tT0_T1_T2_jT3_P12ihipStream_tbPNSt15iterator_traitsISJ_E10value_typeEPNSP_ISK_E10value_typeEPSL_NS1_7vsmem_tEENKUlT_SJ_SK_SL_E_clISE_PiSF_SF_EESI_SY_SJ_SK_SL_EUlSY_E_NS1_11comp_targetILNS1_3genE8ELNS1_11target_archE1030ELNS1_3gpuE2ELNS1_3repE0EEENS1_48merge_mergepath_partition_config_static_selectorELNS0_4arch9wavefront6targetE0EEEvSK_
; %bb.0:
	s_load_dword s0, s[4:5], 0x0
	v_lshl_or_b32 v0, s6, 7, v0
	s_waitcnt lgkmcnt(0)
	v_cmp_gt_u32_e32 vcc_lo, s0, v0
	s_and_saveexec_b32 s0, vcc_lo
	s_cbranch_execz .LBB460_6
; %bb.1:
	s_load_dwordx4 s[0:3], s[4:5], 0x8
	v_mov_b32_e32 v2, 0
	v_mov_b32_e32 v11, v2
	s_waitcnt lgkmcnt(0)
	s_lshr_b64 s[6:7], s[0:1], 9
	s_and_b32 s6, s6, -2
	s_sub_i32 s7, 0, s6
	s_add_i32 s6, s6, -1
	v_and_b32_e32 v1, s7, v0
	v_and_b32_e32 v10, s6, v0
	v_lshlrev_b64 v[4:5], 10, v[1:2]
	v_add_co_u32 v6, vcc_lo, v4, s0
	v_add_co_ci_u32_e64 v7, null, s1, v5, vcc_lo
	v_cmp_lt_u64_e32 vcc_lo, s[2:3], v[6:7]
	v_cndmask_b32_e64 v8, v6, s2, vcc_lo
	v_cndmask_b32_e64 v9, v7, s3, vcc_lo
	v_add_co_u32 v6, vcc_lo, v8, s0
	v_add_co_ci_u32_e64 v7, null, s1, v9, vcc_lo
	v_cmp_lt_u64_e32 vcc_lo, s[2:3], v[4:5]
	s_mov_b32 s1, 0
	v_cmp_lt_u64_e64 s0, s[2:3], v[6:7]
	v_cndmask_b32_e64 v2, v4, s2, vcc_lo
	v_cndmask_b32_e64 v3, v5, s3, vcc_lo
	v_lshlrev_b64 v[4:5], 10, v[10:11]
	v_cndmask_b32_e64 v12, v6, s2, s0
	v_cndmask_b32_e64 v1, v7, s3, s0
	s_load_dwordx2 s[2:3], s[4:5], 0x28
	v_sub_co_u32 v6, vcc_lo, v12, v2
	v_sub_co_ci_u32_e64 v7, null, v1, v3, vcc_lo
	v_cmp_lt_u64_e32 vcc_lo, v[6:7], v[4:5]
	v_cndmask_b32_e32 v11, v5, v7, vcc_lo
	v_cndmask_b32_e32 v10, v4, v6, vcc_lo
	v_sub_co_u32 v4, vcc_lo, v8, v12
	v_sub_co_ci_u32_e64 v1, null, v9, v1, vcc_lo
	v_add_co_u32 v4, vcc_lo, v10, v4
	v_add_co_ci_u32_e64 v5, null, v11, v1, vcc_lo
	v_sub_co_u32 v6, vcc_lo, v8, v2
	v_sub_co_ci_u32_e64 v7, null, v9, v3, vcc_lo
	v_cmp_gt_u64_e32 vcc_lo, v[4:5], v[10:11]
	v_cmp_lt_u64_e64 s0, v[10:11], v[6:7]
	v_cndmask_b32_e64 v5, v5, 0, vcc_lo
	v_cndmask_b32_e64 v4, v4, 0, vcc_lo
	v_cndmask_b32_e64 v7, v7, v11, s0
	v_cndmask_b32_e64 v6, v6, v10, s0
	s_mov_b32 s0, exec_lo
	v_cmpx_lt_u64_e64 v[4:5], v[6:7]
	s_cbranch_execz .LBB460_5
; %bb.2:
	s_load_dwordx2 s[4:5], s[4:5], 0x18
	v_lshlrev_b64 v[8:9], 2, v[8:9]
	v_lshlrev_b64 v[12:13], 2, v[2:3]
	;; [unrolled: 1-line block ×3, first 2 shown]
	s_waitcnt lgkmcnt(0)
	v_add_co_u32 v14, vcc_lo, s4, v8
	v_add_co_ci_u32_e64 v15, null, s5, v9, vcc_lo
	v_add_co_u32 v1, vcc_lo, s4, v12
	v_add_co_ci_u32_e64 v8, null, s5, v13, vcc_lo
	;; [unrolled: 2-line block ×3, first 2 shown]
	s_inst_prefetch 0x1
	.p2align	6
.LBB460_3:                              ; =>This Inner Loop Header: Depth=1
	v_add_co_u32 v11, vcc_lo, v6, v4
	v_add_co_ci_u32_e64 v12, null, v7, v5, vcc_lo
	v_lshrrev_b64 v[11:12], 1, v[11:12]
	v_lshlrev_b64 v[13:14], 2, v[11:12]
	v_xor_b32_e32 v15, -4, v13
	v_xor_b32_e32 v16, -1, v14
	v_add_co_u32 v13, vcc_lo, v1, v13
	v_add_co_ci_u32_e64 v14, null, v8, v14, vcc_lo
	v_add_co_u32 v15, vcc_lo, v9, v15
	v_add_co_ci_u32_e64 v16, null, v10, v16, vcc_lo
	v_add_co_u32 v17, vcc_lo, v11, 1
	flat_load_dword v13, v[13:14]
	flat_load_dword v14, v[15:16]
	s_waitcnt vmcnt(1) lgkmcnt(1)
	v_mul_hi_i32 v13, 0x66666667, v13
	s_waitcnt vmcnt(0) lgkmcnt(0)
	v_mul_hi_i32 v14, 0x66666667, v14
	v_lshrrev_b32_e32 v15, 31, v13
	v_ashrrev_i32_e32 v13, 2, v13
	v_lshrrev_b32_e32 v16, 31, v14
	v_ashrrev_i32_e32 v14, 2, v14
	v_add_nc_u32_e32 v13, v13, v15
	v_add_co_ci_u32_e64 v15, null, 0, v12, vcc_lo
	v_add_nc_u32_e32 v14, v14, v16
	v_cmp_lt_i32_e32 vcc_lo, v14, v13
	v_cndmask_b32_e32 v7, v7, v12, vcc_lo
	v_cndmask_b32_e32 v6, v6, v11, vcc_lo
	;; [unrolled: 1-line block ×4, first 2 shown]
	v_cmp_ge_u64_e32 vcc_lo, v[4:5], v[6:7]
	s_or_b32 s1, vcc_lo, s1
	s_andn2_b32 exec_lo, exec_lo, s1
	s_cbranch_execnz .LBB460_3
; %bb.4:
	s_inst_prefetch 0x2
	s_or_b32 exec_lo, exec_lo, s1
.LBB460_5:
	s_or_b32 exec_lo, exec_lo, s0
	v_mov_b32_e32 v1, 0
	v_add_co_u32 v2, vcc_lo, v4, v2
	v_add_co_ci_u32_e64 v3, null, v5, v3, vcc_lo
	v_lshlrev_b64 v[0:1], 3, v[0:1]
	s_waitcnt lgkmcnt(0)
	v_add_co_u32 v0, vcc_lo, s2, v0
	v_add_co_ci_u32_e64 v1, null, s3, v1, vcc_lo
	global_store_dwordx2 v[0:1], v[2:3], off
.LBB460_6:
	s_endpgm
	.section	.rodata,"a",@progbits
	.p2align	6, 0x0
	.amdhsa_kernel _ZN7rocprim17ROCPRIM_400000_NS6detail17trampoline_kernelINS0_14default_configENS1_38merge_sort_block_merge_config_selectorIiNS0_10empty_typeEEEZZNS1_27merge_sort_block_merge_implIS3_N6thrust23THRUST_200600_302600_NS6detail15normal_iteratorINS9_10device_ptrIiEEEEPS5_m11less_div_10IiEEE10hipError_tT0_T1_T2_jT3_P12ihipStream_tbPNSt15iterator_traitsISJ_E10value_typeEPNSP_ISK_E10value_typeEPSL_NS1_7vsmem_tEENKUlT_SJ_SK_SL_E_clISE_PiSF_SF_EESI_SY_SJ_SK_SL_EUlSY_E_NS1_11comp_targetILNS1_3genE8ELNS1_11target_archE1030ELNS1_3gpuE2ELNS1_3repE0EEENS1_48merge_mergepath_partition_config_static_selectorELNS0_4arch9wavefront6targetE0EEEvSK_
		.amdhsa_group_segment_fixed_size 0
		.amdhsa_private_segment_fixed_size 0
		.amdhsa_kernarg_size 48
		.amdhsa_user_sgpr_count 6
		.amdhsa_user_sgpr_private_segment_buffer 1
		.amdhsa_user_sgpr_dispatch_ptr 0
		.amdhsa_user_sgpr_queue_ptr 0
		.amdhsa_user_sgpr_kernarg_segment_ptr 1
		.amdhsa_user_sgpr_dispatch_id 0
		.amdhsa_user_sgpr_flat_scratch_init 0
		.amdhsa_user_sgpr_private_segment_size 0
		.amdhsa_wavefront_size32 1
		.amdhsa_uses_dynamic_stack 0
		.amdhsa_system_sgpr_private_segment_wavefront_offset 0
		.amdhsa_system_sgpr_workgroup_id_x 1
		.amdhsa_system_sgpr_workgroup_id_y 0
		.amdhsa_system_sgpr_workgroup_id_z 0
		.amdhsa_system_sgpr_workgroup_info 0
		.amdhsa_system_vgpr_workitem_id 0
		.amdhsa_next_free_vgpr 18
		.amdhsa_next_free_sgpr 8
		.amdhsa_reserve_vcc 1
		.amdhsa_reserve_flat_scratch 0
		.amdhsa_float_round_mode_32 0
		.amdhsa_float_round_mode_16_64 0
		.amdhsa_float_denorm_mode_32 3
		.amdhsa_float_denorm_mode_16_64 3
		.amdhsa_dx10_clamp 1
		.amdhsa_ieee_mode 1
		.amdhsa_fp16_overflow 0
		.amdhsa_workgroup_processor_mode 1
		.amdhsa_memory_ordered 1
		.amdhsa_forward_progress 1
		.amdhsa_shared_vgpr_count 0
		.amdhsa_exception_fp_ieee_invalid_op 0
		.amdhsa_exception_fp_denorm_src 0
		.amdhsa_exception_fp_ieee_div_zero 0
		.amdhsa_exception_fp_ieee_overflow 0
		.amdhsa_exception_fp_ieee_underflow 0
		.amdhsa_exception_fp_ieee_inexact 0
		.amdhsa_exception_int_div_zero 0
	.end_amdhsa_kernel
	.section	.text._ZN7rocprim17ROCPRIM_400000_NS6detail17trampoline_kernelINS0_14default_configENS1_38merge_sort_block_merge_config_selectorIiNS0_10empty_typeEEEZZNS1_27merge_sort_block_merge_implIS3_N6thrust23THRUST_200600_302600_NS6detail15normal_iteratorINS9_10device_ptrIiEEEEPS5_m11less_div_10IiEEE10hipError_tT0_T1_T2_jT3_P12ihipStream_tbPNSt15iterator_traitsISJ_E10value_typeEPNSP_ISK_E10value_typeEPSL_NS1_7vsmem_tEENKUlT_SJ_SK_SL_E_clISE_PiSF_SF_EESI_SY_SJ_SK_SL_EUlSY_E_NS1_11comp_targetILNS1_3genE8ELNS1_11target_archE1030ELNS1_3gpuE2ELNS1_3repE0EEENS1_48merge_mergepath_partition_config_static_selectorELNS0_4arch9wavefront6targetE0EEEvSK_,"axG",@progbits,_ZN7rocprim17ROCPRIM_400000_NS6detail17trampoline_kernelINS0_14default_configENS1_38merge_sort_block_merge_config_selectorIiNS0_10empty_typeEEEZZNS1_27merge_sort_block_merge_implIS3_N6thrust23THRUST_200600_302600_NS6detail15normal_iteratorINS9_10device_ptrIiEEEEPS5_m11less_div_10IiEEE10hipError_tT0_T1_T2_jT3_P12ihipStream_tbPNSt15iterator_traitsISJ_E10value_typeEPNSP_ISK_E10value_typeEPSL_NS1_7vsmem_tEENKUlT_SJ_SK_SL_E_clISE_PiSF_SF_EESI_SY_SJ_SK_SL_EUlSY_E_NS1_11comp_targetILNS1_3genE8ELNS1_11target_archE1030ELNS1_3gpuE2ELNS1_3repE0EEENS1_48merge_mergepath_partition_config_static_selectorELNS0_4arch9wavefront6targetE0EEEvSK_,comdat
.Lfunc_end460:
	.size	_ZN7rocprim17ROCPRIM_400000_NS6detail17trampoline_kernelINS0_14default_configENS1_38merge_sort_block_merge_config_selectorIiNS0_10empty_typeEEEZZNS1_27merge_sort_block_merge_implIS3_N6thrust23THRUST_200600_302600_NS6detail15normal_iteratorINS9_10device_ptrIiEEEEPS5_m11less_div_10IiEEE10hipError_tT0_T1_T2_jT3_P12ihipStream_tbPNSt15iterator_traitsISJ_E10value_typeEPNSP_ISK_E10value_typeEPSL_NS1_7vsmem_tEENKUlT_SJ_SK_SL_E_clISE_PiSF_SF_EESI_SY_SJ_SK_SL_EUlSY_E_NS1_11comp_targetILNS1_3genE8ELNS1_11target_archE1030ELNS1_3gpuE2ELNS1_3repE0EEENS1_48merge_mergepath_partition_config_static_selectorELNS0_4arch9wavefront6targetE0EEEvSK_, .Lfunc_end460-_ZN7rocprim17ROCPRIM_400000_NS6detail17trampoline_kernelINS0_14default_configENS1_38merge_sort_block_merge_config_selectorIiNS0_10empty_typeEEEZZNS1_27merge_sort_block_merge_implIS3_N6thrust23THRUST_200600_302600_NS6detail15normal_iteratorINS9_10device_ptrIiEEEEPS5_m11less_div_10IiEEE10hipError_tT0_T1_T2_jT3_P12ihipStream_tbPNSt15iterator_traitsISJ_E10value_typeEPNSP_ISK_E10value_typeEPSL_NS1_7vsmem_tEENKUlT_SJ_SK_SL_E_clISE_PiSF_SF_EESI_SY_SJ_SK_SL_EUlSY_E_NS1_11comp_targetILNS1_3genE8ELNS1_11target_archE1030ELNS1_3gpuE2ELNS1_3repE0EEENS1_48merge_mergepath_partition_config_static_selectorELNS0_4arch9wavefront6targetE0EEEvSK_
                                        ; -- End function
	.set _ZN7rocprim17ROCPRIM_400000_NS6detail17trampoline_kernelINS0_14default_configENS1_38merge_sort_block_merge_config_selectorIiNS0_10empty_typeEEEZZNS1_27merge_sort_block_merge_implIS3_N6thrust23THRUST_200600_302600_NS6detail15normal_iteratorINS9_10device_ptrIiEEEEPS5_m11less_div_10IiEEE10hipError_tT0_T1_T2_jT3_P12ihipStream_tbPNSt15iterator_traitsISJ_E10value_typeEPNSP_ISK_E10value_typeEPSL_NS1_7vsmem_tEENKUlT_SJ_SK_SL_E_clISE_PiSF_SF_EESI_SY_SJ_SK_SL_EUlSY_E_NS1_11comp_targetILNS1_3genE8ELNS1_11target_archE1030ELNS1_3gpuE2ELNS1_3repE0EEENS1_48merge_mergepath_partition_config_static_selectorELNS0_4arch9wavefront6targetE0EEEvSK_.num_vgpr, 18
	.set _ZN7rocprim17ROCPRIM_400000_NS6detail17trampoline_kernelINS0_14default_configENS1_38merge_sort_block_merge_config_selectorIiNS0_10empty_typeEEEZZNS1_27merge_sort_block_merge_implIS3_N6thrust23THRUST_200600_302600_NS6detail15normal_iteratorINS9_10device_ptrIiEEEEPS5_m11less_div_10IiEEE10hipError_tT0_T1_T2_jT3_P12ihipStream_tbPNSt15iterator_traitsISJ_E10value_typeEPNSP_ISK_E10value_typeEPSL_NS1_7vsmem_tEENKUlT_SJ_SK_SL_E_clISE_PiSF_SF_EESI_SY_SJ_SK_SL_EUlSY_E_NS1_11comp_targetILNS1_3genE8ELNS1_11target_archE1030ELNS1_3gpuE2ELNS1_3repE0EEENS1_48merge_mergepath_partition_config_static_selectorELNS0_4arch9wavefront6targetE0EEEvSK_.num_agpr, 0
	.set _ZN7rocprim17ROCPRIM_400000_NS6detail17trampoline_kernelINS0_14default_configENS1_38merge_sort_block_merge_config_selectorIiNS0_10empty_typeEEEZZNS1_27merge_sort_block_merge_implIS3_N6thrust23THRUST_200600_302600_NS6detail15normal_iteratorINS9_10device_ptrIiEEEEPS5_m11less_div_10IiEEE10hipError_tT0_T1_T2_jT3_P12ihipStream_tbPNSt15iterator_traitsISJ_E10value_typeEPNSP_ISK_E10value_typeEPSL_NS1_7vsmem_tEENKUlT_SJ_SK_SL_E_clISE_PiSF_SF_EESI_SY_SJ_SK_SL_EUlSY_E_NS1_11comp_targetILNS1_3genE8ELNS1_11target_archE1030ELNS1_3gpuE2ELNS1_3repE0EEENS1_48merge_mergepath_partition_config_static_selectorELNS0_4arch9wavefront6targetE0EEEvSK_.numbered_sgpr, 8
	.set _ZN7rocprim17ROCPRIM_400000_NS6detail17trampoline_kernelINS0_14default_configENS1_38merge_sort_block_merge_config_selectorIiNS0_10empty_typeEEEZZNS1_27merge_sort_block_merge_implIS3_N6thrust23THRUST_200600_302600_NS6detail15normal_iteratorINS9_10device_ptrIiEEEEPS5_m11less_div_10IiEEE10hipError_tT0_T1_T2_jT3_P12ihipStream_tbPNSt15iterator_traitsISJ_E10value_typeEPNSP_ISK_E10value_typeEPSL_NS1_7vsmem_tEENKUlT_SJ_SK_SL_E_clISE_PiSF_SF_EESI_SY_SJ_SK_SL_EUlSY_E_NS1_11comp_targetILNS1_3genE8ELNS1_11target_archE1030ELNS1_3gpuE2ELNS1_3repE0EEENS1_48merge_mergepath_partition_config_static_selectorELNS0_4arch9wavefront6targetE0EEEvSK_.num_named_barrier, 0
	.set _ZN7rocprim17ROCPRIM_400000_NS6detail17trampoline_kernelINS0_14default_configENS1_38merge_sort_block_merge_config_selectorIiNS0_10empty_typeEEEZZNS1_27merge_sort_block_merge_implIS3_N6thrust23THRUST_200600_302600_NS6detail15normal_iteratorINS9_10device_ptrIiEEEEPS5_m11less_div_10IiEEE10hipError_tT0_T1_T2_jT3_P12ihipStream_tbPNSt15iterator_traitsISJ_E10value_typeEPNSP_ISK_E10value_typeEPSL_NS1_7vsmem_tEENKUlT_SJ_SK_SL_E_clISE_PiSF_SF_EESI_SY_SJ_SK_SL_EUlSY_E_NS1_11comp_targetILNS1_3genE8ELNS1_11target_archE1030ELNS1_3gpuE2ELNS1_3repE0EEENS1_48merge_mergepath_partition_config_static_selectorELNS0_4arch9wavefront6targetE0EEEvSK_.private_seg_size, 0
	.set _ZN7rocprim17ROCPRIM_400000_NS6detail17trampoline_kernelINS0_14default_configENS1_38merge_sort_block_merge_config_selectorIiNS0_10empty_typeEEEZZNS1_27merge_sort_block_merge_implIS3_N6thrust23THRUST_200600_302600_NS6detail15normal_iteratorINS9_10device_ptrIiEEEEPS5_m11less_div_10IiEEE10hipError_tT0_T1_T2_jT3_P12ihipStream_tbPNSt15iterator_traitsISJ_E10value_typeEPNSP_ISK_E10value_typeEPSL_NS1_7vsmem_tEENKUlT_SJ_SK_SL_E_clISE_PiSF_SF_EESI_SY_SJ_SK_SL_EUlSY_E_NS1_11comp_targetILNS1_3genE8ELNS1_11target_archE1030ELNS1_3gpuE2ELNS1_3repE0EEENS1_48merge_mergepath_partition_config_static_selectorELNS0_4arch9wavefront6targetE0EEEvSK_.uses_vcc, 1
	.set _ZN7rocprim17ROCPRIM_400000_NS6detail17trampoline_kernelINS0_14default_configENS1_38merge_sort_block_merge_config_selectorIiNS0_10empty_typeEEEZZNS1_27merge_sort_block_merge_implIS3_N6thrust23THRUST_200600_302600_NS6detail15normal_iteratorINS9_10device_ptrIiEEEEPS5_m11less_div_10IiEEE10hipError_tT0_T1_T2_jT3_P12ihipStream_tbPNSt15iterator_traitsISJ_E10value_typeEPNSP_ISK_E10value_typeEPSL_NS1_7vsmem_tEENKUlT_SJ_SK_SL_E_clISE_PiSF_SF_EESI_SY_SJ_SK_SL_EUlSY_E_NS1_11comp_targetILNS1_3genE8ELNS1_11target_archE1030ELNS1_3gpuE2ELNS1_3repE0EEENS1_48merge_mergepath_partition_config_static_selectorELNS0_4arch9wavefront6targetE0EEEvSK_.uses_flat_scratch, 0
	.set _ZN7rocprim17ROCPRIM_400000_NS6detail17trampoline_kernelINS0_14default_configENS1_38merge_sort_block_merge_config_selectorIiNS0_10empty_typeEEEZZNS1_27merge_sort_block_merge_implIS3_N6thrust23THRUST_200600_302600_NS6detail15normal_iteratorINS9_10device_ptrIiEEEEPS5_m11less_div_10IiEEE10hipError_tT0_T1_T2_jT3_P12ihipStream_tbPNSt15iterator_traitsISJ_E10value_typeEPNSP_ISK_E10value_typeEPSL_NS1_7vsmem_tEENKUlT_SJ_SK_SL_E_clISE_PiSF_SF_EESI_SY_SJ_SK_SL_EUlSY_E_NS1_11comp_targetILNS1_3genE8ELNS1_11target_archE1030ELNS1_3gpuE2ELNS1_3repE0EEENS1_48merge_mergepath_partition_config_static_selectorELNS0_4arch9wavefront6targetE0EEEvSK_.has_dyn_sized_stack, 0
	.set _ZN7rocprim17ROCPRIM_400000_NS6detail17trampoline_kernelINS0_14default_configENS1_38merge_sort_block_merge_config_selectorIiNS0_10empty_typeEEEZZNS1_27merge_sort_block_merge_implIS3_N6thrust23THRUST_200600_302600_NS6detail15normal_iteratorINS9_10device_ptrIiEEEEPS5_m11less_div_10IiEEE10hipError_tT0_T1_T2_jT3_P12ihipStream_tbPNSt15iterator_traitsISJ_E10value_typeEPNSP_ISK_E10value_typeEPSL_NS1_7vsmem_tEENKUlT_SJ_SK_SL_E_clISE_PiSF_SF_EESI_SY_SJ_SK_SL_EUlSY_E_NS1_11comp_targetILNS1_3genE8ELNS1_11target_archE1030ELNS1_3gpuE2ELNS1_3repE0EEENS1_48merge_mergepath_partition_config_static_selectorELNS0_4arch9wavefront6targetE0EEEvSK_.has_recursion, 0
	.set _ZN7rocprim17ROCPRIM_400000_NS6detail17trampoline_kernelINS0_14default_configENS1_38merge_sort_block_merge_config_selectorIiNS0_10empty_typeEEEZZNS1_27merge_sort_block_merge_implIS3_N6thrust23THRUST_200600_302600_NS6detail15normal_iteratorINS9_10device_ptrIiEEEEPS5_m11less_div_10IiEEE10hipError_tT0_T1_T2_jT3_P12ihipStream_tbPNSt15iterator_traitsISJ_E10value_typeEPNSP_ISK_E10value_typeEPSL_NS1_7vsmem_tEENKUlT_SJ_SK_SL_E_clISE_PiSF_SF_EESI_SY_SJ_SK_SL_EUlSY_E_NS1_11comp_targetILNS1_3genE8ELNS1_11target_archE1030ELNS1_3gpuE2ELNS1_3repE0EEENS1_48merge_mergepath_partition_config_static_selectorELNS0_4arch9wavefront6targetE0EEEvSK_.has_indirect_call, 0
	.section	.AMDGPU.csdata,"",@progbits
; Kernel info:
; codeLenInByte = 716
; TotalNumSgprs: 10
; NumVgprs: 18
; ScratchSize: 0
; MemoryBound: 0
; FloatMode: 240
; IeeeMode: 1
; LDSByteSize: 0 bytes/workgroup (compile time only)
; SGPRBlocks: 0
; VGPRBlocks: 2
; NumSGPRsForWavesPerEU: 10
; NumVGPRsForWavesPerEU: 18
; Occupancy: 16
; WaveLimiterHint : 0
; COMPUTE_PGM_RSRC2:SCRATCH_EN: 0
; COMPUTE_PGM_RSRC2:USER_SGPR: 6
; COMPUTE_PGM_RSRC2:TRAP_HANDLER: 0
; COMPUTE_PGM_RSRC2:TGID_X_EN: 1
; COMPUTE_PGM_RSRC2:TGID_Y_EN: 0
; COMPUTE_PGM_RSRC2:TGID_Z_EN: 0
; COMPUTE_PGM_RSRC2:TIDIG_COMP_CNT: 0
	.section	.text._ZN7rocprim17ROCPRIM_400000_NS6detail17trampoline_kernelINS0_14default_configENS1_38merge_sort_block_merge_config_selectorIiNS0_10empty_typeEEEZZNS1_27merge_sort_block_merge_implIS3_N6thrust23THRUST_200600_302600_NS6detail15normal_iteratorINS9_10device_ptrIiEEEEPS5_m11less_div_10IiEEE10hipError_tT0_T1_T2_jT3_P12ihipStream_tbPNSt15iterator_traitsISJ_E10value_typeEPNSP_ISK_E10value_typeEPSL_NS1_7vsmem_tEENKUlT_SJ_SK_SL_E_clISE_PiSF_SF_EESI_SY_SJ_SK_SL_EUlSY_E0_NS1_11comp_targetILNS1_3genE0ELNS1_11target_archE4294967295ELNS1_3gpuE0ELNS1_3repE0EEENS1_38merge_mergepath_config_static_selectorELNS0_4arch9wavefront6targetE0EEEvSK_,"axG",@progbits,_ZN7rocprim17ROCPRIM_400000_NS6detail17trampoline_kernelINS0_14default_configENS1_38merge_sort_block_merge_config_selectorIiNS0_10empty_typeEEEZZNS1_27merge_sort_block_merge_implIS3_N6thrust23THRUST_200600_302600_NS6detail15normal_iteratorINS9_10device_ptrIiEEEEPS5_m11less_div_10IiEEE10hipError_tT0_T1_T2_jT3_P12ihipStream_tbPNSt15iterator_traitsISJ_E10value_typeEPNSP_ISK_E10value_typeEPSL_NS1_7vsmem_tEENKUlT_SJ_SK_SL_E_clISE_PiSF_SF_EESI_SY_SJ_SK_SL_EUlSY_E0_NS1_11comp_targetILNS1_3genE0ELNS1_11target_archE4294967295ELNS1_3gpuE0ELNS1_3repE0EEENS1_38merge_mergepath_config_static_selectorELNS0_4arch9wavefront6targetE0EEEvSK_,comdat
	.protected	_ZN7rocprim17ROCPRIM_400000_NS6detail17trampoline_kernelINS0_14default_configENS1_38merge_sort_block_merge_config_selectorIiNS0_10empty_typeEEEZZNS1_27merge_sort_block_merge_implIS3_N6thrust23THRUST_200600_302600_NS6detail15normal_iteratorINS9_10device_ptrIiEEEEPS5_m11less_div_10IiEEE10hipError_tT0_T1_T2_jT3_P12ihipStream_tbPNSt15iterator_traitsISJ_E10value_typeEPNSP_ISK_E10value_typeEPSL_NS1_7vsmem_tEENKUlT_SJ_SK_SL_E_clISE_PiSF_SF_EESI_SY_SJ_SK_SL_EUlSY_E0_NS1_11comp_targetILNS1_3genE0ELNS1_11target_archE4294967295ELNS1_3gpuE0ELNS1_3repE0EEENS1_38merge_mergepath_config_static_selectorELNS0_4arch9wavefront6targetE0EEEvSK_ ; -- Begin function _ZN7rocprim17ROCPRIM_400000_NS6detail17trampoline_kernelINS0_14default_configENS1_38merge_sort_block_merge_config_selectorIiNS0_10empty_typeEEEZZNS1_27merge_sort_block_merge_implIS3_N6thrust23THRUST_200600_302600_NS6detail15normal_iteratorINS9_10device_ptrIiEEEEPS5_m11less_div_10IiEEE10hipError_tT0_T1_T2_jT3_P12ihipStream_tbPNSt15iterator_traitsISJ_E10value_typeEPNSP_ISK_E10value_typeEPSL_NS1_7vsmem_tEENKUlT_SJ_SK_SL_E_clISE_PiSF_SF_EESI_SY_SJ_SK_SL_EUlSY_E0_NS1_11comp_targetILNS1_3genE0ELNS1_11target_archE4294967295ELNS1_3gpuE0ELNS1_3repE0EEENS1_38merge_mergepath_config_static_selectorELNS0_4arch9wavefront6targetE0EEEvSK_
	.globl	_ZN7rocprim17ROCPRIM_400000_NS6detail17trampoline_kernelINS0_14default_configENS1_38merge_sort_block_merge_config_selectorIiNS0_10empty_typeEEEZZNS1_27merge_sort_block_merge_implIS3_N6thrust23THRUST_200600_302600_NS6detail15normal_iteratorINS9_10device_ptrIiEEEEPS5_m11less_div_10IiEEE10hipError_tT0_T1_T2_jT3_P12ihipStream_tbPNSt15iterator_traitsISJ_E10value_typeEPNSP_ISK_E10value_typeEPSL_NS1_7vsmem_tEENKUlT_SJ_SK_SL_E_clISE_PiSF_SF_EESI_SY_SJ_SK_SL_EUlSY_E0_NS1_11comp_targetILNS1_3genE0ELNS1_11target_archE4294967295ELNS1_3gpuE0ELNS1_3repE0EEENS1_38merge_mergepath_config_static_selectorELNS0_4arch9wavefront6targetE0EEEvSK_
	.p2align	8
	.type	_ZN7rocprim17ROCPRIM_400000_NS6detail17trampoline_kernelINS0_14default_configENS1_38merge_sort_block_merge_config_selectorIiNS0_10empty_typeEEEZZNS1_27merge_sort_block_merge_implIS3_N6thrust23THRUST_200600_302600_NS6detail15normal_iteratorINS9_10device_ptrIiEEEEPS5_m11less_div_10IiEEE10hipError_tT0_T1_T2_jT3_P12ihipStream_tbPNSt15iterator_traitsISJ_E10value_typeEPNSP_ISK_E10value_typeEPSL_NS1_7vsmem_tEENKUlT_SJ_SK_SL_E_clISE_PiSF_SF_EESI_SY_SJ_SK_SL_EUlSY_E0_NS1_11comp_targetILNS1_3genE0ELNS1_11target_archE4294967295ELNS1_3gpuE0ELNS1_3repE0EEENS1_38merge_mergepath_config_static_selectorELNS0_4arch9wavefront6targetE0EEEvSK_,@function
_ZN7rocprim17ROCPRIM_400000_NS6detail17trampoline_kernelINS0_14default_configENS1_38merge_sort_block_merge_config_selectorIiNS0_10empty_typeEEEZZNS1_27merge_sort_block_merge_implIS3_N6thrust23THRUST_200600_302600_NS6detail15normal_iteratorINS9_10device_ptrIiEEEEPS5_m11less_div_10IiEEE10hipError_tT0_T1_T2_jT3_P12ihipStream_tbPNSt15iterator_traitsISJ_E10value_typeEPNSP_ISK_E10value_typeEPSL_NS1_7vsmem_tEENKUlT_SJ_SK_SL_E_clISE_PiSF_SF_EESI_SY_SJ_SK_SL_EUlSY_E0_NS1_11comp_targetILNS1_3genE0ELNS1_11target_archE4294967295ELNS1_3gpuE0ELNS1_3repE0EEENS1_38merge_mergepath_config_static_selectorELNS0_4arch9wavefront6targetE0EEEvSK_: ; @_ZN7rocprim17ROCPRIM_400000_NS6detail17trampoline_kernelINS0_14default_configENS1_38merge_sort_block_merge_config_selectorIiNS0_10empty_typeEEEZZNS1_27merge_sort_block_merge_implIS3_N6thrust23THRUST_200600_302600_NS6detail15normal_iteratorINS9_10device_ptrIiEEEEPS5_m11less_div_10IiEEE10hipError_tT0_T1_T2_jT3_P12ihipStream_tbPNSt15iterator_traitsISJ_E10value_typeEPNSP_ISK_E10value_typeEPSL_NS1_7vsmem_tEENKUlT_SJ_SK_SL_E_clISE_PiSF_SF_EESI_SY_SJ_SK_SL_EUlSY_E0_NS1_11comp_targetILNS1_3genE0ELNS1_11target_archE4294967295ELNS1_3gpuE0ELNS1_3repE0EEENS1_38merge_mergepath_config_static_selectorELNS0_4arch9wavefront6targetE0EEEvSK_
; %bb.0:
	.section	.rodata,"a",@progbits
	.p2align	6, 0x0
	.amdhsa_kernel _ZN7rocprim17ROCPRIM_400000_NS6detail17trampoline_kernelINS0_14default_configENS1_38merge_sort_block_merge_config_selectorIiNS0_10empty_typeEEEZZNS1_27merge_sort_block_merge_implIS3_N6thrust23THRUST_200600_302600_NS6detail15normal_iteratorINS9_10device_ptrIiEEEEPS5_m11less_div_10IiEEE10hipError_tT0_T1_T2_jT3_P12ihipStream_tbPNSt15iterator_traitsISJ_E10value_typeEPNSP_ISK_E10value_typeEPSL_NS1_7vsmem_tEENKUlT_SJ_SK_SL_E_clISE_PiSF_SF_EESI_SY_SJ_SK_SL_EUlSY_E0_NS1_11comp_targetILNS1_3genE0ELNS1_11target_archE4294967295ELNS1_3gpuE0ELNS1_3repE0EEENS1_38merge_mergepath_config_static_selectorELNS0_4arch9wavefront6targetE0EEEvSK_
		.amdhsa_group_segment_fixed_size 0
		.amdhsa_private_segment_fixed_size 0
		.amdhsa_kernarg_size 72
		.amdhsa_user_sgpr_count 6
		.amdhsa_user_sgpr_private_segment_buffer 1
		.amdhsa_user_sgpr_dispatch_ptr 0
		.amdhsa_user_sgpr_queue_ptr 0
		.amdhsa_user_sgpr_kernarg_segment_ptr 1
		.amdhsa_user_sgpr_dispatch_id 0
		.amdhsa_user_sgpr_flat_scratch_init 0
		.amdhsa_user_sgpr_private_segment_size 0
		.amdhsa_wavefront_size32 1
		.amdhsa_uses_dynamic_stack 0
		.amdhsa_system_sgpr_private_segment_wavefront_offset 0
		.amdhsa_system_sgpr_workgroup_id_x 1
		.amdhsa_system_sgpr_workgroup_id_y 0
		.amdhsa_system_sgpr_workgroup_id_z 0
		.amdhsa_system_sgpr_workgroup_info 0
		.amdhsa_system_vgpr_workitem_id 0
		.amdhsa_next_free_vgpr 1
		.amdhsa_next_free_sgpr 1
		.amdhsa_reserve_vcc 0
		.amdhsa_reserve_flat_scratch 0
		.amdhsa_float_round_mode_32 0
		.amdhsa_float_round_mode_16_64 0
		.amdhsa_float_denorm_mode_32 3
		.amdhsa_float_denorm_mode_16_64 3
		.amdhsa_dx10_clamp 1
		.amdhsa_ieee_mode 1
		.amdhsa_fp16_overflow 0
		.amdhsa_workgroup_processor_mode 1
		.amdhsa_memory_ordered 1
		.amdhsa_forward_progress 1
		.amdhsa_shared_vgpr_count 0
		.amdhsa_exception_fp_ieee_invalid_op 0
		.amdhsa_exception_fp_denorm_src 0
		.amdhsa_exception_fp_ieee_div_zero 0
		.amdhsa_exception_fp_ieee_overflow 0
		.amdhsa_exception_fp_ieee_underflow 0
		.amdhsa_exception_fp_ieee_inexact 0
		.amdhsa_exception_int_div_zero 0
	.end_amdhsa_kernel
	.section	.text._ZN7rocprim17ROCPRIM_400000_NS6detail17trampoline_kernelINS0_14default_configENS1_38merge_sort_block_merge_config_selectorIiNS0_10empty_typeEEEZZNS1_27merge_sort_block_merge_implIS3_N6thrust23THRUST_200600_302600_NS6detail15normal_iteratorINS9_10device_ptrIiEEEEPS5_m11less_div_10IiEEE10hipError_tT0_T1_T2_jT3_P12ihipStream_tbPNSt15iterator_traitsISJ_E10value_typeEPNSP_ISK_E10value_typeEPSL_NS1_7vsmem_tEENKUlT_SJ_SK_SL_E_clISE_PiSF_SF_EESI_SY_SJ_SK_SL_EUlSY_E0_NS1_11comp_targetILNS1_3genE0ELNS1_11target_archE4294967295ELNS1_3gpuE0ELNS1_3repE0EEENS1_38merge_mergepath_config_static_selectorELNS0_4arch9wavefront6targetE0EEEvSK_,"axG",@progbits,_ZN7rocprim17ROCPRIM_400000_NS6detail17trampoline_kernelINS0_14default_configENS1_38merge_sort_block_merge_config_selectorIiNS0_10empty_typeEEEZZNS1_27merge_sort_block_merge_implIS3_N6thrust23THRUST_200600_302600_NS6detail15normal_iteratorINS9_10device_ptrIiEEEEPS5_m11less_div_10IiEEE10hipError_tT0_T1_T2_jT3_P12ihipStream_tbPNSt15iterator_traitsISJ_E10value_typeEPNSP_ISK_E10value_typeEPSL_NS1_7vsmem_tEENKUlT_SJ_SK_SL_E_clISE_PiSF_SF_EESI_SY_SJ_SK_SL_EUlSY_E0_NS1_11comp_targetILNS1_3genE0ELNS1_11target_archE4294967295ELNS1_3gpuE0ELNS1_3repE0EEENS1_38merge_mergepath_config_static_selectorELNS0_4arch9wavefront6targetE0EEEvSK_,comdat
.Lfunc_end461:
	.size	_ZN7rocprim17ROCPRIM_400000_NS6detail17trampoline_kernelINS0_14default_configENS1_38merge_sort_block_merge_config_selectorIiNS0_10empty_typeEEEZZNS1_27merge_sort_block_merge_implIS3_N6thrust23THRUST_200600_302600_NS6detail15normal_iteratorINS9_10device_ptrIiEEEEPS5_m11less_div_10IiEEE10hipError_tT0_T1_T2_jT3_P12ihipStream_tbPNSt15iterator_traitsISJ_E10value_typeEPNSP_ISK_E10value_typeEPSL_NS1_7vsmem_tEENKUlT_SJ_SK_SL_E_clISE_PiSF_SF_EESI_SY_SJ_SK_SL_EUlSY_E0_NS1_11comp_targetILNS1_3genE0ELNS1_11target_archE4294967295ELNS1_3gpuE0ELNS1_3repE0EEENS1_38merge_mergepath_config_static_selectorELNS0_4arch9wavefront6targetE0EEEvSK_, .Lfunc_end461-_ZN7rocprim17ROCPRIM_400000_NS6detail17trampoline_kernelINS0_14default_configENS1_38merge_sort_block_merge_config_selectorIiNS0_10empty_typeEEEZZNS1_27merge_sort_block_merge_implIS3_N6thrust23THRUST_200600_302600_NS6detail15normal_iteratorINS9_10device_ptrIiEEEEPS5_m11less_div_10IiEEE10hipError_tT0_T1_T2_jT3_P12ihipStream_tbPNSt15iterator_traitsISJ_E10value_typeEPNSP_ISK_E10value_typeEPSL_NS1_7vsmem_tEENKUlT_SJ_SK_SL_E_clISE_PiSF_SF_EESI_SY_SJ_SK_SL_EUlSY_E0_NS1_11comp_targetILNS1_3genE0ELNS1_11target_archE4294967295ELNS1_3gpuE0ELNS1_3repE0EEENS1_38merge_mergepath_config_static_selectorELNS0_4arch9wavefront6targetE0EEEvSK_
                                        ; -- End function
	.set _ZN7rocprim17ROCPRIM_400000_NS6detail17trampoline_kernelINS0_14default_configENS1_38merge_sort_block_merge_config_selectorIiNS0_10empty_typeEEEZZNS1_27merge_sort_block_merge_implIS3_N6thrust23THRUST_200600_302600_NS6detail15normal_iteratorINS9_10device_ptrIiEEEEPS5_m11less_div_10IiEEE10hipError_tT0_T1_T2_jT3_P12ihipStream_tbPNSt15iterator_traitsISJ_E10value_typeEPNSP_ISK_E10value_typeEPSL_NS1_7vsmem_tEENKUlT_SJ_SK_SL_E_clISE_PiSF_SF_EESI_SY_SJ_SK_SL_EUlSY_E0_NS1_11comp_targetILNS1_3genE0ELNS1_11target_archE4294967295ELNS1_3gpuE0ELNS1_3repE0EEENS1_38merge_mergepath_config_static_selectorELNS0_4arch9wavefront6targetE0EEEvSK_.num_vgpr, 0
	.set _ZN7rocprim17ROCPRIM_400000_NS6detail17trampoline_kernelINS0_14default_configENS1_38merge_sort_block_merge_config_selectorIiNS0_10empty_typeEEEZZNS1_27merge_sort_block_merge_implIS3_N6thrust23THRUST_200600_302600_NS6detail15normal_iteratorINS9_10device_ptrIiEEEEPS5_m11less_div_10IiEEE10hipError_tT0_T1_T2_jT3_P12ihipStream_tbPNSt15iterator_traitsISJ_E10value_typeEPNSP_ISK_E10value_typeEPSL_NS1_7vsmem_tEENKUlT_SJ_SK_SL_E_clISE_PiSF_SF_EESI_SY_SJ_SK_SL_EUlSY_E0_NS1_11comp_targetILNS1_3genE0ELNS1_11target_archE4294967295ELNS1_3gpuE0ELNS1_3repE0EEENS1_38merge_mergepath_config_static_selectorELNS0_4arch9wavefront6targetE0EEEvSK_.num_agpr, 0
	.set _ZN7rocprim17ROCPRIM_400000_NS6detail17trampoline_kernelINS0_14default_configENS1_38merge_sort_block_merge_config_selectorIiNS0_10empty_typeEEEZZNS1_27merge_sort_block_merge_implIS3_N6thrust23THRUST_200600_302600_NS6detail15normal_iteratorINS9_10device_ptrIiEEEEPS5_m11less_div_10IiEEE10hipError_tT0_T1_T2_jT3_P12ihipStream_tbPNSt15iterator_traitsISJ_E10value_typeEPNSP_ISK_E10value_typeEPSL_NS1_7vsmem_tEENKUlT_SJ_SK_SL_E_clISE_PiSF_SF_EESI_SY_SJ_SK_SL_EUlSY_E0_NS1_11comp_targetILNS1_3genE0ELNS1_11target_archE4294967295ELNS1_3gpuE0ELNS1_3repE0EEENS1_38merge_mergepath_config_static_selectorELNS0_4arch9wavefront6targetE0EEEvSK_.numbered_sgpr, 0
	.set _ZN7rocprim17ROCPRIM_400000_NS6detail17trampoline_kernelINS0_14default_configENS1_38merge_sort_block_merge_config_selectorIiNS0_10empty_typeEEEZZNS1_27merge_sort_block_merge_implIS3_N6thrust23THRUST_200600_302600_NS6detail15normal_iteratorINS9_10device_ptrIiEEEEPS5_m11less_div_10IiEEE10hipError_tT0_T1_T2_jT3_P12ihipStream_tbPNSt15iterator_traitsISJ_E10value_typeEPNSP_ISK_E10value_typeEPSL_NS1_7vsmem_tEENKUlT_SJ_SK_SL_E_clISE_PiSF_SF_EESI_SY_SJ_SK_SL_EUlSY_E0_NS1_11comp_targetILNS1_3genE0ELNS1_11target_archE4294967295ELNS1_3gpuE0ELNS1_3repE0EEENS1_38merge_mergepath_config_static_selectorELNS0_4arch9wavefront6targetE0EEEvSK_.num_named_barrier, 0
	.set _ZN7rocprim17ROCPRIM_400000_NS6detail17trampoline_kernelINS0_14default_configENS1_38merge_sort_block_merge_config_selectorIiNS0_10empty_typeEEEZZNS1_27merge_sort_block_merge_implIS3_N6thrust23THRUST_200600_302600_NS6detail15normal_iteratorINS9_10device_ptrIiEEEEPS5_m11less_div_10IiEEE10hipError_tT0_T1_T2_jT3_P12ihipStream_tbPNSt15iterator_traitsISJ_E10value_typeEPNSP_ISK_E10value_typeEPSL_NS1_7vsmem_tEENKUlT_SJ_SK_SL_E_clISE_PiSF_SF_EESI_SY_SJ_SK_SL_EUlSY_E0_NS1_11comp_targetILNS1_3genE0ELNS1_11target_archE4294967295ELNS1_3gpuE0ELNS1_3repE0EEENS1_38merge_mergepath_config_static_selectorELNS0_4arch9wavefront6targetE0EEEvSK_.private_seg_size, 0
	.set _ZN7rocprim17ROCPRIM_400000_NS6detail17trampoline_kernelINS0_14default_configENS1_38merge_sort_block_merge_config_selectorIiNS0_10empty_typeEEEZZNS1_27merge_sort_block_merge_implIS3_N6thrust23THRUST_200600_302600_NS6detail15normal_iteratorINS9_10device_ptrIiEEEEPS5_m11less_div_10IiEEE10hipError_tT0_T1_T2_jT3_P12ihipStream_tbPNSt15iterator_traitsISJ_E10value_typeEPNSP_ISK_E10value_typeEPSL_NS1_7vsmem_tEENKUlT_SJ_SK_SL_E_clISE_PiSF_SF_EESI_SY_SJ_SK_SL_EUlSY_E0_NS1_11comp_targetILNS1_3genE0ELNS1_11target_archE4294967295ELNS1_3gpuE0ELNS1_3repE0EEENS1_38merge_mergepath_config_static_selectorELNS0_4arch9wavefront6targetE0EEEvSK_.uses_vcc, 0
	.set _ZN7rocprim17ROCPRIM_400000_NS6detail17trampoline_kernelINS0_14default_configENS1_38merge_sort_block_merge_config_selectorIiNS0_10empty_typeEEEZZNS1_27merge_sort_block_merge_implIS3_N6thrust23THRUST_200600_302600_NS6detail15normal_iteratorINS9_10device_ptrIiEEEEPS5_m11less_div_10IiEEE10hipError_tT0_T1_T2_jT3_P12ihipStream_tbPNSt15iterator_traitsISJ_E10value_typeEPNSP_ISK_E10value_typeEPSL_NS1_7vsmem_tEENKUlT_SJ_SK_SL_E_clISE_PiSF_SF_EESI_SY_SJ_SK_SL_EUlSY_E0_NS1_11comp_targetILNS1_3genE0ELNS1_11target_archE4294967295ELNS1_3gpuE0ELNS1_3repE0EEENS1_38merge_mergepath_config_static_selectorELNS0_4arch9wavefront6targetE0EEEvSK_.uses_flat_scratch, 0
	.set _ZN7rocprim17ROCPRIM_400000_NS6detail17trampoline_kernelINS0_14default_configENS1_38merge_sort_block_merge_config_selectorIiNS0_10empty_typeEEEZZNS1_27merge_sort_block_merge_implIS3_N6thrust23THRUST_200600_302600_NS6detail15normal_iteratorINS9_10device_ptrIiEEEEPS5_m11less_div_10IiEEE10hipError_tT0_T1_T2_jT3_P12ihipStream_tbPNSt15iterator_traitsISJ_E10value_typeEPNSP_ISK_E10value_typeEPSL_NS1_7vsmem_tEENKUlT_SJ_SK_SL_E_clISE_PiSF_SF_EESI_SY_SJ_SK_SL_EUlSY_E0_NS1_11comp_targetILNS1_3genE0ELNS1_11target_archE4294967295ELNS1_3gpuE0ELNS1_3repE0EEENS1_38merge_mergepath_config_static_selectorELNS0_4arch9wavefront6targetE0EEEvSK_.has_dyn_sized_stack, 0
	.set _ZN7rocprim17ROCPRIM_400000_NS6detail17trampoline_kernelINS0_14default_configENS1_38merge_sort_block_merge_config_selectorIiNS0_10empty_typeEEEZZNS1_27merge_sort_block_merge_implIS3_N6thrust23THRUST_200600_302600_NS6detail15normal_iteratorINS9_10device_ptrIiEEEEPS5_m11less_div_10IiEEE10hipError_tT0_T1_T2_jT3_P12ihipStream_tbPNSt15iterator_traitsISJ_E10value_typeEPNSP_ISK_E10value_typeEPSL_NS1_7vsmem_tEENKUlT_SJ_SK_SL_E_clISE_PiSF_SF_EESI_SY_SJ_SK_SL_EUlSY_E0_NS1_11comp_targetILNS1_3genE0ELNS1_11target_archE4294967295ELNS1_3gpuE0ELNS1_3repE0EEENS1_38merge_mergepath_config_static_selectorELNS0_4arch9wavefront6targetE0EEEvSK_.has_recursion, 0
	.set _ZN7rocprim17ROCPRIM_400000_NS6detail17trampoline_kernelINS0_14default_configENS1_38merge_sort_block_merge_config_selectorIiNS0_10empty_typeEEEZZNS1_27merge_sort_block_merge_implIS3_N6thrust23THRUST_200600_302600_NS6detail15normal_iteratorINS9_10device_ptrIiEEEEPS5_m11less_div_10IiEEE10hipError_tT0_T1_T2_jT3_P12ihipStream_tbPNSt15iterator_traitsISJ_E10value_typeEPNSP_ISK_E10value_typeEPSL_NS1_7vsmem_tEENKUlT_SJ_SK_SL_E_clISE_PiSF_SF_EESI_SY_SJ_SK_SL_EUlSY_E0_NS1_11comp_targetILNS1_3genE0ELNS1_11target_archE4294967295ELNS1_3gpuE0ELNS1_3repE0EEENS1_38merge_mergepath_config_static_selectorELNS0_4arch9wavefront6targetE0EEEvSK_.has_indirect_call, 0
	.section	.AMDGPU.csdata,"",@progbits
; Kernel info:
; codeLenInByte = 0
; TotalNumSgprs: 0
; NumVgprs: 0
; ScratchSize: 0
; MemoryBound: 0
; FloatMode: 240
; IeeeMode: 1
; LDSByteSize: 0 bytes/workgroup (compile time only)
; SGPRBlocks: 0
; VGPRBlocks: 0
; NumSGPRsForWavesPerEU: 1
; NumVGPRsForWavesPerEU: 1
; Occupancy: 16
; WaveLimiterHint : 0
; COMPUTE_PGM_RSRC2:SCRATCH_EN: 0
; COMPUTE_PGM_RSRC2:USER_SGPR: 6
; COMPUTE_PGM_RSRC2:TRAP_HANDLER: 0
; COMPUTE_PGM_RSRC2:TGID_X_EN: 1
; COMPUTE_PGM_RSRC2:TGID_Y_EN: 0
; COMPUTE_PGM_RSRC2:TGID_Z_EN: 0
; COMPUTE_PGM_RSRC2:TIDIG_COMP_CNT: 0
	.section	.text._ZN7rocprim17ROCPRIM_400000_NS6detail17trampoline_kernelINS0_14default_configENS1_38merge_sort_block_merge_config_selectorIiNS0_10empty_typeEEEZZNS1_27merge_sort_block_merge_implIS3_N6thrust23THRUST_200600_302600_NS6detail15normal_iteratorINS9_10device_ptrIiEEEEPS5_m11less_div_10IiEEE10hipError_tT0_T1_T2_jT3_P12ihipStream_tbPNSt15iterator_traitsISJ_E10value_typeEPNSP_ISK_E10value_typeEPSL_NS1_7vsmem_tEENKUlT_SJ_SK_SL_E_clISE_PiSF_SF_EESI_SY_SJ_SK_SL_EUlSY_E0_NS1_11comp_targetILNS1_3genE10ELNS1_11target_archE1201ELNS1_3gpuE5ELNS1_3repE0EEENS1_38merge_mergepath_config_static_selectorELNS0_4arch9wavefront6targetE0EEEvSK_,"axG",@progbits,_ZN7rocprim17ROCPRIM_400000_NS6detail17trampoline_kernelINS0_14default_configENS1_38merge_sort_block_merge_config_selectorIiNS0_10empty_typeEEEZZNS1_27merge_sort_block_merge_implIS3_N6thrust23THRUST_200600_302600_NS6detail15normal_iteratorINS9_10device_ptrIiEEEEPS5_m11less_div_10IiEEE10hipError_tT0_T1_T2_jT3_P12ihipStream_tbPNSt15iterator_traitsISJ_E10value_typeEPNSP_ISK_E10value_typeEPSL_NS1_7vsmem_tEENKUlT_SJ_SK_SL_E_clISE_PiSF_SF_EESI_SY_SJ_SK_SL_EUlSY_E0_NS1_11comp_targetILNS1_3genE10ELNS1_11target_archE1201ELNS1_3gpuE5ELNS1_3repE0EEENS1_38merge_mergepath_config_static_selectorELNS0_4arch9wavefront6targetE0EEEvSK_,comdat
	.protected	_ZN7rocprim17ROCPRIM_400000_NS6detail17trampoline_kernelINS0_14default_configENS1_38merge_sort_block_merge_config_selectorIiNS0_10empty_typeEEEZZNS1_27merge_sort_block_merge_implIS3_N6thrust23THRUST_200600_302600_NS6detail15normal_iteratorINS9_10device_ptrIiEEEEPS5_m11less_div_10IiEEE10hipError_tT0_T1_T2_jT3_P12ihipStream_tbPNSt15iterator_traitsISJ_E10value_typeEPNSP_ISK_E10value_typeEPSL_NS1_7vsmem_tEENKUlT_SJ_SK_SL_E_clISE_PiSF_SF_EESI_SY_SJ_SK_SL_EUlSY_E0_NS1_11comp_targetILNS1_3genE10ELNS1_11target_archE1201ELNS1_3gpuE5ELNS1_3repE0EEENS1_38merge_mergepath_config_static_selectorELNS0_4arch9wavefront6targetE0EEEvSK_ ; -- Begin function _ZN7rocprim17ROCPRIM_400000_NS6detail17trampoline_kernelINS0_14default_configENS1_38merge_sort_block_merge_config_selectorIiNS0_10empty_typeEEEZZNS1_27merge_sort_block_merge_implIS3_N6thrust23THRUST_200600_302600_NS6detail15normal_iteratorINS9_10device_ptrIiEEEEPS5_m11less_div_10IiEEE10hipError_tT0_T1_T2_jT3_P12ihipStream_tbPNSt15iterator_traitsISJ_E10value_typeEPNSP_ISK_E10value_typeEPSL_NS1_7vsmem_tEENKUlT_SJ_SK_SL_E_clISE_PiSF_SF_EESI_SY_SJ_SK_SL_EUlSY_E0_NS1_11comp_targetILNS1_3genE10ELNS1_11target_archE1201ELNS1_3gpuE5ELNS1_3repE0EEENS1_38merge_mergepath_config_static_selectorELNS0_4arch9wavefront6targetE0EEEvSK_
	.globl	_ZN7rocprim17ROCPRIM_400000_NS6detail17trampoline_kernelINS0_14default_configENS1_38merge_sort_block_merge_config_selectorIiNS0_10empty_typeEEEZZNS1_27merge_sort_block_merge_implIS3_N6thrust23THRUST_200600_302600_NS6detail15normal_iteratorINS9_10device_ptrIiEEEEPS5_m11less_div_10IiEEE10hipError_tT0_T1_T2_jT3_P12ihipStream_tbPNSt15iterator_traitsISJ_E10value_typeEPNSP_ISK_E10value_typeEPSL_NS1_7vsmem_tEENKUlT_SJ_SK_SL_E_clISE_PiSF_SF_EESI_SY_SJ_SK_SL_EUlSY_E0_NS1_11comp_targetILNS1_3genE10ELNS1_11target_archE1201ELNS1_3gpuE5ELNS1_3repE0EEENS1_38merge_mergepath_config_static_selectorELNS0_4arch9wavefront6targetE0EEEvSK_
	.p2align	8
	.type	_ZN7rocprim17ROCPRIM_400000_NS6detail17trampoline_kernelINS0_14default_configENS1_38merge_sort_block_merge_config_selectorIiNS0_10empty_typeEEEZZNS1_27merge_sort_block_merge_implIS3_N6thrust23THRUST_200600_302600_NS6detail15normal_iteratorINS9_10device_ptrIiEEEEPS5_m11less_div_10IiEEE10hipError_tT0_T1_T2_jT3_P12ihipStream_tbPNSt15iterator_traitsISJ_E10value_typeEPNSP_ISK_E10value_typeEPSL_NS1_7vsmem_tEENKUlT_SJ_SK_SL_E_clISE_PiSF_SF_EESI_SY_SJ_SK_SL_EUlSY_E0_NS1_11comp_targetILNS1_3genE10ELNS1_11target_archE1201ELNS1_3gpuE5ELNS1_3repE0EEENS1_38merge_mergepath_config_static_selectorELNS0_4arch9wavefront6targetE0EEEvSK_,@function
_ZN7rocprim17ROCPRIM_400000_NS6detail17trampoline_kernelINS0_14default_configENS1_38merge_sort_block_merge_config_selectorIiNS0_10empty_typeEEEZZNS1_27merge_sort_block_merge_implIS3_N6thrust23THRUST_200600_302600_NS6detail15normal_iteratorINS9_10device_ptrIiEEEEPS5_m11less_div_10IiEEE10hipError_tT0_T1_T2_jT3_P12ihipStream_tbPNSt15iterator_traitsISJ_E10value_typeEPNSP_ISK_E10value_typeEPSL_NS1_7vsmem_tEENKUlT_SJ_SK_SL_E_clISE_PiSF_SF_EESI_SY_SJ_SK_SL_EUlSY_E0_NS1_11comp_targetILNS1_3genE10ELNS1_11target_archE1201ELNS1_3gpuE5ELNS1_3repE0EEENS1_38merge_mergepath_config_static_selectorELNS0_4arch9wavefront6targetE0EEEvSK_: ; @_ZN7rocprim17ROCPRIM_400000_NS6detail17trampoline_kernelINS0_14default_configENS1_38merge_sort_block_merge_config_selectorIiNS0_10empty_typeEEEZZNS1_27merge_sort_block_merge_implIS3_N6thrust23THRUST_200600_302600_NS6detail15normal_iteratorINS9_10device_ptrIiEEEEPS5_m11less_div_10IiEEE10hipError_tT0_T1_T2_jT3_P12ihipStream_tbPNSt15iterator_traitsISJ_E10value_typeEPNSP_ISK_E10value_typeEPSL_NS1_7vsmem_tEENKUlT_SJ_SK_SL_E_clISE_PiSF_SF_EESI_SY_SJ_SK_SL_EUlSY_E0_NS1_11comp_targetILNS1_3genE10ELNS1_11target_archE1201ELNS1_3gpuE5ELNS1_3repE0EEENS1_38merge_mergepath_config_static_selectorELNS0_4arch9wavefront6targetE0EEEvSK_
; %bb.0:
	.section	.rodata,"a",@progbits
	.p2align	6, 0x0
	.amdhsa_kernel _ZN7rocprim17ROCPRIM_400000_NS6detail17trampoline_kernelINS0_14default_configENS1_38merge_sort_block_merge_config_selectorIiNS0_10empty_typeEEEZZNS1_27merge_sort_block_merge_implIS3_N6thrust23THRUST_200600_302600_NS6detail15normal_iteratorINS9_10device_ptrIiEEEEPS5_m11less_div_10IiEEE10hipError_tT0_T1_T2_jT3_P12ihipStream_tbPNSt15iterator_traitsISJ_E10value_typeEPNSP_ISK_E10value_typeEPSL_NS1_7vsmem_tEENKUlT_SJ_SK_SL_E_clISE_PiSF_SF_EESI_SY_SJ_SK_SL_EUlSY_E0_NS1_11comp_targetILNS1_3genE10ELNS1_11target_archE1201ELNS1_3gpuE5ELNS1_3repE0EEENS1_38merge_mergepath_config_static_selectorELNS0_4arch9wavefront6targetE0EEEvSK_
		.amdhsa_group_segment_fixed_size 0
		.amdhsa_private_segment_fixed_size 0
		.amdhsa_kernarg_size 72
		.amdhsa_user_sgpr_count 6
		.amdhsa_user_sgpr_private_segment_buffer 1
		.amdhsa_user_sgpr_dispatch_ptr 0
		.amdhsa_user_sgpr_queue_ptr 0
		.amdhsa_user_sgpr_kernarg_segment_ptr 1
		.amdhsa_user_sgpr_dispatch_id 0
		.amdhsa_user_sgpr_flat_scratch_init 0
		.amdhsa_user_sgpr_private_segment_size 0
		.amdhsa_wavefront_size32 1
		.amdhsa_uses_dynamic_stack 0
		.amdhsa_system_sgpr_private_segment_wavefront_offset 0
		.amdhsa_system_sgpr_workgroup_id_x 1
		.amdhsa_system_sgpr_workgroup_id_y 0
		.amdhsa_system_sgpr_workgroup_id_z 0
		.amdhsa_system_sgpr_workgroup_info 0
		.amdhsa_system_vgpr_workitem_id 0
		.amdhsa_next_free_vgpr 1
		.amdhsa_next_free_sgpr 1
		.amdhsa_reserve_vcc 0
		.amdhsa_reserve_flat_scratch 0
		.amdhsa_float_round_mode_32 0
		.amdhsa_float_round_mode_16_64 0
		.amdhsa_float_denorm_mode_32 3
		.amdhsa_float_denorm_mode_16_64 3
		.amdhsa_dx10_clamp 1
		.amdhsa_ieee_mode 1
		.amdhsa_fp16_overflow 0
		.amdhsa_workgroup_processor_mode 1
		.amdhsa_memory_ordered 1
		.amdhsa_forward_progress 1
		.amdhsa_shared_vgpr_count 0
		.amdhsa_exception_fp_ieee_invalid_op 0
		.amdhsa_exception_fp_denorm_src 0
		.amdhsa_exception_fp_ieee_div_zero 0
		.amdhsa_exception_fp_ieee_overflow 0
		.amdhsa_exception_fp_ieee_underflow 0
		.amdhsa_exception_fp_ieee_inexact 0
		.amdhsa_exception_int_div_zero 0
	.end_amdhsa_kernel
	.section	.text._ZN7rocprim17ROCPRIM_400000_NS6detail17trampoline_kernelINS0_14default_configENS1_38merge_sort_block_merge_config_selectorIiNS0_10empty_typeEEEZZNS1_27merge_sort_block_merge_implIS3_N6thrust23THRUST_200600_302600_NS6detail15normal_iteratorINS9_10device_ptrIiEEEEPS5_m11less_div_10IiEEE10hipError_tT0_T1_T2_jT3_P12ihipStream_tbPNSt15iterator_traitsISJ_E10value_typeEPNSP_ISK_E10value_typeEPSL_NS1_7vsmem_tEENKUlT_SJ_SK_SL_E_clISE_PiSF_SF_EESI_SY_SJ_SK_SL_EUlSY_E0_NS1_11comp_targetILNS1_3genE10ELNS1_11target_archE1201ELNS1_3gpuE5ELNS1_3repE0EEENS1_38merge_mergepath_config_static_selectorELNS0_4arch9wavefront6targetE0EEEvSK_,"axG",@progbits,_ZN7rocprim17ROCPRIM_400000_NS6detail17trampoline_kernelINS0_14default_configENS1_38merge_sort_block_merge_config_selectorIiNS0_10empty_typeEEEZZNS1_27merge_sort_block_merge_implIS3_N6thrust23THRUST_200600_302600_NS6detail15normal_iteratorINS9_10device_ptrIiEEEEPS5_m11less_div_10IiEEE10hipError_tT0_T1_T2_jT3_P12ihipStream_tbPNSt15iterator_traitsISJ_E10value_typeEPNSP_ISK_E10value_typeEPSL_NS1_7vsmem_tEENKUlT_SJ_SK_SL_E_clISE_PiSF_SF_EESI_SY_SJ_SK_SL_EUlSY_E0_NS1_11comp_targetILNS1_3genE10ELNS1_11target_archE1201ELNS1_3gpuE5ELNS1_3repE0EEENS1_38merge_mergepath_config_static_selectorELNS0_4arch9wavefront6targetE0EEEvSK_,comdat
.Lfunc_end462:
	.size	_ZN7rocprim17ROCPRIM_400000_NS6detail17trampoline_kernelINS0_14default_configENS1_38merge_sort_block_merge_config_selectorIiNS0_10empty_typeEEEZZNS1_27merge_sort_block_merge_implIS3_N6thrust23THRUST_200600_302600_NS6detail15normal_iteratorINS9_10device_ptrIiEEEEPS5_m11less_div_10IiEEE10hipError_tT0_T1_T2_jT3_P12ihipStream_tbPNSt15iterator_traitsISJ_E10value_typeEPNSP_ISK_E10value_typeEPSL_NS1_7vsmem_tEENKUlT_SJ_SK_SL_E_clISE_PiSF_SF_EESI_SY_SJ_SK_SL_EUlSY_E0_NS1_11comp_targetILNS1_3genE10ELNS1_11target_archE1201ELNS1_3gpuE5ELNS1_3repE0EEENS1_38merge_mergepath_config_static_selectorELNS0_4arch9wavefront6targetE0EEEvSK_, .Lfunc_end462-_ZN7rocprim17ROCPRIM_400000_NS6detail17trampoline_kernelINS0_14default_configENS1_38merge_sort_block_merge_config_selectorIiNS0_10empty_typeEEEZZNS1_27merge_sort_block_merge_implIS3_N6thrust23THRUST_200600_302600_NS6detail15normal_iteratorINS9_10device_ptrIiEEEEPS5_m11less_div_10IiEEE10hipError_tT0_T1_T2_jT3_P12ihipStream_tbPNSt15iterator_traitsISJ_E10value_typeEPNSP_ISK_E10value_typeEPSL_NS1_7vsmem_tEENKUlT_SJ_SK_SL_E_clISE_PiSF_SF_EESI_SY_SJ_SK_SL_EUlSY_E0_NS1_11comp_targetILNS1_3genE10ELNS1_11target_archE1201ELNS1_3gpuE5ELNS1_3repE0EEENS1_38merge_mergepath_config_static_selectorELNS0_4arch9wavefront6targetE0EEEvSK_
                                        ; -- End function
	.set _ZN7rocprim17ROCPRIM_400000_NS6detail17trampoline_kernelINS0_14default_configENS1_38merge_sort_block_merge_config_selectorIiNS0_10empty_typeEEEZZNS1_27merge_sort_block_merge_implIS3_N6thrust23THRUST_200600_302600_NS6detail15normal_iteratorINS9_10device_ptrIiEEEEPS5_m11less_div_10IiEEE10hipError_tT0_T1_T2_jT3_P12ihipStream_tbPNSt15iterator_traitsISJ_E10value_typeEPNSP_ISK_E10value_typeEPSL_NS1_7vsmem_tEENKUlT_SJ_SK_SL_E_clISE_PiSF_SF_EESI_SY_SJ_SK_SL_EUlSY_E0_NS1_11comp_targetILNS1_3genE10ELNS1_11target_archE1201ELNS1_3gpuE5ELNS1_3repE0EEENS1_38merge_mergepath_config_static_selectorELNS0_4arch9wavefront6targetE0EEEvSK_.num_vgpr, 0
	.set _ZN7rocprim17ROCPRIM_400000_NS6detail17trampoline_kernelINS0_14default_configENS1_38merge_sort_block_merge_config_selectorIiNS0_10empty_typeEEEZZNS1_27merge_sort_block_merge_implIS3_N6thrust23THRUST_200600_302600_NS6detail15normal_iteratorINS9_10device_ptrIiEEEEPS5_m11less_div_10IiEEE10hipError_tT0_T1_T2_jT3_P12ihipStream_tbPNSt15iterator_traitsISJ_E10value_typeEPNSP_ISK_E10value_typeEPSL_NS1_7vsmem_tEENKUlT_SJ_SK_SL_E_clISE_PiSF_SF_EESI_SY_SJ_SK_SL_EUlSY_E0_NS1_11comp_targetILNS1_3genE10ELNS1_11target_archE1201ELNS1_3gpuE5ELNS1_3repE0EEENS1_38merge_mergepath_config_static_selectorELNS0_4arch9wavefront6targetE0EEEvSK_.num_agpr, 0
	.set _ZN7rocprim17ROCPRIM_400000_NS6detail17trampoline_kernelINS0_14default_configENS1_38merge_sort_block_merge_config_selectorIiNS0_10empty_typeEEEZZNS1_27merge_sort_block_merge_implIS3_N6thrust23THRUST_200600_302600_NS6detail15normal_iteratorINS9_10device_ptrIiEEEEPS5_m11less_div_10IiEEE10hipError_tT0_T1_T2_jT3_P12ihipStream_tbPNSt15iterator_traitsISJ_E10value_typeEPNSP_ISK_E10value_typeEPSL_NS1_7vsmem_tEENKUlT_SJ_SK_SL_E_clISE_PiSF_SF_EESI_SY_SJ_SK_SL_EUlSY_E0_NS1_11comp_targetILNS1_3genE10ELNS1_11target_archE1201ELNS1_3gpuE5ELNS1_3repE0EEENS1_38merge_mergepath_config_static_selectorELNS0_4arch9wavefront6targetE0EEEvSK_.numbered_sgpr, 0
	.set _ZN7rocprim17ROCPRIM_400000_NS6detail17trampoline_kernelINS0_14default_configENS1_38merge_sort_block_merge_config_selectorIiNS0_10empty_typeEEEZZNS1_27merge_sort_block_merge_implIS3_N6thrust23THRUST_200600_302600_NS6detail15normal_iteratorINS9_10device_ptrIiEEEEPS5_m11less_div_10IiEEE10hipError_tT0_T1_T2_jT3_P12ihipStream_tbPNSt15iterator_traitsISJ_E10value_typeEPNSP_ISK_E10value_typeEPSL_NS1_7vsmem_tEENKUlT_SJ_SK_SL_E_clISE_PiSF_SF_EESI_SY_SJ_SK_SL_EUlSY_E0_NS1_11comp_targetILNS1_3genE10ELNS1_11target_archE1201ELNS1_3gpuE5ELNS1_3repE0EEENS1_38merge_mergepath_config_static_selectorELNS0_4arch9wavefront6targetE0EEEvSK_.num_named_barrier, 0
	.set _ZN7rocprim17ROCPRIM_400000_NS6detail17trampoline_kernelINS0_14default_configENS1_38merge_sort_block_merge_config_selectorIiNS0_10empty_typeEEEZZNS1_27merge_sort_block_merge_implIS3_N6thrust23THRUST_200600_302600_NS6detail15normal_iteratorINS9_10device_ptrIiEEEEPS5_m11less_div_10IiEEE10hipError_tT0_T1_T2_jT3_P12ihipStream_tbPNSt15iterator_traitsISJ_E10value_typeEPNSP_ISK_E10value_typeEPSL_NS1_7vsmem_tEENKUlT_SJ_SK_SL_E_clISE_PiSF_SF_EESI_SY_SJ_SK_SL_EUlSY_E0_NS1_11comp_targetILNS1_3genE10ELNS1_11target_archE1201ELNS1_3gpuE5ELNS1_3repE0EEENS1_38merge_mergepath_config_static_selectorELNS0_4arch9wavefront6targetE0EEEvSK_.private_seg_size, 0
	.set _ZN7rocprim17ROCPRIM_400000_NS6detail17trampoline_kernelINS0_14default_configENS1_38merge_sort_block_merge_config_selectorIiNS0_10empty_typeEEEZZNS1_27merge_sort_block_merge_implIS3_N6thrust23THRUST_200600_302600_NS6detail15normal_iteratorINS9_10device_ptrIiEEEEPS5_m11less_div_10IiEEE10hipError_tT0_T1_T2_jT3_P12ihipStream_tbPNSt15iterator_traitsISJ_E10value_typeEPNSP_ISK_E10value_typeEPSL_NS1_7vsmem_tEENKUlT_SJ_SK_SL_E_clISE_PiSF_SF_EESI_SY_SJ_SK_SL_EUlSY_E0_NS1_11comp_targetILNS1_3genE10ELNS1_11target_archE1201ELNS1_3gpuE5ELNS1_3repE0EEENS1_38merge_mergepath_config_static_selectorELNS0_4arch9wavefront6targetE0EEEvSK_.uses_vcc, 0
	.set _ZN7rocprim17ROCPRIM_400000_NS6detail17trampoline_kernelINS0_14default_configENS1_38merge_sort_block_merge_config_selectorIiNS0_10empty_typeEEEZZNS1_27merge_sort_block_merge_implIS3_N6thrust23THRUST_200600_302600_NS6detail15normal_iteratorINS9_10device_ptrIiEEEEPS5_m11less_div_10IiEEE10hipError_tT0_T1_T2_jT3_P12ihipStream_tbPNSt15iterator_traitsISJ_E10value_typeEPNSP_ISK_E10value_typeEPSL_NS1_7vsmem_tEENKUlT_SJ_SK_SL_E_clISE_PiSF_SF_EESI_SY_SJ_SK_SL_EUlSY_E0_NS1_11comp_targetILNS1_3genE10ELNS1_11target_archE1201ELNS1_3gpuE5ELNS1_3repE0EEENS1_38merge_mergepath_config_static_selectorELNS0_4arch9wavefront6targetE0EEEvSK_.uses_flat_scratch, 0
	.set _ZN7rocprim17ROCPRIM_400000_NS6detail17trampoline_kernelINS0_14default_configENS1_38merge_sort_block_merge_config_selectorIiNS0_10empty_typeEEEZZNS1_27merge_sort_block_merge_implIS3_N6thrust23THRUST_200600_302600_NS6detail15normal_iteratorINS9_10device_ptrIiEEEEPS5_m11less_div_10IiEEE10hipError_tT0_T1_T2_jT3_P12ihipStream_tbPNSt15iterator_traitsISJ_E10value_typeEPNSP_ISK_E10value_typeEPSL_NS1_7vsmem_tEENKUlT_SJ_SK_SL_E_clISE_PiSF_SF_EESI_SY_SJ_SK_SL_EUlSY_E0_NS1_11comp_targetILNS1_3genE10ELNS1_11target_archE1201ELNS1_3gpuE5ELNS1_3repE0EEENS1_38merge_mergepath_config_static_selectorELNS0_4arch9wavefront6targetE0EEEvSK_.has_dyn_sized_stack, 0
	.set _ZN7rocprim17ROCPRIM_400000_NS6detail17trampoline_kernelINS0_14default_configENS1_38merge_sort_block_merge_config_selectorIiNS0_10empty_typeEEEZZNS1_27merge_sort_block_merge_implIS3_N6thrust23THRUST_200600_302600_NS6detail15normal_iteratorINS9_10device_ptrIiEEEEPS5_m11less_div_10IiEEE10hipError_tT0_T1_T2_jT3_P12ihipStream_tbPNSt15iterator_traitsISJ_E10value_typeEPNSP_ISK_E10value_typeEPSL_NS1_7vsmem_tEENKUlT_SJ_SK_SL_E_clISE_PiSF_SF_EESI_SY_SJ_SK_SL_EUlSY_E0_NS1_11comp_targetILNS1_3genE10ELNS1_11target_archE1201ELNS1_3gpuE5ELNS1_3repE0EEENS1_38merge_mergepath_config_static_selectorELNS0_4arch9wavefront6targetE0EEEvSK_.has_recursion, 0
	.set _ZN7rocprim17ROCPRIM_400000_NS6detail17trampoline_kernelINS0_14default_configENS1_38merge_sort_block_merge_config_selectorIiNS0_10empty_typeEEEZZNS1_27merge_sort_block_merge_implIS3_N6thrust23THRUST_200600_302600_NS6detail15normal_iteratorINS9_10device_ptrIiEEEEPS5_m11less_div_10IiEEE10hipError_tT0_T1_T2_jT3_P12ihipStream_tbPNSt15iterator_traitsISJ_E10value_typeEPNSP_ISK_E10value_typeEPSL_NS1_7vsmem_tEENKUlT_SJ_SK_SL_E_clISE_PiSF_SF_EESI_SY_SJ_SK_SL_EUlSY_E0_NS1_11comp_targetILNS1_3genE10ELNS1_11target_archE1201ELNS1_3gpuE5ELNS1_3repE0EEENS1_38merge_mergepath_config_static_selectorELNS0_4arch9wavefront6targetE0EEEvSK_.has_indirect_call, 0
	.section	.AMDGPU.csdata,"",@progbits
; Kernel info:
; codeLenInByte = 0
; TotalNumSgprs: 0
; NumVgprs: 0
; ScratchSize: 0
; MemoryBound: 0
; FloatMode: 240
; IeeeMode: 1
; LDSByteSize: 0 bytes/workgroup (compile time only)
; SGPRBlocks: 0
; VGPRBlocks: 0
; NumSGPRsForWavesPerEU: 1
; NumVGPRsForWavesPerEU: 1
; Occupancy: 16
; WaveLimiterHint : 0
; COMPUTE_PGM_RSRC2:SCRATCH_EN: 0
; COMPUTE_PGM_RSRC2:USER_SGPR: 6
; COMPUTE_PGM_RSRC2:TRAP_HANDLER: 0
; COMPUTE_PGM_RSRC2:TGID_X_EN: 1
; COMPUTE_PGM_RSRC2:TGID_Y_EN: 0
; COMPUTE_PGM_RSRC2:TGID_Z_EN: 0
; COMPUTE_PGM_RSRC2:TIDIG_COMP_CNT: 0
	.section	.text._ZN7rocprim17ROCPRIM_400000_NS6detail17trampoline_kernelINS0_14default_configENS1_38merge_sort_block_merge_config_selectorIiNS0_10empty_typeEEEZZNS1_27merge_sort_block_merge_implIS3_N6thrust23THRUST_200600_302600_NS6detail15normal_iteratorINS9_10device_ptrIiEEEEPS5_m11less_div_10IiEEE10hipError_tT0_T1_T2_jT3_P12ihipStream_tbPNSt15iterator_traitsISJ_E10value_typeEPNSP_ISK_E10value_typeEPSL_NS1_7vsmem_tEENKUlT_SJ_SK_SL_E_clISE_PiSF_SF_EESI_SY_SJ_SK_SL_EUlSY_E0_NS1_11comp_targetILNS1_3genE5ELNS1_11target_archE942ELNS1_3gpuE9ELNS1_3repE0EEENS1_38merge_mergepath_config_static_selectorELNS0_4arch9wavefront6targetE0EEEvSK_,"axG",@progbits,_ZN7rocprim17ROCPRIM_400000_NS6detail17trampoline_kernelINS0_14default_configENS1_38merge_sort_block_merge_config_selectorIiNS0_10empty_typeEEEZZNS1_27merge_sort_block_merge_implIS3_N6thrust23THRUST_200600_302600_NS6detail15normal_iteratorINS9_10device_ptrIiEEEEPS5_m11less_div_10IiEEE10hipError_tT0_T1_T2_jT3_P12ihipStream_tbPNSt15iterator_traitsISJ_E10value_typeEPNSP_ISK_E10value_typeEPSL_NS1_7vsmem_tEENKUlT_SJ_SK_SL_E_clISE_PiSF_SF_EESI_SY_SJ_SK_SL_EUlSY_E0_NS1_11comp_targetILNS1_3genE5ELNS1_11target_archE942ELNS1_3gpuE9ELNS1_3repE0EEENS1_38merge_mergepath_config_static_selectorELNS0_4arch9wavefront6targetE0EEEvSK_,comdat
	.protected	_ZN7rocprim17ROCPRIM_400000_NS6detail17trampoline_kernelINS0_14default_configENS1_38merge_sort_block_merge_config_selectorIiNS0_10empty_typeEEEZZNS1_27merge_sort_block_merge_implIS3_N6thrust23THRUST_200600_302600_NS6detail15normal_iteratorINS9_10device_ptrIiEEEEPS5_m11less_div_10IiEEE10hipError_tT0_T1_T2_jT3_P12ihipStream_tbPNSt15iterator_traitsISJ_E10value_typeEPNSP_ISK_E10value_typeEPSL_NS1_7vsmem_tEENKUlT_SJ_SK_SL_E_clISE_PiSF_SF_EESI_SY_SJ_SK_SL_EUlSY_E0_NS1_11comp_targetILNS1_3genE5ELNS1_11target_archE942ELNS1_3gpuE9ELNS1_3repE0EEENS1_38merge_mergepath_config_static_selectorELNS0_4arch9wavefront6targetE0EEEvSK_ ; -- Begin function _ZN7rocprim17ROCPRIM_400000_NS6detail17trampoline_kernelINS0_14default_configENS1_38merge_sort_block_merge_config_selectorIiNS0_10empty_typeEEEZZNS1_27merge_sort_block_merge_implIS3_N6thrust23THRUST_200600_302600_NS6detail15normal_iteratorINS9_10device_ptrIiEEEEPS5_m11less_div_10IiEEE10hipError_tT0_T1_T2_jT3_P12ihipStream_tbPNSt15iterator_traitsISJ_E10value_typeEPNSP_ISK_E10value_typeEPSL_NS1_7vsmem_tEENKUlT_SJ_SK_SL_E_clISE_PiSF_SF_EESI_SY_SJ_SK_SL_EUlSY_E0_NS1_11comp_targetILNS1_3genE5ELNS1_11target_archE942ELNS1_3gpuE9ELNS1_3repE0EEENS1_38merge_mergepath_config_static_selectorELNS0_4arch9wavefront6targetE0EEEvSK_
	.globl	_ZN7rocprim17ROCPRIM_400000_NS6detail17trampoline_kernelINS0_14default_configENS1_38merge_sort_block_merge_config_selectorIiNS0_10empty_typeEEEZZNS1_27merge_sort_block_merge_implIS3_N6thrust23THRUST_200600_302600_NS6detail15normal_iteratorINS9_10device_ptrIiEEEEPS5_m11less_div_10IiEEE10hipError_tT0_T1_T2_jT3_P12ihipStream_tbPNSt15iterator_traitsISJ_E10value_typeEPNSP_ISK_E10value_typeEPSL_NS1_7vsmem_tEENKUlT_SJ_SK_SL_E_clISE_PiSF_SF_EESI_SY_SJ_SK_SL_EUlSY_E0_NS1_11comp_targetILNS1_3genE5ELNS1_11target_archE942ELNS1_3gpuE9ELNS1_3repE0EEENS1_38merge_mergepath_config_static_selectorELNS0_4arch9wavefront6targetE0EEEvSK_
	.p2align	8
	.type	_ZN7rocprim17ROCPRIM_400000_NS6detail17trampoline_kernelINS0_14default_configENS1_38merge_sort_block_merge_config_selectorIiNS0_10empty_typeEEEZZNS1_27merge_sort_block_merge_implIS3_N6thrust23THRUST_200600_302600_NS6detail15normal_iteratorINS9_10device_ptrIiEEEEPS5_m11less_div_10IiEEE10hipError_tT0_T1_T2_jT3_P12ihipStream_tbPNSt15iterator_traitsISJ_E10value_typeEPNSP_ISK_E10value_typeEPSL_NS1_7vsmem_tEENKUlT_SJ_SK_SL_E_clISE_PiSF_SF_EESI_SY_SJ_SK_SL_EUlSY_E0_NS1_11comp_targetILNS1_3genE5ELNS1_11target_archE942ELNS1_3gpuE9ELNS1_3repE0EEENS1_38merge_mergepath_config_static_selectorELNS0_4arch9wavefront6targetE0EEEvSK_,@function
_ZN7rocprim17ROCPRIM_400000_NS6detail17trampoline_kernelINS0_14default_configENS1_38merge_sort_block_merge_config_selectorIiNS0_10empty_typeEEEZZNS1_27merge_sort_block_merge_implIS3_N6thrust23THRUST_200600_302600_NS6detail15normal_iteratorINS9_10device_ptrIiEEEEPS5_m11less_div_10IiEEE10hipError_tT0_T1_T2_jT3_P12ihipStream_tbPNSt15iterator_traitsISJ_E10value_typeEPNSP_ISK_E10value_typeEPSL_NS1_7vsmem_tEENKUlT_SJ_SK_SL_E_clISE_PiSF_SF_EESI_SY_SJ_SK_SL_EUlSY_E0_NS1_11comp_targetILNS1_3genE5ELNS1_11target_archE942ELNS1_3gpuE9ELNS1_3repE0EEENS1_38merge_mergepath_config_static_selectorELNS0_4arch9wavefront6targetE0EEEvSK_: ; @_ZN7rocprim17ROCPRIM_400000_NS6detail17trampoline_kernelINS0_14default_configENS1_38merge_sort_block_merge_config_selectorIiNS0_10empty_typeEEEZZNS1_27merge_sort_block_merge_implIS3_N6thrust23THRUST_200600_302600_NS6detail15normal_iteratorINS9_10device_ptrIiEEEEPS5_m11less_div_10IiEEE10hipError_tT0_T1_T2_jT3_P12ihipStream_tbPNSt15iterator_traitsISJ_E10value_typeEPNSP_ISK_E10value_typeEPSL_NS1_7vsmem_tEENKUlT_SJ_SK_SL_E_clISE_PiSF_SF_EESI_SY_SJ_SK_SL_EUlSY_E0_NS1_11comp_targetILNS1_3genE5ELNS1_11target_archE942ELNS1_3gpuE9ELNS1_3repE0EEENS1_38merge_mergepath_config_static_selectorELNS0_4arch9wavefront6targetE0EEEvSK_
; %bb.0:
	.section	.rodata,"a",@progbits
	.p2align	6, 0x0
	.amdhsa_kernel _ZN7rocprim17ROCPRIM_400000_NS6detail17trampoline_kernelINS0_14default_configENS1_38merge_sort_block_merge_config_selectorIiNS0_10empty_typeEEEZZNS1_27merge_sort_block_merge_implIS3_N6thrust23THRUST_200600_302600_NS6detail15normal_iteratorINS9_10device_ptrIiEEEEPS5_m11less_div_10IiEEE10hipError_tT0_T1_T2_jT3_P12ihipStream_tbPNSt15iterator_traitsISJ_E10value_typeEPNSP_ISK_E10value_typeEPSL_NS1_7vsmem_tEENKUlT_SJ_SK_SL_E_clISE_PiSF_SF_EESI_SY_SJ_SK_SL_EUlSY_E0_NS1_11comp_targetILNS1_3genE5ELNS1_11target_archE942ELNS1_3gpuE9ELNS1_3repE0EEENS1_38merge_mergepath_config_static_selectorELNS0_4arch9wavefront6targetE0EEEvSK_
		.amdhsa_group_segment_fixed_size 0
		.amdhsa_private_segment_fixed_size 0
		.amdhsa_kernarg_size 72
		.amdhsa_user_sgpr_count 6
		.amdhsa_user_sgpr_private_segment_buffer 1
		.amdhsa_user_sgpr_dispatch_ptr 0
		.amdhsa_user_sgpr_queue_ptr 0
		.amdhsa_user_sgpr_kernarg_segment_ptr 1
		.amdhsa_user_sgpr_dispatch_id 0
		.amdhsa_user_sgpr_flat_scratch_init 0
		.amdhsa_user_sgpr_private_segment_size 0
		.amdhsa_wavefront_size32 1
		.amdhsa_uses_dynamic_stack 0
		.amdhsa_system_sgpr_private_segment_wavefront_offset 0
		.amdhsa_system_sgpr_workgroup_id_x 1
		.amdhsa_system_sgpr_workgroup_id_y 0
		.amdhsa_system_sgpr_workgroup_id_z 0
		.amdhsa_system_sgpr_workgroup_info 0
		.amdhsa_system_vgpr_workitem_id 0
		.amdhsa_next_free_vgpr 1
		.amdhsa_next_free_sgpr 1
		.amdhsa_reserve_vcc 0
		.amdhsa_reserve_flat_scratch 0
		.amdhsa_float_round_mode_32 0
		.amdhsa_float_round_mode_16_64 0
		.amdhsa_float_denorm_mode_32 3
		.amdhsa_float_denorm_mode_16_64 3
		.amdhsa_dx10_clamp 1
		.amdhsa_ieee_mode 1
		.amdhsa_fp16_overflow 0
		.amdhsa_workgroup_processor_mode 1
		.amdhsa_memory_ordered 1
		.amdhsa_forward_progress 1
		.amdhsa_shared_vgpr_count 0
		.amdhsa_exception_fp_ieee_invalid_op 0
		.amdhsa_exception_fp_denorm_src 0
		.amdhsa_exception_fp_ieee_div_zero 0
		.amdhsa_exception_fp_ieee_overflow 0
		.amdhsa_exception_fp_ieee_underflow 0
		.amdhsa_exception_fp_ieee_inexact 0
		.amdhsa_exception_int_div_zero 0
	.end_amdhsa_kernel
	.section	.text._ZN7rocprim17ROCPRIM_400000_NS6detail17trampoline_kernelINS0_14default_configENS1_38merge_sort_block_merge_config_selectorIiNS0_10empty_typeEEEZZNS1_27merge_sort_block_merge_implIS3_N6thrust23THRUST_200600_302600_NS6detail15normal_iteratorINS9_10device_ptrIiEEEEPS5_m11less_div_10IiEEE10hipError_tT0_T1_T2_jT3_P12ihipStream_tbPNSt15iterator_traitsISJ_E10value_typeEPNSP_ISK_E10value_typeEPSL_NS1_7vsmem_tEENKUlT_SJ_SK_SL_E_clISE_PiSF_SF_EESI_SY_SJ_SK_SL_EUlSY_E0_NS1_11comp_targetILNS1_3genE5ELNS1_11target_archE942ELNS1_3gpuE9ELNS1_3repE0EEENS1_38merge_mergepath_config_static_selectorELNS0_4arch9wavefront6targetE0EEEvSK_,"axG",@progbits,_ZN7rocprim17ROCPRIM_400000_NS6detail17trampoline_kernelINS0_14default_configENS1_38merge_sort_block_merge_config_selectorIiNS0_10empty_typeEEEZZNS1_27merge_sort_block_merge_implIS3_N6thrust23THRUST_200600_302600_NS6detail15normal_iteratorINS9_10device_ptrIiEEEEPS5_m11less_div_10IiEEE10hipError_tT0_T1_T2_jT3_P12ihipStream_tbPNSt15iterator_traitsISJ_E10value_typeEPNSP_ISK_E10value_typeEPSL_NS1_7vsmem_tEENKUlT_SJ_SK_SL_E_clISE_PiSF_SF_EESI_SY_SJ_SK_SL_EUlSY_E0_NS1_11comp_targetILNS1_3genE5ELNS1_11target_archE942ELNS1_3gpuE9ELNS1_3repE0EEENS1_38merge_mergepath_config_static_selectorELNS0_4arch9wavefront6targetE0EEEvSK_,comdat
.Lfunc_end463:
	.size	_ZN7rocprim17ROCPRIM_400000_NS6detail17trampoline_kernelINS0_14default_configENS1_38merge_sort_block_merge_config_selectorIiNS0_10empty_typeEEEZZNS1_27merge_sort_block_merge_implIS3_N6thrust23THRUST_200600_302600_NS6detail15normal_iteratorINS9_10device_ptrIiEEEEPS5_m11less_div_10IiEEE10hipError_tT0_T1_T2_jT3_P12ihipStream_tbPNSt15iterator_traitsISJ_E10value_typeEPNSP_ISK_E10value_typeEPSL_NS1_7vsmem_tEENKUlT_SJ_SK_SL_E_clISE_PiSF_SF_EESI_SY_SJ_SK_SL_EUlSY_E0_NS1_11comp_targetILNS1_3genE5ELNS1_11target_archE942ELNS1_3gpuE9ELNS1_3repE0EEENS1_38merge_mergepath_config_static_selectorELNS0_4arch9wavefront6targetE0EEEvSK_, .Lfunc_end463-_ZN7rocprim17ROCPRIM_400000_NS6detail17trampoline_kernelINS0_14default_configENS1_38merge_sort_block_merge_config_selectorIiNS0_10empty_typeEEEZZNS1_27merge_sort_block_merge_implIS3_N6thrust23THRUST_200600_302600_NS6detail15normal_iteratorINS9_10device_ptrIiEEEEPS5_m11less_div_10IiEEE10hipError_tT0_T1_T2_jT3_P12ihipStream_tbPNSt15iterator_traitsISJ_E10value_typeEPNSP_ISK_E10value_typeEPSL_NS1_7vsmem_tEENKUlT_SJ_SK_SL_E_clISE_PiSF_SF_EESI_SY_SJ_SK_SL_EUlSY_E0_NS1_11comp_targetILNS1_3genE5ELNS1_11target_archE942ELNS1_3gpuE9ELNS1_3repE0EEENS1_38merge_mergepath_config_static_selectorELNS0_4arch9wavefront6targetE0EEEvSK_
                                        ; -- End function
	.set _ZN7rocprim17ROCPRIM_400000_NS6detail17trampoline_kernelINS0_14default_configENS1_38merge_sort_block_merge_config_selectorIiNS0_10empty_typeEEEZZNS1_27merge_sort_block_merge_implIS3_N6thrust23THRUST_200600_302600_NS6detail15normal_iteratorINS9_10device_ptrIiEEEEPS5_m11less_div_10IiEEE10hipError_tT0_T1_T2_jT3_P12ihipStream_tbPNSt15iterator_traitsISJ_E10value_typeEPNSP_ISK_E10value_typeEPSL_NS1_7vsmem_tEENKUlT_SJ_SK_SL_E_clISE_PiSF_SF_EESI_SY_SJ_SK_SL_EUlSY_E0_NS1_11comp_targetILNS1_3genE5ELNS1_11target_archE942ELNS1_3gpuE9ELNS1_3repE0EEENS1_38merge_mergepath_config_static_selectorELNS0_4arch9wavefront6targetE0EEEvSK_.num_vgpr, 0
	.set _ZN7rocprim17ROCPRIM_400000_NS6detail17trampoline_kernelINS0_14default_configENS1_38merge_sort_block_merge_config_selectorIiNS0_10empty_typeEEEZZNS1_27merge_sort_block_merge_implIS3_N6thrust23THRUST_200600_302600_NS6detail15normal_iteratorINS9_10device_ptrIiEEEEPS5_m11less_div_10IiEEE10hipError_tT0_T1_T2_jT3_P12ihipStream_tbPNSt15iterator_traitsISJ_E10value_typeEPNSP_ISK_E10value_typeEPSL_NS1_7vsmem_tEENKUlT_SJ_SK_SL_E_clISE_PiSF_SF_EESI_SY_SJ_SK_SL_EUlSY_E0_NS1_11comp_targetILNS1_3genE5ELNS1_11target_archE942ELNS1_3gpuE9ELNS1_3repE0EEENS1_38merge_mergepath_config_static_selectorELNS0_4arch9wavefront6targetE0EEEvSK_.num_agpr, 0
	.set _ZN7rocprim17ROCPRIM_400000_NS6detail17trampoline_kernelINS0_14default_configENS1_38merge_sort_block_merge_config_selectorIiNS0_10empty_typeEEEZZNS1_27merge_sort_block_merge_implIS3_N6thrust23THRUST_200600_302600_NS6detail15normal_iteratorINS9_10device_ptrIiEEEEPS5_m11less_div_10IiEEE10hipError_tT0_T1_T2_jT3_P12ihipStream_tbPNSt15iterator_traitsISJ_E10value_typeEPNSP_ISK_E10value_typeEPSL_NS1_7vsmem_tEENKUlT_SJ_SK_SL_E_clISE_PiSF_SF_EESI_SY_SJ_SK_SL_EUlSY_E0_NS1_11comp_targetILNS1_3genE5ELNS1_11target_archE942ELNS1_3gpuE9ELNS1_3repE0EEENS1_38merge_mergepath_config_static_selectorELNS0_4arch9wavefront6targetE0EEEvSK_.numbered_sgpr, 0
	.set _ZN7rocprim17ROCPRIM_400000_NS6detail17trampoline_kernelINS0_14default_configENS1_38merge_sort_block_merge_config_selectorIiNS0_10empty_typeEEEZZNS1_27merge_sort_block_merge_implIS3_N6thrust23THRUST_200600_302600_NS6detail15normal_iteratorINS9_10device_ptrIiEEEEPS5_m11less_div_10IiEEE10hipError_tT0_T1_T2_jT3_P12ihipStream_tbPNSt15iterator_traitsISJ_E10value_typeEPNSP_ISK_E10value_typeEPSL_NS1_7vsmem_tEENKUlT_SJ_SK_SL_E_clISE_PiSF_SF_EESI_SY_SJ_SK_SL_EUlSY_E0_NS1_11comp_targetILNS1_3genE5ELNS1_11target_archE942ELNS1_3gpuE9ELNS1_3repE0EEENS1_38merge_mergepath_config_static_selectorELNS0_4arch9wavefront6targetE0EEEvSK_.num_named_barrier, 0
	.set _ZN7rocprim17ROCPRIM_400000_NS6detail17trampoline_kernelINS0_14default_configENS1_38merge_sort_block_merge_config_selectorIiNS0_10empty_typeEEEZZNS1_27merge_sort_block_merge_implIS3_N6thrust23THRUST_200600_302600_NS6detail15normal_iteratorINS9_10device_ptrIiEEEEPS5_m11less_div_10IiEEE10hipError_tT0_T1_T2_jT3_P12ihipStream_tbPNSt15iterator_traitsISJ_E10value_typeEPNSP_ISK_E10value_typeEPSL_NS1_7vsmem_tEENKUlT_SJ_SK_SL_E_clISE_PiSF_SF_EESI_SY_SJ_SK_SL_EUlSY_E0_NS1_11comp_targetILNS1_3genE5ELNS1_11target_archE942ELNS1_3gpuE9ELNS1_3repE0EEENS1_38merge_mergepath_config_static_selectorELNS0_4arch9wavefront6targetE0EEEvSK_.private_seg_size, 0
	.set _ZN7rocprim17ROCPRIM_400000_NS6detail17trampoline_kernelINS0_14default_configENS1_38merge_sort_block_merge_config_selectorIiNS0_10empty_typeEEEZZNS1_27merge_sort_block_merge_implIS3_N6thrust23THRUST_200600_302600_NS6detail15normal_iteratorINS9_10device_ptrIiEEEEPS5_m11less_div_10IiEEE10hipError_tT0_T1_T2_jT3_P12ihipStream_tbPNSt15iterator_traitsISJ_E10value_typeEPNSP_ISK_E10value_typeEPSL_NS1_7vsmem_tEENKUlT_SJ_SK_SL_E_clISE_PiSF_SF_EESI_SY_SJ_SK_SL_EUlSY_E0_NS1_11comp_targetILNS1_3genE5ELNS1_11target_archE942ELNS1_3gpuE9ELNS1_3repE0EEENS1_38merge_mergepath_config_static_selectorELNS0_4arch9wavefront6targetE0EEEvSK_.uses_vcc, 0
	.set _ZN7rocprim17ROCPRIM_400000_NS6detail17trampoline_kernelINS0_14default_configENS1_38merge_sort_block_merge_config_selectorIiNS0_10empty_typeEEEZZNS1_27merge_sort_block_merge_implIS3_N6thrust23THRUST_200600_302600_NS6detail15normal_iteratorINS9_10device_ptrIiEEEEPS5_m11less_div_10IiEEE10hipError_tT0_T1_T2_jT3_P12ihipStream_tbPNSt15iterator_traitsISJ_E10value_typeEPNSP_ISK_E10value_typeEPSL_NS1_7vsmem_tEENKUlT_SJ_SK_SL_E_clISE_PiSF_SF_EESI_SY_SJ_SK_SL_EUlSY_E0_NS1_11comp_targetILNS1_3genE5ELNS1_11target_archE942ELNS1_3gpuE9ELNS1_3repE0EEENS1_38merge_mergepath_config_static_selectorELNS0_4arch9wavefront6targetE0EEEvSK_.uses_flat_scratch, 0
	.set _ZN7rocprim17ROCPRIM_400000_NS6detail17trampoline_kernelINS0_14default_configENS1_38merge_sort_block_merge_config_selectorIiNS0_10empty_typeEEEZZNS1_27merge_sort_block_merge_implIS3_N6thrust23THRUST_200600_302600_NS6detail15normal_iteratorINS9_10device_ptrIiEEEEPS5_m11less_div_10IiEEE10hipError_tT0_T1_T2_jT3_P12ihipStream_tbPNSt15iterator_traitsISJ_E10value_typeEPNSP_ISK_E10value_typeEPSL_NS1_7vsmem_tEENKUlT_SJ_SK_SL_E_clISE_PiSF_SF_EESI_SY_SJ_SK_SL_EUlSY_E0_NS1_11comp_targetILNS1_3genE5ELNS1_11target_archE942ELNS1_3gpuE9ELNS1_3repE0EEENS1_38merge_mergepath_config_static_selectorELNS0_4arch9wavefront6targetE0EEEvSK_.has_dyn_sized_stack, 0
	.set _ZN7rocprim17ROCPRIM_400000_NS6detail17trampoline_kernelINS0_14default_configENS1_38merge_sort_block_merge_config_selectorIiNS0_10empty_typeEEEZZNS1_27merge_sort_block_merge_implIS3_N6thrust23THRUST_200600_302600_NS6detail15normal_iteratorINS9_10device_ptrIiEEEEPS5_m11less_div_10IiEEE10hipError_tT0_T1_T2_jT3_P12ihipStream_tbPNSt15iterator_traitsISJ_E10value_typeEPNSP_ISK_E10value_typeEPSL_NS1_7vsmem_tEENKUlT_SJ_SK_SL_E_clISE_PiSF_SF_EESI_SY_SJ_SK_SL_EUlSY_E0_NS1_11comp_targetILNS1_3genE5ELNS1_11target_archE942ELNS1_3gpuE9ELNS1_3repE0EEENS1_38merge_mergepath_config_static_selectorELNS0_4arch9wavefront6targetE0EEEvSK_.has_recursion, 0
	.set _ZN7rocprim17ROCPRIM_400000_NS6detail17trampoline_kernelINS0_14default_configENS1_38merge_sort_block_merge_config_selectorIiNS0_10empty_typeEEEZZNS1_27merge_sort_block_merge_implIS3_N6thrust23THRUST_200600_302600_NS6detail15normal_iteratorINS9_10device_ptrIiEEEEPS5_m11less_div_10IiEEE10hipError_tT0_T1_T2_jT3_P12ihipStream_tbPNSt15iterator_traitsISJ_E10value_typeEPNSP_ISK_E10value_typeEPSL_NS1_7vsmem_tEENKUlT_SJ_SK_SL_E_clISE_PiSF_SF_EESI_SY_SJ_SK_SL_EUlSY_E0_NS1_11comp_targetILNS1_3genE5ELNS1_11target_archE942ELNS1_3gpuE9ELNS1_3repE0EEENS1_38merge_mergepath_config_static_selectorELNS0_4arch9wavefront6targetE0EEEvSK_.has_indirect_call, 0
	.section	.AMDGPU.csdata,"",@progbits
; Kernel info:
; codeLenInByte = 0
; TotalNumSgprs: 0
; NumVgprs: 0
; ScratchSize: 0
; MemoryBound: 0
; FloatMode: 240
; IeeeMode: 1
; LDSByteSize: 0 bytes/workgroup (compile time only)
; SGPRBlocks: 0
; VGPRBlocks: 0
; NumSGPRsForWavesPerEU: 1
; NumVGPRsForWavesPerEU: 1
; Occupancy: 16
; WaveLimiterHint : 0
; COMPUTE_PGM_RSRC2:SCRATCH_EN: 0
; COMPUTE_PGM_RSRC2:USER_SGPR: 6
; COMPUTE_PGM_RSRC2:TRAP_HANDLER: 0
; COMPUTE_PGM_RSRC2:TGID_X_EN: 1
; COMPUTE_PGM_RSRC2:TGID_Y_EN: 0
; COMPUTE_PGM_RSRC2:TGID_Z_EN: 0
; COMPUTE_PGM_RSRC2:TIDIG_COMP_CNT: 0
	.section	.text._ZN7rocprim17ROCPRIM_400000_NS6detail17trampoline_kernelINS0_14default_configENS1_38merge_sort_block_merge_config_selectorIiNS0_10empty_typeEEEZZNS1_27merge_sort_block_merge_implIS3_N6thrust23THRUST_200600_302600_NS6detail15normal_iteratorINS9_10device_ptrIiEEEEPS5_m11less_div_10IiEEE10hipError_tT0_T1_T2_jT3_P12ihipStream_tbPNSt15iterator_traitsISJ_E10value_typeEPNSP_ISK_E10value_typeEPSL_NS1_7vsmem_tEENKUlT_SJ_SK_SL_E_clISE_PiSF_SF_EESI_SY_SJ_SK_SL_EUlSY_E0_NS1_11comp_targetILNS1_3genE4ELNS1_11target_archE910ELNS1_3gpuE8ELNS1_3repE0EEENS1_38merge_mergepath_config_static_selectorELNS0_4arch9wavefront6targetE0EEEvSK_,"axG",@progbits,_ZN7rocprim17ROCPRIM_400000_NS6detail17trampoline_kernelINS0_14default_configENS1_38merge_sort_block_merge_config_selectorIiNS0_10empty_typeEEEZZNS1_27merge_sort_block_merge_implIS3_N6thrust23THRUST_200600_302600_NS6detail15normal_iteratorINS9_10device_ptrIiEEEEPS5_m11less_div_10IiEEE10hipError_tT0_T1_T2_jT3_P12ihipStream_tbPNSt15iterator_traitsISJ_E10value_typeEPNSP_ISK_E10value_typeEPSL_NS1_7vsmem_tEENKUlT_SJ_SK_SL_E_clISE_PiSF_SF_EESI_SY_SJ_SK_SL_EUlSY_E0_NS1_11comp_targetILNS1_3genE4ELNS1_11target_archE910ELNS1_3gpuE8ELNS1_3repE0EEENS1_38merge_mergepath_config_static_selectorELNS0_4arch9wavefront6targetE0EEEvSK_,comdat
	.protected	_ZN7rocprim17ROCPRIM_400000_NS6detail17trampoline_kernelINS0_14default_configENS1_38merge_sort_block_merge_config_selectorIiNS0_10empty_typeEEEZZNS1_27merge_sort_block_merge_implIS3_N6thrust23THRUST_200600_302600_NS6detail15normal_iteratorINS9_10device_ptrIiEEEEPS5_m11less_div_10IiEEE10hipError_tT0_T1_T2_jT3_P12ihipStream_tbPNSt15iterator_traitsISJ_E10value_typeEPNSP_ISK_E10value_typeEPSL_NS1_7vsmem_tEENKUlT_SJ_SK_SL_E_clISE_PiSF_SF_EESI_SY_SJ_SK_SL_EUlSY_E0_NS1_11comp_targetILNS1_3genE4ELNS1_11target_archE910ELNS1_3gpuE8ELNS1_3repE0EEENS1_38merge_mergepath_config_static_selectorELNS0_4arch9wavefront6targetE0EEEvSK_ ; -- Begin function _ZN7rocprim17ROCPRIM_400000_NS6detail17trampoline_kernelINS0_14default_configENS1_38merge_sort_block_merge_config_selectorIiNS0_10empty_typeEEEZZNS1_27merge_sort_block_merge_implIS3_N6thrust23THRUST_200600_302600_NS6detail15normal_iteratorINS9_10device_ptrIiEEEEPS5_m11less_div_10IiEEE10hipError_tT0_T1_T2_jT3_P12ihipStream_tbPNSt15iterator_traitsISJ_E10value_typeEPNSP_ISK_E10value_typeEPSL_NS1_7vsmem_tEENKUlT_SJ_SK_SL_E_clISE_PiSF_SF_EESI_SY_SJ_SK_SL_EUlSY_E0_NS1_11comp_targetILNS1_3genE4ELNS1_11target_archE910ELNS1_3gpuE8ELNS1_3repE0EEENS1_38merge_mergepath_config_static_selectorELNS0_4arch9wavefront6targetE0EEEvSK_
	.globl	_ZN7rocprim17ROCPRIM_400000_NS6detail17trampoline_kernelINS0_14default_configENS1_38merge_sort_block_merge_config_selectorIiNS0_10empty_typeEEEZZNS1_27merge_sort_block_merge_implIS3_N6thrust23THRUST_200600_302600_NS6detail15normal_iteratorINS9_10device_ptrIiEEEEPS5_m11less_div_10IiEEE10hipError_tT0_T1_T2_jT3_P12ihipStream_tbPNSt15iterator_traitsISJ_E10value_typeEPNSP_ISK_E10value_typeEPSL_NS1_7vsmem_tEENKUlT_SJ_SK_SL_E_clISE_PiSF_SF_EESI_SY_SJ_SK_SL_EUlSY_E0_NS1_11comp_targetILNS1_3genE4ELNS1_11target_archE910ELNS1_3gpuE8ELNS1_3repE0EEENS1_38merge_mergepath_config_static_selectorELNS0_4arch9wavefront6targetE0EEEvSK_
	.p2align	8
	.type	_ZN7rocprim17ROCPRIM_400000_NS6detail17trampoline_kernelINS0_14default_configENS1_38merge_sort_block_merge_config_selectorIiNS0_10empty_typeEEEZZNS1_27merge_sort_block_merge_implIS3_N6thrust23THRUST_200600_302600_NS6detail15normal_iteratorINS9_10device_ptrIiEEEEPS5_m11less_div_10IiEEE10hipError_tT0_T1_T2_jT3_P12ihipStream_tbPNSt15iterator_traitsISJ_E10value_typeEPNSP_ISK_E10value_typeEPSL_NS1_7vsmem_tEENKUlT_SJ_SK_SL_E_clISE_PiSF_SF_EESI_SY_SJ_SK_SL_EUlSY_E0_NS1_11comp_targetILNS1_3genE4ELNS1_11target_archE910ELNS1_3gpuE8ELNS1_3repE0EEENS1_38merge_mergepath_config_static_selectorELNS0_4arch9wavefront6targetE0EEEvSK_,@function
_ZN7rocprim17ROCPRIM_400000_NS6detail17trampoline_kernelINS0_14default_configENS1_38merge_sort_block_merge_config_selectorIiNS0_10empty_typeEEEZZNS1_27merge_sort_block_merge_implIS3_N6thrust23THRUST_200600_302600_NS6detail15normal_iteratorINS9_10device_ptrIiEEEEPS5_m11less_div_10IiEEE10hipError_tT0_T1_T2_jT3_P12ihipStream_tbPNSt15iterator_traitsISJ_E10value_typeEPNSP_ISK_E10value_typeEPSL_NS1_7vsmem_tEENKUlT_SJ_SK_SL_E_clISE_PiSF_SF_EESI_SY_SJ_SK_SL_EUlSY_E0_NS1_11comp_targetILNS1_3genE4ELNS1_11target_archE910ELNS1_3gpuE8ELNS1_3repE0EEENS1_38merge_mergepath_config_static_selectorELNS0_4arch9wavefront6targetE0EEEvSK_: ; @_ZN7rocprim17ROCPRIM_400000_NS6detail17trampoline_kernelINS0_14default_configENS1_38merge_sort_block_merge_config_selectorIiNS0_10empty_typeEEEZZNS1_27merge_sort_block_merge_implIS3_N6thrust23THRUST_200600_302600_NS6detail15normal_iteratorINS9_10device_ptrIiEEEEPS5_m11less_div_10IiEEE10hipError_tT0_T1_T2_jT3_P12ihipStream_tbPNSt15iterator_traitsISJ_E10value_typeEPNSP_ISK_E10value_typeEPSL_NS1_7vsmem_tEENKUlT_SJ_SK_SL_E_clISE_PiSF_SF_EESI_SY_SJ_SK_SL_EUlSY_E0_NS1_11comp_targetILNS1_3genE4ELNS1_11target_archE910ELNS1_3gpuE8ELNS1_3repE0EEENS1_38merge_mergepath_config_static_selectorELNS0_4arch9wavefront6targetE0EEEvSK_
; %bb.0:
	.section	.rodata,"a",@progbits
	.p2align	6, 0x0
	.amdhsa_kernel _ZN7rocprim17ROCPRIM_400000_NS6detail17trampoline_kernelINS0_14default_configENS1_38merge_sort_block_merge_config_selectorIiNS0_10empty_typeEEEZZNS1_27merge_sort_block_merge_implIS3_N6thrust23THRUST_200600_302600_NS6detail15normal_iteratorINS9_10device_ptrIiEEEEPS5_m11less_div_10IiEEE10hipError_tT0_T1_T2_jT3_P12ihipStream_tbPNSt15iterator_traitsISJ_E10value_typeEPNSP_ISK_E10value_typeEPSL_NS1_7vsmem_tEENKUlT_SJ_SK_SL_E_clISE_PiSF_SF_EESI_SY_SJ_SK_SL_EUlSY_E0_NS1_11comp_targetILNS1_3genE4ELNS1_11target_archE910ELNS1_3gpuE8ELNS1_3repE0EEENS1_38merge_mergepath_config_static_selectorELNS0_4arch9wavefront6targetE0EEEvSK_
		.amdhsa_group_segment_fixed_size 0
		.amdhsa_private_segment_fixed_size 0
		.amdhsa_kernarg_size 72
		.amdhsa_user_sgpr_count 6
		.amdhsa_user_sgpr_private_segment_buffer 1
		.amdhsa_user_sgpr_dispatch_ptr 0
		.amdhsa_user_sgpr_queue_ptr 0
		.amdhsa_user_sgpr_kernarg_segment_ptr 1
		.amdhsa_user_sgpr_dispatch_id 0
		.amdhsa_user_sgpr_flat_scratch_init 0
		.amdhsa_user_sgpr_private_segment_size 0
		.amdhsa_wavefront_size32 1
		.amdhsa_uses_dynamic_stack 0
		.amdhsa_system_sgpr_private_segment_wavefront_offset 0
		.amdhsa_system_sgpr_workgroup_id_x 1
		.amdhsa_system_sgpr_workgroup_id_y 0
		.amdhsa_system_sgpr_workgroup_id_z 0
		.amdhsa_system_sgpr_workgroup_info 0
		.amdhsa_system_vgpr_workitem_id 0
		.amdhsa_next_free_vgpr 1
		.amdhsa_next_free_sgpr 1
		.amdhsa_reserve_vcc 0
		.amdhsa_reserve_flat_scratch 0
		.amdhsa_float_round_mode_32 0
		.amdhsa_float_round_mode_16_64 0
		.amdhsa_float_denorm_mode_32 3
		.amdhsa_float_denorm_mode_16_64 3
		.amdhsa_dx10_clamp 1
		.amdhsa_ieee_mode 1
		.amdhsa_fp16_overflow 0
		.amdhsa_workgroup_processor_mode 1
		.amdhsa_memory_ordered 1
		.amdhsa_forward_progress 1
		.amdhsa_shared_vgpr_count 0
		.amdhsa_exception_fp_ieee_invalid_op 0
		.amdhsa_exception_fp_denorm_src 0
		.amdhsa_exception_fp_ieee_div_zero 0
		.amdhsa_exception_fp_ieee_overflow 0
		.amdhsa_exception_fp_ieee_underflow 0
		.amdhsa_exception_fp_ieee_inexact 0
		.amdhsa_exception_int_div_zero 0
	.end_amdhsa_kernel
	.section	.text._ZN7rocprim17ROCPRIM_400000_NS6detail17trampoline_kernelINS0_14default_configENS1_38merge_sort_block_merge_config_selectorIiNS0_10empty_typeEEEZZNS1_27merge_sort_block_merge_implIS3_N6thrust23THRUST_200600_302600_NS6detail15normal_iteratorINS9_10device_ptrIiEEEEPS5_m11less_div_10IiEEE10hipError_tT0_T1_T2_jT3_P12ihipStream_tbPNSt15iterator_traitsISJ_E10value_typeEPNSP_ISK_E10value_typeEPSL_NS1_7vsmem_tEENKUlT_SJ_SK_SL_E_clISE_PiSF_SF_EESI_SY_SJ_SK_SL_EUlSY_E0_NS1_11comp_targetILNS1_3genE4ELNS1_11target_archE910ELNS1_3gpuE8ELNS1_3repE0EEENS1_38merge_mergepath_config_static_selectorELNS0_4arch9wavefront6targetE0EEEvSK_,"axG",@progbits,_ZN7rocprim17ROCPRIM_400000_NS6detail17trampoline_kernelINS0_14default_configENS1_38merge_sort_block_merge_config_selectorIiNS0_10empty_typeEEEZZNS1_27merge_sort_block_merge_implIS3_N6thrust23THRUST_200600_302600_NS6detail15normal_iteratorINS9_10device_ptrIiEEEEPS5_m11less_div_10IiEEE10hipError_tT0_T1_T2_jT3_P12ihipStream_tbPNSt15iterator_traitsISJ_E10value_typeEPNSP_ISK_E10value_typeEPSL_NS1_7vsmem_tEENKUlT_SJ_SK_SL_E_clISE_PiSF_SF_EESI_SY_SJ_SK_SL_EUlSY_E0_NS1_11comp_targetILNS1_3genE4ELNS1_11target_archE910ELNS1_3gpuE8ELNS1_3repE0EEENS1_38merge_mergepath_config_static_selectorELNS0_4arch9wavefront6targetE0EEEvSK_,comdat
.Lfunc_end464:
	.size	_ZN7rocprim17ROCPRIM_400000_NS6detail17trampoline_kernelINS0_14default_configENS1_38merge_sort_block_merge_config_selectorIiNS0_10empty_typeEEEZZNS1_27merge_sort_block_merge_implIS3_N6thrust23THRUST_200600_302600_NS6detail15normal_iteratorINS9_10device_ptrIiEEEEPS5_m11less_div_10IiEEE10hipError_tT0_T1_T2_jT3_P12ihipStream_tbPNSt15iterator_traitsISJ_E10value_typeEPNSP_ISK_E10value_typeEPSL_NS1_7vsmem_tEENKUlT_SJ_SK_SL_E_clISE_PiSF_SF_EESI_SY_SJ_SK_SL_EUlSY_E0_NS1_11comp_targetILNS1_3genE4ELNS1_11target_archE910ELNS1_3gpuE8ELNS1_3repE0EEENS1_38merge_mergepath_config_static_selectorELNS0_4arch9wavefront6targetE0EEEvSK_, .Lfunc_end464-_ZN7rocprim17ROCPRIM_400000_NS6detail17trampoline_kernelINS0_14default_configENS1_38merge_sort_block_merge_config_selectorIiNS0_10empty_typeEEEZZNS1_27merge_sort_block_merge_implIS3_N6thrust23THRUST_200600_302600_NS6detail15normal_iteratorINS9_10device_ptrIiEEEEPS5_m11less_div_10IiEEE10hipError_tT0_T1_T2_jT3_P12ihipStream_tbPNSt15iterator_traitsISJ_E10value_typeEPNSP_ISK_E10value_typeEPSL_NS1_7vsmem_tEENKUlT_SJ_SK_SL_E_clISE_PiSF_SF_EESI_SY_SJ_SK_SL_EUlSY_E0_NS1_11comp_targetILNS1_3genE4ELNS1_11target_archE910ELNS1_3gpuE8ELNS1_3repE0EEENS1_38merge_mergepath_config_static_selectorELNS0_4arch9wavefront6targetE0EEEvSK_
                                        ; -- End function
	.set _ZN7rocprim17ROCPRIM_400000_NS6detail17trampoline_kernelINS0_14default_configENS1_38merge_sort_block_merge_config_selectorIiNS0_10empty_typeEEEZZNS1_27merge_sort_block_merge_implIS3_N6thrust23THRUST_200600_302600_NS6detail15normal_iteratorINS9_10device_ptrIiEEEEPS5_m11less_div_10IiEEE10hipError_tT0_T1_T2_jT3_P12ihipStream_tbPNSt15iterator_traitsISJ_E10value_typeEPNSP_ISK_E10value_typeEPSL_NS1_7vsmem_tEENKUlT_SJ_SK_SL_E_clISE_PiSF_SF_EESI_SY_SJ_SK_SL_EUlSY_E0_NS1_11comp_targetILNS1_3genE4ELNS1_11target_archE910ELNS1_3gpuE8ELNS1_3repE0EEENS1_38merge_mergepath_config_static_selectorELNS0_4arch9wavefront6targetE0EEEvSK_.num_vgpr, 0
	.set _ZN7rocprim17ROCPRIM_400000_NS6detail17trampoline_kernelINS0_14default_configENS1_38merge_sort_block_merge_config_selectorIiNS0_10empty_typeEEEZZNS1_27merge_sort_block_merge_implIS3_N6thrust23THRUST_200600_302600_NS6detail15normal_iteratorINS9_10device_ptrIiEEEEPS5_m11less_div_10IiEEE10hipError_tT0_T1_T2_jT3_P12ihipStream_tbPNSt15iterator_traitsISJ_E10value_typeEPNSP_ISK_E10value_typeEPSL_NS1_7vsmem_tEENKUlT_SJ_SK_SL_E_clISE_PiSF_SF_EESI_SY_SJ_SK_SL_EUlSY_E0_NS1_11comp_targetILNS1_3genE4ELNS1_11target_archE910ELNS1_3gpuE8ELNS1_3repE0EEENS1_38merge_mergepath_config_static_selectorELNS0_4arch9wavefront6targetE0EEEvSK_.num_agpr, 0
	.set _ZN7rocprim17ROCPRIM_400000_NS6detail17trampoline_kernelINS0_14default_configENS1_38merge_sort_block_merge_config_selectorIiNS0_10empty_typeEEEZZNS1_27merge_sort_block_merge_implIS3_N6thrust23THRUST_200600_302600_NS6detail15normal_iteratorINS9_10device_ptrIiEEEEPS5_m11less_div_10IiEEE10hipError_tT0_T1_T2_jT3_P12ihipStream_tbPNSt15iterator_traitsISJ_E10value_typeEPNSP_ISK_E10value_typeEPSL_NS1_7vsmem_tEENKUlT_SJ_SK_SL_E_clISE_PiSF_SF_EESI_SY_SJ_SK_SL_EUlSY_E0_NS1_11comp_targetILNS1_3genE4ELNS1_11target_archE910ELNS1_3gpuE8ELNS1_3repE0EEENS1_38merge_mergepath_config_static_selectorELNS0_4arch9wavefront6targetE0EEEvSK_.numbered_sgpr, 0
	.set _ZN7rocprim17ROCPRIM_400000_NS6detail17trampoline_kernelINS0_14default_configENS1_38merge_sort_block_merge_config_selectorIiNS0_10empty_typeEEEZZNS1_27merge_sort_block_merge_implIS3_N6thrust23THRUST_200600_302600_NS6detail15normal_iteratorINS9_10device_ptrIiEEEEPS5_m11less_div_10IiEEE10hipError_tT0_T1_T2_jT3_P12ihipStream_tbPNSt15iterator_traitsISJ_E10value_typeEPNSP_ISK_E10value_typeEPSL_NS1_7vsmem_tEENKUlT_SJ_SK_SL_E_clISE_PiSF_SF_EESI_SY_SJ_SK_SL_EUlSY_E0_NS1_11comp_targetILNS1_3genE4ELNS1_11target_archE910ELNS1_3gpuE8ELNS1_3repE0EEENS1_38merge_mergepath_config_static_selectorELNS0_4arch9wavefront6targetE0EEEvSK_.num_named_barrier, 0
	.set _ZN7rocprim17ROCPRIM_400000_NS6detail17trampoline_kernelINS0_14default_configENS1_38merge_sort_block_merge_config_selectorIiNS0_10empty_typeEEEZZNS1_27merge_sort_block_merge_implIS3_N6thrust23THRUST_200600_302600_NS6detail15normal_iteratorINS9_10device_ptrIiEEEEPS5_m11less_div_10IiEEE10hipError_tT0_T1_T2_jT3_P12ihipStream_tbPNSt15iterator_traitsISJ_E10value_typeEPNSP_ISK_E10value_typeEPSL_NS1_7vsmem_tEENKUlT_SJ_SK_SL_E_clISE_PiSF_SF_EESI_SY_SJ_SK_SL_EUlSY_E0_NS1_11comp_targetILNS1_3genE4ELNS1_11target_archE910ELNS1_3gpuE8ELNS1_3repE0EEENS1_38merge_mergepath_config_static_selectorELNS0_4arch9wavefront6targetE0EEEvSK_.private_seg_size, 0
	.set _ZN7rocprim17ROCPRIM_400000_NS6detail17trampoline_kernelINS0_14default_configENS1_38merge_sort_block_merge_config_selectorIiNS0_10empty_typeEEEZZNS1_27merge_sort_block_merge_implIS3_N6thrust23THRUST_200600_302600_NS6detail15normal_iteratorINS9_10device_ptrIiEEEEPS5_m11less_div_10IiEEE10hipError_tT0_T1_T2_jT3_P12ihipStream_tbPNSt15iterator_traitsISJ_E10value_typeEPNSP_ISK_E10value_typeEPSL_NS1_7vsmem_tEENKUlT_SJ_SK_SL_E_clISE_PiSF_SF_EESI_SY_SJ_SK_SL_EUlSY_E0_NS1_11comp_targetILNS1_3genE4ELNS1_11target_archE910ELNS1_3gpuE8ELNS1_3repE0EEENS1_38merge_mergepath_config_static_selectorELNS0_4arch9wavefront6targetE0EEEvSK_.uses_vcc, 0
	.set _ZN7rocprim17ROCPRIM_400000_NS6detail17trampoline_kernelINS0_14default_configENS1_38merge_sort_block_merge_config_selectorIiNS0_10empty_typeEEEZZNS1_27merge_sort_block_merge_implIS3_N6thrust23THRUST_200600_302600_NS6detail15normal_iteratorINS9_10device_ptrIiEEEEPS5_m11less_div_10IiEEE10hipError_tT0_T1_T2_jT3_P12ihipStream_tbPNSt15iterator_traitsISJ_E10value_typeEPNSP_ISK_E10value_typeEPSL_NS1_7vsmem_tEENKUlT_SJ_SK_SL_E_clISE_PiSF_SF_EESI_SY_SJ_SK_SL_EUlSY_E0_NS1_11comp_targetILNS1_3genE4ELNS1_11target_archE910ELNS1_3gpuE8ELNS1_3repE0EEENS1_38merge_mergepath_config_static_selectorELNS0_4arch9wavefront6targetE0EEEvSK_.uses_flat_scratch, 0
	.set _ZN7rocprim17ROCPRIM_400000_NS6detail17trampoline_kernelINS0_14default_configENS1_38merge_sort_block_merge_config_selectorIiNS0_10empty_typeEEEZZNS1_27merge_sort_block_merge_implIS3_N6thrust23THRUST_200600_302600_NS6detail15normal_iteratorINS9_10device_ptrIiEEEEPS5_m11less_div_10IiEEE10hipError_tT0_T1_T2_jT3_P12ihipStream_tbPNSt15iterator_traitsISJ_E10value_typeEPNSP_ISK_E10value_typeEPSL_NS1_7vsmem_tEENKUlT_SJ_SK_SL_E_clISE_PiSF_SF_EESI_SY_SJ_SK_SL_EUlSY_E0_NS1_11comp_targetILNS1_3genE4ELNS1_11target_archE910ELNS1_3gpuE8ELNS1_3repE0EEENS1_38merge_mergepath_config_static_selectorELNS0_4arch9wavefront6targetE0EEEvSK_.has_dyn_sized_stack, 0
	.set _ZN7rocprim17ROCPRIM_400000_NS6detail17trampoline_kernelINS0_14default_configENS1_38merge_sort_block_merge_config_selectorIiNS0_10empty_typeEEEZZNS1_27merge_sort_block_merge_implIS3_N6thrust23THRUST_200600_302600_NS6detail15normal_iteratorINS9_10device_ptrIiEEEEPS5_m11less_div_10IiEEE10hipError_tT0_T1_T2_jT3_P12ihipStream_tbPNSt15iterator_traitsISJ_E10value_typeEPNSP_ISK_E10value_typeEPSL_NS1_7vsmem_tEENKUlT_SJ_SK_SL_E_clISE_PiSF_SF_EESI_SY_SJ_SK_SL_EUlSY_E0_NS1_11comp_targetILNS1_3genE4ELNS1_11target_archE910ELNS1_3gpuE8ELNS1_3repE0EEENS1_38merge_mergepath_config_static_selectorELNS0_4arch9wavefront6targetE0EEEvSK_.has_recursion, 0
	.set _ZN7rocprim17ROCPRIM_400000_NS6detail17trampoline_kernelINS0_14default_configENS1_38merge_sort_block_merge_config_selectorIiNS0_10empty_typeEEEZZNS1_27merge_sort_block_merge_implIS3_N6thrust23THRUST_200600_302600_NS6detail15normal_iteratorINS9_10device_ptrIiEEEEPS5_m11less_div_10IiEEE10hipError_tT0_T1_T2_jT3_P12ihipStream_tbPNSt15iterator_traitsISJ_E10value_typeEPNSP_ISK_E10value_typeEPSL_NS1_7vsmem_tEENKUlT_SJ_SK_SL_E_clISE_PiSF_SF_EESI_SY_SJ_SK_SL_EUlSY_E0_NS1_11comp_targetILNS1_3genE4ELNS1_11target_archE910ELNS1_3gpuE8ELNS1_3repE0EEENS1_38merge_mergepath_config_static_selectorELNS0_4arch9wavefront6targetE0EEEvSK_.has_indirect_call, 0
	.section	.AMDGPU.csdata,"",@progbits
; Kernel info:
; codeLenInByte = 0
; TotalNumSgprs: 0
; NumVgprs: 0
; ScratchSize: 0
; MemoryBound: 0
; FloatMode: 240
; IeeeMode: 1
; LDSByteSize: 0 bytes/workgroup (compile time only)
; SGPRBlocks: 0
; VGPRBlocks: 0
; NumSGPRsForWavesPerEU: 1
; NumVGPRsForWavesPerEU: 1
; Occupancy: 16
; WaveLimiterHint : 0
; COMPUTE_PGM_RSRC2:SCRATCH_EN: 0
; COMPUTE_PGM_RSRC2:USER_SGPR: 6
; COMPUTE_PGM_RSRC2:TRAP_HANDLER: 0
; COMPUTE_PGM_RSRC2:TGID_X_EN: 1
; COMPUTE_PGM_RSRC2:TGID_Y_EN: 0
; COMPUTE_PGM_RSRC2:TGID_Z_EN: 0
; COMPUTE_PGM_RSRC2:TIDIG_COMP_CNT: 0
	.section	.text._ZN7rocprim17ROCPRIM_400000_NS6detail17trampoline_kernelINS0_14default_configENS1_38merge_sort_block_merge_config_selectorIiNS0_10empty_typeEEEZZNS1_27merge_sort_block_merge_implIS3_N6thrust23THRUST_200600_302600_NS6detail15normal_iteratorINS9_10device_ptrIiEEEEPS5_m11less_div_10IiEEE10hipError_tT0_T1_T2_jT3_P12ihipStream_tbPNSt15iterator_traitsISJ_E10value_typeEPNSP_ISK_E10value_typeEPSL_NS1_7vsmem_tEENKUlT_SJ_SK_SL_E_clISE_PiSF_SF_EESI_SY_SJ_SK_SL_EUlSY_E0_NS1_11comp_targetILNS1_3genE3ELNS1_11target_archE908ELNS1_3gpuE7ELNS1_3repE0EEENS1_38merge_mergepath_config_static_selectorELNS0_4arch9wavefront6targetE0EEEvSK_,"axG",@progbits,_ZN7rocprim17ROCPRIM_400000_NS6detail17trampoline_kernelINS0_14default_configENS1_38merge_sort_block_merge_config_selectorIiNS0_10empty_typeEEEZZNS1_27merge_sort_block_merge_implIS3_N6thrust23THRUST_200600_302600_NS6detail15normal_iteratorINS9_10device_ptrIiEEEEPS5_m11less_div_10IiEEE10hipError_tT0_T1_T2_jT3_P12ihipStream_tbPNSt15iterator_traitsISJ_E10value_typeEPNSP_ISK_E10value_typeEPSL_NS1_7vsmem_tEENKUlT_SJ_SK_SL_E_clISE_PiSF_SF_EESI_SY_SJ_SK_SL_EUlSY_E0_NS1_11comp_targetILNS1_3genE3ELNS1_11target_archE908ELNS1_3gpuE7ELNS1_3repE0EEENS1_38merge_mergepath_config_static_selectorELNS0_4arch9wavefront6targetE0EEEvSK_,comdat
	.protected	_ZN7rocprim17ROCPRIM_400000_NS6detail17trampoline_kernelINS0_14default_configENS1_38merge_sort_block_merge_config_selectorIiNS0_10empty_typeEEEZZNS1_27merge_sort_block_merge_implIS3_N6thrust23THRUST_200600_302600_NS6detail15normal_iteratorINS9_10device_ptrIiEEEEPS5_m11less_div_10IiEEE10hipError_tT0_T1_T2_jT3_P12ihipStream_tbPNSt15iterator_traitsISJ_E10value_typeEPNSP_ISK_E10value_typeEPSL_NS1_7vsmem_tEENKUlT_SJ_SK_SL_E_clISE_PiSF_SF_EESI_SY_SJ_SK_SL_EUlSY_E0_NS1_11comp_targetILNS1_3genE3ELNS1_11target_archE908ELNS1_3gpuE7ELNS1_3repE0EEENS1_38merge_mergepath_config_static_selectorELNS0_4arch9wavefront6targetE0EEEvSK_ ; -- Begin function _ZN7rocprim17ROCPRIM_400000_NS6detail17trampoline_kernelINS0_14default_configENS1_38merge_sort_block_merge_config_selectorIiNS0_10empty_typeEEEZZNS1_27merge_sort_block_merge_implIS3_N6thrust23THRUST_200600_302600_NS6detail15normal_iteratorINS9_10device_ptrIiEEEEPS5_m11less_div_10IiEEE10hipError_tT0_T1_T2_jT3_P12ihipStream_tbPNSt15iterator_traitsISJ_E10value_typeEPNSP_ISK_E10value_typeEPSL_NS1_7vsmem_tEENKUlT_SJ_SK_SL_E_clISE_PiSF_SF_EESI_SY_SJ_SK_SL_EUlSY_E0_NS1_11comp_targetILNS1_3genE3ELNS1_11target_archE908ELNS1_3gpuE7ELNS1_3repE0EEENS1_38merge_mergepath_config_static_selectorELNS0_4arch9wavefront6targetE0EEEvSK_
	.globl	_ZN7rocprim17ROCPRIM_400000_NS6detail17trampoline_kernelINS0_14default_configENS1_38merge_sort_block_merge_config_selectorIiNS0_10empty_typeEEEZZNS1_27merge_sort_block_merge_implIS3_N6thrust23THRUST_200600_302600_NS6detail15normal_iteratorINS9_10device_ptrIiEEEEPS5_m11less_div_10IiEEE10hipError_tT0_T1_T2_jT3_P12ihipStream_tbPNSt15iterator_traitsISJ_E10value_typeEPNSP_ISK_E10value_typeEPSL_NS1_7vsmem_tEENKUlT_SJ_SK_SL_E_clISE_PiSF_SF_EESI_SY_SJ_SK_SL_EUlSY_E0_NS1_11comp_targetILNS1_3genE3ELNS1_11target_archE908ELNS1_3gpuE7ELNS1_3repE0EEENS1_38merge_mergepath_config_static_selectorELNS0_4arch9wavefront6targetE0EEEvSK_
	.p2align	8
	.type	_ZN7rocprim17ROCPRIM_400000_NS6detail17trampoline_kernelINS0_14default_configENS1_38merge_sort_block_merge_config_selectorIiNS0_10empty_typeEEEZZNS1_27merge_sort_block_merge_implIS3_N6thrust23THRUST_200600_302600_NS6detail15normal_iteratorINS9_10device_ptrIiEEEEPS5_m11less_div_10IiEEE10hipError_tT0_T1_T2_jT3_P12ihipStream_tbPNSt15iterator_traitsISJ_E10value_typeEPNSP_ISK_E10value_typeEPSL_NS1_7vsmem_tEENKUlT_SJ_SK_SL_E_clISE_PiSF_SF_EESI_SY_SJ_SK_SL_EUlSY_E0_NS1_11comp_targetILNS1_3genE3ELNS1_11target_archE908ELNS1_3gpuE7ELNS1_3repE0EEENS1_38merge_mergepath_config_static_selectorELNS0_4arch9wavefront6targetE0EEEvSK_,@function
_ZN7rocprim17ROCPRIM_400000_NS6detail17trampoline_kernelINS0_14default_configENS1_38merge_sort_block_merge_config_selectorIiNS0_10empty_typeEEEZZNS1_27merge_sort_block_merge_implIS3_N6thrust23THRUST_200600_302600_NS6detail15normal_iteratorINS9_10device_ptrIiEEEEPS5_m11less_div_10IiEEE10hipError_tT0_T1_T2_jT3_P12ihipStream_tbPNSt15iterator_traitsISJ_E10value_typeEPNSP_ISK_E10value_typeEPSL_NS1_7vsmem_tEENKUlT_SJ_SK_SL_E_clISE_PiSF_SF_EESI_SY_SJ_SK_SL_EUlSY_E0_NS1_11comp_targetILNS1_3genE3ELNS1_11target_archE908ELNS1_3gpuE7ELNS1_3repE0EEENS1_38merge_mergepath_config_static_selectorELNS0_4arch9wavefront6targetE0EEEvSK_: ; @_ZN7rocprim17ROCPRIM_400000_NS6detail17trampoline_kernelINS0_14default_configENS1_38merge_sort_block_merge_config_selectorIiNS0_10empty_typeEEEZZNS1_27merge_sort_block_merge_implIS3_N6thrust23THRUST_200600_302600_NS6detail15normal_iteratorINS9_10device_ptrIiEEEEPS5_m11less_div_10IiEEE10hipError_tT0_T1_T2_jT3_P12ihipStream_tbPNSt15iterator_traitsISJ_E10value_typeEPNSP_ISK_E10value_typeEPSL_NS1_7vsmem_tEENKUlT_SJ_SK_SL_E_clISE_PiSF_SF_EESI_SY_SJ_SK_SL_EUlSY_E0_NS1_11comp_targetILNS1_3genE3ELNS1_11target_archE908ELNS1_3gpuE7ELNS1_3repE0EEENS1_38merge_mergepath_config_static_selectorELNS0_4arch9wavefront6targetE0EEEvSK_
; %bb.0:
	.section	.rodata,"a",@progbits
	.p2align	6, 0x0
	.amdhsa_kernel _ZN7rocprim17ROCPRIM_400000_NS6detail17trampoline_kernelINS0_14default_configENS1_38merge_sort_block_merge_config_selectorIiNS0_10empty_typeEEEZZNS1_27merge_sort_block_merge_implIS3_N6thrust23THRUST_200600_302600_NS6detail15normal_iteratorINS9_10device_ptrIiEEEEPS5_m11less_div_10IiEEE10hipError_tT0_T1_T2_jT3_P12ihipStream_tbPNSt15iterator_traitsISJ_E10value_typeEPNSP_ISK_E10value_typeEPSL_NS1_7vsmem_tEENKUlT_SJ_SK_SL_E_clISE_PiSF_SF_EESI_SY_SJ_SK_SL_EUlSY_E0_NS1_11comp_targetILNS1_3genE3ELNS1_11target_archE908ELNS1_3gpuE7ELNS1_3repE0EEENS1_38merge_mergepath_config_static_selectorELNS0_4arch9wavefront6targetE0EEEvSK_
		.amdhsa_group_segment_fixed_size 0
		.amdhsa_private_segment_fixed_size 0
		.amdhsa_kernarg_size 72
		.amdhsa_user_sgpr_count 6
		.amdhsa_user_sgpr_private_segment_buffer 1
		.amdhsa_user_sgpr_dispatch_ptr 0
		.amdhsa_user_sgpr_queue_ptr 0
		.amdhsa_user_sgpr_kernarg_segment_ptr 1
		.amdhsa_user_sgpr_dispatch_id 0
		.amdhsa_user_sgpr_flat_scratch_init 0
		.amdhsa_user_sgpr_private_segment_size 0
		.amdhsa_wavefront_size32 1
		.amdhsa_uses_dynamic_stack 0
		.amdhsa_system_sgpr_private_segment_wavefront_offset 0
		.amdhsa_system_sgpr_workgroup_id_x 1
		.amdhsa_system_sgpr_workgroup_id_y 0
		.amdhsa_system_sgpr_workgroup_id_z 0
		.amdhsa_system_sgpr_workgroup_info 0
		.amdhsa_system_vgpr_workitem_id 0
		.amdhsa_next_free_vgpr 1
		.amdhsa_next_free_sgpr 1
		.amdhsa_reserve_vcc 0
		.amdhsa_reserve_flat_scratch 0
		.amdhsa_float_round_mode_32 0
		.amdhsa_float_round_mode_16_64 0
		.amdhsa_float_denorm_mode_32 3
		.amdhsa_float_denorm_mode_16_64 3
		.amdhsa_dx10_clamp 1
		.amdhsa_ieee_mode 1
		.amdhsa_fp16_overflow 0
		.amdhsa_workgroup_processor_mode 1
		.amdhsa_memory_ordered 1
		.amdhsa_forward_progress 1
		.amdhsa_shared_vgpr_count 0
		.amdhsa_exception_fp_ieee_invalid_op 0
		.amdhsa_exception_fp_denorm_src 0
		.amdhsa_exception_fp_ieee_div_zero 0
		.amdhsa_exception_fp_ieee_overflow 0
		.amdhsa_exception_fp_ieee_underflow 0
		.amdhsa_exception_fp_ieee_inexact 0
		.amdhsa_exception_int_div_zero 0
	.end_amdhsa_kernel
	.section	.text._ZN7rocprim17ROCPRIM_400000_NS6detail17trampoline_kernelINS0_14default_configENS1_38merge_sort_block_merge_config_selectorIiNS0_10empty_typeEEEZZNS1_27merge_sort_block_merge_implIS3_N6thrust23THRUST_200600_302600_NS6detail15normal_iteratorINS9_10device_ptrIiEEEEPS5_m11less_div_10IiEEE10hipError_tT0_T1_T2_jT3_P12ihipStream_tbPNSt15iterator_traitsISJ_E10value_typeEPNSP_ISK_E10value_typeEPSL_NS1_7vsmem_tEENKUlT_SJ_SK_SL_E_clISE_PiSF_SF_EESI_SY_SJ_SK_SL_EUlSY_E0_NS1_11comp_targetILNS1_3genE3ELNS1_11target_archE908ELNS1_3gpuE7ELNS1_3repE0EEENS1_38merge_mergepath_config_static_selectorELNS0_4arch9wavefront6targetE0EEEvSK_,"axG",@progbits,_ZN7rocprim17ROCPRIM_400000_NS6detail17trampoline_kernelINS0_14default_configENS1_38merge_sort_block_merge_config_selectorIiNS0_10empty_typeEEEZZNS1_27merge_sort_block_merge_implIS3_N6thrust23THRUST_200600_302600_NS6detail15normal_iteratorINS9_10device_ptrIiEEEEPS5_m11less_div_10IiEEE10hipError_tT0_T1_T2_jT3_P12ihipStream_tbPNSt15iterator_traitsISJ_E10value_typeEPNSP_ISK_E10value_typeEPSL_NS1_7vsmem_tEENKUlT_SJ_SK_SL_E_clISE_PiSF_SF_EESI_SY_SJ_SK_SL_EUlSY_E0_NS1_11comp_targetILNS1_3genE3ELNS1_11target_archE908ELNS1_3gpuE7ELNS1_3repE0EEENS1_38merge_mergepath_config_static_selectorELNS0_4arch9wavefront6targetE0EEEvSK_,comdat
.Lfunc_end465:
	.size	_ZN7rocprim17ROCPRIM_400000_NS6detail17trampoline_kernelINS0_14default_configENS1_38merge_sort_block_merge_config_selectorIiNS0_10empty_typeEEEZZNS1_27merge_sort_block_merge_implIS3_N6thrust23THRUST_200600_302600_NS6detail15normal_iteratorINS9_10device_ptrIiEEEEPS5_m11less_div_10IiEEE10hipError_tT0_T1_T2_jT3_P12ihipStream_tbPNSt15iterator_traitsISJ_E10value_typeEPNSP_ISK_E10value_typeEPSL_NS1_7vsmem_tEENKUlT_SJ_SK_SL_E_clISE_PiSF_SF_EESI_SY_SJ_SK_SL_EUlSY_E0_NS1_11comp_targetILNS1_3genE3ELNS1_11target_archE908ELNS1_3gpuE7ELNS1_3repE0EEENS1_38merge_mergepath_config_static_selectorELNS0_4arch9wavefront6targetE0EEEvSK_, .Lfunc_end465-_ZN7rocprim17ROCPRIM_400000_NS6detail17trampoline_kernelINS0_14default_configENS1_38merge_sort_block_merge_config_selectorIiNS0_10empty_typeEEEZZNS1_27merge_sort_block_merge_implIS3_N6thrust23THRUST_200600_302600_NS6detail15normal_iteratorINS9_10device_ptrIiEEEEPS5_m11less_div_10IiEEE10hipError_tT0_T1_T2_jT3_P12ihipStream_tbPNSt15iterator_traitsISJ_E10value_typeEPNSP_ISK_E10value_typeEPSL_NS1_7vsmem_tEENKUlT_SJ_SK_SL_E_clISE_PiSF_SF_EESI_SY_SJ_SK_SL_EUlSY_E0_NS1_11comp_targetILNS1_3genE3ELNS1_11target_archE908ELNS1_3gpuE7ELNS1_3repE0EEENS1_38merge_mergepath_config_static_selectorELNS0_4arch9wavefront6targetE0EEEvSK_
                                        ; -- End function
	.set _ZN7rocprim17ROCPRIM_400000_NS6detail17trampoline_kernelINS0_14default_configENS1_38merge_sort_block_merge_config_selectorIiNS0_10empty_typeEEEZZNS1_27merge_sort_block_merge_implIS3_N6thrust23THRUST_200600_302600_NS6detail15normal_iteratorINS9_10device_ptrIiEEEEPS5_m11less_div_10IiEEE10hipError_tT0_T1_T2_jT3_P12ihipStream_tbPNSt15iterator_traitsISJ_E10value_typeEPNSP_ISK_E10value_typeEPSL_NS1_7vsmem_tEENKUlT_SJ_SK_SL_E_clISE_PiSF_SF_EESI_SY_SJ_SK_SL_EUlSY_E0_NS1_11comp_targetILNS1_3genE3ELNS1_11target_archE908ELNS1_3gpuE7ELNS1_3repE0EEENS1_38merge_mergepath_config_static_selectorELNS0_4arch9wavefront6targetE0EEEvSK_.num_vgpr, 0
	.set _ZN7rocprim17ROCPRIM_400000_NS6detail17trampoline_kernelINS0_14default_configENS1_38merge_sort_block_merge_config_selectorIiNS0_10empty_typeEEEZZNS1_27merge_sort_block_merge_implIS3_N6thrust23THRUST_200600_302600_NS6detail15normal_iteratorINS9_10device_ptrIiEEEEPS5_m11less_div_10IiEEE10hipError_tT0_T1_T2_jT3_P12ihipStream_tbPNSt15iterator_traitsISJ_E10value_typeEPNSP_ISK_E10value_typeEPSL_NS1_7vsmem_tEENKUlT_SJ_SK_SL_E_clISE_PiSF_SF_EESI_SY_SJ_SK_SL_EUlSY_E0_NS1_11comp_targetILNS1_3genE3ELNS1_11target_archE908ELNS1_3gpuE7ELNS1_3repE0EEENS1_38merge_mergepath_config_static_selectorELNS0_4arch9wavefront6targetE0EEEvSK_.num_agpr, 0
	.set _ZN7rocprim17ROCPRIM_400000_NS6detail17trampoline_kernelINS0_14default_configENS1_38merge_sort_block_merge_config_selectorIiNS0_10empty_typeEEEZZNS1_27merge_sort_block_merge_implIS3_N6thrust23THRUST_200600_302600_NS6detail15normal_iteratorINS9_10device_ptrIiEEEEPS5_m11less_div_10IiEEE10hipError_tT0_T1_T2_jT3_P12ihipStream_tbPNSt15iterator_traitsISJ_E10value_typeEPNSP_ISK_E10value_typeEPSL_NS1_7vsmem_tEENKUlT_SJ_SK_SL_E_clISE_PiSF_SF_EESI_SY_SJ_SK_SL_EUlSY_E0_NS1_11comp_targetILNS1_3genE3ELNS1_11target_archE908ELNS1_3gpuE7ELNS1_3repE0EEENS1_38merge_mergepath_config_static_selectorELNS0_4arch9wavefront6targetE0EEEvSK_.numbered_sgpr, 0
	.set _ZN7rocprim17ROCPRIM_400000_NS6detail17trampoline_kernelINS0_14default_configENS1_38merge_sort_block_merge_config_selectorIiNS0_10empty_typeEEEZZNS1_27merge_sort_block_merge_implIS3_N6thrust23THRUST_200600_302600_NS6detail15normal_iteratorINS9_10device_ptrIiEEEEPS5_m11less_div_10IiEEE10hipError_tT0_T1_T2_jT3_P12ihipStream_tbPNSt15iterator_traitsISJ_E10value_typeEPNSP_ISK_E10value_typeEPSL_NS1_7vsmem_tEENKUlT_SJ_SK_SL_E_clISE_PiSF_SF_EESI_SY_SJ_SK_SL_EUlSY_E0_NS1_11comp_targetILNS1_3genE3ELNS1_11target_archE908ELNS1_3gpuE7ELNS1_3repE0EEENS1_38merge_mergepath_config_static_selectorELNS0_4arch9wavefront6targetE0EEEvSK_.num_named_barrier, 0
	.set _ZN7rocprim17ROCPRIM_400000_NS6detail17trampoline_kernelINS0_14default_configENS1_38merge_sort_block_merge_config_selectorIiNS0_10empty_typeEEEZZNS1_27merge_sort_block_merge_implIS3_N6thrust23THRUST_200600_302600_NS6detail15normal_iteratorINS9_10device_ptrIiEEEEPS5_m11less_div_10IiEEE10hipError_tT0_T1_T2_jT3_P12ihipStream_tbPNSt15iterator_traitsISJ_E10value_typeEPNSP_ISK_E10value_typeEPSL_NS1_7vsmem_tEENKUlT_SJ_SK_SL_E_clISE_PiSF_SF_EESI_SY_SJ_SK_SL_EUlSY_E0_NS1_11comp_targetILNS1_3genE3ELNS1_11target_archE908ELNS1_3gpuE7ELNS1_3repE0EEENS1_38merge_mergepath_config_static_selectorELNS0_4arch9wavefront6targetE0EEEvSK_.private_seg_size, 0
	.set _ZN7rocprim17ROCPRIM_400000_NS6detail17trampoline_kernelINS0_14default_configENS1_38merge_sort_block_merge_config_selectorIiNS0_10empty_typeEEEZZNS1_27merge_sort_block_merge_implIS3_N6thrust23THRUST_200600_302600_NS6detail15normal_iteratorINS9_10device_ptrIiEEEEPS5_m11less_div_10IiEEE10hipError_tT0_T1_T2_jT3_P12ihipStream_tbPNSt15iterator_traitsISJ_E10value_typeEPNSP_ISK_E10value_typeEPSL_NS1_7vsmem_tEENKUlT_SJ_SK_SL_E_clISE_PiSF_SF_EESI_SY_SJ_SK_SL_EUlSY_E0_NS1_11comp_targetILNS1_3genE3ELNS1_11target_archE908ELNS1_3gpuE7ELNS1_3repE0EEENS1_38merge_mergepath_config_static_selectorELNS0_4arch9wavefront6targetE0EEEvSK_.uses_vcc, 0
	.set _ZN7rocprim17ROCPRIM_400000_NS6detail17trampoline_kernelINS0_14default_configENS1_38merge_sort_block_merge_config_selectorIiNS0_10empty_typeEEEZZNS1_27merge_sort_block_merge_implIS3_N6thrust23THRUST_200600_302600_NS6detail15normal_iteratorINS9_10device_ptrIiEEEEPS5_m11less_div_10IiEEE10hipError_tT0_T1_T2_jT3_P12ihipStream_tbPNSt15iterator_traitsISJ_E10value_typeEPNSP_ISK_E10value_typeEPSL_NS1_7vsmem_tEENKUlT_SJ_SK_SL_E_clISE_PiSF_SF_EESI_SY_SJ_SK_SL_EUlSY_E0_NS1_11comp_targetILNS1_3genE3ELNS1_11target_archE908ELNS1_3gpuE7ELNS1_3repE0EEENS1_38merge_mergepath_config_static_selectorELNS0_4arch9wavefront6targetE0EEEvSK_.uses_flat_scratch, 0
	.set _ZN7rocprim17ROCPRIM_400000_NS6detail17trampoline_kernelINS0_14default_configENS1_38merge_sort_block_merge_config_selectorIiNS0_10empty_typeEEEZZNS1_27merge_sort_block_merge_implIS3_N6thrust23THRUST_200600_302600_NS6detail15normal_iteratorINS9_10device_ptrIiEEEEPS5_m11less_div_10IiEEE10hipError_tT0_T1_T2_jT3_P12ihipStream_tbPNSt15iterator_traitsISJ_E10value_typeEPNSP_ISK_E10value_typeEPSL_NS1_7vsmem_tEENKUlT_SJ_SK_SL_E_clISE_PiSF_SF_EESI_SY_SJ_SK_SL_EUlSY_E0_NS1_11comp_targetILNS1_3genE3ELNS1_11target_archE908ELNS1_3gpuE7ELNS1_3repE0EEENS1_38merge_mergepath_config_static_selectorELNS0_4arch9wavefront6targetE0EEEvSK_.has_dyn_sized_stack, 0
	.set _ZN7rocprim17ROCPRIM_400000_NS6detail17trampoline_kernelINS0_14default_configENS1_38merge_sort_block_merge_config_selectorIiNS0_10empty_typeEEEZZNS1_27merge_sort_block_merge_implIS3_N6thrust23THRUST_200600_302600_NS6detail15normal_iteratorINS9_10device_ptrIiEEEEPS5_m11less_div_10IiEEE10hipError_tT0_T1_T2_jT3_P12ihipStream_tbPNSt15iterator_traitsISJ_E10value_typeEPNSP_ISK_E10value_typeEPSL_NS1_7vsmem_tEENKUlT_SJ_SK_SL_E_clISE_PiSF_SF_EESI_SY_SJ_SK_SL_EUlSY_E0_NS1_11comp_targetILNS1_3genE3ELNS1_11target_archE908ELNS1_3gpuE7ELNS1_3repE0EEENS1_38merge_mergepath_config_static_selectorELNS0_4arch9wavefront6targetE0EEEvSK_.has_recursion, 0
	.set _ZN7rocprim17ROCPRIM_400000_NS6detail17trampoline_kernelINS0_14default_configENS1_38merge_sort_block_merge_config_selectorIiNS0_10empty_typeEEEZZNS1_27merge_sort_block_merge_implIS3_N6thrust23THRUST_200600_302600_NS6detail15normal_iteratorINS9_10device_ptrIiEEEEPS5_m11less_div_10IiEEE10hipError_tT0_T1_T2_jT3_P12ihipStream_tbPNSt15iterator_traitsISJ_E10value_typeEPNSP_ISK_E10value_typeEPSL_NS1_7vsmem_tEENKUlT_SJ_SK_SL_E_clISE_PiSF_SF_EESI_SY_SJ_SK_SL_EUlSY_E0_NS1_11comp_targetILNS1_3genE3ELNS1_11target_archE908ELNS1_3gpuE7ELNS1_3repE0EEENS1_38merge_mergepath_config_static_selectorELNS0_4arch9wavefront6targetE0EEEvSK_.has_indirect_call, 0
	.section	.AMDGPU.csdata,"",@progbits
; Kernel info:
; codeLenInByte = 0
; TotalNumSgprs: 0
; NumVgprs: 0
; ScratchSize: 0
; MemoryBound: 0
; FloatMode: 240
; IeeeMode: 1
; LDSByteSize: 0 bytes/workgroup (compile time only)
; SGPRBlocks: 0
; VGPRBlocks: 0
; NumSGPRsForWavesPerEU: 1
; NumVGPRsForWavesPerEU: 1
; Occupancy: 16
; WaveLimiterHint : 0
; COMPUTE_PGM_RSRC2:SCRATCH_EN: 0
; COMPUTE_PGM_RSRC2:USER_SGPR: 6
; COMPUTE_PGM_RSRC2:TRAP_HANDLER: 0
; COMPUTE_PGM_RSRC2:TGID_X_EN: 1
; COMPUTE_PGM_RSRC2:TGID_Y_EN: 0
; COMPUTE_PGM_RSRC2:TGID_Z_EN: 0
; COMPUTE_PGM_RSRC2:TIDIG_COMP_CNT: 0
	.section	.text._ZN7rocprim17ROCPRIM_400000_NS6detail17trampoline_kernelINS0_14default_configENS1_38merge_sort_block_merge_config_selectorIiNS0_10empty_typeEEEZZNS1_27merge_sort_block_merge_implIS3_N6thrust23THRUST_200600_302600_NS6detail15normal_iteratorINS9_10device_ptrIiEEEEPS5_m11less_div_10IiEEE10hipError_tT0_T1_T2_jT3_P12ihipStream_tbPNSt15iterator_traitsISJ_E10value_typeEPNSP_ISK_E10value_typeEPSL_NS1_7vsmem_tEENKUlT_SJ_SK_SL_E_clISE_PiSF_SF_EESI_SY_SJ_SK_SL_EUlSY_E0_NS1_11comp_targetILNS1_3genE2ELNS1_11target_archE906ELNS1_3gpuE6ELNS1_3repE0EEENS1_38merge_mergepath_config_static_selectorELNS0_4arch9wavefront6targetE0EEEvSK_,"axG",@progbits,_ZN7rocprim17ROCPRIM_400000_NS6detail17trampoline_kernelINS0_14default_configENS1_38merge_sort_block_merge_config_selectorIiNS0_10empty_typeEEEZZNS1_27merge_sort_block_merge_implIS3_N6thrust23THRUST_200600_302600_NS6detail15normal_iteratorINS9_10device_ptrIiEEEEPS5_m11less_div_10IiEEE10hipError_tT0_T1_T2_jT3_P12ihipStream_tbPNSt15iterator_traitsISJ_E10value_typeEPNSP_ISK_E10value_typeEPSL_NS1_7vsmem_tEENKUlT_SJ_SK_SL_E_clISE_PiSF_SF_EESI_SY_SJ_SK_SL_EUlSY_E0_NS1_11comp_targetILNS1_3genE2ELNS1_11target_archE906ELNS1_3gpuE6ELNS1_3repE0EEENS1_38merge_mergepath_config_static_selectorELNS0_4arch9wavefront6targetE0EEEvSK_,comdat
	.protected	_ZN7rocprim17ROCPRIM_400000_NS6detail17trampoline_kernelINS0_14default_configENS1_38merge_sort_block_merge_config_selectorIiNS0_10empty_typeEEEZZNS1_27merge_sort_block_merge_implIS3_N6thrust23THRUST_200600_302600_NS6detail15normal_iteratorINS9_10device_ptrIiEEEEPS5_m11less_div_10IiEEE10hipError_tT0_T1_T2_jT3_P12ihipStream_tbPNSt15iterator_traitsISJ_E10value_typeEPNSP_ISK_E10value_typeEPSL_NS1_7vsmem_tEENKUlT_SJ_SK_SL_E_clISE_PiSF_SF_EESI_SY_SJ_SK_SL_EUlSY_E0_NS1_11comp_targetILNS1_3genE2ELNS1_11target_archE906ELNS1_3gpuE6ELNS1_3repE0EEENS1_38merge_mergepath_config_static_selectorELNS0_4arch9wavefront6targetE0EEEvSK_ ; -- Begin function _ZN7rocprim17ROCPRIM_400000_NS6detail17trampoline_kernelINS0_14default_configENS1_38merge_sort_block_merge_config_selectorIiNS0_10empty_typeEEEZZNS1_27merge_sort_block_merge_implIS3_N6thrust23THRUST_200600_302600_NS6detail15normal_iteratorINS9_10device_ptrIiEEEEPS5_m11less_div_10IiEEE10hipError_tT0_T1_T2_jT3_P12ihipStream_tbPNSt15iterator_traitsISJ_E10value_typeEPNSP_ISK_E10value_typeEPSL_NS1_7vsmem_tEENKUlT_SJ_SK_SL_E_clISE_PiSF_SF_EESI_SY_SJ_SK_SL_EUlSY_E0_NS1_11comp_targetILNS1_3genE2ELNS1_11target_archE906ELNS1_3gpuE6ELNS1_3repE0EEENS1_38merge_mergepath_config_static_selectorELNS0_4arch9wavefront6targetE0EEEvSK_
	.globl	_ZN7rocprim17ROCPRIM_400000_NS6detail17trampoline_kernelINS0_14default_configENS1_38merge_sort_block_merge_config_selectorIiNS0_10empty_typeEEEZZNS1_27merge_sort_block_merge_implIS3_N6thrust23THRUST_200600_302600_NS6detail15normal_iteratorINS9_10device_ptrIiEEEEPS5_m11less_div_10IiEEE10hipError_tT0_T1_T2_jT3_P12ihipStream_tbPNSt15iterator_traitsISJ_E10value_typeEPNSP_ISK_E10value_typeEPSL_NS1_7vsmem_tEENKUlT_SJ_SK_SL_E_clISE_PiSF_SF_EESI_SY_SJ_SK_SL_EUlSY_E0_NS1_11comp_targetILNS1_3genE2ELNS1_11target_archE906ELNS1_3gpuE6ELNS1_3repE0EEENS1_38merge_mergepath_config_static_selectorELNS0_4arch9wavefront6targetE0EEEvSK_
	.p2align	8
	.type	_ZN7rocprim17ROCPRIM_400000_NS6detail17trampoline_kernelINS0_14default_configENS1_38merge_sort_block_merge_config_selectorIiNS0_10empty_typeEEEZZNS1_27merge_sort_block_merge_implIS3_N6thrust23THRUST_200600_302600_NS6detail15normal_iteratorINS9_10device_ptrIiEEEEPS5_m11less_div_10IiEEE10hipError_tT0_T1_T2_jT3_P12ihipStream_tbPNSt15iterator_traitsISJ_E10value_typeEPNSP_ISK_E10value_typeEPSL_NS1_7vsmem_tEENKUlT_SJ_SK_SL_E_clISE_PiSF_SF_EESI_SY_SJ_SK_SL_EUlSY_E0_NS1_11comp_targetILNS1_3genE2ELNS1_11target_archE906ELNS1_3gpuE6ELNS1_3repE0EEENS1_38merge_mergepath_config_static_selectorELNS0_4arch9wavefront6targetE0EEEvSK_,@function
_ZN7rocprim17ROCPRIM_400000_NS6detail17trampoline_kernelINS0_14default_configENS1_38merge_sort_block_merge_config_selectorIiNS0_10empty_typeEEEZZNS1_27merge_sort_block_merge_implIS3_N6thrust23THRUST_200600_302600_NS6detail15normal_iteratorINS9_10device_ptrIiEEEEPS5_m11less_div_10IiEEE10hipError_tT0_T1_T2_jT3_P12ihipStream_tbPNSt15iterator_traitsISJ_E10value_typeEPNSP_ISK_E10value_typeEPSL_NS1_7vsmem_tEENKUlT_SJ_SK_SL_E_clISE_PiSF_SF_EESI_SY_SJ_SK_SL_EUlSY_E0_NS1_11comp_targetILNS1_3genE2ELNS1_11target_archE906ELNS1_3gpuE6ELNS1_3repE0EEENS1_38merge_mergepath_config_static_selectorELNS0_4arch9wavefront6targetE0EEEvSK_: ; @_ZN7rocprim17ROCPRIM_400000_NS6detail17trampoline_kernelINS0_14default_configENS1_38merge_sort_block_merge_config_selectorIiNS0_10empty_typeEEEZZNS1_27merge_sort_block_merge_implIS3_N6thrust23THRUST_200600_302600_NS6detail15normal_iteratorINS9_10device_ptrIiEEEEPS5_m11less_div_10IiEEE10hipError_tT0_T1_T2_jT3_P12ihipStream_tbPNSt15iterator_traitsISJ_E10value_typeEPNSP_ISK_E10value_typeEPSL_NS1_7vsmem_tEENKUlT_SJ_SK_SL_E_clISE_PiSF_SF_EESI_SY_SJ_SK_SL_EUlSY_E0_NS1_11comp_targetILNS1_3genE2ELNS1_11target_archE906ELNS1_3gpuE6ELNS1_3repE0EEENS1_38merge_mergepath_config_static_selectorELNS0_4arch9wavefront6targetE0EEEvSK_
; %bb.0:
	.section	.rodata,"a",@progbits
	.p2align	6, 0x0
	.amdhsa_kernel _ZN7rocprim17ROCPRIM_400000_NS6detail17trampoline_kernelINS0_14default_configENS1_38merge_sort_block_merge_config_selectorIiNS0_10empty_typeEEEZZNS1_27merge_sort_block_merge_implIS3_N6thrust23THRUST_200600_302600_NS6detail15normal_iteratorINS9_10device_ptrIiEEEEPS5_m11less_div_10IiEEE10hipError_tT0_T1_T2_jT3_P12ihipStream_tbPNSt15iterator_traitsISJ_E10value_typeEPNSP_ISK_E10value_typeEPSL_NS1_7vsmem_tEENKUlT_SJ_SK_SL_E_clISE_PiSF_SF_EESI_SY_SJ_SK_SL_EUlSY_E0_NS1_11comp_targetILNS1_3genE2ELNS1_11target_archE906ELNS1_3gpuE6ELNS1_3repE0EEENS1_38merge_mergepath_config_static_selectorELNS0_4arch9wavefront6targetE0EEEvSK_
		.amdhsa_group_segment_fixed_size 0
		.amdhsa_private_segment_fixed_size 0
		.amdhsa_kernarg_size 72
		.amdhsa_user_sgpr_count 6
		.amdhsa_user_sgpr_private_segment_buffer 1
		.amdhsa_user_sgpr_dispatch_ptr 0
		.amdhsa_user_sgpr_queue_ptr 0
		.amdhsa_user_sgpr_kernarg_segment_ptr 1
		.amdhsa_user_sgpr_dispatch_id 0
		.amdhsa_user_sgpr_flat_scratch_init 0
		.amdhsa_user_sgpr_private_segment_size 0
		.amdhsa_wavefront_size32 1
		.amdhsa_uses_dynamic_stack 0
		.amdhsa_system_sgpr_private_segment_wavefront_offset 0
		.amdhsa_system_sgpr_workgroup_id_x 1
		.amdhsa_system_sgpr_workgroup_id_y 0
		.amdhsa_system_sgpr_workgroup_id_z 0
		.amdhsa_system_sgpr_workgroup_info 0
		.amdhsa_system_vgpr_workitem_id 0
		.amdhsa_next_free_vgpr 1
		.amdhsa_next_free_sgpr 1
		.amdhsa_reserve_vcc 0
		.amdhsa_reserve_flat_scratch 0
		.amdhsa_float_round_mode_32 0
		.amdhsa_float_round_mode_16_64 0
		.amdhsa_float_denorm_mode_32 3
		.amdhsa_float_denorm_mode_16_64 3
		.amdhsa_dx10_clamp 1
		.amdhsa_ieee_mode 1
		.amdhsa_fp16_overflow 0
		.amdhsa_workgroup_processor_mode 1
		.amdhsa_memory_ordered 1
		.amdhsa_forward_progress 1
		.amdhsa_shared_vgpr_count 0
		.amdhsa_exception_fp_ieee_invalid_op 0
		.amdhsa_exception_fp_denorm_src 0
		.amdhsa_exception_fp_ieee_div_zero 0
		.amdhsa_exception_fp_ieee_overflow 0
		.amdhsa_exception_fp_ieee_underflow 0
		.amdhsa_exception_fp_ieee_inexact 0
		.amdhsa_exception_int_div_zero 0
	.end_amdhsa_kernel
	.section	.text._ZN7rocprim17ROCPRIM_400000_NS6detail17trampoline_kernelINS0_14default_configENS1_38merge_sort_block_merge_config_selectorIiNS0_10empty_typeEEEZZNS1_27merge_sort_block_merge_implIS3_N6thrust23THRUST_200600_302600_NS6detail15normal_iteratorINS9_10device_ptrIiEEEEPS5_m11less_div_10IiEEE10hipError_tT0_T1_T2_jT3_P12ihipStream_tbPNSt15iterator_traitsISJ_E10value_typeEPNSP_ISK_E10value_typeEPSL_NS1_7vsmem_tEENKUlT_SJ_SK_SL_E_clISE_PiSF_SF_EESI_SY_SJ_SK_SL_EUlSY_E0_NS1_11comp_targetILNS1_3genE2ELNS1_11target_archE906ELNS1_3gpuE6ELNS1_3repE0EEENS1_38merge_mergepath_config_static_selectorELNS0_4arch9wavefront6targetE0EEEvSK_,"axG",@progbits,_ZN7rocprim17ROCPRIM_400000_NS6detail17trampoline_kernelINS0_14default_configENS1_38merge_sort_block_merge_config_selectorIiNS0_10empty_typeEEEZZNS1_27merge_sort_block_merge_implIS3_N6thrust23THRUST_200600_302600_NS6detail15normal_iteratorINS9_10device_ptrIiEEEEPS5_m11less_div_10IiEEE10hipError_tT0_T1_T2_jT3_P12ihipStream_tbPNSt15iterator_traitsISJ_E10value_typeEPNSP_ISK_E10value_typeEPSL_NS1_7vsmem_tEENKUlT_SJ_SK_SL_E_clISE_PiSF_SF_EESI_SY_SJ_SK_SL_EUlSY_E0_NS1_11comp_targetILNS1_3genE2ELNS1_11target_archE906ELNS1_3gpuE6ELNS1_3repE0EEENS1_38merge_mergepath_config_static_selectorELNS0_4arch9wavefront6targetE0EEEvSK_,comdat
.Lfunc_end466:
	.size	_ZN7rocprim17ROCPRIM_400000_NS6detail17trampoline_kernelINS0_14default_configENS1_38merge_sort_block_merge_config_selectorIiNS0_10empty_typeEEEZZNS1_27merge_sort_block_merge_implIS3_N6thrust23THRUST_200600_302600_NS6detail15normal_iteratorINS9_10device_ptrIiEEEEPS5_m11less_div_10IiEEE10hipError_tT0_T1_T2_jT3_P12ihipStream_tbPNSt15iterator_traitsISJ_E10value_typeEPNSP_ISK_E10value_typeEPSL_NS1_7vsmem_tEENKUlT_SJ_SK_SL_E_clISE_PiSF_SF_EESI_SY_SJ_SK_SL_EUlSY_E0_NS1_11comp_targetILNS1_3genE2ELNS1_11target_archE906ELNS1_3gpuE6ELNS1_3repE0EEENS1_38merge_mergepath_config_static_selectorELNS0_4arch9wavefront6targetE0EEEvSK_, .Lfunc_end466-_ZN7rocprim17ROCPRIM_400000_NS6detail17trampoline_kernelINS0_14default_configENS1_38merge_sort_block_merge_config_selectorIiNS0_10empty_typeEEEZZNS1_27merge_sort_block_merge_implIS3_N6thrust23THRUST_200600_302600_NS6detail15normal_iteratorINS9_10device_ptrIiEEEEPS5_m11less_div_10IiEEE10hipError_tT0_T1_T2_jT3_P12ihipStream_tbPNSt15iterator_traitsISJ_E10value_typeEPNSP_ISK_E10value_typeEPSL_NS1_7vsmem_tEENKUlT_SJ_SK_SL_E_clISE_PiSF_SF_EESI_SY_SJ_SK_SL_EUlSY_E0_NS1_11comp_targetILNS1_3genE2ELNS1_11target_archE906ELNS1_3gpuE6ELNS1_3repE0EEENS1_38merge_mergepath_config_static_selectorELNS0_4arch9wavefront6targetE0EEEvSK_
                                        ; -- End function
	.set _ZN7rocprim17ROCPRIM_400000_NS6detail17trampoline_kernelINS0_14default_configENS1_38merge_sort_block_merge_config_selectorIiNS0_10empty_typeEEEZZNS1_27merge_sort_block_merge_implIS3_N6thrust23THRUST_200600_302600_NS6detail15normal_iteratorINS9_10device_ptrIiEEEEPS5_m11less_div_10IiEEE10hipError_tT0_T1_T2_jT3_P12ihipStream_tbPNSt15iterator_traitsISJ_E10value_typeEPNSP_ISK_E10value_typeEPSL_NS1_7vsmem_tEENKUlT_SJ_SK_SL_E_clISE_PiSF_SF_EESI_SY_SJ_SK_SL_EUlSY_E0_NS1_11comp_targetILNS1_3genE2ELNS1_11target_archE906ELNS1_3gpuE6ELNS1_3repE0EEENS1_38merge_mergepath_config_static_selectorELNS0_4arch9wavefront6targetE0EEEvSK_.num_vgpr, 0
	.set _ZN7rocprim17ROCPRIM_400000_NS6detail17trampoline_kernelINS0_14default_configENS1_38merge_sort_block_merge_config_selectorIiNS0_10empty_typeEEEZZNS1_27merge_sort_block_merge_implIS3_N6thrust23THRUST_200600_302600_NS6detail15normal_iteratorINS9_10device_ptrIiEEEEPS5_m11less_div_10IiEEE10hipError_tT0_T1_T2_jT3_P12ihipStream_tbPNSt15iterator_traitsISJ_E10value_typeEPNSP_ISK_E10value_typeEPSL_NS1_7vsmem_tEENKUlT_SJ_SK_SL_E_clISE_PiSF_SF_EESI_SY_SJ_SK_SL_EUlSY_E0_NS1_11comp_targetILNS1_3genE2ELNS1_11target_archE906ELNS1_3gpuE6ELNS1_3repE0EEENS1_38merge_mergepath_config_static_selectorELNS0_4arch9wavefront6targetE0EEEvSK_.num_agpr, 0
	.set _ZN7rocprim17ROCPRIM_400000_NS6detail17trampoline_kernelINS0_14default_configENS1_38merge_sort_block_merge_config_selectorIiNS0_10empty_typeEEEZZNS1_27merge_sort_block_merge_implIS3_N6thrust23THRUST_200600_302600_NS6detail15normal_iteratorINS9_10device_ptrIiEEEEPS5_m11less_div_10IiEEE10hipError_tT0_T1_T2_jT3_P12ihipStream_tbPNSt15iterator_traitsISJ_E10value_typeEPNSP_ISK_E10value_typeEPSL_NS1_7vsmem_tEENKUlT_SJ_SK_SL_E_clISE_PiSF_SF_EESI_SY_SJ_SK_SL_EUlSY_E0_NS1_11comp_targetILNS1_3genE2ELNS1_11target_archE906ELNS1_3gpuE6ELNS1_3repE0EEENS1_38merge_mergepath_config_static_selectorELNS0_4arch9wavefront6targetE0EEEvSK_.numbered_sgpr, 0
	.set _ZN7rocprim17ROCPRIM_400000_NS6detail17trampoline_kernelINS0_14default_configENS1_38merge_sort_block_merge_config_selectorIiNS0_10empty_typeEEEZZNS1_27merge_sort_block_merge_implIS3_N6thrust23THRUST_200600_302600_NS6detail15normal_iteratorINS9_10device_ptrIiEEEEPS5_m11less_div_10IiEEE10hipError_tT0_T1_T2_jT3_P12ihipStream_tbPNSt15iterator_traitsISJ_E10value_typeEPNSP_ISK_E10value_typeEPSL_NS1_7vsmem_tEENKUlT_SJ_SK_SL_E_clISE_PiSF_SF_EESI_SY_SJ_SK_SL_EUlSY_E0_NS1_11comp_targetILNS1_3genE2ELNS1_11target_archE906ELNS1_3gpuE6ELNS1_3repE0EEENS1_38merge_mergepath_config_static_selectorELNS0_4arch9wavefront6targetE0EEEvSK_.num_named_barrier, 0
	.set _ZN7rocprim17ROCPRIM_400000_NS6detail17trampoline_kernelINS0_14default_configENS1_38merge_sort_block_merge_config_selectorIiNS0_10empty_typeEEEZZNS1_27merge_sort_block_merge_implIS3_N6thrust23THRUST_200600_302600_NS6detail15normal_iteratorINS9_10device_ptrIiEEEEPS5_m11less_div_10IiEEE10hipError_tT0_T1_T2_jT3_P12ihipStream_tbPNSt15iterator_traitsISJ_E10value_typeEPNSP_ISK_E10value_typeEPSL_NS1_7vsmem_tEENKUlT_SJ_SK_SL_E_clISE_PiSF_SF_EESI_SY_SJ_SK_SL_EUlSY_E0_NS1_11comp_targetILNS1_3genE2ELNS1_11target_archE906ELNS1_3gpuE6ELNS1_3repE0EEENS1_38merge_mergepath_config_static_selectorELNS0_4arch9wavefront6targetE0EEEvSK_.private_seg_size, 0
	.set _ZN7rocprim17ROCPRIM_400000_NS6detail17trampoline_kernelINS0_14default_configENS1_38merge_sort_block_merge_config_selectorIiNS0_10empty_typeEEEZZNS1_27merge_sort_block_merge_implIS3_N6thrust23THRUST_200600_302600_NS6detail15normal_iteratorINS9_10device_ptrIiEEEEPS5_m11less_div_10IiEEE10hipError_tT0_T1_T2_jT3_P12ihipStream_tbPNSt15iterator_traitsISJ_E10value_typeEPNSP_ISK_E10value_typeEPSL_NS1_7vsmem_tEENKUlT_SJ_SK_SL_E_clISE_PiSF_SF_EESI_SY_SJ_SK_SL_EUlSY_E0_NS1_11comp_targetILNS1_3genE2ELNS1_11target_archE906ELNS1_3gpuE6ELNS1_3repE0EEENS1_38merge_mergepath_config_static_selectorELNS0_4arch9wavefront6targetE0EEEvSK_.uses_vcc, 0
	.set _ZN7rocprim17ROCPRIM_400000_NS6detail17trampoline_kernelINS0_14default_configENS1_38merge_sort_block_merge_config_selectorIiNS0_10empty_typeEEEZZNS1_27merge_sort_block_merge_implIS3_N6thrust23THRUST_200600_302600_NS6detail15normal_iteratorINS9_10device_ptrIiEEEEPS5_m11less_div_10IiEEE10hipError_tT0_T1_T2_jT3_P12ihipStream_tbPNSt15iterator_traitsISJ_E10value_typeEPNSP_ISK_E10value_typeEPSL_NS1_7vsmem_tEENKUlT_SJ_SK_SL_E_clISE_PiSF_SF_EESI_SY_SJ_SK_SL_EUlSY_E0_NS1_11comp_targetILNS1_3genE2ELNS1_11target_archE906ELNS1_3gpuE6ELNS1_3repE0EEENS1_38merge_mergepath_config_static_selectorELNS0_4arch9wavefront6targetE0EEEvSK_.uses_flat_scratch, 0
	.set _ZN7rocprim17ROCPRIM_400000_NS6detail17trampoline_kernelINS0_14default_configENS1_38merge_sort_block_merge_config_selectorIiNS0_10empty_typeEEEZZNS1_27merge_sort_block_merge_implIS3_N6thrust23THRUST_200600_302600_NS6detail15normal_iteratorINS9_10device_ptrIiEEEEPS5_m11less_div_10IiEEE10hipError_tT0_T1_T2_jT3_P12ihipStream_tbPNSt15iterator_traitsISJ_E10value_typeEPNSP_ISK_E10value_typeEPSL_NS1_7vsmem_tEENKUlT_SJ_SK_SL_E_clISE_PiSF_SF_EESI_SY_SJ_SK_SL_EUlSY_E0_NS1_11comp_targetILNS1_3genE2ELNS1_11target_archE906ELNS1_3gpuE6ELNS1_3repE0EEENS1_38merge_mergepath_config_static_selectorELNS0_4arch9wavefront6targetE0EEEvSK_.has_dyn_sized_stack, 0
	.set _ZN7rocprim17ROCPRIM_400000_NS6detail17trampoline_kernelINS0_14default_configENS1_38merge_sort_block_merge_config_selectorIiNS0_10empty_typeEEEZZNS1_27merge_sort_block_merge_implIS3_N6thrust23THRUST_200600_302600_NS6detail15normal_iteratorINS9_10device_ptrIiEEEEPS5_m11less_div_10IiEEE10hipError_tT0_T1_T2_jT3_P12ihipStream_tbPNSt15iterator_traitsISJ_E10value_typeEPNSP_ISK_E10value_typeEPSL_NS1_7vsmem_tEENKUlT_SJ_SK_SL_E_clISE_PiSF_SF_EESI_SY_SJ_SK_SL_EUlSY_E0_NS1_11comp_targetILNS1_3genE2ELNS1_11target_archE906ELNS1_3gpuE6ELNS1_3repE0EEENS1_38merge_mergepath_config_static_selectorELNS0_4arch9wavefront6targetE0EEEvSK_.has_recursion, 0
	.set _ZN7rocprim17ROCPRIM_400000_NS6detail17trampoline_kernelINS0_14default_configENS1_38merge_sort_block_merge_config_selectorIiNS0_10empty_typeEEEZZNS1_27merge_sort_block_merge_implIS3_N6thrust23THRUST_200600_302600_NS6detail15normal_iteratorINS9_10device_ptrIiEEEEPS5_m11less_div_10IiEEE10hipError_tT0_T1_T2_jT3_P12ihipStream_tbPNSt15iterator_traitsISJ_E10value_typeEPNSP_ISK_E10value_typeEPSL_NS1_7vsmem_tEENKUlT_SJ_SK_SL_E_clISE_PiSF_SF_EESI_SY_SJ_SK_SL_EUlSY_E0_NS1_11comp_targetILNS1_3genE2ELNS1_11target_archE906ELNS1_3gpuE6ELNS1_3repE0EEENS1_38merge_mergepath_config_static_selectorELNS0_4arch9wavefront6targetE0EEEvSK_.has_indirect_call, 0
	.section	.AMDGPU.csdata,"",@progbits
; Kernel info:
; codeLenInByte = 0
; TotalNumSgprs: 0
; NumVgprs: 0
; ScratchSize: 0
; MemoryBound: 0
; FloatMode: 240
; IeeeMode: 1
; LDSByteSize: 0 bytes/workgroup (compile time only)
; SGPRBlocks: 0
; VGPRBlocks: 0
; NumSGPRsForWavesPerEU: 1
; NumVGPRsForWavesPerEU: 1
; Occupancy: 16
; WaveLimiterHint : 0
; COMPUTE_PGM_RSRC2:SCRATCH_EN: 0
; COMPUTE_PGM_RSRC2:USER_SGPR: 6
; COMPUTE_PGM_RSRC2:TRAP_HANDLER: 0
; COMPUTE_PGM_RSRC2:TGID_X_EN: 1
; COMPUTE_PGM_RSRC2:TGID_Y_EN: 0
; COMPUTE_PGM_RSRC2:TGID_Z_EN: 0
; COMPUTE_PGM_RSRC2:TIDIG_COMP_CNT: 0
	.section	.text._ZN7rocprim17ROCPRIM_400000_NS6detail17trampoline_kernelINS0_14default_configENS1_38merge_sort_block_merge_config_selectorIiNS0_10empty_typeEEEZZNS1_27merge_sort_block_merge_implIS3_N6thrust23THRUST_200600_302600_NS6detail15normal_iteratorINS9_10device_ptrIiEEEEPS5_m11less_div_10IiEEE10hipError_tT0_T1_T2_jT3_P12ihipStream_tbPNSt15iterator_traitsISJ_E10value_typeEPNSP_ISK_E10value_typeEPSL_NS1_7vsmem_tEENKUlT_SJ_SK_SL_E_clISE_PiSF_SF_EESI_SY_SJ_SK_SL_EUlSY_E0_NS1_11comp_targetILNS1_3genE9ELNS1_11target_archE1100ELNS1_3gpuE3ELNS1_3repE0EEENS1_38merge_mergepath_config_static_selectorELNS0_4arch9wavefront6targetE0EEEvSK_,"axG",@progbits,_ZN7rocprim17ROCPRIM_400000_NS6detail17trampoline_kernelINS0_14default_configENS1_38merge_sort_block_merge_config_selectorIiNS0_10empty_typeEEEZZNS1_27merge_sort_block_merge_implIS3_N6thrust23THRUST_200600_302600_NS6detail15normal_iteratorINS9_10device_ptrIiEEEEPS5_m11less_div_10IiEEE10hipError_tT0_T1_T2_jT3_P12ihipStream_tbPNSt15iterator_traitsISJ_E10value_typeEPNSP_ISK_E10value_typeEPSL_NS1_7vsmem_tEENKUlT_SJ_SK_SL_E_clISE_PiSF_SF_EESI_SY_SJ_SK_SL_EUlSY_E0_NS1_11comp_targetILNS1_3genE9ELNS1_11target_archE1100ELNS1_3gpuE3ELNS1_3repE0EEENS1_38merge_mergepath_config_static_selectorELNS0_4arch9wavefront6targetE0EEEvSK_,comdat
	.protected	_ZN7rocprim17ROCPRIM_400000_NS6detail17trampoline_kernelINS0_14default_configENS1_38merge_sort_block_merge_config_selectorIiNS0_10empty_typeEEEZZNS1_27merge_sort_block_merge_implIS3_N6thrust23THRUST_200600_302600_NS6detail15normal_iteratorINS9_10device_ptrIiEEEEPS5_m11less_div_10IiEEE10hipError_tT0_T1_T2_jT3_P12ihipStream_tbPNSt15iterator_traitsISJ_E10value_typeEPNSP_ISK_E10value_typeEPSL_NS1_7vsmem_tEENKUlT_SJ_SK_SL_E_clISE_PiSF_SF_EESI_SY_SJ_SK_SL_EUlSY_E0_NS1_11comp_targetILNS1_3genE9ELNS1_11target_archE1100ELNS1_3gpuE3ELNS1_3repE0EEENS1_38merge_mergepath_config_static_selectorELNS0_4arch9wavefront6targetE0EEEvSK_ ; -- Begin function _ZN7rocprim17ROCPRIM_400000_NS6detail17trampoline_kernelINS0_14default_configENS1_38merge_sort_block_merge_config_selectorIiNS0_10empty_typeEEEZZNS1_27merge_sort_block_merge_implIS3_N6thrust23THRUST_200600_302600_NS6detail15normal_iteratorINS9_10device_ptrIiEEEEPS5_m11less_div_10IiEEE10hipError_tT0_T1_T2_jT3_P12ihipStream_tbPNSt15iterator_traitsISJ_E10value_typeEPNSP_ISK_E10value_typeEPSL_NS1_7vsmem_tEENKUlT_SJ_SK_SL_E_clISE_PiSF_SF_EESI_SY_SJ_SK_SL_EUlSY_E0_NS1_11comp_targetILNS1_3genE9ELNS1_11target_archE1100ELNS1_3gpuE3ELNS1_3repE0EEENS1_38merge_mergepath_config_static_selectorELNS0_4arch9wavefront6targetE0EEEvSK_
	.globl	_ZN7rocprim17ROCPRIM_400000_NS6detail17trampoline_kernelINS0_14default_configENS1_38merge_sort_block_merge_config_selectorIiNS0_10empty_typeEEEZZNS1_27merge_sort_block_merge_implIS3_N6thrust23THRUST_200600_302600_NS6detail15normal_iteratorINS9_10device_ptrIiEEEEPS5_m11less_div_10IiEEE10hipError_tT0_T1_T2_jT3_P12ihipStream_tbPNSt15iterator_traitsISJ_E10value_typeEPNSP_ISK_E10value_typeEPSL_NS1_7vsmem_tEENKUlT_SJ_SK_SL_E_clISE_PiSF_SF_EESI_SY_SJ_SK_SL_EUlSY_E0_NS1_11comp_targetILNS1_3genE9ELNS1_11target_archE1100ELNS1_3gpuE3ELNS1_3repE0EEENS1_38merge_mergepath_config_static_selectorELNS0_4arch9wavefront6targetE0EEEvSK_
	.p2align	8
	.type	_ZN7rocprim17ROCPRIM_400000_NS6detail17trampoline_kernelINS0_14default_configENS1_38merge_sort_block_merge_config_selectorIiNS0_10empty_typeEEEZZNS1_27merge_sort_block_merge_implIS3_N6thrust23THRUST_200600_302600_NS6detail15normal_iteratorINS9_10device_ptrIiEEEEPS5_m11less_div_10IiEEE10hipError_tT0_T1_T2_jT3_P12ihipStream_tbPNSt15iterator_traitsISJ_E10value_typeEPNSP_ISK_E10value_typeEPSL_NS1_7vsmem_tEENKUlT_SJ_SK_SL_E_clISE_PiSF_SF_EESI_SY_SJ_SK_SL_EUlSY_E0_NS1_11comp_targetILNS1_3genE9ELNS1_11target_archE1100ELNS1_3gpuE3ELNS1_3repE0EEENS1_38merge_mergepath_config_static_selectorELNS0_4arch9wavefront6targetE0EEEvSK_,@function
_ZN7rocprim17ROCPRIM_400000_NS6detail17trampoline_kernelINS0_14default_configENS1_38merge_sort_block_merge_config_selectorIiNS0_10empty_typeEEEZZNS1_27merge_sort_block_merge_implIS3_N6thrust23THRUST_200600_302600_NS6detail15normal_iteratorINS9_10device_ptrIiEEEEPS5_m11less_div_10IiEEE10hipError_tT0_T1_T2_jT3_P12ihipStream_tbPNSt15iterator_traitsISJ_E10value_typeEPNSP_ISK_E10value_typeEPSL_NS1_7vsmem_tEENKUlT_SJ_SK_SL_E_clISE_PiSF_SF_EESI_SY_SJ_SK_SL_EUlSY_E0_NS1_11comp_targetILNS1_3genE9ELNS1_11target_archE1100ELNS1_3gpuE3ELNS1_3repE0EEENS1_38merge_mergepath_config_static_selectorELNS0_4arch9wavefront6targetE0EEEvSK_: ; @_ZN7rocprim17ROCPRIM_400000_NS6detail17trampoline_kernelINS0_14default_configENS1_38merge_sort_block_merge_config_selectorIiNS0_10empty_typeEEEZZNS1_27merge_sort_block_merge_implIS3_N6thrust23THRUST_200600_302600_NS6detail15normal_iteratorINS9_10device_ptrIiEEEEPS5_m11less_div_10IiEEE10hipError_tT0_T1_T2_jT3_P12ihipStream_tbPNSt15iterator_traitsISJ_E10value_typeEPNSP_ISK_E10value_typeEPSL_NS1_7vsmem_tEENKUlT_SJ_SK_SL_E_clISE_PiSF_SF_EESI_SY_SJ_SK_SL_EUlSY_E0_NS1_11comp_targetILNS1_3genE9ELNS1_11target_archE1100ELNS1_3gpuE3ELNS1_3repE0EEENS1_38merge_mergepath_config_static_selectorELNS0_4arch9wavefront6targetE0EEEvSK_
; %bb.0:
	.section	.rodata,"a",@progbits
	.p2align	6, 0x0
	.amdhsa_kernel _ZN7rocprim17ROCPRIM_400000_NS6detail17trampoline_kernelINS0_14default_configENS1_38merge_sort_block_merge_config_selectorIiNS0_10empty_typeEEEZZNS1_27merge_sort_block_merge_implIS3_N6thrust23THRUST_200600_302600_NS6detail15normal_iteratorINS9_10device_ptrIiEEEEPS5_m11less_div_10IiEEE10hipError_tT0_T1_T2_jT3_P12ihipStream_tbPNSt15iterator_traitsISJ_E10value_typeEPNSP_ISK_E10value_typeEPSL_NS1_7vsmem_tEENKUlT_SJ_SK_SL_E_clISE_PiSF_SF_EESI_SY_SJ_SK_SL_EUlSY_E0_NS1_11comp_targetILNS1_3genE9ELNS1_11target_archE1100ELNS1_3gpuE3ELNS1_3repE0EEENS1_38merge_mergepath_config_static_selectorELNS0_4arch9wavefront6targetE0EEEvSK_
		.amdhsa_group_segment_fixed_size 0
		.amdhsa_private_segment_fixed_size 0
		.amdhsa_kernarg_size 72
		.amdhsa_user_sgpr_count 6
		.amdhsa_user_sgpr_private_segment_buffer 1
		.amdhsa_user_sgpr_dispatch_ptr 0
		.amdhsa_user_sgpr_queue_ptr 0
		.amdhsa_user_sgpr_kernarg_segment_ptr 1
		.amdhsa_user_sgpr_dispatch_id 0
		.amdhsa_user_sgpr_flat_scratch_init 0
		.amdhsa_user_sgpr_private_segment_size 0
		.amdhsa_wavefront_size32 1
		.amdhsa_uses_dynamic_stack 0
		.amdhsa_system_sgpr_private_segment_wavefront_offset 0
		.amdhsa_system_sgpr_workgroup_id_x 1
		.amdhsa_system_sgpr_workgroup_id_y 0
		.amdhsa_system_sgpr_workgroup_id_z 0
		.amdhsa_system_sgpr_workgroup_info 0
		.amdhsa_system_vgpr_workitem_id 0
		.amdhsa_next_free_vgpr 1
		.amdhsa_next_free_sgpr 1
		.amdhsa_reserve_vcc 0
		.amdhsa_reserve_flat_scratch 0
		.amdhsa_float_round_mode_32 0
		.amdhsa_float_round_mode_16_64 0
		.amdhsa_float_denorm_mode_32 3
		.amdhsa_float_denorm_mode_16_64 3
		.amdhsa_dx10_clamp 1
		.amdhsa_ieee_mode 1
		.amdhsa_fp16_overflow 0
		.amdhsa_workgroup_processor_mode 1
		.amdhsa_memory_ordered 1
		.amdhsa_forward_progress 1
		.amdhsa_shared_vgpr_count 0
		.amdhsa_exception_fp_ieee_invalid_op 0
		.amdhsa_exception_fp_denorm_src 0
		.amdhsa_exception_fp_ieee_div_zero 0
		.amdhsa_exception_fp_ieee_overflow 0
		.amdhsa_exception_fp_ieee_underflow 0
		.amdhsa_exception_fp_ieee_inexact 0
		.amdhsa_exception_int_div_zero 0
	.end_amdhsa_kernel
	.section	.text._ZN7rocprim17ROCPRIM_400000_NS6detail17trampoline_kernelINS0_14default_configENS1_38merge_sort_block_merge_config_selectorIiNS0_10empty_typeEEEZZNS1_27merge_sort_block_merge_implIS3_N6thrust23THRUST_200600_302600_NS6detail15normal_iteratorINS9_10device_ptrIiEEEEPS5_m11less_div_10IiEEE10hipError_tT0_T1_T2_jT3_P12ihipStream_tbPNSt15iterator_traitsISJ_E10value_typeEPNSP_ISK_E10value_typeEPSL_NS1_7vsmem_tEENKUlT_SJ_SK_SL_E_clISE_PiSF_SF_EESI_SY_SJ_SK_SL_EUlSY_E0_NS1_11comp_targetILNS1_3genE9ELNS1_11target_archE1100ELNS1_3gpuE3ELNS1_3repE0EEENS1_38merge_mergepath_config_static_selectorELNS0_4arch9wavefront6targetE0EEEvSK_,"axG",@progbits,_ZN7rocprim17ROCPRIM_400000_NS6detail17trampoline_kernelINS0_14default_configENS1_38merge_sort_block_merge_config_selectorIiNS0_10empty_typeEEEZZNS1_27merge_sort_block_merge_implIS3_N6thrust23THRUST_200600_302600_NS6detail15normal_iteratorINS9_10device_ptrIiEEEEPS5_m11less_div_10IiEEE10hipError_tT0_T1_T2_jT3_P12ihipStream_tbPNSt15iterator_traitsISJ_E10value_typeEPNSP_ISK_E10value_typeEPSL_NS1_7vsmem_tEENKUlT_SJ_SK_SL_E_clISE_PiSF_SF_EESI_SY_SJ_SK_SL_EUlSY_E0_NS1_11comp_targetILNS1_3genE9ELNS1_11target_archE1100ELNS1_3gpuE3ELNS1_3repE0EEENS1_38merge_mergepath_config_static_selectorELNS0_4arch9wavefront6targetE0EEEvSK_,comdat
.Lfunc_end467:
	.size	_ZN7rocprim17ROCPRIM_400000_NS6detail17trampoline_kernelINS0_14default_configENS1_38merge_sort_block_merge_config_selectorIiNS0_10empty_typeEEEZZNS1_27merge_sort_block_merge_implIS3_N6thrust23THRUST_200600_302600_NS6detail15normal_iteratorINS9_10device_ptrIiEEEEPS5_m11less_div_10IiEEE10hipError_tT0_T1_T2_jT3_P12ihipStream_tbPNSt15iterator_traitsISJ_E10value_typeEPNSP_ISK_E10value_typeEPSL_NS1_7vsmem_tEENKUlT_SJ_SK_SL_E_clISE_PiSF_SF_EESI_SY_SJ_SK_SL_EUlSY_E0_NS1_11comp_targetILNS1_3genE9ELNS1_11target_archE1100ELNS1_3gpuE3ELNS1_3repE0EEENS1_38merge_mergepath_config_static_selectorELNS0_4arch9wavefront6targetE0EEEvSK_, .Lfunc_end467-_ZN7rocprim17ROCPRIM_400000_NS6detail17trampoline_kernelINS0_14default_configENS1_38merge_sort_block_merge_config_selectorIiNS0_10empty_typeEEEZZNS1_27merge_sort_block_merge_implIS3_N6thrust23THRUST_200600_302600_NS6detail15normal_iteratorINS9_10device_ptrIiEEEEPS5_m11less_div_10IiEEE10hipError_tT0_T1_T2_jT3_P12ihipStream_tbPNSt15iterator_traitsISJ_E10value_typeEPNSP_ISK_E10value_typeEPSL_NS1_7vsmem_tEENKUlT_SJ_SK_SL_E_clISE_PiSF_SF_EESI_SY_SJ_SK_SL_EUlSY_E0_NS1_11comp_targetILNS1_3genE9ELNS1_11target_archE1100ELNS1_3gpuE3ELNS1_3repE0EEENS1_38merge_mergepath_config_static_selectorELNS0_4arch9wavefront6targetE0EEEvSK_
                                        ; -- End function
	.set _ZN7rocprim17ROCPRIM_400000_NS6detail17trampoline_kernelINS0_14default_configENS1_38merge_sort_block_merge_config_selectorIiNS0_10empty_typeEEEZZNS1_27merge_sort_block_merge_implIS3_N6thrust23THRUST_200600_302600_NS6detail15normal_iteratorINS9_10device_ptrIiEEEEPS5_m11less_div_10IiEEE10hipError_tT0_T1_T2_jT3_P12ihipStream_tbPNSt15iterator_traitsISJ_E10value_typeEPNSP_ISK_E10value_typeEPSL_NS1_7vsmem_tEENKUlT_SJ_SK_SL_E_clISE_PiSF_SF_EESI_SY_SJ_SK_SL_EUlSY_E0_NS1_11comp_targetILNS1_3genE9ELNS1_11target_archE1100ELNS1_3gpuE3ELNS1_3repE0EEENS1_38merge_mergepath_config_static_selectorELNS0_4arch9wavefront6targetE0EEEvSK_.num_vgpr, 0
	.set _ZN7rocprim17ROCPRIM_400000_NS6detail17trampoline_kernelINS0_14default_configENS1_38merge_sort_block_merge_config_selectorIiNS0_10empty_typeEEEZZNS1_27merge_sort_block_merge_implIS3_N6thrust23THRUST_200600_302600_NS6detail15normal_iteratorINS9_10device_ptrIiEEEEPS5_m11less_div_10IiEEE10hipError_tT0_T1_T2_jT3_P12ihipStream_tbPNSt15iterator_traitsISJ_E10value_typeEPNSP_ISK_E10value_typeEPSL_NS1_7vsmem_tEENKUlT_SJ_SK_SL_E_clISE_PiSF_SF_EESI_SY_SJ_SK_SL_EUlSY_E0_NS1_11comp_targetILNS1_3genE9ELNS1_11target_archE1100ELNS1_3gpuE3ELNS1_3repE0EEENS1_38merge_mergepath_config_static_selectorELNS0_4arch9wavefront6targetE0EEEvSK_.num_agpr, 0
	.set _ZN7rocprim17ROCPRIM_400000_NS6detail17trampoline_kernelINS0_14default_configENS1_38merge_sort_block_merge_config_selectorIiNS0_10empty_typeEEEZZNS1_27merge_sort_block_merge_implIS3_N6thrust23THRUST_200600_302600_NS6detail15normal_iteratorINS9_10device_ptrIiEEEEPS5_m11less_div_10IiEEE10hipError_tT0_T1_T2_jT3_P12ihipStream_tbPNSt15iterator_traitsISJ_E10value_typeEPNSP_ISK_E10value_typeEPSL_NS1_7vsmem_tEENKUlT_SJ_SK_SL_E_clISE_PiSF_SF_EESI_SY_SJ_SK_SL_EUlSY_E0_NS1_11comp_targetILNS1_3genE9ELNS1_11target_archE1100ELNS1_3gpuE3ELNS1_3repE0EEENS1_38merge_mergepath_config_static_selectorELNS0_4arch9wavefront6targetE0EEEvSK_.numbered_sgpr, 0
	.set _ZN7rocprim17ROCPRIM_400000_NS6detail17trampoline_kernelINS0_14default_configENS1_38merge_sort_block_merge_config_selectorIiNS0_10empty_typeEEEZZNS1_27merge_sort_block_merge_implIS3_N6thrust23THRUST_200600_302600_NS6detail15normal_iteratorINS9_10device_ptrIiEEEEPS5_m11less_div_10IiEEE10hipError_tT0_T1_T2_jT3_P12ihipStream_tbPNSt15iterator_traitsISJ_E10value_typeEPNSP_ISK_E10value_typeEPSL_NS1_7vsmem_tEENKUlT_SJ_SK_SL_E_clISE_PiSF_SF_EESI_SY_SJ_SK_SL_EUlSY_E0_NS1_11comp_targetILNS1_3genE9ELNS1_11target_archE1100ELNS1_3gpuE3ELNS1_3repE0EEENS1_38merge_mergepath_config_static_selectorELNS0_4arch9wavefront6targetE0EEEvSK_.num_named_barrier, 0
	.set _ZN7rocprim17ROCPRIM_400000_NS6detail17trampoline_kernelINS0_14default_configENS1_38merge_sort_block_merge_config_selectorIiNS0_10empty_typeEEEZZNS1_27merge_sort_block_merge_implIS3_N6thrust23THRUST_200600_302600_NS6detail15normal_iteratorINS9_10device_ptrIiEEEEPS5_m11less_div_10IiEEE10hipError_tT0_T1_T2_jT3_P12ihipStream_tbPNSt15iterator_traitsISJ_E10value_typeEPNSP_ISK_E10value_typeEPSL_NS1_7vsmem_tEENKUlT_SJ_SK_SL_E_clISE_PiSF_SF_EESI_SY_SJ_SK_SL_EUlSY_E0_NS1_11comp_targetILNS1_3genE9ELNS1_11target_archE1100ELNS1_3gpuE3ELNS1_3repE0EEENS1_38merge_mergepath_config_static_selectorELNS0_4arch9wavefront6targetE0EEEvSK_.private_seg_size, 0
	.set _ZN7rocprim17ROCPRIM_400000_NS6detail17trampoline_kernelINS0_14default_configENS1_38merge_sort_block_merge_config_selectorIiNS0_10empty_typeEEEZZNS1_27merge_sort_block_merge_implIS3_N6thrust23THRUST_200600_302600_NS6detail15normal_iteratorINS9_10device_ptrIiEEEEPS5_m11less_div_10IiEEE10hipError_tT0_T1_T2_jT3_P12ihipStream_tbPNSt15iterator_traitsISJ_E10value_typeEPNSP_ISK_E10value_typeEPSL_NS1_7vsmem_tEENKUlT_SJ_SK_SL_E_clISE_PiSF_SF_EESI_SY_SJ_SK_SL_EUlSY_E0_NS1_11comp_targetILNS1_3genE9ELNS1_11target_archE1100ELNS1_3gpuE3ELNS1_3repE0EEENS1_38merge_mergepath_config_static_selectorELNS0_4arch9wavefront6targetE0EEEvSK_.uses_vcc, 0
	.set _ZN7rocprim17ROCPRIM_400000_NS6detail17trampoline_kernelINS0_14default_configENS1_38merge_sort_block_merge_config_selectorIiNS0_10empty_typeEEEZZNS1_27merge_sort_block_merge_implIS3_N6thrust23THRUST_200600_302600_NS6detail15normal_iteratorINS9_10device_ptrIiEEEEPS5_m11less_div_10IiEEE10hipError_tT0_T1_T2_jT3_P12ihipStream_tbPNSt15iterator_traitsISJ_E10value_typeEPNSP_ISK_E10value_typeEPSL_NS1_7vsmem_tEENKUlT_SJ_SK_SL_E_clISE_PiSF_SF_EESI_SY_SJ_SK_SL_EUlSY_E0_NS1_11comp_targetILNS1_3genE9ELNS1_11target_archE1100ELNS1_3gpuE3ELNS1_3repE0EEENS1_38merge_mergepath_config_static_selectorELNS0_4arch9wavefront6targetE0EEEvSK_.uses_flat_scratch, 0
	.set _ZN7rocprim17ROCPRIM_400000_NS6detail17trampoline_kernelINS0_14default_configENS1_38merge_sort_block_merge_config_selectorIiNS0_10empty_typeEEEZZNS1_27merge_sort_block_merge_implIS3_N6thrust23THRUST_200600_302600_NS6detail15normal_iteratorINS9_10device_ptrIiEEEEPS5_m11less_div_10IiEEE10hipError_tT0_T1_T2_jT3_P12ihipStream_tbPNSt15iterator_traitsISJ_E10value_typeEPNSP_ISK_E10value_typeEPSL_NS1_7vsmem_tEENKUlT_SJ_SK_SL_E_clISE_PiSF_SF_EESI_SY_SJ_SK_SL_EUlSY_E0_NS1_11comp_targetILNS1_3genE9ELNS1_11target_archE1100ELNS1_3gpuE3ELNS1_3repE0EEENS1_38merge_mergepath_config_static_selectorELNS0_4arch9wavefront6targetE0EEEvSK_.has_dyn_sized_stack, 0
	.set _ZN7rocprim17ROCPRIM_400000_NS6detail17trampoline_kernelINS0_14default_configENS1_38merge_sort_block_merge_config_selectorIiNS0_10empty_typeEEEZZNS1_27merge_sort_block_merge_implIS3_N6thrust23THRUST_200600_302600_NS6detail15normal_iteratorINS9_10device_ptrIiEEEEPS5_m11less_div_10IiEEE10hipError_tT0_T1_T2_jT3_P12ihipStream_tbPNSt15iterator_traitsISJ_E10value_typeEPNSP_ISK_E10value_typeEPSL_NS1_7vsmem_tEENKUlT_SJ_SK_SL_E_clISE_PiSF_SF_EESI_SY_SJ_SK_SL_EUlSY_E0_NS1_11comp_targetILNS1_3genE9ELNS1_11target_archE1100ELNS1_3gpuE3ELNS1_3repE0EEENS1_38merge_mergepath_config_static_selectorELNS0_4arch9wavefront6targetE0EEEvSK_.has_recursion, 0
	.set _ZN7rocprim17ROCPRIM_400000_NS6detail17trampoline_kernelINS0_14default_configENS1_38merge_sort_block_merge_config_selectorIiNS0_10empty_typeEEEZZNS1_27merge_sort_block_merge_implIS3_N6thrust23THRUST_200600_302600_NS6detail15normal_iteratorINS9_10device_ptrIiEEEEPS5_m11less_div_10IiEEE10hipError_tT0_T1_T2_jT3_P12ihipStream_tbPNSt15iterator_traitsISJ_E10value_typeEPNSP_ISK_E10value_typeEPSL_NS1_7vsmem_tEENKUlT_SJ_SK_SL_E_clISE_PiSF_SF_EESI_SY_SJ_SK_SL_EUlSY_E0_NS1_11comp_targetILNS1_3genE9ELNS1_11target_archE1100ELNS1_3gpuE3ELNS1_3repE0EEENS1_38merge_mergepath_config_static_selectorELNS0_4arch9wavefront6targetE0EEEvSK_.has_indirect_call, 0
	.section	.AMDGPU.csdata,"",@progbits
; Kernel info:
; codeLenInByte = 0
; TotalNumSgprs: 0
; NumVgprs: 0
; ScratchSize: 0
; MemoryBound: 0
; FloatMode: 240
; IeeeMode: 1
; LDSByteSize: 0 bytes/workgroup (compile time only)
; SGPRBlocks: 0
; VGPRBlocks: 0
; NumSGPRsForWavesPerEU: 1
; NumVGPRsForWavesPerEU: 1
; Occupancy: 16
; WaveLimiterHint : 0
; COMPUTE_PGM_RSRC2:SCRATCH_EN: 0
; COMPUTE_PGM_RSRC2:USER_SGPR: 6
; COMPUTE_PGM_RSRC2:TRAP_HANDLER: 0
; COMPUTE_PGM_RSRC2:TGID_X_EN: 1
; COMPUTE_PGM_RSRC2:TGID_Y_EN: 0
; COMPUTE_PGM_RSRC2:TGID_Z_EN: 0
; COMPUTE_PGM_RSRC2:TIDIG_COMP_CNT: 0
	.section	.text._ZN7rocprim17ROCPRIM_400000_NS6detail17trampoline_kernelINS0_14default_configENS1_38merge_sort_block_merge_config_selectorIiNS0_10empty_typeEEEZZNS1_27merge_sort_block_merge_implIS3_N6thrust23THRUST_200600_302600_NS6detail15normal_iteratorINS9_10device_ptrIiEEEEPS5_m11less_div_10IiEEE10hipError_tT0_T1_T2_jT3_P12ihipStream_tbPNSt15iterator_traitsISJ_E10value_typeEPNSP_ISK_E10value_typeEPSL_NS1_7vsmem_tEENKUlT_SJ_SK_SL_E_clISE_PiSF_SF_EESI_SY_SJ_SK_SL_EUlSY_E0_NS1_11comp_targetILNS1_3genE8ELNS1_11target_archE1030ELNS1_3gpuE2ELNS1_3repE0EEENS1_38merge_mergepath_config_static_selectorELNS0_4arch9wavefront6targetE0EEEvSK_,"axG",@progbits,_ZN7rocprim17ROCPRIM_400000_NS6detail17trampoline_kernelINS0_14default_configENS1_38merge_sort_block_merge_config_selectorIiNS0_10empty_typeEEEZZNS1_27merge_sort_block_merge_implIS3_N6thrust23THRUST_200600_302600_NS6detail15normal_iteratorINS9_10device_ptrIiEEEEPS5_m11less_div_10IiEEE10hipError_tT0_T1_T2_jT3_P12ihipStream_tbPNSt15iterator_traitsISJ_E10value_typeEPNSP_ISK_E10value_typeEPSL_NS1_7vsmem_tEENKUlT_SJ_SK_SL_E_clISE_PiSF_SF_EESI_SY_SJ_SK_SL_EUlSY_E0_NS1_11comp_targetILNS1_3genE8ELNS1_11target_archE1030ELNS1_3gpuE2ELNS1_3repE0EEENS1_38merge_mergepath_config_static_selectorELNS0_4arch9wavefront6targetE0EEEvSK_,comdat
	.protected	_ZN7rocprim17ROCPRIM_400000_NS6detail17trampoline_kernelINS0_14default_configENS1_38merge_sort_block_merge_config_selectorIiNS0_10empty_typeEEEZZNS1_27merge_sort_block_merge_implIS3_N6thrust23THRUST_200600_302600_NS6detail15normal_iteratorINS9_10device_ptrIiEEEEPS5_m11less_div_10IiEEE10hipError_tT0_T1_T2_jT3_P12ihipStream_tbPNSt15iterator_traitsISJ_E10value_typeEPNSP_ISK_E10value_typeEPSL_NS1_7vsmem_tEENKUlT_SJ_SK_SL_E_clISE_PiSF_SF_EESI_SY_SJ_SK_SL_EUlSY_E0_NS1_11comp_targetILNS1_3genE8ELNS1_11target_archE1030ELNS1_3gpuE2ELNS1_3repE0EEENS1_38merge_mergepath_config_static_selectorELNS0_4arch9wavefront6targetE0EEEvSK_ ; -- Begin function _ZN7rocprim17ROCPRIM_400000_NS6detail17trampoline_kernelINS0_14default_configENS1_38merge_sort_block_merge_config_selectorIiNS0_10empty_typeEEEZZNS1_27merge_sort_block_merge_implIS3_N6thrust23THRUST_200600_302600_NS6detail15normal_iteratorINS9_10device_ptrIiEEEEPS5_m11less_div_10IiEEE10hipError_tT0_T1_T2_jT3_P12ihipStream_tbPNSt15iterator_traitsISJ_E10value_typeEPNSP_ISK_E10value_typeEPSL_NS1_7vsmem_tEENKUlT_SJ_SK_SL_E_clISE_PiSF_SF_EESI_SY_SJ_SK_SL_EUlSY_E0_NS1_11comp_targetILNS1_3genE8ELNS1_11target_archE1030ELNS1_3gpuE2ELNS1_3repE0EEENS1_38merge_mergepath_config_static_selectorELNS0_4arch9wavefront6targetE0EEEvSK_
	.globl	_ZN7rocprim17ROCPRIM_400000_NS6detail17trampoline_kernelINS0_14default_configENS1_38merge_sort_block_merge_config_selectorIiNS0_10empty_typeEEEZZNS1_27merge_sort_block_merge_implIS3_N6thrust23THRUST_200600_302600_NS6detail15normal_iteratorINS9_10device_ptrIiEEEEPS5_m11less_div_10IiEEE10hipError_tT0_T1_T2_jT3_P12ihipStream_tbPNSt15iterator_traitsISJ_E10value_typeEPNSP_ISK_E10value_typeEPSL_NS1_7vsmem_tEENKUlT_SJ_SK_SL_E_clISE_PiSF_SF_EESI_SY_SJ_SK_SL_EUlSY_E0_NS1_11comp_targetILNS1_3genE8ELNS1_11target_archE1030ELNS1_3gpuE2ELNS1_3repE0EEENS1_38merge_mergepath_config_static_selectorELNS0_4arch9wavefront6targetE0EEEvSK_
	.p2align	8
	.type	_ZN7rocprim17ROCPRIM_400000_NS6detail17trampoline_kernelINS0_14default_configENS1_38merge_sort_block_merge_config_selectorIiNS0_10empty_typeEEEZZNS1_27merge_sort_block_merge_implIS3_N6thrust23THRUST_200600_302600_NS6detail15normal_iteratorINS9_10device_ptrIiEEEEPS5_m11less_div_10IiEEE10hipError_tT0_T1_T2_jT3_P12ihipStream_tbPNSt15iterator_traitsISJ_E10value_typeEPNSP_ISK_E10value_typeEPSL_NS1_7vsmem_tEENKUlT_SJ_SK_SL_E_clISE_PiSF_SF_EESI_SY_SJ_SK_SL_EUlSY_E0_NS1_11comp_targetILNS1_3genE8ELNS1_11target_archE1030ELNS1_3gpuE2ELNS1_3repE0EEENS1_38merge_mergepath_config_static_selectorELNS0_4arch9wavefront6targetE0EEEvSK_,@function
_ZN7rocprim17ROCPRIM_400000_NS6detail17trampoline_kernelINS0_14default_configENS1_38merge_sort_block_merge_config_selectorIiNS0_10empty_typeEEEZZNS1_27merge_sort_block_merge_implIS3_N6thrust23THRUST_200600_302600_NS6detail15normal_iteratorINS9_10device_ptrIiEEEEPS5_m11less_div_10IiEEE10hipError_tT0_T1_T2_jT3_P12ihipStream_tbPNSt15iterator_traitsISJ_E10value_typeEPNSP_ISK_E10value_typeEPSL_NS1_7vsmem_tEENKUlT_SJ_SK_SL_E_clISE_PiSF_SF_EESI_SY_SJ_SK_SL_EUlSY_E0_NS1_11comp_targetILNS1_3genE8ELNS1_11target_archE1030ELNS1_3gpuE2ELNS1_3repE0EEENS1_38merge_mergepath_config_static_selectorELNS0_4arch9wavefront6targetE0EEEvSK_: ; @_ZN7rocprim17ROCPRIM_400000_NS6detail17trampoline_kernelINS0_14default_configENS1_38merge_sort_block_merge_config_selectorIiNS0_10empty_typeEEEZZNS1_27merge_sort_block_merge_implIS3_N6thrust23THRUST_200600_302600_NS6detail15normal_iteratorINS9_10device_ptrIiEEEEPS5_m11less_div_10IiEEE10hipError_tT0_T1_T2_jT3_P12ihipStream_tbPNSt15iterator_traitsISJ_E10value_typeEPNSP_ISK_E10value_typeEPSL_NS1_7vsmem_tEENKUlT_SJ_SK_SL_E_clISE_PiSF_SF_EESI_SY_SJ_SK_SL_EUlSY_E0_NS1_11comp_targetILNS1_3genE8ELNS1_11target_archE1030ELNS1_3gpuE2ELNS1_3repE0EEENS1_38merge_mergepath_config_static_selectorELNS0_4arch9wavefront6targetE0EEEvSK_
; %bb.0:
	s_clause 0x1
	s_load_dwordx2 s[22:23], s[4:5], 0x48
	s_load_dword s0, s[4:5], 0x38
	s_add_u32 s20, s4, 0x48
	s_addc_u32 s21, s5, 0
	s_waitcnt lgkmcnt(0)
	s_mul_i32 s1, s23, s8
	s_add_i32 s1, s1, s7
	s_mul_i32 s1, s1, s22
	s_add_i32 s18, s1, s6
	s_cmp_ge_u32 s18, s0
	s_cbranch_scc1 .LBB468_35
; %bb.1:
	s_clause 0x1
	s_load_dwordx2 s[0:1], s[4:5], 0x40
	s_load_dwordx4 s[8:11], s[4:5], 0x28
	s_mov_b32 s19, 0
	s_lshl_b64 s[2:3], s[18:19], 3
	s_waitcnt lgkmcnt(0)
	s_add_u32 s0, s0, s2
	s_addc_u32 s1, s1, s3
	s_lshl_b64 s[16:17], s[18:19], 10
	s_load_dwordx4 s[12:15], s[0:1], 0x0
	s_lshr_b64 s[0:1], s[10:11], 9
	s_mov_b32 s1, s19
	s_and_b32 s0, s0, -2
	s_sub_i32 s30, 0, s0
	s_and_b32 s0, s18, s30
	s_lshl_b64 s[24:25], s[0:1], 10
	s_sub_u32 s7, s16, s24
	s_subb_u32 s23, s17, s25
	s_lshl_b64 s[26:27], s[0:1], 11
	s_load_dwordx4 s[0:3], s[4:5], 0x8
	s_add_u32 s4, s26, s10
	s_addc_u32 s26, s27, s11
	s_add_u32 s5, s4, s7
	s_addc_u32 s7, s26, s23
	s_waitcnt lgkmcnt(0)
	s_sub_u32 s23, s5, s14
	s_subb_u32 s15, s7, s15
	s_add_u32 s28, s23, 0x400
	s_addc_u32 s29, s15, 0
	v_cmp_lt_u64_e64 s15, s[8:9], s[28:29]
	s_and_b32 s15, s15, exec_lo
	s_cselect_b32 s23, s8, s28
	s_or_b32 s15, s18, s30
	s_cmp_lg_u32 s15, -1
	s_mov_b32 s15, -1
	s_cbranch_scc1 .LBB468_3
; %bb.2:
	s_sub_u32 s24, s4, s24
	s_subb_u32 s25, s26, s25
	v_cmp_lt_u64_e64 s4, s[8:9], s[24:25]
	s_and_b32 s4, s4, exec_lo
	s_cselect_b32 s14, s8, s24
	s_add_u32 s10, s24, s10
	s_addc_u32 s11, s25, s11
	v_cmp_lt_u64_e64 s4, s[8:9], s[10:11]
	s_and_b32 s4, s4, exec_lo
	s_cselect_b32 s23, s8, s10
.LBB468_3:
	s_lshr_b64 s[24:25], s[8:9], 10
	v_mov_b32_e32 v2, 0
	s_cmp_lg_u64 s[24:25], s[18:19]
                                        ; implicit-def: $vgpr5
	s_cselect_b32 s4, -1, 0
	s_sub_u32 s10, s5, s12
	s_subb_u32 s11, s7, s13
	global_load_dword v1, v2, s[20:21] offset:14
	v_cmp_lt_u64_e64 s5, s[8:9], s[10:11]
	s_and_b32 s5, s5, exec_lo
	s_cselect_b32 s26, s8, s10
	s_cselect_b32 s27, s9, s11
	s_lshl_b64 s[10:11], s[12:13], 2
	s_sub_i32 s5, s14, s12
	s_sub_i32 s7, s23, s26
	s_add_u32 s10, s0, s10
	s_addc_u32 s11, s1, s11
	s_lshl_b64 s[12:13], s[26:27], 2
	s_add_u32 s9, s0, s12
	s_addc_u32 s1, s1, s13
	s_cmp_lt_u32 s6, s22
	s_cselect_b32 s0, 12, 18
	s_add_u32 s12, s20, s0
	s_addc_u32 s13, s21, 0
	s_cmp_eq_u64 s[24:25], s[18:19]
	global_load_ushort v3, v2, s[12:13]
	s_waitcnt vmcnt(1)
	v_lshrrev_b32_e32 v4, 16, v1
	v_and_b32_e32 v1, 0xffff, v1
	v_mul_lo_u32 v1, v1, v4
                                        ; implicit-def: $vgpr4
	s_waitcnt vmcnt(0)
	v_mul_lo_u32 v7, v1, v3
	v_lshlrev_b32_e32 v3, 2, v0
                                        ; implicit-def: $vgpr1
	v_add_nc_u32_e32 v6, v7, v0
	s_cbranch_scc0 .LBB468_25
; %bb.4:
	s_andn2_b32 vcc_lo, exec_lo, s15
	s_cbranch_vccz .LBB468_26
.LBB468_5:
	v_mov_b32_e32 v2, 0
	s_and_saveexec_b32 s6, s19
	s_cbranch_execz .LBB468_7
.LBB468_6:
	v_mov_b32_e32 v7, 0
	v_mov_b32_e32 v2, v7
	v_lshlrev_b64 v[8:9], 2, v[1:2]
	v_add_co_u32 v8, vcc_lo, s10, v8
	v_add_co_ci_u32_e64 v9, null, s11, v9, vcc_lo
	v_sub_co_u32 v6, vcc_lo, v1, s5
	v_lshlrev_b64 v[1:2], 2, v[6:7]
	v_add_co_u32 v1, s0, s9, v1
	v_add_co_ci_u32_e64 v2, null, s1, v2, s0
	v_cndmask_b32_e32 v1, v1, v8, vcc_lo
	v_cndmask_b32_e32 v2, v2, v9, vcc_lo
	global_load_dword v2, v[1:2], off
.LBB468_7:
	s_or_b32 exec_lo, exec_lo, s6
	v_lshlrev_b32_e32 v1, 1, v0
	s_mov_b32 s0, exec_lo
	s_waitcnt vmcnt(0)
	ds_write2st64_b32 v3, v5, v2 offset1:8
	s_waitcnt lgkmcnt(0)
	s_barrier
	v_min_u32_e32 v7, v4, v1
	buffer_gl0_inv
	v_sub_nc_u32_e64 v6, v7, s7 clamp
	v_min_u32_e32 v8, s5, v7
	v_cmpx_lt_u32_e64 v6, v8
	s_cbranch_execz .LBB468_11
; %bb.8:
	v_lshlrev_b32_e32 v9, 2, v7
	s_mov_b32 s1, 0
	v_lshl_add_u32 v9, s5, 2, v9
	.p2align	6
.LBB468_9:                              ; =>This Inner Loop Header: Depth=1
	v_add_nc_u32_e32 v10, v8, v6
	v_lshrrev_b32_e32 v10, 1, v10
	v_not_b32_e32 v11, v10
	v_lshlrev_b32_e32 v12, 2, v10
	v_lshl_add_u32 v11, v11, 2, v9
	ds_read_b32 v12, v12
	ds_read_b32 v11, v11
	s_waitcnt lgkmcnt(1)
	v_mul_hi_i32 v12, 0x66666667, v12
	s_waitcnt lgkmcnt(0)
	v_mul_hi_i32 v11, 0x66666667, v11
	v_lshrrev_b32_e32 v13, 31, v12
	v_ashrrev_i32_e32 v12, 2, v12
	v_lshrrev_b32_e32 v14, 31, v11
	v_ashrrev_i32_e32 v11, 2, v11
	v_add_nc_u32_e32 v12, v12, v13
	v_add_nc_u32_e32 v13, 1, v10
	;; [unrolled: 1-line block ×3, first 2 shown]
	v_cmp_lt_i32_e32 vcc_lo, v11, v12
	v_cndmask_b32_e32 v8, v8, v10, vcc_lo
	v_cndmask_b32_e32 v6, v13, v6, vcc_lo
	v_cmp_ge_u32_e32 vcc_lo, v6, v8
	s_or_b32 s1, vcc_lo, s1
	s_andn2_b32 exec_lo, exec_lo, s1
	s_cbranch_execnz .LBB468_9
; %bb.10:
	s_or_b32 exec_lo, exec_lo, s1
.LBB468_11:
	s_or_b32 exec_lo, exec_lo, s0
	v_sub_nc_u32_e32 v7, v7, v6
	v_cmp_ge_u32_e32 vcc_lo, s5, v6
	v_add_nc_u32_e32 v8, s5, v7
	v_cmp_le_u32_e64 s0, v8, v4
	s_or_b32 s0, vcc_lo, s0
	s_and_saveexec_b32 s1, s0
	s_cbranch_execz .LBB468_23
; %bb.12:
	s_mov_b32 s6, exec_lo
	v_cmp_le_u32_e32 vcc_lo, s5, v6
                                        ; implicit-def: $vgpr5
	v_cmpx_gt_u32_e64 s5, v6
; %bb.13:
	v_lshlrev_b32_e32 v2, 2, v6
	ds_read_b32 v5, v2
; %bb.14:
	s_or_b32 exec_lo, exec_lo, s6
	v_cmp_ge_u32_e64 s6, v8, v4
	s_mov_b32 s7, exec_lo
                                        ; implicit-def: $vgpr7
	v_cmpx_lt_u32_e64 v8, v4
; %bb.15:
	v_lshlrev_b32_e32 v2, 2, v8
	ds_read_b32 v7, v2
; %bb.16:
	s_or_b32 exec_lo, exec_lo, s7
	s_nor_b32 s7, vcc_lo, s6
	s_and_saveexec_b32 s0, s7
	s_cbranch_execz .LBB468_18
; %bb.17:
	s_waitcnt lgkmcnt(0)
	v_mul_hi_i32 v2, 0x66666667, v7
	v_mul_hi_i32 v9, 0x66666667, v5
	s_andn2_b32 s6, s6, exec_lo
	v_lshrrev_b32_e32 v10, 31, v2
	v_ashrrev_i32_e32 v2, 2, v2
	v_lshrrev_b32_e32 v11, 31, v9
	v_ashrrev_i32_e32 v9, 2, v9
	v_add_nc_u32_e32 v2, v2, v10
	v_add_nc_u32_e32 v9, v9, v11
	v_cmp_ge_i32_e32 vcc_lo, v2, v9
	s_and_b32 s7, vcc_lo, exec_lo
	s_or_b32 s6, s6, s7
.LBB468_18:
	s_or_b32 exec_lo, exec_lo, s0
	v_cndmask_b32_e64 v2, v8, v6, s6
	v_cndmask_b32_e64 v10, v4, s5, s6
	s_mov_b32 s0, exec_lo
	v_add_nc_u32_e32 v9, 1, v2
	v_add_nc_u32_e32 v2, -1, v10
	v_cndmask_b32_e64 v8, v9, v8, s6
	v_min_u32_e32 v2, v9, v2
	v_lshlrev_b32_e32 v2, 2, v2
	ds_read_b32 v10, v2
	s_waitcnt lgkmcnt(0)
	v_cndmask_b32_e64 v2, v5, v10, s6
	v_cmpx_lt_u32_e64 v8, v4
	s_cbranch_execz .LBB468_22
; %bb.19:
	v_cndmask_b32_e64 v6, v6, v9, s6
	v_cndmask_b32_e64 v4, v10, v7, s6
	v_cmp_gt_u32_e32 vcc_lo, s5, v6
	s_and_saveexec_b32 s5, vcc_lo
	s_cbranch_execz .LBB468_21
; %bb.20:
	v_mul_hi_i32 v6, 0x66666667, v4
	v_mul_hi_i32 v8, 0x66666667, v2
	v_lshrrev_b32_e32 v9, 31, v6
	v_ashrrev_i32_e32 v6, 2, v6
	v_lshrrev_b32_e32 v10, 31, v8
	v_ashrrev_i32_e32 v8, 2, v8
	v_add_nc_u32_e32 v6, v6, v9
	v_add_nc_u32_e32 v8, v8, v10
	v_cmp_lt_i32_e32 vcc_lo, v6, v8
	v_cndmask_b32_e32 v4, v2, v4, vcc_lo
.LBB468_21:
	s_or_b32 exec_lo, exec_lo, s5
	v_mov_b32_e32 v2, v4
.LBB468_22:
	s_or_b32 exec_lo, exec_lo, s0
	v_cndmask_b32_e64 v5, v7, v5, s6
.LBB468_23:
	s_or_b32 exec_lo, exec_lo, s1
	v_lshrrev_b32_e32 v6, 2, v0
	v_or_b32_e32 v4, 0x200, v0
	v_lshrrev_b32_e32 v7, 3, v0
	s_lshl_b64 s[0:1], s[16:17], 2
	v_and_b32_e32 v6, 0x7c, v6
	v_lshrrev_b32_e32 v8, 3, v4
	s_add_u32 s0, s2, s0
	s_barrier
	buffer_gl0_inv
	v_lshl_add_u32 v1, v1, 2, v6
	v_and_b32_e32 v6, 60, v7
	v_and_b32_e32 v7, 0x7c, v8
	s_barrier
	buffer_gl0_inv
	s_addc_u32 s1, s3, s1
	ds_write2_b32 v1, v5, v2 offset1:1
	v_add_co_u32 v1, s0, s0, v3
	v_add_nc_u32_e32 v5, v6, v3
	v_add_nc_u32_e32 v6, v7, v3
	v_add_co_ci_u32_e64 v2, null, s1, 0, s0
	s_and_b32 vcc_lo, exec_lo, s4
	s_waitcnt lgkmcnt(0)
	s_cbranch_vccz .LBB468_29
; %bb.24:
	s_barrier
	buffer_gl0_inv
	ds_read_b32 v7, v5
	ds_read_b32 v3, v6 offset:2048
	s_mov_b32 s0, -1
	s_waitcnt lgkmcnt(1)
	global_store_dword v[1:2], v7, off
	s_cbranch_execz .LBB468_30
	s_branch .LBB468_33
.LBB468_25:
	v_sub_co_u32 v1, vcc_lo, v0, s5
	v_add_co_u32 v4, s0, s10, v3
	v_add_co_ci_u32_e64 v5, null, s11, 0, s0
	v_lshlrev_b64 v[1:2], 2, v[1:2]
	s_mov_b32 s19, -1
	v_add_co_u32 v1, s0, s9, v1
	v_add_co_ci_u32_e64 v2, null, s1, v2, s0
	s_add_i32 s0, s5, s7
	v_cndmask_b32_e32 v1, v1, v4, vcc_lo
	v_mov_b32_e32 v4, s0
	v_cndmask_b32_e32 v2, v2, v5, vcc_lo
	global_load_dword v5, v[1:2], off
	v_add_nc_u32_e32 v1, v7, v0
	s_cbranch_execnz .LBB468_5
.LBB468_26:
	s_waitcnt vmcnt(0)
	v_mov_b32_e32 v5, 0
	s_add_i32 s6, s5, s7
	s_mov_b32 s12, exec_lo
	v_cmpx_gt_u32_e64 s6, v0
	s_cbranch_execz .LBB468_28
; %bb.27:
	v_sub_co_u32 v1, vcc_lo, v0, s5
	v_mov_b32_e32 v2, 0
	v_add_co_u32 v4, s0, s10, v3
	v_add_co_ci_u32_e64 v5, null, s11, 0, s0
	v_lshlrev_b64 v[1:2], 2, v[1:2]
	v_add_co_u32 v1, s0, s9, v1
	v_add_co_ci_u32_e64 v2, null, s1, v2, s0
	v_cndmask_b32_e32 v1, v1, v4, vcc_lo
	v_cndmask_b32_e32 v2, v2, v5, vcc_lo
	global_load_dword v5, v[1:2], off
.LBB468_28:
	s_or_b32 exec_lo, exec_lo, s12
	v_cmp_gt_u32_e64 s19, s6, v6
	v_mov_b32_e32 v4, s6
	v_mov_b32_e32 v1, v6
	;; [unrolled: 1-line block ×3, first 2 shown]
	s_and_saveexec_b32 s6, s19
	s_cbranch_execnz .LBB468_6
	s_branch .LBB468_7
.LBB468_29:
	s_mov_b32 s0, 0
                                        ; implicit-def: $vgpr3
.LBB468_30:
	s_barrier
	s_waitcnt lgkmcnt(0)
	s_waitcnt_vscnt null, 0x0
	buffer_gl0_inv
	ds_read_b32 v3, v6 offset:2048
	s_sub_i32 s0, s8, s16
	s_mov_b32 s1, exec_lo
	v_cmpx_gt_u32_e64 s0, v0
	s_cbranch_execz .LBB468_32
; %bb.31:
	ds_read_b32 v0, v5
	s_waitcnt lgkmcnt(0)
	global_store_dword v[1:2], v0, off
.LBB468_32:
	s_or_b32 exec_lo, exec_lo, s1
	v_cmp_gt_u32_e64 s0, s0, v4
.LBB468_33:
	s_and_saveexec_b32 s1, s0
	s_cbranch_execz .LBB468_35
; %bb.34:
	v_add_co_u32 v0, vcc_lo, 0x800, v1
	v_add_co_ci_u32_e64 v1, null, 0, v2, vcc_lo
	s_waitcnt lgkmcnt(0)
	global_store_dword v[0:1], v3, off
.LBB468_35:
	s_endpgm
	.section	.rodata,"a",@progbits
	.p2align	6, 0x0
	.amdhsa_kernel _ZN7rocprim17ROCPRIM_400000_NS6detail17trampoline_kernelINS0_14default_configENS1_38merge_sort_block_merge_config_selectorIiNS0_10empty_typeEEEZZNS1_27merge_sort_block_merge_implIS3_N6thrust23THRUST_200600_302600_NS6detail15normal_iteratorINS9_10device_ptrIiEEEEPS5_m11less_div_10IiEEE10hipError_tT0_T1_T2_jT3_P12ihipStream_tbPNSt15iterator_traitsISJ_E10value_typeEPNSP_ISK_E10value_typeEPSL_NS1_7vsmem_tEENKUlT_SJ_SK_SL_E_clISE_PiSF_SF_EESI_SY_SJ_SK_SL_EUlSY_E0_NS1_11comp_targetILNS1_3genE8ELNS1_11target_archE1030ELNS1_3gpuE2ELNS1_3repE0EEENS1_38merge_mergepath_config_static_selectorELNS0_4arch9wavefront6targetE0EEEvSK_
		.amdhsa_group_segment_fixed_size 4224
		.amdhsa_private_segment_fixed_size 0
		.amdhsa_kernarg_size 328
		.amdhsa_user_sgpr_count 6
		.amdhsa_user_sgpr_private_segment_buffer 1
		.amdhsa_user_sgpr_dispatch_ptr 0
		.amdhsa_user_sgpr_queue_ptr 0
		.amdhsa_user_sgpr_kernarg_segment_ptr 1
		.amdhsa_user_sgpr_dispatch_id 0
		.amdhsa_user_sgpr_flat_scratch_init 0
		.amdhsa_user_sgpr_private_segment_size 0
		.amdhsa_wavefront_size32 1
		.amdhsa_uses_dynamic_stack 0
		.amdhsa_system_sgpr_private_segment_wavefront_offset 0
		.amdhsa_system_sgpr_workgroup_id_x 1
		.amdhsa_system_sgpr_workgroup_id_y 1
		.amdhsa_system_sgpr_workgroup_id_z 1
		.amdhsa_system_sgpr_workgroup_info 0
		.amdhsa_system_vgpr_workitem_id 0
		.amdhsa_next_free_vgpr 15
		.amdhsa_next_free_sgpr 31
		.amdhsa_reserve_vcc 1
		.amdhsa_reserve_flat_scratch 0
		.amdhsa_float_round_mode_32 0
		.amdhsa_float_round_mode_16_64 0
		.amdhsa_float_denorm_mode_32 3
		.amdhsa_float_denorm_mode_16_64 3
		.amdhsa_dx10_clamp 1
		.amdhsa_ieee_mode 1
		.amdhsa_fp16_overflow 0
		.amdhsa_workgroup_processor_mode 1
		.amdhsa_memory_ordered 1
		.amdhsa_forward_progress 1
		.amdhsa_shared_vgpr_count 0
		.amdhsa_exception_fp_ieee_invalid_op 0
		.amdhsa_exception_fp_denorm_src 0
		.amdhsa_exception_fp_ieee_div_zero 0
		.amdhsa_exception_fp_ieee_overflow 0
		.amdhsa_exception_fp_ieee_underflow 0
		.amdhsa_exception_fp_ieee_inexact 0
		.amdhsa_exception_int_div_zero 0
	.end_amdhsa_kernel
	.section	.text._ZN7rocprim17ROCPRIM_400000_NS6detail17trampoline_kernelINS0_14default_configENS1_38merge_sort_block_merge_config_selectorIiNS0_10empty_typeEEEZZNS1_27merge_sort_block_merge_implIS3_N6thrust23THRUST_200600_302600_NS6detail15normal_iteratorINS9_10device_ptrIiEEEEPS5_m11less_div_10IiEEE10hipError_tT0_T1_T2_jT3_P12ihipStream_tbPNSt15iterator_traitsISJ_E10value_typeEPNSP_ISK_E10value_typeEPSL_NS1_7vsmem_tEENKUlT_SJ_SK_SL_E_clISE_PiSF_SF_EESI_SY_SJ_SK_SL_EUlSY_E0_NS1_11comp_targetILNS1_3genE8ELNS1_11target_archE1030ELNS1_3gpuE2ELNS1_3repE0EEENS1_38merge_mergepath_config_static_selectorELNS0_4arch9wavefront6targetE0EEEvSK_,"axG",@progbits,_ZN7rocprim17ROCPRIM_400000_NS6detail17trampoline_kernelINS0_14default_configENS1_38merge_sort_block_merge_config_selectorIiNS0_10empty_typeEEEZZNS1_27merge_sort_block_merge_implIS3_N6thrust23THRUST_200600_302600_NS6detail15normal_iteratorINS9_10device_ptrIiEEEEPS5_m11less_div_10IiEEE10hipError_tT0_T1_T2_jT3_P12ihipStream_tbPNSt15iterator_traitsISJ_E10value_typeEPNSP_ISK_E10value_typeEPSL_NS1_7vsmem_tEENKUlT_SJ_SK_SL_E_clISE_PiSF_SF_EESI_SY_SJ_SK_SL_EUlSY_E0_NS1_11comp_targetILNS1_3genE8ELNS1_11target_archE1030ELNS1_3gpuE2ELNS1_3repE0EEENS1_38merge_mergepath_config_static_selectorELNS0_4arch9wavefront6targetE0EEEvSK_,comdat
.Lfunc_end468:
	.size	_ZN7rocprim17ROCPRIM_400000_NS6detail17trampoline_kernelINS0_14default_configENS1_38merge_sort_block_merge_config_selectorIiNS0_10empty_typeEEEZZNS1_27merge_sort_block_merge_implIS3_N6thrust23THRUST_200600_302600_NS6detail15normal_iteratorINS9_10device_ptrIiEEEEPS5_m11less_div_10IiEEE10hipError_tT0_T1_T2_jT3_P12ihipStream_tbPNSt15iterator_traitsISJ_E10value_typeEPNSP_ISK_E10value_typeEPSL_NS1_7vsmem_tEENKUlT_SJ_SK_SL_E_clISE_PiSF_SF_EESI_SY_SJ_SK_SL_EUlSY_E0_NS1_11comp_targetILNS1_3genE8ELNS1_11target_archE1030ELNS1_3gpuE2ELNS1_3repE0EEENS1_38merge_mergepath_config_static_selectorELNS0_4arch9wavefront6targetE0EEEvSK_, .Lfunc_end468-_ZN7rocprim17ROCPRIM_400000_NS6detail17trampoline_kernelINS0_14default_configENS1_38merge_sort_block_merge_config_selectorIiNS0_10empty_typeEEEZZNS1_27merge_sort_block_merge_implIS3_N6thrust23THRUST_200600_302600_NS6detail15normal_iteratorINS9_10device_ptrIiEEEEPS5_m11less_div_10IiEEE10hipError_tT0_T1_T2_jT3_P12ihipStream_tbPNSt15iterator_traitsISJ_E10value_typeEPNSP_ISK_E10value_typeEPSL_NS1_7vsmem_tEENKUlT_SJ_SK_SL_E_clISE_PiSF_SF_EESI_SY_SJ_SK_SL_EUlSY_E0_NS1_11comp_targetILNS1_3genE8ELNS1_11target_archE1030ELNS1_3gpuE2ELNS1_3repE0EEENS1_38merge_mergepath_config_static_selectorELNS0_4arch9wavefront6targetE0EEEvSK_
                                        ; -- End function
	.set _ZN7rocprim17ROCPRIM_400000_NS6detail17trampoline_kernelINS0_14default_configENS1_38merge_sort_block_merge_config_selectorIiNS0_10empty_typeEEEZZNS1_27merge_sort_block_merge_implIS3_N6thrust23THRUST_200600_302600_NS6detail15normal_iteratorINS9_10device_ptrIiEEEEPS5_m11less_div_10IiEEE10hipError_tT0_T1_T2_jT3_P12ihipStream_tbPNSt15iterator_traitsISJ_E10value_typeEPNSP_ISK_E10value_typeEPSL_NS1_7vsmem_tEENKUlT_SJ_SK_SL_E_clISE_PiSF_SF_EESI_SY_SJ_SK_SL_EUlSY_E0_NS1_11comp_targetILNS1_3genE8ELNS1_11target_archE1030ELNS1_3gpuE2ELNS1_3repE0EEENS1_38merge_mergepath_config_static_selectorELNS0_4arch9wavefront6targetE0EEEvSK_.num_vgpr, 15
	.set _ZN7rocprim17ROCPRIM_400000_NS6detail17trampoline_kernelINS0_14default_configENS1_38merge_sort_block_merge_config_selectorIiNS0_10empty_typeEEEZZNS1_27merge_sort_block_merge_implIS3_N6thrust23THRUST_200600_302600_NS6detail15normal_iteratorINS9_10device_ptrIiEEEEPS5_m11less_div_10IiEEE10hipError_tT0_T1_T2_jT3_P12ihipStream_tbPNSt15iterator_traitsISJ_E10value_typeEPNSP_ISK_E10value_typeEPSL_NS1_7vsmem_tEENKUlT_SJ_SK_SL_E_clISE_PiSF_SF_EESI_SY_SJ_SK_SL_EUlSY_E0_NS1_11comp_targetILNS1_3genE8ELNS1_11target_archE1030ELNS1_3gpuE2ELNS1_3repE0EEENS1_38merge_mergepath_config_static_selectorELNS0_4arch9wavefront6targetE0EEEvSK_.num_agpr, 0
	.set _ZN7rocprim17ROCPRIM_400000_NS6detail17trampoline_kernelINS0_14default_configENS1_38merge_sort_block_merge_config_selectorIiNS0_10empty_typeEEEZZNS1_27merge_sort_block_merge_implIS3_N6thrust23THRUST_200600_302600_NS6detail15normal_iteratorINS9_10device_ptrIiEEEEPS5_m11less_div_10IiEEE10hipError_tT0_T1_T2_jT3_P12ihipStream_tbPNSt15iterator_traitsISJ_E10value_typeEPNSP_ISK_E10value_typeEPSL_NS1_7vsmem_tEENKUlT_SJ_SK_SL_E_clISE_PiSF_SF_EESI_SY_SJ_SK_SL_EUlSY_E0_NS1_11comp_targetILNS1_3genE8ELNS1_11target_archE1030ELNS1_3gpuE2ELNS1_3repE0EEENS1_38merge_mergepath_config_static_selectorELNS0_4arch9wavefront6targetE0EEEvSK_.numbered_sgpr, 31
	.set _ZN7rocprim17ROCPRIM_400000_NS6detail17trampoline_kernelINS0_14default_configENS1_38merge_sort_block_merge_config_selectorIiNS0_10empty_typeEEEZZNS1_27merge_sort_block_merge_implIS3_N6thrust23THRUST_200600_302600_NS6detail15normal_iteratorINS9_10device_ptrIiEEEEPS5_m11less_div_10IiEEE10hipError_tT0_T1_T2_jT3_P12ihipStream_tbPNSt15iterator_traitsISJ_E10value_typeEPNSP_ISK_E10value_typeEPSL_NS1_7vsmem_tEENKUlT_SJ_SK_SL_E_clISE_PiSF_SF_EESI_SY_SJ_SK_SL_EUlSY_E0_NS1_11comp_targetILNS1_3genE8ELNS1_11target_archE1030ELNS1_3gpuE2ELNS1_3repE0EEENS1_38merge_mergepath_config_static_selectorELNS0_4arch9wavefront6targetE0EEEvSK_.num_named_barrier, 0
	.set _ZN7rocprim17ROCPRIM_400000_NS6detail17trampoline_kernelINS0_14default_configENS1_38merge_sort_block_merge_config_selectorIiNS0_10empty_typeEEEZZNS1_27merge_sort_block_merge_implIS3_N6thrust23THRUST_200600_302600_NS6detail15normal_iteratorINS9_10device_ptrIiEEEEPS5_m11less_div_10IiEEE10hipError_tT0_T1_T2_jT3_P12ihipStream_tbPNSt15iterator_traitsISJ_E10value_typeEPNSP_ISK_E10value_typeEPSL_NS1_7vsmem_tEENKUlT_SJ_SK_SL_E_clISE_PiSF_SF_EESI_SY_SJ_SK_SL_EUlSY_E0_NS1_11comp_targetILNS1_3genE8ELNS1_11target_archE1030ELNS1_3gpuE2ELNS1_3repE0EEENS1_38merge_mergepath_config_static_selectorELNS0_4arch9wavefront6targetE0EEEvSK_.private_seg_size, 0
	.set _ZN7rocprim17ROCPRIM_400000_NS6detail17trampoline_kernelINS0_14default_configENS1_38merge_sort_block_merge_config_selectorIiNS0_10empty_typeEEEZZNS1_27merge_sort_block_merge_implIS3_N6thrust23THRUST_200600_302600_NS6detail15normal_iteratorINS9_10device_ptrIiEEEEPS5_m11less_div_10IiEEE10hipError_tT0_T1_T2_jT3_P12ihipStream_tbPNSt15iterator_traitsISJ_E10value_typeEPNSP_ISK_E10value_typeEPSL_NS1_7vsmem_tEENKUlT_SJ_SK_SL_E_clISE_PiSF_SF_EESI_SY_SJ_SK_SL_EUlSY_E0_NS1_11comp_targetILNS1_3genE8ELNS1_11target_archE1030ELNS1_3gpuE2ELNS1_3repE0EEENS1_38merge_mergepath_config_static_selectorELNS0_4arch9wavefront6targetE0EEEvSK_.uses_vcc, 1
	.set _ZN7rocprim17ROCPRIM_400000_NS6detail17trampoline_kernelINS0_14default_configENS1_38merge_sort_block_merge_config_selectorIiNS0_10empty_typeEEEZZNS1_27merge_sort_block_merge_implIS3_N6thrust23THRUST_200600_302600_NS6detail15normal_iteratorINS9_10device_ptrIiEEEEPS5_m11less_div_10IiEEE10hipError_tT0_T1_T2_jT3_P12ihipStream_tbPNSt15iterator_traitsISJ_E10value_typeEPNSP_ISK_E10value_typeEPSL_NS1_7vsmem_tEENKUlT_SJ_SK_SL_E_clISE_PiSF_SF_EESI_SY_SJ_SK_SL_EUlSY_E0_NS1_11comp_targetILNS1_3genE8ELNS1_11target_archE1030ELNS1_3gpuE2ELNS1_3repE0EEENS1_38merge_mergepath_config_static_selectorELNS0_4arch9wavefront6targetE0EEEvSK_.uses_flat_scratch, 0
	.set _ZN7rocprim17ROCPRIM_400000_NS6detail17trampoline_kernelINS0_14default_configENS1_38merge_sort_block_merge_config_selectorIiNS0_10empty_typeEEEZZNS1_27merge_sort_block_merge_implIS3_N6thrust23THRUST_200600_302600_NS6detail15normal_iteratorINS9_10device_ptrIiEEEEPS5_m11less_div_10IiEEE10hipError_tT0_T1_T2_jT3_P12ihipStream_tbPNSt15iterator_traitsISJ_E10value_typeEPNSP_ISK_E10value_typeEPSL_NS1_7vsmem_tEENKUlT_SJ_SK_SL_E_clISE_PiSF_SF_EESI_SY_SJ_SK_SL_EUlSY_E0_NS1_11comp_targetILNS1_3genE8ELNS1_11target_archE1030ELNS1_3gpuE2ELNS1_3repE0EEENS1_38merge_mergepath_config_static_selectorELNS0_4arch9wavefront6targetE0EEEvSK_.has_dyn_sized_stack, 0
	.set _ZN7rocprim17ROCPRIM_400000_NS6detail17trampoline_kernelINS0_14default_configENS1_38merge_sort_block_merge_config_selectorIiNS0_10empty_typeEEEZZNS1_27merge_sort_block_merge_implIS3_N6thrust23THRUST_200600_302600_NS6detail15normal_iteratorINS9_10device_ptrIiEEEEPS5_m11less_div_10IiEEE10hipError_tT0_T1_T2_jT3_P12ihipStream_tbPNSt15iterator_traitsISJ_E10value_typeEPNSP_ISK_E10value_typeEPSL_NS1_7vsmem_tEENKUlT_SJ_SK_SL_E_clISE_PiSF_SF_EESI_SY_SJ_SK_SL_EUlSY_E0_NS1_11comp_targetILNS1_3genE8ELNS1_11target_archE1030ELNS1_3gpuE2ELNS1_3repE0EEENS1_38merge_mergepath_config_static_selectorELNS0_4arch9wavefront6targetE0EEEvSK_.has_recursion, 0
	.set _ZN7rocprim17ROCPRIM_400000_NS6detail17trampoline_kernelINS0_14default_configENS1_38merge_sort_block_merge_config_selectorIiNS0_10empty_typeEEEZZNS1_27merge_sort_block_merge_implIS3_N6thrust23THRUST_200600_302600_NS6detail15normal_iteratorINS9_10device_ptrIiEEEEPS5_m11less_div_10IiEEE10hipError_tT0_T1_T2_jT3_P12ihipStream_tbPNSt15iterator_traitsISJ_E10value_typeEPNSP_ISK_E10value_typeEPSL_NS1_7vsmem_tEENKUlT_SJ_SK_SL_E_clISE_PiSF_SF_EESI_SY_SJ_SK_SL_EUlSY_E0_NS1_11comp_targetILNS1_3genE8ELNS1_11target_archE1030ELNS1_3gpuE2ELNS1_3repE0EEENS1_38merge_mergepath_config_static_selectorELNS0_4arch9wavefront6targetE0EEEvSK_.has_indirect_call, 0
	.section	.AMDGPU.csdata,"",@progbits
; Kernel info:
; codeLenInByte = 1668
; TotalNumSgprs: 33
; NumVgprs: 15
; ScratchSize: 0
; MemoryBound: 0
; FloatMode: 240
; IeeeMode: 1
; LDSByteSize: 4224 bytes/workgroup (compile time only)
; SGPRBlocks: 0
; VGPRBlocks: 1
; NumSGPRsForWavesPerEU: 33
; NumVGPRsForWavesPerEU: 15
; Occupancy: 16
; WaveLimiterHint : 1
; COMPUTE_PGM_RSRC2:SCRATCH_EN: 0
; COMPUTE_PGM_RSRC2:USER_SGPR: 6
; COMPUTE_PGM_RSRC2:TRAP_HANDLER: 0
; COMPUTE_PGM_RSRC2:TGID_X_EN: 1
; COMPUTE_PGM_RSRC2:TGID_Y_EN: 1
; COMPUTE_PGM_RSRC2:TGID_Z_EN: 1
; COMPUTE_PGM_RSRC2:TIDIG_COMP_CNT: 0
	.section	.text._ZN7rocprim17ROCPRIM_400000_NS6detail17trampoline_kernelINS0_14default_configENS1_38merge_sort_block_merge_config_selectorIiNS0_10empty_typeEEEZZNS1_27merge_sort_block_merge_implIS3_N6thrust23THRUST_200600_302600_NS6detail15normal_iteratorINS9_10device_ptrIiEEEEPS5_m11less_div_10IiEEE10hipError_tT0_T1_T2_jT3_P12ihipStream_tbPNSt15iterator_traitsISJ_E10value_typeEPNSP_ISK_E10value_typeEPSL_NS1_7vsmem_tEENKUlT_SJ_SK_SL_E_clISE_PiSF_SF_EESI_SY_SJ_SK_SL_EUlSY_E1_NS1_11comp_targetILNS1_3genE0ELNS1_11target_archE4294967295ELNS1_3gpuE0ELNS1_3repE0EEENS1_36merge_oddeven_config_static_selectorELNS0_4arch9wavefront6targetE0EEEvSK_,"axG",@progbits,_ZN7rocprim17ROCPRIM_400000_NS6detail17trampoline_kernelINS0_14default_configENS1_38merge_sort_block_merge_config_selectorIiNS0_10empty_typeEEEZZNS1_27merge_sort_block_merge_implIS3_N6thrust23THRUST_200600_302600_NS6detail15normal_iteratorINS9_10device_ptrIiEEEEPS5_m11less_div_10IiEEE10hipError_tT0_T1_T2_jT3_P12ihipStream_tbPNSt15iterator_traitsISJ_E10value_typeEPNSP_ISK_E10value_typeEPSL_NS1_7vsmem_tEENKUlT_SJ_SK_SL_E_clISE_PiSF_SF_EESI_SY_SJ_SK_SL_EUlSY_E1_NS1_11comp_targetILNS1_3genE0ELNS1_11target_archE4294967295ELNS1_3gpuE0ELNS1_3repE0EEENS1_36merge_oddeven_config_static_selectorELNS0_4arch9wavefront6targetE0EEEvSK_,comdat
	.protected	_ZN7rocprim17ROCPRIM_400000_NS6detail17trampoline_kernelINS0_14default_configENS1_38merge_sort_block_merge_config_selectorIiNS0_10empty_typeEEEZZNS1_27merge_sort_block_merge_implIS3_N6thrust23THRUST_200600_302600_NS6detail15normal_iteratorINS9_10device_ptrIiEEEEPS5_m11less_div_10IiEEE10hipError_tT0_T1_T2_jT3_P12ihipStream_tbPNSt15iterator_traitsISJ_E10value_typeEPNSP_ISK_E10value_typeEPSL_NS1_7vsmem_tEENKUlT_SJ_SK_SL_E_clISE_PiSF_SF_EESI_SY_SJ_SK_SL_EUlSY_E1_NS1_11comp_targetILNS1_3genE0ELNS1_11target_archE4294967295ELNS1_3gpuE0ELNS1_3repE0EEENS1_36merge_oddeven_config_static_selectorELNS0_4arch9wavefront6targetE0EEEvSK_ ; -- Begin function _ZN7rocprim17ROCPRIM_400000_NS6detail17trampoline_kernelINS0_14default_configENS1_38merge_sort_block_merge_config_selectorIiNS0_10empty_typeEEEZZNS1_27merge_sort_block_merge_implIS3_N6thrust23THRUST_200600_302600_NS6detail15normal_iteratorINS9_10device_ptrIiEEEEPS5_m11less_div_10IiEEE10hipError_tT0_T1_T2_jT3_P12ihipStream_tbPNSt15iterator_traitsISJ_E10value_typeEPNSP_ISK_E10value_typeEPSL_NS1_7vsmem_tEENKUlT_SJ_SK_SL_E_clISE_PiSF_SF_EESI_SY_SJ_SK_SL_EUlSY_E1_NS1_11comp_targetILNS1_3genE0ELNS1_11target_archE4294967295ELNS1_3gpuE0ELNS1_3repE0EEENS1_36merge_oddeven_config_static_selectorELNS0_4arch9wavefront6targetE0EEEvSK_
	.globl	_ZN7rocprim17ROCPRIM_400000_NS6detail17trampoline_kernelINS0_14default_configENS1_38merge_sort_block_merge_config_selectorIiNS0_10empty_typeEEEZZNS1_27merge_sort_block_merge_implIS3_N6thrust23THRUST_200600_302600_NS6detail15normal_iteratorINS9_10device_ptrIiEEEEPS5_m11less_div_10IiEEE10hipError_tT0_T1_T2_jT3_P12ihipStream_tbPNSt15iterator_traitsISJ_E10value_typeEPNSP_ISK_E10value_typeEPSL_NS1_7vsmem_tEENKUlT_SJ_SK_SL_E_clISE_PiSF_SF_EESI_SY_SJ_SK_SL_EUlSY_E1_NS1_11comp_targetILNS1_3genE0ELNS1_11target_archE4294967295ELNS1_3gpuE0ELNS1_3repE0EEENS1_36merge_oddeven_config_static_selectorELNS0_4arch9wavefront6targetE0EEEvSK_
	.p2align	8
	.type	_ZN7rocprim17ROCPRIM_400000_NS6detail17trampoline_kernelINS0_14default_configENS1_38merge_sort_block_merge_config_selectorIiNS0_10empty_typeEEEZZNS1_27merge_sort_block_merge_implIS3_N6thrust23THRUST_200600_302600_NS6detail15normal_iteratorINS9_10device_ptrIiEEEEPS5_m11less_div_10IiEEE10hipError_tT0_T1_T2_jT3_P12ihipStream_tbPNSt15iterator_traitsISJ_E10value_typeEPNSP_ISK_E10value_typeEPSL_NS1_7vsmem_tEENKUlT_SJ_SK_SL_E_clISE_PiSF_SF_EESI_SY_SJ_SK_SL_EUlSY_E1_NS1_11comp_targetILNS1_3genE0ELNS1_11target_archE4294967295ELNS1_3gpuE0ELNS1_3repE0EEENS1_36merge_oddeven_config_static_selectorELNS0_4arch9wavefront6targetE0EEEvSK_,@function
_ZN7rocprim17ROCPRIM_400000_NS6detail17trampoline_kernelINS0_14default_configENS1_38merge_sort_block_merge_config_selectorIiNS0_10empty_typeEEEZZNS1_27merge_sort_block_merge_implIS3_N6thrust23THRUST_200600_302600_NS6detail15normal_iteratorINS9_10device_ptrIiEEEEPS5_m11less_div_10IiEEE10hipError_tT0_T1_T2_jT3_P12ihipStream_tbPNSt15iterator_traitsISJ_E10value_typeEPNSP_ISK_E10value_typeEPSL_NS1_7vsmem_tEENKUlT_SJ_SK_SL_E_clISE_PiSF_SF_EESI_SY_SJ_SK_SL_EUlSY_E1_NS1_11comp_targetILNS1_3genE0ELNS1_11target_archE4294967295ELNS1_3gpuE0ELNS1_3repE0EEENS1_36merge_oddeven_config_static_selectorELNS0_4arch9wavefront6targetE0EEEvSK_: ; @_ZN7rocprim17ROCPRIM_400000_NS6detail17trampoline_kernelINS0_14default_configENS1_38merge_sort_block_merge_config_selectorIiNS0_10empty_typeEEEZZNS1_27merge_sort_block_merge_implIS3_N6thrust23THRUST_200600_302600_NS6detail15normal_iteratorINS9_10device_ptrIiEEEEPS5_m11less_div_10IiEEE10hipError_tT0_T1_T2_jT3_P12ihipStream_tbPNSt15iterator_traitsISJ_E10value_typeEPNSP_ISK_E10value_typeEPSL_NS1_7vsmem_tEENKUlT_SJ_SK_SL_E_clISE_PiSF_SF_EESI_SY_SJ_SK_SL_EUlSY_E1_NS1_11comp_targetILNS1_3genE0ELNS1_11target_archE4294967295ELNS1_3gpuE0ELNS1_3repE0EEENS1_36merge_oddeven_config_static_selectorELNS0_4arch9wavefront6targetE0EEEvSK_
; %bb.0:
	.section	.rodata,"a",@progbits
	.p2align	6, 0x0
	.amdhsa_kernel _ZN7rocprim17ROCPRIM_400000_NS6detail17trampoline_kernelINS0_14default_configENS1_38merge_sort_block_merge_config_selectorIiNS0_10empty_typeEEEZZNS1_27merge_sort_block_merge_implIS3_N6thrust23THRUST_200600_302600_NS6detail15normal_iteratorINS9_10device_ptrIiEEEEPS5_m11less_div_10IiEEE10hipError_tT0_T1_T2_jT3_P12ihipStream_tbPNSt15iterator_traitsISJ_E10value_typeEPNSP_ISK_E10value_typeEPSL_NS1_7vsmem_tEENKUlT_SJ_SK_SL_E_clISE_PiSF_SF_EESI_SY_SJ_SK_SL_EUlSY_E1_NS1_11comp_targetILNS1_3genE0ELNS1_11target_archE4294967295ELNS1_3gpuE0ELNS1_3repE0EEENS1_36merge_oddeven_config_static_selectorELNS0_4arch9wavefront6targetE0EEEvSK_
		.amdhsa_group_segment_fixed_size 0
		.amdhsa_private_segment_fixed_size 0
		.amdhsa_kernarg_size 56
		.amdhsa_user_sgpr_count 6
		.amdhsa_user_sgpr_private_segment_buffer 1
		.amdhsa_user_sgpr_dispatch_ptr 0
		.amdhsa_user_sgpr_queue_ptr 0
		.amdhsa_user_sgpr_kernarg_segment_ptr 1
		.amdhsa_user_sgpr_dispatch_id 0
		.amdhsa_user_sgpr_flat_scratch_init 0
		.amdhsa_user_sgpr_private_segment_size 0
		.amdhsa_wavefront_size32 1
		.amdhsa_uses_dynamic_stack 0
		.amdhsa_system_sgpr_private_segment_wavefront_offset 0
		.amdhsa_system_sgpr_workgroup_id_x 1
		.amdhsa_system_sgpr_workgroup_id_y 0
		.amdhsa_system_sgpr_workgroup_id_z 0
		.amdhsa_system_sgpr_workgroup_info 0
		.amdhsa_system_vgpr_workitem_id 0
		.amdhsa_next_free_vgpr 1
		.amdhsa_next_free_sgpr 1
		.amdhsa_reserve_vcc 0
		.amdhsa_reserve_flat_scratch 0
		.amdhsa_float_round_mode_32 0
		.amdhsa_float_round_mode_16_64 0
		.amdhsa_float_denorm_mode_32 3
		.amdhsa_float_denorm_mode_16_64 3
		.amdhsa_dx10_clamp 1
		.amdhsa_ieee_mode 1
		.amdhsa_fp16_overflow 0
		.amdhsa_workgroup_processor_mode 1
		.amdhsa_memory_ordered 1
		.amdhsa_forward_progress 1
		.amdhsa_shared_vgpr_count 0
		.amdhsa_exception_fp_ieee_invalid_op 0
		.amdhsa_exception_fp_denorm_src 0
		.amdhsa_exception_fp_ieee_div_zero 0
		.amdhsa_exception_fp_ieee_overflow 0
		.amdhsa_exception_fp_ieee_underflow 0
		.amdhsa_exception_fp_ieee_inexact 0
		.amdhsa_exception_int_div_zero 0
	.end_amdhsa_kernel
	.section	.text._ZN7rocprim17ROCPRIM_400000_NS6detail17trampoline_kernelINS0_14default_configENS1_38merge_sort_block_merge_config_selectorIiNS0_10empty_typeEEEZZNS1_27merge_sort_block_merge_implIS3_N6thrust23THRUST_200600_302600_NS6detail15normal_iteratorINS9_10device_ptrIiEEEEPS5_m11less_div_10IiEEE10hipError_tT0_T1_T2_jT3_P12ihipStream_tbPNSt15iterator_traitsISJ_E10value_typeEPNSP_ISK_E10value_typeEPSL_NS1_7vsmem_tEENKUlT_SJ_SK_SL_E_clISE_PiSF_SF_EESI_SY_SJ_SK_SL_EUlSY_E1_NS1_11comp_targetILNS1_3genE0ELNS1_11target_archE4294967295ELNS1_3gpuE0ELNS1_3repE0EEENS1_36merge_oddeven_config_static_selectorELNS0_4arch9wavefront6targetE0EEEvSK_,"axG",@progbits,_ZN7rocprim17ROCPRIM_400000_NS6detail17trampoline_kernelINS0_14default_configENS1_38merge_sort_block_merge_config_selectorIiNS0_10empty_typeEEEZZNS1_27merge_sort_block_merge_implIS3_N6thrust23THRUST_200600_302600_NS6detail15normal_iteratorINS9_10device_ptrIiEEEEPS5_m11less_div_10IiEEE10hipError_tT0_T1_T2_jT3_P12ihipStream_tbPNSt15iterator_traitsISJ_E10value_typeEPNSP_ISK_E10value_typeEPSL_NS1_7vsmem_tEENKUlT_SJ_SK_SL_E_clISE_PiSF_SF_EESI_SY_SJ_SK_SL_EUlSY_E1_NS1_11comp_targetILNS1_3genE0ELNS1_11target_archE4294967295ELNS1_3gpuE0ELNS1_3repE0EEENS1_36merge_oddeven_config_static_selectorELNS0_4arch9wavefront6targetE0EEEvSK_,comdat
.Lfunc_end469:
	.size	_ZN7rocprim17ROCPRIM_400000_NS6detail17trampoline_kernelINS0_14default_configENS1_38merge_sort_block_merge_config_selectorIiNS0_10empty_typeEEEZZNS1_27merge_sort_block_merge_implIS3_N6thrust23THRUST_200600_302600_NS6detail15normal_iteratorINS9_10device_ptrIiEEEEPS5_m11less_div_10IiEEE10hipError_tT0_T1_T2_jT3_P12ihipStream_tbPNSt15iterator_traitsISJ_E10value_typeEPNSP_ISK_E10value_typeEPSL_NS1_7vsmem_tEENKUlT_SJ_SK_SL_E_clISE_PiSF_SF_EESI_SY_SJ_SK_SL_EUlSY_E1_NS1_11comp_targetILNS1_3genE0ELNS1_11target_archE4294967295ELNS1_3gpuE0ELNS1_3repE0EEENS1_36merge_oddeven_config_static_selectorELNS0_4arch9wavefront6targetE0EEEvSK_, .Lfunc_end469-_ZN7rocprim17ROCPRIM_400000_NS6detail17trampoline_kernelINS0_14default_configENS1_38merge_sort_block_merge_config_selectorIiNS0_10empty_typeEEEZZNS1_27merge_sort_block_merge_implIS3_N6thrust23THRUST_200600_302600_NS6detail15normal_iteratorINS9_10device_ptrIiEEEEPS5_m11less_div_10IiEEE10hipError_tT0_T1_T2_jT3_P12ihipStream_tbPNSt15iterator_traitsISJ_E10value_typeEPNSP_ISK_E10value_typeEPSL_NS1_7vsmem_tEENKUlT_SJ_SK_SL_E_clISE_PiSF_SF_EESI_SY_SJ_SK_SL_EUlSY_E1_NS1_11comp_targetILNS1_3genE0ELNS1_11target_archE4294967295ELNS1_3gpuE0ELNS1_3repE0EEENS1_36merge_oddeven_config_static_selectorELNS0_4arch9wavefront6targetE0EEEvSK_
                                        ; -- End function
	.set _ZN7rocprim17ROCPRIM_400000_NS6detail17trampoline_kernelINS0_14default_configENS1_38merge_sort_block_merge_config_selectorIiNS0_10empty_typeEEEZZNS1_27merge_sort_block_merge_implIS3_N6thrust23THRUST_200600_302600_NS6detail15normal_iteratorINS9_10device_ptrIiEEEEPS5_m11less_div_10IiEEE10hipError_tT0_T1_T2_jT3_P12ihipStream_tbPNSt15iterator_traitsISJ_E10value_typeEPNSP_ISK_E10value_typeEPSL_NS1_7vsmem_tEENKUlT_SJ_SK_SL_E_clISE_PiSF_SF_EESI_SY_SJ_SK_SL_EUlSY_E1_NS1_11comp_targetILNS1_3genE0ELNS1_11target_archE4294967295ELNS1_3gpuE0ELNS1_3repE0EEENS1_36merge_oddeven_config_static_selectorELNS0_4arch9wavefront6targetE0EEEvSK_.num_vgpr, 0
	.set _ZN7rocprim17ROCPRIM_400000_NS6detail17trampoline_kernelINS0_14default_configENS1_38merge_sort_block_merge_config_selectorIiNS0_10empty_typeEEEZZNS1_27merge_sort_block_merge_implIS3_N6thrust23THRUST_200600_302600_NS6detail15normal_iteratorINS9_10device_ptrIiEEEEPS5_m11less_div_10IiEEE10hipError_tT0_T1_T2_jT3_P12ihipStream_tbPNSt15iterator_traitsISJ_E10value_typeEPNSP_ISK_E10value_typeEPSL_NS1_7vsmem_tEENKUlT_SJ_SK_SL_E_clISE_PiSF_SF_EESI_SY_SJ_SK_SL_EUlSY_E1_NS1_11comp_targetILNS1_3genE0ELNS1_11target_archE4294967295ELNS1_3gpuE0ELNS1_3repE0EEENS1_36merge_oddeven_config_static_selectorELNS0_4arch9wavefront6targetE0EEEvSK_.num_agpr, 0
	.set _ZN7rocprim17ROCPRIM_400000_NS6detail17trampoline_kernelINS0_14default_configENS1_38merge_sort_block_merge_config_selectorIiNS0_10empty_typeEEEZZNS1_27merge_sort_block_merge_implIS3_N6thrust23THRUST_200600_302600_NS6detail15normal_iteratorINS9_10device_ptrIiEEEEPS5_m11less_div_10IiEEE10hipError_tT0_T1_T2_jT3_P12ihipStream_tbPNSt15iterator_traitsISJ_E10value_typeEPNSP_ISK_E10value_typeEPSL_NS1_7vsmem_tEENKUlT_SJ_SK_SL_E_clISE_PiSF_SF_EESI_SY_SJ_SK_SL_EUlSY_E1_NS1_11comp_targetILNS1_3genE0ELNS1_11target_archE4294967295ELNS1_3gpuE0ELNS1_3repE0EEENS1_36merge_oddeven_config_static_selectorELNS0_4arch9wavefront6targetE0EEEvSK_.numbered_sgpr, 0
	.set _ZN7rocprim17ROCPRIM_400000_NS6detail17trampoline_kernelINS0_14default_configENS1_38merge_sort_block_merge_config_selectorIiNS0_10empty_typeEEEZZNS1_27merge_sort_block_merge_implIS3_N6thrust23THRUST_200600_302600_NS6detail15normal_iteratorINS9_10device_ptrIiEEEEPS5_m11less_div_10IiEEE10hipError_tT0_T1_T2_jT3_P12ihipStream_tbPNSt15iterator_traitsISJ_E10value_typeEPNSP_ISK_E10value_typeEPSL_NS1_7vsmem_tEENKUlT_SJ_SK_SL_E_clISE_PiSF_SF_EESI_SY_SJ_SK_SL_EUlSY_E1_NS1_11comp_targetILNS1_3genE0ELNS1_11target_archE4294967295ELNS1_3gpuE0ELNS1_3repE0EEENS1_36merge_oddeven_config_static_selectorELNS0_4arch9wavefront6targetE0EEEvSK_.num_named_barrier, 0
	.set _ZN7rocprim17ROCPRIM_400000_NS6detail17trampoline_kernelINS0_14default_configENS1_38merge_sort_block_merge_config_selectorIiNS0_10empty_typeEEEZZNS1_27merge_sort_block_merge_implIS3_N6thrust23THRUST_200600_302600_NS6detail15normal_iteratorINS9_10device_ptrIiEEEEPS5_m11less_div_10IiEEE10hipError_tT0_T1_T2_jT3_P12ihipStream_tbPNSt15iterator_traitsISJ_E10value_typeEPNSP_ISK_E10value_typeEPSL_NS1_7vsmem_tEENKUlT_SJ_SK_SL_E_clISE_PiSF_SF_EESI_SY_SJ_SK_SL_EUlSY_E1_NS1_11comp_targetILNS1_3genE0ELNS1_11target_archE4294967295ELNS1_3gpuE0ELNS1_3repE0EEENS1_36merge_oddeven_config_static_selectorELNS0_4arch9wavefront6targetE0EEEvSK_.private_seg_size, 0
	.set _ZN7rocprim17ROCPRIM_400000_NS6detail17trampoline_kernelINS0_14default_configENS1_38merge_sort_block_merge_config_selectorIiNS0_10empty_typeEEEZZNS1_27merge_sort_block_merge_implIS3_N6thrust23THRUST_200600_302600_NS6detail15normal_iteratorINS9_10device_ptrIiEEEEPS5_m11less_div_10IiEEE10hipError_tT0_T1_T2_jT3_P12ihipStream_tbPNSt15iterator_traitsISJ_E10value_typeEPNSP_ISK_E10value_typeEPSL_NS1_7vsmem_tEENKUlT_SJ_SK_SL_E_clISE_PiSF_SF_EESI_SY_SJ_SK_SL_EUlSY_E1_NS1_11comp_targetILNS1_3genE0ELNS1_11target_archE4294967295ELNS1_3gpuE0ELNS1_3repE0EEENS1_36merge_oddeven_config_static_selectorELNS0_4arch9wavefront6targetE0EEEvSK_.uses_vcc, 0
	.set _ZN7rocprim17ROCPRIM_400000_NS6detail17trampoline_kernelINS0_14default_configENS1_38merge_sort_block_merge_config_selectorIiNS0_10empty_typeEEEZZNS1_27merge_sort_block_merge_implIS3_N6thrust23THRUST_200600_302600_NS6detail15normal_iteratorINS9_10device_ptrIiEEEEPS5_m11less_div_10IiEEE10hipError_tT0_T1_T2_jT3_P12ihipStream_tbPNSt15iterator_traitsISJ_E10value_typeEPNSP_ISK_E10value_typeEPSL_NS1_7vsmem_tEENKUlT_SJ_SK_SL_E_clISE_PiSF_SF_EESI_SY_SJ_SK_SL_EUlSY_E1_NS1_11comp_targetILNS1_3genE0ELNS1_11target_archE4294967295ELNS1_3gpuE0ELNS1_3repE0EEENS1_36merge_oddeven_config_static_selectorELNS0_4arch9wavefront6targetE0EEEvSK_.uses_flat_scratch, 0
	.set _ZN7rocprim17ROCPRIM_400000_NS6detail17trampoline_kernelINS0_14default_configENS1_38merge_sort_block_merge_config_selectorIiNS0_10empty_typeEEEZZNS1_27merge_sort_block_merge_implIS3_N6thrust23THRUST_200600_302600_NS6detail15normal_iteratorINS9_10device_ptrIiEEEEPS5_m11less_div_10IiEEE10hipError_tT0_T1_T2_jT3_P12ihipStream_tbPNSt15iterator_traitsISJ_E10value_typeEPNSP_ISK_E10value_typeEPSL_NS1_7vsmem_tEENKUlT_SJ_SK_SL_E_clISE_PiSF_SF_EESI_SY_SJ_SK_SL_EUlSY_E1_NS1_11comp_targetILNS1_3genE0ELNS1_11target_archE4294967295ELNS1_3gpuE0ELNS1_3repE0EEENS1_36merge_oddeven_config_static_selectorELNS0_4arch9wavefront6targetE0EEEvSK_.has_dyn_sized_stack, 0
	.set _ZN7rocprim17ROCPRIM_400000_NS6detail17trampoline_kernelINS0_14default_configENS1_38merge_sort_block_merge_config_selectorIiNS0_10empty_typeEEEZZNS1_27merge_sort_block_merge_implIS3_N6thrust23THRUST_200600_302600_NS6detail15normal_iteratorINS9_10device_ptrIiEEEEPS5_m11less_div_10IiEEE10hipError_tT0_T1_T2_jT3_P12ihipStream_tbPNSt15iterator_traitsISJ_E10value_typeEPNSP_ISK_E10value_typeEPSL_NS1_7vsmem_tEENKUlT_SJ_SK_SL_E_clISE_PiSF_SF_EESI_SY_SJ_SK_SL_EUlSY_E1_NS1_11comp_targetILNS1_3genE0ELNS1_11target_archE4294967295ELNS1_3gpuE0ELNS1_3repE0EEENS1_36merge_oddeven_config_static_selectorELNS0_4arch9wavefront6targetE0EEEvSK_.has_recursion, 0
	.set _ZN7rocprim17ROCPRIM_400000_NS6detail17trampoline_kernelINS0_14default_configENS1_38merge_sort_block_merge_config_selectorIiNS0_10empty_typeEEEZZNS1_27merge_sort_block_merge_implIS3_N6thrust23THRUST_200600_302600_NS6detail15normal_iteratorINS9_10device_ptrIiEEEEPS5_m11less_div_10IiEEE10hipError_tT0_T1_T2_jT3_P12ihipStream_tbPNSt15iterator_traitsISJ_E10value_typeEPNSP_ISK_E10value_typeEPSL_NS1_7vsmem_tEENKUlT_SJ_SK_SL_E_clISE_PiSF_SF_EESI_SY_SJ_SK_SL_EUlSY_E1_NS1_11comp_targetILNS1_3genE0ELNS1_11target_archE4294967295ELNS1_3gpuE0ELNS1_3repE0EEENS1_36merge_oddeven_config_static_selectorELNS0_4arch9wavefront6targetE0EEEvSK_.has_indirect_call, 0
	.section	.AMDGPU.csdata,"",@progbits
; Kernel info:
; codeLenInByte = 0
; TotalNumSgprs: 0
; NumVgprs: 0
; ScratchSize: 0
; MemoryBound: 0
; FloatMode: 240
; IeeeMode: 1
; LDSByteSize: 0 bytes/workgroup (compile time only)
; SGPRBlocks: 0
; VGPRBlocks: 0
; NumSGPRsForWavesPerEU: 1
; NumVGPRsForWavesPerEU: 1
; Occupancy: 16
; WaveLimiterHint : 0
; COMPUTE_PGM_RSRC2:SCRATCH_EN: 0
; COMPUTE_PGM_RSRC2:USER_SGPR: 6
; COMPUTE_PGM_RSRC2:TRAP_HANDLER: 0
; COMPUTE_PGM_RSRC2:TGID_X_EN: 1
; COMPUTE_PGM_RSRC2:TGID_Y_EN: 0
; COMPUTE_PGM_RSRC2:TGID_Z_EN: 0
; COMPUTE_PGM_RSRC2:TIDIG_COMP_CNT: 0
	.section	.text._ZN7rocprim17ROCPRIM_400000_NS6detail17trampoline_kernelINS0_14default_configENS1_38merge_sort_block_merge_config_selectorIiNS0_10empty_typeEEEZZNS1_27merge_sort_block_merge_implIS3_N6thrust23THRUST_200600_302600_NS6detail15normal_iteratorINS9_10device_ptrIiEEEEPS5_m11less_div_10IiEEE10hipError_tT0_T1_T2_jT3_P12ihipStream_tbPNSt15iterator_traitsISJ_E10value_typeEPNSP_ISK_E10value_typeEPSL_NS1_7vsmem_tEENKUlT_SJ_SK_SL_E_clISE_PiSF_SF_EESI_SY_SJ_SK_SL_EUlSY_E1_NS1_11comp_targetILNS1_3genE10ELNS1_11target_archE1201ELNS1_3gpuE5ELNS1_3repE0EEENS1_36merge_oddeven_config_static_selectorELNS0_4arch9wavefront6targetE0EEEvSK_,"axG",@progbits,_ZN7rocprim17ROCPRIM_400000_NS6detail17trampoline_kernelINS0_14default_configENS1_38merge_sort_block_merge_config_selectorIiNS0_10empty_typeEEEZZNS1_27merge_sort_block_merge_implIS3_N6thrust23THRUST_200600_302600_NS6detail15normal_iteratorINS9_10device_ptrIiEEEEPS5_m11less_div_10IiEEE10hipError_tT0_T1_T2_jT3_P12ihipStream_tbPNSt15iterator_traitsISJ_E10value_typeEPNSP_ISK_E10value_typeEPSL_NS1_7vsmem_tEENKUlT_SJ_SK_SL_E_clISE_PiSF_SF_EESI_SY_SJ_SK_SL_EUlSY_E1_NS1_11comp_targetILNS1_3genE10ELNS1_11target_archE1201ELNS1_3gpuE5ELNS1_3repE0EEENS1_36merge_oddeven_config_static_selectorELNS0_4arch9wavefront6targetE0EEEvSK_,comdat
	.protected	_ZN7rocprim17ROCPRIM_400000_NS6detail17trampoline_kernelINS0_14default_configENS1_38merge_sort_block_merge_config_selectorIiNS0_10empty_typeEEEZZNS1_27merge_sort_block_merge_implIS3_N6thrust23THRUST_200600_302600_NS6detail15normal_iteratorINS9_10device_ptrIiEEEEPS5_m11less_div_10IiEEE10hipError_tT0_T1_T2_jT3_P12ihipStream_tbPNSt15iterator_traitsISJ_E10value_typeEPNSP_ISK_E10value_typeEPSL_NS1_7vsmem_tEENKUlT_SJ_SK_SL_E_clISE_PiSF_SF_EESI_SY_SJ_SK_SL_EUlSY_E1_NS1_11comp_targetILNS1_3genE10ELNS1_11target_archE1201ELNS1_3gpuE5ELNS1_3repE0EEENS1_36merge_oddeven_config_static_selectorELNS0_4arch9wavefront6targetE0EEEvSK_ ; -- Begin function _ZN7rocprim17ROCPRIM_400000_NS6detail17trampoline_kernelINS0_14default_configENS1_38merge_sort_block_merge_config_selectorIiNS0_10empty_typeEEEZZNS1_27merge_sort_block_merge_implIS3_N6thrust23THRUST_200600_302600_NS6detail15normal_iteratorINS9_10device_ptrIiEEEEPS5_m11less_div_10IiEEE10hipError_tT0_T1_T2_jT3_P12ihipStream_tbPNSt15iterator_traitsISJ_E10value_typeEPNSP_ISK_E10value_typeEPSL_NS1_7vsmem_tEENKUlT_SJ_SK_SL_E_clISE_PiSF_SF_EESI_SY_SJ_SK_SL_EUlSY_E1_NS1_11comp_targetILNS1_3genE10ELNS1_11target_archE1201ELNS1_3gpuE5ELNS1_3repE0EEENS1_36merge_oddeven_config_static_selectorELNS0_4arch9wavefront6targetE0EEEvSK_
	.globl	_ZN7rocprim17ROCPRIM_400000_NS6detail17trampoline_kernelINS0_14default_configENS1_38merge_sort_block_merge_config_selectorIiNS0_10empty_typeEEEZZNS1_27merge_sort_block_merge_implIS3_N6thrust23THRUST_200600_302600_NS6detail15normal_iteratorINS9_10device_ptrIiEEEEPS5_m11less_div_10IiEEE10hipError_tT0_T1_T2_jT3_P12ihipStream_tbPNSt15iterator_traitsISJ_E10value_typeEPNSP_ISK_E10value_typeEPSL_NS1_7vsmem_tEENKUlT_SJ_SK_SL_E_clISE_PiSF_SF_EESI_SY_SJ_SK_SL_EUlSY_E1_NS1_11comp_targetILNS1_3genE10ELNS1_11target_archE1201ELNS1_3gpuE5ELNS1_3repE0EEENS1_36merge_oddeven_config_static_selectorELNS0_4arch9wavefront6targetE0EEEvSK_
	.p2align	8
	.type	_ZN7rocprim17ROCPRIM_400000_NS6detail17trampoline_kernelINS0_14default_configENS1_38merge_sort_block_merge_config_selectorIiNS0_10empty_typeEEEZZNS1_27merge_sort_block_merge_implIS3_N6thrust23THRUST_200600_302600_NS6detail15normal_iteratorINS9_10device_ptrIiEEEEPS5_m11less_div_10IiEEE10hipError_tT0_T1_T2_jT3_P12ihipStream_tbPNSt15iterator_traitsISJ_E10value_typeEPNSP_ISK_E10value_typeEPSL_NS1_7vsmem_tEENKUlT_SJ_SK_SL_E_clISE_PiSF_SF_EESI_SY_SJ_SK_SL_EUlSY_E1_NS1_11comp_targetILNS1_3genE10ELNS1_11target_archE1201ELNS1_3gpuE5ELNS1_3repE0EEENS1_36merge_oddeven_config_static_selectorELNS0_4arch9wavefront6targetE0EEEvSK_,@function
_ZN7rocprim17ROCPRIM_400000_NS6detail17trampoline_kernelINS0_14default_configENS1_38merge_sort_block_merge_config_selectorIiNS0_10empty_typeEEEZZNS1_27merge_sort_block_merge_implIS3_N6thrust23THRUST_200600_302600_NS6detail15normal_iteratorINS9_10device_ptrIiEEEEPS5_m11less_div_10IiEEE10hipError_tT0_T1_T2_jT3_P12ihipStream_tbPNSt15iterator_traitsISJ_E10value_typeEPNSP_ISK_E10value_typeEPSL_NS1_7vsmem_tEENKUlT_SJ_SK_SL_E_clISE_PiSF_SF_EESI_SY_SJ_SK_SL_EUlSY_E1_NS1_11comp_targetILNS1_3genE10ELNS1_11target_archE1201ELNS1_3gpuE5ELNS1_3repE0EEENS1_36merge_oddeven_config_static_selectorELNS0_4arch9wavefront6targetE0EEEvSK_: ; @_ZN7rocprim17ROCPRIM_400000_NS6detail17trampoline_kernelINS0_14default_configENS1_38merge_sort_block_merge_config_selectorIiNS0_10empty_typeEEEZZNS1_27merge_sort_block_merge_implIS3_N6thrust23THRUST_200600_302600_NS6detail15normal_iteratorINS9_10device_ptrIiEEEEPS5_m11less_div_10IiEEE10hipError_tT0_T1_T2_jT3_P12ihipStream_tbPNSt15iterator_traitsISJ_E10value_typeEPNSP_ISK_E10value_typeEPSL_NS1_7vsmem_tEENKUlT_SJ_SK_SL_E_clISE_PiSF_SF_EESI_SY_SJ_SK_SL_EUlSY_E1_NS1_11comp_targetILNS1_3genE10ELNS1_11target_archE1201ELNS1_3gpuE5ELNS1_3repE0EEENS1_36merge_oddeven_config_static_selectorELNS0_4arch9wavefront6targetE0EEEvSK_
; %bb.0:
	.section	.rodata,"a",@progbits
	.p2align	6, 0x0
	.amdhsa_kernel _ZN7rocprim17ROCPRIM_400000_NS6detail17trampoline_kernelINS0_14default_configENS1_38merge_sort_block_merge_config_selectorIiNS0_10empty_typeEEEZZNS1_27merge_sort_block_merge_implIS3_N6thrust23THRUST_200600_302600_NS6detail15normal_iteratorINS9_10device_ptrIiEEEEPS5_m11less_div_10IiEEE10hipError_tT0_T1_T2_jT3_P12ihipStream_tbPNSt15iterator_traitsISJ_E10value_typeEPNSP_ISK_E10value_typeEPSL_NS1_7vsmem_tEENKUlT_SJ_SK_SL_E_clISE_PiSF_SF_EESI_SY_SJ_SK_SL_EUlSY_E1_NS1_11comp_targetILNS1_3genE10ELNS1_11target_archE1201ELNS1_3gpuE5ELNS1_3repE0EEENS1_36merge_oddeven_config_static_selectorELNS0_4arch9wavefront6targetE0EEEvSK_
		.amdhsa_group_segment_fixed_size 0
		.amdhsa_private_segment_fixed_size 0
		.amdhsa_kernarg_size 56
		.amdhsa_user_sgpr_count 6
		.amdhsa_user_sgpr_private_segment_buffer 1
		.amdhsa_user_sgpr_dispatch_ptr 0
		.amdhsa_user_sgpr_queue_ptr 0
		.amdhsa_user_sgpr_kernarg_segment_ptr 1
		.amdhsa_user_sgpr_dispatch_id 0
		.amdhsa_user_sgpr_flat_scratch_init 0
		.amdhsa_user_sgpr_private_segment_size 0
		.amdhsa_wavefront_size32 1
		.amdhsa_uses_dynamic_stack 0
		.amdhsa_system_sgpr_private_segment_wavefront_offset 0
		.amdhsa_system_sgpr_workgroup_id_x 1
		.amdhsa_system_sgpr_workgroup_id_y 0
		.amdhsa_system_sgpr_workgroup_id_z 0
		.amdhsa_system_sgpr_workgroup_info 0
		.amdhsa_system_vgpr_workitem_id 0
		.amdhsa_next_free_vgpr 1
		.amdhsa_next_free_sgpr 1
		.amdhsa_reserve_vcc 0
		.amdhsa_reserve_flat_scratch 0
		.amdhsa_float_round_mode_32 0
		.amdhsa_float_round_mode_16_64 0
		.amdhsa_float_denorm_mode_32 3
		.amdhsa_float_denorm_mode_16_64 3
		.amdhsa_dx10_clamp 1
		.amdhsa_ieee_mode 1
		.amdhsa_fp16_overflow 0
		.amdhsa_workgroup_processor_mode 1
		.amdhsa_memory_ordered 1
		.amdhsa_forward_progress 1
		.amdhsa_shared_vgpr_count 0
		.amdhsa_exception_fp_ieee_invalid_op 0
		.amdhsa_exception_fp_denorm_src 0
		.amdhsa_exception_fp_ieee_div_zero 0
		.amdhsa_exception_fp_ieee_overflow 0
		.amdhsa_exception_fp_ieee_underflow 0
		.amdhsa_exception_fp_ieee_inexact 0
		.amdhsa_exception_int_div_zero 0
	.end_amdhsa_kernel
	.section	.text._ZN7rocprim17ROCPRIM_400000_NS6detail17trampoline_kernelINS0_14default_configENS1_38merge_sort_block_merge_config_selectorIiNS0_10empty_typeEEEZZNS1_27merge_sort_block_merge_implIS3_N6thrust23THRUST_200600_302600_NS6detail15normal_iteratorINS9_10device_ptrIiEEEEPS5_m11less_div_10IiEEE10hipError_tT0_T1_T2_jT3_P12ihipStream_tbPNSt15iterator_traitsISJ_E10value_typeEPNSP_ISK_E10value_typeEPSL_NS1_7vsmem_tEENKUlT_SJ_SK_SL_E_clISE_PiSF_SF_EESI_SY_SJ_SK_SL_EUlSY_E1_NS1_11comp_targetILNS1_3genE10ELNS1_11target_archE1201ELNS1_3gpuE5ELNS1_3repE0EEENS1_36merge_oddeven_config_static_selectorELNS0_4arch9wavefront6targetE0EEEvSK_,"axG",@progbits,_ZN7rocprim17ROCPRIM_400000_NS6detail17trampoline_kernelINS0_14default_configENS1_38merge_sort_block_merge_config_selectorIiNS0_10empty_typeEEEZZNS1_27merge_sort_block_merge_implIS3_N6thrust23THRUST_200600_302600_NS6detail15normal_iteratorINS9_10device_ptrIiEEEEPS5_m11less_div_10IiEEE10hipError_tT0_T1_T2_jT3_P12ihipStream_tbPNSt15iterator_traitsISJ_E10value_typeEPNSP_ISK_E10value_typeEPSL_NS1_7vsmem_tEENKUlT_SJ_SK_SL_E_clISE_PiSF_SF_EESI_SY_SJ_SK_SL_EUlSY_E1_NS1_11comp_targetILNS1_3genE10ELNS1_11target_archE1201ELNS1_3gpuE5ELNS1_3repE0EEENS1_36merge_oddeven_config_static_selectorELNS0_4arch9wavefront6targetE0EEEvSK_,comdat
.Lfunc_end470:
	.size	_ZN7rocprim17ROCPRIM_400000_NS6detail17trampoline_kernelINS0_14default_configENS1_38merge_sort_block_merge_config_selectorIiNS0_10empty_typeEEEZZNS1_27merge_sort_block_merge_implIS3_N6thrust23THRUST_200600_302600_NS6detail15normal_iteratorINS9_10device_ptrIiEEEEPS5_m11less_div_10IiEEE10hipError_tT0_T1_T2_jT3_P12ihipStream_tbPNSt15iterator_traitsISJ_E10value_typeEPNSP_ISK_E10value_typeEPSL_NS1_7vsmem_tEENKUlT_SJ_SK_SL_E_clISE_PiSF_SF_EESI_SY_SJ_SK_SL_EUlSY_E1_NS1_11comp_targetILNS1_3genE10ELNS1_11target_archE1201ELNS1_3gpuE5ELNS1_3repE0EEENS1_36merge_oddeven_config_static_selectorELNS0_4arch9wavefront6targetE0EEEvSK_, .Lfunc_end470-_ZN7rocprim17ROCPRIM_400000_NS6detail17trampoline_kernelINS0_14default_configENS1_38merge_sort_block_merge_config_selectorIiNS0_10empty_typeEEEZZNS1_27merge_sort_block_merge_implIS3_N6thrust23THRUST_200600_302600_NS6detail15normal_iteratorINS9_10device_ptrIiEEEEPS5_m11less_div_10IiEEE10hipError_tT0_T1_T2_jT3_P12ihipStream_tbPNSt15iterator_traitsISJ_E10value_typeEPNSP_ISK_E10value_typeEPSL_NS1_7vsmem_tEENKUlT_SJ_SK_SL_E_clISE_PiSF_SF_EESI_SY_SJ_SK_SL_EUlSY_E1_NS1_11comp_targetILNS1_3genE10ELNS1_11target_archE1201ELNS1_3gpuE5ELNS1_3repE0EEENS1_36merge_oddeven_config_static_selectorELNS0_4arch9wavefront6targetE0EEEvSK_
                                        ; -- End function
	.set _ZN7rocprim17ROCPRIM_400000_NS6detail17trampoline_kernelINS0_14default_configENS1_38merge_sort_block_merge_config_selectorIiNS0_10empty_typeEEEZZNS1_27merge_sort_block_merge_implIS3_N6thrust23THRUST_200600_302600_NS6detail15normal_iteratorINS9_10device_ptrIiEEEEPS5_m11less_div_10IiEEE10hipError_tT0_T1_T2_jT3_P12ihipStream_tbPNSt15iterator_traitsISJ_E10value_typeEPNSP_ISK_E10value_typeEPSL_NS1_7vsmem_tEENKUlT_SJ_SK_SL_E_clISE_PiSF_SF_EESI_SY_SJ_SK_SL_EUlSY_E1_NS1_11comp_targetILNS1_3genE10ELNS1_11target_archE1201ELNS1_3gpuE5ELNS1_3repE0EEENS1_36merge_oddeven_config_static_selectorELNS0_4arch9wavefront6targetE0EEEvSK_.num_vgpr, 0
	.set _ZN7rocprim17ROCPRIM_400000_NS6detail17trampoline_kernelINS0_14default_configENS1_38merge_sort_block_merge_config_selectorIiNS0_10empty_typeEEEZZNS1_27merge_sort_block_merge_implIS3_N6thrust23THRUST_200600_302600_NS6detail15normal_iteratorINS9_10device_ptrIiEEEEPS5_m11less_div_10IiEEE10hipError_tT0_T1_T2_jT3_P12ihipStream_tbPNSt15iterator_traitsISJ_E10value_typeEPNSP_ISK_E10value_typeEPSL_NS1_7vsmem_tEENKUlT_SJ_SK_SL_E_clISE_PiSF_SF_EESI_SY_SJ_SK_SL_EUlSY_E1_NS1_11comp_targetILNS1_3genE10ELNS1_11target_archE1201ELNS1_3gpuE5ELNS1_3repE0EEENS1_36merge_oddeven_config_static_selectorELNS0_4arch9wavefront6targetE0EEEvSK_.num_agpr, 0
	.set _ZN7rocprim17ROCPRIM_400000_NS6detail17trampoline_kernelINS0_14default_configENS1_38merge_sort_block_merge_config_selectorIiNS0_10empty_typeEEEZZNS1_27merge_sort_block_merge_implIS3_N6thrust23THRUST_200600_302600_NS6detail15normal_iteratorINS9_10device_ptrIiEEEEPS5_m11less_div_10IiEEE10hipError_tT0_T1_T2_jT3_P12ihipStream_tbPNSt15iterator_traitsISJ_E10value_typeEPNSP_ISK_E10value_typeEPSL_NS1_7vsmem_tEENKUlT_SJ_SK_SL_E_clISE_PiSF_SF_EESI_SY_SJ_SK_SL_EUlSY_E1_NS1_11comp_targetILNS1_3genE10ELNS1_11target_archE1201ELNS1_3gpuE5ELNS1_3repE0EEENS1_36merge_oddeven_config_static_selectorELNS0_4arch9wavefront6targetE0EEEvSK_.numbered_sgpr, 0
	.set _ZN7rocprim17ROCPRIM_400000_NS6detail17trampoline_kernelINS0_14default_configENS1_38merge_sort_block_merge_config_selectorIiNS0_10empty_typeEEEZZNS1_27merge_sort_block_merge_implIS3_N6thrust23THRUST_200600_302600_NS6detail15normal_iteratorINS9_10device_ptrIiEEEEPS5_m11less_div_10IiEEE10hipError_tT0_T1_T2_jT3_P12ihipStream_tbPNSt15iterator_traitsISJ_E10value_typeEPNSP_ISK_E10value_typeEPSL_NS1_7vsmem_tEENKUlT_SJ_SK_SL_E_clISE_PiSF_SF_EESI_SY_SJ_SK_SL_EUlSY_E1_NS1_11comp_targetILNS1_3genE10ELNS1_11target_archE1201ELNS1_3gpuE5ELNS1_3repE0EEENS1_36merge_oddeven_config_static_selectorELNS0_4arch9wavefront6targetE0EEEvSK_.num_named_barrier, 0
	.set _ZN7rocprim17ROCPRIM_400000_NS6detail17trampoline_kernelINS0_14default_configENS1_38merge_sort_block_merge_config_selectorIiNS0_10empty_typeEEEZZNS1_27merge_sort_block_merge_implIS3_N6thrust23THRUST_200600_302600_NS6detail15normal_iteratorINS9_10device_ptrIiEEEEPS5_m11less_div_10IiEEE10hipError_tT0_T1_T2_jT3_P12ihipStream_tbPNSt15iterator_traitsISJ_E10value_typeEPNSP_ISK_E10value_typeEPSL_NS1_7vsmem_tEENKUlT_SJ_SK_SL_E_clISE_PiSF_SF_EESI_SY_SJ_SK_SL_EUlSY_E1_NS1_11comp_targetILNS1_3genE10ELNS1_11target_archE1201ELNS1_3gpuE5ELNS1_3repE0EEENS1_36merge_oddeven_config_static_selectorELNS0_4arch9wavefront6targetE0EEEvSK_.private_seg_size, 0
	.set _ZN7rocprim17ROCPRIM_400000_NS6detail17trampoline_kernelINS0_14default_configENS1_38merge_sort_block_merge_config_selectorIiNS0_10empty_typeEEEZZNS1_27merge_sort_block_merge_implIS3_N6thrust23THRUST_200600_302600_NS6detail15normal_iteratorINS9_10device_ptrIiEEEEPS5_m11less_div_10IiEEE10hipError_tT0_T1_T2_jT3_P12ihipStream_tbPNSt15iterator_traitsISJ_E10value_typeEPNSP_ISK_E10value_typeEPSL_NS1_7vsmem_tEENKUlT_SJ_SK_SL_E_clISE_PiSF_SF_EESI_SY_SJ_SK_SL_EUlSY_E1_NS1_11comp_targetILNS1_3genE10ELNS1_11target_archE1201ELNS1_3gpuE5ELNS1_3repE0EEENS1_36merge_oddeven_config_static_selectorELNS0_4arch9wavefront6targetE0EEEvSK_.uses_vcc, 0
	.set _ZN7rocprim17ROCPRIM_400000_NS6detail17trampoline_kernelINS0_14default_configENS1_38merge_sort_block_merge_config_selectorIiNS0_10empty_typeEEEZZNS1_27merge_sort_block_merge_implIS3_N6thrust23THRUST_200600_302600_NS6detail15normal_iteratorINS9_10device_ptrIiEEEEPS5_m11less_div_10IiEEE10hipError_tT0_T1_T2_jT3_P12ihipStream_tbPNSt15iterator_traitsISJ_E10value_typeEPNSP_ISK_E10value_typeEPSL_NS1_7vsmem_tEENKUlT_SJ_SK_SL_E_clISE_PiSF_SF_EESI_SY_SJ_SK_SL_EUlSY_E1_NS1_11comp_targetILNS1_3genE10ELNS1_11target_archE1201ELNS1_3gpuE5ELNS1_3repE0EEENS1_36merge_oddeven_config_static_selectorELNS0_4arch9wavefront6targetE0EEEvSK_.uses_flat_scratch, 0
	.set _ZN7rocprim17ROCPRIM_400000_NS6detail17trampoline_kernelINS0_14default_configENS1_38merge_sort_block_merge_config_selectorIiNS0_10empty_typeEEEZZNS1_27merge_sort_block_merge_implIS3_N6thrust23THRUST_200600_302600_NS6detail15normal_iteratorINS9_10device_ptrIiEEEEPS5_m11less_div_10IiEEE10hipError_tT0_T1_T2_jT3_P12ihipStream_tbPNSt15iterator_traitsISJ_E10value_typeEPNSP_ISK_E10value_typeEPSL_NS1_7vsmem_tEENKUlT_SJ_SK_SL_E_clISE_PiSF_SF_EESI_SY_SJ_SK_SL_EUlSY_E1_NS1_11comp_targetILNS1_3genE10ELNS1_11target_archE1201ELNS1_3gpuE5ELNS1_3repE0EEENS1_36merge_oddeven_config_static_selectorELNS0_4arch9wavefront6targetE0EEEvSK_.has_dyn_sized_stack, 0
	.set _ZN7rocprim17ROCPRIM_400000_NS6detail17trampoline_kernelINS0_14default_configENS1_38merge_sort_block_merge_config_selectorIiNS0_10empty_typeEEEZZNS1_27merge_sort_block_merge_implIS3_N6thrust23THRUST_200600_302600_NS6detail15normal_iteratorINS9_10device_ptrIiEEEEPS5_m11less_div_10IiEEE10hipError_tT0_T1_T2_jT3_P12ihipStream_tbPNSt15iterator_traitsISJ_E10value_typeEPNSP_ISK_E10value_typeEPSL_NS1_7vsmem_tEENKUlT_SJ_SK_SL_E_clISE_PiSF_SF_EESI_SY_SJ_SK_SL_EUlSY_E1_NS1_11comp_targetILNS1_3genE10ELNS1_11target_archE1201ELNS1_3gpuE5ELNS1_3repE0EEENS1_36merge_oddeven_config_static_selectorELNS0_4arch9wavefront6targetE0EEEvSK_.has_recursion, 0
	.set _ZN7rocprim17ROCPRIM_400000_NS6detail17trampoline_kernelINS0_14default_configENS1_38merge_sort_block_merge_config_selectorIiNS0_10empty_typeEEEZZNS1_27merge_sort_block_merge_implIS3_N6thrust23THRUST_200600_302600_NS6detail15normal_iteratorINS9_10device_ptrIiEEEEPS5_m11less_div_10IiEEE10hipError_tT0_T1_T2_jT3_P12ihipStream_tbPNSt15iterator_traitsISJ_E10value_typeEPNSP_ISK_E10value_typeEPSL_NS1_7vsmem_tEENKUlT_SJ_SK_SL_E_clISE_PiSF_SF_EESI_SY_SJ_SK_SL_EUlSY_E1_NS1_11comp_targetILNS1_3genE10ELNS1_11target_archE1201ELNS1_3gpuE5ELNS1_3repE0EEENS1_36merge_oddeven_config_static_selectorELNS0_4arch9wavefront6targetE0EEEvSK_.has_indirect_call, 0
	.section	.AMDGPU.csdata,"",@progbits
; Kernel info:
; codeLenInByte = 0
; TotalNumSgprs: 0
; NumVgprs: 0
; ScratchSize: 0
; MemoryBound: 0
; FloatMode: 240
; IeeeMode: 1
; LDSByteSize: 0 bytes/workgroup (compile time only)
; SGPRBlocks: 0
; VGPRBlocks: 0
; NumSGPRsForWavesPerEU: 1
; NumVGPRsForWavesPerEU: 1
; Occupancy: 16
; WaveLimiterHint : 0
; COMPUTE_PGM_RSRC2:SCRATCH_EN: 0
; COMPUTE_PGM_RSRC2:USER_SGPR: 6
; COMPUTE_PGM_RSRC2:TRAP_HANDLER: 0
; COMPUTE_PGM_RSRC2:TGID_X_EN: 1
; COMPUTE_PGM_RSRC2:TGID_Y_EN: 0
; COMPUTE_PGM_RSRC2:TGID_Z_EN: 0
; COMPUTE_PGM_RSRC2:TIDIG_COMP_CNT: 0
	.section	.text._ZN7rocprim17ROCPRIM_400000_NS6detail17trampoline_kernelINS0_14default_configENS1_38merge_sort_block_merge_config_selectorIiNS0_10empty_typeEEEZZNS1_27merge_sort_block_merge_implIS3_N6thrust23THRUST_200600_302600_NS6detail15normal_iteratorINS9_10device_ptrIiEEEEPS5_m11less_div_10IiEEE10hipError_tT0_T1_T2_jT3_P12ihipStream_tbPNSt15iterator_traitsISJ_E10value_typeEPNSP_ISK_E10value_typeEPSL_NS1_7vsmem_tEENKUlT_SJ_SK_SL_E_clISE_PiSF_SF_EESI_SY_SJ_SK_SL_EUlSY_E1_NS1_11comp_targetILNS1_3genE5ELNS1_11target_archE942ELNS1_3gpuE9ELNS1_3repE0EEENS1_36merge_oddeven_config_static_selectorELNS0_4arch9wavefront6targetE0EEEvSK_,"axG",@progbits,_ZN7rocprim17ROCPRIM_400000_NS6detail17trampoline_kernelINS0_14default_configENS1_38merge_sort_block_merge_config_selectorIiNS0_10empty_typeEEEZZNS1_27merge_sort_block_merge_implIS3_N6thrust23THRUST_200600_302600_NS6detail15normal_iteratorINS9_10device_ptrIiEEEEPS5_m11less_div_10IiEEE10hipError_tT0_T1_T2_jT3_P12ihipStream_tbPNSt15iterator_traitsISJ_E10value_typeEPNSP_ISK_E10value_typeEPSL_NS1_7vsmem_tEENKUlT_SJ_SK_SL_E_clISE_PiSF_SF_EESI_SY_SJ_SK_SL_EUlSY_E1_NS1_11comp_targetILNS1_3genE5ELNS1_11target_archE942ELNS1_3gpuE9ELNS1_3repE0EEENS1_36merge_oddeven_config_static_selectorELNS0_4arch9wavefront6targetE0EEEvSK_,comdat
	.protected	_ZN7rocprim17ROCPRIM_400000_NS6detail17trampoline_kernelINS0_14default_configENS1_38merge_sort_block_merge_config_selectorIiNS0_10empty_typeEEEZZNS1_27merge_sort_block_merge_implIS3_N6thrust23THRUST_200600_302600_NS6detail15normal_iteratorINS9_10device_ptrIiEEEEPS5_m11less_div_10IiEEE10hipError_tT0_T1_T2_jT3_P12ihipStream_tbPNSt15iterator_traitsISJ_E10value_typeEPNSP_ISK_E10value_typeEPSL_NS1_7vsmem_tEENKUlT_SJ_SK_SL_E_clISE_PiSF_SF_EESI_SY_SJ_SK_SL_EUlSY_E1_NS1_11comp_targetILNS1_3genE5ELNS1_11target_archE942ELNS1_3gpuE9ELNS1_3repE0EEENS1_36merge_oddeven_config_static_selectorELNS0_4arch9wavefront6targetE0EEEvSK_ ; -- Begin function _ZN7rocprim17ROCPRIM_400000_NS6detail17trampoline_kernelINS0_14default_configENS1_38merge_sort_block_merge_config_selectorIiNS0_10empty_typeEEEZZNS1_27merge_sort_block_merge_implIS3_N6thrust23THRUST_200600_302600_NS6detail15normal_iteratorINS9_10device_ptrIiEEEEPS5_m11less_div_10IiEEE10hipError_tT0_T1_T2_jT3_P12ihipStream_tbPNSt15iterator_traitsISJ_E10value_typeEPNSP_ISK_E10value_typeEPSL_NS1_7vsmem_tEENKUlT_SJ_SK_SL_E_clISE_PiSF_SF_EESI_SY_SJ_SK_SL_EUlSY_E1_NS1_11comp_targetILNS1_3genE5ELNS1_11target_archE942ELNS1_3gpuE9ELNS1_3repE0EEENS1_36merge_oddeven_config_static_selectorELNS0_4arch9wavefront6targetE0EEEvSK_
	.globl	_ZN7rocprim17ROCPRIM_400000_NS6detail17trampoline_kernelINS0_14default_configENS1_38merge_sort_block_merge_config_selectorIiNS0_10empty_typeEEEZZNS1_27merge_sort_block_merge_implIS3_N6thrust23THRUST_200600_302600_NS6detail15normal_iteratorINS9_10device_ptrIiEEEEPS5_m11less_div_10IiEEE10hipError_tT0_T1_T2_jT3_P12ihipStream_tbPNSt15iterator_traitsISJ_E10value_typeEPNSP_ISK_E10value_typeEPSL_NS1_7vsmem_tEENKUlT_SJ_SK_SL_E_clISE_PiSF_SF_EESI_SY_SJ_SK_SL_EUlSY_E1_NS1_11comp_targetILNS1_3genE5ELNS1_11target_archE942ELNS1_3gpuE9ELNS1_3repE0EEENS1_36merge_oddeven_config_static_selectorELNS0_4arch9wavefront6targetE0EEEvSK_
	.p2align	8
	.type	_ZN7rocprim17ROCPRIM_400000_NS6detail17trampoline_kernelINS0_14default_configENS1_38merge_sort_block_merge_config_selectorIiNS0_10empty_typeEEEZZNS1_27merge_sort_block_merge_implIS3_N6thrust23THRUST_200600_302600_NS6detail15normal_iteratorINS9_10device_ptrIiEEEEPS5_m11less_div_10IiEEE10hipError_tT0_T1_T2_jT3_P12ihipStream_tbPNSt15iterator_traitsISJ_E10value_typeEPNSP_ISK_E10value_typeEPSL_NS1_7vsmem_tEENKUlT_SJ_SK_SL_E_clISE_PiSF_SF_EESI_SY_SJ_SK_SL_EUlSY_E1_NS1_11comp_targetILNS1_3genE5ELNS1_11target_archE942ELNS1_3gpuE9ELNS1_3repE0EEENS1_36merge_oddeven_config_static_selectorELNS0_4arch9wavefront6targetE0EEEvSK_,@function
_ZN7rocprim17ROCPRIM_400000_NS6detail17trampoline_kernelINS0_14default_configENS1_38merge_sort_block_merge_config_selectorIiNS0_10empty_typeEEEZZNS1_27merge_sort_block_merge_implIS3_N6thrust23THRUST_200600_302600_NS6detail15normal_iteratorINS9_10device_ptrIiEEEEPS5_m11less_div_10IiEEE10hipError_tT0_T1_T2_jT3_P12ihipStream_tbPNSt15iterator_traitsISJ_E10value_typeEPNSP_ISK_E10value_typeEPSL_NS1_7vsmem_tEENKUlT_SJ_SK_SL_E_clISE_PiSF_SF_EESI_SY_SJ_SK_SL_EUlSY_E1_NS1_11comp_targetILNS1_3genE5ELNS1_11target_archE942ELNS1_3gpuE9ELNS1_3repE0EEENS1_36merge_oddeven_config_static_selectorELNS0_4arch9wavefront6targetE0EEEvSK_: ; @_ZN7rocprim17ROCPRIM_400000_NS6detail17trampoline_kernelINS0_14default_configENS1_38merge_sort_block_merge_config_selectorIiNS0_10empty_typeEEEZZNS1_27merge_sort_block_merge_implIS3_N6thrust23THRUST_200600_302600_NS6detail15normal_iteratorINS9_10device_ptrIiEEEEPS5_m11less_div_10IiEEE10hipError_tT0_T1_T2_jT3_P12ihipStream_tbPNSt15iterator_traitsISJ_E10value_typeEPNSP_ISK_E10value_typeEPSL_NS1_7vsmem_tEENKUlT_SJ_SK_SL_E_clISE_PiSF_SF_EESI_SY_SJ_SK_SL_EUlSY_E1_NS1_11comp_targetILNS1_3genE5ELNS1_11target_archE942ELNS1_3gpuE9ELNS1_3repE0EEENS1_36merge_oddeven_config_static_selectorELNS0_4arch9wavefront6targetE0EEEvSK_
; %bb.0:
	.section	.rodata,"a",@progbits
	.p2align	6, 0x0
	.amdhsa_kernel _ZN7rocprim17ROCPRIM_400000_NS6detail17trampoline_kernelINS0_14default_configENS1_38merge_sort_block_merge_config_selectorIiNS0_10empty_typeEEEZZNS1_27merge_sort_block_merge_implIS3_N6thrust23THRUST_200600_302600_NS6detail15normal_iteratorINS9_10device_ptrIiEEEEPS5_m11less_div_10IiEEE10hipError_tT0_T1_T2_jT3_P12ihipStream_tbPNSt15iterator_traitsISJ_E10value_typeEPNSP_ISK_E10value_typeEPSL_NS1_7vsmem_tEENKUlT_SJ_SK_SL_E_clISE_PiSF_SF_EESI_SY_SJ_SK_SL_EUlSY_E1_NS1_11comp_targetILNS1_3genE5ELNS1_11target_archE942ELNS1_3gpuE9ELNS1_3repE0EEENS1_36merge_oddeven_config_static_selectorELNS0_4arch9wavefront6targetE0EEEvSK_
		.amdhsa_group_segment_fixed_size 0
		.amdhsa_private_segment_fixed_size 0
		.amdhsa_kernarg_size 56
		.amdhsa_user_sgpr_count 6
		.amdhsa_user_sgpr_private_segment_buffer 1
		.amdhsa_user_sgpr_dispatch_ptr 0
		.amdhsa_user_sgpr_queue_ptr 0
		.amdhsa_user_sgpr_kernarg_segment_ptr 1
		.amdhsa_user_sgpr_dispatch_id 0
		.amdhsa_user_sgpr_flat_scratch_init 0
		.amdhsa_user_sgpr_private_segment_size 0
		.amdhsa_wavefront_size32 1
		.amdhsa_uses_dynamic_stack 0
		.amdhsa_system_sgpr_private_segment_wavefront_offset 0
		.amdhsa_system_sgpr_workgroup_id_x 1
		.amdhsa_system_sgpr_workgroup_id_y 0
		.amdhsa_system_sgpr_workgroup_id_z 0
		.amdhsa_system_sgpr_workgroup_info 0
		.amdhsa_system_vgpr_workitem_id 0
		.amdhsa_next_free_vgpr 1
		.amdhsa_next_free_sgpr 1
		.amdhsa_reserve_vcc 0
		.amdhsa_reserve_flat_scratch 0
		.amdhsa_float_round_mode_32 0
		.amdhsa_float_round_mode_16_64 0
		.amdhsa_float_denorm_mode_32 3
		.amdhsa_float_denorm_mode_16_64 3
		.amdhsa_dx10_clamp 1
		.amdhsa_ieee_mode 1
		.amdhsa_fp16_overflow 0
		.amdhsa_workgroup_processor_mode 1
		.amdhsa_memory_ordered 1
		.amdhsa_forward_progress 1
		.amdhsa_shared_vgpr_count 0
		.amdhsa_exception_fp_ieee_invalid_op 0
		.amdhsa_exception_fp_denorm_src 0
		.amdhsa_exception_fp_ieee_div_zero 0
		.amdhsa_exception_fp_ieee_overflow 0
		.amdhsa_exception_fp_ieee_underflow 0
		.amdhsa_exception_fp_ieee_inexact 0
		.amdhsa_exception_int_div_zero 0
	.end_amdhsa_kernel
	.section	.text._ZN7rocprim17ROCPRIM_400000_NS6detail17trampoline_kernelINS0_14default_configENS1_38merge_sort_block_merge_config_selectorIiNS0_10empty_typeEEEZZNS1_27merge_sort_block_merge_implIS3_N6thrust23THRUST_200600_302600_NS6detail15normal_iteratorINS9_10device_ptrIiEEEEPS5_m11less_div_10IiEEE10hipError_tT0_T1_T2_jT3_P12ihipStream_tbPNSt15iterator_traitsISJ_E10value_typeEPNSP_ISK_E10value_typeEPSL_NS1_7vsmem_tEENKUlT_SJ_SK_SL_E_clISE_PiSF_SF_EESI_SY_SJ_SK_SL_EUlSY_E1_NS1_11comp_targetILNS1_3genE5ELNS1_11target_archE942ELNS1_3gpuE9ELNS1_3repE0EEENS1_36merge_oddeven_config_static_selectorELNS0_4arch9wavefront6targetE0EEEvSK_,"axG",@progbits,_ZN7rocprim17ROCPRIM_400000_NS6detail17trampoline_kernelINS0_14default_configENS1_38merge_sort_block_merge_config_selectorIiNS0_10empty_typeEEEZZNS1_27merge_sort_block_merge_implIS3_N6thrust23THRUST_200600_302600_NS6detail15normal_iteratorINS9_10device_ptrIiEEEEPS5_m11less_div_10IiEEE10hipError_tT0_T1_T2_jT3_P12ihipStream_tbPNSt15iterator_traitsISJ_E10value_typeEPNSP_ISK_E10value_typeEPSL_NS1_7vsmem_tEENKUlT_SJ_SK_SL_E_clISE_PiSF_SF_EESI_SY_SJ_SK_SL_EUlSY_E1_NS1_11comp_targetILNS1_3genE5ELNS1_11target_archE942ELNS1_3gpuE9ELNS1_3repE0EEENS1_36merge_oddeven_config_static_selectorELNS0_4arch9wavefront6targetE0EEEvSK_,comdat
.Lfunc_end471:
	.size	_ZN7rocprim17ROCPRIM_400000_NS6detail17trampoline_kernelINS0_14default_configENS1_38merge_sort_block_merge_config_selectorIiNS0_10empty_typeEEEZZNS1_27merge_sort_block_merge_implIS3_N6thrust23THRUST_200600_302600_NS6detail15normal_iteratorINS9_10device_ptrIiEEEEPS5_m11less_div_10IiEEE10hipError_tT0_T1_T2_jT3_P12ihipStream_tbPNSt15iterator_traitsISJ_E10value_typeEPNSP_ISK_E10value_typeEPSL_NS1_7vsmem_tEENKUlT_SJ_SK_SL_E_clISE_PiSF_SF_EESI_SY_SJ_SK_SL_EUlSY_E1_NS1_11comp_targetILNS1_3genE5ELNS1_11target_archE942ELNS1_3gpuE9ELNS1_3repE0EEENS1_36merge_oddeven_config_static_selectorELNS0_4arch9wavefront6targetE0EEEvSK_, .Lfunc_end471-_ZN7rocprim17ROCPRIM_400000_NS6detail17trampoline_kernelINS0_14default_configENS1_38merge_sort_block_merge_config_selectorIiNS0_10empty_typeEEEZZNS1_27merge_sort_block_merge_implIS3_N6thrust23THRUST_200600_302600_NS6detail15normal_iteratorINS9_10device_ptrIiEEEEPS5_m11less_div_10IiEEE10hipError_tT0_T1_T2_jT3_P12ihipStream_tbPNSt15iterator_traitsISJ_E10value_typeEPNSP_ISK_E10value_typeEPSL_NS1_7vsmem_tEENKUlT_SJ_SK_SL_E_clISE_PiSF_SF_EESI_SY_SJ_SK_SL_EUlSY_E1_NS1_11comp_targetILNS1_3genE5ELNS1_11target_archE942ELNS1_3gpuE9ELNS1_3repE0EEENS1_36merge_oddeven_config_static_selectorELNS0_4arch9wavefront6targetE0EEEvSK_
                                        ; -- End function
	.set _ZN7rocprim17ROCPRIM_400000_NS6detail17trampoline_kernelINS0_14default_configENS1_38merge_sort_block_merge_config_selectorIiNS0_10empty_typeEEEZZNS1_27merge_sort_block_merge_implIS3_N6thrust23THRUST_200600_302600_NS6detail15normal_iteratorINS9_10device_ptrIiEEEEPS5_m11less_div_10IiEEE10hipError_tT0_T1_T2_jT3_P12ihipStream_tbPNSt15iterator_traitsISJ_E10value_typeEPNSP_ISK_E10value_typeEPSL_NS1_7vsmem_tEENKUlT_SJ_SK_SL_E_clISE_PiSF_SF_EESI_SY_SJ_SK_SL_EUlSY_E1_NS1_11comp_targetILNS1_3genE5ELNS1_11target_archE942ELNS1_3gpuE9ELNS1_3repE0EEENS1_36merge_oddeven_config_static_selectorELNS0_4arch9wavefront6targetE0EEEvSK_.num_vgpr, 0
	.set _ZN7rocprim17ROCPRIM_400000_NS6detail17trampoline_kernelINS0_14default_configENS1_38merge_sort_block_merge_config_selectorIiNS0_10empty_typeEEEZZNS1_27merge_sort_block_merge_implIS3_N6thrust23THRUST_200600_302600_NS6detail15normal_iteratorINS9_10device_ptrIiEEEEPS5_m11less_div_10IiEEE10hipError_tT0_T1_T2_jT3_P12ihipStream_tbPNSt15iterator_traitsISJ_E10value_typeEPNSP_ISK_E10value_typeEPSL_NS1_7vsmem_tEENKUlT_SJ_SK_SL_E_clISE_PiSF_SF_EESI_SY_SJ_SK_SL_EUlSY_E1_NS1_11comp_targetILNS1_3genE5ELNS1_11target_archE942ELNS1_3gpuE9ELNS1_3repE0EEENS1_36merge_oddeven_config_static_selectorELNS0_4arch9wavefront6targetE0EEEvSK_.num_agpr, 0
	.set _ZN7rocprim17ROCPRIM_400000_NS6detail17trampoline_kernelINS0_14default_configENS1_38merge_sort_block_merge_config_selectorIiNS0_10empty_typeEEEZZNS1_27merge_sort_block_merge_implIS3_N6thrust23THRUST_200600_302600_NS6detail15normal_iteratorINS9_10device_ptrIiEEEEPS5_m11less_div_10IiEEE10hipError_tT0_T1_T2_jT3_P12ihipStream_tbPNSt15iterator_traitsISJ_E10value_typeEPNSP_ISK_E10value_typeEPSL_NS1_7vsmem_tEENKUlT_SJ_SK_SL_E_clISE_PiSF_SF_EESI_SY_SJ_SK_SL_EUlSY_E1_NS1_11comp_targetILNS1_3genE5ELNS1_11target_archE942ELNS1_3gpuE9ELNS1_3repE0EEENS1_36merge_oddeven_config_static_selectorELNS0_4arch9wavefront6targetE0EEEvSK_.numbered_sgpr, 0
	.set _ZN7rocprim17ROCPRIM_400000_NS6detail17trampoline_kernelINS0_14default_configENS1_38merge_sort_block_merge_config_selectorIiNS0_10empty_typeEEEZZNS1_27merge_sort_block_merge_implIS3_N6thrust23THRUST_200600_302600_NS6detail15normal_iteratorINS9_10device_ptrIiEEEEPS5_m11less_div_10IiEEE10hipError_tT0_T1_T2_jT3_P12ihipStream_tbPNSt15iterator_traitsISJ_E10value_typeEPNSP_ISK_E10value_typeEPSL_NS1_7vsmem_tEENKUlT_SJ_SK_SL_E_clISE_PiSF_SF_EESI_SY_SJ_SK_SL_EUlSY_E1_NS1_11comp_targetILNS1_3genE5ELNS1_11target_archE942ELNS1_3gpuE9ELNS1_3repE0EEENS1_36merge_oddeven_config_static_selectorELNS0_4arch9wavefront6targetE0EEEvSK_.num_named_barrier, 0
	.set _ZN7rocprim17ROCPRIM_400000_NS6detail17trampoline_kernelINS0_14default_configENS1_38merge_sort_block_merge_config_selectorIiNS0_10empty_typeEEEZZNS1_27merge_sort_block_merge_implIS3_N6thrust23THRUST_200600_302600_NS6detail15normal_iteratorINS9_10device_ptrIiEEEEPS5_m11less_div_10IiEEE10hipError_tT0_T1_T2_jT3_P12ihipStream_tbPNSt15iterator_traitsISJ_E10value_typeEPNSP_ISK_E10value_typeEPSL_NS1_7vsmem_tEENKUlT_SJ_SK_SL_E_clISE_PiSF_SF_EESI_SY_SJ_SK_SL_EUlSY_E1_NS1_11comp_targetILNS1_3genE5ELNS1_11target_archE942ELNS1_3gpuE9ELNS1_3repE0EEENS1_36merge_oddeven_config_static_selectorELNS0_4arch9wavefront6targetE0EEEvSK_.private_seg_size, 0
	.set _ZN7rocprim17ROCPRIM_400000_NS6detail17trampoline_kernelINS0_14default_configENS1_38merge_sort_block_merge_config_selectorIiNS0_10empty_typeEEEZZNS1_27merge_sort_block_merge_implIS3_N6thrust23THRUST_200600_302600_NS6detail15normal_iteratorINS9_10device_ptrIiEEEEPS5_m11less_div_10IiEEE10hipError_tT0_T1_T2_jT3_P12ihipStream_tbPNSt15iterator_traitsISJ_E10value_typeEPNSP_ISK_E10value_typeEPSL_NS1_7vsmem_tEENKUlT_SJ_SK_SL_E_clISE_PiSF_SF_EESI_SY_SJ_SK_SL_EUlSY_E1_NS1_11comp_targetILNS1_3genE5ELNS1_11target_archE942ELNS1_3gpuE9ELNS1_3repE0EEENS1_36merge_oddeven_config_static_selectorELNS0_4arch9wavefront6targetE0EEEvSK_.uses_vcc, 0
	.set _ZN7rocprim17ROCPRIM_400000_NS6detail17trampoline_kernelINS0_14default_configENS1_38merge_sort_block_merge_config_selectorIiNS0_10empty_typeEEEZZNS1_27merge_sort_block_merge_implIS3_N6thrust23THRUST_200600_302600_NS6detail15normal_iteratorINS9_10device_ptrIiEEEEPS5_m11less_div_10IiEEE10hipError_tT0_T1_T2_jT3_P12ihipStream_tbPNSt15iterator_traitsISJ_E10value_typeEPNSP_ISK_E10value_typeEPSL_NS1_7vsmem_tEENKUlT_SJ_SK_SL_E_clISE_PiSF_SF_EESI_SY_SJ_SK_SL_EUlSY_E1_NS1_11comp_targetILNS1_3genE5ELNS1_11target_archE942ELNS1_3gpuE9ELNS1_3repE0EEENS1_36merge_oddeven_config_static_selectorELNS0_4arch9wavefront6targetE0EEEvSK_.uses_flat_scratch, 0
	.set _ZN7rocprim17ROCPRIM_400000_NS6detail17trampoline_kernelINS0_14default_configENS1_38merge_sort_block_merge_config_selectorIiNS0_10empty_typeEEEZZNS1_27merge_sort_block_merge_implIS3_N6thrust23THRUST_200600_302600_NS6detail15normal_iteratorINS9_10device_ptrIiEEEEPS5_m11less_div_10IiEEE10hipError_tT0_T1_T2_jT3_P12ihipStream_tbPNSt15iterator_traitsISJ_E10value_typeEPNSP_ISK_E10value_typeEPSL_NS1_7vsmem_tEENKUlT_SJ_SK_SL_E_clISE_PiSF_SF_EESI_SY_SJ_SK_SL_EUlSY_E1_NS1_11comp_targetILNS1_3genE5ELNS1_11target_archE942ELNS1_3gpuE9ELNS1_3repE0EEENS1_36merge_oddeven_config_static_selectorELNS0_4arch9wavefront6targetE0EEEvSK_.has_dyn_sized_stack, 0
	.set _ZN7rocprim17ROCPRIM_400000_NS6detail17trampoline_kernelINS0_14default_configENS1_38merge_sort_block_merge_config_selectorIiNS0_10empty_typeEEEZZNS1_27merge_sort_block_merge_implIS3_N6thrust23THRUST_200600_302600_NS6detail15normal_iteratorINS9_10device_ptrIiEEEEPS5_m11less_div_10IiEEE10hipError_tT0_T1_T2_jT3_P12ihipStream_tbPNSt15iterator_traitsISJ_E10value_typeEPNSP_ISK_E10value_typeEPSL_NS1_7vsmem_tEENKUlT_SJ_SK_SL_E_clISE_PiSF_SF_EESI_SY_SJ_SK_SL_EUlSY_E1_NS1_11comp_targetILNS1_3genE5ELNS1_11target_archE942ELNS1_3gpuE9ELNS1_3repE0EEENS1_36merge_oddeven_config_static_selectorELNS0_4arch9wavefront6targetE0EEEvSK_.has_recursion, 0
	.set _ZN7rocprim17ROCPRIM_400000_NS6detail17trampoline_kernelINS0_14default_configENS1_38merge_sort_block_merge_config_selectorIiNS0_10empty_typeEEEZZNS1_27merge_sort_block_merge_implIS3_N6thrust23THRUST_200600_302600_NS6detail15normal_iteratorINS9_10device_ptrIiEEEEPS5_m11less_div_10IiEEE10hipError_tT0_T1_T2_jT3_P12ihipStream_tbPNSt15iterator_traitsISJ_E10value_typeEPNSP_ISK_E10value_typeEPSL_NS1_7vsmem_tEENKUlT_SJ_SK_SL_E_clISE_PiSF_SF_EESI_SY_SJ_SK_SL_EUlSY_E1_NS1_11comp_targetILNS1_3genE5ELNS1_11target_archE942ELNS1_3gpuE9ELNS1_3repE0EEENS1_36merge_oddeven_config_static_selectorELNS0_4arch9wavefront6targetE0EEEvSK_.has_indirect_call, 0
	.section	.AMDGPU.csdata,"",@progbits
; Kernel info:
; codeLenInByte = 0
; TotalNumSgprs: 0
; NumVgprs: 0
; ScratchSize: 0
; MemoryBound: 0
; FloatMode: 240
; IeeeMode: 1
; LDSByteSize: 0 bytes/workgroup (compile time only)
; SGPRBlocks: 0
; VGPRBlocks: 0
; NumSGPRsForWavesPerEU: 1
; NumVGPRsForWavesPerEU: 1
; Occupancy: 16
; WaveLimiterHint : 0
; COMPUTE_PGM_RSRC2:SCRATCH_EN: 0
; COMPUTE_PGM_RSRC2:USER_SGPR: 6
; COMPUTE_PGM_RSRC2:TRAP_HANDLER: 0
; COMPUTE_PGM_RSRC2:TGID_X_EN: 1
; COMPUTE_PGM_RSRC2:TGID_Y_EN: 0
; COMPUTE_PGM_RSRC2:TGID_Z_EN: 0
; COMPUTE_PGM_RSRC2:TIDIG_COMP_CNT: 0
	.section	.text._ZN7rocprim17ROCPRIM_400000_NS6detail17trampoline_kernelINS0_14default_configENS1_38merge_sort_block_merge_config_selectorIiNS0_10empty_typeEEEZZNS1_27merge_sort_block_merge_implIS3_N6thrust23THRUST_200600_302600_NS6detail15normal_iteratorINS9_10device_ptrIiEEEEPS5_m11less_div_10IiEEE10hipError_tT0_T1_T2_jT3_P12ihipStream_tbPNSt15iterator_traitsISJ_E10value_typeEPNSP_ISK_E10value_typeEPSL_NS1_7vsmem_tEENKUlT_SJ_SK_SL_E_clISE_PiSF_SF_EESI_SY_SJ_SK_SL_EUlSY_E1_NS1_11comp_targetILNS1_3genE4ELNS1_11target_archE910ELNS1_3gpuE8ELNS1_3repE0EEENS1_36merge_oddeven_config_static_selectorELNS0_4arch9wavefront6targetE0EEEvSK_,"axG",@progbits,_ZN7rocprim17ROCPRIM_400000_NS6detail17trampoline_kernelINS0_14default_configENS1_38merge_sort_block_merge_config_selectorIiNS0_10empty_typeEEEZZNS1_27merge_sort_block_merge_implIS3_N6thrust23THRUST_200600_302600_NS6detail15normal_iteratorINS9_10device_ptrIiEEEEPS5_m11less_div_10IiEEE10hipError_tT0_T1_T2_jT3_P12ihipStream_tbPNSt15iterator_traitsISJ_E10value_typeEPNSP_ISK_E10value_typeEPSL_NS1_7vsmem_tEENKUlT_SJ_SK_SL_E_clISE_PiSF_SF_EESI_SY_SJ_SK_SL_EUlSY_E1_NS1_11comp_targetILNS1_3genE4ELNS1_11target_archE910ELNS1_3gpuE8ELNS1_3repE0EEENS1_36merge_oddeven_config_static_selectorELNS0_4arch9wavefront6targetE0EEEvSK_,comdat
	.protected	_ZN7rocprim17ROCPRIM_400000_NS6detail17trampoline_kernelINS0_14default_configENS1_38merge_sort_block_merge_config_selectorIiNS0_10empty_typeEEEZZNS1_27merge_sort_block_merge_implIS3_N6thrust23THRUST_200600_302600_NS6detail15normal_iteratorINS9_10device_ptrIiEEEEPS5_m11less_div_10IiEEE10hipError_tT0_T1_T2_jT3_P12ihipStream_tbPNSt15iterator_traitsISJ_E10value_typeEPNSP_ISK_E10value_typeEPSL_NS1_7vsmem_tEENKUlT_SJ_SK_SL_E_clISE_PiSF_SF_EESI_SY_SJ_SK_SL_EUlSY_E1_NS1_11comp_targetILNS1_3genE4ELNS1_11target_archE910ELNS1_3gpuE8ELNS1_3repE0EEENS1_36merge_oddeven_config_static_selectorELNS0_4arch9wavefront6targetE0EEEvSK_ ; -- Begin function _ZN7rocprim17ROCPRIM_400000_NS6detail17trampoline_kernelINS0_14default_configENS1_38merge_sort_block_merge_config_selectorIiNS0_10empty_typeEEEZZNS1_27merge_sort_block_merge_implIS3_N6thrust23THRUST_200600_302600_NS6detail15normal_iteratorINS9_10device_ptrIiEEEEPS5_m11less_div_10IiEEE10hipError_tT0_T1_T2_jT3_P12ihipStream_tbPNSt15iterator_traitsISJ_E10value_typeEPNSP_ISK_E10value_typeEPSL_NS1_7vsmem_tEENKUlT_SJ_SK_SL_E_clISE_PiSF_SF_EESI_SY_SJ_SK_SL_EUlSY_E1_NS1_11comp_targetILNS1_3genE4ELNS1_11target_archE910ELNS1_3gpuE8ELNS1_3repE0EEENS1_36merge_oddeven_config_static_selectorELNS0_4arch9wavefront6targetE0EEEvSK_
	.globl	_ZN7rocprim17ROCPRIM_400000_NS6detail17trampoline_kernelINS0_14default_configENS1_38merge_sort_block_merge_config_selectorIiNS0_10empty_typeEEEZZNS1_27merge_sort_block_merge_implIS3_N6thrust23THRUST_200600_302600_NS6detail15normal_iteratorINS9_10device_ptrIiEEEEPS5_m11less_div_10IiEEE10hipError_tT0_T1_T2_jT3_P12ihipStream_tbPNSt15iterator_traitsISJ_E10value_typeEPNSP_ISK_E10value_typeEPSL_NS1_7vsmem_tEENKUlT_SJ_SK_SL_E_clISE_PiSF_SF_EESI_SY_SJ_SK_SL_EUlSY_E1_NS1_11comp_targetILNS1_3genE4ELNS1_11target_archE910ELNS1_3gpuE8ELNS1_3repE0EEENS1_36merge_oddeven_config_static_selectorELNS0_4arch9wavefront6targetE0EEEvSK_
	.p2align	8
	.type	_ZN7rocprim17ROCPRIM_400000_NS6detail17trampoline_kernelINS0_14default_configENS1_38merge_sort_block_merge_config_selectorIiNS0_10empty_typeEEEZZNS1_27merge_sort_block_merge_implIS3_N6thrust23THRUST_200600_302600_NS6detail15normal_iteratorINS9_10device_ptrIiEEEEPS5_m11less_div_10IiEEE10hipError_tT0_T1_T2_jT3_P12ihipStream_tbPNSt15iterator_traitsISJ_E10value_typeEPNSP_ISK_E10value_typeEPSL_NS1_7vsmem_tEENKUlT_SJ_SK_SL_E_clISE_PiSF_SF_EESI_SY_SJ_SK_SL_EUlSY_E1_NS1_11comp_targetILNS1_3genE4ELNS1_11target_archE910ELNS1_3gpuE8ELNS1_3repE0EEENS1_36merge_oddeven_config_static_selectorELNS0_4arch9wavefront6targetE0EEEvSK_,@function
_ZN7rocprim17ROCPRIM_400000_NS6detail17trampoline_kernelINS0_14default_configENS1_38merge_sort_block_merge_config_selectorIiNS0_10empty_typeEEEZZNS1_27merge_sort_block_merge_implIS3_N6thrust23THRUST_200600_302600_NS6detail15normal_iteratorINS9_10device_ptrIiEEEEPS5_m11less_div_10IiEEE10hipError_tT0_T1_T2_jT3_P12ihipStream_tbPNSt15iterator_traitsISJ_E10value_typeEPNSP_ISK_E10value_typeEPSL_NS1_7vsmem_tEENKUlT_SJ_SK_SL_E_clISE_PiSF_SF_EESI_SY_SJ_SK_SL_EUlSY_E1_NS1_11comp_targetILNS1_3genE4ELNS1_11target_archE910ELNS1_3gpuE8ELNS1_3repE0EEENS1_36merge_oddeven_config_static_selectorELNS0_4arch9wavefront6targetE0EEEvSK_: ; @_ZN7rocprim17ROCPRIM_400000_NS6detail17trampoline_kernelINS0_14default_configENS1_38merge_sort_block_merge_config_selectorIiNS0_10empty_typeEEEZZNS1_27merge_sort_block_merge_implIS3_N6thrust23THRUST_200600_302600_NS6detail15normal_iteratorINS9_10device_ptrIiEEEEPS5_m11less_div_10IiEEE10hipError_tT0_T1_T2_jT3_P12ihipStream_tbPNSt15iterator_traitsISJ_E10value_typeEPNSP_ISK_E10value_typeEPSL_NS1_7vsmem_tEENKUlT_SJ_SK_SL_E_clISE_PiSF_SF_EESI_SY_SJ_SK_SL_EUlSY_E1_NS1_11comp_targetILNS1_3genE4ELNS1_11target_archE910ELNS1_3gpuE8ELNS1_3repE0EEENS1_36merge_oddeven_config_static_selectorELNS0_4arch9wavefront6targetE0EEEvSK_
; %bb.0:
	.section	.rodata,"a",@progbits
	.p2align	6, 0x0
	.amdhsa_kernel _ZN7rocprim17ROCPRIM_400000_NS6detail17trampoline_kernelINS0_14default_configENS1_38merge_sort_block_merge_config_selectorIiNS0_10empty_typeEEEZZNS1_27merge_sort_block_merge_implIS3_N6thrust23THRUST_200600_302600_NS6detail15normal_iteratorINS9_10device_ptrIiEEEEPS5_m11less_div_10IiEEE10hipError_tT0_T1_T2_jT3_P12ihipStream_tbPNSt15iterator_traitsISJ_E10value_typeEPNSP_ISK_E10value_typeEPSL_NS1_7vsmem_tEENKUlT_SJ_SK_SL_E_clISE_PiSF_SF_EESI_SY_SJ_SK_SL_EUlSY_E1_NS1_11comp_targetILNS1_3genE4ELNS1_11target_archE910ELNS1_3gpuE8ELNS1_3repE0EEENS1_36merge_oddeven_config_static_selectorELNS0_4arch9wavefront6targetE0EEEvSK_
		.amdhsa_group_segment_fixed_size 0
		.amdhsa_private_segment_fixed_size 0
		.amdhsa_kernarg_size 56
		.amdhsa_user_sgpr_count 6
		.amdhsa_user_sgpr_private_segment_buffer 1
		.amdhsa_user_sgpr_dispatch_ptr 0
		.amdhsa_user_sgpr_queue_ptr 0
		.amdhsa_user_sgpr_kernarg_segment_ptr 1
		.amdhsa_user_sgpr_dispatch_id 0
		.amdhsa_user_sgpr_flat_scratch_init 0
		.amdhsa_user_sgpr_private_segment_size 0
		.amdhsa_wavefront_size32 1
		.amdhsa_uses_dynamic_stack 0
		.amdhsa_system_sgpr_private_segment_wavefront_offset 0
		.amdhsa_system_sgpr_workgroup_id_x 1
		.amdhsa_system_sgpr_workgroup_id_y 0
		.amdhsa_system_sgpr_workgroup_id_z 0
		.amdhsa_system_sgpr_workgroup_info 0
		.amdhsa_system_vgpr_workitem_id 0
		.amdhsa_next_free_vgpr 1
		.amdhsa_next_free_sgpr 1
		.amdhsa_reserve_vcc 0
		.amdhsa_reserve_flat_scratch 0
		.amdhsa_float_round_mode_32 0
		.amdhsa_float_round_mode_16_64 0
		.amdhsa_float_denorm_mode_32 3
		.amdhsa_float_denorm_mode_16_64 3
		.amdhsa_dx10_clamp 1
		.amdhsa_ieee_mode 1
		.amdhsa_fp16_overflow 0
		.amdhsa_workgroup_processor_mode 1
		.amdhsa_memory_ordered 1
		.amdhsa_forward_progress 1
		.amdhsa_shared_vgpr_count 0
		.amdhsa_exception_fp_ieee_invalid_op 0
		.amdhsa_exception_fp_denorm_src 0
		.amdhsa_exception_fp_ieee_div_zero 0
		.amdhsa_exception_fp_ieee_overflow 0
		.amdhsa_exception_fp_ieee_underflow 0
		.amdhsa_exception_fp_ieee_inexact 0
		.amdhsa_exception_int_div_zero 0
	.end_amdhsa_kernel
	.section	.text._ZN7rocprim17ROCPRIM_400000_NS6detail17trampoline_kernelINS0_14default_configENS1_38merge_sort_block_merge_config_selectorIiNS0_10empty_typeEEEZZNS1_27merge_sort_block_merge_implIS3_N6thrust23THRUST_200600_302600_NS6detail15normal_iteratorINS9_10device_ptrIiEEEEPS5_m11less_div_10IiEEE10hipError_tT0_T1_T2_jT3_P12ihipStream_tbPNSt15iterator_traitsISJ_E10value_typeEPNSP_ISK_E10value_typeEPSL_NS1_7vsmem_tEENKUlT_SJ_SK_SL_E_clISE_PiSF_SF_EESI_SY_SJ_SK_SL_EUlSY_E1_NS1_11comp_targetILNS1_3genE4ELNS1_11target_archE910ELNS1_3gpuE8ELNS1_3repE0EEENS1_36merge_oddeven_config_static_selectorELNS0_4arch9wavefront6targetE0EEEvSK_,"axG",@progbits,_ZN7rocprim17ROCPRIM_400000_NS6detail17trampoline_kernelINS0_14default_configENS1_38merge_sort_block_merge_config_selectorIiNS0_10empty_typeEEEZZNS1_27merge_sort_block_merge_implIS3_N6thrust23THRUST_200600_302600_NS6detail15normal_iteratorINS9_10device_ptrIiEEEEPS5_m11less_div_10IiEEE10hipError_tT0_T1_T2_jT3_P12ihipStream_tbPNSt15iterator_traitsISJ_E10value_typeEPNSP_ISK_E10value_typeEPSL_NS1_7vsmem_tEENKUlT_SJ_SK_SL_E_clISE_PiSF_SF_EESI_SY_SJ_SK_SL_EUlSY_E1_NS1_11comp_targetILNS1_3genE4ELNS1_11target_archE910ELNS1_3gpuE8ELNS1_3repE0EEENS1_36merge_oddeven_config_static_selectorELNS0_4arch9wavefront6targetE0EEEvSK_,comdat
.Lfunc_end472:
	.size	_ZN7rocprim17ROCPRIM_400000_NS6detail17trampoline_kernelINS0_14default_configENS1_38merge_sort_block_merge_config_selectorIiNS0_10empty_typeEEEZZNS1_27merge_sort_block_merge_implIS3_N6thrust23THRUST_200600_302600_NS6detail15normal_iteratorINS9_10device_ptrIiEEEEPS5_m11less_div_10IiEEE10hipError_tT0_T1_T2_jT3_P12ihipStream_tbPNSt15iterator_traitsISJ_E10value_typeEPNSP_ISK_E10value_typeEPSL_NS1_7vsmem_tEENKUlT_SJ_SK_SL_E_clISE_PiSF_SF_EESI_SY_SJ_SK_SL_EUlSY_E1_NS1_11comp_targetILNS1_3genE4ELNS1_11target_archE910ELNS1_3gpuE8ELNS1_3repE0EEENS1_36merge_oddeven_config_static_selectorELNS0_4arch9wavefront6targetE0EEEvSK_, .Lfunc_end472-_ZN7rocprim17ROCPRIM_400000_NS6detail17trampoline_kernelINS0_14default_configENS1_38merge_sort_block_merge_config_selectorIiNS0_10empty_typeEEEZZNS1_27merge_sort_block_merge_implIS3_N6thrust23THRUST_200600_302600_NS6detail15normal_iteratorINS9_10device_ptrIiEEEEPS5_m11less_div_10IiEEE10hipError_tT0_T1_T2_jT3_P12ihipStream_tbPNSt15iterator_traitsISJ_E10value_typeEPNSP_ISK_E10value_typeEPSL_NS1_7vsmem_tEENKUlT_SJ_SK_SL_E_clISE_PiSF_SF_EESI_SY_SJ_SK_SL_EUlSY_E1_NS1_11comp_targetILNS1_3genE4ELNS1_11target_archE910ELNS1_3gpuE8ELNS1_3repE0EEENS1_36merge_oddeven_config_static_selectorELNS0_4arch9wavefront6targetE0EEEvSK_
                                        ; -- End function
	.set _ZN7rocprim17ROCPRIM_400000_NS6detail17trampoline_kernelINS0_14default_configENS1_38merge_sort_block_merge_config_selectorIiNS0_10empty_typeEEEZZNS1_27merge_sort_block_merge_implIS3_N6thrust23THRUST_200600_302600_NS6detail15normal_iteratorINS9_10device_ptrIiEEEEPS5_m11less_div_10IiEEE10hipError_tT0_T1_T2_jT3_P12ihipStream_tbPNSt15iterator_traitsISJ_E10value_typeEPNSP_ISK_E10value_typeEPSL_NS1_7vsmem_tEENKUlT_SJ_SK_SL_E_clISE_PiSF_SF_EESI_SY_SJ_SK_SL_EUlSY_E1_NS1_11comp_targetILNS1_3genE4ELNS1_11target_archE910ELNS1_3gpuE8ELNS1_3repE0EEENS1_36merge_oddeven_config_static_selectorELNS0_4arch9wavefront6targetE0EEEvSK_.num_vgpr, 0
	.set _ZN7rocprim17ROCPRIM_400000_NS6detail17trampoline_kernelINS0_14default_configENS1_38merge_sort_block_merge_config_selectorIiNS0_10empty_typeEEEZZNS1_27merge_sort_block_merge_implIS3_N6thrust23THRUST_200600_302600_NS6detail15normal_iteratorINS9_10device_ptrIiEEEEPS5_m11less_div_10IiEEE10hipError_tT0_T1_T2_jT3_P12ihipStream_tbPNSt15iterator_traitsISJ_E10value_typeEPNSP_ISK_E10value_typeEPSL_NS1_7vsmem_tEENKUlT_SJ_SK_SL_E_clISE_PiSF_SF_EESI_SY_SJ_SK_SL_EUlSY_E1_NS1_11comp_targetILNS1_3genE4ELNS1_11target_archE910ELNS1_3gpuE8ELNS1_3repE0EEENS1_36merge_oddeven_config_static_selectorELNS0_4arch9wavefront6targetE0EEEvSK_.num_agpr, 0
	.set _ZN7rocprim17ROCPRIM_400000_NS6detail17trampoline_kernelINS0_14default_configENS1_38merge_sort_block_merge_config_selectorIiNS0_10empty_typeEEEZZNS1_27merge_sort_block_merge_implIS3_N6thrust23THRUST_200600_302600_NS6detail15normal_iteratorINS9_10device_ptrIiEEEEPS5_m11less_div_10IiEEE10hipError_tT0_T1_T2_jT3_P12ihipStream_tbPNSt15iterator_traitsISJ_E10value_typeEPNSP_ISK_E10value_typeEPSL_NS1_7vsmem_tEENKUlT_SJ_SK_SL_E_clISE_PiSF_SF_EESI_SY_SJ_SK_SL_EUlSY_E1_NS1_11comp_targetILNS1_3genE4ELNS1_11target_archE910ELNS1_3gpuE8ELNS1_3repE0EEENS1_36merge_oddeven_config_static_selectorELNS0_4arch9wavefront6targetE0EEEvSK_.numbered_sgpr, 0
	.set _ZN7rocprim17ROCPRIM_400000_NS6detail17trampoline_kernelINS0_14default_configENS1_38merge_sort_block_merge_config_selectorIiNS0_10empty_typeEEEZZNS1_27merge_sort_block_merge_implIS3_N6thrust23THRUST_200600_302600_NS6detail15normal_iteratorINS9_10device_ptrIiEEEEPS5_m11less_div_10IiEEE10hipError_tT0_T1_T2_jT3_P12ihipStream_tbPNSt15iterator_traitsISJ_E10value_typeEPNSP_ISK_E10value_typeEPSL_NS1_7vsmem_tEENKUlT_SJ_SK_SL_E_clISE_PiSF_SF_EESI_SY_SJ_SK_SL_EUlSY_E1_NS1_11comp_targetILNS1_3genE4ELNS1_11target_archE910ELNS1_3gpuE8ELNS1_3repE0EEENS1_36merge_oddeven_config_static_selectorELNS0_4arch9wavefront6targetE0EEEvSK_.num_named_barrier, 0
	.set _ZN7rocprim17ROCPRIM_400000_NS6detail17trampoline_kernelINS0_14default_configENS1_38merge_sort_block_merge_config_selectorIiNS0_10empty_typeEEEZZNS1_27merge_sort_block_merge_implIS3_N6thrust23THRUST_200600_302600_NS6detail15normal_iteratorINS9_10device_ptrIiEEEEPS5_m11less_div_10IiEEE10hipError_tT0_T1_T2_jT3_P12ihipStream_tbPNSt15iterator_traitsISJ_E10value_typeEPNSP_ISK_E10value_typeEPSL_NS1_7vsmem_tEENKUlT_SJ_SK_SL_E_clISE_PiSF_SF_EESI_SY_SJ_SK_SL_EUlSY_E1_NS1_11comp_targetILNS1_3genE4ELNS1_11target_archE910ELNS1_3gpuE8ELNS1_3repE0EEENS1_36merge_oddeven_config_static_selectorELNS0_4arch9wavefront6targetE0EEEvSK_.private_seg_size, 0
	.set _ZN7rocprim17ROCPRIM_400000_NS6detail17trampoline_kernelINS0_14default_configENS1_38merge_sort_block_merge_config_selectorIiNS0_10empty_typeEEEZZNS1_27merge_sort_block_merge_implIS3_N6thrust23THRUST_200600_302600_NS6detail15normal_iteratorINS9_10device_ptrIiEEEEPS5_m11less_div_10IiEEE10hipError_tT0_T1_T2_jT3_P12ihipStream_tbPNSt15iterator_traitsISJ_E10value_typeEPNSP_ISK_E10value_typeEPSL_NS1_7vsmem_tEENKUlT_SJ_SK_SL_E_clISE_PiSF_SF_EESI_SY_SJ_SK_SL_EUlSY_E1_NS1_11comp_targetILNS1_3genE4ELNS1_11target_archE910ELNS1_3gpuE8ELNS1_3repE0EEENS1_36merge_oddeven_config_static_selectorELNS0_4arch9wavefront6targetE0EEEvSK_.uses_vcc, 0
	.set _ZN7rocprim17ROCPRIM_400000_NS6detail17trampoline_kernelINS0_14default_configENS1_38merge_sort_block_merge_config_selectorIiNS0_10empty_typeEEEZZNS1_27merge_sort_block_merge_implIS3_N6thrust23THRUST_200600_302600_NS6detail15normal_iteratorINS9_10device_ptrIiEEEEPS5_m11less_div_10IiEEE10hipError_tT0_T1_T2_jT3_P12ihipStream_tbPNSt15iterator_traitsISJ_E10value_typeEPNSP_ISK_E10value_typeEPSL_NS1_7vsmem_tEENKUlT_SJ_SK_SL_E_clISE_PiSF_SF_EESI_SY_SJ_SK_SL_EUlSY_E1_NS1_11comp_targetILNS1_3genE4ELNS1_11target_archE910ELNS1_3gpuE8ELNS1_3repE0EEENS1_36merge_oddeven_config_static_selectorELNS0_4arch9wavefront6targetE0EEEvSK_.uses_flat_scratch, 0
	.set _ZN7rocprim17ROCPRIM_400000_NS6detail17trampoline_kernelINS0_14default_configENS1_38merge_sort_block_merge_config_selectorIiNS0_10empty_typeEEEZZNS1_27merge_sort_block_merge_implIS3_N6thrust23THRUST_200600_302600_NS6detail15normal_iteratorINS9_10device_ptrIiEEEEPS5_m11less_div_10IiEEE10hipError_tT0_T1_T2_jT3_P12ihipStream_tbPNSt15iterator_traitsISJ_E10value_typeEPNSP_ISK_E10value_typeEPSL_NS1_7vsmem_tEENKUlT_SJ_SK_SL_E_clISE_PiSF_SF_EESI_SY_SJ_SK_SL_EUlSY_E1_NS1_11comp_targetILNS1_3genE4ELNS1_11target_archE910ELNS1_3gpuE8ELNS1_3repE0EEENS1_36merge_oddeven_config_static_selectorELNS0_4arch9wavefront6targetE0EEEvSK_.has_dyn_sized_stack, 0
	.set _ZN7rocprim17ROCPRIM_400000_NS6detail17trampoline_kernelINS0_14default_configENS1_38merge_sort_block_merge_config_selectorIiNS0_10empty_typeEEEZZNS1_27merge_sort_block_merge_implIS3_N6thrust23THRUST_200600_302600_NS6detail15normal_iteratorINS9_10device_ptrIiEEEEPS5_m11less_div_10IiEEE10hipError_tT0_T1_T2_jT3_P12ihipStream_tbPNSt15iterator_traitsISJ_E10value_typeEPNSP_ISK_E10value_typeEPSL_NS1_7vsmem_tEENKUlT_SJ_SK_SL_E_clISE_PiSF_SF_EESI_SY_SJ_SK_SL_EUlSY_E1_NS1_11comp_targetILNS1_3genE4ELNS1_11target_archE910ELNS1_3gpuE8ELNS1_3repE0EEENS1_36merge_oddeven_config_static_selectorELNS0_4arch9wavefront6targetE0EEEvSK_.has_recursion, 0
	.set _ZN7rocprim17ROCPRIM_400000_NS6detail17trampoline_kernelINS0_14default_configENS1_38merge_sort_block_merge_config_selectorIiNS0_10empty_typeEEEZZNS1_27merge_sort_block_merge_implIS3_N6thrust23THRUST_200600_302600_NS6detail15normal_iteratorINS9_10device_ptrIiEEEEPS5_m11less_div_10IiEEE10hipError_tT0_T1_T2_jT3_P12ihipStream_tbPNSt15iterator_traitsISJ_E10value_typeEPNSP_ISK_E10value_typeEPSL_NS1_7vsmem_tEENKUlT_SJ_SK_SL_E_clISE_PiSF_SF_EESI_SY_SJ_SK_SL_EUlSY_E1_NS1_11comp_targetILNS1_3genE4ELNS1_11target_archE910ELNS1_3gpuE8ELNS1_3repE0EEENS1_36merge_oddeven_config_static_selectorELNS0_4arch9wavefront6targetE0EEEvSK_.has_indirect_call, 0
	.section	.AMDGPU.csdata,"",@progbits
; Kernel info:
; codeLenInByte = 0
; TotalNumSgprs: 0
; NumVgprs: 0
; ScratchSize: 0
; MemoryBound: 0
; FloatMode: 240
; IeeeMode: 1
; LDSByteSize: 0 bytes/workgroup (compile time only)
; SGPRBlocks: 0
; VGPRBlocks: 0
; NumSGPRsForWavesPerEU: 1
; NumVGPRsForWavesPerEU: 1
; Occupancy: 16
; WaveLimiterHint : 0
; COMPUTE_PGM_RSRC2:SCRATCH_EN: 0
; COMPUTE_PGM_RSRC2:USER_SGPR: 6
; COMPUTE_PGM_RSRC2:TRAP_HANDLER: 0
; COMPUTE_PGM_RSRC2:TGID_X_EN: 1
; COMPUTE_PGM_RSRC2:TGID_Y_EN: 0
; COMPUTE_PGM_RSRC2:TGID_Z_EN: 0
; COMPUTE_PGM_RSRC2:TIDIG_COMP_CNT: 0
	.section	.text._ZN7rocprim17ROCPRIM_400000_NS6detail17trampoline_kernelINS0_14default_configENS1_38merge_sort_block_merge_config_selectorIiNS0_10empty_typeEEEZZNS1_27merge_sort_block_merge_implIS3_N6thrust23THRUST_200600_302600_NS6detail15normal_iteratorINS9_10device_ptrIiEEEEPS5_m11less_div_10IiEEE10hipError_tT0_T1_T2_jT3_P12ihipStream_tbPNSt15iterator_traitsISJ_E10value_typeEPNSP_ISK_E10value_typeEPSL_NS1_7vsmem_tEENKUlT_SJ_SK_SL_E_clISE_PiSF_SF_EESI_SY_SJ_SK_SL_EUlSY_E1_NS1_11comp_targetILNS1_3genE3ELNS1_11target_archE908ELNS1_3gpuE7ELNS1_3repE0EEENS1_36merge_oddeven_config_static_selectorELNS0_4arch9wavefront6targetE0EEEvSK_,"axG",@progbits,_ZN7rocprim17ROCPRIM_400000_NS6detail17trampoline_kernelINS0_14default_configENS1_38merge_sort_block_merge_config_selectorIiNS0_10empty_typeEEEZZNS1_27merge_sort_block_merge_implIS3_N6thrust23THRUST_200600_302600_NS6detail15normal_iteratorINS9_10device_ptrIiEEEEPS5_m11less_div_10IiEEE10hipError_tT0_T1_T2_jT3_P12ihipStream_tbPNSt15iterator_traitsISJ_E10value_typeEPNSP_ISK_E10value_typeEPSL_NS1_7vsmem_tEENKUlT_SJ_SK_SL_E_clISE_PiSF_SF_EESI_SY_SJ_SK_SL_EUlSY_E1_NS1_11comp_targetILNS1_3genE3ELNS1_11target_archE908ELNS1_3gpuE7ELNS1_3repE0EEENS1_36merge_oddeven_config_static_selectorELNS0_4arch9wavefront6targetE0EEEvSK_,comdat
	.protected	_ZN7rocprim17ROCPRIM_400000_NS6detail17trampoline_kernelINS0_14default_configENS1_38merge_sort_block_merge_config_selectorIiNS0_10empty_typeEEEZZNS1_27merge_sort_block_merge_implIS3_N6thrust23THRUST_200600_302600_NS6detail15normal_iteratorINS9_10device_ptrIiEEEEPS5_m11less_div_10IiEEE10hipError_tT0_T1_T2_jT3_P12ihipStream_tbPNSt15iterator_traitsISJ_E10value_typeEPNSP_ISK_E10value_typeEPSL_NS1_7vsmem_tEENKUlT_SJ_SK_SL_E_clISE_PiSF_SF_EESI_SY_SJ_SK_SL_EUlSY_E1_NS1_11comp_targetILNS1_3genE3ELNS1_11target_archE908ELNS1_3gpuE7ELNS1_3repE0EEENS1_36merge_oddeven_config_static_selectorELNS0_4arch9wavefront6targetE0EEEvSK_ ; -- Begin function _ZN7rocprim17ROCPRIM_400000_NS6detail17trampoline_kernelINS0_14default_configENS1_38merge_sort_block_merge_config_selectorIiNS0_10empty_typeEEEZZNS1_27merge_sort_block_merge_implIS3_N6thrust23THRUST_200600_302600_NS6detail15normal_iteratorINS9_10device_ptrIiEEEEPS5_m11less_div_10IiEEE10hipError_tT0_T1_T2_jT3_P12ihipStream_tbPNSt15iterator_traitsISJ_E10value_typeEPNSP_ISK_E10value_typeEPSL_NS1_7vsmem_tEENKUlT_SJ_SK_SL_E_clISE_PiSF_SF_EESI_SY_SJ_SK_SL_EUlSY_E1_NS1_11comp_targetILNS1_3genE3ELNS1_11target_archE908ELNS1_3gpuE7ELNS1_3repE0EEENS1_36merge_oddeven_config_static_selectorELNS0_4arch9wavefront6targetE0EEEvSK_
	.globl	_ZN7rocprim17ROCPRIM_400000_NS6detail17trampoline_kernelINS0_14default_configENS1_38merge_sort_block_merge_config_selectorIiNS0_10empty_typeEEEZZNS1_27merge_sort_block_merge_implIS3_N6thrust23THRUST_200600_302600_NS6detail15normal_iteratorINS9_10device_ptrIiEEEEPS5_m11less_div_10IiEEE10hipError_tT0_T1_T2_jT3_P12ihipStream_tbPNSt15iterator_traitsISJ_E10value_typeEPNSP_ISK_E10value_typeEPSL_NS1_7vsmem_tEENKUlT_SJ_SK_SL_E_clISE_PiSF_SF_EESI_SY_SJ_SK_SL_EUlSY_E1_NS1_11comp_targetILNS1_3genE3ELNS1_11target_archE908ELNS1_3gpuE7ELNS1_3repE0EEENS1_36merge_oddeven_config_static_selectorELNS0_4arch9wavefront6targetE0EEEvSK_
	.p2align	8
	.type	_ZN7rocprim17ROCPRIM_400000_NS6detail17trampoline_kernelINS0_14default_configENS1_38merge_sort_block_merge_config_selectorIiNS0_10empty_typeEEEZZNS1_27merge_sort_block_merge_implIS3_N6thrust23THRUST_200600_302600_NS6detail15normal_iteratorINS9_10device_ptrIiEEEEPS5_m11less_div_10IiEEE10hipError_tT0_T1_T2_jT3_P12ihipStream_tbPNSt15iterator_traitsISJ_E10value_typeEPNSP_ISK_E10value_typeEPSL_NS1_7vsmem_tEENKUlT_SJ_SK_SL_E_clISE_PiSF_SF_EESI_SY_SJ_SK_SL_EUlSY_E1_NS1_11comp_targetILNS1_3genE3ELNS1_11target_archE908ELNS1_3gpuE7ELNS1_3repE0EEENS1_36merge_oddeven_config_static_selectorELNS0_4arch9wavefront6targetE0EEEvSK_,@function
_ZN7rocprim17ROCPRIM_400000_NS6detail17trampoline_kernelINS0_14default_configENS1_38merge_sort_block_merge_config_selectorIiNS0_10empty_typeEEEZZNS1_27merge_sort_block_merge_implIS3_N6thrust23THRUST_200600_302600_NS6detail15normal_iteratorINS9_10device_ptrIiEEEEPS5_m11less_div_10IiEEE10hipError_tT0_T1_T2_jT3_P12ihipStream_tbPNSt15iterator_traitsISJ_E10value_typeEPNSP_ISK_E10value_typeEPSL_NS1_7vsmem_tEENKUlT_SJ_SK_SL_E_clISE_PiSF_SF_EESI_SY_SJ_SK_SL_EUlSY_E1_NS1_11comp_targetILNS1_3genE3ELNS1_11target_archE908ELNS1_3gpuE7ELNS1_3repE0EEENS1_36merge_oddeven_config_static_selectorELNS0_4arch9wavefront6targetE0EEEvSK_: ; @_ZN7rocprim17ROCPRIM_400000_NS6detail17trampoline_kernelINS0_14default_configENS1_38merge_sort_block_merge_config_selectorIiNS0_10empty_typeEEEZZNS1_27merge_sort_block_merge_implIS3_N6thrust23THRUST_200600_302600_NS6detail15normal_iteratorINS9_10device_ptrIiEEEEPS5_m11less_div_10IiEEE10hipError_tT0_T1_T2_jT3_P12ihipStream_tbPNSt15iterator_traitsISJ_E10value_typeEPNSP_ISK_E10value_typeEPSL_NS1_7vsmem_tEENKUlT_SJ_SK_SL_E_clISE_PiSF_SF_EESI_SY_SJ_SK_SL_EUlSY_E1_NS1_11comp_targetILNS1_3genE3ELNS1_11target_archE908ELNS1_3gpuE7ELNS1_3repE0EEENS1_36merge_oddeven_config_static_selectorELNS0_4arch9wavefront6targetE0EEEvSK_
; %bb.0:
	.section	.rodata,"a",@progbits
	.p2align	6, 0x0
	.amdhsa_kernel _ZN7rocprim17ROCPRIM_400000_NS6detail17trampoline_kernelINS0_14default_configENS1_38merge_sort_block_merge_config_selectorIiNS0_10empty_typeEEEZZNS1_27merge_sort_block_merge_implIS3_N6thrust23THRUST_200600_302600_NS6detail15normal_iteratorINS9_10device_ptrIiEEEEPS5_m11less_div_10IiEEE10hipError_tT0_T1_T2_jT3_P12ihipStream_tbPNSt15iterator_traitsISJ_E10value_typeEPNSP_ISK_E10value_typeEPSL_NS1_7vsmem_tEENKUlT_SJ_SK_SL_E_clISE_PiSF_SF_EESI_SY_SJ_SK_SL_EUlSY_E1_NS1_11comp_targetILNS1_3genE3ELNS1_11target_archE908ELNS1_3gpuE7ELNS1_3repE0EEENS1_36merge_oddeven_config_static_selectorELNS0_4arch9wavefront6targetE0EEEvSK_
		.amdhsa_group_segment_fixed_size 0
		.amdhsa_private_segment_fixed_size 0
		.amdhsa_kernarg_size 56
		.amdhsa_user_sgpr_count 6
		.amdhsa_user_sgpr_private_segment_buffer 1
		.amdhsa_user_sgpr_dispatch_ptr 0
		.amdhsa_user_sgpr_queue_ptr 0
		.amdhsa_user_sgpr_kernarg_segment_ptr 1
		.amdhsa_user_sgpr_dispatch_id 0
		.amdhsa_user_sgpr_flat_scratch_init 0
		.amdhsa_user_sgpr_private_segment_size 0
		.amdhsa_wavefront_size32 1
		.amdhsa_uses_dynamic_stack 0
		.amdhsa_system_sgpr_private_segment_wavefront_offset 0
		.amdhsa_system_sgpr_workgroup_id_x 1
		.amdhsa_system_sgpr_workgroup_id_y 0
		.amdhsa_system_sgpr_workgroup_id_z 0
		.amdhsa_system_sgpr_workgroup_info 0
		.amdhsa_system_vgpr_workitem_id 0
		.amdhsa_next_free_vgpr 1
		.amdhsa_next_free_sgpr 1
		.amdhsa_reserve_vcc 0
		.amdhsa_reserve_flat_scratch 0
		.amdhsa_float_round_mode_32 0
		.amdhsa_float_round_mode_16_64 0
		.amdhsa_float_denorm_mode_32 3
		.amdhsa_float_denorm_mode_16_64 3
		.amdhsa_dx10_clamp 1
		.amdhsa_ieee_mode 1
		.amdhsa_fp16_overflow 0
		.amdhsa_workgroup_processor_mode 1
		.amdhsa_memory_ordered 1
		.amdhsa_forward_progress 1
		.amdhsa_shared_vgpr_count 0
		.amdhsa_exception_fp_ieee_invalid_op 0
		.amdhsa_exception_fp_denorm_src 0
		.amdhsa_exception_fp_ieee_div_zero 0
		.amdhsa_exception_fp_ieee_overflow 0
		.amdhsa_exception_fp_ieee_underflow 0
		.amdhsa_exception_fp_ieee_inexact 0
		.amdhsa_exception_int_div_zero 0
	.end_amdhsa_kernel
	.section	.text._ZN7rocprim17ROCPRIM_400000_NS6detail17trampoline_kernelINS0_14default_configENS1_38merge_sort_block_merge_config_selectorIiNS0_10empty_typeEEEZZNS1_27merge_sort_block_merge_implIS3_N6thrust23THRUST_200600_302600_NS6detail15normal_iteratorINS9_10device_ptrIiEEEEPS5_m11less_div_10IiEEE10hipError_tT0_T1_T2_jT3_P12ihipStream_tbPNSt15iterator_traitsISJ_E10value_typeEPNSP_ISK_E10value_typeEPSL_NS1_7vsmem_tEENKUlT_SJ_SK_SL_E_clISE_PiSF_SF_EESI_SY_SJ_SK_SL_EUlSY_E1_NS1_11comp_targetILNS1_3genE3ELNS1_11target_archE908ELNS1_3gpuE7ELNS1_3repE0EEENS1_36merge_oddeven_config_static_selectorELNS0_4arch9wavefront6targetE0EEEvSK_,"axG",@progbits,_ZN7rocprim17ROCPRIM_400000_NS6detail17trampoline_kernelINS0_14default_configENS1_38merge_sort_block_merge_config_selectorIiNS0_10empty_typeEEEZZNS1_27merge_sort_block_merge_implIS3_N6thrust23THRUST_200600_302600_NS6detail15normal_iteratorINS9_10device_ptrIiEEEEPS5_m11less_div_10IiEEE10hipError_tT0_T1_T2_jT3_P12ihipStream_tbPNSt15iterator_traitsISJ_E10value_typeEPNSP_ISK_E10value_typeEPSL_NS1_7vsmem_tEENKUlT_SJ_SK_SL_E_clISE_PiSF_SF_EESI_SY_SJ_SK_SL_EUlSY_E1_NS1_11comp_targetILNS1_3genE3ELNS1_11target_archE908ELNS1_3gpuE7ELNS1_3repE0EEENS1_36merge_oddeven_config_static_selectorELNS0_4arch9wavefront6targetE0EEEvSK_,comdat
.Lfunc_end473:
	.size	_ZN7rocprim17ROCPRIM_400000_NS6detail17trampoline_kernelINS0_14default_configENS1_38merge_sort_block_merge_config_selectorIiNS0_10empty_typeEEEZZNS1_27merge_sort_block_merge_implIS3_N6thrust23THRUST_200600_302600_NS6detail15normal_iteratorINS9_10device_ptrIiEEEEPS5_m11less_div_10IiEEE10hipError_tT0_T1_T2_jT3_P12ihipStream_tbPNSt15iterator_traitsISJ_E10value_typeEPNSP_ISK_E10value_typeEPSL_NS1_7vsmem_tEENKUlT_SJ_SK_SL_E_clISE_PiSF_SF_EESI_SY_SJ_SK_SL_EUlSY_E1_NS1_11comp_targetILNS1_3genE3ELNS1_11target_archE908ELNS1_3gpuE7ELNS1_3repE0EEENS1_36merge_oddeven_config_static_selectorELNS0_4arch9wavefront6targetE0EEEvSK_, .Lfunc_end473-_ZN7rocprim17ROCPRIM_400000_NS6detail17trampoline_kernelINS0_14default_configENS1_38merge_sort_block_merge_config_selectorIiNS0_10empty_typeEEEZZNS1_27merge_sort_block_merge_implIS3_N6thrust23THRUST_200600_302600_NS6detail15normal_iteratorINS9_10device_ptrIiEEEEPS5_m11less_div_10IiEEE10hipError_tT0_T1_T2_jT3_P12ihipStream_tbPNSt15iterator_traitsISJ_E10value_typeEPNSP_ISK_E10value_typeEPSL_NS1_7vsmem_tEENKUlT_SJ_SK_SL_E_clISE_PiSF_SF_EESI_SY_SJ_SK_SL_EUlSY_E1_NS1_11comp_targetILNS1_3genE3ELNS1_11target_archE908ELNS1_3gpuE7ELNS1_3repE0EEENS1_36merge_oddeven_config_static_selectorELNS0_4arch9wavefront6targetE0EEEvSK_
                                        ; -- End function
	.set _ZN7rocprim17ROCPRIM_400000_NS6detail17trampoline_kernelINS0_14default_configENS1_38merge_sort_block_merge_config_selectorIiNS0_10empty_typeEEEZZNS1_27merge_sort_block_merge_implIS3_N6thrust23THRUST_200600_302600_NS6detail15normal_iteratorINS9_10device_ptrIiEEEEPS5_m11less_div_10IiEEE10hipError_tT0_T1_T2_jT3_P12ihipStream_tbPNSt15iterator_traitsISJ_E10value_typeEPNSP_ISK_E10value_typeEPSL_NS1_7vsmem_tEENKUlT_SJ_SK_SL_E_clISE_PiSF_SF_EESI_SY_SJ_SK_SL_EUlSY_E1_NS1_11comp_targetILNS1_3genE3ELNS1_11target_archE908ELNS1_3gpuE7ELNS1_3repE0EEENS1_36merge_oddeven_config_static_selectorELNS0_4arch9wavefront6targetE0EEEvSK_.num_vgpr, 0
	.set _ZN7rocprim17ROCPRIM_400000_NS6detail17trampoline_kernelINS0_14default_configENS1_38merge_sort_block_merge_config_selectorIiNS0_10empty_typeEEEZZNS1_27merge_sort_block_merge_implIS3_N6thrust23THRUST_200600_302600_NS6detail15normal_iteratorINS9_10device_ptrIiEEEEPS5_m11less_div_10IiEEE10hipError_tT0_T1_T2_jT3_P12ihipStream_tbPNSt15iterator_traitsISJ_E10value_typeEPNSP_ISK_E10value_typeEPSL_NS1_7vsmem_tEENKUlT_SJ_SK_SL_E_clISE_PiSF_SF_EESI_SY_SJ_SK_SL_EUlSY_E1_NS1_11comp_targetILNS1_3genE3ELNS1_11target_archE908ELNS1_3gpuE7ELNS1_3repE0EEENS1_36merge_oddeven_config_static_selectorELNS0_4arch9wavefront6targetE0EEEvSK_.num_agpr, 0
	.set _ZN7rocprim17ROCPRIM_400000_NS6detail17trampoline_kernelINS0_14default_configENS1_38merge_sort_block_merge_config_selectorIiNS0_10empty_typeEEEZZNS1_27merge_sort_block_merge_implIS3_N6thrust23THRUST_200600_302600_NS6detail15normal_iteratorINS9_10device_ptrIiEEEEPS5_m11less_div_10IiEEE10hipError_tT0_T1_T2_jT3_P12ihipStream_tbPNSt15iterator_traitsISJ_E10value_typeEPNSP_ISK_E10value_typeEPSL_NS1_7vsmem_tEENKUlT_SJ_SK_SL_E_clISE_PiSF_SF_EESI_SY_SJ_SK_SL_EUlSY_E1_NS1_11comp_targetILNS1_3genE3ELNS1_11target_archE908ELNS1_3gpuE7ELNS1_3repE0EEENS1_36merge_oddeven_config_static_selectorELNS0_4arch9wavefront6targetE0EEEvSK_.numbered_sgpr, 0
	.set _ZN7rocprim17ROCPRIM_400000_NS6detail17trampoline_kernelINS0_14default_configENS1_38merge_sort_block_merge_config_selectorIiNS0_10empty_typeEEEZZNS1_27merge_sort_block_merge_implIS3_N6thrust23THRUST_200600_302600_NS6detail15normal_iteratorINS9_10device_ptrIiEEEEPS5_m11less_div_10IiEEE10hipError_tT0_T1_T2_jT3_P12ihipStream_tbPNSt15iterator_traitsISJ_E10value_typeEPNSP_ISK_E10value_typeEPSL_NS1_7vsmem_tEENKUlT_SJ_SK_SL_E_clISE_PiSF_SF_EESI_SY_SJ_SK_SL_EUlSY_E1_NS1_11comp_targetILNS1_3genE3ELNS1_11target_archE908ELNS1_3gpuE7ELNS1_3repE0EEENS1_36merge_oddeven_config_static_selectorELNS0_4arch9wavefront6targetE0EEEvSK_.num_named_barrier, 0
	.set _ZN7rocprim17ROCPRIM_400000_NS6detail17trampoline_kernelINS0_14default_configENS1_38merge_sort_block_merge_config_selectorIiNS0_10empty_typeEEEZZNS1_27merge_sort_block_merge_implIS3_N6thrust23THRUST_200600_302600_NS6detail15normal_iteratorINS9_10device_ptrIiEEEEPS5_m11less_div_10IiEEE10hipError_tT0_T1_T2_jT3_P12ihipStream_tbPNSt15iterator_traitsISJ_E10value_typeEPNSP_ISK_E10value_typeEPSL_NS1_7vsmem_tEENKUlT_SJ_SK_SL_E_clISE_PiSF_SF_EESI_SY_SJ_SK_SL_EUlSY_E1_NS1_11comp_targetILNS1_3genE3ELNS1_11target_archE908ELNS1_3gpuE7ELNS1_3repE0EEENS1_36merge_oddeven_config_static_selectorELNS0_4arch9wavefront6targetE0EEEvSK_.private_seg_size, 0
	.set _ZN7rocprim17ROCPRIM_400000_NS6detail17trampoline_kernelINS0_14default_configENS1_38merge_sort_block_merge_config_selectorIiNS0_10empty_typeEEEZZNS1_27merge_sort_block_merge_implIS3_N6thrust23THRUST_200600_302600_NS6detail15normal_iteratorINS9_10device_ptrIiEEEEPS5_m11less_div_10IiEEE10hipError_tT0_T1_T2_jT3_P12ihipStream_tbPNSt15iterator_traitsISJ_E10value_typeEPNSP_ISK_E10value_typeEPSL_NS1_7vsmem_tEENKUlT_SJ_SK_SL_E_clISE_PiSF_SF_EESI_SY_SJ_SK_SL_EUlSY_E1_NS1_11comp_targetILNS1_3genE3ELNS1_11target_archE908ELNS1_3gpuE7ELNS1_3repE0EEENS1_36merge_oddeven_config_static_selectorELNS0_4arch9wavefront6targetE0EEEvSK_.uses_vcc, 0
	.set _ZN7rocprim17ROCPRIM_400000_NS6detail17trampoline_kernelINS0_14default_configENS1_38merge_sort_block_merge_config_selectorIiNS0_10empty_typeEEEZZNS1_27merge_sort_block_merge_implIS3_N6thrust23THRUST_200600_302600_NS6detail15normal_iteratorINS9_10device_ptrIiEEEEPS5_m11less_div_10IiEEE10hipError_tT0_T1_T2_jT3_P12ihipStream_tbPNSt15iterator_traitsISJ_E10value_typeEPNSP_ISK_E10value_typeEPSL_NS1_7vsmem_tEENKUlT_SJ_SK_SL_E_clISE_PiSF_SF_EESI_SY_SJ_SK_SL_EUlSY_E1_NS1_11comp_targetILNS1_3genE3ELNS1_11target_archE908ELNS1_3gpuE7ELNS1_3repE0EEENS1_36merge_oddeven_config_static_selectorELNS0_4arch9wavefront6targetE0EEEvSK_.uses_flat_scratch, 0
	.set _ZN7rocprim17ROCPRIM_400000_NS6detail17trampoline_kernelINS0_14default_configENS1_38merge_sort_block_merge_config_selectorIiNS0_10empty_typeEEEZZNS1_27merge_sort_block_merge_implIS3_N6thrust23THRUST_200600_302600_NS6detail15normal_iteratorINS9_10device_ptrIiEEEEPS5_m11less_div_10IiEEE10hipError_tT0_T1_T2_jT3_P12ihipStream_tbPNSt15iterator_traitsISJ_E10value_typeEPNSP_ISK_E10value_typeEPSL_NS1_7vsmem_tEENKUlT_SJ_SK_SL_E_clISE_PiSF_SF_EESI_SY_SJ_SK_SL_EUlSY_E1_NS1_11comp_targetILNS1_3genE3ELNS1_11target_archE908ELNS1_3gpuE7ELNS1_3repE0EEENS1_36merge_oddeven_config_static_selectorELNS0_4arch9wavefront6targetE0EEEvSK_.has_dyn_sized_stack, 0
	.set _ZN7rocprim17ROCPRIM_400000_NS6detail17trampoline_kernelINS0_14default_configENS1_38merge_sort_block_merge_config_selectorIiNS0_10empty_typeEEEZZNS1_27merge_sort_block_merge_implIS3_N6thrust23THRUST_200600_302600_NS6detail15normal_iteratorINS9_10device_ptrIiEEEEPS5_m11less_div_10IiEEE10hipError_tT0_T1_T2_jT3_P12ihipStream_tbPNSt15iterator_traitsISJ_E10value_typeEPNSP_ISK_E10value_typeEPSL_NS1_7vsmem_tEENKUlT_SJ_SK_SL_E_clISE_PiSF_SF_EESI_SY_SJ_SK_SL_EUlSY_E1_NS1_11comp_targetILNS1_3genE3ELNS1_11target_archE908ELNS1_3gpuE7ELNS1_3repE0EEENS1_36merge_oddeven_config_static_selectorELNS0_4arch9wavefront6targetE0EEEvSK_.has_recursion, 0
	.set _ZN7rocprim17ROCPRIM_400000_NS6detail17trampoline_kernelINS0_14default_configENS1_38merge_sort_block_merge_config_selectorIiNS0_10empty_typeEEEZZNS1_27merge_sort_block_merge_implIS3_N6thrust23THRUST_200600_302600_NS6detail15normal_iteratorINS9_10device_ptrIiEEEEPS5_m11less_div_10IiEEE10hipError_tT0_T1_T2_jT3_P12ihipStream_tbPNSt15iterator_traitsISJ_E10value_typeEPNSP_ISK_E10value_typeEPSL_NS1_7vsmem_tEENKUlT_SJ_SK_SL_E_clISE_PiSF_SF_EESI_SY_SJ_SK_SL_EUlSY_E1_NS1_11comp_targetILNS1_3genE3ELNS1_11target_archE908ELNS1_3gpuE7ELNS1_3repE0EEENS1_36merge_oddeven_config_static_selectorELNS0_4arch9wavefront6targetE0EEEvSK_.has_indirect_call, 0
	.section	.AMDGPU.csdata,"",@progbits
; Kernel info:
; codeLenInByte = 0
; TotalNumSgprs: 0
; NumVgprs: 0
; ScratchSize: 0
; MemoryBound: 0
; FloatMode: 240
; IeeeMode: 1
; LDSByteSize: 0 bytes/workgroup (compile time only)
; SGPRBlocks: 0
; VGPRBlocks: 0
; NumSGPRsForWavesPerEU: 1
; NumVGPRsForWavesPerEU: 1
; Occupancy: 16
; WaveLimiterHint : 0
; COMPUTE_PGM_RSRC2:SCRATCH_EN: 0
; COMPUTE_PGM_RSRC2:USER_SGPR: 6
; COMPUTE_PGM_RSRC2:TRAP_HANDLER: 0
; COMPUTE_PGM_RSRC2:TGID_X_EN: 1
; COMPUTE_PGM_RSRC2:TGID_Y_EN: 0
; COMPUTE_PGM_RSRC2:TGID_Z_EN: 0
; COMPUTE_PGM_RSRC2:TIDIG_COMP_CNT: 0
	.section	.text._ZN7rocprim17ROCPRIM_400000_NS6detail17trampoline_kernelINS0_14default_configENS1_38merge_sort_block_merge_config_selectorIiNS0_10empty_typeEEEZZNS1_27merge_sort_block_merge_implIS3_N6thrust23THRUST_200600_302600_NS6detail15normal_iteratorINS9_10device_ptrIiEEEEPS5_m11less_div_10IiEEE10hipError_tT0_T1_T2_jT3_P12ihipStream_tbPNSt15iterator_traitsISJ_E10value_typeEPNSP_ISK_E10value_typeEPSL_NS1_7vsmem_tEENKUlT_SJ_SK_SL_E_clISE_PiSF_SF_EESI_SY_SJ_SK_SL_EUlSY_E1_NS1_11comp_targetILNS1_3genE2ELNS1_11target_archE906ELNS1_3gpuE6ELNS1_3repE0EEENS1_36merge_oddeven_config_static_selectorELNS0_4arch9wavefront6targetE0EEEvSK_,"axG",@progbits,_ZN7rocprim17ROCPRIM_400000_NS6detail17trampoline_kernelINS0_14default_configENS1_38merge_sort_block_merge_config_selectorIiNS0_10empty_typeEEEZZNS1_27merge_sort_block_merge_implIS3_N6thrust23THRUST_200600_302600_NS6detail15normal_iteratorINS9_10device_ptrIiEEEEPS5_m11less_div_10IiEEE10hipError_tT0_T1_T2_jT3_P12ihipStream_tbPNSt15iterator_traitsISJ_E10value_typeEPNSP_ISK_E10value_typeEPSL_NS1_7vsmem_tEENKUlT_SJ_SK_SL_E_clISE_PiSF_SF_EESI_SY_SJ_SK_SL_EUlSY_E1_NS1_11comp_targetILNS1_3genE2ELNS1_11target_archE906ELNS1_3gpuE6ELNS1_3repE0EEENS1_36merge_oddeven_config_static_selectorELNS0_4arch9wavefront6targetE0EEEvSK_,comdat
	.protected	_ZN7rocprim17ROCPRIM_400000_NS6detail17trampoline_kernelINS0_14default_configENS1_38merge_sort_block_merge_config_selectorIiNS0_10empty_typeEEEZZNS1_27merge_sort_block_merge_implIS3_N6thrust23THRUST_200600_302600_NS6detail15normal_iteratorINS9_10device_ptrIiEEEEPS5_m11less_div_10IiEEE10hipError_tT0_T1_T2_jT3_P12ihipStream_tbPNSt15iterator_traitsISJ_E10value_typeEPNSP_ISK_E10value_typeEPSL_NS1_7vsmem_tEENKUlT_SJ_SK_SL_E_clISE_PiSF_SF_EESI_SY_SJ_SK_SL_EUlSY_E1_NS1_11comp_targetILNS1_3genE2ELNS1_11target_archE906ELNS1_3gpuE6ELNS1_3repE0EEENS1_36merge_oddeven_config_static_selectorELNS0_4arch9wavefront6targetE0EEEvSK_ ; -- Begin function _ZN7rocprim17ROCPRIM_400000_NS6detail17trampoline_kernelINS0_14default_configENS1_38merge_sort_block_merge_config_selectorIiNS0_10empty_typeEEEZZNS1_27merge_sort_block_merge_implIS3_N6thrust23THRUST_200600_302600_NS6detail15normal_iteratorINS9_10device_ptrIiEEEEPS5_m11less_div_10IiEEE10hipError_tT0_T1_T2_jT3_P12ihipStream_tbPNSt15iterator_traitsISJ_E10value_typeEPNSP_ISK_E10value_typeEPSL_NS1_7vsmem_tEENKUlT_SJ_SK_SL_E_clISE_PiSF_SF_EESI_SY_SJ_SK_SL_EUlSY_E1_NS1_11comp_targetILNS1_3genE2ELNS1_11target_archE906ELNS1_3gpuE6ELNS1_3repE0EEENS1_36merge_oddeven_config_static_selectorELNS0_4arch9wavefront6targetE0EEEvSK_
	.globl	_ZN7rocprim17ROCPRIM_400000_NS6detail17trampoline_kernelINS0_14default_configENS1_38merge_sort_block_merge_config_selectorIiNS0_10empty_typeEEEZZNS1_27merge_sort_block_merge_implIS3_N6thrust23THRUST_200600_302600_NS6detail15normal_iteratorINS9_10device_ptrIiEEEEPS5_m11less_div_10IiEEE10hipError_tT0_T1_T2_jT3_P12ihipStream_tbPNSt15iterator_traitsISJ_E10value_typeEPNSP_ISK_E10value_typeEPSL_NS1_7vsmem_tEENKUlT_SJ_SK_SL_E_clISE_PiSF_SF_EESI_SY_SJ_SK_SL_EUlSY_E1_NS1_11comp_targetILNS1_3genE2ELNS1_11target_archE906ELNS1_3gpuE6ELNS1_3repE0EEENS1_36merge_oddeven_config_static_selectorELNS0_4arch9wavefront6targetE0EEEvSK_
	.p2align	8
	.type	_ZN7rocprim17ROCPRIM_400000_NS6detail17trampoline_kernelINS0_14default_configENS1_38merge_sort_block_merge_config_selectorIiNS0_10empty_typeEEEZZNS1_27merge_sort_block_merge_implIS3_N6thrust23THRUST_200600_302600_NS6detail15normal_iteratorINS9_10device_ptrIiEEEEPS5_m11less_div_10IiEEE10hipError_tT0_T1_T2_jT3_P12ihipStream_tbPNSt15iterator_traitsISJ_E10value_typeEPNSP_ISK_E10value_typeEPSL_NS1_7vsmem_tEENKUlT_SJ_SK_SL_E_clISE_PiSF_SF_EESI_SY_SJ_SK_SL_EUlSY_E1_NS1_11comp_targetILNS1_3genE2ELNS1_11target_archE906ELNS1_3gpuE6ELNS1_3repE0EEENS1_36merge_oddeven_config_static_selectorELNS0_4arch9wavefront6targetE0EEEvSK_,@function
_ZN7rocprim17ROCPRIM_400000_NS6detail17trampoline_kernelINS0_14default_configENS1_38merge_sort_block_merge_config_selectorIiNS0_10empty_typeEEEZZNS1_27merge_sort_block_merge_implIS3_N6thrust23THRUST_200600_302600_NS6detail15normal_iteratorINS9_10device_ptrIiEEEEPS5_m11less_div_10IiEEE10hipError_tT0_T1_T2_jT3_P12ihipStream_tbPNSt15iterator_traitsISJ_E10value_typeEPNSP_ISK_E10value_typeEPSL_NS1_7vsmem_tEENKUlT_SJ_SK_SL_E_clISE_PiSF_SF_EESI_SY_SJ_SK_SL_EUlSY_E1_NS1_11comp_targetILNS1_3genE2ELNS1_11target_archE906ELNS1_3gpuE6ELNS1_3repE0EEENS1_36merge_oddeven_config_static_selectorELNS0_4arch9wavefront6targetE0EEEvSK_: ; @_ZN7rocprim17ROCPRIM_400000_NS6detail17trampoline_kernelINS0_14default_configENS1_38merge_sort_block_merge_config_selectorIiNS0_10empty_typeEEEZZNS1_27merge_sort_block_merge_implIS3_N6thrust23THRUST_200600_302600_NS6detail15normal_iteratorINS9_10device_ptrIiEEEEPS5_m11less_div_10IiEEE10hipError_tT0_T1_T2_jT3_P12ihipStream_tbPNSt15iterator_traitsISJ_E10value_typeEPNSP_ISK_E10value_typeEPSL_NS1_7vsmem_tEENKUlT_SJ_SK_SL_E_clISE_PiSF_SF_EESI_SY_SJ_SK_SL_EUlSY_E1_NS1_11comp_targetILNS1_3genE2ELNS1_11target_archE906ELNS1_3gpuE6ELNS1_3repE0EEENS1_36merge_oddeven_config_static_selectorELNS0_4arch9wavefront6targetE0EEEvSK_
; %bb.0:
	.section	.rodata,"a",@progbits
	.p2align	6, 0x0
	.amdhsa_kernel _ZN7rocprim17ROCPRIM_400000_NS6detail17trampoline_kernelINS0_14default_configENS1_38merge_sort_block_merge_config_selectorIiNS0_10empty_typeEEEZZNS1_27merge_sort_block_merge_implIS3_N6thrust23THRUST_200600_302600_NS6detail15normal_iteratorINS9_10device_ptrIiEEEEPS5_m11less_div_10IiEEE10hipError_tT0_T1_T2_jT3_P12ihipStream_tbPNSt15iterator_traitsISJ_E10value_typeEPNSP_ISK_E10value_typeEPSL_NS1_7vsmem_tEENKUlT_SJ_SK_SL_E_clISE_PiSF_SF_EESI_SY_SJ_SK_SL_EUlSY_E1_NS1_11comp_targetILNS1_3genE2ELNS1_11target_archE906ELNS1_3gpuE6ELNS1_3repE0EEENS1_36merge_oddeven_config_static_selectorELNS0_4arch9wavefront6targetE0EEEvSK_
		.amdhsa_group_segment_fixed_size 0
		.amdhsa_private_segment_fixed_size 0
		.amdhsa_kernarg_size 56
		.amdhsa_user_sgpr_count 6
		.amdhsa_user_sgpr_private_segment_buffer 1
		.amdhsa_user_sgpr_dispatch_ptr 0
		.amdhsa_user_sgpr_queue_ptr 0
		.amdhsa_user_sgpr_kernarg_segment_ptr 1
		.amdhsa_user_sgpr_dispatch_id 0
		.amdhsa_user_sgpr_flat_scratch_init 0
		.amdhsa_user_sgpr_private_segment_size 0
		.amdhsa_wavefront_size32 1
		.amdhsa_uses_dynamic_stack 0
		.amdhsa_system_sgpr_private_segment_wavefront_offset 0
		.amdhsa_system_sgpr_workgroup_id_x 1
		.amdhsa_system_sgpr_workgroup_id_y 0
		.amdhsa_system_sgpr_workgroup_id_z 0
		.amdhsa_system_sgpr_workgroup_info 0
		.amdhsa_system_vgpr_workitem_id 0
		.amdhsa_next_free_vgpr 1
		.amdhsa_next_free_sgpr 1
		.amdhsa_reserve_vcc 0
		.amdhsa_reserve_flat_scratch 0
		.amdhsa_float_round_mode_32 0
		.amdhsa_float_round_mode_16_64 0
		.amdhsa_float_denorm_mode_32 3
		.amdhsa_float_denorm_mode_16_64 3
		.amdhsa_dx10_clamp 1
		.amdhsa_ieee_mode 1
		.amdhsa_fp16_overflow 0
		.amdhsa_workgroup_processor_mode 1
		.amdhsa_memory_ordered 1
		.amdhsa_forward_progress 1
		.amdhsa_shared_vgpr_count 0
		.amdhsa_exception_fp_ieee_invalid_op 0
		.amdhsa_exception_fp_denorm_src 0
		.amdhsa_exception_fp_ieee_div_zero 0
		.amdhsa_exception_fp_ieee_overflow 0
		.amdhsa_exception_fp_ieee_underflow 0
		.amdhsa_exception_fp_ieee_inexact 0
		.amdhsa_exception_int_div_zero 0
	.end_amdhsa_kernel
	.section	.text._ZN7rocprim17ROCPRIM_400000_NS6detail17trampoline_kernelINS0_14default_configENS1_38merge_sort_block_merge_config_selectorIiNS0_10empty_typeEEEZZNS1_27merge_sort_block_merge_implIS3_N6thrust23THRUST_200600_302600_NS6detail15normal_iteratorINS9_10device_ptrIiEEEEPS5_m11less_div_10IiEEE10hipError_tT0_T1_T2_jT3_P12ihipStream_tbPNSt15iterator_traitsISJ_E10value_typeEPNSP_ISK_E10value_typeEPSL_NS1_7vsmem_tEENKUlT_SJ_SK_SL_E_clISE_PiSF_SF_EESI_SY_SJ_SK_SL_EUlSY_E1_NS1_11comp_targetILNS1_3genE2ELNS1_11target_archE906ELNS1_3gpuE6ELNS1_3repE0EEENS1_36merge_oddeven_config_static_selectorELNS0_4arch9wavefront6targetE0EEEvSK_,"axG",@progbits,_ZN7rocprim17ROCPRIM_400000_NS6detail17trampoline_kernelINS0_14default_configENS1_38merge_sort_block_merge_config_selectorIiNS0_10empty_typeEEEZZNS1_27merge_sort_block_merge_implIS3_N6thrust23THRUST_200600_302600_NS6detail15normal_iteratorINS9_10device_ptrIiEEEEPS5_m11less_div_10IiEEE10hipError_tT0_T1_T2_jT3_P12ihipStream_tbPNSt15iterator_traitsISJ_E10value_typeEPNSP_ISK_E10value_typeEPSL_NS1_7vsmem_tEENKUlT_SJ_SK_SL_E_clISE_PiSF_SF_EESI_SY_SJ_SK_SL_EUlSY_E1_NS1_11comp_targetILNS1_3genE2ELNS1_11target_archE906ELNS1_3gpuE6ELNS1_3repE0EEENS1_36merge_oddeven_config_static_selectorELNS0_4arch9wavefront6targetE0EEEvSK_,comdat
.Lfunc_end474:
	.size	_ZN7rocprim17ROCPRIM_400000_NS6detail17trampoline_kernelINS0_14default_configENS1_38merge_sort_block_merge_config_selectorIiNS0_10empty_typeEEEZZNS1_27merge_sort_block_merge_implIS3_N6thrust23THRUST_200600_302600_NS6detail15normal_iteratorINS9_10device_ptrIiEEEEPS5_m11less_div_10IiEEE10hipError_tT0_T1_T2_jT3_P12ihipStream_tbPNSt15iterator_traitsISJ_E10value_typeEPNSP_ISK_E10value_typeEPSL_NS1_7vsmem_tEENKUlT_SJ_SK_SL_E_clISE_PiSF_SF_EESI_SY_SJ_SK_SL_EUlSY_E1_NS1_11comp_targetILNS1_3genE2ELNS1_11target_archE906ELNS1_3gpuE6ELNS1_3repE0EEENS1_36merge_oddeven_config_static_selectorELNS0_4arch9wavefront6targetE0EEEvSK_, .Lfunc_end474-_ZN7rocprim17ROCPRIM_400000_NS6detail17trampoline_kernelINS0_14default_configENS1_38merge_sort_block_merge_config_selectorIiNS0_10empty_typeEEEZZNS1_27merge_sort_block_merge_implIS3_N6thrust23THRUST_200600_302600_NS6detail15normal_iteratorINS9_10device_ptrIiEEEEPS5_m11less_div_10IiEEE10hipError_tT0_T1_T2_jT3_P12ihipStream_tbPNSt15iterator_traitsISJ_E10value_typeEPNSP_ISK_E10value_typeEPSL_NS1_7vsmem_tEENKUlT_SJ_SK_SL_E_clISE_PiSF_SF_EESI_SY_SJ_SK_SL_EUlSY_E1_NS1_11comp_targetILNS1_3genE2ELNS1_11target_archE906ELNS1_3gpuE6ELNS1_3repE0EEENS1_36merge_oddeven_config_static_selectorELNS0_4arch9wavefront6targetE0EEEvSK_
                                        ; -- End function
	.set _ZN7rocprim17ROCPRIM_400000_NS6detail17trampoline_kernelINS0_14default_configENS1_38merge_sort_block_merge_config_selectorIiNS0_10empty_typeEEEZZNS1_27merge_sort_block_merge_implIS3_N6thrust23THRUST_200600_302600_NS6detail15normal_iteratorINS9_10device_ptrIiEEEEPS5_m11less_div_10IiEEE10hipError_tT0_T1_T2_jT3_P12ihipStream_tbPNSt15iterator_traitsISJ_E10value_typeEPNSP_ISK_E10value_typeEPSL_NS1_7vsmem_tEENKUlT_SJ_SK_SL_E_clISE_PiSF_SF_EESI_SY_SJ_SK_SL_EUlSY_E1_NS1_11comp_targetILNS1_3genE2ELNS1_11target_archE906ELNS1_3gpuE6ELNS1_3repE0EEENS1_36merge_oddeven_config_static_selectorELNS0_4arch9wavefront6targetE0EEEvSK_.num_vgpr, 0
	.set _ZN7rocprim17ROCPRIM_400000_NS6detail17trampoline_kernelINS0_14default_configENS1_38merge_sort_block_merge_config_selectorIiNS0_10empty_typeEEEZZNS1_27merge_sort_block_merge_implIS3_N6thrust23THRUST_200600_302600_NS6detail15normal_iteratorINS9_10device_ptrIiEEEEPS5_m11less_div_10IiEEE10hipError_tT0_T1_T2_jT3_P12ihipStream_tbPNSt15iterator_traitsISJ_E10value_typeEPNSP_ISK_E10value_typeEPSL_NS1_7vsmem_tEENKUlT_SJ_SK_SL_E_clISE_PiSF_SF_EESI_SY_SJ_SK_SL_EUlSY_E1_NS1_11comp_targetILNS1_3genE2ELNS1_11target_archE906ELNS1_3gpuE6ELNS1_3repE0EEENS1_36merge_oddeven_config_static_selectorELNS0_4arch9wavefront6targetE0EEEvSK_.num_agpr, 0
	.set _ZN7rocprim17ROCPRIM_400000_NS6detail17trampoline_kernelINS0_14default_configENS1_38merge_sort_block_merge_config_selectorIiNS0_10empty_typeEEEZZNS1_27merge_sort_block_merge_implIS3_N6thrust23THRUST_200600_302600_NS6detail15normal_iteratorINS9_10device_ptrIiEEEEPS5_m11less_div_10IiEEE10hipError_tT0_T1_T2_jT3_P12ihipStream_tbPNSt15iterator_traitsISJ_E10value_typeEPNSP_ISK_E10value_typeEPSL_NS1_7vsmem_tEENKUlT_SJ_SK_SL_E_clISE_PiSF_SF_EESI_SY_SJ_SK_SL_EUlSY_E1_NS1_11comp_targetILNS1_3genE2ELNS1_11target_archE906ELNS1_3gpuE6ELNS1_3repE0EEENS1_36merge_oddeven_config_static_selectorELNS0_4arch9wavefront6targetE0EEEvSK_.numbered_sgpr, 0
	.set _ZN7rocprim17ROCPRIM_400000_NS6detail17trampoline_kernelINS0_14default_configENS1_38merge_sort_block_merge_config_selectorIiNS0_10empty_typeEEEZZNS1_27merge_sort_block_merge_implIS3_N6thrust23THRUST_200600_302600_NS6detail15normal_iteratorINS9_10device_ptrIiEEEEPS5_m11less_div_10IiEEE10hipError_tT0_T1_T2_jT3_P12ihipStream_tbPNSt15iterator_traitsISJ_E10value_typeEPNSP_ISK_E10value_typeEPSL_NS1_7vsmem_tEENKUlT_SJ_SK_SL_E_clISE_PiSF_SF_EESI_SY_SJ_SK_SL_EUlSY_E1_NS1_11comp_targetILNS1_3genE2ELNS1_11target_archE906ELNS1_3gpuE6ELNS1_3repE0EEENS1_36merge_oddeven_config_static_selectorELNS0_4arch9wavefront6targetE0EEEvSK_.num_named_barrier, 0
	.set _ZN7rocprim17ROCPRIM_400000_NS6detail17trampoline_kernelINS0_14default_configENS1_38merge_sort_block_merge_config_selectorIiNS0_10empty_typeEEEZZNS1_27merge_sort_block_merge_implIS3_N6thrust23THRUST_200600_302600_NS6detail15normal_iteratorINS9_10device_ptrIiEEEEPS5_m11less_div_10IiEEE10hipError_tT0_T1_T2_jT3_P12ihipStream_tbPNSt15iterator_traitsISJ_E10value_typeEPNSP_ISK_E10value_typeEPSL_NS1_7vsmem_tEENKUlT_SJ_SK_SL_E_clISE_PiSF_SF_EESI_SY_SJ_SK_SL_EUlSY_E1_NS1_11comp_targetILNS1_3genE2ELNS1_11target_archE906ELNS1_3gpuE6ELNS1_3repE0EEENS1_36merge_oddeven_config_static_selectorELNS0_4arch9wavefront6targetE0EEEvSK_.private_seg_size, 0
	.set _ZN7rocprim17ROCPRIM_400000_NS6detail17trampoline_kernelINS0_14default_configENS1_38merge_sort_block_merge_config_selectorIiNS0_10empty_typeEEEZZNS1_27merge_sort_block_merge_implIS3_N6thrust23THRUST_200600_302600_NS6detail15normal_iteratorINS9_10device_ptrIiEEEEPS5_m11less_div_10IiEEE10hipError_tT0_T1_T2_jT3_P12ihipStream_tbPNSt15iterator_traitsISJ_E10value_typeEPNSP_ISK_E10value_typeEPSL_NS1_7vsmem_tEENKUlT_SJ_SK_SL_E_clISE_PiSF_SF_EESI_SY_SJ_SK_SL_EUlSY_E1_NS1_11comp_targetILNS1_3genE2ELNS1_11target_archE906ELNS1_3gpuE6ELNS1_3repE0EEENS1_36merge_oddeven_config_static_selectorELNS0_4arch9wavefront6targetE0EEEvSK_.uses_vcc, 0
	.set _ZN7rocprim17ROCPRIM_400000_NS6detail17trampoline_kernelINS0_14default_configENS1_38merge_sort_block_merge_config_selectorIiNS0_10empty_typeEEEZZNS1_27merge_sort_block_merge_implIS3_N6thrust23THRUST_200600_302600_NS6detail15normal_iteratorINS9_10device_ptrIiEEEEPS5_m11less_div_10IiEEE10hipError_tT0_T1_T2_jT3_P12ihipStream_tbPNSt15iterator_traitsISJ_E10value_typeEPNSP_ISK_E10value_typeEPSL_NS1_7vsmem_tEENKUlT_SJ_SK_SL_E_clISE_PiSF_SF_EESI_SY_SJ_SK_SL_EUlSY_E1_NS1_11comp_targetILNS1_3genE2ELNS1_11target_archE906ELNS1_3gpuE6ELNS1_3repE0EEENS1_36merge_oddeven_config_static_selectorELNS0_4arch9wavefront6targetE0EEEvSK_.uses_flat_scratch, 0
	.set _ZN7rocprim17ROCPRIM_400000_NS6detail17trampoline_kernelINS0_14default_configENS1_38merge_sort_block_merge_config_selectorIiNS0_10empty_typeEEEZZNS1_27merge_sort_block_merge_implIS3_N6thrust23THRUST_200600_302600_NS6detail15normal_iteratorINS9_10device_ptrIiEEEEPS5_m11less_div_10IiEEE10hipError_tT0_T1_T2_jT3_P12ihipStream_tbPNSt15iterator_traitsISJ_E10value_typeEPNSP_ISK_E10value_typeEPSL_NS1_7vsmem_tEENKUlT_SJ_SK_SL_E_clISE_PiSF_SF_EESI_SY_SJ_SK_SL_EUlSY_E1_NS1_11comp_targetILNS1_3genE2ELNS1_11target_archE906ELNS1_3gpuE6ELNS1_3repE0EEENS1_36merge_oddeven_config_static_selectorELNS0_4arch9wavefront6targetE0EEEvSK_.has_dyn_sized_stack, 0
	.set _ZN7rocprim17ROCPRIM_400000_NS6detail17trampoline_kernelINS0_14default_configENS1_38merge_sort_block_merge_config_selectorIiNS0_10empty_typeEEEZZNS1_27merge_sort_block_merge_implIS3_N6thrust23THRUST_200600_302600_NS6detail15normal_iteratorINS9_10device_ptrIiEEEEPS5_m11less_div_10IiEEE10hipError_tT0_T1_T2_jT3_P12ihipStream_tbPNSt15iterator_traitsISJ_E10value_typeEPNSP_ISK_E10value_typeEPSL_NS1_7vsmem_tEENKUlT_SJ_SK_SL_E_clISE_PiSF_SF_EESI_SY_SJ_SK_SL_EUlSY_E1_NS1_11comp_targetILNS1_3genE2ELNS1_11target_archE906ELNS1_3gpuE6ELNS1_3repE0EEENS1_36merge_oddeven_config_static_selectorELNS0_4arch9wavefront6targetE0EEEvSK_.has_recursion, 0
	.set _ZN7rocprim17ROCPRIM_400000_NS6detail17trampoline_kernelINS0_14default_configENS1_38merge_sort_block_merge_config_selectorIiNS0_10empty_typeEEEZZNS1_27merge_sort_block_merge_implIS3_N6thrust23THRUST_200600_302600_NS6detail15normal_iteratorINS9_10device_ptrIiEEEEPS5_m11less_div_10IiEEE10hipError_tT0_T1_T2_jT3_P12ihipStream_tbPNSt15iterator_traitsISJ_E10value_typeEPNSP_ISK_E10value_typeEPSL_NS1_7vsmem_tEENKUlT_SJ_SK_SL_E_clISE_PiSF_SF_EESI_SY_SJ_SK_SL_EUlSY_E1_NS1_11comp_targetILNS1_3genE2ELNS1_11target_archE906ELNS1_3gpuE6ELNS1_3repE0EEENS1_36merge_oddeven_config_static_selectorELNS0_4arch9wavefront6targetE0EEEvSK_.has_indirect_call, 0
	.section	.AMDGPU.csdata,"",@progbits
; Kernel info:
; codeLenInByte = 0
; TotalNumSgprs: 0
; NumVgprs: 0
; ScratchSize: 0
; MemoryBound: 0
; FloatMode: 240
; IeeeMode: 1
; LDSByteSize: 0 bytes/workgroup (compile time only)
; SGPRBlocks: 0
; VGPRBlocks: 0
; NumSGPRsForWavesPerEU: 1
; NumVGPRsForWavesPerEU: 1
; Occupancy: 16
; WaveLimiterHint : 0
; COMPUTE_PGM_RSRC2:SCRATCH_EN: 0
; COMPUTE_PGM_RSRC2:USER_SGPR: 6
; COMPUTE_PGM_RSRC2:TRAP_HANDLER: 0
; COMPUTE_PGM_RSRC2:TGID_X_EN: 1
; COMPUTE_PGM_RSRC2:TGID_Y_EN: 0
; COMPUTE_PGM_RSRC2:TGID_Z_EN: 0
; COMPUTE_PGM_RSRC2:TIDIG_COMP_CNT: 0
	.section	.text._ZN7rocprim17ROCPRIM_400000_NS6detail17trampoline_kernelINS0_14default_configENS1_38merge_sort_block_merge_config_selectorIiNS0_10empty_typeEEEZZNS1_27merge_sort_block_merge_implIS3_N6thrust23THRUST_200600_302600_NS6detail15normal_iteratorINS9_10device_ptrIiEEEEPS5_m11less_div_10IiEEE10hipError_tT0_T1_T2_jT3_P12ihipStream_tbPNSt15iterator_traitsISJ_E10value_typeEPNSP_ISK_E10value_typeEPSL_NS1_7vsmem_tEENKUlT_SJ_SK_SL_E_clISE_PiSF_SF_EESI_SY_SJ_SK_SL_EUlSY_E1_NS1_11comp_targetILNS1_3genE9ELNS1_11target_archE1100ELNS1_3gpuE3ELNS1_3repE0EEENS1_36merge_oddeven_config_static_selectorELNS0_4arch9wavefront6targetE0EEEvSK_,"axG",@progbits,_ZN7rocprim17ROCPRIM_400000_NS6detail17trampoline_kernelINS0_14default_configENS1_38merge_sort_block_merge_config_selectorIiNS0_10empty_typeEEEZZNS1_27merge_sort_block_merge_implIS3_N6thrust23THRUST_200600_302600_NS6detail15normal_iteratorINS9_10device_ptrIiEEEEPS5_m11less_div_10IiEEE10hipError_tT0_T1_T2_jT3_P12ihipStream_tbPNSt15iterator_traitsISJ_E10value_typeEPNSP_ISK_E10value_typeEPSL_NS1_7vsmem_tEENKUlT_SJ_SK_SL_E_clISE_PiSF_SF_EESI_SY_SJ_SK_SL_EUlSY_E1_NS1_11comp_targetILNS1_3genE9ELNS1_11target_archE1100ELNS1_3gpuE3ELNS1_3repE0EEENS1_36merge_oddeven_config_static_selectorELNS0_4arch9wavefront6targetE0EEEvSK_,comdat
	.protected	_ZN7rocprim17ROCPRIM_400000_NS6detail17trampoline_kernelINS0_14default_configENS1_38merge_sort_block_merge_config_selectorIiNS0_10empty_typeEEEZZNS1_27merge_sort_block_merge_implIS3_N6thrust23THRUST_200600_302600_NS6detail15normal_iteratorINS9_10device_ptrIiEEEEPS5_m11less_div_10IiEEE10hipError_tT0_T1_T2_jT3_P12ihipStream_tbPNSt15iterator_traitsISJ_E10value_typeEPNSP_ISK_E10value_typeEPSL_NS1_7vsmem_tEENKUlT_SJ_SK_SL_E_clISE_PiSF_SF_EESI_SY_SJ_SK_SL_EUlSY_E1_NS1_11comp_targetILNS1_3genE9ELNS1_11target_archE1100ELNS1_3gpuE3ELNS1_3repE0EEENS1_36merge_oddeven_config_static_selectorELNS0_4arch9wavefront6targetE0EEEvSK_ ; -- Begin function _ZN7rocprim17ROCPRIM_400000_NS6detail17trampoline_kernelINS0_14default_configENS1_38merge_sort_block_merge_config_selectorIiNS0_10empty_typeEEEZZNS1_27merge_sort_block_merge_implIS3_N6thrust23THRUST_200600_302600_NS6detail15normal_iteratorINS9_10device_ptrIiEEEEPS5_m11less_div_10IiEEE10hipError_tT0_T1_T2_jT3_P12ihipStream_tbPNSt15iterator_traitsISJ_E10value_typeEPNSP_ISK_E10value_typeEPSL_NS1_7vsmem_tEENKUlT_SJ_SK_SL_E_clISE_PiSF_SF_EESI_SY_SJ_SK_SL_EUlSY_E1_NS1_11comp_targetILNS1_3genE9ELNS1_11target_archE1100ELNS1_3gpuE3ELNS1_3repE0EEENS1_36merge_oddeven_config_static_selectorELNS0_4arch9wavefront6targetE0EEEvSK_
	.globl	_ZN7rocprim17ROCPRIM_400000_NS6detail17trampoline_kernelINS0_14default_configENS1_38merge_sort_block_merge_config_selectorIiNS0_10empty_typeEEEZZNS1_27merge_sort_block_merge_implIS3_N6thrust23THRUST_200600_302600_NS6detail15normal_iteratorINS9_10device_ptrIiEEEEPS5_m11less_div_10IiEEE10hipError_tT0_T1_T2_jT3_P12ihipStream_tbPNSt15iterator_traitsISJ_E10value_typeEPNSP_ISK_E10value_typeEPSL_NS1_7vsmem_tEENKUlT_SJ_SK_SL_E_clISE_PiSF_SF_EESI_SY_SJ_SK_SL_EUlSY_E1_NS1_11comp_targetILNS1_3genE9ELNS1_11target_archE1100ELNS1_3gpuE3ELNS1_3repE0EEENS1_36merge_oddeven_config_static_selectorELNS0_4arch9wavefront6targetE0EEEvSK_
	.p2align	8
	.type	_ZN7rocprim17ROCPRIM_400000_NS6detail17trampoline_kernelINS0_14default_configENS1_38merge_sort_block_merge_config_selectorIiNS0_10empty_typeEEEZZNS1_27merge_sort_block_merge_implIS3_N6thrust23THRUST_200600_302600_NS6detail15normal_iteratorINS9_10device_ptrIiEEEEPS5_m11less_div_10IiEEE10hipError_tT0_T1_T2_jT3_P12ihipStream_tbPNSt15iterator_traitsISJ_E10value_typeEPNSP_ISK_E10value_typeEPSL_NS1_7vsmem_tEENKUlT_SJ_SK_SL_E_clISE_PiSF_SF_EESI_SY_SJ_SK_SL_EUlSY_E1_NS1_11comp_targetILNS1_3genE9ELNS1_11target_archE1100ELNS1_3gpuE3ELNS1_3repE0EEENS1_36merge_oddeven_config_static_selectorELNS0_4arch9wavefront6targetE0EEEvSK_,@function
_ZN7rocprim17ROCPRIM_400000_NS6detail17trampoline_kernelINS0_14default_configENS1_38merge_sort_block_merge_config_selectorIiNS0_10empty_typeEEEZZNS1_27merge_sort_block_merge_implIS3_N6thrust23THRUST_200600_302600_NS6detail15normal_iteratorINS9_10device_ptrIiEEEEPS5_m11less_div_10IiEEE10hipError_tT0_T1_T2_jT3_P12ihipStream_tbPNSt15iterator_traitsISJ_E10value_typeEPNSP_ISK_E10value_typeEPSL_NS1_7vsmem_tEENKUlT_SJ_SK_SL_E_clISE_PiSF_SF_EESI_SY_SJ_SK_SL_EUlSY_E1_NS1_11comp_targetILNS1_3genE9ELNS1_11target_archE1100ELNS1_3gpuE3ELNS1_3repE0EEENS1_36merge_oddeven_config_static_selectorELNS0_4arch9wavefront6targetE0EEEvSK_: ; @_ZN7rocprim17ROCPRIM_400000_NS6detail17trampoline_kernelINS0_14default_configENS1_38merge_sort_block_merge_config_selectorIiNS0_10empty_typeEEEZZNS1_27merge_sort_block_merge_implIS3_N6thrust23THRUST_200600_302600_NS6detail15normal_iteratorINS9_10device_ptrIiEEEEPS5_m11less_div_10IiEEE10hipError_tT0_T1_T2_jT3_P12ihipStream_tbPNSt15iterator_traitsISJ_E10value_typeEPNSP_ISK_E10value_typeEPSL_NS1_7vsmem_tEENKUlT_SJ_SK_SL_E_clISE_PiSF_SF_EESI_SY_SJ_SK_SL_EUlSY_E1_NS1_11comp_targetILNS1_3genE9ELNS1_11target_archE1100ELNS1_3gpuE3ELNS1_3repE0EEENS1_36merge_oddeven_config_static_selectorELNS0_4arch9wavefront6targetE0EEEvSK_
; %bb.0:
	.section	.rodata,"a",@progbits
	.p2align	6, 0x0
	.amdhsa_kernel _ZN7rocprim17ROCPRIM_400000_NS6detail17trampoline_kernelINS0_14default_configENS1_38merge_sort_block_merge_config_selectorIiNS0_10empty_typeEEEZZNS1_27merge_sort_block_merge_implIS3_N6thrust23THRUST_200600_302600_NS6detail15normal_iteratorINS9_10device_ptrIiEEEEPS5_m11less_div_10IiEEE10hipError_tT0_T1_T2_jT3_P12ihipStream_tbPNSt15iterator_traitsISJ_E10value_typeEPNSP_ISK_E10value_typeEPSL_NS1_7vsmem_tEENKUlT_SJ_SK_SL_E_clISE_PiSF_SF_EESI_SY_SJ_SK_SL_EUlSY_E1_NS1_11comp_targetILNS1_3genE9ELNS1_11target_archE1100ELNS1_3gpuE3ELNS1_3repE0EEENS1_36merge_oddeven_config_static_selectorELNS0_4arch9wavefront6targetE0EEEvSK_
		.amdhsa_group_segment_fixed_size 0
		.amdhsa_private_segment_fixed_size 0
		.amdhsa_kernarg_size 56
		.amdhsa_user_sgpr_count 6
		.amdhsa_user_sgpr_private_segment_buffer 1
		.amdhsa_user_sgpr_dispatch_ptr 0
		.amdhsa_user_sgpr_queue_ptr 0
		.amdhsa_user_sgpr_kernarg_segment_ptr 1
		.amdhsa_user_sgpr_dispatch_id 0
		.amdhsa_user_sgpr_flat_scratch_init 0
		.amdhsa_user_sgpr_private_segment_size 0
		.amdhsa_wavefront_size32 1
		.amdhsa_uses_dynamic_stack 0
		.amdhsa_system_sgpr_private_segment_wavefront_offset 0
		.amdhsa_system_sgpr_workgroup_id_x 1
		.amdhsa_system_sgpr_workgroup_id_y 0
		.amdhsa_system_sgpr_workgroup_id_z 0
		.amdhsa_system_sgpr_workgroup_info 0
		.amdhsa_system_vgpr_workitem_id 0
		.amdhsa_next_free_vgpr 1
		.amdhsa_next_free_sgpr 1
		.amdhsa_reserve_vcc 0
		.amdhsa_reserve_flat_scratch 0
		.amdhsa_float_round_mode_32 0
		.amdhsa_float_round_mode_16_64 0
		.amdhsa_float_denorm_mode_32 3
		.amdhsa_float_denorm_mode_16_64 3
		.amdhsa_dx10_clamp 1
		.amdhsa_ieee_mode 1
		.amdhsa_fp16_overflow 0
		.amdhsa_workgroup_processor_mode 1
		.amdhsa_memory_ordered 1
		.amdhsa_forward_progress 1
		.amdhsa_shared_vgpr_count 0
		.amdhsa_exception_fp_ieee_invalid_op 0
		.amdhsa_exception_fp_denorm_src 0
		.amdhsa_exception_fp_ieee_div_zero 0
		.amdhsa_exception_fp_ieee_overflow 0
		.amdhsa_exception_fp_ieee_underflow 0
		.amdhsa_exception_fp_ieee_inexact 0
		.amdhsa_exception_int_div_zero 0
	.end_amdhsa_kernel
	.section	.text._ZN7rocprim17ROCPRIM_400000_NS6detail17trampoline_kernelINS0_14default_configENS1_38merge_sort_block_merge_config_selectorIiNS0_10empty_typeEEEZZNS1_27merge_sort_block_merge_implIS3_N6thrust23THRUST_200600_302600_NS6detail15normal_iteratorINS9_10device_ptrIiEEEEPS5_m11less_div_10IiEEE10hipError_tT0_T1_T2_jT3_P12ihipStream_tbPNSt15iterator_traitsISJ_E10value_typeEPNSP_ISK_E10value_typeEPSL_NS1_7vsmem_tEENKUlT_SJ_SK_SL_E_clISE_PiSF_SF_EESI_SY_SJ_SK_SL_EUlSY_E1_NS1_11comp_targetILNS1_3genE9ELNS1_11target_archE1100ELNS1_3gpuE3ELNS1_3repE0EEENS1_36merge_oddeven_config_static_selectorELNS0_4arch9wavefront6targetE0EEEvSK_,"axG",@progbits,_ZN7rocprim17ROCPRIM_400000_NS6detail17trampoline_kernelINS0_14default_configENS1_38merge_sort_block_merge_config_selectorIiNS0_10empty_typeEEEZZNS1_27merge_sort_block_merge_implIS3_N6thrust23THRUST_200600_302600_NS6detail15normal_iteratorINS9_10device_ptrIiEEEEPS5_m11less_div_10IiEEE10hipError_tT0_T1_T2_jT3_P12ihipStream_tbPNSt15iterator_traitsISJ_E10value_typeEPNSP_ISK_E10value_typeEPSL_NS1_7vsmem_tEENKUlT_SJ_SK_SL_E_clISE_PiSF_SF_EESI_SY_SJ_SK_SL_EUlSY_E1_NS1_11comp_targetILNS1_3genE9ELNS1_11target_archE1100ELNS1_3gpuE3ELNS1_3repE0EEENS1_36merge_oddeven_config_static_selectorELNS0_4arch9wavefront6targetE0EEEvSK_,comdat
.Lfunc_end475:
	.size	_ZN7rocprim17ROCPRIM_400000_NS6detail17trampoline_kernelINS0_14default_configENS1_38merge_sort_block_merge_config_selectorIiNS0_10empty_typeEEEZZNS1_27merge_sort_block_merge_implIS3_N6thrust23THRUST_200600_302600_NS6detail15normal_iteratorINS9_10device_ptrIiEEEEPS5_m11less_div_10IiEEE10hipError_tT0_T1_T2_jT3_P12ihipStream_tbPNSt15iterator_traitsISJ_E10value_typeEPNSP_ISK_E10value_typeEPSL_NS1_7vsmem_tEENKUlT_SJ_SK_SL_E_clISE_PiSF_SF_EESI_SY_SJ_SK_SL_EUlSY_E1_NS1_11comp_targetILNS1_3genE9ELNS1_11target_archE1100ELNS1_3gpuE3ELNS1_3repE0EEENS1_36merge_oddeven_config_static_selectorELNS0_4arch9wavefront6targetE0EEEvSK_, .Lfunc_end475-_ZN7rocprim17ROCPRIM_400000_NS6detail17trampoline_kernelINS0_14default_configENS1_38merge_sort_block_merge_config_selectorIiNS0_10empty_typeEEEZZNS1_27merge_sort_block_merge_implIS3_N6thrust23THRUST_200600_302600_NS6detail15normal_iteratorINS9_10device_ptrIiEEEEPS5_m11less_div_10IiEEE10hipError_tT0_T1_T2_jT3_P12ihipStream_tbPNSt15iterator_traitsISJ_E10value_typeEPNSP_ISK_E10value_typeEPSL_NS1_7vsmem_tEENKUlT_SJ_SK_SL_E_clISE_PiSF_SF_EESI_SY_SJ_SK_SL_EUlSY_E1_NS1_11comp_targetILNS1_3genE9ELNS1_11target_archE1100ELNS1_3gpuE3ELNS1_3repE0EEENS1_36merge_oddeven_config_static_selectorELNS0_4arch9wavefront6targetE0EEEvSK_
                                        ; -- End function
	.set _ZN7rocprim17ROCPRIM_400000_NS6detail17trampoline_kernelINS0_14default_configENS1_38merge_sort_block_merge_config_selectorIiNS0_10empty_typeEEEZZNS1_27merge_sort_block_merge_implIS3_N6thrust23THRUST_200600_302600_NS6detail15normal_iteratorINS9_10device_ptrIiEEEEPS5_m11less_div_10IiEEE10hipError_tT0_T1_T2_jT3_P12ihipStream_tbPNSt15iterator_traitsISJ_E10value_typeEPNSP_ISK_E10value_typeEPSL_NS1_7vsmem_tEENKUlT_SJ_SK_SL_E_clISE_PiSF_SF_EESI_SY_SJ_SK_SL_EUlSY_E1_NS1_11comp_targetILNS1_3genE9ELNS1_11target_archE1100ELNS1_3gpuE3ELNS1_3repE0EEENS1_36merge_oddeven_config_static_selectorELNS0_4arch9wavefront6targetE0EEEvSK_.num_vgpr, 0
	.set _ZN7rocprim17ROCPRIM_400000_NS6detail17trampoline_kernelINS0_14default_configENS1_38merge_sort_block_merge_config_selectorIiNS0_10empty_typeEEEZZNS1_27merge_sort_block_merge_implIS3_N6thrust23THRUST_200600_302600_NS6detail15normal_iteratorINS9_10device_ptrIiEEEEPS5_m11less_div_10IiEEE10hipError_tT0_T1_T2_jT3_P12ihipStream_tbPNSt15iterator_traitsISJ_E10value_typeEPNSP_ISK_E10value_typeEPSL_NS1_7vsmem_tEENKUlT_SJ_SK_SL_E_clISE_PiSF_SF_EESI_SY_SJ_SK_SL_EUlSY_E1_NS1_11comp_targetILNS1_3genE9ELNS1_11target_archE1100ELNS1_3gpuE3ELNS1_3repE0EEENS1_36merge_oddeven_config_static_selectorELNS0_4arch9wavefront6targetE0EEEvSK_.num_agpr, 0
	.set _ZN7rocprim17ROCPRIM_400000_NS6detail17trampoline_kernelINS0_14default_configENS1_38merge_sort_block_merge_config_selectorIiNS0_10empty_typeEEEZZNS1_27merge_sort_block_merge_implIS3_N6thrust23THRUST_200600_302600_NS6detail15normal_iteratorINS9_10device_ptrIiEEEEPS5_m11less_div_10IiEEE10hipError_tT0_T1_T2_jT3_P12ihipStream_tbPNSt15iterator_traitsISJ_E10value_typeEPNSP_ISK_E10value_typeEPSL_NS1_7vsmem_tEENKUlT_SJ_SK_SL_E_clISE_PiSF_SF_EESI_SY_SJ_SK_SL_EUlSY_E1_NS1_11comp_targetILNS1_3genE9ELNS1_11target_archE1100ELNS1_3gpuE3ELNS1_3repE0EEENS1_36merge_oddeven_config_static_selectorELNS0_4arch9wavefront6targetE0EEEvSK_.numbered_sgpr, 0
	.set _ZN7rocprim17ROCPRIM_400000_NS6detail17trampoline_kernelINS0_14default_configENS1_38merge_sort_block_merge_config_selectorIiNS0_10empty_typeEEEZZNS1_27merge_sort_block_merge_implIS3_N6thrust23THRUST_200600_302600_NS6detail15normal_iteratorINS9_10device_ptrIiEEEEPS5_m11less_div_10IiEEE10hipError_tT0_T1_T2_jT3_P12ihipStream_tbPNSt15iterator_traitsISJ_E10value_typeEPNSP_ISK_E10value_typeEPSL_NS1_7vsmem_tEENKUlT_SJ_SK_SL_E_clISE_PiSF_SF_EESI_SY_SJ_SK_SL_EUlSY_E1_NS1_11comp_targetILNS1_3genE9ELNS1_11target_archE1100ELNS1_3gpuE3ELNS1_3repE0EEENS1_36merge_oddeven_config_static_selectorELNS0_4arch9wavefront6targetE0EEEvSK_.num_named_barrier, 0
	.set _ZN7rocprim17ROCPRIM_400000_NS6detail17trampoline_kernelINS0_14default_configENS1_38merge_sort_block_merge_config_selectorIiNS0_10empty_typeEEEZZNS1_27merge_sort_block_merge_implIS3_N6thrust23THRUST_200600_302600_NS6detail15normal_iteratorINS9_10device_ptrIiEEEEPS5_m11less_div_10IiEEE10hipError_tT0_T1_T2_jT3_P12ihipStream_tbPNSt15iterator_traitsISJ_E10value_typeEPNSP_ISK_E10value_typeEPSL_NS1_7vsmem_tEENKUlT_SJ_SK_SL_E_clISE_PiSF_SF_EESI_SY_SJ_SK_SL_EUlSY_E1_NS1_11comp_targetILNS1_3genE9ELNS1_11target_archE1100ELNS1_3gpuE3ELNS1_3repE0EEENS1_36merge_oddeven_config_static_selectorELNS0_4arch9wavefront6targetE0EEEvSK_.private_seg_size, 0
	.set _ZN7rocprim17ROCPRIM_400000_NS6detail17trampoline_kernelINS0_14default_configENS1_38merge_sort_block_merge_config_selectorIiNS0_10empty_typeEEEZZNS1_27merge_sort_block_merge_implIS3_N6thrust23THRUST_200600_302600_NS6detail15normal_iteratorINS9_10device_ptrIiEEEEPS5_m11less_div_10IiEEE10hipError_tT0_T1_T2_jT3_P12ihipStream_tbPNSt15iterator_traitsISJ_E10value_typeEPNSP_ISK_E10value_typeEPSL_NS1_7vsmem_tEENKUlT_SJ_SK_SL_E_clISE_PiSF_SF_EESI_SY_SJ_SK_SL_EUlSY_E1_NS1_11comp_targetILNS1_3genE9ELNS1_11target_archE1100ELNS1_3gpuE3ELNS1_3repE0EEENS1_36merge_oddeven_config_static_selectorELNS0_4arch9wavefront6targetE0EEEvSK_.uses_vcc, 0
	.set _ZN7rocprim17ROCPRIM_400000_NS6detail17trampoline_kernelINS0_14default_configENS1_38merge_sort_block_merge_config_selectorIiNS0_10empty_typeEEEZZNS1_27merge_sort_block_merge_implIS3_N6thrust23THRUST_200600_302600_NS6detail15normal_iteratorINS9_10device_ptrIiEEEEPS5_m11less_div_10IiEEE10hipError_tT0_T1_T2_jT3_P12ihipStream_tbPNSt15iterator_traitsISJ_E10value_typeEPNSP_ISK_E10value_typeEPSL_NS1_7vsmem_tEENKUlT_SJ_SK_SL_E_clISE_PiSF_SF_EESI_SY_SJ_SK_SL_EUlSY_E1_NS1_11comp_targetILNS1_3genE9ELNS1_11target_archE1100ELNS1_3gpuE3ELNS1_3repE0EEENS1_36merge_oddeven_config_static_selectorELNS0_4arch9wavefront6targetE0EEEvSK_.uses_flat_scratch, 0
	.set _ZN7rocprim17ROCPRIM_400000_NS6detail17trampoline_kernelINS0_14default_configENS1_38merge_sort_block_merge_config_selectorIiNS0_10empty_typeEEEZZNS1_27merge_sort_block_merge_implIS3_N6thrust23THRUST_200600_302600_NS6detail15normal_iteratorINS9_10device_ptrIiEEEEPS5_m11less_div_10IiEEE10hipError_tT0_T1_T2_jT3_P12ihipStream_tbPNSt15iterator_traitsISJ_E10value_typeEPNSP_ISK_E10value_typeEPSL_NS1_7vsmem_tEENKUlT_SJ_SK_SL_E_clISE_PiSF_SF_EESI_SY_SJ_SK_SL_EUlSY_E1_NS1_11comp_targetILNS1_3genE9ELNS1_11target_archE1100ELNS1_3gpuE3ELNS1_3repE0EEENS1_36merge_oddeven_config_static_selectorELNS0_4arch9wavefront6targetE0EEEvSK_.has_dyn_sized_stack, 0
	.set _ZN7rocprim17ROCPRIM_400000_NS6detail17trampoline_kernelINS0_14default_configENS1_38merge_sort_block_merge_config_selectorIiNS0_10empty_typeEEEZZNS1_27merge_sort_block_merge_implIS3_N6thrust23THRUST_200600_302600_NS6detail15normal_iteratorINS9_10device_ptrIiEEEEPS5_m11less_div_10IiEEE10hipError_tT0_T1_T2_jT3_P12ihipStream_tbPNSt15iterator_traitsISJ_E10value_typeEPNSP_ISK_E10value_typeEPSL_NS1_7vsmem_tEENKUlT_SJ_SK_SL_E_clISE_PiSF_SF_EESI_SY_SJ_SK_SL_EUlSY_E1_NS1_11comp_targetILNS1_3genE9ELNS1_11target_archE1100ELNS1_3gpuE3ELNS1_3repE0EEENS1_36merge_oddeven_config_static_selectorELNS0_4arch9wavefront6targetE0EEEvSK_.has_recursion, 0
	.set _ZN7rocprim17ROCPRIM_400000_NS6detail17trampoline_kernelINS0_14default_configENS1_38merge_sort_block_merge_config_selectorIiNS0_10empty_typeEEEZZNS1_27merge_sort_block_merge_implIS3_N6thrust23THRUST_200600_302600_NS6detail15normal_iteratorINS9_10device_ptrIiEEEEPS5_m11less_div_10IiEEE10hipError_tT0_T1_T2_jT3_P12ihipStream_tbPNSt15iterator_traitsISJ_E10value_typeEPNSP_ISK_E10value_typeEPSL_NS1_7vsmem_tEENKUlT_SJ_SK_SL_E_clISE_PiSF_SF_EESI_SY_SJ_SK_SL_EUlSY_E1_NS1_11comp_targetILNS1_3genE9ELNS1_11target_archE1100ELNS1_3gpuE3ELNS1_3repE0EEENS1_36merge_oddeven_config_static_selectorELNS0_4arch9wavefront6targetE0EEEvSK_.has_indirect_call, 0
	.section	.AMDGPU.csdata,"",@progbits
; Kernel info:
; codeLenInByte = 0
; TotalNumSgprs: 0
; NumVgprs: 0
; ScratchSize: 0
; MemoryBound: 0
; FloatMode: 240
; IeeeMode: 1
; LDSByteSize: 0 bytes/workgroup (compile time only)
; SGPRBlocks: 0
; VGPRBlocks: 0
; NumSGPRsForWavesPerEU: 1
; NumVGPRsForWavesPerEU: 1
; Occupancy: 16
; WaveLimiterHint : 0
; COMPUTE_PGM_RSRC2:SCRATCH_EN: 0
; COMPUTE_PGM_RSRC2:USER_SGPR: 6
; COMPUTE_PGM_RSRC2:TRAP_HANDLER: 0
; COMPUTE_PGM_RSRC2:TGID_X_EN: 1
; COMPUTE_PGM_RSRC2:TGID_Y_EN: 0
; COMPUTE_PGM_RSRC2:TGID_Z_EN: 0
; COMPUTE_PGM_RSRC2:TIDIG_COMP_CNT: 0
	.section	.text._ZN7rocprim17ROCPRIM_400000_NS6detail17trampoline_kernelINS0_14default_configENS1_38merge_sort_block_merge_config_selectorIiNS0_10empty_typeEEEZZNS1_27merge_sort_block_merge_implIS3_N6thrust23THRUST_200600_302600_NS6detail15normal_iteratorINS9_10device_ptrIiEEEEPS5_m11less_div_10IiEEE10hipError_tT0_T1_T2_jT3_P12ihipStream_tbPNSt15iterator_traitsISJ_E10value_typeEPNSP_ISK_E10value_typeEPSL_NS1_7vsmem_tEENKUlT_SJ_SK_SL_E_clISE_PiSF_SF_EESI_SY_SJ_SK_SL_EUlSY_E1_NS1_11comp_targetILNS1_3genE8ELNS1_11target_archE1030ELNS1_3gpuE2ELNS1_3repE0EEENS1_36merge_oddeven_config_static_selectorELNS0_4arch9wavefront6targetE0EEEvSK_,"axG",@progbits,_ZN7rocprim17ROCPRIM_400000_NS6detail17trampoline_kernelINS0_14default_configENS1_38merge_sort_block_merge_config_selectorIiNS0_10empty_typeEEEZZNS1_27merge_sort_block_merge_implIS3_N6thrust23THRUST_200600_302600_NS6detail15normal_iteratorINS9_10device_ptrIiEEEEPS5_m11less_div_10IiEEE10hipError_tT0_T1_T2_jT3_P12ihipStream_tbPNSt15iterator_traitsISJ_E10value_typeEPNSP_ISK_E10value_typeEPSL_NS1_7vsmem_tEENKUlT_SJ_SK_SL_E_clISE_PiSF_SF_EESI_SY_SJ_SK_SL_EUlSY_E1_NS1_11comp_targetILNS1_3genE8ELNS1_11target_archE1030ELNS1_3gpuE2ELNS1_3repE0EEENS1_36merge_oddeven_config_static_selectorELNS0_4arch9wavefront6targetE0EEEvSK_,comdat
	.protected	_ZN7rocprim17ROCPRIM_400000_NS6detail17trampoline_kernelINS0_14default_configENS1_38merge_sort_block_merge_config_selectorIiNS0_10empty_typeEEEZZNS1_27merge_sort_block_merge_implIS3_N6thrust23THRUST_200600_302600_NS6detail15normal_iteratorINS9_10device_ptrIiEEEEPS5_m11less_div_10IiEEE10hipError_tT0_T1_T2_jT3_P12ihipStream_tbPNSt15iterator_traitsISJ_E10value_typeEPNSP_ISK_E10value_typeEPSL_NS1_7vsmem_tEENKUlT_SJ_SK_SL_E_clISE_PiSF_SF_EESI_SY_SJ_SK_SL_EUlSY_E1_NS1_11comp_targetILNS1_3genE8ELNS1_11target_archE1030ELNS1_3gpuE2ELNS1_3repE0EEENS1_36merge_oddeven_config_static_selectorELNS0_4arch9wavefront6targetE0EEEvSK_ ; -- Begin function _ZN7rocprim17ROCPRIM_400000_NS6detail17trampoline_kernelINS0_14default_configENS1_38merge_sort_block_merge_config_selectorIiNS0_10empty_typeEEEZZNS1_27merge_sort_block_merge_implIS3_N6thrust23THRUST_200600_302600_NS6detail15normal_iteratorINS9_10device_ptrIiEEEEPS5_m11less_div_10IiEEE10hipError_tT0_T1_T2_jT3_P12ihipStream_tbPNSt15iterator_traitsISJ_E10value_typeEPNSP_ISK_E10value_typeEPSL_NS1_7vsmem_tEENKUlT_SJ_SK_SL_E_clISE_PiSF_SF_EESI_SY_SJ_SK_SL_EUlSY_E1_NS1_11comp_targetILNS1_3genE8ELNS1_11target_archE1030ELNS1_3gpuE2ELNS1_3repE0EEENS1_36merge_oddeven_config_static_selectorELNS0_4arch9wavefront6targetE0EEEvSK_
	.globl	_ZN7rocprim17ROCPRIM_400000_NS6detail17trampoline_kernelINS0_14default_configENS1_38merge_sort_block_merge_config_selectorIiNS0_10empty_typeEEEZZNS1_27merge_sort_block_merge_implIS3_N6thrust23THRUST_200600_302600_NS6detail15normal_iteratorINS9_10device_ptrIiEEEEPS5_m11less_div_10IiEEE10hipError_tT0_T1_T2_jT3_P12ihipStream_tbPNSt15iterator_traitsISJ_E10value_typeEPNSP_ISK_E10value_typeEPSL_NS1_7vsmem_tEENKUlT_SJ_SK_SL_E_clISE_PiSF_SF_EESI_SY_SJ_SK_SL_EUlSY_E1_NS1_11comp_targetILNS1_3genE8ELNS1_11target_archE1030ELNS1_3gpuE2ELNS1_3repE0EEENS1_36merge_oddeven_config_static_selectorELNS0_4arch9wavefront6targetE0EEEvSK_
	.p2align	8
	.type	_ZN7rocprim17ROCPRIM_400000_NS6detail17trampoline_kernelINS0_14default_configENS1_38merge_sort_block_merge_config_selectorIiNS0_10empty_typeEEEZZNS1_27merge_sort_block_merge_implIS3_N6thrust23THRUST_200600_302600_NS6detail15normal_iteratorINS9_10device_ptrIiEEEEPS5_m11less_div_10IiEEE10hipError_tT0_T1_T2_jT3_P12ihipStream_tbPNSt15iterator_traitsISJ_E10value_typeEPNSP_ISK_E10value_typeEPSL_NS1_7vsmem_tEENKUlT_SJ_SK_SL_E_clISE_PiSF_SF_EESI_SY_SJ_SK_SL_EUlSY_E1_NS1_11comp_targetILNS1_3genE8ELNS1_11target_archE1030ELNS1_3gpuE2ELNS1_3repE0EEENS1_36merge_oddeven_config_static_selectorELNS0_4arch9wavefront6targetE0EEEvSK_,@function
_ZN7rocprim17ROCPRIM_400000_NS6detail17trampoline_kernelINS0_14default_configENS1_38merge_sort_block_merge_config_selectorIiNS0_10empty_typeEEEZZNS1_27merge_sort_block_merge_implIS3_N6thrust23THRUST_200600_302600_NS6detail15normal_iteratorINS9_10device_ptrIiEEEEPS5_m11less_div_10IiEEE10hipError_tT0_T1_T2_jT3_P12ihipStream_tbPNSt15iterator_traitsISJ_E10value_typeEPNSP_ISK_E10value_typeEPSL_NS1_7vsmem_tEENKUlT_SJ_SK_SL_E_clISE_PiSF_SF_EESI_SY_SJ_SK_SL_EUlSY_E1_NS1_11comp_targetILNS1_3genE8ELNS1_11target_archE1030ELNS1_3gpuE2ELNS1_3repE0EEENS1_36merge_oddeven_config_static_selectorELNS0_4arch9wavefront6targetE0EEEvSK_: ; @_ZN7rocprim17ROCPRIM_400000_NS6detail17trampoline_kernelINS0_14default_configENS1_38merge_sort_block_merge_config_selectorIiNS0_10empty_typeEEEZZNS1_27merge_sort_block_merge_implIS3_N6thrust23THRUST_200600_302600_NS6detail15normal_iteratorINS9_10device_ptrIiEEEEPS5_m11less_div_10IiEEE10hipError_tT0_T1_T2_jT3_P12ihipStream_tbPNSt15iterator_traitsISJ_E10value_typeEPNSP_ISK_E10value_typeEPSL_NS1_7vsmem_tEENKUlT_SJ_SK_SL_E_clISE_PiSF_SF_EESI_SY_SJ_SK_SL_EUlSY_E1_NS1_11comp_targetILNS1_3genE8ELNS1_11target_archE1030ELNS1_3gpuE2ELNS1_3repE0EEENS1_36merge_oddeven_config_static_selectorELNS0_4arch9wavefront6targetE0EEEvSK_
; %bb.0:
	s_load_dword s7, s[4:5], 0x20
	s_waitcnt lgkmcnt(0)
	s_lshr_b32 s0, s7, 8
	s_cmp_lg_u32 s6, s0
	s_cselect_b32 s13, -1, 0
	s_cmp_eq_u32 s6, s0
	s_cselect_b32 s12, -1, 0
	s_lshl_b32 s2, s6, 8
	s_sub_i32 s0, s7, s2
	v_cmp_gt_u32_e64 s1, s0, v0
	s_or_b32 s0, s13, s1
	s_and_saveexec_b32 s3, s0
	s_cbranch_execz .LBB476_20
; %bb.1:
	s_load_dwordx4 s[8:11], s[4:5], 0x0
	s_mov_b32 s3, 0
	v_lshlrev_b32_e32 v1, 2, v0
	s_lshl_b64 s[14:15], s[2:3], 2
	s_load_dword s5, s[4:5], 0x28
	v_add_nc_u32_e32 v0, s2, v0
	s_waitcnt lgkmcnt(0)
	s_add_u32 s14, s8, s14
	s_addc_u32 s15, s9, s15
	global_load_dword v2, v1, s[14:15]
	s_lshr_b32 s0, s5, 8
	s_sub_i32 s4, 0, s0
	s_and_b32 s4, s6, s4
	s_and_b32 s0, s4, s0
	s_lshl_b32 s6, s4, 8
	s_sub_i32 s4, 0, s5
	s_cmp_eq_u32 s0, 0
	s_cselect_b32 s0, -1, 0
	s_and_b32 s14, s0, exec_lo
	s_cselect_b32 s4, s5, s4
	s_add_i32 s4, s4, s6
	s_cmp_lt_u32 s4, s7
	s_cbranch_scc1 .LBB476_3
; %bb.2:
	v_cmp_gt_u32_e32 vcc_lo, s7, v0
	s_or_b32 s3, vcc_lo, s13
	s_and_b32 s3, s3, exec_lo
	s_cbranch_execz .LBB476_4
	s_branch .LBB476_18
.LBB476_3:
.LBB476_4:
	s_waitcnt vmcnt(0)
	v_mul_hi_i32 v1, 0x66666667, v2
	s_min_u32 s2, s4, s7
	s_and_b32 vcc_lo, exec_lo, s12
	s_add_i32 s13, s6, s2
	s_min_u32 s6, s6, s2
	v_subrev_nc_u32_e32 v0, s13, v0
	s_add_i32 s5, s2, s5
	s_min_u32 s5, s5, s7
	v_lshrrev_b32_e32 v4, 31, v1
	v_ashrrev_i32_e32 v1, 2, v1
	v_add_nc_u32_e32 v3, s6, v0
	v_add_nc_u32_e32 v4, v1, v4
	s_cbranch_vccz .LBB476_12
; %bb.5:
                                        ; implicit-def: $vgpr0
	s_and_saveexec_b32 s6, s1
	s_cbranch_execz .LBB476_11
; %bb.6:
	v_mov_b32_e32 v5, s2
	s_cmp_ge_u32 s4, s5
	s_cbranch_scc1 .LBB476_10
; %bb.7:
	v_mov_b32_e32 v6, s5
	v_mov_b32_e32 v5, s2
	;; [unrolled: 1-line block ×3, first 2 shown]
	s_mov_b32 s1, 0
	s_inst_prefetch 0x1
	.p2align	6
.LBB476_8:                              ; =>This Inner Loop Header: Depth=1
	v_add_nc_u32_e32 v0, v5, v6
	v_lshrrev_b32_e32 v0, 1, v0
	v_lshlrev_b64 v[7:8], 2, v[0:1]
	v_add_co_u32 v7, vcc_lo, s8, v7
	v_add_co_ci_u32_e64 v8, null, s9, v8, vcc_lo
	global_load_dword v7, v[7:8], off
	s_waitcnt vmcnt(0)
	v_mul_hi_i32 v7, 0x66666667, v7
	v_lshrrev_b32_e32 v8, 31, v7
	v_ashrrev_i32_e32 v7, 2, v7
	v_add_nc_u32_e32 v7, v7, v8
	v_cmp_lt_i32_e32 vcc_lo, v7, v4
	v_cndmask_b32_e64 v8, 0, 1, vcc_lo
	v_cmp_ge_i32_e32 vcc_lo, v4, v7
	v_cndmask_b32_e64 v7, 0, 1, vcc_lo
	v_cndmask_b32_e64 v7, v7, v8, s0
	v_add_nc_u32_e32 v8, 1, v0
	v_and_b32_e32 v7, 1, v7
	v_cmp_eq_u32_e32 vcc_lo, 1, v7
	v_cndmask_b32_e32 v6, v0, v6, vcc_lo
	v_cndmask_b32_e32 v5, v5, v8, vcc_lo
	v_cmp_ge_u32_e32 vcc_lo, v5, v6
	s_or_b32 s1, vcc_lo, s1
	s_andn2_b32 exec_lo, exec_lo, s1
	s_cbranch_execnz .LBB476_8
; %bb.9:
	s_inst_prefetch 0x2
	s_or_b32 exec_lo, exec_lo, s1
.LBB476_10:
	v_add_nc_u32_e32 v0, v5, v3
	s_or_b32 s3, s3, exec_lo
.LBB476_11:
	s_or_b32 exec_lo, exec_lo, s6
	s_branch .LBB476_18
.LBB476_12:
                                        ; implicit-def: $vgpr0
	s_cbranch_execz .LBB476_18
; %bb.13:
	v_mov_b32_e32 v5, s2
	s_cmp_ge_u32 s4, s5
	s_cbranch_scc1 .LBB476_17
; %bb.14:
	v_mov_b32_e32 v6, s5
	v_mov_b32_e32 v5, s2
	;; [unrolled: 1-line block ×3, first 2 shown]
	s_mov_b32 s1, 0
	s_inst_prefetch 0x1
	.p2align	6
.LBB476_15:                             ; =>This Inner Loop Header: Depth=1
	v_add_nc_u32_e32 v0, v5, v6
	v_lshrrev_b32_e32 v0, 1, v0
	v_lshlrev_b64 v[7:8], 2, v[0:1]
	v_add_co_u32 v7, vcc_lo, s8, v7
	v_add_co_ci_u32_e64 v8, null, s9, v8, vcc_lo
	global_load_dword v7, v[7:8], off
	s_waitcnt vmcnt(0)
	v_mul_hi_i32 v7, 0x66666667, v7
	v_lshrrev_b32_e32 v8, 31, v7
	v_ashrrev_i32_e32 v7, 2, v7
	v_add_nc_u32_e32 v7, v7, v8
	v_cmp_lt_i32_e32 vcc_lo, v7, v4
	v_cndmask_b32_e64 v8, 0, 1, vcc_lo
	v_cmp_ge_i32_e32 vcc_lo, v4, v7
	v_cndmask_b32_e64 v7, 0, 1, vcc_lo
	v_cndmask_b32_e64 v7, v7, v8, s0
	v_add_nc_u32_e32 v8, 1, v0
	v_and_b32_e32 v7, 1, v7
	v_cmp_eq_u32_e32 vcc_lo, 1, v7
	v_cndmask_b32_e32 v6, v0, v6, vcc_lo
	v_cndmask_b32_e32 v5, v5, v8, vcc_lo
	v_cmp_ge_u32_e32 vcc_lo, v5, v6
	s_or_b32 s1, vcc_lo, s1
	s_andn2_b32 exec_lo, exec_lo, s1
	s_cbranch_execnz .LBB476_15
; %bb.16:
	s_inst_prefetch 0x2
	s_or_b32 exec_lo, exec_lo, s1
.LBB476_17:
	v_add_nc_u32_e32 v0, v5, v3
	s_mov_b32 s3, -1
.LBB476_18:
	s_and_b32 exec_lo, exec_lo, s3
	s_cbranch_execz .LBB476_20
; %bb.19:
	v_mov_b32_e32 v1, 0
	v_lshlrev_b64 v[0:1], 2, v[0:1]
	v_add_co_u32 v0, vcc_lo, s10, v0
	v_add_co_ci_u32_e64 v1, null, s11, v1, vcc_lo
	s_waitcnt vmcnt(0)
	global_store_dword v[0:1], v2, off
.LBB476_20:
	s_endpgm
	.section	.rodata,"a",@progbits
	.p2align	6, 0x0
	.amdhsa_kernel _ZN7rocprim17ROCPRIM_400000_NS6detail17trampoline_kernelINS0_14default_configENS1_38merge_sort_block_merge_config_selectorIiNS0_10empty_typeEEEZZNS1_27merge_sort_block_merge_implIS3_N6thrust23THRUST_200600_302600_NS6detail15normal_iteratorINS9_10device_ptrIiEEEEPS5_m11less_div_10IiEEE10hipError_tT0_T1_T2_jT3_P12ihipStream_tbPNSt15iterator_traitsISJ_E10value_typeEPNSP_ISK_E10value_typeEPSL_NS1_7vsmem_tEENKUlT_SJ_SK_SL_E_clISE_PiSF_SF_EESI_SY_SJ_SK_SL_EUlSY_E1_NS1_11comp_targetILNS1_3genE8ELNS1_11target_archE1030ELNS1_3gpuE2ELNS1_3repE0EEENS1_36merge_oddeven_config_static_selectorELNS0_4arch9wavefront6targetE0EEEvSK_
		.amdhsa_group_segment_fixed_size 0
		.amdhsa_private_segment_fixed_size 0
		.amdhsa_kernarg_size 56
		.amdhsa_user_sgpr_count 6
		.amdhsa_user_sgpr_private_segment_buffer 1
		.amdhsa_user_sgpr_dispatch_ptr 0
		.amdhsa_user_sgpr_queue_ptr 0
		.amdhsa_user_sgpr_kernarg_segment_ptr 1
		.amdhsa_user_sgpr_dispatch_id 0
		.amdhsa_user_sgpr_flat_scratch_init 0
		.amdhsa_user_sgpr_private_segment_size 0
		.amdhsa_wavefront_size32 1
		.amdhsa_uses_dynamic_stack 0
		.amdhsa_system_sgpr_private_segment_wavefront_offset 0
		.amdhsa_system_sgpr_workgroup_id_x 1
		.amdhsa_system_sgpr_workgroup_id_y 0
		.amdhsa_system_sgpr_workgroup_id_z 0
		.amdhsa_system_sgpr_workgroup_info 0
		.amdhsa_system_vgpr_workitem_id 0
		.amdhsa_next_free_vgpr 9
		.amdhsa_next_free_sgpr 16
		.amdhsa_reserve_vcc 1
		.amdhsa_reserve_flat_scratch 0
		.amdhsa_float_round_mode_32 0
		.amdhsa_float_round_mode_16_64 0
		.amdhsa_float_denorm_mode_32 3
		.amdhsa_float_denorm_mode_16_64 3
		.amdhsa_dx10_clamp 1
		.amdhsa_ieee_mode 1
		.amdhsa_fp16_overflow 0
		.amdhsa_workgroup_processor_mode 1
		.amdhsa_memory_ordered 1
		.amdhsa_forward_progress 1
		.amdhsa_shared_vgpr_count 0
		.amdhsa_exception_fp_ieee_invalid_op 0
		.amdhsa_exception_fp_denorm_src 0
		.amdhsa_exception_fp_ieee_div_zero 0
		.amdhsa_exception_fp_ieee_overflow 0
		.amdhsa_exception_fp_ieee_underflow 0
		.amdhsa_exception_fp_ieee_inexact 0
		.amdhsa_exception_int_div_zero 0
	.end_amdhsa_kernel
	.section	.text._ZN7rocprim17ROCPRIM_400000_NS6detail17trampoline_kernelINS0_14default_configENS1_38merge_sort_block_merge_config_selectorIiNS0_10empty_typeEEEZZNS1_27merge_sort_block_merge_implIS3_N6thrust23THRUST_200600_302600_NS6detail15normal_iteratorINS9_10device_ptrIiEEEEPS5_m11less_div_10IiEEE10hipError_tT0_T1_T2_jT3_P12ihipStream_tbPNSt15iterator_traitsISJ_E10value_typeEPNSP_ISK_E10value_typeEPSL_NS1_7vsmem_tEENKUlT_SJ_SK_SL_E_clISE_PiSF_SF_EESI_SY_SJ_SK_SL_EUlSY_E1_NS1_11comp_targetILNS1_3genE8ELNS1_11target_archE1030ELNS1_3gpuE2ELNS1_3repE0EEENS1_36merge_oddeven_config_static_selectorELNS0_4arch9wavefront6targetE0EEEvSK_,"axG",@progbits,_ZN7rocprim17ROCPRIM_400000_NS6detail17trampoline_kernelINS0_14default_configENS1_38merge_sort_block_merge_config_selectorIiNS0_10empty_typeEEEZZNS1_27merge_sort_block_merge_implIS3_N6thrust23THRUST_200600_302600_NS6detail15normal_iteratorINS9_10device_ptrIiEEEEPS5_m11less_div_10IiEEE10hipError_tT0_T1_T2_jT3_P12ihipStream_tbPNSt15iterator_traitsISJ_E10value_typeEPNSP_ISK_E10value_typeEPSL_NS1_7vsmem_tEENKUlT_SJ_SK_SL_E_clISE_PiSF_SF_EESI_SY_SJ_SK_SL_EUlSY_E1_NS1_11comp_targetILNS1_3genE8ELNS1_11target_archE1030ELNS1_3gpuE2ELNS1_3repE0EEENS1_36merge_oddeven_config_static_selectorELNS0_4arch9wavefront6targetE0EEEvSK_,comdat
.Lfunc_end476:
	.size	_ZN7rocprim17ROCPRIM_400000_NS6detail17trampoline_kernelINS0_14default_configENS1_38merge_sort_block_merge_config_selectorIiNS0_10empty_typeEEEZZNS1_27merge_sort_block_merge_implIS3_N6thrust23THRUST_200600_302600_NS6detail15normal_iteratorINS9_10device_ptrIiEEEEPS5_m11less_div_10IiEEE10hipError_tT0_T1_T2_jT3_P12ihipStream_tbPNSt15iterator_traitsISJ_E10value_typeEPNSP_ISK_E10value_typeEPSL_NS1_7vsmem_tEENKUlT_SJ_SK_SL_E_clISE_PiSF_SF_EESI_SY_SJ_SK_SL_EUlSY_E1_NS1_11comp_targetILNS1_3genE8ELNS1_11target_archE1030ELNS1_3gpuE2ELNS1_3repE0EEENS1_36merge_oddeven_config_static_selectorELNS0_4arch9wavefront6targetE0EEEvSK_, .Lfunc_end476-_ZN7rocprim17ROCPRIM_400000_NS6detail17trampoline_kernelINS0_14default_configENS1_38merge_sort_block_merge_config_selectorIiNS0_10empty_typeEEEZZNS1_27merge_sort_block_merge_implIS3_N6thrust23THRUST_200600_302600_NS6detail15normal_iteratorINS9_10device_ptrIiEEEEPS5_m11less_div_10IiEEE10hipError_tT0_T1_T2_jT3_P12ihipStream_tbPNSt15iterator_traitsISJ_E10value_typeEPNSP_ISK_E10value_typeEPSL_NS1_7vsmem_tEENKUlT_SJ_SK_SL_E_clISE_PiSF_SF_EESI_SY_SJ_SK_SL_EUlSY_E1_NS1_11comp_targetILNS1_3genE8ELNS1_11target_archE1030ELNS1_3gpuE2ELNS1_3repE0EEENS1_36merge_oddeven_config_static_selectorELNS0_4arch9wavefront6targetE0EEEvSK_
                                        ; -- End function
	.set _ZN7rocprim17ROCPRIM_400000_NS6detail17trampoline_kernelINS0_14default_configENS1_38merge_sort_block_merge_config_selectorIiNS0_10empty_typeEEEZZNS1_27merge_sort_block_merge_implIS3_N6thrust23THRUST_200600_302600_NS6detail15normal_iteratorINS9_10device_ptrIiEEEEPS5_m11less_div_10IiEEE10hipError_tT0_T1_T2_jT3_P12ihipStream_tbPNSt15iterator_traitsISJ_E10value_typeEPNSP_ISK_E10value_typeEPSL_NS1_7vsmem_tEENKUlT_SJ_SK_SL_E_clISE_PiSF_SF_EESI_SY_SJ_SK_SL_EUlSY_E1_NS1_11comp_targetILNS1_3genE8ELNS1_11target_archE1030ELNS1_3gpuE2ELNS1_3repE0EEENS1_36merge_oddeven_config_static_selectorELNS0_4arch9wavefront6targetE0EEEvSK_.num_vgpr, 9
	.set _ZN7rocprim17ROCPRIM_400000_NS6detail17trampoline_kernelINS0_14default_configENS1_38merge_sort_block_merge_config_selectorIiNS0_10empty_typeEEEZZNS1_27merge_sort_block_merge_implIS3_N6thrust23THRUST_200600_302600_NS6detail15normal_iteratorINS9_10device_ptrIiEEEEPS5_m11less_div_10IiEEE10hipError_tT0_T1_T2_jT3_P12ihipStream_tbPNSt15iterator_traitsISJ_E10value_typeEPNSP_ISK_E10value_typeEPSL_NS1_7vsmem_tEENKUlT_SJ_SK_SL_E_clISE_PiSF_SF_EESI_SY_SJ_SK_SL_EUlSY_E1_NS1_11comp_targetILNS1_3genE8ELNS1_11target_archE1030ELNS1_3gpuE2ELNS1_3repE0EEENS1_36merge_oddeven_config_static_selectorELNS0_4arch9wavefront6targetE0EEEvSK_.num_agpr, 0
	.set _ZN7rocprim17ROCPRIM_400000_NS6detail17trampoline_kernelINS0_14default_configENS1_38merge_sort_block_merge_config_selectorIiNS0_10empty_typeEEEZZNS1_27merge_sort_block_merge_implIS3_N6thrust23THRUST_200600_302600_NS6detail15normal_iteratorINS9_10device_ptrIiEEEEPS5_m11less_div_10IiEEE10hipError_tT0_T1_T2_jT3_P12ihipStream_tbPNSt15iterator_traitsISJ_E10value_typeEPNSP_ISK_E10value_typeEPSL_NS1_7vsmem_tEENKUlT_SJ_SK_SL_E_clISE_PiSF_SF_EESI_SY_SJ_SK_SL_EUlSY_E1_NS1_11comp_targetILNS1_3genE8ELNS1_11target_archE1030ELNS1_3gpuE2ELNS1_3repE0EEENS1_36merge_oddeven_config_static_selectorELNS0_4arch9wavefront6targetE0EEEvSK_.numbered_sgpr, 16
	.set _ZN7rocprim17ROCPRIM_400000_NS6detail17trampoline_kernelINS0_14default_configENS1_38merge_sort_block_merge_config_selectorIiNS0_10empty_typeEEEZZNS1_27merge_sort_block_merge_implIS3_N6thrust23THRUST_200600_302600_NS6detail15normal_iteratorINS9_10device_ptrIiEEEEPS5_m11less_div_10IiEEE10hipError_tT0_T1_T2_jT3_P12ihipStream_tbPNSt15iterator_traitsISJ_E10value_typeEPNSP_ISK_E10value_typeEPSL_NS1_7vsmem_tEENKUlT_SJ_SK_SL_E_clISE_PiSF_SF_EESI_SY_SJ_SK_SL_EUlSY_E1_NS1_11comp_targetILNS1_3genE8ELNS1_11target_archE1030ELNS1_3gpuE2ELNS1_3repE0EEENS1_36merge_oddeven_config_static_selectorELNS0_4arch9wavefront6targetE0EEEvSK_.num_named_barrier, 0
	.set _ZN7rocprim17ROCPRIM_400000_NS6detail17trampoline_kernelINS0_14default_configENS1_38merge_sort_block_merge_config_selectorIiNS0_10empty_typeEEEZZNS1_27merge_sort_block_merge_implIS3_N6thrust23THRUST_200600_302600_NS6detail15normal_iteratorINS9_10device_ptrIiEEEEPS5_m11less_div_10IiEEE10hipError_tT0_T1_T2_jT3_P12ihipStream_tbPNSt15iterator_traitsISJ_E10value_typeEPNSP_ISK_E10value_typeEPSL_NS1_7vsmem_tEENKUlT_SJ_SK_SL_E_clISE_PiSF_SF_EESI_SY_SJ_SK_SL_EUlSY_E1_NS1_11comp_targetILNS1_3genE8ELNS1_11target_archE1030ELNS1_3gpuE2ELNS1_3repE0EEENS1_36merge_oddeven_config_static_selectorELNS0_4arch9wavefront6targetE0EEEvSK_.private_seg_size, 0
	.set _ZN7rocprim17ROCPRIM_400000_NS6detail17trampoline_kernelINS0_14default_configENS1_38merge_sort_block_merge_config_selectorIiNS0_10empty_typeEEEZZNS1_27merge_sort_block_merge_implIS3_N6thrust23THRUST_200600_302600_NS6detail15normal_iteratorINS9_10device_ptrIiEEEEPS5_m11less_div_10IiEEE10hipError_tT0_T1_T2_jT3_P12ihipStream_tbPNSt15iterator_traitsISJ_E10value_typeEPNSP_ISK_E10value_typeEPSL_NS1_7vsmem_tEENKUlT_SJ_SK_SL_E_clISE_PiSF_SF_EESI_SY_SJ_SK_SL_EUlSY_E1_NS1_11comp_targetILNS1_3genE8ELNS1_11target_archE1030ELNS1_3gpuE2ELNS1_3repE0EEENS1_36merge_oddeven_config_static_selectorELNS0_4arch9wavefront6targetE0EEEvSK_.uses_vcc, 1
	.set _ZN7rocprim17ROCPRIM_400000_NS6detail17trampoline_kernelINS0_14default_configENS1_38merge_sort_block_merge_config_selectorIiNS0_10empty_typeEEEZZNS1_27merge_sort_block_merge_implIS3_N6thrust23THRUST_200600_302600_NS6detail15normal_iteratorINS9_10device_ptrIiEEEEPS5_m11less_div_10IiEEE10hipError_tT0_T1_T2_jT3_P12ihipStream_tbPNSt15iterator_traitsISJ_E10value_typeEPNSP_ISK_E10value_typeEPSL_NS1_7vsmem_tEENKUlT_SJ_SK_SL_E_clISE_PiSF_SF_EESI_SY_SJ_SK_SL_EUlSY_E1_NS1_11comp_targetILNS1_3genE8ELNS1_11target_archE1030ELNS1_3gpuE2ELNS1_3repE0EEENS1_36merge_oddeven_config_static_selectorELNS0_4arch9wavefront6targetE0EEEvSK_.uses_flat_scratch, 0
	.set _ZN7rocprim17ROCPRIM_400000_NS6detail17trampoline_kernelINS0_14default_configENS1_38merge_sort_block_merge_config_selectorIiNS0_10empty_typeEEEZZNS1_27merge_sort_block_merge_implIS3_N6thrust23THRUST_200600_302600_NS6detail15normal_iteratorINS9_10device_ptrIiEEEEPS5_m11less_div_10IiEEE10hipError_tT0_T1_T2_jT3_P12ihipStream_tbPNSt15iterator_traitsISJ_E10value_typeEPNSP_ISK_E10value_typeEPSL_NS1_7vsmem_tEENKUlT_SJ_SK_SL_E_clISE_PiSF_SF_EESI_SY_SJ_SK_SL_EUlSY_E1_NS1_11comp_targetILNS1_3genE8ELNS1_11target_archE1030ELNS1_3gpuE2ELNS1_3repE0EEENS1_36merge_oddeven_config_static_selectorELNS0_4arch9wavefront6targetE0EEEvSK_.has_dyn_sized_stack, 0
	.set _ZN7rocprim17ROCPRIM_400000_NS6detail17trampoline_kernelINS0_14default_configENS1_38merge_sort_block_merge_config_selectorIiNS0_10empty_typeEEEZZNS1_27merge_sort_block_merge_implIS3_N6thrust23THRUST_200600_302600_NS6detail15normal_iteratorINS9_10device_ptrIiEEEEPS5_m11less_div_10IiEEE10hipError_tT0_T1_T2_jT3_P12ihipStream_tbPNSt15iterator_traitsISJ_E10value_typeEPNSP_ISK_E10value_typeEPSL_NS1_7vsmem_tEENKUlT_SJ_SK_SL_E_clISE_PiSF_SF_EESI_SY_SJ_SK_SL_EUlSY_E1_NS1_11comp_targetILNS1_3genE8ELNS1_11target_archE1030ELNS1_3gpuE2ELNS1_3repE0EEENS1_36merge_oddeven_config_static_selectorELNS0_4arch9wavefront6targetE0EEEvSK_.has_recursion, 0
	.set _ZN7rocprim17ROCPRIM_400000_NS6detail17trampoline_kernelINS0_14default_configENS1_38merge_sort_block_merge_config_selectorIiNS0_10empty_typeEEEZZNS1_27merge_sort_block_merge_implIS3_N6thrust23THRUST_200600_302600_NS6detail15normal_iteratorINS9_10device_ptrIiEEEEPS5_m11less_div_10IiEEE10hipError_tT0_T1_T2_jT3_P12ihipStream_tbPNSt15iterator_traitsISJ_E10value_typeEPNSP_ISK_E10value_typeEPSL_NS1_7vsmem_tEENKUlT_SJ_SK_SL_E_clISE_PiSF_SF_EESI_SY_SJ_SK_SL_EUlSY_E1_NS1_11comp_targetILNS1_3genE8ELNS1_11target_archE1030ELNS1_3gpuE2ELNS1_3repE0EEENS1_36merge_oddeven_config_static_selectorELNS0_4arch9wavefront6targetE0EEEvSK_.has_indirect_call, 0
	.section	.AMDGPU.csdata,"",@progbits
; Kernel info:
; codeLenInByte = 780
; TotalNumSgprs: 18
; NumVgprs: 9
; ScratchSize: 0
; MemoryBound: 0
; FloatMode: 240
; IeeeMode: 1
; LDSByteSize: 0 bytes/workgroup (compile time only)
; SGPRBlocks: 0
; VGPRBlocks: 1
; NumSGPRsForWavesPerEU: 18
; NumVGPRsForWavesPerEU: 9
; Occupancy: 16
; WaveLimiterHint : 0
; COMPUTE_PGM_RSRC2:SCRATCH_EN: 0
; COMPUTE_PGM_RSRC2:USER_SGPR: 6
; COMPUTE_PGM_RSRC2:TRAP_HANDLER: 0
; COMPUTE_PGM_RSRC2:TGID_X_EN: 1
; COMPUTE_PGM_RSRC2:TGID_Y_EN: 0
; COMPUTE_PGM_RSRC2:TGID_Z_EN: 0
; COMPUTE_PGM_RSRC2:TIDIG_COMP_CNT: 0
	.section	.text._ZN7rocprim17ROCPRIM_400000_NS6detail17trampoline_kernelINS0_14default_configENS1_25transform_config_selectorIiLb0EEEZNS1_14transform_implILb0ES3_S5_PiN6thrust23THRUST_200600_302600_NS6detail15normal_iteratorINS9_10device_ptrIiEEEENS0_8identityIiEEEE10hipError_tT2_T3_mT4_P12ihipStream_tbEUlT_E_NS1_11comp_targetILNS1_3genE0ELNS1_11target_archE4294967295ELNS1_3gpuE0ELNS1_3repE0EEENS1_30default_config_static_selectorELNS0_4arch9wavefront6targetE0EEEvT1_,"axG",@progbits,_ZN7rocprim17ROCPRIM_400000_NS6detail17trampoline_kernelINS0_14default_configENS1_25transform_config_selectorIiLb0EEEZNS1_14transform_implILb0ES3_S5_PiN6thrust23THRUST_200600_302600_NS6detail15normal_iteratorINS9_10device_ptrIiEEEENS0_8identityIiEEEE10hipError_tT2_T3_mT4_P12ihipStream_tbEUlT_E_NS1_11comp_targetILNS1_3genE0ELNS1_11target_archE4294967295ELNS1_3gpuE0ELNS1_3repE0EEENS1_30default_config_static_selectorELNS0_4arch9wavefront6targetE0EEEvT1_,comdat
	.protected	_ZN7rocprim17ROCPRIM_400000_NS6detail17trampoline_kernelINS0_14default_configENS1_25transform_config_selectorIiLb0EEEZNS1_14transform_implILb0ES3_S5_PiN6thrust23THRUST_200600_302600_NS6detail15normal_iteratorINS9_10device_ptrIiEEEENS0_8identityIiEEEE10hipError_tT2_T3_mT4_P12ihipStream_tbEUlT_E_NS1_11comp_targetILNS1_3genE0ELNS1_11target_archE4294967295ELNS1_3gpuE0ELNS1_3repE0EEENS1_30default_config_static_selectorELNS0_4arch9wavefront6targetE0EEEvT1_ ; -- Begin function _ZN7rocprim17ROCPRIM_400000_NS6detail17trampoline_kernelINS0_14default_configENS1_25transform_config_selectorIiLb0EEEZNS1_14transform_implILb0ES3_S5_PiN6thrust23THRUST_200600_302600_NS6detail15normal_iteratorINS9_10device_ptrIiEEEENS0_8identityIiEEEE10hipError_tT2_T3_mT4_P12ihipStream_tbEUlT_E_NS1_11comp_targetILNS1_3genE0ELNS1_11target_archE4294967295ELNS1_3gpuE0ELNS1_3repE0EEENS1_30default_config_static_selectorELNS0_4arch9wavefront6targetE0EEEvT1_
	.globl	_ZN7rocprim17ROCPRIM_400000_NS6detail17trampoline_kernelINS0_14default_configENS1_25transform_config_selectorIiLb0EEEZNS1_14transform_implILb0ES3_S5_PiN6thrust23THRUST_200600_302600_NS6detail15normal_iteratorINS9_10device_ptrIiEEEENS0_8identityIiEEEE10hipError_tT2_T3_mT4_P12ihipStream_tbEUlT_E_NS1_11comp_targetILNS1_3genE0ELNS1_11target_archE4294967295ELNS1_3gpuE0ELNS1_3repE0EEENS1_30default_config_static_selectorELNS0_4arch9wavefront6targetE0EEEvT1_
	.p2align	8
	.type	_ZN7rocprim17ROCPRIM_400000_NS6detail17trampoline_kernelINS0_14default_configENS1_25transform_config_selectorIiLb0EEEZNS1_14transform_implILb0ES3_S5_PiN6thrust23THRUST_200600_302600_NS6detail15normal_iteratorINS9_10device_ptrIiEEEENS0_8identityIiEEEE10hipError_tT2_T3_mT4_P12ihipStream_tbEUlT_E_NS1_11comp_targetILNS1_3genE0ELNS1_11target_archE4294967295ELNS1_3gpuE0ELNS1_3repE0EEENS1_30default_config_static_selectorELNS0_4arch9wavefront6targetE0EEEvT1_,@function
_ZN7rocprim17ROCPRIM_400000_NS6detail17trampoline_kernelINS0_14default_configENS1_25transform_config_selectorIiLb0EEEZNS1_14transform_implILb0ES3_S5_PiN6thrust23THRUST_200600_302600_NS6detail15normal_iteratorINS9_10device_ptrIiEEEENS0_8identityIiEEEE10hipError_tT2_T3_mT4_P12ihipStream_tbEUlT_E_NS1_11comp_targetILNS1_3genE0ELNS1_11target_archE4294967295ELNS1_3gpuE0ELNS1_3repE0EEENS1_30default_config_static_selectorELNS0_4arch9wavefront6targetE0EEEvT1_: ; @_ZN7rocprim17ROCPRIM_400000_NS6detail17trampoline_kernelINS0_14default_configENS1_25transform_config_selectorIiLb0EEEZNS1_14transform_implILb0ES3_S5_PiN6thrust23THRUST_200600_302600_NS6detail15normal_iteratorINS9_10device_ptrIiEEEENS0_8identityIiEEEE10hipError_tT2_T3_mT4_P12ihipStream_tbEUlT_E_NS1_11comp_targetILNS1_3genE0ELNS1_11target_archE4294967295ELNS1_3gpuE0ELNS1_3repE0EEENS1_30default_config_static_selectorELNS0_4arch9wavefront6targetE0EEEvT1_
; %bb.0:
	.section	.rodata,"a",@progbits
	.p2align	6, 0x0
	.amdhsa_kernel _ZN7rocprim17ROCPRIM_400000_NS6detail17trampoline_kernelINS0_14default_configENS1_25transform_config_selectorIiLb0EEEZNS1_14transform_implILb0ES3_S5_PiN6thrust23THRUST_200600_302600_NS6detail15normal_iteratorINS9_10device_ptrIiEEEENS0_8identityIiEEEE10hipError_tT2_T3_mT4_P12ihipStream_tbEUlT_E_NS1_11comp_targetILNS1_3genE0ELNS1_11target_archE4294967295ELNS1_3gpuE0ELNS1_3repE0EEENS1_30default_config_static_selectorELNS0_4arch9wavefront6targetE0EEEvT1_
		.amdhsa_group_segment_fixed_size 0
		.amdhsa_private_segment_fixed_size 0
		.amdhsa_kernarg_size 40
		.amdhsa_user_sgpr_count 6
		.amdhsa_user_sgpr_private_segment_buffer 1
		.amdhsa_user_sgpr_dispatch_ptr 0
		.amdhsa_user_sgpr_queue_ptr 0
		.amdhsa_user_sgpr_kernarg_segment_ptr 1
		.amdhsa_user_sgpr_dispatch_id 0
		.amdhsa_user_sgpr_flat_scratch_init 0
		.amdhsa_user_sgpr_private_segment_size 0
		.amdhsa_wavefront_size32 1
		.amdhsa_uses_dynamic_stack 0
		.amdhsa_system_sgpr_private_segment_wavefront_offset 0
		.amdhsa_system_sgpr_workgroup_id_x 1
		.amdhsa_system_sgpr_workgroup_id_y 0
		.amdhsa_system_sgpr_workgroup_id_z 0
		.amdhsa_system_sgpr_workgroup_info 0
		.amdhsa_system_vgpr_workitem_id 0
		.amdhsa_next_free_vgpr 1
		.amdhsa_next_free_sgpr 1
		.amdhsa_reserve_vcc 0
		.amdhsa_reserve_flat_scratch 0
		.amdhsa_float_round_mode_32 0
		.amdhsa_float_round_mode_16_64 0
		.amdhsa_float_denorm_mode_32 3
		.amdhsa_float_denorm_mode_16_64 3
		.amdhsa_dx10_clamp 1
		.amdhsa_ieee_mode 1
		.amdhsa_fp16_overflow 0
		.amdhsa_workgroup_processor_mode 1
		.amdhsa_memory_ordered 1
		.amdhsa_forward_progress 1
		.amdhsa_shared_vgpr_count 0
		.amdhsa_exception_fp_ieee_invalid_op 0
		.amdhsa_exception_fp_denorm_src 0
		.amdhsa_exception_fp_ieee_div_zero 0
		.amdhsa_exception_fp_ieee_overflow 0
		.amdhsa_exception_fp_ieee_underflow 0
		.amdhsa_exception_fp_ieee_inexact 0
		.amdhsa_exception_int_div_zero 0
	.end_amdhsa_kernel
	.section	.text._ZN7rocprim17ROCPRIM_400000_NS6detail17trampoline_kernelINS0_14default_configENS1_25transform_config_selectorIiLb0EEEZNS1_14transform_implILb0ES3_S5_PiN6thrust23THRUST_200600_302600_NS6detail15normal_iteratorINS9_10device_ptrIiEEEENS0_8identityIiEEEE10hipError_tT2_T3_mT4_P12ihipStream_tbEUlT_E_NS1_11comp_targetILNS1_3genE0ELNS1_11target_archE4294967295ELNS1_3gpuE0ELNS1_3repE0EEENS1_30default_config_static_selectorELNS0_4arch9wavefront6targetE0EEEvT1_,"axG",@progbits,_ZN7rocprim17ROCPRIM_400000_NS6detail17trampoline_kernelINS0_14default_configENS1_25transform_config_selectorIiLb0EEEZNS1_14transform_implILb0ES3_S5_PiN6thrust23THRUST_200600_302600_NS6detail15normal_iteratorINS9_10device_ptrIiEEEENS0_8identityIiEEEE10hipError_tT2_T3_mT4_P12ihipStream_tbEUlT_E_NS1_11comp_targetILNS1_3genE0ELNS1_11target_archE4294967295ELNS1_3gpuE0ELNS1_3repE0EEENS1_30default_config_static_selectorELNS0_4arch9wavefront6targetE0EEEvT1_,comdat
.Lfunc_end477:
	.size	_ZN7rocprim17ROCPRIM_400000_NS6detail17trampoline_kernelINS0_14default_configENS1_25transform_config_selectorIiLb0EEEZNS1_14transform_implILb0ES3_S5_PiN6thrust23THRUST_200600_302600_NS6detail15normal_iteratorINS9_10device_ptrIiEEEENS0_8identityIiEEEE10hipError_tT2_T3_mT4_P12ihipStream_tbEUlT_E_NS1_11comp_targetILNS1_3genE0ELNS1_11target_archE4294967295ELNS1_3gpuE0ELNS1_3repE0EEENS1_30default_config_static_selectorELNS0_4arch9wavefront6targetE0EEEvT1_, .Lfunc_end477-_ZN7rocprim17ROCPRIM_400000_NS6detail17trampoline_kernelINS0_14default_configENS1_25transform_config_selectorIiLb0EEEZNS1_14transform_implILb0ES3_S5_PiN6thrust23THRUST_200600_302600_NS6detail15normal_iteratorINS9_10device_ptrIiEEEENS0_8identityIiEEEE10hipError_tT2_T3_mT4_P12ihipStream_tbEUlT_E_NS1_11comp_targetILNS1_3genE0ELNS1_11target_archE4294967295ELNS1_3gpuE0ELNS1_3repE0EEENS1_30default_config_static_selectorELNS0_4arch9wavefront6targetE0EEEvT1_
                                        ; -- End function
	.set _ZN7rocprim17ROCPRIM_400000_NS6detail17trampoline_kernelINS0_14default_configENS1_25transform_config_selectorIiLb0EEEZNS1_14transform_implILb0ES3_S5_PiN6thrust23THRUST_200600_302600_NS6detail15normal_iteratorINS9_10device_ptrIiEEEENS0_8identityIiEEEE10hipError_tT2_T3_mT4_P12ihipStream_tbEUlT_E_NS1_11comp_targetILNS1_3genE0ELNS1_11target_archE4294967295ELNS1_3gpuE0ELNS1_3repE0EEENS1_30default_config_static_selectorELNS0_4arch9wavefront6targetE0EEEvT1_.num_vgpr, 0
	.set _ZN7rocprim17ROCPRIM_400000_NS6detail17trampoline_kernelINS0_14default_configENS1_25transform_config_selectorIiLb0EEEZNS1_14transform_implILb0ES3_S5_PiN6thrust23THRUST_200600_302600_NS6detail15normal_iteratorINS9_10device_ptrIiEEEENS0_8identityIiEEEE10hipError_tT2_T3_mT4_P12ihipStream_tbEUlT_E_NS1_11comp_targetILNS1_3genE0ELNS1_11target_archE4294967295ELNS1_3gpuE0ELNS1_3repE0EEENS1_30default_config_static_selectorELNS0_4arch9wavefront6targetE0EEEvT1_.num_agpr, 0
	.set _ZN7rocprim17ROCPRIM_400000_NS6detail17trampoline_kernelINS0_14default_configENS1_25transform_config_selectorIiLb0EEEZNS1_14transform_implILb0ES3_S5_PiN6thrust23THRUST_200600_302600_NS6detail15normal_iteratorINS9_10device_ptrIiEEEENS0_8identityIiEEEE10hipError_tT2_T3_mT4_P12ihipStream_tbEUlT_E_NS1_11comp_targetILNS1_3genE0ELNS1_11target_archE4294967295ELNS1_3gpuE0ELNS1_3repE0EEENS1_30default_config_static_selectorELNS0_4arch9wavefront6targetE0EEEvT1_.numbered_sgpr, 0
	.set _ZN7rocprim17ROCPRIM_400000_NS6detail17trampoline_kernelINS0_14default_configENS1_25transform_config_selectorIiLb0EEEZNS1_14transform_implILb0ES3_S5_PiN6thrust23THRUST_200600_302600_NS6detail15normal_iteratorINS9_10device_ptrIiEEEENS0_8identityIiEEEE10hipError_tT2_T3_mT4_P12ihipStream_tbEUlT_E_NS1_11comp_targetILNS1_3genE0ELNS1_11target_archE4294967295ELNS1_3gpuE0ELNS1_3repE0EEENS1_30default_config_static_selectorELNS0_4arch9wavefront6targetE0EEEvT1_.num_named_barrier, 0
	.set _ZN7rocprim17ROCPRIM_400000_NS6detail17trampoline_kernelINS0_14default_configENS1_25transform_config_selectorIiLb0EEEZNS1_14transform_implILb0ES3_S5_PiN6thrust23THRUST_200600_302600_NS6detail15normal_iteratorINS9_10device_ptrIiEEEENS0_8identityIiEEEE10hipError_tT2_T3_mT4_P12ihipStream_tbEUlT_E_NS1_11comp_targetILNS1_3genE0ELNS1_11target_archE4294967295ELNS1_3gpuE0ELNS1_3repE0EEENS1_30default_config_static_selectorELNS0_4arch9wavefront6targetE0EEEvT1_.private_seg_size, 0
	.set _ZN7rocprim17ROCPRIM_400000_NS6detail17trampoline_kernelINS0_14default_configENS1_25transform_config_selectorIiLb0EEEZNS1_14transform_implILb0ES3_S5_PiN6thrust23THRUST_200600_302600_NS6detail15normal_iteratorINS9_10device_ptrIiEEEENS0_8identityIiEEEE10hipError_tT2_T3_mT4_P12ihipStream_tbEUlT_E_NS1_11comp_targetILNS1_3genE0ELNS1_11target_archE4294967295ELNS1_3gpuE0ELNS1_3repE0EEENS1_30default_config_static_selectorELNS0_4arch9wavefront6targetE0EEEvT1_.uses_vcc, 0
	.set _ZN7rocprim17ROCPRIM_400000_NS6detail17trampoline_kernelINS0_14default_configENS1_25transform_config_selectorIiLb0EEEZNS1_14transform_implILb0ES3_S5_PiN6thrust23THRUST_200600_302600_NS6detail15normal_iteratorINS9_10device_ptrIiEEEENS0_8identityIiEEEE10hipError_tT2_T3_mT4_P12ihipStream_tbEUlT_E_NS1_11comp_targetILNS1_3genE0ELNS1_11target_archE4294967295ELNS1_3gpuE0ELNS1_3repE0EEENS1_30default_config_static_selectorELNS0_4arch9wavefront6targetE0EEEvT1_.uses_flat_scratch, 0
	.set _ZN7rocprim17ROCPRIM_400000_NS6detail17trampoline_kernelINS0_14default_configENS1_25transform_config_selectorIiLb0EEEZNS1_14transform_implILb0ES3_S5_PiN6thrust23THRUST_200600_302600_NS6detail15normal_iteratorINS9_10device_ptrIiEEEENS0_8identityIiEEEE10hipError_tT2_T3_mT4_P12ihipStream_tbEUlT_E_NS1_11comp_targetILNS1_3genE0ELNS1_11target_archE4294967295ELNS1_3gpuE0ELNS1_3repE0EEENS1_30default_config_static_selectorELNS0_4arch9wavefront6targetE0EEEvT1_.has_dyn_sized_stack, 0
	.set _ZN7rocprim17ROCPRIM_400000_NS6detail17trampoline_kernelINS0_14default_configENS1_25transform_config_selectorIiLb0EEEZNS1_14transform_implILb0ES3_S5_PiN6thrust23THRUST_200600_302600_NS6detail15normal_iteratorINS9_10device_ptrIiEEEENS0_8identityIiEEEE10hipError_tT2_T3_mT4_P12ihipStream_tbEUlT_E_NS1_11comp_targetILNS1_3genE0ELNS1_11target_archE4294967295ELNS1_3gpuE0ELNS1_3repE0EEENS1_30default_config_static_selectorELNS0_4arch9wavefront6targetE0EEEvT1_.has_recursion, 0
	.set _ZN7rocprim17ROCPRIM_400000_NS6detail17trampoline_kernelINS0_14default_configENS1_25transform_config_selectorIiLb0EEEZNS1_14transform_implILb0ES3_S5_PiN6thrust23THRUST_200600_302600_NS6detail15normal_iteratorINS9_10device_ptrIiEEEENS0_8identityIiEEEE10hipError_tT2_T3_mT4_P12ihipStream_tbEUlT_E_NS1_11comp_targetILNS1_3genE0ELNS1_11target_archE4294967295ELNS1_3gpuE0ELNS1_3repE0EEENS1_30default_config_static_selectorELNS0_4arch9wavefront6targetE0EEEvT1_.has_indirect_call, 0
	.section	.AMDGPU.csdata,"",@progbits
; Kernel info:
; codeLenInByte = 0
; TotalNumSgprs: 0
; NumVgprs: 0
; ScratchSize: 0
; MemoryBound: 0
; FloatMode: 240
; IeeeMode: 1
; LDSByteSize: 0 bytes/workgroup (compile time only)
; SGPRBlocks: 0
; VGPRBlocks: 0
; NumSGPRsForWavesPerEU: 1
; NumVGPRsForWavesPerEU: 1
; Occupancy: 16
; WaveLimiterHint : 0
; COMPUTE_PGM_RSRC2:SCRATCH_EN: 0
; COMPUTE_PGM_RSRC2:USER_SGPR: 6
; COMPUTE_PGM_RSRC2:TRAP_HANDLER: 0
; COMPUTE_PGM_RSRC2:TGID_X_EN: 1
; COMPUTE_PGM_RSRC2:TGID_Y_EN: 0
; COMPUTE_PGM_RSRC2:TGID_Z_EN: 0
; COMPUTE_PGM_RSRC2:TIDIG_COMP_CNT: 0
	.section	.text._ZN7rocprim17ROCPRIM_400000_NS6detail17trampoline_kernelINS0_14default_configENS1_25transform_config_selectorIiLb0EEEZNS1_14transform_implILb0ES3_S5_PiN6thrust23THRUST_200600_302600_NS6detail15normal_iteratorINS9_10device_ptrIiEEEENS0_8identityIiEEEE10hipError_tT2_T3_mT4_P12ihipStream_tbEUlT_E_NS1_11comp_targetILNS1_3genE5ELNS1_11target_archE942ELNS1_3gpuE9ELNS1_3repE0EEENS1_30default_config_static_selectorELNS0_4arch9wavefront6targetE0EEEvT1_,"axG",@progbits,_ZN7rocprim17ROCPRIM_400000_NS6detail17trampoline_kernelINS0_14default_configENS1_25transform_config_selectorIiLb0EEEZNS1_14transform_implILb0ES3_S5_PiN6thrust23THRUST_200600_302600_NS6detail15normal_iteratorINS9_10device_ptrIiEEEENS0_8identityIiEEEE10hipError_tT2_T3_mT4_P12ihipStream_tbEUlT_E_NS1_11comp_targetILNS1_3genE5ELNS1_11target_archE942ELNS1_3gpuE9ELNS1_3repE0EEENS1_30default_config_static_selectorELNS0_4arch9wavefront6targetE0EEEvT1_,comdat
	.protected	_ZN7rocprim17ROCPRIM_400000_NS6detail17trampoline_kernelINS0_14default_configENS1_25transform_config_selectorIiLb0EEEZNS1_14transform_implILb0ES3_S5_PiN6thrust23THRUST_200600_302600_NS6detail15normal_iteratorINS9_10device_ptrIiEEEENS0_8identityIiEEEE10hipError_tT2_T3_mT4_P12ihipStream_tbEUlT_E_NS1_11comp_targetILNS1_3genE5ELNS1_11target_archE942ELNS1_3gpuE9ELNS1_3repE0EEENS1_30default_config_static_selectorELNS0_4arch9wavefront6targetE0EEEvT1_ ; -- Begin function _ZN7rocprim17ROCPRIM_400000_NS6detail17trampoline_kernelINS0_14default_configENS1_25transform_config_selectorIiLb0EEEZNS1_14transform_implILb0ES3_S5_PiN6thrust23THRUST_200600_302600_NS6detail15normal_iteratorINS9_10device_ptrIiEEEENS0_8identityIiEEEE10hipError_tT2_T3_mT4_P12ihipStream_tbEUlT_E_NS1_11comp_targetILNS1_3genE5ELNS1_11target_archE942ELNS1_3gpuE9ELNS1_3repE0EEENS1_30default_config_static_selectorELNS0_4arch9wavefront6targetE0EEEvT1_
	.globl	_ZN7rocprim17ROCPRIM_400000_NS6detail17trampoline_kernelINS0_14default_configENS1_25transform_config_selectorIiLb0EEEZNS1_14transform_implILb0ES3_S5_PiN6thrust23THRUST_200600_302600_NS6detail15normal_iteratorINS9_10device_ptrIiEEEENS0_8identityIiEEEE10hipError_tT2_T3_mT4_P12ihipStream_tbEUlT_E_NS1_11comp_targetILNS1_3genE5ELNS1_11target_archE942ELNS1_3gpuE9ELNS1_3repE0EEENS1_30default_config_static_selectorELNS0_4arch9wavefront6targetE0EEEvT1_
	.p2align	8
	.type	_ZN7rocprim17ROCPRIM_400000_NS6detail17trampoline_kernelINS0_14default_configENS1_25transform_config_selectorIiLb0EEEZNS1_14transform_implILb0ES3_S5_PiN6thrust23THRUST_200600_302600_NS6detail15normal_iteratorINS9_10device_ptrIiEEEENS0_8identityIiEEEE10hipError_tT2_T3_mT4_P12ihipStream_tbEUlT_E_NS1_11comp_targetILNS1_3genE5ELNS1_11target_archE942ELNS1_3gpuE9ELNS1_3repE0EEENS1_30default_config_static_selectorELNS0_4arch9wavefront6targetE0EEEvT1_,@function
_ZN7rocprim17ROCPRIM_400000_NS6detail17trampoline_kernelINS0_14default_configENS1_25transform_config_selectorIiLb0EEEZNS1_14transform_implILb0ES3_S5_PiN6thrust23THRUST_200600_302600_NS6detail15normal_iteratorINS9_10device_ptrIiEEEENS0_8identityIiEEEE10hipError_tT2_T3_mT4_P12ihipStream_tbEUlT_E_NS1_11comp_targetILNS1_3genE5ELNS1_11target_archE942ELNS1_3gpuE9ELNS1_3repE0EEENS1_30default_config_static_selectorELNS0_4arch9wavefront6targetE0EEEvT1_: ; @_ZN7rocprim17ROCPRIM_400000_NS6detail17trampoline_kernelINS0_14default_configENS1_25transform_config_selectorIiLb0EEEZNS1_14transform_implILb0ES3_S5_PiN6thrust23THRUST_200600_302600_NS6detail15normal_iteratorINS9_10device_ptrIiEEEENS0_8identityIiEEEE10hipError_tT2_T3_mT4_P12ihipStream_tbEUlT_E_NS1_11comp_targetILNS1_3genE5ELNS1_11target_archE942ELNS1_3gpuE9ELNS1_3repE0EEENS1_30default_config_static_selectorELNS0_4arch9wavefront6targetE0EEEvT1_
; %bb.0:
	.section	.rodata,"a",@progbits
	.p2align	6, 0x0
	.amdhsa_kernel _ZN7rocprim17ROCPRIM_400000_NS6detail17trampoline_kernelINS0_14default_configENS1_25transform_config_selectorIiLb0EEEZNS1_14transform_implILb0ES3_S5_PiN6thrust23THRUST_200600_302600_NS6detail15normal_iteratorINS9_10device_ptrIiEEEENS0_8identityIiEEEE10hipError_tT2_T3_mT4_P12ihipStream_tbEUlT_E_NS1_11comp_targetILNS1_3genE5ELNS1_11target_archE942ELNS1_3gpuE9ELNS1_3repE0EEENS1_30default_config_static_selectorELNS0_4arch9wavefront6targetE0EEEvT1_
		.amdhsa_group_segment_fixed_size 0
		.amdhsa_private_segment_fixed_size 0
		.amdhsa_kernarg_size 40
		.amdhsa_user_sgpr_count 6
		.amdhsa_user_sgpr_private_segment_buffer 1
		.amdhsa_user_sgpr_dispatch_ptr 0
		.amdhsa_user_sgpr_queue_ptr 0
		.amdhsa_user_sgpr_kernarg_segment_ptr 1
		.amdhsa_user_sgpr_dispatch_id 0
		.amdhsa_user_sgpr_flat_scratch_init 0
		.amdhsa_user_sgpr_private_segment_size 0
		.amdhsa_wavefront_size32 1
		.amdhsa_uses_dynamic_stack 0
		.amdhsa_system_sgpr_private_segment_wavefront_offset 0
		.amdhsa_system_sgpr_workgroup_id_x 1
		.amdhsa_system_sgpr_workgroup_id_y 0
		.amdhsa_system_sgpr_workgroup_id_z 0
		.amdhsa_system_sgpr_workgroup_info 0
		.amdhsa_system_vgpr_workitem_id 0
		.amdhsa_next_free_vgpr 1
		.amdhsa_next_free_sgpr 1
		.amdhsa_reserve_vcc 0
		.amdhsa_reserve_flat_scratch 0
		.amdhsa_float_round_mode_32 0
		.amdhsa_float_round_mode_16_64 0
		.amdhsa_float_denorm_mode_32 3
		.amdhsa_float_denorm_mode_16_64 3
		.amdhsa_dx10_clamp 1
		.amdhsa_ieee_mode 1
		.amdhsa_fp16_overflow 0
		.amdhsa_workgroup_processor_mode 1
		.amdhsa_memory_ordered 1
		.amdhsa_forward_progress 1
		.amdhsa_shared_vgpr_count 0
		.amdhsa_exception_fp_ieee_invalid_op 0
		.amdhsa_exception_fp_denorm_src 0
		.amdhsa_exception_fp_ieee_div_zero 0
		.amdhsa_exception_fp_ieee_overflow 0
		.amdhsa_exception_fp_ieee_underflow 0
		.amdhsa_exception_fp_ieee_inexact 0
		.amdhsa_exception_int_div_zero 0
	.end_amdhsa_kernel
	.section	.text._ZN7rocprim17ROCPRIM_400000_NS6detail17trampoline_kernelINS0_14default_configENS1_25transform_config_selectorIiLb0EEEZNS1_14transform_implILb0ES3_S5_PiN6thrust23THRUST_200600_302600_NS6detail15normal_iteratorINS9_10device_ptrIiEEEENS0_8identityIiEEEE10hipError_tT2_T3_mT4_P12ihipStream_tbEUlT_E_NS1_11comp_targetILNS1_3genE5ELNS1_11target_archE942ELNS1_3gpuE9ELNS1_3repE0EEENS1_30default_config_static_selectorELNS0_4arch9wavefront6targetE0EEEvT1_,"axG",@progbits,_ZN7rocprim17ROCPRIM_400000_NS6detail17trampoline_kernelINS0_14default_configENS1_25transform_config_selectorIiLb0EEEZNS1_14transform_implILb0ES3_S5_PiN6thrust23THRUST_200600_302600_NS6detail15normal_iteratorINS9_10device_ptrIiEEEENS0_8identityIiEEEE10hipError_tT2_T3_mT4_P12ihipStream_tbEUlT_E_NS1_11comp_targetILNS1_3genE5ELNS1_11target_archE942ELNS1_3gpuE9ELNS1_3repE0EEENS1_30default_config_static_selectorELNS0_4arch9wavefront6targetE0EEEvT1_,comdat
.Lfunc_end478:
	.size	_ZN7rocprim17ROCPRIM_400000_NS6detail17trampoline_kernelINS0_14default_configENS1_25transform_config_selectorIiLb0EEEZNS1_14transform_implILb0ES3_S5_PiN6thrust23THRUST_200600_302600_NS6detail15normal_iteratorINS9_10device_ptrIiEEEENS0_8identityIiEEEE10hipError_tT2_T3_mT4_P12ihipStream_tbEUlT_E_NS1_11comp_targetILNS1_3genE5ELNS1_11target_archE942ELNS1_3gpuE9ELNS1_3repE0EEENS1_30default_config_static_selectorELNS0_4arch9wavefront6targetE0EEEvT1_, .Lfunc_end478-_ZN7rocprim17ROCPRIM_400000_NS6detail17trampoline_kernelINS0_14default_configENS1_25transform_config_selectorIiLb0EEEZNS1_14transform_implILb0ES3_S5_PiN6thrust23THRUST_200600_302600_NS6detail15normal_iteratorINS9_10device_ptrIiEEEENS0_8identityIiEEEE10hipError_tT2_T3_mT4_P12ihipStream_tbEUlT_E_NS1_11comp_targetILNS1_3genE5ELNS1_11target_archE942ELNS1_3gpuE9ELNS1_3repE0EEENS1_30default_config_static_selectorELNS0_4arch9wavefront6targetE0EEEvT1_
                                        ; -- End function
	.set _ZN7rocprim17ROCPRIM_400000_NS6detail17trampoline_kernelINS0_14default_configENS1_25transform_config_selectorIiLb0EEEZNS1_14transform_implILb0ES3_S5_PiN6thrust23THRUST_200600_302600_NS6detail15normal_iteratorINS9_10device_ptrIiEEEENS0_8identityIiEEEE10hipError_tT2_T3_mT4_P12ihipStream_tbEUlT_E_NS1_11comp_targetILNS1_3genE5ELNS1_11target_archE942ELNS1_3gpuE9ELNS1_3repE0EEENS1_30default_config_static_selectorELNS0_4arch9wavefront6targetE0EEEvT1_.num_vgpr, 0
	.set _ZN7rocprim17ROCPRIM_400000_NS6detail17trampoline_kernelINS0_14default_configENS1_25transform_config_selectorIiLb0EEEZNS1_14transform_implILb0ES3_S5_PiN6thrust23THRUST_200600_302600_NS6detail15normal_iteratorINS9_10device_ptrIiEEEENS0_8identityIiEEEE10hipError_tT2_T3_mT4_P12ihipStream_tbEUlT_E_NS1_11comp_targetILNS1_3genE5ELNS1_11target_archE942ELNS1_3gpuE9ELNS1_3repE0EEENS1_30default_config_static_selectorELNS0_4arch9wavefront6targetE0EEEvT1_.num_agpr, 0
	.set _ZN7rocprim17ROCPRIM_400000_NS6detail17trampoline_kernelINS0_14default_configENS1_25transform_config_selectorIiLb0EEEZNS1_14transform_implILb0ES3_S5_PiN6thrust23THRUST_200600_302600_NS6detail15normal_iteratorINS9_10device_ptrIiEEEENS0_8identityIiEEEE10hipError_tT2_T3_mT4_P12ihipStream_tbEUlT_E_NS1_11comp_targetILNS1_3genE5ELNS1_11target_archE942ELNS1_3gpuE9ELNS1_3repE0EEENS1_30default_config_static_selectorELNS0_4arch9wavefront6targetE0EEEvT1_.numbered_sgpr, 0
	.set _ZN7rocprim17ROCPRIM_400000_NS6detail17trampoline_kernelINS0_14default_configENS1_25transform_config_selectorIiLb0EEEZNS1_14transform_implILb0ES3_S5_PiN6thrust23THRUST_200600_302600_NS6detail15normal_iteratorINS9_10device_ptrIiEEEENS0_8identityIiEEEE10hipError_tT2_T3_mT4_P12ihipStream_tbEUlT_E_NS1_11comp_targetILNS1_3genE5ELNS1_11target_archE942ELNS1_3gpuE9ELNS1_3repE0EEENS1_30default_config_static_selectorELNS0_4arch9wavefront6targetE0EEEvT1_.num_named_barrier, 0
	.set _ZN7rocprim17ROCPRIM_400000_NS6detail17trampoline_kernelINS0_14default_configENS1_25transform_config_selectorIiLb0EEEZNS1_14transform_implILb0ES3_S5_PiN6thrust23THRUST_200600_302600_NS6detail15normal_iteratorINS9_10device_ptrIiEEEENS0_8identityIiEEEE10hipError_tT2_T3_mT4_P12ihipStream_tbEUlT_E_NS1_11comp_targetILNS1_3genE5ELNS1_11target_archE942ELNS1_3gpuE9ELNS1_3repE0EEENS1_30default_config_static_selectorELNS0_4arch9wavefront6targetE0EEEvT1_.private_seg_size, 0
	.set _ZN7rocprim17ROCPRIM_400000_NS6detail17trampoline_kernelINS0_14default_configENS1_25transform_config_selectorIiLb0EEEZNS1_14transform_implILb0ES3_S5_PiN6thrust23THRUST_200600_302600_NS6detail15normal_iteratorINS9_10device_ptrIiEEEENS0_8identityIiEEEE10hipError_tT2_T3_mT4_P12ihipStream_tbEUlT_E_NS1_11comp_targetILNS1_3genE5ELNS1_11target_archE942ELNS1_3gpuE9ELNS1_3repE0EEENS1_30default_config_static_selectorELNS0_4arch9wavefront6targetE0EEEvT1_.uses_vcc, 0
	.set _ZN7rocprim17ROCPRIM_400000_NS6detail17trampoline_kernelINS0_14default_configENS1_25transform_config_selectorIiLb0EEEZNS1_14transform_implILb0ES3_S5_PiN6thrust23THRUST_200600_302600_NS6detail15normal_iteratorINS9_10device_ptrIiEEEENS0_8identityIiEEEE10hipError_tT2_T3_mT4_P12ihipStream_tbEUlT_E_NS1_11comp_targetILNS1_3genE5ELNS1_11target_archE942ELNS1_3gpuE9ELNS1_3repE0EEENS1_30default_config_static_selectorELNS0_4arch9wavefront6targetE0EEEvT1_.uses_flat_scratch, 0
	.set _ZN7rocprim17ROCPRIM_400000_NS6detail17trampoline_kernelINS0_14default_configENS1_25transform_config_selectorIiLb0EEEZNS1_14transform_implILb0ES3_S5_PiN6thrust23THRUST_200600_302600_NS6detail15normal_iteratorINS9_10device_ptrIiEEEENS0_8identityIiEEEE10hipError_tT2_T3_mT4_P12ihipStream_tbEUlT_E_NS1_11comp_targetILNS1_3genE5ELNS1_11target_archE942ELNS1_3gpuE9ELNS1_3repE0EEENS1_30default_config_static_selectorELNS0_4arch9wavefront6targetE0EEEvT1_.has_dyn_sized_stack, 0
	.set _ZN7rocprim17ROCPRIM_400000_NS6detail17trampoline_kernelINS0_14default_configENS1_25transform_config_selectorIiLb0EEEZNS1_14transform_implILb0ES3_S5_PiN6thrust23THRUST_200600_302600_NS6detail15normal_iteratorINS9_10device_ptrIiEEEENS0_8identityIiEEEE10hipError_tT2_T3_mT4_P12ihipStream_tbEUlT_E_NS1_11comp_targetILNS1_3genE5ELNS1_11target_archE942ELNS1_3gpuE9ELNS1_3repE0EEENS1_30default_config_static_selectorELNS0_4arch9wavefront6targetE0EEEvT1_.has_recursion, 0
	.set _ZN7rocprim17ROCPRIM_400000_NS6detail17trampoline_kernelINS0_14default_configENS1_25transform_config_selectorIiLb0EEEZNS1_14transform_implILb0ES3_S5_PiN6thrust23THRUST_200600_302600_NS6detail15normal_iteratorINS9_10device_ptrIiEEEENS0_8identityIiEEEE10hipError_tT2_T3_mT4_P12ihipStream_tbEUlT_E_NS1_11comp_targetILNS1_3genE5ELNS1_11target_archE942ELNS1_3gpuE9ELNS1_3repE0EEENS1_30default_config_static_selectorELNS0_4arch9wavefront6targetE0EEEvT1_.has_indirect_call, 0
	.section	.AMDGPU.csdata,"",@progbits
; Kernel info:
; codeLenInByte = 0
; TotalNumSgprs: 0
; NumVgprs: 0
; ScratchSize: 0
; MemoryBound: 0
; FloatMode: 240
; IeeeMode: 1
; LDSByteSize: 0 bytes/workgroup (compile time only)
; SGPRBlocks: 0
; VGPRBlocks: 0
; NumSGPRsForWavesPerEU: 1
; NumVGPRsForWavesPerEU: 1
; Occupancy: 16
; WaveLimiterHint : 0
; COMPUTE_PGM_RSRC2:SCRATCH_EN: 0
; COMPUTE_PGM_RSRC2:USER_SGPR: 6
; COMPUTE_PGM_RSRC2:TRAP_HANDLER: 0
; COMPUTE_PGM_RSRC2:TGID_X_EN: 1
; COMPUTE_PGM_RSRC2:TGID_Y_EN: 0
; COMPUTE_PGM_RSRC2:TGID_Z_EN: 0
; COMPUTE_PGM_RSRC2:TIDIG_COMP_CNT: 0
	.section	.text._ZN7rocprim17ROCPRIM_400000_NS6detail17trampoline_kernelINS0_14default_configENS1_25transform_config_selectorIiLb0EEEZNS1_14transform_implILb0ES3_S5_PiN6thrust23THRUST_200600_302600_NS6detail15normal_iteratorINS9_10device_ptrIiEEEENS0_8identityIiEEEE10hipError_tT2_T3_mT4_P12ihipStream_tbEUlT_E_NS1_11comp_targetILNS1_3genE4ELNS1_11target_archE910ELNS1_3gpuE8ELNS1_3repE0EEENS1_30default_config_static_selectorELNS0_4arch9wavefront6targetE0EEEvT1_,"axG",@progbits,_ZN7rocprim17ROCPRIM_400000_NS6detail17trampoline_kernelINS0_14default_configENS1_25transform_config_selectorIiLb0EEEZNS1_14transform_implILb0ES3_S5_PiN6thrust23THRUST_200600_302600_NS6detail15normal_iteratorINS9_10device_ptrIiEEEENS0_8identityIiEEEE10hipError_tT2_T3_mT4_P12ihipStream_tbEUlT_E_NS1_11comp_targetILNS1_3genE4ELNS1_11target_archE910ELNS1_3gpuE8ELNS1_3repE0EEENS1_30default_config_static_selectorELNS0_4arch9wavefront6targetE0EEEvT1_,comdat
	.protected	_ZN7rocprim17ROCPRIM_400000_NS6detail17trampoline_kernelINS0_14default_configENS1_25transform_config_selectorIiLb0EEEZNS1_14transform_implILb0ES3_S5_PiN6thrust23THRUST_200600_302600_NS6detail15normal_iteratorINS9_10device_ptrIiEEEENS0_8identityIiEEEE10hipError_tT2_T3_mT4_P12ihipStream_tbEUlT_E_NS1_11comp_targetILNS1_3genE4ELNS1_11target_archE910ELNS1_3gpuE8ELNS1_3repE0EEENS1_30default_config_static_selectorELNS0_4arch9wavefront6targetE0EEEvT1_ ; -- Begin function _ZN7rocprim17ROCPRIM_400000_NS6detail17trampoline_kernelINS0_14default_configENS1_25transform_config_selectorIiLb0EEEZNS1_14transform_implILb0ES3_S5_PiN6thrust23THRUST_200600_302600_NS6detail15normal_iteratorINS9_10device_ptrIiEEEENS0_8identityIiEEEE10hipError_tT2_T3_mT4_P12ihipStream_tbEUlT_E_NS1_11comp_targetILNS1_3genE4ELNS1_11target_archE910ELNS1_3gpuE8ELNS1_3repE0EEENS1_30default_config_static_selectorELNS0_4arch9wavefront6targetE0EEEvT1_
	.globl	_ZN7rocprim17ROCPRIM_400000_NS6detail17trampoline_kernelINS0_14default_configENS1_25transform_config_selectorIiLb0EEEZNS1_14transform_implILb0ES3_S5_PiN6thrust23THRUST_200600_302600_NS6detail15normal_iteratorINS9_10device_ptrIiEEEENS0_8identityIiEEEE10hipError_tT2_T3_mT4_P12ihipStream_tbEUlT_E_NS1_11comp_targetILNS1_3genE4ELNS1_11target_archE910ELNS1_3gpuE8ELNS1_3repE0EEENS1_30default_config_static_selectorELNS0_4arch9wavefront6targetE0EEEvT1_
	.p2align	8
	.type	_ZN7rocprim17ROCPRIM_400000_NS6detail17trampoline_kernelINS0_14default_configENS1_25transform_config_selectorIiLb0EEEZNS1_14transform_implILb0ES3_S5_PiN6thrust23THRUST_200600_302600_NS6detail15normal_iteratorINS9_10device_ptrIiEEEENS0_8identityIiEEEE10hipError_tT2_T3_mT4_P12ihipStream_tbEUlT_E_NS1_11comp_targetILNS1_3genE4ELNS1_11target_archE910ELNS1_3gpuE8ELNS1_3repE0EEENS1_30default_config_static_selectorELNS0_4arch9wavefront6targetE0EEEvT1_,@function
_ZN7rocprim17ROCPRIM_400000_NS6detail17trampoline_kernelINS0_14default_configENS1_25transform_config_selectorIiLb0EEEZNS1_14transform_implILb0ES3_S5_PiN6thrust23THRUST_200600_302600_NS6detail15normal_iteratorINS9_10device_ptrIiEEEENS0_8identityIiEEEE10hipError_tT2_T3_mT4_P12ihipStream_tbEUlT_E_NS1_11comp_targetILNS1_3genE4ELNS1_11target_archE910ELNS1_3gpuE8ELNS1_3repE0EEENS1_30default_config_static_selectorELNS0_4arch9wavefront6targetE0EEEvT1_: ; @_ZN7rocprim17ROCPRIM_400000_NS6detail17trampoline_kernelINS0_14default_configENS1_25transform_config_selectorIiLb0EEEZNS1_14transform_implILb0ES3_S5_PiN6thrust23THRUST_200600_302600_NS6detail15normal_iteratorINS9_10device_ptrIiEEEENS0_8identityIiEEEE10hipError_tT2_T3_mT4_P12ihipStream_tbEUlT_E_NS1_11comp_targetILNS1_3genE4ELNS1_11target_archE910ELNS1_3gpuE8ELNS1_3repE0EEENS1_30default_config_static_selectorELNS0_4arch9wavefront6targetE0EEEvT1_
; %bb.0:
	.section	.rodata,"a",@progbits
	.p2align	6, 0x0
	.amdhsa_kernel _ZN7rocprim17ROCPRIM_400000_NS6detail17trampoline_kernelINS0_14default_configENS1_25transform_config_selectorIiLb0EEEZNS1_14transform_implILb0ES3_S5_PiN6thrust23THRUST_200600_302600_NS6detail15normal_iteratorINS9_10device_ptrIiEEEENS0_8identityIiEEEE10hipError_tT2_T3_mT4_P12ihipStream_tbEUlT_E_NS1_11comp_targetILNS1_3genE4ELNS1_11target_archE910ELNS1_3gpuE8ELNS1_3repE0EEENS1_30default_config_static_selectorELNS0_4arch9wavefront6targetE0EEEvT1_
		.amdhsa_group_segment_fixed_size 0
		.amdhsa_private_segment_fixed_size 0
		.amdhsa_kernarg_size 40
		.amdhsa_user_sgpr_count 6
		.amdhsa_user_sgpr_private_segment_buffer 1
		.amdhsa_user_sgpr_dispatch_ptr 0
		.amdhsa_user_sgpr_queue_ptr 0
		.amdhsa_user_sgpr_kernarg_segment_ptr 1
		.amdhsa_user_sgpr_dispatch_id 0
		.amdhsa_user_sgpr_flat_scratch_init 0
		.amdhsa_user_sgpr_private_segment_size 0
		.amdhsa_wavefront_size32 1
		.amdhsa_uses_dynamic_stack 0
		.amdhsa_system_sgpr_private_segment_wavefront_offset 0
		.amdhsa_system_sgpr_workgroup_id_x 1
		.amdhsa_system_sgpr_workgroup_id_y 0
		.amdhsa_system_sgpr_workgroup_id_z 0
		.amdhsa_system_sgpr_workgroup_info 0
		.amdhsa_system_vgpr_workitem_id 0
		.amdhsa_next_free_vgpr 1
		.amdhsa_next_free_sgpr 1
		.amdhsa_reserve_vcc 0
		.amdhsa_reserve_flat_scratch 0
		.amdhsa_float_round_mode_32 0
		.amdhsa_float_round_mode_16_64 0
		.amdhsa_float_denorm_mode_32 3
		.amdhsa_float_denorm_mode_16_64 3
		.amdhsa_dx10_clamp 1
		.amdhsa_ieee_mode 1
		.amdhsa_fp16_overflow 0
		.amdhsa_workgroup_processor_mode 1
		.amdhsa_memory_ordered 1
		.amdhsa_forward_progress 1
		.amdhsa_shared_vgpr_count 0
		.amdhsa_exception_fp_ieee_invalid_op 0
		.amdhsa_exception_fp_denorm_src 0
		.amdhsa_exception_fp_ieee_div_zero 0
		.amdhsa_exception_fp_ieee_overflow 0
		.amdhsa_exception_fp_ieee_underflow 0
		.amdhsa_exception_fp_ieee_inexact 0
		.amdhsa_exception_int_div_zero 0
	.end_amdhsa_kernel
	.section	.text._ZN7rocprim17ROCPRIM_400000_NS6detail17trampoline_kernelINS0_14default_configENS1_25transform_config_selectorIiLb0EEEZNS1_14transform_implILb0ES3_S5_PiN6thrust23THRUST_200600_302600_NS6detail15normal_iteratorINS9_10device_ptrIiEEEENS0_8identityIiEEEE10hipError_tT2_T3_mT4_P12ihipStream_tbEUlT_E_NS1_11comp_targetILNS1_3genE4ELNS1_11target_archE910ELNS1_3gpuE8ELNS1_3repE0EEENS1_30default_config_static_selectorELNS0_4arch9wavefront6targetE0EEEvT1_,"axG",@progbits,_ZN7rocprim17ROCPRIM_400000_NS6detail17trampoline_kernelINS0_14default_configENS1_25transform_config_selectorIiLb0EEEZNS1_14transform_implILb0ES3_S5_PiN6thrust23THRUST_200600_302600_NS6detail15normal_iteratorINS9_10device_ptrIiEEEENS0_8identityIiEEEE10hipError_tT2_T3_mT4_P12ihipStream_tbEUlT_E_NS1_11comp_targetILNS1_3genE4ELNS1_11target_archE910ELNS1_3gpuE8ELNS1_3repE0EEENS1_30default_config_static_selectorELNS0_4arch9wavefront6targetE0EEEvT1_,comdat
.Lfunc_end479:
	.size	_ZN7rocprim17ROCPRIM_400000_NS6detail17trampoline_kernelINS0_14default_configENS1_25transform_config_selectorIiLb0EEEZNS1_14transform_implILb0ES3_S5_PiN6thrust23THRUST_200600_302600_NS6detail15normal_iteratorINS9_10device_ptrIiEEEENS0_8identityIiEEEE10hipError_tT2_T3_mT4_P12ihipStream_tbEUlT_E_NS1_11comp_targetILNS1_3genE4ELNS1_11target_archE910ELNS1_3gpuE8ELNS1_3repE0EEENS1_30default_config_static_selectorELNS0_4arch9wavefront6targetE0EEEvT1_, .Lfunc_end479-_ZN7rocprim17ROCPRIM_400000_NS6detail17trampoline_kernelINS0_14default_configENS1_25transform_config_selectorIiLb0EEEZNS1_14transform_implILb0ES3_S5_PiN6thrust23THRUST_200600_302600_NS6detail15normal_iteratorINS9_10device_ptrIiEEEENS0_8identityIiEEEE10hipError_tT2_T3_mT4_P12ihipStream_tbEUlT_E_NS1_11comp_targetILNS1_3genE4ELNS1_11target_archE910ELNS1_3gpuE8ELNS1_3repE0EEENS1_30default_config_static_selectorELNS0_4arch9wavefront6targetE0EEEvT1_
                                        ; -- End function
	.set _ZN7rocprim17ROCPRIM_400000_NS6detail17trampoline_kernelINS0_14default_configENS1_25transform_config_selectorIiLb0EEEZNS1_14transform_implILb0ES3_S5_PiN6thrust23THRUST_200600_302600_NS6detail15normal_iteratorINS9_10device_ptrIiEEEENS0_8identityIiEEEE10hipError_tT2_T3_mT4_P12ihipStream_tbEUlT_E_NS1_11comp_targetILNS1_3genE4ELNS1_11target_archE910ELNS1_3gpuE8ELNS1_3repE0EEENS1_30default_config_static_selectorELNS0_4arch9wavefront6targetE0EEEvT1_.num_vgpr, 0
	.set _ZN7rocprim17ROCPRIM_400000_NS6detail17trampoline_kernelINS0_14default_configENS1_25transform_config_selectorIiLb0EEEZNS1_14transform_implILb0ES3_S5_PiN6thrust23THRUST_200600_302600_NS6detail15normal_iteratorINS9_10device_ptrIiEEEENS0_8identityIiEEEE10hipError_tT2_T3_mT4_P12ihipStream_tbEUlT_E_NS1_11comp_targetILNS1_3genE4ELNS1_11target_archE910ELNS1_3gpuE8ELNS1_3repE0EEENS1_30default_config_static_selectorELNS0_4arch9wavefront6targetE0EEEvT1_.num_agpr, 0
	.set _ZN7rocprim17ROCPRIM_400000_NS6detail17trampoline_kernelINS0_14default_configENS1_25transform_config_selectorIiLb0EEEZNS1_14transform_implILb0ES3_S5_PiN6thrust23THRUST_200600_302600_NS6detail15normal_iteratorINS9_10device_ptrIiEEEENS0_8identityIiEEEE10hipError_tT2_T3_mT4_P12ihipStream_tbEUlT_E_NS1_11comp_targetILNS1_3genE4ELNS1_11target_archE910ELNS1_3gpuE8ELNS1_3repE0EEENS1_30default_config_static_selectorELNS0_4arch9wavefront6targetE0EEEvT1_.numbered_sgpr, 0
	.set _ZN7rocprim17ROCPRIM_400000_NS6detail17trampoline_kernelINS0_14default_configENS1_25transform_config_selectorIiLb0EEEZNS1_14transform_implILb0ES3_S5_PiN6thrust23THRUST_200600_302600_NS6detail15normal_iteratorINS9_10device_ptrIiEEEENS0_8identityIiEEEE10hipError_tT2_T3_mT4_P12ihipStream_tbEUlT_E_NS1_11comp_targetILNS1_3genE4ELNS1_11target_archE910ELNS1_3gpuE8ELNS1_3repE0EEENS1_30default_config_static_selectorELNS0_4arch9wavefront6targetE0EEEvT1_.num_named_barrier, 0
	.set _ZN7rocprim17ROCPRIM_400000_NS6detail17trampoline_kernelINS0_14default_configENS1_25transform_config_selectorIiLb0EEEZNS1_14transform_implILb0ES3_S5_PiN6thrust23THRUST_200600_302600_NS6detail15normal_iteratorINS9_10device_ptrIiEEEENS0_8identityIiEEEE10hipError_tT2_T3_mT4_P12ihipStream_tbEUlT_E_NS1_11comp_targetILNS1_3genE4ELNS1_11target_archE910ELNS1_3gpuE8ELNS1_3repE0EEENS1_30default_config_static_selectorELNS0_4arch9wavefront6targetE0EEEvT1_.private_seg_size, 0
	.set _ZN7rocprim17ROCPRIM_400000_NS6detail17trampoline_kernelINS0_14default_configENS1_25transform_config_selectorIiLb0EEEZNS1_14transform_implILb0ES3_S5_PiN6thrust23THRUST_200600_302600_NS6detail15normal_iteratorINS9_10device_ptrIiEEEENS0_8identityIiEEEE10hipError_tT2_T3_mT4_P12ihipStream_tbEUlT_E_NS1_11comp_targetILNS1_3genE4ELNS1_11target_archE910ELNS1_3gpuE8ELNS1_3repE0EEENS1_30default_config_static_selectorELNS0_4arch9wavefront6targetE0EEEvT1_.uses_vcc, 0
	.set _ZN7rocprim17ROCPRIM_400000_NS6detail17trampoline_kernelINS0_14default_configENS1_25transform_config_selectorIiLb0EEEZNS1_14transform_implILb0ES3_S5_PiN6thrust23THRUST_200600_302600_NS6detail15normal_iteratorINS9_10device_ptrIiEEEENS0_8identityIiEEEE10hipError_tT2_T3_mT4_P12ihipStream_tbEUlT_E_NS1_11comp_targetILNS1_3genE4ELNS1_11target_archE910ELNS1_3gpuE8ELNS1_3repE0EEENS1_30default_config_static_selectorELNS0_4arch9wavefront6targetE0EEEvT1_.uses_flat_scratch, 0
	.set _ZN7rocprim17ROCPRIM_400000_NS6detail17trampoline_kernelINS0_14default_configENS1_25transform_config_selectorIiLb0EEEZNS1_14transform_implILb0ES3_S5_PiN6thrust23THRUST_200600_302600_NS6detail15normal_iteratorINS9_10device_ptrIiEEEENS0_8identityIiEEEE10hipError_tT2_T3_mT4_P12ihipStream_tbEUlT_E_NS1_11comp_targetILNS1_3genE4ELNS1_11target_archE910ELNS1_3gpuE8ELNS1_3repE0EEENS1_30default_config_static_selectorELNS0_4arch9wavefront6targetE0EEEvT1_.has_dyn_sized_stack, 0
	.set _ZN7rocprim17ROCPRIM_400000_NS6detail17trampoline_kernelINS0_14default_configENS1_25transform_config_selectorIiLb0EEEZNS1_14transform_implILb0ES3_S5_PiN6thrust23THRUST_200600_302600_NS6detail15normal_iteratorINS9_10device_ptrIiEEEENS0_8identityIiEEEE10hipError_tT2_T3_mT4_P12ihipStream_tbEUlT_E_NS1_11comp_targetILNS1_3genE4ELNS1_11target_archE910ELNS1_3gpuE8ELNS1_3repE0EEENS1_30default_config_static_selectorELNS0_4arch9wavefront6targetE0EEEvT1_.has_recursion, 0
	.set _ZN7rocprim17ROCPRIM_400000_NS6detail17trampoline_kernelINS0_14default_configENS1_25transform_config_selectorIiLb0EEEZNS1_14transform_implILb0ES3_S5_PiN6thrust23THRUST_200600_302600_NS6detail15normal_iteratorINS9_10device_ptrIiEEEENS0_8identityIiEEEE10hipError_tT2_T3_mT4_P12ihipStream_tbEUlT_E_NS1_11comp_targetILNS1_3genE4ELNS1_11target_archE910ELNS1_3gpuE8ELNS1_3repE0EEENS1_30default_config_static_selectorELNS0_4arch9wavefront6targetE0EEEvT1_.has_indirect_call, 0
	.section	.AMDGPU.csdata,"",@progbits
; Kernel info:
; codeLenInByte = 0
; TotalNumSgprs: 0
; NumVgprs: 0
; ScratchSize: 0
; MemoryBound: 0
; FloatMode: 240
; IeeeMode: 1
; LDSByteSize: 0 bytes/workgroup (compile time only)
; SGPRBlocks: 0
; VGPRBlocks: 0
; NumSGPRsForWavesPerEU: 1
; NumVGPRsForWavesPerEU: 1
; Occupancy: 16
; WaveLimiterHint : 0
; COMPUTE_PGM_RSRC2:SCRATCH_EN: 0
; COMPUTE_PGM_RSRC2:USER_SGPR: 6
; COMPUTE_PGM_RSRC2:TRAP_HANDLER: 0
; COMPUTE_PGM_RSRC2:TGID_X_EN: 1
; COMPUTE_PGM_RSRC2:TGID_Y_EN: 0
; COMPUTE_PGM_RSRC2:TGID_Z_EN: 0
; COMPUTE_PGM_RSRC2:TIDIG_COMP_CNT: 0
	.section	.text._ZN7rocprim17ROCPRIM_400000_NS6detail17trampoline_kernelINS0_14default_configENS1_25transform_config_selectorIiLb0EEEZNS1_14transform_implILb0ES3_S5_PiN6thrust23THRUST_200600_302600_NS6detail15normal_iteratorINS9_10device_ptrIiEEEENS0_8identityIiEEEE10hipError_tT2_T3_mT4_P12ihipStream_tbEUlT_E_NS1_11comp_targetILNS1_3genE3ELNS1_11target_archE908ELNS1_3gpuE7ELNS1_3repE0EEENS1_30default_config_static_selectorELNS0_4arch9wavefront6targetE0EEEvT1_,"axG",@progbits,_ZN7rocprim17ROCPRIM_400000_NS6detail17trampoline_kernelINS0_14default_configENS1_25transform_config_selectorIiLb0EEEZNS1_14transform_implILb0ES3_S5_PiN6thrust23THRUST_200600_302600_NS6detail15normal_iteratorINS9_10device_ptrIiEEEENS0_8identityIiEEEE10hipError_tT2_T3_mT4_P12ihipStream_tbEUlT_E_NS1_11comp_targetILNS1_3genE3ELNS1_11target_archE908ELNS1_3gpuE7ELNS1_3repE0EEENS1_30default_config_static_selectorELNS0_4arch9wavefront6targetE0EEEvT1_,comdat
	.protected	_ZN7rocprim17ROCPRIM_400000_NS6detail17trampoline_kernelINS0_14default_configENS1_25transform_config_selectorIiLb0EEEZNS1_14transform_implILb0ES3_S5_PiN6thrust23THRUST_200600_302600_NS6detail15normal_iteratorINS9_10device_ptrIiEEEENS0_8identityIiEEEE10hipError_tT2_T3_mT4_P12ihipStream_tbEUlT_E_NS1_11comp_targetILNS1_3genE3ELNS1_11target_archE908ELNS1_3gpuE7ELNS1_3repE0EEENS1_30default_config_static_selectorELNS0_4arch9wavefront6targetE0EEEvT1_ ; -- Begin function _ZN7rocprim17ROCPRIM_400000_NS6detail17trampoline_kernelINS0_14default_configENS1_25transform_config_selectorIiLb0EEEZNS1_14transform_implILb0ES3_S5_PiN6thrust23THRUST_200600_302600_NS6detail15normal_iteratorINS9_10device_ptrIiEEEENS0_8identityIiEEEE10hipError_tT2_T3_mT4_P12ihipStream_tbEUlT_E_NS1_11comp_targetILNS1_3genE3ELNS1_11target_archE908ELNS1_3gpuE7ELNS1_3repE0EEENS1_30default_config_static_selectorELNS0_4arch9wavefront6targetE0EEEvT1_
	.globl	_ZN7rocprim17ROCPRIM_400000_NS6detail17trampoline_kernelINS0_14default_configENS1_25transform_config_selectorIiLb0EEEZNS1_14transform_implILb0ES3_S5_PiN6thrust23THRUST_200600_302600_NS6detail15normal_iteratorINS9_10device_ptrIiEEEENS0_8identityIiEEEE10hipError_tT2_T3_mT4_P12ihipStream_tbEUlT_E_NS1_11comp_targetILNS1_3genE3ELNS1_11target_archE908ELNS1_3gpuE7ELNS1_3repE0EEENS1_30default_config_static_selectorELNS0_4arch9wavefront6targetE0EEEvT1_
	.p2align	8
	.type	_ZN7rocprim17ROCPRIM_400000_NS6detail17trampoline_kernelINS0_14default_configENS1_25transform_config_selectorIiLb0EEEZNS1_14transform_implILb0ES3_S5_PiN6thrust23THRUST_200600_302600_NS6detail15normal_iteratorINS9_10device_ptrIiEEEENS0_8identityIiEEEE10hipError_tT2_T3_mT4_P12ihipStream_tbEUlT_E_NS1_11comp_targetILNS1_3genE3ELNS1_11target_archE908ELNS1_3gpuE7ELNS1_3repE0EEENS1_30default_config_static_selectorELNS0_4arch9wavefront6targetE0EEEvT1_,@function
_ZN7rocprim17ROCPRIM_400000_NS6detail17trampoline_kernelINS0_14default_configENS1_25transform_config_selectorIiLb0EEEZNS1_14transform_implILb0ES3_S5_PiN6thrust23THRUST_200600_302600_NS6detail15normal_iteratorINS9_10device_ptrIiEEEENS0_8identityIiEEEE10hipError_tT2_T3_mT4_P12ihipStream_tbEUlT_E_NS1_11comp_targetILNS1_3genE3ELNS1_11target_archE908ELNS1_3gpuE7ELNS1_3repE0EEENS1_30default_config_static_selectorELNS0_4arch9wavefront6targetE0EEEvT1_: ; @_ZN7rocprim17ROCPRIM_400000_NS6detail17trampoline_kernelINS0_14default_configENS1_25transform_config_selectorIiLb0EEEZNS1_14transform_implILb0ES3_S5_PiN6thrust23THRUST_200600_302600_NS6detail15normal_iteratorINS9_10device_ptrIiEEEENS0_8identityIiEEEE10hipError_tT2_T3_mT4_P12ihipStream_tbEUlT_E_NS1_11comp_targetILNS1_3genE3ELNS1_11target_archE908ELNS1_3gpuE7ELNS1_3repE0EEENS1_30default_config_static_selectorELNS0_4arch9wavefront6targetE0EEEvT1_
; %bb.0:
	.section	.rodata,"a",@progbits
	.p2align	6, 0x0
	.amdhsa_kernel _ZN7rocprim17ROCPRIM_400000_NS6detail17trampoline_kernelINS0_14default_configENS1_25transform_config_selectorIiLb0EEEZNS1_14transform_implILb0ES3_S5_PiN6thrust23THRUST_200600_302600_NS6detail15normal_iteratorINS9_10device_ptrIiEEEENS0_8identityIiEEEE10hipError_tT2_T3_mT4_P12ihipStream_tbEUlT_E_NS1_11comp_targetILNS1_3genE3ELNS1_11target_archE908ELNS1_3gpuE7ELNS1_3repE0EEENS1_30default_config_static_selectorELNS0_4arch9wavefront6targetE0EEEvT1_
		.amdhsa_group_segment_fixed_size 0
		.amdhsa_private_segment_fixed_size 0
		.amdhsa_kernarg_size 40
		.amdhsa_user_sgpr_count 6
		.amdhsa_user_sgpr_private_segment_buffer 1
		.amdhsa_user_sgpr_dispatch_ptr 0
		.amdhsa_user_sgpr_queue_ptr 0
		.amdhsa_user_sgpr_kernarg_segment_ptr 1
		.amdhsa_user_sgpr_dispatch_id 0
		.amdhsa_user_sgpr_flat_scratch_init 0
		.amdhsa_user_sgpr_private_segment_size 0
		.amdhsa_wavefront_size32 1
		.amdhsa_uses_dynamic_stack 0
		.amdhsa_system_sgpr_private_segment_wavefront_offset 0
		.amdhsa_system_sgpr_workgroup_id_x 1
		.amdhsa_system_sgpr_workgroup_id_y 0
		.amdhsa_system_sgpr_workgroup_id_z 0
		.amdhsa_system_sgpr_workgroup_info 0
		.amdhsa_system_vgpr_workitem_id 0
		.amdhsa_next_free_vgpr 1
		.amdhsa_next_free_sgpr 1
		.amdhsa_reserve_vcc 0
		.amdhsa_reserve_flat_scratch 0
		.amdhsa_float_round_mode_32 0
		.amdhsa_float_round_mode_16_64 0
		.amdhsa_float_denorm_mode_32 3
		.amdhsa_float_denorm_mode_16_64 3
		.amdhsa_dx10_clamp 1
		.amdhsa_ieee_mode 1
		.amdhsa_fp16_overflow 0
		.amdhsa_workgroup_processor_mode 1
		.amdhsa_memory_ordered 1
		.amdhsa_forward_progress 1
		.amdhsa_shared_vgpr_count 0
		.amdhsa_exception_fp_ieee_invalid_op 0
		.amdhsa_exception_fp_denorm_src 0
		.amdhsa_exception_fp_ieee_div_zero 0
		.amdhsa_exception_fp_ieee_overflow 0
		.amdhsa_exception_fp_ieee_underflow 0
		.amdhsa_exception_fp_ieee_inexact 0
		.amdhsa_exception_int_div_zero 0
	.end_amdhsa_kernel
	.section	.text._ZN7rocprim17ROCPRIM_400000_NS6detail17trampoline_kernelINS0_14default_configENS1_25transform_config_selectorIiLb0EEEZNS1_14transform_implILb0ES3_S5_PiN6thrust23THRUST_200600_302600_NS6detail15normal_iteratorINS9_10device_ptrIiEEEENS0_8identityIiEEEE10hipError_tT2_T3_mT4_P12ihipStream_tbEUlT_E_NS1_11comp_targetILNS1_3genE3ELNS1_11target_archE908ELNS1_3gpuE7ELNS1_3repE0EEENS1_30default_config_static_selectorELNS0_4arch9wavefront6targetE0EEEvT1_,"axG",@progbits,_ZN7rocprim17ROCPRIM_400000_NS6detail17trampoline_kernelINS0_14default_configENS1_25transform_config_selectorIiLb0EEEZNS1_14transform_implILb0ES3_S5_PiN6thrust23THRUST_200600_302600_NS6detail15normal_iteratorINS9_10device_ptrIiEEEENS0_8identityIiEEEE10hipError_tT2_T3_mT4_P12ihipStream_tbEUlT_E_NS1_11comp_targetILNS1_3genE3ELNS1_11target_archE908ELNS1_3gpuE7ELNS1_3repE0EEENS1_30default_config_static_selectorELNS0_4arch9wavefront6targetE0EEEvT1_,comdat
.Lfunc_end480:
	.size	_ZN7rocprim17ROCPRIM_400000_NS6detail17trampoline_kernelINS0_14default_configENS1_25transform_config_selectorIiLb0EEEZNS1_14transform_implILb0ES3_S5_PiN6thrust23THRUST_200600_302600_NS6detail15normal_iteratorINS9_10device_ptrIiEEEENS0_8identityIiEEEE10hipError_tT2_T3_mT4_P12ihipStream_tbEUlT_E_NS1_11comp_targetILNS1_3genE3ELNS1_11target_archE908ELNS1_3gpuE7ELNS1_3repE0EEENS1_30default_config_static_selectorELNS0_4arch9wavefront6targetE0EEEvT1_, .Lfunc_end480-_ZN7rocprim17ROCPRIM_400000_NS6detail17trampoline_kernelINS0_14default_configENS1_25transform_config_selectorIiLb0EEEZNS1_14transform_implILb0ES3_S5_PiN6thrust23THRUST_200600_302600_NS6detail15normal_iteratorINS9_10device_ptrIiEEEENS0_8identityIiEEEE10hipError_tT2_T3_mT4_P12ihipStream_tbEUlT_E_NS1_11comp_targetILNS1_3genE3ELNS1_11target_archE908ELNS1_3gpuE7ELNS1_3repE0EEENS1_30default_config_static_selectorELNS0_4arch9wavefront6targetE0EEEvT1_
                                        ; -- End function
	.set _ZN7rocprim17ROCPRIM_400000_NS6detail17trampoline_kernelINS0_14default_configENS1_25transform_config_selectorIiLb0EEEZNS1_14transform_implILb0ES3_S5_PiN6thrust23THRUST_200600_302600_NS6detail15normal_iteratorINS9_10device_ptrIiEEEENS0_8identityIiEEEE10hipError_tT2_T3_mT4_P12ihipStream_tbEUlT_E_NS1_11comp_targetILNS1_3genE3ELNS1_11target_archE908ELNS1_3gpuE7ELNS1_3repE0EEENS1_30default_config_static_selectorELNS0_4arch9wavefront6targetE0EEEvT1_.num_vgpr, 0
	.set _ZN7rocprim17ROCPRIM_400000_NS6detail17trampoline_kernelINS0_14default_configENS1_25transform_config_selectorIiLb0EEEZNS1_14transform_implILb0ES3_S5_PiN6thrust23THRUST_200600_302600_NS6detail15normal_iteratorINS9_10device_ptrIiEEEENS0_8identityIiEEEE10hipError_tT2_T3_mT4_P12ihipStream_tbEUlT_E_NS1_11comp_targetILNS1_3genE3ELNS1_11target_archE908ELNS1_3gpuE7ELNS1_3repE0EEENS1_30default_config_static_selectorELNS0_4arch9wavefront6targetE0EEEvT1_.num_agpr, 0
	.set _ZN7rocprim17ROCPRIM_400000_NS6detail17trampoline_kernelINS0_14default_configENS1_25transform_config_selectorIiLb0EEEZNS1_14transform_implILb0ES3_S5_PiN6thrust23THRUST_200600_302600_NS6detail15normal_iteratorINS9_10device_ptrIiEEEENS0_8identityIiEEEE10hipError_tT2_T3_mT4_P12ihipStream_tbEUlT_E_NS1_11comp_targetILNS1_3genE3ELNS1_11target_archE908ELNS1_3gpuE7ELNS1_3repE0EEENS1_30default_config_static_selectorELNS0_4arch9wavefront6targetE0EEEvT1_.numbered_sgpr, 0
	.set _ZN7rocprim17ROCPRIM_400000_NS6detail17trampoline_kernelINS0_14default_configENS1_25transform_config_selectorIiLb0EEEZNS1_14transform_implILb0ES3_S5_PiN6thrust23THRUST_200600_302600_NS6detail15normal_iteratorINS9_10device_ptrIiEEEENS0_8identityIiEEEE10hipError_tT2_T3_mT4_P12ihipStream_tbEUlT_E_NS1_11comp_targetILNS1_3genE3ELNS1_11target_archE908ELNS1_3gpuE7ELNS1_3repE0EEENS1_30default_config_static_selectorELNS0_4arch9wavefront6targetE0EEEvT1_.num_named_barrier, 0
	.set _ZN7rocprim17ROCPRIM_400000_NS6detail17trampoline_kernelINS0_14default_configENS1_25transform_config_selectorIiLb0EEEZNS1_14transform_implILb0ES3_S5_PiN6thrust23THRUST_200600_302600_NS6detail15normal_iteratorINS9_10device_ptrIiEEEENS0_8identityIiEEEE10hipError_tT2_T3_mT4_P12ihipStream_tbEUlT_E_NS1_11comp_targetILNS1_3genE3ELNS1_11target_archE908ELNS1_3gpuE7ELNS1_3repE0EEENS1_30default_config_static_selectorELNS0_4arch9wavefront6targetE0EEEvT1_.private_seg_size, 0
	.set _ZN7rocprim17ROCPRIM_400000_NS6detail17trampoline_kernelINS0_14default_configENS1_25transform_config_selectorIiLb0EEEZNS1_14transform_implILb0ES3_S5_PiN6thrust23THRUST_200600_302600_NS6detail15normal_iteratorINS9_10device_ptrIiEEEENS0_8identityIiEEEE10hipError_tT2_T3_mT4_P12ihipStream_tbEUlT_E_NS1_11comp_targetILNS1_3genE3ELNS1_11target_archE908ELNS1_3gpuE7ELNS1_3repE0EEENS1_30default_config_static_selectorELNS0_4arch9wavefront6targetE0EEEvT1_.uses_vcc, 0
	.set _ZN7rocprim17ROCPRIM_400000_NS6detail17trampoline_kernelINS0_14default_configENS1_25transform_config_selectorIiLb0EEEZNS1_14transform_implILb0ES3_S5_PiN6thrust23THRUST_200600_302600_NS6detail15normal_iteratorINS9_10device_ptrIiEEEENS0_8identityIiEEEE10hipError_tT2_T3_mT4_P12ihipStream_tbEUlT_E_NS1_11comp_targetILNS1_3genE3ELNS1_11target_archE908ELNS1_3gpuE7ELNS1_3repE0EEENS1_30default_config_static_selectorELNS0_4arch9wavefront6targetE0EEEvT1_.uses_flat_scratch, 0
	.set _ZN7rocprim17ROCPRIM_400000_NS6detail17trampoline_kernelINS0_14default_configENS1_25transform_config_selectorIiLb0EEEZNS1_14transform_implILb0ES3_S5_PiN6thrust23THRUST_200600_302600_NS6detail15normal_iteratorINS9_10device_ptrIiEEEENS0_8identityIiEEEE10hipError_tT2_T3_mT4_P12ihipStream_tbEUlT_E_NS1_11comp_targetILNS1_3genE3ELNS1_11target_archE908ELNS1_3gpuE7ELNS1_3repE0EEENS1_30default_config_static_selectorELNS0_4arch9wavefront6targetE0EEEvT1_.has_dyn_sized_stack, 0
	.set _ZN7rocprim17ROCPRIM_400000_NS6detail17trampoline_kernelINS0_14default_configENS1_25transform_config_selectorIiLb0EEEZNS1_14transform_implILb0ES3_S5_PiN6thrust23THRUST_200600_302600_NS6detail15normal_iteratorINS9_10device_ptrIiEEEENS0_8identityIiEEEE10hipError_tT2_T3_mT4_P12ihipStream_tbEUlT_E_NS1_11comp_targetILNS1_3genE3ELNS1_11target_archE908ELNS1_3gpuE7ELNS1_3repE0EEENS1_30default_config_static_selectorELNS0_4arch9wavefront6targetE0EEEvT1_.has_recursion, 0
	.set _ZN7rocprim17ROCPRIM_400000_NS6detail17trampoline_kernelINS0_14default_configENS1_25transform_config_selectorIiLb0EEEZNS1_14transform_implILb0ES3_S5_PiN6thrust23THRUST_200600_302600_NS6detail15normal_iteratorINS9_10device_ptrIiEEEENS0_8identityIiEEEE10hipError_tT2_T3_mT4_P12ihipStream_tbEUlT_E_NS1_11comp_targetILNS1_3genE3ELNS1_11target_archE908ELNS1_3gpuE7ELNS1_3repE0EEENS1_30default_config_static_selectorELNS0_4arch9wavefront6targetE0EEEvT1_.has_indirect_call, 0
	.section	.AMDGPU.csdata,"",@progbits
; Kernel info:
; codeLenInByte = 0
; TotalNumSgprs: 0
; NumVgprs: 0
; ScratchSize: 0
; MemoryBound: 0
; FloatMode: 240
; IeeeMode: 1
; LDSByteSize: 0 bytes/workgroup (compile time only)
; SGPRBlocks: 0
; VGPRBlocks: 0
; NumSGPRsForWavesPerEU: 1
; NumVGPRsForWavesPerEU: 1
; Occupancy: 16
; WaveLimiterHint : 0
; COMPUTE_PGM_RSRC2:SCRATCH_EN: 0
; COMPUTE_PGM_RSRC2:USER_SGPR: 6
; COMPUTE_PGM_RSRC2:TRAP_HANDLER: 0
; COMPUTE_PGM_RSRC2:TGID_X_EN: 1
; COMPUTE_PGM_RSRC2:TGID_Y_EN: 0
; COMPUTE_PGM_RSRC2:TGID_Z_EN: 0
; COMPUTE_PGM_RSRC2:TIDIG_COMP_CNT: 0
	.section	.text._ZN7rocprim17ROCPRIM_400000_NS6detail17trampoline_kernelINS0_14default_configENS1_25transform_config_selectorIiLb0EEEZNS1_14transform_implILb0ES3_S5_PiN6thrust23THRUST_200600_302600_NS6detail15normal_iteratorINS9_10device_ptrIiEEEENS0_8identityIiEEEE10hipError_tT2_T3_mT4_P12ihipStream_tbEUlT_E_NS1_11comp_targetILNS1_3genE2ELNS1_11target_archE906ELNS1_3gpuE6ELNS1_3repE0EEENS1_30default_config_static_selectorELNS0_4arch9wavefront6targetE0EEEvT1_,"axG",@progbits,_ZN7rocprim17ROCPRIM_400000_NS6detail17trampoline_kernelINS0_14default_configENS1_25transform_config_selectorIiLb0EEEZNS1_14transform_implILb0ES3_S5_PiN6thrust23THRUST_200600_302600_NS6detail15normal_iteratorINS9_10device_ptrIiEEEENS0_8identityIiEEEE10hipError_tT2_T3_mT4_P12ihipStream_tbEUlT_E_NS1_11comp_targetILNS1_3genE2ELNS1_11target_archE906ELNS1_3gpuE6ELNS1_3repE0EEENS1_30default_config_static_selectorELNS0_4arch9wavefront6targetE0EEEvT1_,comdat
	.protected	_ZN7rocprim17ROCPRIM_400000_NS6detail17trampoline_kernelINS0_14default_configENS1_25transform_config_selectorIiLb0EEEZNS1_14transform_implILb0ES3_S5_PiN6thrust23THRUST_200600_302600_NS6detail15normal_iteratorINS9_10device_ptrIiEEEENS0_8identityIiEEEE10hipError_tT2_T3_mT4_P12ihipStream_tbEUlT_E_NS1_11comp_targetILNS1_3genE2ELNS1_11target_archE906ELNS1_3gpuE6ELNS1_3repE0EEENS1_30default_config_static_selectorELNS0_4arch9wavefront6targetE0EEEvT1_ ; -- Begin function _ZN7rocprim17ROCPRIM_400000_NS6detail17trampoline_kernelINS0_14default_configENS1_25transform_config_selectorIiLb0EEEZNS1_14transform_implILb0ES3_S5_PiN6thrust23THRUST_200600_302600_NS6detail15normal_iteratorINS9_10device_ptrIiEEEENS0_8identityIiEEEE10hipError_tT2_T3_mT4_P12ihipStream_tbEUlT_E_NS1_11comp_targetILNS1_3genE2ELNS1_11target_archE906ELNS1_3gpuE6ELNS1_3repE0EEENS1_30default_config_static_selectorELNS0_4arch9wavefront6targetE0EEEvT1_
	.globl	_ZN7rocprim17ROCPRIM_400000_NS6detail17trampoline_kernelINS0_14default_configENS1_25transform_config_selectorIiLb0EEEZNS1_14transform_implILb0ES3_S5_PiN6thrust23THRUST_200600_302600_NS6detail15normal_iteratorINS9_10device_ptrIiEEEENS0_8identityIiEEEE10hipError_tT2_T3_mT4_P12ihipStream_tbEUlT_E_NS1_11comp_targetILNS1_3genE2ELNS1_11target_archE906ELNS1_3gpuE6ELNS1_3repE0EEENS1_30default_config_static_selectorELNS0_4arch9wavefront6targetE0EEEvT1_
	.p2align	8
	.type	_ZN7rocprim17ROCPRIM_400000_NS6detail17trampoline_kernelINS0_14default_configENS1_25transform_config_selectorIiLb0EEEZNS1_14transform_implILb0ES3_S5_PiN6thrust23THRUST_200600_302600_NS6detail15normal_iteratorINS9_10device_ptrIiEEEENS0_8identityIiEEEE10hipError_tT2_T3_mT4_P12ihipStream_tbEUlT_E_NS1_11comp_targetILNS1_3genE2ELNS1_11target_archE906ELNS1_3gpuE6ELNS1_3repE0EEENS1_30default_config_static_selectorELNS0_4arch9wavefront6targetE0EEEvT1_,@function
_ZN7rocprim17ROCPRIM_400000_NS6detail17trampoline_kernelINS0_14default_configENS1_25transform_config_selectorIiLb0EEEZNS1_14transform_implILb0ES3_S5_PiN6thrust23THRUST_200600_302600_NS6detail15normal_iteratorINS9_10device_ptrIiEEEENS0_8identityIiEEEE10hipError_tT2_T3_mT4_P12ihipStream_tbEUlT_E_NS1_11comp_targetILNS1_3genE2ELNS1_11target_archE906ELNS1_3gpuE6ELNS1_3repE0EEENS1_30default_config_static_selectorELNS0_4arch9wavefront6targetE0EEEvT1_: ; @_ZN7rocprim17ROCPRIM_400000_NS6detail17trampoline_kernelINS0_14default_configENS1_25transform_config_selectorIiLb0EEEZNS1_14transform_implILb0ES3_S5_PiN6thrust23THRUST_200600_302600_NS6detail15normal_iteratorINS9_10device_ptrIiEEEENS0_8identityIiEEEE10hipError_tT2_T3_mT4_P12ihipStream_tbEUlT_E_NS1_11comp_targetILNS1_3genE2ELNS1_11target_archE906ELNS1_3gpuE6ELNS1_3repE0EEENS1_30default_config_static_selectorELNS0_4arch9wavefront6targetE0EEEvT1_
; %bb.0:
	.section	.rodata,"a",@progbits
	.p2align	6, 0x0
	.amdhsa_kernel _ZN7rocprim17ROCPRIM_400000_NS6detail17trampoline_kernelINS0_14default_configENS1_25transform_config_selectorIiLb0EEEZNS1_14transform_implILb0ES3_S5_PiN6thrust23THRUST_200600_302600_NS6detail15normal_iteratorINS9_10device_ptrIiEEEENS0_8identityIiEEEE10hipError_tT2_T3_mT4_P12ihipStream_tbEUlT_E_NS1_11comp_targetILNS1_3genE2ELNS1_11target_archE906ELNS1_3gpuE6ELNS1_3repE0EEENS1_30default_config_static_selectorELNS0_4arch9wavefront6targetE0EEEvT1_
		.amdhsa_group_segment_fixed_size 0
		.amdhsa_private_segment_fixed_size 0
		.amdhsa_kernarg_size 40
		.amdhsa_user_sgpr_count 6
		.amdhsa_user_sgpr_private_segment_buffer 1
		.amdhsa_user_sgpr_dispatch_ptr 0
		.amdhsa_user_sgpr_queue_ptr 0
		.amdhsa_user_sgpr_kernarg_segment_ptr 1
		.amdhsa_user_sgpr_dispatch_id 0
		.amdhsa_user_sgpr_flat_scratch_init 0
		.amdhsa_user_sgpr_private_segment_size 0
		.amdhsa_wavefront_size32 1
		.amdhsa_uses_dynamic_stack 0
		.amdhsa_system_sgpr_private_segment_wavefront_offset 0
		.amdhsa_system_sgpr_workgroup_id_x 1
		.amdhsa_system_sgpr_workgroup_id_y 0
		.amdhsa_system_sgpr_workgroup_id_z 0
		.amdhsa_system_sgpr_workgroup_info 0
		.amdhsa_system_vgpr_workitem_id 0
		.amdhsa_next_free_vgpr 1
		.amdhsa_next_free_sgpr 1
		.amdhsa_reserve_vcc 0
		.amdhsa_reserve_flat_scratch 0
		.amdhsa_float_round_mode_32 0
		.amdhsa_float_round_mode_16_64 0
		.amdhsa_float_denorm_mode_32 3
		.amdhsa_float_denorm_mode_16_64 3
		.amdhsa_dx10_clamp 1
		.amdhsa_ieee_mode 1
		.amdhsa_fp16_overflow 0
		.amdhsa_workgroup_processor_mode 1
		.amdhsa_memory_ordered 1
		.amdhsa_forward_progress 1
		.amdhsa_shared_vgpr_count 0
		.amdhsa_exception_fp_ieee_invalid_op 0
		.amdhsa_exception_fp_denorm_src 0
		.amdhsa_exception_fp_ieee_div_zero 0
		.amdhsa_exception_fp_ieee_overflow 0
		.amdhsa_exception_fp_ieee_underflow 0
		.amdhsa_exception_fp_ieee_inexact 0
		.amdhsa_exception_int_div_zero 0
	.end_amdhsa_kernel
	.section	.text._ZN7rocprim17ROCPRIM_400000_NS6detail17trampoline_kernelINS0_14default_configENS1_25transform_config_selectorIiLb0EEEZNS1_14transform_implILb0ES3_S5_PiN6thrust23THRUST_200600_302600_NS6detail15normal_iteratorINS9_10device_ptrIiEEEENS0_8identityIiEEEE10hipError_tT2_T3_mT4_P12ihipStream_tbEUlT_E_NS1_11comp_targetILNS1_3genE2ELNS1_11target_archE906ELNS1_3gpuE6ELNS1_3repE0EEENS1_30default_config_static_selectorELNS0_4arch9wavefront6targetE0EEEvT1_,"axG",@progbits,_ZN7rocprim17ROCPRIM_400000_NS6detail17trampoline_kernelINS0_14default_configENS1_25transform_config_selectorIiLb0EEEZNS1_14transform_implILb0ES3_S5_PiN6thrust23THRUST_200600_302600_NS6detail15normal_iteratorINS9_10device_ptrIiEEEENS0_8identityIiEEEE10hipError_tT2_T3_mT4_P12ihipStream_tbEUlT_E_NS1_11comp_targetILNS1_3genE2ELNS1_11target_archE906ELNS1_3gpuE6ELNS1_3repE0EEENS1_30default_config_static_selectorELNS0_4arch9wavefront6targetE0EEEvT1_,comdat
.Lfunc_end481:
	.size	_ZN7rocprim17ROCPRIM_400000_NS6detail17trampoline_kernelINS0_14default_configENS1_25transform_config_selectorIiLb0EEEZNS1_14transform_implILb0ES3_S5_PiN6thrust23THRUST_200600_302600_NS6detail15normal_iteratorINS9_10device_ptrIiEEEENS0_8identityIiEEEE10hipError_tT2_T3_mT4_P12ihipStream_tbEUlT_E_NS1_11comp_targetILNS1_3genE2ELNS1_11target_archE906ELNS1_3gpuE6ELNS1_3repE0EEENS1_30default_config_static_selectorELNS0_4arch9wavefront6targetE0EEEvT1_, .Lfunc_end481-_ZN7rocprim17ROCPRIM_400000_NS6detail17trampoline_kernelINS0_14default_configENS1_25transform_config_selectorIiLb0EEEZNS1_14transform_implILb0ES3_S5_PiN6thrust23THRUST_200600_302600_NS6detail15normal_iteratorINS9_10device_ptrIiEEEENS0_8identityIiEEEE10hipError_tT2_T3_mT4_P12ihipStream_tbEUlT_E_NS1_11comp_targetILNS1_3genE2ELNS1_11target_archE906ELNS1_3gpuE6ELNS1_3repE0EEENS1_30default_config_static_selectorELNS0_4arch9wavefront6targetE0EEEvT1_
                                        ; -- End function
	.set _ZN7rocprim17ROCPRIM_400000_NS6detail17trampoline_kernelINS0_14default_configENS1_25transform_config_selectorIiLb0EEEZNS1_14transform_implILb0ES3_S5_PiN6thrust23THRUST_200600_302600_NS6detail15normal_iteratorINS9_10device_ptrIiEEEENS0_8identityIiEEEE10hipError_tT2_T3_mT4_P12ihipStream_tbEUlT_E_NS1_11comp_targetILNS1_3genE2ELNS1_11target_archE906ELNS1_3gpuE6ELNS1_3repE0EEENS1_30default_config_static_selectorELNS0_4arch9wavefront6targetE0EEEvT1_.num_vgpr, 0
	.set _ZN7rocprim17ROCPRIM_400000_NS6detail17trampoline_kernelINS0_14default_configENS1_25transform_config_selectorIiLb0EEEZNS1_14transform_implILb0ES3_S5_PiN6thrust23THRUST_200600_302600_NS6detail15normal_iteratorINS9_10device_ptrIiEEEENS0_8identityIiEEEE10hipError_tT2_T3_mT4_P12ihipStream_tbEUlT_E_NS1_11comp_targetILNS1_3genE2ELNS1_11target_archE906ELNS1_3gpuE6ELNS1_3repE0EEENS1_30default_config_static_selectorELNS0_4arch9wavefront6targetE0EEEvT1_.num_agpr, 0
	.set _ZN7rocprim17ROCPRIM_400000_NS6detail17trampoline_kernelINS0_14default_configENS1_25transform_config_selectorIiLb0EEEZNS1_14transform_implILb0ES3_S5_PiN6thrust23THRUST_200600_302600_NS6detail15normal_iteratorINS9_10device_ptrIiEEEENS0_8identityIiEEEE10hipError_tT2_T3_mT4_P12ihipStream_tbEUlT_E_NS1_11comp_targetILNS1_3genE2ELNS1_11target_archE906ELNS1_3gpuE6ELNS1_3repE0EEENS1_30default_config_static_selectorELNS0_4arch9wavefront6targetE0EEEvT1_.numbered_sgpr, 0
	.set _ZN7rocprim17ROCPRIM_400000_NS6detail17trampoline_kernelINS0_14default_configENS1_25transform_config_selectorIiLb0EEEZNS1_14transform_implILb0ES3_S5_PiN6thrust23THRUST_200600_302600_NS6detail15normal_iteratorINS9_10device_ptrIiEEEENS0_8identityIiEEEE10hipError_tT2_T3_mT4_P12ihipStream_tbEUlT_E_NS1_11comp_targetILNS1_3genE2ELNS1_11target_archE906ELNS1_3gpuE6ELNS1_3repE0EEENS1_30default_config_static_selectorELNS0_4arch9wavefront6targetE0EEEvT1_.num_named_barrier, 0
	.set _ZN7rocprim17ROCPRIM_400000_NS6detail17trampoline_kernelINS0_14default_configENS1_25transform_config_selectorIiLb0EEEZNS1_14transform_implILb0ES3_S5_PiN6thrust23THRUST_200600_302600_NS6detail15normal_iteratorINS9_10device_ptrIiEEEENS0_8identityIiEEEE10hipError_tT2_T3_mT4_P12ihipStream_tbEUlT_E_NS1_11comp_targetILNS1_3genE2ELNS1_11target_archE906ELNS1_3gpuE6ELNS1_3repE0EEENS1_30default_config_static_selectorELNS0_4arch9wavefront6targetE0EEEvT1_.private_seg_size, 0
	.set _ZN7rocprim17ROCPRIM_400000_NS6detail17trampoline_kernelINS0_14default_configENS1_25transform_config_selectorIiLb0EEEZNS1_14transform_implILb0ES3_S5_PiN6thrust23THRUST_200600_302600_NS6detail15normal_iteratorINS9_10device_ptrIiEEEENS0_8identityIiEEEE10hipError_tT2_T3_mT4_P12ihipStream_tbEUlT_E_NS1_11comp_targetILNS1_3genE2ELNS1_11target_archE906ELNS1_3gpuE6ELNS1_3repE0EEENS1_30default_config_static_selectorELNS0_4arch9wavefront6targetE0EEEvT1_.uses_vcc, 0
	.set _ZN7rocprim17ROCPRIM_400000_NS6detail17trampoline_kernelINS0_14default_configENS1_25transform_config_selectorIiLb0EEEZNS1_14transform_implILb0ES3_S5_PiN6thrust23THRUST_200600_302600_NS6detail15normal_iteratorINS9_10device_ptrIiEEEENS0_8identityIiEEEE10hipError_tT2_T3_mT4_P12ihipStream_tbEUlT_E_NS1_11comp_targetILNS1_3genE2ELNS1_11target_archE906ELNS1_3gpuE6ELNS1_3repE0EEENS1_30default_config_static_selectorELNS0_4arch9wavefront6targetE0EEEvT1_.uses_flat_scratch, 0
	.set _ZN7rocprim17ROCPRIM_400000_NS6detail17trampoline_kernelINS0_14default_configENS1_25transform_config_selectorIiLb0EEEZNS1_14transform_implILb0ES3_S5_PiN6thrust23THRUST_200600_302600_NS6detail15normal_iteratorINS9_10device_ptrIiEEEENS0_8identityIiEEEE10hipError_tT2_T3_mT4_P12ihipStream_tbEUlT_E_NS1_11comp_targetILNS1_3genE2ELNS1_11target_archE906ELNS1_3gpuE6ELNS1_3repE0EEENS1_30default_config_static_selectorELNS0_4arch9wavefront6targetE0EEEvT1_.has_dyn_sized_stack, 0
	.set _ZN7rocprim17ROCPRIM_400000_NS6detail17trampoline_kernelINS0_14default_configENS1_25transform_config_selectorIiLb0EEEZNS1_14transform_implILb0ES3_S5_PiN6thrust23THRUST_200600_302600_NS6detail15normal_iteratorINS9_10device_ptrIiEEEENS0_8identityIiEEEE10hipError_tT2_T3_mT4_P12ihipStream_tbEUlT_E_NS1_11comp_targetILNS1_3genE2ELNS1_11target_archE906ELNS1_3gpuE6ELNS1_3repE0EEENS1_30default_config_static_selectorELNS0_4arch9wavefront6targetE0EEEvT1_.has_recursion, 0
	.set _ZN7rocprim17ROCPRIM_400000_NS6detail17trampoline_kernelINS0_14default_configENS1_25transform_config_selectorIiLb0EEEZNS1_14transform_implILb0ES3_S5_PiN6thrust23THRUST_200600_302600_NS6detail15normal_iteratorINS9_10device_ptrIiEEEENS0_8identityIiEEEE10hipError_tT2_T3_mT4_P12ihipStream_tbEUlT_E_NS1_11comp_targetILNS1_3genE2ELNS1_11target_archE906ELNS1_3gpuE6ELNS1_3repE0EEENS1_30default_config_static_selectorELNS0_4arch9wavefront6targetE0EEEvT1_.has_indirect_call, 0
	.section	.AMDGPU.csdata,"",@progbits
; Kernel info:
; codeLenInByte = 0
; TotalNumSgprs: 0
; NumVgprs: 0
; ScratchSize: 0
; MemoryBound: 0
; FloatMode: 240
; IeeeMode: 1
; LDSByteSize: 0 bytes/workgroup (compile time only)
; SGPRBlocks: 0
; VGPRBlocks: 0
; NumSGPRsForWavesPerEU: 1
; NumVGPRsForWavesPerEU: 1
; Occupancy: 16
; WaveLimiterHint : 0
; COMPUTE_PGM_RSRC2:SCRATCH_EN: 0
; COMPUTE_PGM_RSRC2:USER_SGPR: 6
; COMPUTE_PGM_RSRC2:TRAP_HANDLER: 0
; COMPUTE_PGM_RSRC2:TGID_X_EN: 1
; COMPUTE_PGM_RSRC2:TGID_Y_EN: 0
; COMPUTE_PGM_RSRC2:TGID_Z_EN: 0
; COMPUTE_PGM_RSRC2:TIDIG_COMP_CNT: 0
	.section	.text._ZN7rocprim17ROCPRIM_400000_NS6detail17trampoline_kernelINS0_14default_configENS1_25transform_config_selectorIiLb0EEEZNS1_14transform_implILb0ES3_S5_PiN6thrust23THRUST_200600_302600_NS6detail15normal_iteratorINS9_10device_ptrIiEEEENS0_8identityIiEEEE10hipError_tT2_T3_mT4_P12ihipStream_tbEUlT_E_NS1_11comp_targetILNS1_3genE10ELNS1_11target_archE1201ELNS1_3gpuE5ELNS1_3repE0EEENS1_30default_config_static_selectorELNS0_4arch9wavefront6targetE0EEEvT1_,"axG",@progbits,_ZN7rocprim17ROCPRIM_400000_NS6detail17trampoline_kernelINS0_14default_configENS1_25transform_config_selectorIiLb0EEEZNS1_14transform_implILb0ES3_S5_PiN6thrust23THRUST_200600_302600_NS6detail15normal_iteratorINS9_10device_ptrIiEEEENS0_8identityIiEEEE10hipError_tT2_T3_mT4_P12ihipStream_tbEUlT_E_NS1_11comp_targetILNS1_3genE10ELNS1_11target_archE1201ELNS1_3gpuE5ELNS1_3repE0EEENS1_30default_config_static_selectorELNS0_4arch9wavefront6targetE0EEEvT1_,comdat
	.protected	_ZN7rocprim17ROCPRIM_400000_NS6detail17trampoline_kernelINS0_14default_configENS1_25transform_config_selectorIiLb0EEEZNS1_14transform_implILb0ES3_S5_PiN6thrust23THRUST_200600_302600_NS6detail15normal_iteratorINS9_10device_ptrIiEEEENS0_8identityIiEEEE10hipError_tT2_T3_mT4_P12ihipStream_tbEUlT_E_NS1_11comp_targetILNS1_3genE10ELNS1_11target_archE1201ELNS1_3gpuE5ELNS1_3repE0EEENS1_30default_config_static_selectorELNS0_4arch9wavefront6targetE0EEEvT1_ ; -- Begin function _ZN7rocprim17ROCPRIM_400000_NS6detail17trampoline_kernelINS0_14default_configENS1_25transform_config_selectorIiLb0EEEZNS1_14transform_implILb0ES3_S5_PiN6thrust23THRUST_200600_302600_NS6detail15normal_iteratorINS9_10device_ptrIiEEEENS0_8identityIiEEEE10hipError_tT2_T3_mT4_P12ihipStream_tbEUlT_E_NS1_11comp_targetILNS1_3genE10ELNS1_11target_archE1201ELNS1_3gpuE5ELNS1_3repE0EEENS1_30default_config_static_selectorELNS0_4arch9wavefront6targetE0EEEvT1_
	.globl	_ZN7rocprim17ROCPRIM_400000_NS6detail17trampoline_kernelINS0_14default_configENS1_25transform_config_selectorIiLb0EEEZNS1_14transform_implILb0ES3_S5_PiN6thrust23THRUST_200600_302600_NS6detail15normal_iteratorINS9_10device_ptrIiEEEENS0_8identityIiEEEE10hipError_tT2_T3_mT4_P12ihipStream_tbEUlT_E_NS1_11comp_targetILNS1_3genE10ELNS1_11target_archE1201ELNS1_3gpuE5ELNS1_3repE0EEENS1_30default_config_static_selectorELNS0_4arch9wavefront6targetE0EEEvT1_
	.p2align	8
	.type	_ZN7rocprim17ROCPRIM_400000_NS6detail17trampoline_kernelINS0_14default_configENS1_25transform_config_selectorIiLb0EEEZNS1_14transform_implILb0ES3_S5_PiN6thrust23THRUST_200600_302600_NS6detail15normal_iteratorINS9_10device_ptrIiEEEENS0_8identityIiEEEE10hipError_tT2_T3_mT4_P12ihipStream_tbEUlT_E_NS1_11comp_targetILNS1_3genE10ELNS1_11target_archE1201ELNS1_3gpuE5ELNS1_3repE0EEENS1_30default_config_static_selectorELNS0_4arch9wavefront6targetE0EEEvT1_,@function
_ZN7rocprim17ROCPRIM_400000_NS6detail17trampoline_kernelINS0_14default_configENS1_25transform_config_selectorIiLb0EEEZNS1_14transform_implILb0ES3_S5_PiN6thrust23THRUST_200600_302600_NS6detail15normal_iteratorINS9_10device_ptrIiEEEENS0_8identityIiEEEE10hipError_tT2_T3_mT4_P12ihipStream_tbEUlT_E_NS1_11comp_targetILNS1_3genE10ELNS1_11target_archE1201ELNS1_3gpuE5ELNS1_3repE0EEENS1_30default_config_static_selectorELNS0_4arch9wavefront6targetE0EEEvT1_: ; @_ZN7rocprim17ROCPRIM_400000_NS6detail17trampoline_kernelINS0_14default_configENS1_25transform_config_selectorIiLb0EEEZNS1_14transform_implILb0ES3_S5_PiN6thrust23THRUST_200600_302600_NS6detail15normal_iteratorINS9_10device_ptrIiEEEENS0_8identityIiEEEE10hipError_tT2_T3_mT4_P12ihipStream_tbEUlT_E_NS1_11comp_targetILNS1_3genE10ELNS1_11target_archE1201ELNS1_3gpuE5ELNS1_3repE0EEENS1_30default_config_static_selectorELNS0_4arch9wavefront6targetE0EEEvT1_
; %bb.0:
	.section	.rodata,"a",@progbits
	.p2align	6, 0x0
	.amdhsa_kernel _ZN7rocprim17ROCPRIM_400000_NS6detail17trampoline_kernelINS0_14default_configENS1_25transform_config_selectorIiLb0EEEZNS1_14transform_implILb0ES3_S5_PiN6thrust23THRUST_200600_302600_NS6detail15normal_iteratorINS9_10device_ptrIiEEEENS0_8identityIiEEEE10hipError_tT2_T3_mT4_P12ihipStream_tbEUlT_E_NS1_11comp_targetILNS1_3genE10ELNS1_11target_archE1201ELNS1_3gpuE5ELNS1_3repE0EEENS1_30default_config_static_selectorELNS0_4arch9wavefront6targetE0EEEvT1_
		.amdhsa_group_segment_fixed_size 0
		.amdhsa_private_segment_fixed_size 0
		.amdhsa_kernarg_size 40
		.amdhsa_user_sgpr_count 6
		.amdhsa_user_sgpr_private_segment_buffer 1
		.amdhsa_user_sgpr_dispatch_ptr 0
		.amdhsa_user_sgpr_queue_ptr 0
		.amdhsa_user_sgpr_kernarg_segment_ptr 1
		.amdhsa_user_sgpr_dispatch_id 0
		.amdhsa_user_sgpr_flat_scratch_init 0
		.amdhsa_user_sgpr_private_segment_size 0
		.amdhsa_wavefront_size32 1
		.amdhsa_uses_dynamic_stack 0
		.amdhsa_system_sgpr_private_segment_wavefront_offset 0
		.amdhsa_system_sgpr_workgroup_id_x 1
		.amdhsa_system_sgpr_workgroup_id_y 0
		.amdhsa_system_sgpr_workgroup_id_z 0
		.amdhsa_system_sgpr_workgroup_info 0
		.amdhsa_system_vgpr_workitem_id 0
		.amdhsa_next_free_vgpr 1
		.amdhsa_next_free_sgpr 1
		.amdhsa_reserve_vcc 0
		.amdhsa_reserve_flat_scratch 0
		.amdhsa_float_round_mode_32 0
		.amdhsa_float_round_mode_16_64 0
		.amdhsa_float_denorm_mode_32 3
		.amdhsa_float_denorm_mode_16_64 3
		.amdhsa_dx10_clamp 1
		.amdhsa_ieee_mode 1
		.amdhsa_fp16_overflow 0
		.amdhsa_workgroup_processor_mode 1
		.amdhsa_memory_ordered 1
		.amdhsa_forward_progress 1
		.amdhsa_shared_vgpr_count 0
		.amdhsa_exception_fp_ieee_invalid_op 0
		.amdhsa_exception_fp_denorm_src 0
		.amdhsa_exception_fp_ieee_div_zero 0
		.amdhsa_exception_fp_ieee_overflow 0
		.amdhsa_exception_fp_ieee_underflow 0
		.amdhsa_exception_fp_ieee_inexact 0
		.amdhsa_exception_int_div_zero 0
	.end_amdhsa_kernel
	.section	.text._ZN7rocprim17ROCPRIM_400000_NS6detail17trampoline_kernelINS0_14default_configENS1_25transform_config_selectorIiLb0EEEZNS1_14transform_implILb0ES3_S5_PiN6thrust23THRUST_200600_302600_NS6detail15normal_iteratorINS9_10device_ptrIiEEEENS0_8identityIiEEEE10hipError_tT2_T3_mT4_P12ihipStream_tbEUlT_E_NS1_11comp_targetILNS1_3genE10ELNS1_11target_archE1201ELNS1_3gpuE5ELNS1_3repE0EEENS1_30default_config_static_selectorELNS0_4arch9wavefront6targetE0EEEvT1_,"axG",@progbits,_ZN7rocprim17ROCPRIM_400000_NS6detail17trampoline_kernelINS0_14default_configENS1_25transform_config_selectorIiLb0EEEZNS1_14transform_implILb0ES3_S5_PiN6thrust23THRUST_200600_302600_NS6detail15normal_iteratorINS9_10device_ptrIiEEEENS0_8identityIiEEEE10hipError_tT2_T3_mT4_P12ihipStream_tbEUlT_E_NS1_11comp_targetILNS1_3genE10ELNS1_11target_archE1201ELNS1_3gpuE5ELNS1_3repE0EEENS1_30default_config_static_selectorELNS0_4arch9wavefront6targetE0EEEvT1_,comdat
.Lfunc_end482:
	.size	_ZN7rocprim17ROCPRIM_400000_NS6detail17trampoline_kernelINS0_14default_configENS1_25transform_config_selectorIiLb0EEEZNS1_14transform_implILb0ES3_S5_PiN6thrust23THRUST_200600_302600_NS6detail15normal_iteratorINS9_10device_ptrIiEEEENS0_8identityIiEEEE10hipError_tT2_T3_mT4_P12ihipStream_tbEUlT_E_NS1_11comp_targetILNS1_3genE10ELNS1_11target_archE1201ELNS1_3gpuE5ELNS1_3repE0EEENS1_30default_config_static_selectorELNS0_4arch9wavefront6targetE0EEEvT1_, .Lfunc_end482-_ZN7rocprim17ROCPRIM_400000_NS6detail17trampoline_kernelINS0_14default_configENS1_25transform_config_selectorIiLb0EEEZNS1_14transform_implILb0ES3_S5_PiN6thrust23THRUST_200600_302600_NS6detail15normal_iteratorINS9_10device_ptrIiEEEENS0_8identityIiEEEE10hipError_tT2_T3_mT4_P12ihipStream_tbEUlT_E_NS1_11comp_targetILNS1_3genE10ELNS1_11target_archE1201ELNS1_3gpuE5ELNS1_3repE0EEENS1_30default_config_static_selectorELNS0_4arch9wavefront6targetE0EEEvT1_
                                        ; -- End function
	.set _ZN7rocprim17ROCPRIM_400000_NS6detail17trampoline_kernelINS0_14default_configENS1_25transform_config_selectorIiLb0EEEZNS1_14transform_implILb0ES3_S5_PiN6thrust23THRUST_200600_302600_NS6detail15normal_iteratorINS9_10device_ptrIiEEEENS0_8identityIiEEEE10hipError_tT2_T3_mT4_P12ihipStream_tbEUlT_E_NS1_11comp_targetILNS1_3genE10ELNS1_11target_archE1201ELNS1_3gpuE5ELNS1_3repE0EEENS1_30default_config_static_selectorELNS0_4arch9wavefront6targetE0EEEvT1_.num_vgpr, 0
	.set _ZN7rocprim17ROCPRIM_400000_NS6detail17trampoline_kernelINS0_14default_configENS1_25transform_config_selectorIiLb0EEEZNS1_14transform_implILb0ES3_S5_PiN6thrust23THRUST_200600_302600_NS6detail15normal_iteratorINS9_10device_ptrIiEEEENS0_8identityIiEEEE10hipError_tT2_T3_mT4_P12ihipStream_tbEUlT_E_NS1_11comp_targetILNS1_3genE10ELNS1_11target_archE1201ELNS1_3gpuE5ELNS1_3repE0EEENS1_30default_config_static_selectorELNS0_4arch9wavefront6targetE0EEEvT1_.num_agpr, 0
	.set _ZN7rocprim17ROCPRIM_400000_NS6detail17trampoline_kernelINS0_14default_configENS1_25transform_config_selectorIiLb0EEEZNS1_14transform_implILb0ES3_S5_PiN6thrust23THRUST_200600_302600_NS6detail15normal_iteratorINS9_10device_ptrIiEEEENS0_8identityIiEEEE10hipError_tT2_T3_mT4_P12ihipStream_tbEUlT_E_NS1_11comp_targetILNS1_3genE10ELNS1_11target_archE1201ELNS1_3gpuE5ELNS1_3repE0EEENS1_30default_config_static_selectorELNS0_4arch9wavefront6targetE0EEEvT1_.numbered_sgpr, 0
	.set _ZN7rocprim17ROCPRIM_400000_NS6detail17trampoline_kernelINS0_14default_configENS1_25transform_config_selectorIiLb0EEEZNS1_14transform_implILb0ES3_S5_PiN6thrust23THRUST_200600_302600_NS6detail15normal_iteratorINS9_10device_ptrIiEEEENS0_8identityIiEEEE10hipError_tT2_T3_mT4_P12ihipStream_tbEUlT_E_NS1_11comp_targetILNS1_3genE10ELNS1_11target_archE1201ELNS1_3gpuE5ELNS1_3repE0EEENS1_30default_config_static_selectorELNS0_4arch9wavefront6targetE0EEEvT1_.num_named_barrier, 0
	.set _ZN7rocprim17ROCPRIM_400000_NS6detail17trampoline_kernelINS0_14default_configENS1_25transform_config_selectorIiLb0EEEZNS1_14transform_implILb0ES3_S5_PiN6thrust23THRUST_200600_302600_NS6detail15normal_iteratorINS9_10device_ptrIiEEEENS0_8identityIiEEEE10hipError_tT2_T3_mT4_P12ihipStream_tbEUlT_E_NS1_11comp_targetILNS1_3genE10ELNS1_11target_archE1201ELNS1_3gpuE5ELNS1_3repE0EEENS1_30default_config_static_selectorELNS0_4arch9wavefront6targetE0EEEvT1_.private_seg_size, 0
	.set _ZN7rocprim17ROCPRIM_400000_NS6detail17trampoline_kernelINS0_14default_configENS1_25transform_config_selectorIiLb0EEEZNS1_14transform_implILb0ES3_S5_PiN6thrust23THRUST_200600_302600_NS6detail15normal_iteratorINS9_10device_ptrIiEEEENS0_8identityIiEEEE10hipError_tT2_T3_mT4_P12ihipStream_tbEUlT_E_NS1_11comp_targetILNS1_3genE10ELNS1_11target_archE1201ELNS1_3gpuE5ELNS1_3repE0EEENS1_30default_config_static_selectorELNS0_4arch9wavefront6targetE0EEEvT1_.uses_vcc, 0
	.set _ZN7rocprim17ROCPRIM_400000_NS6detail17trampoline_kernelINS0_14default_configENS1_25transform_config_selectorIiLb0EEEZNS1_14transform_implILb0ES3_S5_PiN6thrust23THRUST_200600_302600_NS6detail15normal_iteratorINS9_10device_ptrIiEEEENS0_8identityIiEEEE10hipError_tT2_T3_mT4_P12ihipStream_tbEUlT_E_NS1_11comp_targetILNS1_3genE10ELNS1_11target_archE1201ELNS1_3gpuE5ELNS1_3repE0EEENS1_30default_config_static_selectorELNS0_4arch9wavefront6targetE0EEEvT1_.uses_flat_scratch, 0
	.set _ZN7rocprim17ROCPRIM_400000_NS6detail17trampoline_kernelINS0_14default_configENS1_25transform_config_selectorIiLb0EEEZNS1_14transform_implILb0ES3_S5_PiN6thrust23THRUST_200600_302600_NS6detail15normal_iteratorINS9_10device_ptrIiEEEENS0_8identityIiEEEE10hipError_tT2_T3_mT4_P12ihipStream_tbEUlT_E_NS1_11comp_targetILNS1_3genE10ELNS1_11target_archE1201ELNS1_3gpuE5ELNS1_3repE0EEENS1_30default_config_static_selectorELNS0_4arch9wavefront6targetE0EEEvT1_.has_dyn_sized_stack, 0
	.set _ZN7rocprim17ROCPRIM_400000_NS6detail17trampoline_kernelINS0_14default_configENS1_25transform_config_selectorIiLb0EEEZNS1_14transform_implILb0ES3_S5_PiN6thrust23THRUST_200600_302600_NS6detail15normal_iteratorINS9_10device_ptrIiEEEENS0_8identityIiEEEE10hipError_tT2_T3_mT4_P12ihipStream_tbEUlT_E_NS1_11comp_targetILNS1_3genE10ELNS1_11target_archE1201ELNS1_3gpuE5ELNS1_3repE0EEENS1_30default_config_static_selectorELNS0_4arch9wavefront6targetE0EEEvT1_.has_recursion, 0
	.set _ZN7rocprim17ROCPRIM_400000_NS6detail17trampoline_kernelINS0_14default_configENS1_25transform_config_selectorIiLb0EEEZNS1_14transform_implILb0ES3_S5_PiN6thrust23THRUST_200600_302600_NS6detail15normal_iteratorINS9_10device_ptrIiEEEENS0_8identityIiEEEE10hipError_tT2_T3_mT4_P12ihipStream_tbEUlT_E_NS1_11comp_targetILNS1_3genE10ELNS1_11target_archE1201ELNS1_3gpuE5ELNS1_3repE0EEENS1_30default_config_static_selectorELNS0_4arch9wavefront6targetE0EEEvT1_.has_indirect_call, 0
	.section	.AMDGPU.csdata,"",@progbits
; Kernel info:
; codeLenInByte = 0
; TotalNumSgprs: 0
; NumVgprs: 0
; ScratchSize: 0
; MemoryBound: 0
; FloatMode: 240
; IeeeMode: 1
; LDSByteSize: 0 bytes/workgroup (compile time only)
; SGPRBlocks: 0
; VGPRBlocks: 0
; NumSGPRsForWavesPerEU: 1
; NumVGPRsForWavesPerEU: 1
; Occupancy: 16
; WaveLimiterHint : 0
; COMPUTE_PGM_RSRC2:SCRATCH_EN: 0
; COMPUTE_PGM_RSRC2:USER_SGPR: 6
; COMPUTE_PGM_RSRC2:TRAP_HANDLER: 0
; COMPUTE_PGM_RSRC2:TGID_X_EN: 1
; COMPUTE_PGM_RSRC2:TGID_Y_EN: 0
; COMPUTE_PGM_RSRC2:TGID_Z_EN: 0
; COMPUTE_PGM_RSRC2:TIDIG_COMP_CNT: 0
	.section	.text._ZN7rocprim17ROCPRIM_400000_NS6detail17trampoline_kernelINS0_14default_configENS1_25transform_config_selectorIiLb0EEEZNS1_14transform_implILb0ES3_S5_PiN6thrust23THRUST_200600_302600_NS6detail15normal_iteratorINS9_10device_ptrIiEEEENS0_8identityIiEEEE10hipError_tT2_T3_mT4_P12ihipStream_tbEUlT_E_NS1_11comp_targetILNS1_3genE10ELNS1_11target_archE1200ELNS1_3gpuE4ELNS1_3repE0EEENS1_30default_config_static_selectorELNS0_4arch9wavefront6targetE0EEEvT1_,"axG",@progbits,_ZN7rocprim17ROCPRIM_400000_NS6detail17trampoline_kernelINS0_14default_configENS1_25transform_config_selectorIiLb0EEEZNS1_14transform_implILb0ES3_S5_PiN6thrust23THRUST_200600_302600_NS6detail15normal_iteratorINS9_10device_ptrIiEEEENS0_8identityIiEEEE10hipError_tT2_T3_mT4_P12ihipStream_tbEUlT_E_NS1_11comp_targetILNS1_3genE10ELNS1_11target_archE1200ELNS1_3gpuE4ELNS1_3repE0EEENS1_30default_config_static_selectorELNS0_4arch9wavefront6targetE0EEEvT1_,comdat
	.protected	_ZN7rocprim17ROCPRIM_400000_NS6detail17trampoline_kernelINS0_14default_configENS1_25transform_config_selectorIiLb0EEEZNS1_14transform_implILb0ES3_S5_PiN6thrust23THRUST_200600_302600_NS6detail15normal_iteratorINS9_10device_ptrIiEEEENS0_8identityIiEEEE10hipError_tT2_T3_mT4_P12ihipStream_tbEUlT_E_NS1_11comp_targetILNS1_3genE10ELNS1_11target_archE1200ELNS1_3gpuE4ELNS1_3repE0EEENS1_30default_config_static_selectorELNS0_4arch9wavefront6targetE0EEEvT1_ ; -- Begin function _ZN7rocprim17ROCPRIM_400000_NS6detail17trampoline_kernelINS0_14default_configENS1_25transform_config_selectorIiLb0EEEZNS1_14transform_implILb0ES3_S5_PiN6thrust23THRUST_200600_302600_NS6detail15normal_iteratorINS9_10device_ptrIiEEEENS0_8identityIiEEEE10hipError_tT2_T3_mT4_P12ihipStream_tbEUlT_E_NS1_11comp_targetILNS1_3genE10ELNS1_11target_archE1200ELNS1_3gpuE4ELNS1_3repE0EEENS1_30default_config_static_selectorELNS0_4arch9wavefront6targetE0EEEvT1_
	.globl	_ZN7rocprim17ROCPRIM_400000_NS6detail17trampoline_kernelINS0_14default_configENS1_25transform_config_selectorIiLb0EEEZNS1_14transform_implILb0ES3_S5_PiN6thrust23THRUST_200600_302600_NS6detail15normal_iteratorINS9_10device_ptrIiEEEENS0_8identityIiEEEE10hipError_tT2_T3_mT4_P12ihipStream_tbEUlT_E_NS1_11comp_targetILNS1_3genE10ELNS1_11target_archE1200ELNS1_3gpuE4ELNS1_3repE0EEENS1_30default_config_static_selectorELNS0_4arch9wavefront6targetE0EEEvT1_
	.p2align	8
	.type	_ZN7rocprim17ROCPRIM_400000_NS6detail17trampoline_kernelINS0_14default_configENS1_25transform_config_selectorIiLb0EEEZNS1_14transform_implILb0ES3_S5_PiN6thrust23THRUST_200600_302600_NS6detail15normal_iteratorINS9_10device_ptrIiEEEENS0_8identityIiEEEE10hipError_tT2_T3_mT4_P12ihipStream_tbEUlT_E_NS1_11comp_targetILNS1_3genE10ELNS1_11target_archE1200ELNS1_3gpuE4ELNS1_3repE0EEENS1_30default_config_static_selectorELNS0_4arch9wavefront6targetE0EEEvT1_,@function
_ZN7rocprim17ROCPRIM_400000_NS6detail17trampoline_kernelINS0_14default_configENS1_25transform_config_selectorIiLb0EEEZNS1_14transform_implILb0ES3_S5_PiN6thrust23THRUST_200600_302600_NS6detail15normal_iteratorINS9_10device_ptrIiEEEENS0_8identityIiEEEE10hipError_tT2_T3_mT4_P12ihipStream_tbEUlT_E_NS1_11comp_targetILNS1_3genE10ELNS1_11target_archE1200ELNS1_3gpuE4ELNS1_3repE0EEENS1_30default_config_static_selectorELNS0_4arch9wavefront6targetE0EEEvT1_: ; @_ZN7rocprim17ROCPRIM_400000_NS6detail17trampoline_kernelINS0_14default_configENS1_25transform_config_selectorIiLb0EEEZNS1_14transform_implILb0ES3_S5_PiN6thrust23THRUST_200600_302600_NS6detail15normal_iteratorINS9_10device_ptrIiEEEENS0_8identityIiEEEE10hipError_tT2_T3_mT4_P12ihipStream_tbEUlT_E_NS1_11comp_targetILNS1_3genE10ELNS1_11target_archE1200ELNS1_3gpuE4ELNS1_3repE0EEENS1_30default_config_static_selectorELNS0_4arch9wavefront6targetE0EEEvT1_
; %bb.0:
	.section	.rodata,"a",@progbits
	.p2align	6, 0x0
	.amdhsa_kernel _ZN7rocprim17ROCPRIM_400000_NS6detail17trampoline_kernelINS0_14default_configENS1_25transform_config_selectorIiLb0EEEZNS1_14transform_implILb0ES3_S5_PiN6thrust23THRUST_200600_302600_NS6detail15normal_iteratorINS9_10device_ptrIiEEEENS0_8identityIiEEEE10hipError_tT2_T3_mT4_P12ihipStream_tbEUlT_E_NS1_11comp_targetILNS1_3genE10ELNS1_11target_archE1200ELNS1_3gpuE4ELNS1_3repE0EEENS1_30default_config_static_selectorELNS0_4arch9wavefront6targetE0EEEvT1_
		.amdhsa_group_segment_fixed_size 0
		.amdhsa_private_segment_fixed_size 0
		.amdhsa_kernarg_size 40
		.amdhsa_user_sgpr_count 6
		.amdhsa_user_sgpr_private_segment_buffer 1
		.amdhsa_user_sgpr_dispatch_ptr 0
		.amdhsa_user_sgpr_queue_ptr 0
		.amdhsa_user_sgpr_kernarg_segment_ptr 1
		.amdhsa_user_sgpr_dispatch_id 0
		.amdhsa_user_sgpr_flat_scratch_init 0
		.amdhsa_user_sgpr_private_segment_size 0
		.amdhsa_wavefront_size32 1
		.amdhsa_uses_dynamic_stack 0
		.amdhsa_system_sgpr_private_segment_wavefront_offset 0
		.amdhsa_system_sgpr_workgroup_id_x 1
		.amdhsa_system_sgpr_workgroup_id_y 0
		.amdhsa_system_sgpr_workgroup_id_z 0
		.amdhsa_system_sgpr_workgroup_info 0
		.amdhsa_system_vgpr_workitem_id 0
		.amdhsa_next_free_vgpr 1
		.amdhsa_next_free_sgpr 1
		.amdhsa_reserve_vcc 0
		.amdhsa_reserve_flat_scratch 0
		.amdhsa_float_round_mode_32 0
		.amdhsa_float_round_mode_16_64 0
		.amdhsa_float_denorm_mode_32 3
		.amdhsa_float_denorm_mode_16_64 3
		.amdhsa_dx10_clamp 1
		.amdhsa_ieee_mode 1
		.amdhsa_fp16_overflow 0
		.amdhsa_workgroup_processor_mode 1
		.amdhsa_memory_ordered 1
		.amdhsa_forward_progress 1
		.amdhsa_shared_vgpr_count 0
		.amdhsa_exception_fp_ieee_invalid_op 0
		.amdhsa_exception_fp_denorm_src 0
		.amdhsa_exception_fp_ieee_div_zero 0
		.amdhsa_exception_fp_ieee_overflow 0
		.amdhsa_exception_fp_ieee_underflow 0
		.amdhsa_exception_fp_ieee_inexact 0
		.amdhsa_exception_int_div_zero 0
	.end_amdhsa_kernel
	.section	.text._ZN7rocprim17ROCPRIM_400000_NS6detail17trampoline_kernelINS0_14default_configENS1_25transform_config_selectorIiLb0EEEZNS1_14transform_implILb0ES3_S5_PiN6thrust23THRUST_200600_302600_NS6detail15normal_iteratorINS9_10device_ptrIiEEEENS0_8identityIiEEEE10hipError_tT2_T3_mT4_P12ihipStream_tbEUlT_E_NS1_11comp_targetILNS1_3genE10ELNS1_11target_archE1200ELNS1_3gpuE4ELNS1_3repE0EEENS1_30default_config_static_selectorELNS0_4arch9wavefront6targetE0EEEvT1_,"axG",@progbits,_ZN7rocprim17ROCPRIM_400000_NS6detail17trampoline_kernelINS0_14default_configENS1_25transform_config_selectorIiLb0EEEZNS1_14transform_implILb0ES3_S5_PiN6thrust23THRUST_200600_302600_NS6detail15normal_iteratorINS9_10device_ptrIiEEEENS0_8identityIiEEEE10hipError_tT2_T3_mT4_P12ihipStream_tbEUlT_E_NS1_11comp_targetILNS1_3genE10ELNS1_11target_archE1200ELNS1_3gpuE4ELNS1_3repE0EEENS1_30default_config_static_selectorELNS0_4arch9wavefront6targetE0EEEvT1_,comdat
.Lfunc_end483:
	.size	_ZN7rocprim17ROCPRIM_400000_NS6detail17trampoline_kernelINS0_14default_configENS1_25transform_config_selectorIiLb0EEEZNS1_14transform_implILb0ES3_S5_PiN6thrust23THRUST_200600_302600_NS6detail15normal_iteratorINS9_10device_ptrIiEEEENS0_8identityIiEEEE10hipError_tT2_T3_mT4_P12ihipStream_tbEUlT_E_NS1_11comp_targetILNS1_3genE10ELNS1_11target_archE1200ELNS1_3gpuE4ELNS1_3repE0EEENS1_30default_config_static_selectorELNS0_4arch9wavefront6targetE0EEEvT1_, .Lfunc_end483-_ZN7rocprim17ROCPRIM_400000_NS6detail17trampoline_kernelINS0_14default_configENS1_25transform_config_selectorIiLb0EEEZNS1_14transform_implILb0ES3_S5_PiN6thrust23THRUST_200600_302600_NS6detail15normal_iteratorINS9_10device_ptrIiEEEENS0_8identityIiEEEE10hipError_tT2_T3_mT4_P12ihipStream_tbEUlT_E_NS1_11comp_targetILNS1_3genE10ELNS1_11target_archE1200ELNS1_3gpuE4ELNS1_3repE0EEENS1_30default_config_static_selectorELNS0_4arch9wavefront6targetE0EEEvT1_
                                        ; -- End function
	.set _ZN7rocprim17ROCPRIM_400000_NS6detail17trampoline_kernelINS0_14default_configENS1_25transform_config_selectorIiLb0EEEZNS1_14transform_implILb0ES3_S5_PiN6thrust23THRUST_200600_302600_NS6detail15normal_iteratorINS9_10device_ptrIiEEEENS0_8identityIiEEEE10hipError_tT2_T3_mT4_P12ihipStream_tbEUlT_E_NS1_11comp_targetILNS1_3genE10ELNS1_11target_archE1200ELNS1_3gpuE4ELNS1_3repE0EEENS1_30default_config_static_selectorELNS0_4arch9wavefront6targetE0EEEvT1_.num_vgpr, 0
	.set _ZN7rocprim17ROCPRIM_400000_NS6detail17trampoline_kernelINS0_14default_configENS1_25transform_config_selectorIiLb0EEEZNS1_14transform_implILb0ES3_S5_PiN6thrust23THRUST_200600_302600_NS6detail15normal_iteratorINS9_10device_ptrIiEEEENS0_8identityIiEEEE10hipError_tT2_T3_mT4_P12ihipStream_tbEUlT_E_NS1_11comp_targetILNS1_3genE10ELNS1_11target_archE1200ELNS1_3gpuE4ELNS1_3repE0EEENS1_30default_config_static_selectorELNS0_4arch9wavefront6targetE0EEEvT1_.num_agpr, 0
	.set _ZN7rocprim17ROCPRIM_400000_NS6detail17trampoline_kernelINS0_14default_configENS1_25transform_config_selectorIiLb0EEEZNS1_14transform_implILb0ES3_S5_PiN6thrust23THRUST_200600_302600_NS6detail15normal_iteratorINS9_10device_ptrIiEEEENS0_8identityIiEEEE10hipError_tT2_T3_mT4_P12ihipStream_tbEUlT_E_NS1_11comp_targetILNS1_3genE10ELNS1_11target_archE1200ELNS1_3gpuE4ELNS1_3repE0EEENS1_30default_config_static_selectorELNS0_4arch9wavefront6targetE0EEEvT1_.numbered_sgpr, 0
	.set _ZN7rocprim17ROCPRIM_400000_NS6detail17trampoline_kernelINS0_14default_configENS1_25transform_config_selectorIiLb0EEEZNS1_14transform_implILb0ES3_S5_PiN6thrust23THRUST_200600_302600_NS6detail15normal_iteratorINS9_10device_ptrIiEEEENS0_8identityIiEEEE10hipError_tT2_T3_mT4_P12ihipStream_tbEUlT_E_NS1_11comp_targetILNS1_3genE10ELNS1_11target_archE1200ELNS1_3gpuE4ELNS1_3repE0EEENS1_30default_config_static_selectorELNS0_4arch9wavefront6targetE0EEEvT1_.num_named_barrier, 0
	.set _ZN7rocprim17ROCPRIM_400000_NS6detail17trampoline_kernelINS0_14default_configENS1_25transform_config_selectorIiLb0EEEZNS1_14transform_implILb0ES3_S5_PiN6thrust23THRUST_200600_302600_NS6detail15normal_iteratorINS9_10device_ptrIiEEEENS0_8identityIiEEEE10hipError_tT2_T3_mT4_P12ihipStream_tbEUlT_E_NS1_11comp_targetILNS1_3genE10ELNS1_11target_archE1200ELNS1_3gpuE4ELNS1_3repE0EEENS1_30default_config_static_selectorELNS0_4arch9wavefront6targetE0EEEvT1_.private_seg_size, 0
	.set _ZN7rocprim17ROCPRIM_400000_NS6detail17trampoline_kernelINS0_14default_configENS1_25transform_config_selectorIiLb0EEEZNS1_14transform_implILb0ES3_S5_PiN6thrust23THRUST_200600_302600_NS6detail15normal_iteratorINS9_10device_ptrIiEEEENS0_8identityIiEEEE10hipError_tT2_T3_mT4_P12ihipStream_tbEUlT_E_NS1_11comp_targetILNS1_3genE10ELNS1_11target_archE1200ELNS1_3gpuE4ELNS1_3repE0EEENS1_30default_config_static_selectorELNS0_4arch9wavefront6targetE0EEEvT1_.uses_vcc, 0
	.set _ZN7rocprim17ROCPRIM_400000_NS6detail17trampoline_kernelINS0_14default_configENS1_25transform_config_selectorIiLb0EEEZNS1_14transform_implILb0ES3_S5_PiN6thrust23THRUST_200600_302600_NS6detail15normal_iteratorINS9_10device_ptrIiEEEENS0_8identityIiEEEE10hipError_tT2_T3_mT4_P12ihipStream_tbEUlT_E_NS1_11comp_targetILNS1_3genE10ELNS1_11target_archE1200ELNS1_3gpuE4ELNS1_3repE0EEENS1_30default_config_static_selectorELNS0_4arch9wavefront6targetE0EEEvT1_.uses_flat_scratch, 0
	.set _ZN7rocprim17ROCPRIM_400000_NS6detail17trampoline_kernelINS0_14default_configENS1_25transform_config_selectorIiLb0EEEZNS1_14transform_implILb0ES3_S5_PiN6thrust23THRUST_200600_302600_NS6detail15normal_iteratorINS9_10device_ptrIiEEEENS0_8identityIiEEEE10hipError_tT2_T3_mT4_P12ihipStream_tbEUlT_E_NS1_11comp_targetILNS1_3genE10ELNS1_11target_archE1200ELNS1_3gpuE4ELNS1_3repE0EEENS1_30default_config_static_selectorELNS0_4arch9wavefront6targetE0EEEvT1_.has_dyn_sized_stack, 0
	.set _ZN7rocprim17ROCPRIM_400000_NS6detail17trampoline_kernelINS0_14default_configENS1_25transform_config_selectorIiLb0EEEZNS1_14transform_implILb0ES3_S5_PiN6thrust23THRUST_200600_302600_NS6detail15normal_iteratorINS9_10device_ptrIiEEEENS0_8identityIiEEEE10hipError_tT2_T3_mT4_P12ihipStream_tbEUlT_E_NS1_11comp_targetILNS1_3genE10ELNS1_11target_archE1200ELNS1_3gpuE4ELNS1_3repE0EEENS1_30default_config_static_selectorELNS0_4arch9wavefront6targetE0EEEvT1_.has_recursion, 0
	.set _ZN7rocprim17ROCPRIM_400000_NS6detail17trampoline_kernelINS0_14default_configENS1_25transform_config_selectorIiLb0EEEZNS1_14transform_implILb0ES3_S5_PiN6thrust23THRUST_200600_302600_NS6detail15normal_iteratorINS9_10device_ptrIiEEEENS0_8identityIiEEEE10hipError_tT2_T3_mT4_P12ihipStream_tbEUlT_E_NS1_11comp_targetILNS1_3genE10ELNS1_11target_archE1200ELNS1_3gpuE4ELNS1_3repE0EEENS1_30default_config_static_selectorELNS0_4arch9wavefront6targetE0EEEvT1_.has_indirect_call, 0
	.section	.AMDGPU.csdata,"",@progbits
; Kernel info:
; codeLenInByte = 0
; TotalNumSgprs: 0
; NumVgprs: 0
; ScratchSize: 0
; MemoryBound: 0
; FloatMode: 240
; IeeeMode: 1
; LDSByteSize: 0 bytes/workgroup (compile time only)
; SGPRBlocks: 0
; VGPRBlocks: 0
; NumSGPRsForWavesPerEU: 1
; NumVGPRsForWavesPerEU: 1
; Occupancy: 16
; WaveLimiterHint : 0
; COMPUTE_PGM_RSRC2:SCRATCH_EN: 0
; COMPUTE_PGM_RSRC2:USER_SGPR: 6
; COMPUTE_PGM_RSRC2:TRAP_HANDLER: 0
; COMPUTE_PGM_RSRC2:TGID_X_EN: 1
; COMPUTE_PGM_RSRC2:TGID_Y_EN: 0
; COMPUTE_PGM_RSRC2:TGID_Z_EN: 0
; COMPUTE_PGM_RSRC2:TIDIG_COMP_CNT: 0
	.section	.text._ZN7rocprim17ROCPRIM_400000_NS6detail17trampoline_kernelINS0_14default_configENS1_25transform_config_selectorIiLb0EEEZNS1_14transform_implILb0ES3_S5_PiN6thrust23THRUST_200600_302600_NS6detail15normal_iteratorINS9_10device_ptrIiEEEENS0_8identityIiEEEE10hipError_tT2_T3_mT4_P12ihipStream_tbEUlT_E_NS1_11comp_targetILNS1_3genE9ELNS1_11target_archE1100ELNS1_3gpuE3ELNS1_3repE0EEENS1_30default_config_static_selectorELNS0_4arch9wavefront6targetE0EEEvT1_,"axG",@progbits,_ZN7rocprim17ROCPRIM_400000_NS6detail17trampoline_kernelINS0_14default_configENS1_25transform_config_selectorIiLb0EEEZNS1_14transform_implILb0ES3_S5_PiN6thrust23THRUST_200600_302600_NS6detail15normal_iteratorINS9_10device_ptrIiEEEENS0_8identityIiEEEE10hipError_tT2_T3_mT4_P12ihipStream_tbEUlT_E_NS1_11comp_targetILNS1_3genE9ELNS1_11target_archE1100ELNS1_3gpuE3ELNS1_3repE0EEENS1_30default_config_static_selectorELNS0_4arch9wavefront6targetE0EEEvT1_,comdat
	.protected	_ZN7rocprim17ROCPRIM_400000_NS6detail17trampoline_kernelINS0_14default_configENS1_25transform_config_selectorIiLb0EEEZNS1_14transform_implILb0ES3_S5_PiN6thrust23THRUST_200600_302600_NS6detail15normal_iteratorINS9_10device_ptrIiEEEENS0_8identityIiEEEE10hipError_tT2_T3_mT4_P12ihipStream_tbEUlT_E_NS1_11comp_targetILNS1_3genE9ELNS1_11target_archE1100ELNS1_3gpuE3ELNS1_3repE0EEENS1_30default_config_static_selectorELNS0_4arch9wavefront6targetE0EEEvT1_ ; -- Begin function _ZN7rocprim17ROCPRIM_400000_NS6detail17trampoline_kernelINS0_14default_configENS1_25transform_config_selectorIiLb0EEEZNS1_14transform_implILb0ES3_S5_PiN6thrust23THRUST_200600_302600_NS6detail15normal_iteratorINS9_10device_ptrIiEEEENS0_8identityIiEEEE10hipError_tT2_T3_mT4_P12ihipStream_tbEUlT_E_NS1_11comp_targetILNS1_3genE9ELNS1_11target_archE1100ELNS1_3gpuE3ELNS1_3repE0EEENS1_30default_config_static_selectorELNS0_4arch9wavefront6targetE0EEEvT1_
	.globl	_ZN7rocprim17ROCPRIM_400000_NS6detail17trampoline_kernelINS0_14default_configENS1_25transform_config_selectorIiLb0EEEZNS1_14transform_implILb0ES3_S5_PiN6thrust23THRUST_200600_302600_NS6detail15normal_iteratorINS9_10device_ptrIiEEEENS0_8identityIiEEEE10hipError_tT2_T3_mT4_P12ihipStream_tbEUlT_E_NS1_11comp_targetILNS1_3genE9ELNS1_11target_archE1100ELNS1_3gpuE3ELNS1_3repE0EEENS1_30default_config_static_selectorELNS0_4arch9wavefront6targetE0EEEvT1_
	.p2align	8
	.type	_ZN7rocprim17ROCPRIM_400000_NS6detail17trampoline_kernelINS0_14default_configENS1_25transform_config_selectorIiLb0EEEZNS1_14transform_implILb0ES3_S5_PiN6thrust23THRUST_200600_302600_NS6detail15normal_iteratorINS9_10device_ptrIiEEEENS0_8identityIiEEEE10hipError_tT2_T3_mT4_P12ihipStream_tbEUlT_E_NS1_11comp_targetILNS1_3genE9ELNS1_11target_archE1100ELNS1_3gpuE3ELNS1_3repE0EEENS1_30default_config_static_selectorELNS0_4arch9wavefront6targetE0EEEvT1_,@function
_ZN7rocprim17ROCPRIM_400000_NS6detail17trampoline_kernelINS0_14default_configENS1_25transform_config_selectorIiLb0EEEZNS1_14transform_implILb0ES3_S5_PiN6thrust23THRUST_200600_302600_NS6detail15normal_iteratorINS9_10device_ptrIiEEEENS0_8identityIiEEEE10hipError_tT2_T3_mT4_P12ihipStream_tbEUlT_E_NS1_11comp_targetILNS1_3genE9ELNS1_11target_archE1100ELNS1_3gpuE3ELNS1_3repE0EEENS1_30default_config_static_selectorELNS0_4arch9wavefront6targetE0EEEvT1_: ; @_ZN7rocprim17ROCPRIM_400000_NS6detail17trampoline_kernelINS0_14default_configENS1_25transform_config_selectorIiLb0EEEZNS1_14transform_implILb0ES3_S5_PiN6thrust23THRUST_200600_302600_NS6detail15normal_iteratorINS9_10device_ptrIiEEEENS0_8identityIiEEEE10hipError_tT2_T3_mT4_P12ihipStream_tbEUlT_E_NS1_11comp_targetILNS1_3genE9ELNS1_11target_archE1100ELNS1_3gpuE3ELNS1_3repE0EEENS1_30default_config_static_selectorELNS0_4arch9wavefront6targetE0EEEvT1_
; %bb.0:
	.section	.rodata,"a",@progbits
	.p2align	6, 0x0
	.amdhsa_kernel _ZN7rocprim17ROCPRIM_400000_NS6detail17trampoline_kernelINS0_14default_configENS1_25transform_config_selectorIiLb0EEEZNS1_14transform_implILb0ES3_S5_PiN6thrust23THRUST_200600_302600_NS6detail15normal_iteratorINS9_10device_ptrIiEEEENS0_8identityIiEEEE10hipError_tT2_T3_mT4_P12ihipStream_tbEUlT_E_NS1_11comp_targetILNS1_3genE9ELNS1_11target_archE1100ELNS1_3gpuE3ELNS1_3repE0EEENS1_30default_config_static_selectorELNS0_4arch9wavefront6targetE0EEEvT1_
		.amdhsa_group_segment_fixed_size 0
		.amdhsa_private_segment_fixed_size 0
		.amdhsa_kernarg_size 40
		.amdhsa_user_sgpr_count 6
		.amdhsa_user_sgpr_private_segment_buffer 1
		.amdhsa_user_sgpr_dispatch_ptr 0
		.amdhsa_user_sgpr_queue_ptr 0
		.amdhsa_user_sgpr_kernarg_segment_ptr 1
		.amdhsa_user_sgpr_dispatch_id 0
		.amdhsa_user_sgpr_flat_scratch_init 0
		.amdhsa_user_sgpr_private_segment_size 0
		.amdhsa_wavefront_size32 1
		.amdhsa_uses_dynamic_stack 0
		.amdhsa_system_sgpr_private_segment_wavefront_offset 0
		.amdhsa_system_sgpr_workgroup_id_x 1
		.amdhsa_system_sgpr_workgroup_id_y 0
		.amdhsa_system_sgpr_workgroup_id_z 0
		.amdhsa_system_sgpr_workgroup_info 0
		.amdhsa_system_vgpr_workitem_id 0
		.amdhsa_next_free_vgpr 1
		.amdhsa_next_free_sgpr 1
		.amdhsa_reserve_vcc 0
		.amdhsa_reserve_flat_scratch 0
		.amdhsa_float_round_mode_32 0
		.amdhsa_float_round_mode_16_64 0
		.amdhsa_float_denorm_mode_32 3
		.amdhsa_float_denorm_mode_16_64 3
		.amdhsa_dx10_clamp 1
		.amdhsa_ieee_mode 1
		.amdhsa_fp16_overflow 0
		.amdhsa_workgroup_processor_mode 1
		.amdhsa_memory_ordered 1
		.amdhsa_forward_progress 1
		.amdhsa_shared_vgpr_count 0
		.amdhsa_exception_fp_ieee_invalid_op 0
		.amdhsa_exception_fp_denorm_src 0
		.amdhsa_exception_fp_ieee_div_zero 0
		.amdhsa_exception_fp_ieee_overflow 0
		.amdhsa_exception_fp_ieee_underflow 0
		.amdhsa_exception_fp_ieee_inexact 0
		.amdhsa_exception_int_div_zero 0
	.end_amdhsa_kernel
	.section	.text._ZN7rocprim17ROCPRIM_400000_NS6detail17trampoline_kernelINS0_14default_configENS1_25transform_config_selectorIiLb0EEEZNS1_14transform_implILb0ES3_S5_PiN6thrust23THRUST_200600_302600_NS6detail15normal_iteratorINS9_10device_ptrIiEEEENS0_8identityIiEEEE10hipError_tT2_T3_mT4_P12ihipStream_tbEUlT_E_NS1_11comp_targetILNS1_3genE9ELNS1_11target_archE1100ELNS1_3gpuE3ELNS1_3repE0EEENS1_30default_config_static_selectorELNS0_4arch9wavefront6targetE0EEEvT1_,"axG",@progbits,_ZN7rocprim17ROCPRIM_400000_NS6detail17trampoline_kernelINS0_14default_configENS1_25transform_config_selectorIiLb0EEEZNS1_14transform_implILb0ES3_S5_PiN6thrust23THRUST_200600_302600_NS6detail15normal_iteratorINS9_10device_ptrIiEEEENS0_8identityIiEEEE10hipError_tT2_T3_mT4_P12ihipStream_tbEUlT_E_NS1_11comp_targetILNS1_3genE9ELNS1_11target_archE1100ELNS1_3gpuE3ELNS1_3repE0EEENS1_30default_config_static_selectorELNS0_4arch9wavefront6targetE0EEEvT1_,comdat
.Lfunc_end484:
	.size	_ZN7rocprim17ROCPRIM_400000_NS6detail17trampoline_kernelINS0_14default_configENS1_25transform_config_selectorIiLb0EEEZNS1_14transform_implILb0ES3_S5_PiN6thrust23THRUST_200600_302600_NS6detail15normal_iteratorINS9_10device_ptrIiEEEENS0_8identityIiEEEE10hipError_tT2_T3_mT4_P12ihipStream_tbEUlT_E_NS1_11comp_targetILNS1_3genE9ELNS1_11target_archE1100ELNS1_3gpuE3ELNS1_3repE0EEENS1_30default_config_static_selectorELNS0_4arch9wavefront6targetE0EEEvT1_, .Lfunc_end484-_ZN7rocprim17ROCPRIM_400000_NS6detail17trampoline_kernelINS0_14default_configENS1_25transform_config_selectorIiLb0EEEZNS1_14transform_implILb0ES3_S5_PiN6thrust23THRUST_200600_302600_NS6detail15normal_iteratorINS9_10device_ptrIiEEEENS0_8identityIiEEEE10hipError_tT2_T3_mT4_P12ihipStream_tbEUlT_E_NS1_11comp_targetILNS1_3genE9ELNS1_11target_archE1100ELNS1_3gpuE3ELNS1_3repE0EEENS1_30default_config_static_selectorELNS0_4arch9wavefront6targetE0EEEvT1_
                                        ; -- End function
	.set _ZN7rocprim17ROCPRIM_400000_NS6detail17trampoline_kernelINS0_14default_configENS1_25transform_config_selectorIiLb0EEEZNS1_14transform_implILb0ES3_S5_PiN6thrust23THRUST_200600_302600_NS6detail15normal_iteratorINS9_10device_ptrIiEEEENS0_8identityIiEEEE10hipError_tT2_T3_mT4_P12ihipStream_tbEUlT_E_NS1_11comp_targetILNS1_3genE9ELNS1_11target_archE1100ELNS1_3gpuE3ELNS1_3repE0EEENS1_30default_config_static_selectorELNS0_4arch9wavefront6targetE0EEEvT1_.num_vgpr, 0
	.set _ZN7rocprim17ROCPRIM_400000_NS6detail17trampoline_kernelINS0_14default_configENS1_25transform_config_selectorIiLb0EEEZNS1_14transform_implILb0ES3_S5_PiN6thrust23THRUST_200600_302600_NS6detail15normal_iteratorINS9_10device_ptrIiEEEENS0_8identityIiEEEE10hipError_tT2_T3_mT4_P12ihipStream_tbEUlT_E_NS1_11comp_targetILNS1_3genE9ELNS1_11target_archE1100ELNS1_3gpuE3ELNS1_3repE0EEENS1_30default_config_static_selectorELNS0_4arch9wavefront6targetE0EEEvT1_.num_agpr, 0
	.set _ZN7rocprim17ROCPRIM_400000_NS6detail17trampoline_kernelINS0_14default_configENS1_25transform_config_selectorIiLb0EEEZNS1_14transform_implILb0ES3_S5_PiN6thrust23THRUST_200600_302600_NS6detail15normal_iteratorINS9_10device_ptrIiEEEENS0_8identityIiEEEE10hipError_tT2_T3_mT4_P12ihipStream_tbEUlT_E_NS1_11comp_targetILNS1_3genE9ELNS1_11target_archE1100ELNS1_3gpuE3ELNS1_3repE0EEENS1_30default_config_static_selectorELNS0_4arch9wavefront6targetE0EEEvT1_.numbered_sgpr, 0
	.set _ZN7rocprim17ROCPRIM_400000_NS6detail17trampoline_kernelINS0_14default_configENS1_25transform_config_selectorIiLb0EEEZNS1_14transform_implILb0ES3_S5_PiN6thrust23THRUST_200600_302600_NS6detail15normal_iteratorINS9_10device_ptrIiEEEENS0_8identityIiEEEE10hipError_tT2_T3_mT4_P12ihipStream_tbEUlT_E_NS1_11comp_targetILNS1_3genE9ELNS1_11target_archE1100ELNS1_3gpuE3ELNS1_3repE0EEENS1_30default_config_static_selectorELNS0_4arch9wavefront6targetE0EEEvT1_.num_named_barrier, 0
	.set _ZN7rocprim17ROCPRIM_400000_NS6detail17trampoline_kernelINS0_14default_configENS1_25transform_config_selectorIiLb0EEEZNS1_14transform_implILb0ES3_S5_PiN6thrust23THRUST_200600_302600_NS6detail15normal_iteratorINS9_10device_ptrIiEEEENS0_8identityIiEEEE10hipError_tT2_T3_mT4_P12ihipStream_tbEUlT_E_NS1_11comp_targetILNS1_3genE9ELNS1_11target_archE1100ELNS1_3gpuE3ELNS1_3repE0EEENS1_30default_config_static_selectorELNS0_4arch9wavefront6targetE0EEEvT1_.private_seg_size, 0
	.set _ZN7rocprim17ROCPRIM_400000_NS6detail17trampoline_kernelINS0_14default_configENS1_25transform_config_selectorIiLb0EEEZNS1_14transform_implILb0ES3_S5_PiN6thrust23THRUST_200600_302600_NS6detail15normal_iteratorINS9_10device_ptrIiEEEENS0_8identityIiEEEE10hipError_tT2_T3_mT4_P12ihipStream_tbEUlT_E_NS1_11comp_targetILNS1_3genE9ELNS1_11target_archE1100ELNS1_3gpuE3ELNS1_3repE0EEENS1_30default_config_static_selectorELNS0_4arch9wavefront6targetE0EEEvT1_.uses_vcc, 0
	.set _ZN7rocprim17ROCPRIM_400000_NS6detail17trampoline_kernelINS0_14default_configENS1_25transform_config_selectorIiLb0EEEZNS1_14transform_implILb0ES3_S5_PiN6thrust23THRUST_200600_302600_NS6detail15normal_iteratorINS9_10device_ptrIiEEEENS0_8identityIiEEEE10hipError_tT2_T3_mT4_P12ihipStream_tbEUlT_E_NS1_11comp_targetILNS1_3genE9ELNS1_11target_archE1100ELNS1_3gpuE3ELNS1_3repE0EEENS1_30default_config_static_selectorELNS0_4arch9wavefront6targetE0EEEvT1_.uses_flat_scratch, 0
	.set _ZN7rocprim17ROCPRIM_400000_NS6detail17trampoline_kernelINS0_14default_configENS1_25transform_config_selectorIiLb0EEEZNS1_14transform_implILb0ES3_S5_PiN6thrust23THRUST_200600_302600_NS6detail15normal_iteratorINS9_10device_ptrIiEEEENS0_8identityIiEEEE10hipError_tT2_T3_mT4_P12ihipStream_tbEUlT_E_NS1_11comp_targetILNS1_3genE9ELNS1_11target_archE1100ELNS1_3gpuE3ELNS1_3repE0EEENS1_30default_config_static_selectorELNS0_4arch9wavefront6targetE0EEEvT1_.has_dyn_sized_stack, 0
	.set _ZN7rocprim17ROCPRIM_400000_NS6detail17trampoline_kernelINS0_14default_configENS1_25transform_config_selectorIiLb0EEEZNS1_14transform_implILb0ES3_S5_PiN6thrust23THRUST_200600_302600_NS6detail15normal_iteratorINS9_10device_ptrIiEEEENS0_8identityIiEEEE10hipError_tT2_T3_mT4_P12ihipStream_tbEUlT_E_NS1_11comp_targetILNS1_3genE9ELNS1_11target_archE1100ELNS1_3gpuE3ELNS1_3repE0EEENS1_30default_config_static_selectorELNS0_4arch9wavefront6targetE0EEEvT1_.has_recursion, 0
	.set _ZN7rocprim17ROCPRIM_400000_NS6detail17trampoline_kernelINS0_14default_configENS1_25transform_config_selectorIiLb0EEEZNS1_14transform_implILb0ES3_S5_PiN6thrust23THRUST_200600_302600_NS6detail15normal_iteratorINS9_10device_ptrIiEEEENS0_8identityIiEEEE10hipError_tT2_T3_mT4_P12ihipStream_tbEUlT_E_NS1_11comp_targetILNS1_3genE9ELNS1_11target_archE1100ELNS1_3gpuE3ELNS1_3repE0EEENS1_30default_config_static_selectorELNS0_4arch9wavefront6targetE0EEEvT1_.has_indirect_call, 0
	.section	.AMDGPU.csdata,"",@progbits
; Kernel info:
; codeLenInByte = 0
; TotalNumSgprs: 0
; NumVgprs: 0
; ScratchSize: 0
; MemoryBound: 0
; FloatMode: 240
; IeeeMode: 1
; LDSByteSize: 0 bytes/workgroup (compile time only)
; SGPRBlocks: 0
; VGPRBlocks: 0
; NumSGPRsForWavesPerEU: 1
; NumVGPRsForWavesPerEU: 1
; Occupancy: 16
; WaveLimiterHint : 0
; COMPUTE_PGM_RSRC2:SCRATCH_EN: 0
; COMPUTE_PGM_RSRC2:USER_SGPR: 6
; COMPUTE_PGM_RSRC2:TRAP_HANDLER: 0
; COMPUTE_PGM_RSRC2:TGID_X_EN: 1
; COMPUTE_PGM_RSRC2:TGID_Y_EN: 0
; COMPUTE_PGM_RSRC2:TGID_Z_EN: 0
; COMPUTE_PGM_RSRC2:TIDIG_COMP_CNT: 0
	.section	.text._ZN7rocprim17ROCPRIM_400000_NS6detail17trampoline_kernelINS0_14default_configENS1_25transform_config_selectorIiLb0EEEZNS1_14transform_implILb0ES3_S5_PiN6thrust23THRUST_200600_302600_NS6detail15normal_iteratorINS9_10device_ptrIiEEEENS0_8identityIiEEEE10hipError_tT2_T3_mT4_P12ihipStream_tbEUlT_E_NS1_11comp_targetILNS1_3genE8ELNS1_11target_archE1030ELNS1_3gpuE2ELNS1_3repE0EEENS1_30default_config_static_selectorELNS0_4arch9wavefront6targetE0EEEvT1_,"axG",@progbits,_ZN7rocprim17ROCPRIM_400000_NS6detail17trampoline_kernelINS0_14default_configENS1_25transform_config_selectorIiLb0EEEZNS1_14transform_implILb0ES3_S5_PiN6thrust23THRUST_200600_302600_NS6detail15normal_iteratorINS9_10device_ptrIiEEEENS0_8identityIiEEEE10hipError_tT2_T3_mT4_P12ihipStream_tbEUlT_E_NS1_11comp_targetILNS1_3genE8ELNS1_11target_archE1030ELNS1_3gpuE2ELNS1_3repE0EEENS1_30default_config_static_selectorELNS0_4arch9wavefront6targetE0EEEvT1_,comdat
	.protected	_ZN7rocprim17ROCPRIM_400000_NS6detail17trampoline_kernelINS0_14default_configENS1_25transform_config_selectorIiLb0EEEZNS1_14transform_implILb0ES3_S5_PiN6thrust23THRUST_200600_302600_NS6detail15normal_iteratorINS9_10device_ptrIiEEEENS0_8identityIiEEEE10hipError_tT2_T3_mT4_P12ihipStream_tbEUlT_E_NS1_11comp_targetILNS1_3genE8ELNS1_11target_archE1030ELNS1_3gpuE2ELNS1_3repE0EEENS1_30default_config_static_selectorELNS0_4arch9wavefront6targetE0EEEvT1_ ; -- Begin function _ZN7rocprim17ROCPRIM_400000_NS6detail17trampoline_kernelINS0_14default_configENS1_25transform_config_selectorIiLb0EEEZNS1_14transform_implILb0ES3_S5_PiN6thrust23THRUST_200600_302600_NS6detail15normal_iteratorINS9_10device_ptrIiEEEENS0_8identityIiEEEE10hipError_tT2_T3_mT4_P12ihipStream_tbEUlT_E_NS1_11comp_targetILNS1_3genE8ELNS1_11target_archE1030ELNS1_3gpuE2ELNS1_3repE0EEENS1_30default_config_static_selectorELNS0_4arch9wavefront6targetE0EEEvT1_
	.globl	_ZN7rocprim17ROCPRIM_400000_NS6detail17trampoline_kernelINS0_14default_configENS1_25transform_config_selectorIiLb0EEEZNS1_14transform_implILb0ES3_S5_PiN6thrust23THRUST_200600_302600_NS6detail15normal_iteratorINS9_10device_ptrIiEEEENS0_8identityIiEEEE10hipError_tT2_T3_mT4_P12ihipStream_tbEUlT_E_NS1_11comp_targetILNS1_3genE8ELNS1_11target_archE1030ELNS1_3gpuE2ELNS1_3repE0EEENS1_30default_config_static_selectorELNS0_4arch9wavefront6targetE0EEEvT1_
	.p2align	8
	.type	_ZN7rocprim17ROCPRIM_400000_NS6detail17trampoline_kernelINS0_14default_configENS1_25transform_config_selectorIiLb0EEEZNS1_14transform_implILb0ES3_S5_PiN6thrust23THRUST_200600_302600_NS6detail15normal_iteratorINS9_10device_ptrIiEEEENS0_8identityIiEEEE10hipError_tT2_T3_mT4_P12ihipStream_tbEUlT_E_NS1_11comp_targetILNS1_3genE8ELNS1_11target_archE1030ELNS1_3gpuE2ELNS1_3repE0EEENS1_30default_config_static_selectorELNS0_4arch9wavefront6targetE0EEEvT1_,@function
_ZN7rocprim17ROCPRIM_400000_NS6detail17trampoline_kernelINS0_14default_configENS1_25transform_config_selectorIiLb0EEEZNS1_14transform_implILb0ES3_S5_PiN6thrust23THRUST_200600_302600_NS6detail15normal_iteratorINS9_10device_ptrIiEEEENS0_8identityIiEEEE10hipError_tT2_T3_mT4_P12ihipStream_tbEUlT_E_NS1_11comp_targetILNS1_3genE8ELNS1_11target_archE1030ELNS1_3gpuE2ELNS1_3repE0EEENS1_30default_config_static_selectorELNS0_4arch9wavefront6targetE0EEEvT1_: ; @_ZN7rocprim17ROCPRIM_400000_NS6detail17trampoline_kernelINS0_14default_configENS1_25transform_config_selectorIiLb0EEEZNS1_14transform_implILb0ES3_S5_PiN6thrust23THRUST_200600_302600_NS6detail15normal_iteratorINS9_10device_ptrIiEEEENS0_8identityIiEEEE10hipError_tT2_T3_mT4_P12ihipStream_tbEUlT_E_NS1_11comp_targetILNS1_3genE8ELNS1_11target_archE1030ELNS1_3gpuE2ELNS1_3repE0EEENS1_30default_config_static_selectorELNS0_4arch9wavefront6targetE0EEEvT1_
; %bb.0:
	s_clause 0x1
	s_load_dword s0, s[4:5], 0x28
	s_load_dword s1, s[4:5], 0x10
	s_waitcnt lgkmcnt(0)
	s_add_i32 s2, s0, -1
	s_lshl_b32 s0, s6, 8
	s_cmp_lg_u32 s6, s2
	s_cselect_b32 s2, -1, 0
	s_sub_i32 s1, s1, s0
	v_cmp_gt_u32_e32 vcc_lo, s1, v0
	s_or_b32 s1, vcc_lo, s2
	s_and_saveexec_b32 s2, s1
	s_cbranch_execz .LBB485_2
; %bb.1:
	s_clause 0x1
	s_load_dwordx4 s[8:11], s[4:5], 0x0
	s_load_dwordx2 s[2:3], s[4:5], 0x18
	s_mov_b32 s1, 0
	v_lshlrev_b32_e32 v0, 2, v0
	s_waitcnt lgkmcnt(0)
	s_lshl_b64 s[4:5], s[10:11], 2
	s_add_u32 s6, s8, s4
	s_addc_u32 s7, s9, s5
	s_lshl_b64 s[0:1], s[0:1], 2
	s_add_u32 s6, s6, s0
	s_addc_u32 s7, s7, s1
	s_add_u32 s2, s2, s4
	global_load_dword v2, v0, s[6:7]
	s_addc_u32 s3, s3, s5
	s_add_u32 s0, s2, s0
	s_addc_u32 s1, s3, s1
	v_add_co_u32 v0, s0, s0, v0
	v_add_co_ci_u32_e64 v1, null, s1, 0, s0
	s_waitcnt vmcnt(0)
	flat_store_dword v[0:1], v2
.LBB485_2:
	s_endpgm
	.section	.rodata,"a",@progbits
	.p2align	6, 0x0
	.amdhsa_kernel _ZN7rocprim17ROCPRIM_400000_NS6detail17trampoline_kernelINS0_14default_configENS1_25transform_config_selectorIiLb0EEEZNS1_14transform_implILb0ES3_S5_PiN6thrust23THRUST_200600_302600_NS6detail15normal_iteratorINS9_10device_ptrIiEEEENS0_8identityIiEEEE10hipError_tT2_T3_mT4_P12ihipStream_tbEUlT_E_NS1_11comp_targetILNS1_3genE8ELNS1_11target_archE1030ELNS1_3gpuE2ELNS1_3repE0EEENS1_30default_config_static_selectorELNS0_4arch9wavefront6targetE0EEEvT1_
		.amdhsa_group_segment_fixed_size 0
		.amdhsa_private_segment_fixed_size 0
		.amdhsa_kernarg_size 296
		.amdhsa_user_sgpr_count 6
		.amdhsa_user_sgpr_private_segment_buffer 1
		.amdhsa_user_sgpr_dispatch_ptr 0
		.amdhsa_user_sgpr_queue_ptr 0
		.amdhsa_user_sgpr_kernarg_segment_ptr 1
		.amdhsa_user_sgpr_dispatch_id 0
		.amdhsa_user_sgpr_flat_scratch_init 0
		.amdhsa_user_sgpr_private_segment_size 0
		.amdhsa_wavefront_size32 1
		.amdhsa_uses_dynamic_stack 0
		.amdhsa_system_sgpr_private_segment_wavefront_offset 0
		.amdhsa_system_sgpr_workgroup_id_x 1
		.amdhsa_system_sgpr_workgroup_id_y 0
		.amdhsa_system_sgpr_workgroup_id_z 0
		.amdhsa_system_sgpr_workgroup_info 0
		.amdhsa_system_vgpr_workitem_id 0
		.amdhsa_next_free_vgpr 3
		.amdhsa_next_free_sgpr 12
		.amdhsa_reserve_vcc 1
		.amdhsa_reserve_flat_scratch 0
		.amdhsa_float_round_mode_32 0
		.amdhsa_float_round_mode_16_64 0
		.amdhsa_float_denorm_mode_32 3
		.amdhsa_float_denorm_mode_16_64 3
		.amdhsa_dx10_clamp 1
		.amdhsa_ieee_mode 1
		.amdhsa_fp16_overflow 0
		.amdhsa_workgroup_processor_mode 1
		.amdhsa_memory_ordered 1
		.amdhsa_forward_progress 1
		.amdhsa_shared_vgpr_count 0
		.amdhsa_exception_fp_ieee_invalid_op 0
		.amdhsa_exception_fp_denorm_src 0
		.amdhsa_exception_fp_ieee_div_zero 0
		.amdhsa_exception_fp_ieee_overflow 0
		.amdhsa_exception_fp_ieee_underflow 0
		.amdhsa_exception_fp_ieee_inexact 0
		.amdhsa_exception_int_div_zero 0
	.end_amdhsa_kernel
	.section	.text._ZN7rocprim17ROCPRIM_400000_NS6detail17trampoline_kernelINS0_14default_configENS1_25transform_config_selectorIiLb0EEEZNS1_14transform_implILb0ES3_S5_PiN6thrust23THRUST_200600_302600_NS6detail15normal_iteratorINS9_10device_ptrIiEEEENS0_8identityIiEEEE10hipError_tT2_T3_mT4_P12ihipStream_tbEUlT_E_NS1_11comp_targetILNS1_3genE8ELNS1_11target_archE1030ELNS1_3gpuE2ELNS1_3repE0EEENS1_30default_config_static_selectorELNS0_4arch9wavefront6targetE0EEEvT1_,"axG",@progbits,_ZN7rocprim17ROCPRIM_400000_NS6detail17trampoline_kernelINS0_14default_configENS1_25transform_config_selectorIiLb0EEEZNS1_14transform_implILb0ES3_S5_PiN6thrust23THRUST_200600_302600_NS6detail15normal_iteratorINS9_10device_ptrIiEEEENS0_8identityIiEEEE10hipError_tT2_T3_mT4_P12ihipStream_tbEUlT_E_NS1_11comp_targetILNS1_3genE8ELNS1_11target_archE1030ELNS1_3gpuE2ELNS1_3repE0EEENS1_30default_config_static_selectorELNS0_4arch9wavefront6targetE0EEEvT1_,comdat
.Lfunc_end485:
	.size	_ZN7rocprim17ROCPRIM_400000_NS6detail17trampoline_kernelINS0_14default_configENS1_25transform_config_selectorIiLb0EEEZNS1_14transform_implILb0ES3_S5_PiN6thrust23THRUST_200600_302600_NS6detail15normal_iteratorINS9_10device_ptrIiEEEENS0_8identityIiEEEE10hipError_tT2_T3_mT4_P12ihipStream_tbEUlT_E_NS1_11comp_targetILNS1_3genE8ELNS1_11target_archE1030ELNS1_3gpuE2ELNS1_3repE0EEENS1_30default_config_static_selectorELNS0_4arch9wavefront6targetE0EEEvT1_, .Lfunc_end485-_ZN7rocprim17ROCPRIM_400000_NS6detail17trampoline_kernelINS0_14default_configENS1_25transform_config_selectorIiLb0EEEZNS1_14transform_implILb0ES3_S5_PiN6thrust23THRUST_200600_302600_NS6detail15normal_iteratorINS9_10device_ptrIiEEEENS0_8identityIiEEEE10hipError_tT2_T3_mT4_P12ihipStream_tbEUlT_E_NS1_11comp_targetILNS1_3genE8ELNS1_11target_archE1030ELNS1_3gpuE2ELNS1_3repE0EEENS1_30default_config_static_selectorELNS0_4arch9wavefront6targetE0EEEvT1_
                                        ; -- End function
	.set _ZN7rocprim17ROCPRIM_400000_NS6detail17trampoline_kernelINS0_14default_configENS1_25transform_config_selectorIiLb0EEEZNS1_14transform_implILb0ES3_S5_PiN6thrust23THRUST_200600_302600_NS6detail15normal_iteratorINS9_10device_ptrIiEEEENS0_8identityIiEEEE10hipError_tT2_T3_mT4_P12ihipStream_tbEUlT_E_NS1_11comp_targetILNS1_3genE8ELNS1_11target_archE1030ELNS1_3gpuE2ELNS1_3repE0EEENS1_30default_config_static_selectorELNS0_4arch9wavefront6targetE0EEEvT1_.num_vgpr, 3
	.set _ZN7rocprim17ROCPRIM_400000_NS6detail17trampoline_kernelINS0_14default_configENS1_25transform_config_selectorIiLb0EEEZNS1_14transform_implILb0ES3_S5_PiN6thrust23THRUST_200600_302600_NS6detail15normal_iteratorINS9_10device_ptrIiEEEENS0_8identityIiEEEE10hipError_tT2_T3_mT4_P12ihipStream_tbEUlT_E_NS1_11comp_targetILNS1_3genE8ELNS1_11target_archE1030ELNS1_3gpuE2ELNS1_3repE0EEENS1_30default_config_static_selectorELNS0_4arch9wavefront6targetE0EEEvT1_.num_agpr, 0
	.set _ZN7rocprim17ROCPRIM_400000_NS6detail17trampoline_kernelINS0_14default_configENS1_25transform_config_selectorIiLb0EEEZNS1_14transform_implILb0ES3_S5_PiN6thrust23THRUST_200600_302600_NS6detail15normal_iteratorINS9_10device_ptrIiEEEENS0_8identityIiEEEE10hipError_tT2_T3_mT4_P12ihipStream_tbEUlT_E_NS1_11comp_targetILNS1_3genE8ELNS1_11target_archE1030ELNS1_3gpuE2ELNS1_3repE0EEENS1_30default_config_static_selectorELNS0_4arch9wavefront6targetE0EEEvT1_.numbered_sgpr, 12
	.set _ZN7rocprim17ROCPRIM_400000_NS6detail17trampoline_kernelINS0_14default_configENS1_25transform_config_selectorIiLb0EEEZNS1_14transform_implILb0ES3_S5_PiN6thrust23THRUST_200600_302600_NS6detail15normal_iteratorINS9_10device_ptrIiEEEENS0_8identityIiEEEE10hipError_tT2_T3_mT4_P12ihipStream_tbEUlT_E_NS1_11comp_targetILNS1_3genE8ELNS1_11target_archE1030ELNS1_3gpuE2ELNS1_3repE0EEENS1_30default_config_static_selectorELNS0_4arch9wavefront6targetE0EEEvT1_.num_named_barrier, 0
	.set _ZN7rocprim17ROCPRIM_400000_NS6detail17trampoline_kernelINS0_14default_configENS1_25transform_config_selectorIiLb0EEEZNS1_14transform_implILb0ES3_S5_PiN6thrust23THRUST_200600_302600_NS6detail15normal_iteratorINS9_10device_ptrIiEEEENS0_8identityIiEEEE10hipError_tT2_T3_mT4_P12ihipStream_tbEUlT_E_NS1_11comp_targetILNS1_3genE8ELNS1_11target_archE1030ELNS1_3gpuE2ELNS1_3repE0EEENS1_30default_config_static_selectorELNS0_4arch9wavefront6targetE0EEEvT1_.private_seg_size, 0
	.set _ZN7rocprim17ROCPRIM_400000_NS6detail17trampoline_kernelINS0_14default_configENS1_25transform_config_selectorIiLb0EEEZNS1_14transform_implILb0ES3_S5_PiN6thrust23THRUST_200600_302600_NS6detail15normal_iteratorINS9_10device_ptrIiEEEENS0_8identityIiEEEE10hipError_tT2_T3_mT4_P12ihipStream_tbEUlT_E_NS1_11comp_targetILNS1_3genE8ELNS1_11target_archE1030ELNS1_3gpuE2ELNS1_3repE0EEENS1_30default_config_static_selectorELNS0_4arch9wavefront6targetE0EEEvT1_.uses_vcc, 1
	.set _ZN7rocprim17ROCPRIM_400000_NS6detail17trampoline_kernelINS0_14default_configENS1_25transform_config_selectorIiLb0EEEZNS1_14transform_implILb0ES3_S5_PiN6thrust23THRUST_200600_302600_NS6detail15normal_iteratorINS9_10device_ptrIiEEEENS0_8identityIiEEEE10hipError_tT2_T3_mT4_P12ihipStream_tbEUlT_E_NS1_11comp_targetILNS1_3genE8ELNS1_11target_archE1030ELNS1_3gpuE2ELNS1_3repE0EEENS1_30default_config_static_selectorELNS0_4arch9wavefront6targetE0EEEvT1_.uses_flat_scratch, 0
	.set _ZN7rocprim17ROCPRIM_400000_NS6detail17trampoline_kernelINS0_14default_configENS1_25transform_config_selectorIiLb0EEEZNS1_14transform_implILb0ES3_S5_PiN6thrust23THRUST_200600_302600_NS6detail15normal_iteratorINS9_10device_ptrIiEEEENS0_8identityIiEEEE10hipError_tT2_T3_mT4_P12ihipStream_tbEUlT_E_NS1_11comp_targetILNS1_3genE8ELNS1_11target_archE1030ELNS1_3gpuE2ELNS1_3repE0EEENS1_30default_config_static_selectorELNS0_4arch9wavefront6targetE0EEEvT1_.has_dyn_sized_stack, 0
	.set _ZN7rocprim17ROCPRIM_400000_NS6detail17trampoline_kernelINS0_14default_configENS1_25transform_config_selectorIiLb0EEEZNS1_14transform_implILb0ES3_S5_PiN6thrust23THRUST_200600_302600_NS6detail15normal_iteratorINS9_10device_ptrIiEEEENS0_8identityIiEEEE10hipError_tT2_T3_mT4_P12ihipStream_tbEUlT_E_NS1_11comp_targetILNS1_3genE8ELNS1_11target_archE1030ELNS1_3gpuE2ELNS1_3repE0EEENS1_30default_config_static_selectorELNS0_4arch9wavefront6targetE0EEEvT1_.has_recursion, 0
	.set _ZN7rocprim17ROCPRIM_400000_NS6detail17trampoline_kernelINS0_14default_configENS1_25transform_config_selectorIiLb0EEEZNS1_14transform_implILb0ES3_S5_PiN6thrust23THRUST_200600_302600_NS6detail15normal_iteratorINS9_10device_ptrIiEEEENS0_8identityIiEEEE10hipError_tT2_T3_mT4_P12ihipStream_tbEUlT_E_NS1_11comp_targetILNS1_3genE8ELNS1_11target_archE1030ELNS1_3gpuE2ELNS1_3repE0EEENS1_30default_config_static_selectorELNS0_4arch9wavefront6targetE0EEEvT1_.has_indirect_call, 0
	.section	.AMDGPU.csdata,"",@progbits
; Kernel info:
; codeLenInByte = 172
; TotalNumSgprs: 14
; NumVgprs: 3
; ScratchSize: 0
; MemoryBound: 0
; FloatMode: 240
; IeeeMode: 1
; LDSByteSize: 0 bytes/workgroup (compile time only)
; SGPRBlocks: 0
; VGPRBlocks: 0
; NumSGPRsForWavesPerEU: 14
; NumVGPRsForWavesPerEU: 3
; Occupancy: 16
; WaveLimiterHint : 0
; COMPUTE_PGM_RSRC2:SCRATCH_EN: 0
; COMPUTE_PGM_RSRC2:USER_SGPR: 6
; COMPUTE_PGM_RSRC2:TRAP_HANDLER: 0
; COMPUTE_PGM_RSRC2:TGID_X_EN: 1
; COMPUTE_PGM_RSRC2:TGID_Y_EN: 0
; COMPUTE_PGM_RSRC2:TGID_Z_EN: 0
; COMPUTE_PGM_RSRC2:TIDIG_COMP_CNT: 0
	.section	.text._ZN7rocprim17ROCPRIM_400000_NS6detail17trampoline_kernelINS0_14default_configENS1_22reduce_config_selectorIN6thrust23THRUST_200600_302600_NS5tupleIblNS6_9null_typeES8_S8_S8_S8_S8_S8_S8_EEEEZNS1_11reduce_implILb1ES3_NS6_12zip_iteratorINS7_INS6_11hip_rocprim26transform_input_iterator_tIbNSD_35transform_pair_of_input_iterators_tIbNS6_6detail15normal_iteratorINS6_10device_ptrIKiEEEESL_NS6_8equal_toIiEEEENSG_9not_fun_tINSD_8identityEEEEENSD_19counting_iterator_tIlEES8_S8_S8_S8_S8_S8_S8_S8_EEEEPS9_S9_NSD_9__find_if7functorIS9_EEEE10hipError_tPvRmT1_T2_T3_mT4_P12ihipStream_tbEUlT_E0_NS1_11comp_targetILNS1_3genE0ELNS1_11target_archE4294967295ELNS1_3gpuE0ELNS1_3repE0EEENS1_30default_config_static_selectorELNS0_4arch9wavefront6targetE0EEEvS14_,"axG",@progbits,_ZN7rocprim17ROCPRIM_400000_NS6detail17trampoline_kernelINS0_14default_configENS1_22reduce_config_selectorIN6thrust23THRUST_200600_302600_NS5tupleIblNS6_9null_typeES8_S8_S8_S8_S8_S8_S8_EEEEZNS1_11reduce_implILb1ES3_NS6_12zip_iteratorINS7_INS6_11hip_rocprim26transform_input_iterator_tIbNSD_35transform_pair_of_input_iterators_tIbNS6_6detail15normal_iteratorINS6_10device_ptrIKiEEEESL_NS6_8equal_toIiEEEENSG_9not_fun_tINSD_8identityEEEEENSD_19counting_iterator_tIlEES8_S8_S8_S8_S8_S8_S8_S8_EEEEPS9_S9_NSD_9__find_if7functorIS9_EEEE10hipError_tPvRmT1_T2_T3_mT4_P12ihipStream_tbEUlT_E0_NS1_11comp_targetILNS1_3genE0ELNS1_11target_archE4294967295ELNS1_3gpuE0ELNS1_3repE0EEENS1_30default_config_static_selectorELNS0_4arch9wavefront6targetE0EEEvS14_,comdat
	.protected	_ZN7rocprim17ROCPRIM_400000_NS6detail17trampoline_kernelINS0_14default_configENS1_22reduce_config_selectorIN6thrust23THRUST_200600_302600_NS5tupleIblNS6_9null_typeES8_S8_S8_S8_S8_S8_S8_EEEEZNS1_11reduce_implILb1ES3_NS6_12zip_iteratorINS7_INS6_11hip_rocprim26transform_input_iterator_tIbNSD_35transform_pair_of_input_iterators_tIbNS6_6detail15normal_iteratorINS6_10device_ptrIKiEEEESL_NS6_8equal_toIiEEEENSG_9not_fun_tINSD_8identityEEEEENSD_19counting_iterator_tIlEES8_S8_S8_S8_S8_S8_S8_S8_EEEEPS9_S9_NSD_9__find_if7functorIS9_EEEE10hipError_tPvRmT1_T2_T3_mT4_P12ihipStream_tbEUlT_E0_NS1_11comp_targetILNS1_3genE0ELNS1_11target_archE4294967295ELNS1_3gpuE0ELNS1_3repE0EEENS1_30default_config_static_selectorELNS0_4arch9wavefront6targetE0EEEvS14_ ; -- Begin function _ZN7rocprim17ROCPRIM_400000_NS6detail17trampoline_kernelINS0_14default_configENS1_22reduce_config_selectorIN6thrust23THRUST_200600_302600_NS5tupleIblNS6_9null_typeES8_S8_S8_S8_S8_S8_S8_EEEEZNS1_11reduce_implILb1ES3_NS6_12zip_iteratorINS7_INS6_11hip_rocprim26transform_input_iterator_tIbNSD_35transform_pair_of_input_iterators_tIbNS6_6detail15normal_iteratorINS6_10device_ptrIKiEEEESL_NS6_8equal_toIiEEEENSG_9not_fun_tINSD_8identityEEEEENSD_19counting_iterator_tIlEES8_S8_S8_S8_S8_S8_S8_S8_EEEEPS9_S9_NSD_9__find_if7functorIS9_EEEE10hipError_tPvRmT1_T2_T3_mT4_P12ihipStream_tbEUlT_E0_NS1_11comp_targetILNS1_3genE0ELNS1_11target_archE4294967295ELNS1_3gpuE0ELNS1_3repE0EEENS1_30default_config_static_selectorELNS0_4arch9wavefront6targetE0EEEvS14_
	.globl	_ZN7rocprim17ROCPRIM_400000_NS6detail17trampoline_kernelINS0_14default_configENS1_22reduce_config_selectorIN6thrust23THRUST_200600_302600_NS5tupleIblNS6_9null_typeES8_S8_S8_S8_S8_S8_S8_EEEEZNS1_11reduce_implILb1ES3_NS6_12zip_iteratorINS7_INS6_11hip_rocprim26transform_input_iterator_tIbNSD_35transform_pair_of_input_iterators_tIbNS6_6detail15normal_iteratorINS6_10device_ptrIKiEEEESL_NS6_8equal_toIiEEEENSG_9not_fun_tINSD_8identityEEEEENSD_19counting_iterator_tIlEES8_S8_S8_S8_S8_S8_S8_S8_EEEEPS9_S9_NSD_9__find_if7functorIS9_EEEE10hipError_tPvRmT1_T2_T3_mT4_P12ihipStream_tbEUlT_E0_NS1_11comp_targetILNS1_3genE0ELNS1_11target_archE4294967295ELNS1_3gpuE0ELNS1_3repE0EEENS1_30default_config_static_selectorELNS0_4arch9wavefront6targetE0EEEvS14_
	.p2align	8
	.type	_ZN7rocprim17ROCPRIM_400000_NS6detail17trampoline_kernelINS0_14default_configENS1_22reduce_config_selectorIN6thrust23THRUST_200600_302600_NS5tupleIblNS6_9null_typeES8_S8_S8_S8_S8_S8_S8_EEEEZNS1_11reduce_implILb1ES3_NS6_12zip_iteratorINS7_INS6_11hip_rocprim26transform_input_iterator_tIbNSD_35transform_pair_of_input_iterators_tIbNS6_6detail15normal_iteratorINS6_10device_ptrIKiEEEESL_NS6_8equal_toIiEEEENSG_9not_fun_tINSD_8identityEEEEENSD_19counting_iterator_tIlEES8_S8_S8_S8_S8_S8_S8_S8_EEEEPS9_S9_NSD_9__find_if7functorIS9_EEEE10hipError_tPvRmT1_T2_T3_mT4_P12ihipStream_tbEUlT_E0_NS1_11comp_targetILNS1_3genE0ELNS1_11target_archE4294967295ELNS1_3gpuE0ELNS1_3repE0EEENS1_30default_config_static_selectorELNS0_4arch9wavefront6targetE0EEEvS14_,@function
_ZN7rocprim17ROCPRIM_400000_NS6detail17trampoline_kernelINS0_14default_configENS1_22reduce_config_selectorIN6thrust23THRUST_200600_302600_NS5tupleIblNS6_9null_typeES8_S8_S8_S8_S8_S8_S8_EEEEZNS1_11reduce_implILb1ES3_NS6_12zip_iteratorINS7_INS6_11hip_rocprim26transform_input_iterator_tIbNSD_35transform_pair_of_input_iterators_tIbNS6_6detail15normal_iteratorINS6_10device_ptrIKiEEEESL_NS6_8equal_toIiEEEENSG_9not_fun_tINSD_8identityEEEEENSD_19counting_iterator_tIlEES8_S8_S8_S8_S8_S8_S8_S8_EEEEPS9_S9_NSD_9__find_if7functorIS9_EEEE10hipError_tPvRmT1_T2_T3_mT4_P12ihipStream_tbEUlT_E0_NS1_11comp_targetILNS1_3genE0ELNS1_11target_archE4294967295ELNS1_3gpuE0ELNS1_3repE0EEENS1_30default_config_static_selectorELNS0_4arch9wavefront6targetE0EEEvS14_: ; @_ZN7rocprim17ROCPRIM_400000_NS6detail17trampoline_kernelINS0_14default_configENS1_22reduce_config_selectorIN6thrust23THRUST_200600_302600_NS5tupleIblNS6_9null_typeES8_S8_S8_S8_S8_S8_S8_EEEEZNS1_11reduce_implILb1ES3_NS6_12zip_iteratorINS7_INS6_11hip_rocprim26transform_input_iterator_tIbNSD_35transform_pair_of_input_iterators_tIbNS6_6detail15normal_iteratorINS6_10device_ptrIKiEEEESL_NS6_8equal_toIiEEEENSG_9not_fun_tINSD_8identityEEEEENSD_19counting_iterator_tIlEES8_S8_S8_S8_S8_S8_S8_S8_EEEEPS9_S9_NSD_9__find_if7functorIS9_EEEE10hipError_tPvRmT1_T2_T3_mT4_P12ihipStream_tbEUlT_E0_NS1_11comp_targetILNS1_3genE0ELNS1_11target_archE4294967295ELNS1_3gpuE0ELNS1_3repE0EEENS1_30default_config_static_selectorELNS0_4arch9wavefront6targetE0EEEvS14_
; %bb.0:
	.section	.rodata,"a",@progbits
	.p2align	6, 0x0
	.amdhsa_kernel _ZN7rocprim17ROCPRIM_400000_NS6detail17trampoline_kernelINS0_14default_configENS1_22reduce_config_selectorIN6thrust23THRUST_200600_302600_NS5tupleIblNS6_9null_typeES8_S8_S8_S8_S8_S8_S8_EEEEZNS1_11reduce_implILb1ES3_NS6_12zip_iteratorINS7_INS6_11hip_rocprim26transform_input_iterator_tIbNSD_35transform_pair_of_input_iterators_tIbNS6_6detail15normal_iteratorINS6_10device_ptrIKiEEEESL_NS6_8equal_toIiEEEENSG_9not_fun_tINSD_8identityEEEEENSD_19counting_iterator_tIlEES8_S8_S8_S8_S8_S8_S8_S8_EEEEPS9_S9_NSD_9__find_if7functorIS9_EEEE10hipError_tPvRmT1_T2_T3_mT4_P12ihipStream_tbEUlT_E0_NS1_11comp_targetILNS1_3genE0ELNS1_11target_archE4294967295ELNS1_3gpuE0ELNS1_3repE0EEENS1_30default_config_static_selectorELNS0_4arch9wavefront6targetE0EEEvS14_
		.amdhsa_group_segment_fixed_size 0
		.amdhsa_private_segment_fixed_size 0
		.amdhsa_kernarg_size 104
		.amdhsa_user_sgpr_count 6
		.amdhsa_user_sgpr_private_segment_buffer 1
		.amdhsa_user_sgpr_dispatch_ptr 0
		.amdhsa_user_sgpr_queue_ptr 0
		.amdhsa_user_sgpr_kernarg_segment_ptr 1
		.amdhsa_user_sgpr_dispatch_id 0
		.amdhsa_user_sgpr_flat_scratch_init 0
		.amdhsa_user_sgpr_private_segment_size 0
		.amdhsa_wavefront_size32 1
		.amdhsa_uses_dynamic_stack 0
		.amdhsa_system_sgpr_private_segment_wavefront_offset 0
		.amdhsa_system_sgpr_workgroup_id_x 1
		.amdhsa_system_sgpr_workgroup_id_y 0
		.amdhsa_system_sgpr_workgroup_id_z 0
		.amdhsa_system_sgpr_workgroup_info 0
		.amdhsa_system_vgpr_workitem_id 0
		.amdhsa_next_free_vgpr 1
		.amdhsa_next_free_sgpr 1
		.amdhsa_reserve_vcc 0
		.amdhsa_reserve_flat_scratch 0
		.amdhsa_float_round_mode_32 0
		.amdhsa_float_round_mode_16_64 0
		.amdhsa_float_denorm_mode_32 3
		.amdhsa_float_denorm_mode_16_64 3
		.amdhsa_dx10_clamp 1
		.amdhsa_ieee_mode 1
		.amdhsa_fp16_overflow 0
		.amdhsa_workgroup_processor_mode 1
		.amdhsa_memory_ordered 1
		.amdhsa_forward_progress 1
		.amdhsa_shared_vgpr_count 0
		.amdhsa_exception_fp_ieee_invalid_op 0
		.amdhsa_exception_fp_denorm_src 0
		.amdhsa_exception_fp_ieee_div_zero 0
		.amdhsa_exception_fp_ieee_overflow 0
		.amdhsa_exception_fp_ieee_underflow 0
		.amdhsa_exception_fp_ieee_inexact 0
		.amdhsa_exception_int_div_zero 0
	.end_amdhsa_kernel
	.section	.text._ZN7rocprim17ROCPRIM_400000_NS6detail17trampoline_kernelINS0_14default_configENS1_22reduce_config_selectorIN6thrust23THRUST_200600_302600_NS5tupleIblNS6_9null_typeES8_S8_S8_S8_S8_S8_S8_EEEEZNS1_11reduce_implILb1ES3_NS6_12zip_iteratorINS7_INS6_11hip_rocprim26transform_input_iterator_tIbNSD_35transform_pair_of_input_iterators_tIbNS6_6detail15normal_iteratorINS6_10device_ptrIKiEEEESL_NS6_8equal_toIiEEEENSG_9not_fun_tINSD_8identityEEEEENSD_19counting_iterator_tIlEES8_S8_S8_S8_S8_S8_S8_S8_EEEEPS9_S9_NSD_9__find_if7functorIS9_EEEE10hipError_tPvRmT1_T2_T3_mT4_P12ihipStream_tbEUlT_E0_NS1_11comp_targetILNS1_3genE0ELNS1_11target_archE4294967295ELNS1_3gpuE0ELNS1_3repE0EEENS1_30default_config_static_selectorELNS0_4arch9wavefront6targetE0EEEvS14_,"axG",@progbits,_ZN7rocprim17ROCPRIM_400000_NS6detail17trampoline_kernelINS0_14default_configENS1_22reduce_config_selectorIN6thrust23THRUST_200600_302600_NS5tupleIblNS6_9null_typeES8_S8_S8_S8_S8_S8_S8_EEEEZNS1_11reduce_implILb1ES3_NS6_12zip_iteratorINS7_INS6_11hip_rocprim26transform_input_iterator_tIbNSD_35transform_pair_of_input_iterators_tIbNS6_6detail15normal_iteratorINS6_10device_ptrIKiEEEESL_NS6_8equal_toIiEEEENSG_9not_fun_tINSD_8identityEEEEENSD_19counting_iterator_tIlEES8_S8_S8_S8_S8_S8_S8_S8_EEEEPS9_S9_NSD_9__find_if7functorIS9_EEEE10hipError_tPvRmT1_T2_T3_mT4_P12ihipStream_tbEUlT_E0_NS1_11comp_targetILNS1_3genE0ELNS1_11target_archE4294967295ELNS1_3gpuE0ELNS1_3repE0EEENS1_30default_config_static_selectorELNS0_4arch9wavefront6targetE0EEEvS14_,comdat
.Lfunc_end486:
	.size	_ZN7rocprim17ROCPRIM_400000_NS6detail17trampoline_kernelINS0_14default_configENS1_22reduce_config_selectorIN6thrust23THRUST_200600_302600_NS5tupleIblNS6_9null_typeES8_S8_S8_S8_S8_S8_S8_EEEEZNS1_11reduce_implILb1ES3_NS6_12zip_iteratorINS7_INS6_11hip_rocprim26transform_input_iterator_tIbNSD_35transform_pair_of_input_iterators_tIbNS6_6detail15normal_iteratorINS6_10device_ptrIKiEEEESL_NS6_8equal_toIiEEEENSG_9not_fun_tINSD_8identityEEEEENSD_19counting_iterator_tIlEES8_S8_S8_S8_S8_S8_S8_S8_EEEEPS9_S9_NSD_9__find_if7functorIS9_EEEE10hipError_tPvRmT1_T2_T3_mT4_P12ihipStream_tbEUlT_E0_NS1_11comp_targetILNS1_3genE0ELNS1_11target_archE4294967295ELNS1_3gpuE0ELNS1_3repE0EEENS1_30default_config_static_selectorELNS0_4arch9wavefront6targetE0EEEvS14_, .Lfunc_end486-_ZN7rocprim17ROCPRIM_400000_NS6detail17trampoline_kernelINS0_14default_configENS1_22reduce_config_selectorIN6thrust23THRUST_200600_302600_NS5tupleIblNS6_9null_typeES8_S8_S8_S8_S8_S8_S8_EEEEZNS1_11reduce_implILb1ES3_NS6_12zip_iteratorINS7_INS6_11hip_rocprim26transform_input_iterator_tIbNSD_35transform_pair_of_input_iterators_tIbNS6_6detail15normal_iteratorINS6_10device_ptrIKiEEEESL_NS6_8equal_toIiEEEENSG_9not_fun_tINSD_8identityEEEEENSD_19counting_iterator_tIlEES8_S8_S8_S8_S8_S8_S8_S8_EEEEPS9_S9_NSD_9__find_if7functorIS9_EEEE10hipError_tPvRmT1_T2_T3_mT4_P12ihipStream_tbEUlT_E0_NS1_11comp_targetILNS1_3genE0ELNS1_11target_archE4294967295ELNS1_3gpuE0ELNS1_3repE0EEENS1_30default_config_static_selectorELNS0_4arch9wavefront6targetE0EEEvS14_
                                        ; -- End function
	.set _ZN7rocprim17ROCPRIM_400000_NS6detail17trampoline_kernelINS0_14default_configENS1_22reduce_config_selectorIN6thrust23THRUST_200600_302600_NS5tupleIblNS6_9null_typeES8_S8_S8_S8_S8_S8_S8_EEEEZNS1_11reduce_implILb1ES3_NS6_12zip_iteratorINS7_INS6_11hip_rocprim26transform_input_iterator_tIbNSD_35transform_pair_of_input_iterators_tIbNS6_6detail15normal_iteratorINS6_10device_ptrIKiEEEESL_NS6_8equal_toIiEEEENSG_9not_fun_tINSD_8identityEEEEENSD_19counting_iterator_tIlEES8_S8_S8_S8_S8_S8_S8_S8_EEEEPS9_S9_NSD_9__find_if7functorIS9_EEEE10hipError_tPvRmT1_T2_T3_mT4_P12ihipStream_tbEUlT_E0_NS1_11comp_targetILNS1_3genE0ELNS1_11target_archE4294967295ELNS1_3gpuE0ELNS1_3repE0EEENS1_30default_config_static_selectorELNS0_4arch9wavefront6targetE0EEEvS14_.num_vgpr, 0
	.set _ZN7rocprim17ROCPRIM_400000_NS6detail17trampoline_kernelINS0_14default_configENS1_22reduce_config_selectorIN6thrust23THRUST_200600_302600_NS5tupleIblNS6_9null_typeES8_S8_S8_S8_S8_S8_S8_EEEEZNS1_11reduce_implILb1ES3_NS6_12zip_iteratorINS7_INS6_11hip_rocprim26transform_input_iterator_tIbNSD_35transform_pair_of_input_iterators_tIbNS6_6detail15normal_iteratorINS6_10device_ptrIKiEEEESL_NS6_8equal_toIiEEEENSG_9not_fun_tINSD_8identityEEEEENSD_19counting_iterator_tIlEES8_S8_S8_S8_S8_S8_S8_S8_EEEEPS9_S9_NSD_9__find_if7functorIS9_EEEE10hipError_tPvRmT1_T2_T3_mT4_P12ihipStream_tbEUlT_E0_NS1_11comp_targetILNS1_3genE0ELNS1_11target_archE4294967295ELNS1_3gpuE0ELNS1_3repE0EEENS1_30default_config_static_selectorELNS0_4arch9wavefront6targetE0EEEvS14_.num_agpr, 0
	.set _ZN7rocprim17ROCPRIM_400000_NS6detail17trampoline_kernelINS0_14default_configENS1_22reduce_config_selectorIN6thrust23THRUST_200600_302600_NS5tupleIblNS6_9null_typeES8_S8_S8_S8_S8_S8_S8_EEEEZNS1_11reduce_implILb1ES3_NS6_12zip_iteratorINS7_INS6_11hip_rocprim26transform_input_iterator_tIbNSD_35transform_pair_of_input_iterators_tIbNS6_6detail15normal_iteratorINS6_10device_ptrIKiEEEESL_NS6_8equal_toIiEEEENSG_9not_fun_tINSD_8identityEEEEENSD_19counting_iterator_tIlEES8_S8_S8_S8_S8_S8_S8_S8_EEEEPS9_S9_NSD_9__find_if7functorIS9_EEEE10hipError_tPvRmT1_T2_T3_mT4_P12ihipStream_tbEUlT_E0_NS1_11comp_targetILNS1_3genE0ELNS1_11target_archE4294967295ELNS1_3gpuE0ELNS1_3repE0EEENS1_30default_config_static_selectorELNS0_4arch9wavefront6targetE0EEEvS14_.numbered_sgpr, 0
	.set _ZN7rocprim17ROCPRIM_400000_NS6detail17trampoline_kernelINS0_14default_configENS1_22reduce_config_selectorIN6thrust23THRUST_200600_302600_NS5tupleIblNS6_9null_typeES8_S8_S8_S8_S8_S8_S8_EEEEZNS1_11reduce_implILb1ES3_NS6_12zip_iteratorINS7_INS6_11hip_rocprim26transform_input_iterator_tIbNSD_35transform_pair_of_input_iterators_tIbNS6_6detail15normal_iteratorINS6_10device_ptrIKiEEEESL_NS6_8equal_toIiEEEENSG_9not_fun_tINSD_8identityEEEEENSD_19counting_iterator_tIlEES8_S8_S8_S8_S8_S8_S8_S8_EEEEPS9_S9_NSD_9__find_if7functorIS9_EEEE10hipError_tPvRmT1_T2_T3_mT4_P12ihipStream_tbEUlT_E0_NS1_11comp_targetILNS1_3genE0ELNS1_11target_archE4294967295ELNS1_3gpuE0ELNS1_3repE0EEENS1_30default_config_static_selectorELNS0_4arch9wavefront6targetE0EEEvS14_.num_named_barrier, 0
	.set _ZN7rocprim17ROCPRIM_400000_NS6detail17trampoline_kernelINS0_14default_configENS1_22reduce_config_selectorIN6thrust23THRUST_200600_302600_NS5tupleIblNS6_9null_typeES8_S8_S8_S8_S8_S8_S8_EEEEZNS1_11reduce_implILb1ES3_NS6_12zip_iteratorINS7_INS6_11hip_rocprim26transform_input_iterator_tIbNSD_35transform_pair_of_input_iterators_tIbNS6_6detail15normal_iteratorINS6_10device_ptrIKiEEEESL_NS6_8equal_toIiEEEENSG_9not_fun_tINSD_8identityEEEEENSD_19counting_iterator_tIlEES8_S8_S8_S8_S8_S8_S8_S8_EEEEPS9_S9_NSD_9__find_if7functorIS9_EEEE10hipError_tPvRmT1_T2_T3_mT4_P12ihipStream_tbEUlT_E0_NS1_11comp_targetILNS1_3genE0ELNS1_11target_archE4294967295ELNS1_3gpuE0ELNS1_3repE0EEENS1_30default_config_static_selectorELNS0_4arch9wavefront6targetE0EEEvS14_.private_seg_size, 0
	.set _ZN7rocprim17ROCPRIM_400000_NS6detail17trampoline_kernelINS0_14default_configENS1_22reduce_config_selectorIN6thrust23THRUST_200600_302600_NS5tupleIblNS6_9null_typeES8_S8_S8_S8_S8_S8_S8_EEEEZNS1_11reduce_implILb1ES3_NS6_12zip_iteratorINS7_INS6_11hip_rocprim26transform_input_iterator_tIbNSD_35transform_pair_of_input_iterators_tIbNS6_6detail15normal_iteratorINS6_10device_ptrIKiEEEESL_NS6_8equal_toIiEEEENSG_9not_fun_tINSD_8identityEEEEENSD_19counting_iterator_tIlEES8_S8_S8_S8_S8_S8_S8_S8_EEEEPS9_S9_NSD_9__find_if7functorIS9_EEEE10hipError_tPvRmT1_T2_T3_mT4_P12ihipStream_tbEUlT_E0_NS1_11comp_targetILNS1_3genE0ELNS1_11target_archE4294967295ELNS1_3gpuE0ELNS1_3repE0EEENS1_30default_config_static_selectorELNS0_4arch9wavefront6targetE0EEEvS14_.uses_vcc, 0
	.set _ZN7rocprim17ROCPRIM_400000_NS6detail17trampoline_kernelINS0_14default_configENS1_22reduce_config_selectorIN6thrust23THRUST_200600_302600_NS5tupleIblNS6_9null_typeES8_S8_S8_S8_S8_S8_S8_EEEEZNS1_11reduce_implILb1ES3_NS6_12zip_iteratorINS7_INS6_11hip_rocprim26transform_input_iterator_tIbNSD_35transform_pair_of_input_iterators_tIbNS6_6detail15normal_iteratorINS6_10device_ptrIKiEEEESL_NS6_8equal_toIiEEEENSG_9not_fun_tINSD_8identityEEEEENSD_19counting_iterator_tIlEES8_S8_S8_S8_S8_S8_S8_S8_EEEEPS9_S9_NSD_9__find_if7functorIS9_EEEE10hipError_tPvRmT1_T2_T3_mT4_P12ihipStream_tbEUlT_E0_NS1_11comp_targetILNS1_3genE0ELNS1_11target_archE4294967295ELNS1_3gpuE0ELNS1_3repE0EEENS1_30default_config_static_selectorELNS0_4arch9wavefront6targetE0EEEvS14_.uses_flat_scratch, 0
	.set _ZN7rocprim17ROCPRIM_400000_NS6detail17trampoline_kernelINS0_14default_configENS1_22reduce_config_selectorIN6thrust23THRUST_200600_302600_NS5tupleIblNS6_9null_typeES8_S8_S8_S8_S8_S8_S8_EEEEZNS1_11reduce_implILb1ES3_NS6_12zip_iteratorINS7_INS6_11hip_rocprim26transform_input_iterator_tIbNSD_35transform_pair_of_input_iterators_tIbNS6_6detail15normal_iteratorINS6_10device_ptrIKiEEEESL_NS6_8equal_toIiEEEENSG_9not_fun_tINSD_8identityEEEEENSD_19counting_iterator_tIlEES8_S8_S8_S8_S8_S8_S8_S8_EEEEPS9_S9_NSD_9__find_if7functorIS9_EEEE10hipError_tPvRmT1_T2_T3_mT4_P12ihipStream_tbEUlT_E0_NS1_11comp_targetILNS1_3genE0ELNS1_11target_archE4294967295ELNS1_3gpuE0ELNS1_3repE0EEENS1_30default_config_static_selectorELNS0_4arch9wavefront6targetE0EEEvS14_.has_dyn_sized_stack, 0
	.set _ZN7rocprim17ROCPRIM_400000_NS6detail17trampoline_kernelINS0_14default_configENS1_22reduce_config_selectorIN6thrust23THRUST_200600_302600_NS5tupleIblNS6_9null_typeES8_S8_S8_S8_S8_S8_S8_EEEEZNS1_11reduce_implILb1ES3_NS6_12zip_iteratorINS7_INS6_11hip_rocprim26transform_input_iterator_tIbNSD_35transform_pair_of_input_iterators_tIbNS6_6detail15normal_iteratorINS6_10device_ptrIKiEEEESL_NS6_8equal_toIiEEEENSG_9not_fun_tINSD_8identityEEEEENSD_19counting_iterator_tIlEES8_S8_S8_S8_S8_S8_S8_S8_EEEEPS9_S9_NSD_9__find_if7functorIS9_EEEE10hipError_tPvRmT1_T2_T3_mT4_P12ihipStream_tbEUlT_E0_NS1_11comp_targetILNS1_3genE0ELNS1_11target_archE4294967295ELNS1_3gpuE0ELNS1_3repE0EEENS1_30default_config_static_selectorELNS0_4arch9wavefront6targetE0EEEvS14_.has_recursion, 0
	.set _ZN7rocprim17ROCPRIM_400000_NS6detail17trampoline_kernelINS0_14default_configENS1_22reduce_config_selectorIN6thrust23THRUST_200600_302600_NS5tupleIblNS6_9null_typeES8_S8_S8_S8_S8_S8_S8_EEEEZNS1_11reduce_implILb1ES3_NS6_12zip_iteratorINS7_INS6_11hip_rocprim26transform_input_iterator_tIbNSD_35transform_pair_of_input_iterators_tIbNS6_6detail15normal_iteratorINS6_10device_ptrIKiEEEESL_NS6_8equal_toIiEEEENSG_9not_fun_tINSD_8identityEEEEENSD_19counting_iterator_tIlEES8_S8_S8_S8_S8_S8_S8_S8_EEEEPS9_S9_NSD_9__find_if7functorIS9_EEEE10hipError_tPvRmT1_T2_T3_mT4_P12ihipStream_tbEUlT_E0_NS1_11comp_targetILNS1_3genE0ELNS1_11target_archE4294967295ELNS1_3gpuE0ELNS1_3repE0EEENS1_30default_config_static_selectorELNS0_4arch9wavefront6targetE0EEEvS14_.has_indirect_call, 0
	.section	.AMDGPU.csdata,"",@progbits
; Kernel info:
; codeLenInByte = 0
; TotalNumSgprs: 0
; NumVgprs: 0
; ScratchSize: 0
; MemoryBound: 0
; FloatMode: 240
; IeeeMode: 1
; LDSByteSize: 0 bytes/workgroup (compile time only)
; SGPRBlocks: 0
; VGPRBlocks: 0
; NumSGPRsForWavesPerEU: 1
; NumVGPRsForWavesPerEU: 1
; Occupancy: 16
; WaveLimiterHint : 0
; COMPUTE_PGM_RSRC2:SCRATCH_EN: 0
; COMPUTE_PGM_RSRC2:USER_SGPR: 6
; COMPUTE_PGM_RSRC2:TRAP_HANDLER: 0
; COMPUTE_PGM_RSRC2:TGID_X_EN: 1
; COMPUTE_PGM_RSRC2:TGID_Y_EN: 0
; COMPUTE_PGM_RSRC2:TGID_Z_EN: 0
; COMPUTE_PGM_RSRC2:TIDIG_COMP_CNT: 0
	.section	.text._ZN7rocprim17ROCPRIM_400000_NS6detail17trampoline_kernelINS0_14default_configENS1_22reduce_config_selectorIN6thrust23THRUST_200600_302600_NS5tupleIblNS6_9null_typeES8_S8_S8_S8_S8_S8_S8_EEEEZNS1_11reduce_implILb1ES3_NS6_12zip_iteratorINS7_INS6_11hip_rocprim26transform_input_iterator_tIbNSD_35transform_pair_of_input_iterators_tIbNS6_6detail15normal_iteratorINS6_10device_ptrIKiEEEESL_NS6_8equal_toIiEEEENSG_9not_fun_tINSD_8identityEEEEENSD_19counting_iterator_tIlEES8_S8_S8_S8_S8_S8_S8_S8_EEEEPS9_S9_NSD_9__find_if7functorIS9_EEEE10hipError_tPvRmT1_T2_T3_mT4_P12ihipStream_tbEUlT_E0_NS1_11comp_targetILNS1_3genE5ELNS1_11target_archE942ELNS1_3gpuE9ELNS1_3repE0EEENS1_30default_config_static_selectorELNS0_4arch9wavefront6targetE0EEEvS14_,"axG",@progbits,_ZN7rocprim17ROCPRIM_400000_NS6detail17trampoline_kernelINS0_14default_configENS1_22reduce_config_selectorIN6thrust23THRUST_200600_302600_NS5tupleIblNS6_9null_typeES8_S8_S8_S8_S8_S8_S8_EEEEZNS1_11reduce_implILb1ES3_NS6_12zip_iteratorINS7_INS6_11hip_rocprim26transform_input_iterator_tIbNSD_35transform_pair_of_input_iterators_tIbNS6_6detail15normal_iteratorINS6_10device_ptrIKiEEEESL_NS6_8equal_toIiEEEENSG_9not_fun_tINSD_8identityEEEEENSD_19counting_iterator_tIlEES8_S8_S8_S8_S8_S8_S8_S8_EEEEPS9_S9_NSD_9__find_if7functorIS9_EEEE10hipError_tPvRmT1_T2_T3_mT4_P12ihipStream_tbEUlT_E0_NS1_11comp_targetILNS1_3genE5ELNS1_11target_archE942ELNS1_3gpuE9ELNS1_3repE0EEENS1_30default_config_static_selectorELNS0_4arch9wavefront6targetE0EEEvS14_,comdat
	.protected	_ZN7rocprim17ROCPRIM_400000_NS6detail17trampoline_kernelINS0_14default_configENS1_22reduce_config_selectorIN6thrust23THRUST_200600_302600_NS5tupleIblNS6_9null_typeES8_S8_S8_S8_S8_S8_S8_EEEEZNS1_11reduce_implILb1ES3_NS6_12zip_iteratorINS7_INS6_11hip_rocprim26transform_input_iterator_tIbNSD_35transform_pair_of_input_iterators_tIbNS6_6detail15normal_iteratorINS6_10device_ptrIKiEEEESL_NS6_8equal_toIiEEEENSG_9not_fun_tINSD_8identityEEEEENSD_19counting_iterator_tIlEES8_S8_S8_S8_S8_S8_S8_S8_EEEEPS9_S9_NSD_9__find_if7functorIS9_EEEE10hipError_tPvRmT1_T2_T3_mT4_P12ihipStream_tbEUlT_E0_NS1_11comp_targetILNS1_3genE5ELNS1_11target_archE942ELNS1_3gpuE9ELNS1_3repE0EEENS1_30default_config_static_selectorELNS0_4arch9wavefront6targetE0EEEvS14_ ; -- Begin function _ZN7rocprim17ROCPRIM_400000_NS6detail17trampoline_kernelINS0_14default_configENS1_22reduce_config_selectorIN6thrust23THRUST_200600_302600_NS5tupleIblNS6_9null_typeES8_S8_S8_S8_S8_S8_S8_EEEEZNS1_11reduce_implILb1ES3_NS6_12zip_iteratorINS7_INS6_11hip_rocprim26transform_input_iterator_tIbNSD_35transform_pair_of_input_iterators_tIbNS6_6detail15normal_iteratorINS6_10device_ptrIKiEEEESL_NS6_8equal_toIiEEEENSG_9not_fun_tINSD_8identityEEEEENSD_19counting_iterator_tIlEES8_S8_S8_S8_S8_S8_S8_S8_EEEEPS9_S9_NSD_9__find_if7functorIS9_EEEE10hipError_tPvRmT1_T2_T3_mT4_P12ihipStream_tbEUlT_E0_NS1_11comp_targetILNS1_3genE5ELNS1_11target_archE942ELNS1_3gpuE9ELNS1_3repE0EEENS1_30default_config_static_selectorELNS0_4arch9wavefront6targetE0EEEvS14_
	.globl	_ZN7rocprim17ROCPRIM_400000_NS6detail17trampoline_kernelINS0_14default_configENS1_22reduce_config_selectorIN6thrust23THRUST_200600_302600_NS5tupleIblNS6_9null_typeES8_S8_S8_S8_S8_S8_S8_EEEEZNS1_11reduce_implILb1ES3_NS6_12zip_iteratorINS7_INS6_11hip_rocprim26transform_input_iterator_tIbNSD_35transform_pair_of_input_iterators_tIbNS6_6detail15normal_iteratorINS6_10device_ptrIKiEEEESL_NS6_8equal_toIiEEEENSG_9not_fun_tINSD_8identityEEEEENSD_19counting_iterator_tIlEES8_S8_S8_S8_S8_S8_S8_S8_EEEEPS9_S9_NSD_9__find_if7functorIS9_EEEE10hipError_tPvRmT1_T2_T3_mT4_P12ihipStream_tbEUlT_E0_NS1_11comp_targetILNS1_3genE5ELNS1_11target_archE942ELNS1_3gpuE9ELNS1_3repE0EEENS1_30default_config_static_selectorELNS0_4arch9wavefront6targetE0EEEvS14_
	.p2align	8
	.type	_ZN7rocprim17ROCPRIM_400000_NS6detail17trampoline_kernelINS0_14default_configENS1_22reduce_config_selectorIN6thrust23THRUST_200600_302600_NS5tupleIblNS6_9null_typeES8_S8_S8_S8_S8_S8_S8_EEEEZNS1_11reduce_implILb1ES3_NS6_12zip_iteratorINS7_INS6_11hip_rocprim26transform_input_iterator_tIbNSD_35transform_pair_of_input_iterators_tIbNS6_6detail15normal_iteratorINS6_10device_ptrIKiEEEESL_NS6_8equal_toIiEEEENSG_9not_fun_tINSD_8identityEEEEENSD_19counting_iterator_tIlEES8_S8_S8_S8_S8_S8_S8_S8_EEEEPS9_S9_NSD_9__find_if7functorIS9_EEEE10hipError_tPvRmT1_T2_T3_mT4_P12ihipStream_tbEUlT_E0_NS1_11comp_targetILNS1_3genE5ELNS1_11target_archE942ELNS1_3gpuE9ELNS1_3repE0EEENS1_30default_config_static_selectorELNS0_4arch9wavefront6targetE0EEEvS14_,@function
_ZN7rocprim17ROCPRIM_400000_NS6detail17trampoline_kernelINS0_14default_configENS1_22reduce_config_selectorIN6thrust23THRUST_200600_302600_NS5tupleIblNS6_9null_typeES8_S8_S8_S8_S8_S8_S8_EEEEZNS1_11reduce_implILb1ES3_NS6_12zip_iteratorINS7_INS6_11hip_rocprim26transform_input_iterator_tIbNSD_35transform_pair_of_input_iterators_tIbNS6_6detail15normal_iteratorINS6_10device_ptrIKiEEEESL_NS6_8equal_toIiEEEENSG_9not_fun_tINSD_8identityEEEEENSD_19counting_iterator_tIlEES8_S8_S8_S8_S8_S8_S8_S8_EEEEPS9_S9_NSD_9__find_if7functorIS9_EEEE10hipError_tPvRmT1_T2_T3_mT4_P12ihipStream_tbEUlT_E0_NS1_11comp_targetILNS1_3genE5ELNS1_11target_archE942ELNS1_3gpuE9ELNS1_3repE0EEENS1_30default_config_static_selectorELNS0_4arch9wavefront6targetE0EEEvS14_: ; @_ZN7rocprim17ROCPRIM_400000_NS6detail17trampoline_kernelINS0_14default_configENS1_22reduce_config_selectorIN6thrust23THRUST_200600_302600_NS5tupleIblNS6_9null_typeES8_S8_S8_S8_S8_S8_S8_EEEEZNS1_11reduce_implILb1ES3_NS6_12zip_iteratorINS7_INS6_11hip_rocprim26transform_input_iterator_tIbNSD_35transform_pair_of_input_iterators_tIbNS6_6detail15normal_iteratorINS6_10device_ptrIKiEEEESL_NS6_8equal_toIiEEEENSG_9not_fun_tINSD_8identityEEEEENSD_19counting_iterator_tIlEES8_S8_S8_S8_S8_S8_S8_S8_EEEEPS9_S9_NSD_9__find_if7functorIS9_EEEE10hipError_tPvRmT1_T2_T3_mT4_P12ihipStream_tbEUlT_E0_NS1_11comp_targetILNS1_3genE5ELNS1_11target_archE942ELNS1_3gpuE9ELNS1_3repE0EEENS1_30default_config_static_selectorELNS0_4arch9wavefront6targetE0EEEvS14_
; %bb.0:
	.section	.rodata,"a",@progbits
	.p2align	6, 0x0
	.amdhsa_kernel _ZN7rocprim17ROCPRIM_400000_NS6detail17trampoline_kernelINS0_14default_configENS1_22reduce_config_selectorIN6thrust23THRUST_200600_302600_NS5tupleIblNS6_9null_typeES8_S8_S8_S8_S8_S8_S8_EEEEZNS1_11reduce_implILb1ES3_NS6_12zip_iteratorINS7_INS6_11hip_rocprim26transform_input_iterator_tIbNSD_35transform_pair_of_input_iterators_tIbNS6_6detail15normal_iteratorINS6_10device_ptrIKiEEEESL_NS6_8equal_toIiEEEENSG_9not_fun_tINSD_8identityEEEEENSD_19counting_iterator_tIlEES8_S8_S8_S8_S8_S8_S8_S8_EEEEPS9_S9_NSD_9__find_if7functorIS9_EEEE10hipError_tPvRmT1_T2_T3_mT4_P12ihipStream_tbEUlT_E0_NS1_11comp_targetILNS1_3genE5ELNS1_11target_archE942ELNS1_3gpuE9ELNS1_3repE0EEENS1_30default_config_static_selectorELNS0_4arch9wavefront6targetE0EEEvS14_
		.amdhsa_group_segment_fixed_size 0
		.amdhsa_private_segment_fixed_size 0
		.amdhsa_kernarg_size 104
		.amdhsa_user_sgpr_count 6
		.amdhsa_user_sgpr_private_segment_buffer 1
		.amdhsa_user_sgpr_dispatch_ptr 0
		.amdhsa_user_sgpr_queue_ptr 0
		.amdhsa_user_sgpr_kernarg_segment_ptr 1
		.amdhsa_user_sgpr_dispatch_id 0
		.amdhsa_user_sgpr_flat_scratch_init 0
		.amdhsa_user_sgpr_private_segment_size 0
		.amdhsa_wavefront_size32 1
		.amdhsa_uses_dynamic_stack 0
		.amdhsa_system_sgpr_private_segment_wavefront_offset 0
		.amdhsa_system_sgpr_workgroup_id_x 1
		.amdhsa_system_sgpr_workgroup_id_y 0
		.amdhsa_system_sgpr_workgroup_id_z 0
		.amdhsa_system_sgpr_workgroup_info 0
		.amdhsa_system_vgpr_workitem_id 0
		.amdhsa_next_free_vgpr 1
		.amdhsa_next_free_sgpr 1
		.amdhsa_reserve_vcc 0
		.amdhsa_reserve_flat_scratch 0
		.amdhsa_float_round_mode_32 0
		.amdhsa_float_round_mode_16_64 0
		.amdhsa_float_denorm_mode_32 3
		.amdhsa_float_denorm_mode_16_64 3
		.amdhsa_dx10_clamp 1
		.amdhsa_ieee_mode 1
		.amdhsa_fp16_overflow 0
		.amdhsa_workgroup_processor_mode 1
		.amdhsa_memory_ordered 1
		.amdhsa_forward_progress 1
		.amdhsa_shared_vgpr_count 0
		.amdhsa_exception_fp_ieee_invalid_op 0
		.amdhsa_exception_fp_denorm_src 0
		.amdhsa_exception_fp_ieee_div_zero 0
		.amdhsa_exception_fp_ieee_overflow 0
		.amdhsa_exception_fp_ieee_underflow 0
		.amdhsa_exception_fp_ieee_inexact 0
		.amdhsa_exception_int_div_zero 0
	.end_amdhsa_kernel
	.section	.text._ZN7rocprim17ROCPRIM_400000_NS6detail17trampoline_kernelINS0_14default_configENS1_22reduce_config_selectorIN6thrust23THRUST_200600_302600_NS5tupleIblNS6_9null_typeES8_S8_S8_S8_S8_S8_S8_EEEEZNS1_11reduce_implILb1ES3_NS6_12zip_iteratorINS7_INS6_11hip_rocprim26transform_input_iterator_tIbNSD_35transform_pair_of_input_iterators_tIbNS6_6detail15normal_iteratorINS6_10device_ptrIKiEEEESL_NS6_8equal_toIiEEEENSG_9not_fun_tINSD_8identityEEEEENSD_19counting_iterator_tIlEES8_S8_S8_S8_S8_S8_S8_S8_EEEEPS9_S9_NSD_9__find_if7functorIS9_EEEE10hipError_tPvRmT1_T2_T3_mT4_P12ihipStream_tbEUlT_E0_NS1_11comp_targetILNS1_3genE5ELNS1_11target_archE942ELNS1_3gpuE9ELNS1_3repE0EEENS1_30default_config_static_selectorELNS0_4arch9wavefront6targetE0EEEvS14_,"axG",@progbits,_ZN7rocprim17ROCPRIM_400000_NS6detail17trampoline_kernelINS0_14default_configENS1_22reduce_config_selectorIN6thrust23THRUST_200600_302600_NS5tupleIblNS6_9null_typeES8_S8_S8_S8_S8_S8_S8_EEEEZNS1_11reduce_implILb1ES3_NS6_12zip_iteratorINS7_INS6_11hip_rocprim26transform_input_iterator_tIbNSD_35transform_pair_of_input_iterators_tIbNS6_6detail15normal_iteratorINS6_10device_ptrIKiEEEESL_NS6_8equal_toIiEEEENSG_9not_fun_tINSD_8identityEEEEENSD_19counting_iterator_tIlEES8_S8_S8_S8_S8_S8_S8_S8_EEEEPS9_S9_NSD_9__find_if7functorIS9_EEEE10hipError_tPvRmT1_T2_T3_mT4_P12ihipStream_tbEUlT_E0_NS1_11comp_targetILNS1_3genE5ELNS1_11target_archE942ELNS1_3gpuE9ELNS1_3repE0EEENS1_30default_config_static_selectorELNS0_4arch9wavefront6targetE0EEEvS14_,comdat
.Lfunc_end487:
	.size	_ZN7rocprim17ROCPRIM_400000_NS6detail17trampoline_kernelINS0_14default_configENS1_22reduce_config_selectorIN6thrust23THRUST_200600_302600_NS5tupleIblNS6_9null_typeES8_S8_S8_S8_S8_S8_S8_EEEEZNS1_11reduce_implILb1ES3_NS6_12zip_iteratorINS7_INS6_11hip_rocprim26transform_input_iterator_tIbNSD_35transform_pair_of_input_iterators_tIbNS6_6detail15normal_iteratorINS6_10device_ptrIKiEEEESL_NS6_8equal_toIiEEEENSG_9not_fun_tINSD_8identityEEEEENSD_19counting_iterator_tIlEES8_S8_S8_S8_S8_S8_S8_S8_EEEEPS9_S9_NSD_9__find_if7functorIS9_EEEE10hipError_tPvRmT1_T2_T3_mT4_P12ihipStream_tbEUlT_E0_NS1_11comp_targetILNS1_3genE5ELNS1_11target_archE942ELNS1_3gpuE9ELNS1_3repE0EEENS1_30default_config_static_selectorELNS0_4arch9wavefront6targetE0EEEvS14_, .Lfunc_end487-_ZN7rocprim17ROCPRIM_400000_NS6detail17trampoline_kernelINS0_14default_configENS1_22reduce_config_selectorIN6thrust23THRUST_200600_302600_NS5tupleIblNS6_9null_typeES8_S8_S8_S8_S8_S8_S8_EEEEZNS1_11reduce_implILb1ES3_NS6_12zip_iteratorINS7_INS6_11hip_rocprim26transform_input_iterator_tIbNSD_35transform_pair_of_input_iterators_tIbNS6_6detail15normal_iteratorINS6_10device_ptrIKiEEEESL_NS6_8equal_toIiEEEENSG_9not_fun_tINSD_8identityEEEEENSD_19counting_iterator_tIlEES8_S8_S8_S8_S8_S8_S8_S8_EEEEPS9_S9_NSD_9__find_if7functorIS9_EEEE10hipError_tPvRmT1_T2_T3_mT4_P12ihipStream_tbEUlT_E0_NS1_11comp_targetILNS1_3genE5ELNS1_11target_archE942ELNS1_3gpuE9ELNS1_3repE0EEENS1_30default_config_static_selectorELNS0_4arch9wavefront6targetE0EEEvS14_
                                        ; -- End function
	.set _ZN7rocprim17ROCPRIM_400000_NS6detail17trampoline_kernelINS0_14default_configENS1_22reduce_config_selectorIN6thrust23THRUST_200600_302600_NS5tupleIblNS6_9null_typeES8_S8_S8_S8_S8_S8_S8_EEEEZNS1_11reduce_implILb1ES3_NS6_12zip_iteratorINS7_INS6_11hip_rocprim26transform_input_iterator_tIbNSD_35transform_pair_of_input_iterators_tIbNS6_6detail15normal_iteratorINS6_10device_ptrIKiEEEESL_NS6_8equal_toIiEEEENSG_9not_fun_tINSD_8identityEEEEENSD_19counting_iterator_tIlEES8_S8_S8_S8_S8_S8_S8_S8_EEEEPS9_S9_NSD_9__find_if7functorIS9_EEEE10hipError_tPvRmT1_T2_T3_mT4_P12ihipStream_tbEUlT_E0_NS1_11comp_targetILNS1_3genE5ELNS1_11target_archE942ELNS1_3gpuE9ELNS1_3repE0EEENS1_30default_config_static_selectorELNS0_4arch9wavefront6targetE0EEEvS14_.num_vgpr, 0
	.set _ZN7rocprim17ROCPRIM_400000_NS6detail17trampoline_kernelINS0_14default_configENS1_22reduce_config_selectorIN6thrust23THRUST_200600_302600_NS5tupleIblNS6_9null_typeES8_S8_S8_S8_S8_S8_S8_EEEEZNS1_11reduce_implILb1ES3_NS6_12zip_iteratorINS7_INS6_11hip_rocprim26transform_input_iterator_tIbNSD_35transform_pair_of_input_iterators_tIbNS6_6detail15normal_iteratorINS6_10device_ptrIKiEEEESL_NS6_8equal_toIiEEEENSG_9not_fun_tINSD_8identityEEEEENSD_19counting_iterator_tIlEES8_S8_S8_S8_S8_S8_S8_S8_EEEEPS9_S9_NSD_9__find_if7functorIS9_EEEE10hipError_tPvRmT1_T2_T3_mT4_P12ihipStream_tbEUlT_E0_NS1_11comp_targetILNS1_3genE5ELNS1_11target_archE942ELNS1_3gpuE9ELNS1_3repE0EEENS1_30default_config_static_selectorELNS0_4arch9wavefront6targetE0EEEvS14_.num_agpr, 0
	.set _ZN7rocprim17ROCPRIM_400000_NS6detail17trampoline_kernelINS0_14default_configENS1_22reduce_config_selectorIN6thrust23THRUST_200600_302600_NS5tupleIblNS6_9null_typeES8_S8_S8_S8_S8_S8_S8_EEEEZNS1_11reduce_implILb1ES3_NS6_12zip_iteratorINS7_INS6_11hip_rocprim26transform_input_iterator_tIbNSD_35transform_pair_of_input_iterators_tIbNS6_6detail15normal_iteratorINS6_10device_ptrIKiEEEESL_NS6_8equal_toIiEEEENSG_9not_fun_tINSD_8identityEEEEENSD_19counting_iterator_tIlEES8_S8_S8_S8_S8_S8_S8_S8_EEEEPS9_S9_NSD_9__find_if7functorIS9_EEEE10hipError_tPvRmT1_T2_T3_mT4_P12ihipStream_tbEUlT_E0_NS1_11comp_targetILNS1_3genE5ELNS1_11target_archE942ELNS1_3gpuE9ELNS1_3repE0EEENS1_30default_config_static_selectorELNS0_4arch9wavefront6targetE0EEEvS14_.numbered_sgpr, 0
	.set _ZN7rocprim17ROCPRIM_400000_NS6detail17trampoline_kernelINS0_14default_configENS1_22reduce_config_selectorIN6thrust23THRUST_200600_302600_NS5tupleIblNS6_9null_typeES8_S8_S8_S8_S8_S8_S8_EEEEZNS1_11reduce_implILb1ES3_NS6_12zip_iteratorINS7_INS6_11hip_rocprim26transform_input_iterator_tIbNSD_35transform_pair_of_input_iterators_tIbNS6_6detail15normal_iteratorINS6_10device_ptrIKiEEEESL_NS6_8equal_toIiEEEENSG_9not_fun_tINSD_8identityEEEEENSD_19counting_iterator_tIlEES8_S8_S8_S8_S8_S8_S8_S8_EEEEPS9_S9_NSD_9__find_if7functorIS9_EEEE10hipError_tPvRmT1_T2_T3_mT4_P12ihipStream_tbEUlT_E0_NS1_11comp_targetILNS1_3genE5ELNS1_11target_archE942ELNS1_3gpuE9ELNS1_3repE0EEENS1_30default_config_static_selectorELNS0_4arch9wavefront6targetE0EEEvS14_.num_named_barrier, 0
	.set _ZN7rocprim17ROCPRIM_400000_NS6detail17trampoline_kernelINS0_14default_configENS1_22reduce_config_selectorIN6thrust23THRUST_200600_302600_NS5tupleIblNS6_9null_typeES8_S8_S8_S8_S8_S8_S8_EEEEZNS1_11reduce_implILb1ES3_NS6_12zip_iteratorINS7_INS6_11hip_rocprim26transform_input_iterator_tIbNSD_35transform_pair_of_input_iterators_tIbNS6_6detail15normal_iteratorINS6_10device_ptrIKiEEEESL_NS6_8equal_toIiEEEENSG_9not_fun_tINSD_8identityEEEEENSD_19counting_iterator_tIlEES8_S8_S8_S8_S8_S8_S8_S8_EEEEPS9_S9_NSD_9__find_if7functorIS9_EEEE10hipError_tPvRmT1_T2_T3_mT4_P12ihipStream_tbEUlT_E0_NS1_11comp_targetILNS1_3genE5ELNS1_11target_archE942ELNS1_3gpuE9ELNS1_3repE0EEENS1_30default_config_static_selectorELNS0_4arch9wavefront6targetE0EEEvS14_.private_seg_size, 0
	.set _ZN7rocprim17ROCPRIM_400000_NS6detail17trampoline_kernelINS0_14default_configENS1_22reduce_config_selectorIN6thrust23THRUST_200600_302600_NS5tupleIblNS6_9null_typeES8_S8_S8_S8_S8_S8_S8_EEEEZNS1_11reduce_implILb1ES3_NS6_12zip_iteratorINS7_INS6_11hip_rocprim26transform_input_iterator_tIbNSD_35transform_pair_of_input_iterators_tIbNS6_6detail15normal_iteratorINS6_10device_ptrIKiEEEESL_NS6_8equal_toIiEEEENSG_9not_fun_tINSD_8identityEEEEENSD_19counting_iterator_tIlEES8_S8_S8_S8_S8_S8_S8_S8_EEEEPS9_S9_NSD_9__find_if7functorIS9_EEEE10hipError_tPvRmT1_T2_T3_mT4_P12ihipStream_tbEUlT_E0_NS1_11comp_targetILNS1_3genE5ELNS1_11target_archE942ELNS1_3gpuE9ELNS1_3repE0EEENS1_30default_config_static_selectorELNS0_4arch9wavefront6targetE0EEEvS14_.uses_vcc, 0
	.set _ZN7rocprim17ROCPRIM_400000_NS6detail17trampoline_kernelINS0_14default_configENS1_22reduce_config_selectorIN6thrust23THRUST_200600_302600_NS5tupleIblNS6_9null_typeES8_S8_S8_S8_S8_S8_S8_EEEEZNS1_11reduce_implILb1ES3_NS6_12zip_iteratorINS7_INS6_11hip_rocprim26transform_input_iterator_tIbNSD_35transform_pair_of_input_iterators_tIbNS6_6detail15normal_iteratorINS6_10device_ptrIKiEEEESL_NS6_8equal_toIiEEEENSG_9not_fun_tINSD_8identityEEEEENSD_19counting_iterator_tIlEES8_S8_S8_S8_S8_S8_S8_S8_EEEEPS9_S9_NSD_9__find_if7functorIS9_EEEE10hipError_tPvRmT1_T2_T3_mT4_P12ihipStream_tbEUlT_E0_NS1_11comp_targetILNS1_3genE5ELNS1_11target_archE942ELNS1_3gpuE9ELNS1_3repE0EEENS1_30default_config_static_selectorELNS0_4arch9wavefront6targetE0EEEvS14_.uses_flat_scratch, 0
	.set _ZN7rocprim17ROCPRIM_400000_NS6detail17trampoline_kernelINS0_14default_configENS1_22reduce_config_selectorIN6thrust23THRUST_200600_302600_NS5tupleIblNS6_9null_typeES8_S8_S8_S8_S8_S8_S8_EEEEZNS1_11reduce_implILb1ES3_NS6_12zip_iteratorINS7_INS6_11hip_rocprim26transform_input_iterator_tIbNSD_35transform_pair_of_input_iterators_tIbNS6_6detail15normal_iteratorINS6_10device_ptrIKiEEEESL_NS6_8equal_toIiEEEENSG_9not_fun_tINSD_8identityEEEEENSD_19counting_iterator_tIlEES8_S8_S8_S8_S8_S8_S8_S8_EEEEPS9_S9_NSD_9__find_if7functorIS9_EEEE10hipError_tPvRmT1_T2_T3_mT4_P12ihipStream_tbEUlT_E0_NS1_11comp_targetILNS1_3genE5ELNS1_11target_archE942ELNS1_3gpuE9ELNS1_3repE0EEENS1_30default_config_static_selectorELNS0_4arch9wavefront6targetE0EEEvS14_.has_dyn_sized_stack, 0
	.set _ZN7rocprim17ROCPRIM_400000_NS6detail17trampoline_kernelINS0_14default_configENS1_22reduce_config_selectorIN6thrust23THRUST_200600_302600_NS5tupleIblNS6_9null_typeES8_S8_S8_S8_S8_S8_S8_EEEEZNS1_11reduce_implILb1ES3_NS6_12zip_iteratorINS7_INS6_11hip_rocprim26transform_input_iterator_tIbNSD_35transform_pair_of_input_iterators_tIbNS6_6detail15normal_iteratorINS6_10device_ptrIKiEEEESL_NS6_8equal_toIiEEEENSG_9not_fun_tINSD_8identityEEEEENSD_19counting_iterator_tIlEES8_S8_S8_S8_S8_S8_S8_S8_EEEEPS9_S9_NSD_9__find_if7functorIS9_EEEE10hipError_tPvRmT1_T2_T3_mT4_P12ihipStream_tbEUlT_E0_NS1_11comp_targetILNS1_3genE5ELNS1_11target_archE942ELNS1_3gpuE9ELNS1_3repE0EEENS1_30default_config_static_selectorELNS0_4arch9wavefront6targetE0EEEvS14_.has_recursion, 0
	.set _ZN7rocprim17ROCPRIM_400000_NS6detail17trampoline_kernelINS0_14default_configENS1_22reduce_config_selectorIN6thrust23THRUST_200600_302600_NS5tupleIblNS6_9null_typeES8_S8_S8_S8_S8_S8_S8_EEEEZNS1_11reduce_implILb1ES3_NS6_12zip_iteratorINS7_INS6_11hip_rocprim26transform_input_iterator_tIbNSD_35transform_pair_of_input_iterators_tIbNS6_6detail15normal_iteratorINS6_10device_ptrIKiEEEESL_NS6_8equal_toIiEEEENSG_9not_fun_tINSD_8identityEEEEENSD_19counting_iterator_tIlEES8_S8_S8_S8_S8_S8_S8_S8_EEEEPS9_S9_NSD_9__find_if7functorIS9_EEEE10hipError_tPvRmT1_T2_T3_mT4_P12ihipStream_tbEUlT_E0_NS1_11comp_targetILNS1_3genE5ELNS1_11target_archE942ELNS1_3gpuE9ELNS1_3repE0EEENS1_30default_config_static_selectorELNS0_4arch9wavefront6targetE0EEEvS14_.has_indirect_call, 0
	.section	.AMDGPU.csdata,"",@progbits
; Kernel info:
; codeLenInByte = 0
; TotalNumSgprs: 0
; NumVgprs: 0
; ScratchSize: 0
; MemoryBound: 0
; FloatMode: 240
; IeeeMode: 1
; LDSByteSize: 0 bytes/workgroup (compile time only)
; SGPRBlocks: 0
; VGPRBlocks: 0
; NumSGPRsForWavesPerEU: 1
; NumVGPRsForWavesPerEU: 1
; Occupancy: 16
; WaveLimiterHint : 0
; COMPUTE_PGM_RSRC2:SCRATCH_EN: 0
; COMPUTE_PGM_RSRC2:USER_SGPR: 6
; COMPUTE_PGM_RSRC2:TRAP_HANDLER: 0
; COMPUTE_PGM_RSRC2:TGID_X_EN: 1
; COMPUTE_PGM_RSRC2:TGID_Y_EN: 0
; COMPUTE_PGM_RSRC2:TGID_Z_EN: 0
; COMPUTE_PGM_RSRC2:TIDIG_COMP_CNT: 0
	.section	.text._ZN7rocprim17ROCPRIM_400000_NS6detail17trampoline_kernelINS0_14default_configENS1_22reduce_config_selectorIN6thrust23THRUST_200600_302600_NS5tupleIblNS6_9null_typeES8_S8_S8_S8_S8_S8_S8_EEEEZNS1_11reduce_implILb1ES3_NS6_12zip_iteratorINS7_INS6_11hip_rocprim26transform_input_iterator_tIbNSD_35transform_pair_of_input_iterators_tIbNS6_6detail15normal_iteratorINS6_10device_ptrIKiEEEESL_NS6_8equal_toIiEEEENSG_9not_fun_tINSD_8identityEEEEENSD_19counting_iterator_tIlEES8_S8_S8_S8_S8_S8_S8_S8_EEEEPS9_S9_NSD_9__find_if7functorIS9_EEEE10hipError_tPvRmT1_T2_T3_mT4_P12ihipStream_tbEUlT_E0_NS1_11comp_targetILNS1_3genE4ELNS1_11target_archE910ELNS1_3gpuE8ELNS1_3repE0EEENS1_30default_config_static_selectorELNS0_4arch9wavefront6targetE0EEEvS14_,"axG",@progbits,_ZN7rocprim17ROCPRIM_400000_NS6detail17trampoline_kernelINS0_14default_configENS1_22reduce_config_selectorIN6thrust23THRUST_200600_302600_NS5tupleIblNS6_9null_typeES8_S8_S8_S8_S8_S8_S8_EEEEZNS1_11reduce_implILb1ES3_NS6_12zip_iteratorINS7_INS6_11hip_rocprim26transform_input_iterator_tIbNSD_35transform_pair_of_input_iterators_tIbNS6_6detail15normal_iteratorINS6_10device_ptrIKiEEEESL_NS6_8equal_toIiEEEENSG_9not_fun_tINSD_8identityEEEEENSD_19counting_iterator_tIlEES8_S8_S8_S8_S8_S8_S8_S8_EEEEPS9_S9_NSD_9__find_if7functorIS9_EEEE10hipError_tPvRmT1_T2_T3_mT4_P12ihipStream_tbEUlT_E0_NS1_11comp_targetILNS1_3genE4ELNS1_11target_archE910ELNS1_3gpuE8ELNS1_3repE0EEENS1_30default_config_static_selectorELNS0_4arch9wavefront6targetE0EEEvS14_,comdat
	.protected	_ZN7rocprim17ROCPRIM_400000_NS6detail17trampoline_kernelINS0_14default_configENS1_22reduce_config_selectorIN6thrust23THRUST_200600_302600_NS5tupleIblNS6_9null_typeES8_S8_S8_S8_S8_S8_S8_EEEEZNS1_11reduce_implILb1ES3_NS6_12zip_iteratorINS7_INS6_11hip_rocprim26transform_input_iterator_tIbNSD_35transform_pair_of_input_iterators_tIbNS6_6detail15normal_iteratorINS6_10device_ptrIKiEEEESL_NS6_8equal_toIiEEEENSG_9not_fun_tINSD_8identityEEEEENSD_19counting_iterator_tIlEES8_S8_S8_S8_S8_S8_S8_S8_EEEEPS9_S9_NSD_9__find_if7functorIS9_EEEE10hipError_tPvRmT1_T2_T3_mT4_P12ihipStream_tbEUlT_E0_NS1_11comp_targetILNS1_3genE4ELNS1_11target_archE910ELNS1_3gpuE8ELNS1_3repE0EEENS1_30default_config_static_selectorELNS0_4arch9wavefront6targetE0EEEvS14_ ; -- Begin function _ZN7rocprim17ROCPRIM_400000_NS6detail17trampoline_kernelINS0_14default_configENS1_22reduce_config_selectorIN6thrust23THRUST_200600_302600_NS5tupleIblNS6_9null_typeES8_S8_S8_S8_S8_S8_S8_EEEEZNS1_11reduce_implILb1ES3_NS6_12zip_iteratorINS7_INS6_11hip_rocprim26transform_input_iterator_tIbNSD_35transform_pair_of_input_iterators_tIbNS6_6detail15normal_iteratorINS6_10device_ptrIKiEEEESL_NS6_8equal_toIiEEEENSG_9not_fun_tINSD_8identityEEEEENSD_19counting_iterator_tIlEES8_S8_S8_S8_S8_S8_S8_S8_EEEEPS9_S9_NSD_9__find_if7functorIS9_EEEE10hipError_tPvRmT1_T2_T3_mT4_P12ihipStream_tbEUlT_E0_NS1_11comp_targetILNS1_3genE4ELNS1_11target_archE910ELNS1_3gpuE8ELNS1_3repE0EEENS1_30default_config_static_selectorELNS0_4arch9wavefront6targetE0EEEvS14_
	.globl	_ZN7rocprim17ROCPRIM_400000_NS6detail17trampoline_kernelINS0_14default_configENS1_22reduce_config_selectorIN6thrust23THRUST_200600_302600_NS5tupleIblNS6_9null_typeES8_S8_S8_S8_S8_S8_S8_EEEEZNS1_11reduce_implILb1ES3_NS6_12zip_iteratorINS7_INS6_11hip_rocprim26transform_input_iterator_tIbNSD_35transform_pair_of_input_iterators_tIbNS6_6detail15normal_iteratorINS6_10device_ptrIKiEEEESL_NS6_8equal_toIiEEEENSG_9not_fun_tINSD_8identityEEEEENSD_19counting_iterator_tIlEES8_S8_S8_S8_S8_S8_S8_S8_EEEEPS9_S9_NSD_9__find_if7functorIS9_EEEE10hipError_tPvRmT1_T2_T3_mT4_P12ihipStream_tbEUlT_E0_NS1_11comp_targetILNS1_3genE4ELNS1_11target_archE910ELNS1_3gpuE8ELNS1_3repE0EEENS1_30default_config_static_selectorELNS0_4arch9wavefront6targetE0EEEvS14_
	.p2align	8
	.type	_ZN7rocprim17ROCPRIM_400000_NS6detail17trampoline_kernelINS0_14default_configENS1_22reduce_config_selectorIN6thrust23THRUST_200600_302600_NS5tupleIblNS6_9null_typeES8_S8_S8_S8_S8_S8_S8_EEEEZNS1_11reduce_implILb1ES3_NS6_12zip_iteratorINS7_INS6_11hip_rocprim26transform_input_iterator_tIbNSD_35transform_pair_of_input_iterators_tIbNS6_6detail15normal_iteratorINS6_10device_ptrIKiEEEESL_NS6_8equal_toIiEEEENSG_9not_fun_tINSD_8identityEEEEENSD_19counting_iterator_tIlEES8_S8_S8_S8_S8_S8_S8_S8_EEEEPS9_S9_NSD_9__find_if7functorIS9_EEEE10hipError_tPvRmT1_T2_T3_mT4_P12ihipStream_tbEUlT_E0_NS1_11comp_targetILNS1_3genE4ELNS1_11target_archE910ELNS1_3gpuE8ELNS1_3repE0EEENS1_30default_config_static_selectorELNS0_4arch9wavefront6targetE0EEEvS14_,@function
_ZN7rocprim17ROCPRIM_400000_NS6detail17trampoline_kernelINS0_14default_configENS1_22reduce_config_selectorIN6thrust23THRUST_200600_302600_NS5tupleIblNS6_9null_typeES8_S8_S8_S8_S8_S8_S8_EEEEZNS1_11reduce_implILb1ES3_NS6_12zip_iteratorINS7_INS6_11hip_rocprim26transform_input_iterator_tIbNSD_35transform_pair_of_input_iterators_tIbNS6_6detail15normal_iteratorINS6_10device_ptrIKiEEEESL_NS6_8equal_toIiEEEENSG_9not_fun_tINSD_8identityEEEEENSD_19counting_iterator_tIlEES8_S8_S8_S8_S8_S8_S8_S8_EEEEPS9_S9_NSD_9__find_if7functorIS9_EEEE10hipError_tPvRmT1_T2_T3_mT4_P12ihipStream_tbEUlT_E0_NS1_11comp_targetILNS1_3genE4ELNS1_11target_archE910ELNS1_3gpuE8ELNS1_3repE0EEENS1_30default_config_static_selectorELNS0_4arch9wavefront6targetE0EEEvS14_: ; @_ZN7rocprim17ROCPRIM_400000_NS6detail17trampoline_kernelINS0_14default_configENS1_22reduce_config_selectorIN6thrust23THRUST_200600_302600_NS5tupleIblNS6_9null_typeES8_S8_S8_S8_S8_S8_S8_EEEEZNS1_11reduce_implILb1ES3_NS6_12zip_iteratorINS7_INS6_11hip_rocprim26transform_input_iterator_tIbNSD_35transform_pair_of_input_iterators_tIbNS6_6detail15normal_iteratorINS6_10device_ptrIKiEEEESL_NS6_8equal_toIiEEEENSG_9not_fun_tINSD_8identityEEEEENSD_19counting_iterator_tIlEES8_S8_S8_S8_S8_S8_S8_S8_EEEEPS9_S9_NSD_9__find_if7functorIS9_EEEE10hipError_tPvRmT1_T2_T3_mT4_P12ihipStream_tbEUlT_E0_NS1_11comp_targetILNS1_3genE4ELNS1_11target_archE910ELNS1_3gpuE8ELNS1_3repE0EEENS1_30default_config_static_selectorELNS0_4arch9wavefront6targetE0EEEvS14_
; %bb.0:
	.section	.rodata,"a",@progbits
	.p2align	6, 0x0
	.amdhsa_kernel _ZN7rocprim17ROCPRIM_400000_NS6detail17trampoline_kernelINS0_14default_configENS1_22reduce_config_selectorIN6thrust23THRUST_200600_302600_NS5tupleIblNS6_9null_typeES8_S8_S8_S8_S8_S8_S8_EEEEZNS1_11reduce_implILb1ES3_NS6_12zip_iteratorINS7_INS6_11hip_rocprim26transform_input_iterator_tIbNSD_35transform_pair_of_input_iterators_tIbNS6_6detail15normal_iteratorINS6_10device_ptrIKiEEEESL_NS6_8equal_toIiEEEENSG_9not_fun_tINSD_8identityEEEEENSD_19counting_iterator_tIlEES8_S8_S8_S8_S8_S8_S8_S8_EEEEPS9_S9_NSD_9__find_if7functorIS9_EEEE10hipError_tPvRmT1_T2_T3_mT4_P12ihipStream_tbEUlT_E0_NS1_11comp_targetILNS1_3genE4ELNS1_11target_archE910ELNS1_3gpuE8ELNS1_3repE0EEENS1_30default_config_static_selectorELNS0_4arch9wavefront6targetE0EEEvS14_
		.amdhsa_group_segment_fixed_size 0
		.amdhsa_private_segment_fixed_size 0
		.amdhsa_kernarg_size 104
		.amdhsa_user_sgpr_count 6
		.amdhsa_user_sgpr_private_segment_buffer 1
		.amdhsa_user_sgpr_dispatch_ptr 0
		.amdhsa_user_sgpr_queue_ptr 0
		.amdhsa_user_sgpr_kernarg_segment_ptr 1
		.amdhsa_user_sgpr_dispatch_id 0
		.amdhsa_user_sgpr_flat_scratch_init 0
		.amdhsa_user_sgpr_private_segment_size 0
		.amdhsa_wavefront_size32 1
		.amdhsa_uses_dynamic_stack 0
		.amdhsa_system_sgpr_private_segment_wavefront_offset 0
		.amdhsa_system_sgpr_workgroup_id_x 1
		.amdhsa_system_sgpr_workgroup_id_y 0
		.amdhsa_system_sgpr_workgroup_id_z 0
		.amdhsa_system_sgpr_workgroup_info 0
		.amdhsa_system_vgpr_workitem_id 0
		.amdhsa_next_free_vgpr 1
		.amdhsa_next_free_sgpr 1
		.amdhsa_reserve_vcc 0
		.amdhsa_reserve_flat_scratch 0
		.amdhsa_float_round_mode_32 0
		.amdhsa_float_round_mode_16_64 0
		.amdhsa_float_denorm_mode_32 3
		.amdhsa_float_denorm_mode_16_64 3
		.amdhsa_dx10_clamp 1
		.amdhsa_ieee_mode 1
		.amdhsa_fp16_overflow 0
		.amdhsa_workgroup_processor_mode 1
		.amdhsa_memory_ordered 1
		.amdhsa_forward_progress 1
		.amdhsa_shared_vgpr_count 0
		.amdhsa_exception_fp_ieee_invalid_op 0
		.amdhsa_exception_fp_denorm_src 0
		.amdhsa_exception_fp_ieee_div_zero 0
		.amdhsa_exception_fp_ieee_overflow 0
		.amdhsa_exception_fp_ieee_underflow 0
		.amdhsa_exception_fp_ieee_inexact 0
		.amdhsa_exception_int_div_zero 0
	.end_amdhsa_kernel
	.section	.text._ZN7rocprim17ROCPRIM_400000_NS6detail17trampoline_kernelINS0_14default_configENS1_22reduce_config_selectorIN6thrust23THRUST_200600_302600_NS5tupleIblNS6_9null_typeES8_S8_S8_S8_S8_S8_S8_EEEEZNS1_11reduce_implILb1ES3_NS6_12zip_iteratorINS7_INS6_11hip_rocprim26transform_input_iterator_tIbNSD_35transform_pair_of_input_iterators_tIbNS6_6detail15normal_iteratorINS6_10device_ptrIKiEEEESL_NS6_8equal_toIiEEEENSG_9not_fun_tINSD_8identityEEEEENSD_19counting_iterator_tIlEES8_S8_S8_S8_S8_S8_S8_S8_EEEEPS9_S9_NSD_9__find_if7functorIS9_EEEE10hipError_tPvRmT1_T2_T3_mT4_P12ihipStream_tbEUlT_E0_NS1_11comp_targetILNS1_3genE4ELNS1_11target_archE910ELNS1_3gpuE8ELNS1_3repE0EEENS1_30default_config_static_selectorELNS0_4arch9wavefront6targetE0EEEvS14_,"axG",@progbits,_ZN7rocprim17ROCPRIM_400000_NS6detail17trampoline_kernelINS0_14default_configENS1_22reduce_config_selectorIN6thrust23THRUST_200600_302600_NS5tupleIblNS6_9null_typeES8_S8_S8_S8_S8_S8_S8_EEEEZNS1_11reduce_implILb1ES3_NS6_12zip_iteratorINS7_INS6_11hip_rocprim26transform_input_iterator_tIbNSD_35transform_pair_of_input_iterators_tIbNS6_6detail15normal_iteratorINS6_10device_ptrIKiEEEESL_NS6_8equal_toIiEEEENSG_9not_fun_tINSD_8identityEEEEENSD_19counting_iterator_tIlEES8_S8_S8_S8_S8_S8_S8_S8_EEEEPS9_S9_NSD_9__find_if7functorIS9_EEEE10hipError_tPvRmT1_T2_T3_mT4_P12ihipStream_tbEUlT_E0_NS1_11comp_targetILNS1_3genE4ELNS1_11target_archE910ELNS1_3gpuE8ELNS1_3repE0EEENS1_30default_config_static_selectorELNS0_4arch9wavefront6targetE0EEEvS14_,comdat
.Lfunc_end488:
	.size	_ZN7rocprim17ROCPRIM_400000_NS6detail17trampoline_kernelINS0_14default_configENS1_22reduce_config_selectorIN6thrust23THRUST_200600_302600_NS5tupleIblNS6_9null_typeES8_S8_S8_S8_S8_S8_S8_EEEEZNS1_11reduce_implILb1ES3_NS6_12zip_iteratorINS7_INS6_11hip_rocprim26transform_input_iterator_tIbNSD_35transform_pair_of_input_iterators_tIbNS6_6detail15normal_iteratorINS6_10device_ptrIKiEEEESL_NS6_8equal_toIiEEEENSG_9not_fun_tINSD_8identityEEEEENSD_19counting_iterator_tIlEES8_S8_S8_S8_S8_S8_S8_S8_EEEEPS9_S9_NSD_9__find_if7functorIS9_EEEE10hipError_tPvRmT1_T2_T3_mT4_P12ihipStream_tbEUlT_E0_NS1_11comp_targetILNS1_3genE4ELNS1_11target_archE910ELNS1_3gpuE8ELNS1_3repE0EEENS1_30default_config_static_selectorELNS0_4arch9wavefront6targetE0EEEvS14_, .Lfunc_end488-_ZN7rocprim17ROCPRIM_400000_NS6detail17trampoline_kernelINS0_14default_configENS1_22reduce_config_selectorIN6thrust23THRUST_200600_302600_NS5tupleIblNS6_9null_typeES8_S8_S8_S8_S8_S8_S8_EEEEZNS1_11reduce_implILb1ES3_NS6_12zip_iteratorINS7_INS6_11hip_rocprim26transform_input_iterator_tIbNSD_35transform_pair_of_input_iterators_tIbNS6_6detail15normal_iteratorINS6_10device_ptrIKiEEEESL_NS6_8equal_toIiEEEENSG_9not_fun_tINSD_8identityEEEEENSD_19counting_iterator_tIlEES8_S8_S8_S8_S8_S8_S8_S8_EEEEPS9_S9_NSD_9__find_if7functorIS9_EEEE10hipError_tPvRmT1_T2_T3_mT4_P12ihipStream_tbEUlT_E0_NS1_11comp_targetILNS1_3genE4ELNS1_11target_archE910ELNS1_3gpuE8ELNS1_3repE0EEENS1_30default_config_static_selectorELNS0_4arch9wavefront6targetE0EEEvS14_
                                        ; -- End function
	.set _ZN7rocprim17ROCPRIM_400000_NS6detail17trampoline_kernelINS0_14default_configENS1_22reduce_config_selectorIN6thrust23THRUST_200600_302600_NS5tupleIblNS6_9null_typeES8_S8_S8_S8_S8_S8_S8_EEEEZNS1_11reduce_implILb1ES3_NS6_12zip_iteratorINS7_INS6_11hip_rocprim26transform_input_iterator_tIbNSD_35transform_pair_of_input_iterators_tIbNS6_6detail15normal_iteratorINS6_10device_ptrIKiEEEESL_NS6_8equal_toIiEEEENSG_9not_fun_tINSD_8identityEEEEENSD_19counting_iterator_tIlEES8_S8_S8_S8_S8_S8_S8_S8_EEEEPS9_S9_NSD_9__find_if7functorIS9_EEEE10hipError_tPvRmT1_T2_T3_mT4_P12ihipStream_tbEUlT_E0_NS1_11comp_targetILNS1_3genE4ELNS1_11target_archE910ELNS1_3gpuE8ELNS1_3repE0EEENS1_30default_config_static_selectorELNS0_4arch9wavefront6targetE0EEEvS14_.num_vgpr, 0
	.set _ZN7rocprim17ROCPRIM_400000_NS6detail17trampoline_kernelINS0_14default_configENS1_22reduce_config_selectorIN6thrust23THRUST_200600_302600_NS5tupleIblNS6_9null_typeES8_S8_S8_S8_S8_S8_S8_EEEEZNS1_11reduce_implILb1ES3_NS6_12zip_iteratorINS7_INS6_11hip_rocprim26transform_input_iterator_tIbNSD_35transform_pair_of_input_iterators_tIbNS6_6detail15normal_iteratorINS6_10device_ptrIKiEEEESL_NS6_8equal_toIiEEEENSG_9not_fun_tINSD_8identityEEEEENSD_19counting_iterator_tIlEES8_S8_S8_S8_S8_S8_S8_S8_EEEEPS9_S9_NSD_9__find_if7functorIS9_EEEE10hipError_tPvRmT1_T2_T3_mT4_P12ihipStream_tbEUlT_E0_NS1_11comp_targetILNS1_3genE4ELNS1_11target_archE910ELNS1_3gpuE8ELNS1_3repE0EEENS1_30default_config_static_selectorELNS0_4arch9wavefront6targetE0EEEvS14_.num_agpr, 0
	.set _ZN7rocprim17ROCPRIM_400000_NS6detail17trampoline_kernelINS0_14default_configENS1_22reduce_config_selectorIN6thrust23THRUST_200600_302600_NS5tupleIblNS6_9null_typeES8_S8_S8_S8_S8_S8_S8_EEEEZNS1_11reduce_implILb1ES3_NS6_12zip_iteratorINS7_INS6_11hip_rocprim26transform_input_iterator_tIbNSD_35transform_pair_of_input_iterators_tIbNS6_6detail15normal_iteratorINS6_10device_ptrIKiEEEESL_NS6_8equal_toIiEEEENSG_9not_fun_tINSD_8identityEEEEENSD_19counting_iterator_tIlEES8_S8_S8_S8_S8_S8_S8_S8_EEEEPS9_S9_NSD_9__find_if7functorIS9_EEEE10hipError_tPvRmT1_T2_T3_mT4_P12ihipStream_tbEUlT_E0_NS1_11comp_targetILNS1_3genE4ELNS1_11target_archE910ELNS1_3gpuE8ELNS1_3repE0EEENS1_30default_config_static_selectorELNS0_4arch9wavefront6targetE0EEEvS14_.numbered_sgpr, 0
	.set _ZN7rocprim17ROCPRIM_400000_NS6detail17trampoline_kernelINS0_14default_configENS1_22reduce_config_selectorIN6thrust23THRUST_200600_302600_NS5tupleIblNS6_9null_typeES8_S8_S8_S8_S8_S8_S8_EEEEZNS1_11reduce_implILb1ES3_NS6_12zip_iteratorINS7_INS6_11hip_rocprim26transform_input_iterator_tIbNSD_35transform_pair_of_input_iterators_tIbNS6_6detail15normal_iteratorINS6_10device_ptrIKiEEEESL_NS6_8equal_toIiEEEENSG_9not_fun_tINSD_8identityEEEEENSD_19counting_iterator_tIlEES8_S8_S8_S8_S8_S8_S8_S8_EEEEPS9_S9_NSD_9__find_if7functorIS9_EEEE10hipError_tPvRmT1_T2_T3_mT4_P12ihipStream_tbEUlT_E0_NS1_11comp_targetILNS1_3genE4ELNS1_11target_archE910ELNS1_3gpuE8ELNS1_3repE0EEENS1_30default_config_static_selectorELNS0_4arch9wavefront6targetE0EEEvS14_.num_named_barrier, 0
	.set _ZN7rocprim17ROCPRIM_400000_NS6detail17trampoline_kernelINS0_14default_configENS1_22reduce_config_selectorIN6thrust23THRUST_200600_302600_NS5tupleIblNS6_9null_typeES8_S8_S8_S8_S8_S8_S8_EEEEZNS1_11reduce_implILb1ES3_NS6_12zip_iteratorINS7_INS6_11hip_rocprim26transform_input_iterator_tIbNSD_35transform_pair_of_input_iterators_tIbNS6_6detail15normal_iteratorINS6_10device_ptrIKiEEEESL_NS6_8equal_toIiEEEENSG_9not_fun_tINSD_8identityEEEEENSD_19counting_iterator_tIlEES8_S8_S8_S8_S8_S8_S8_S8_EEEEPS9_S9_NSD_9__find_if7functorIS9_EEEE10hipError_tPvRmT1_T2_T3_mT4_P12ihipStream_tbEUlT_E0_NS1_11comp_targetILNS1_3genE4ELNS1_11target_archE910ELNS1_3gpuE8ELNS1_3repE0EEENS1_30default_config_static_selectorELNS0_4arch9wavefront6targetE0EEEvS14_.private_seg_size, 0
	.set _ZN7rocprim17ROCPRIM_400000_NS6detail17trampoline_kernelINS0_14default_configENS1_22reduce_config_selectorIN6thrust23THRUST_200600_302600_NS5tupleIblNS6_9null_typeES8_S8_S8_S8_S8_S8_S8_EEEEZNS1_11reduce_implILb1ES3_NS6_12zip_iteratorINS7_INS6_11hip_rocprim26transform_input_iterator_tIbNSD_35transform_pair_of_input_iterators_tIbNS6_6detail15normal_iteratorINS6_10device_ptrIKiEEEESL_NS6_8equal_toIiEEEENSG_9not_fun_tINSD_8identityEEEEENSD_19counting_iterator_tIlEES8_S8_S8_S8_S8_S8_S8_S8_EEEEPS9_S9_NSD_9__find_if7functorIS9_EEEE10hipError_tPvRmT1_T2_T3_mT4_P12ihipStream_tbEUlT_E0_NS1_11comp_targetILNS1_3genE4ELNS1_11target_archE910ELNS1_3gpuE8ELNS1_3repE0EEENS1_30default_config_static_selectorELNS0_4arch9wavefront6targetE0EEEvS14_.uses_vcc, 0
	.set _ZN7rocprim17ROCPRIM_400000_NS6detail17trampoline_kernelINS0_14default_configENS1_22reduce_config_selectorIN6thrust23THRUST_200600_302600_NS5tupleIblNS6_9null_typeES8_S8_S8_S8_S8_S8_S8_EEEEZNS1_11reduce_implILb1ES3_NS6_12zip_iteratorINS7_INS6_11hip_rocprim26transform_input_iterator_tIbNSD_35transform_pair_of_input_iterators_tIbNS6_6detail15normal_iteratorINS6_10device_ptrIKiEEEESL_NS6_8equal_toIiEEEENSG_9not_fun_tINSD_8identityEEEEENSD_19counting_iterator_tIlEES8_S8_S8_S8_S8_S8_S8_S8_EEEEPS9_S9_NSD_9__find_if7functorIS9_EEEE10hipError_tPvRmT1_T2_T3_mT4_P12ihipStream_tbEUlT_E0_NS1_11comp_targetILNS1_3genE4ELNS1_11target_archE910ELNS1_3gpuE8ELNS1_3repE0EEENS1_30default_config_static_selectorELNS0_4arch9wavefront6targetE0EEEvS14_.uses_flat_scratch, 0
	.set _ZN7rocprim17ROCPRIM_400000_NS6detail17trampoline_kernelINS0_14default_configENS1_22reduce_config_selectorIN6thrust23THRUST_200600_302600_NS5tupleIblNS6_9null_typeES8_S8_S8_S8_S8_S8_S8_EEEEZNS1_11reduce_implILb1ES3_NS6_12zip_iteratorINS7_INS6_11hip_rocprim26transform_input_iterator_tIbNSD_35transform_pair_of_input_iterators_tIbNS6_6detail15normal_iteratorINS6_10device_ptrIKiEEEESL_NS6_8equal_toIiEEEENSG_9not_fun_tINSD_8identityEEEEENSD_19counting_iterator_tIlEES8_S8_S8_S8_S8_S8_S8_S8_EEEEPS9_S9_NSD_9__find_if7functorIS9_EEEE10hipError_tPvRmT1_T2_T3_mT4_P12ihipStream_tbEUlT_E0_NS1_11comp_targetILNS1_3genE4ELNS1_11target_archE910ELNS1_3gpuE8ELNS1_3repE0EEENS1_30default_config_static_selectorELNS0_4arch9wavefront6targetE0EEEvS14_.has_dyn_sized_stack, 0
	.set _ZN7rocprim17ROCPRIM_400000_NS6detail17trampoline_kernelINS0_14default_configENS1_22reduce_config_selectorIN6thrust23THRUST_200600_302600_NS5tupleIblNS6_9null_typeES8_S8_S8_S8_S8_S8_S8_EEEEZNS1_11reduce_implILb1ES3_NS6_12zip_iteratorINS7_INS6_11hip_rocprim26transform_input_iterator_tIbNSD_35transform_pair_of_input_iterators_tIbNS6_6detail15normal_iteratorINS6_10device_ptrIKiEEEESL_NS6_8equal_toIiEEEENSG_9not_fun_tINSD_8identityEEEEENSD_19counting_iterator_tIlEES8_S8_S8_S8_S8_S8_S8_S8_EEEEPS9_S9_NSD_9__find_if7functorIS9_EEEE10hipError_tPvRmT1_T2_T3_mT4_P12ihipStream_tbEUlT_E0_NS1_11comp_targetILNS1_3genE4ELNS1_11target_archE910ELNS1_3gpuE8ELNS1_3repE0EEENS1_30default_config_static_selectorELNS0_4arch9wavefront6targetE0EEEvS14_.has_recursion, 0
	.set _ZN7rocprim17ROCPRIM_400000_NS6detail17trampoline_kernelINS0_14default_configENS1_22reduce_config_selectorIN6thrust23THRUST_200600_302600_NS5tupleIblNS6_9null_typeES8_S8_S8_S8_S8_S8_S8_EEEEZNS1_11reduce_implILb1ES3_NS6_12zip_iteratorINS7_INS6_11hip_rocprim26transform_input_iterator_tIbNSD_35transform_pair_of_input_iterators_tIbNS6_6detail15normal_iteratorINS6_10device_ptrIKiEEEESL_NS6_8equal_toIiEEEENSG_9not_fun_tINSD_8identityEEEEENSD_19counting_iterator_tIlEES8_S8_S8_S8_S8_S8_S8_S8_EEEEPS9_S9_NSD_9__find_if7functorIS9_EEEE10hipError_tPvRmT1_T2_T3_mT4_P12ihipStream_tbEUlT_E0_NS1_11comp_targetILNS1_3genE4ELNS1_11target_archE910ELNS1_3gpuE8ELNS1_3repE0EEENS1_30default_config_static_selectorELNS0_4arch9wavefront6targetE0EEEvS14_.has_indirect_call, 0
	.section	.AMDGPU.csdata,"",@progbits
; Kernel info:
; codeLenInByte = 0
; TotalNumSgprs: 0
; NumVgprs: 0
; ScratchSize: 0
; MemoryBound: 0
; FloatMode: 240
; IeeeMode: 1
; LDSByteSize: 0 bytes/workgroup (compile time only)
; SGPRBlocks: 0
; VGPRBlocks: 0
; NumSGPRsForWavesPerEU: 1
; NumVGPRsForWavesPerEU: 1
; Occupancy: 16
; WaveLimiterHint : 0
; COMPUTE_PGM_RSRC2:SCRATCH_EN: 0
; COMPUTE_PGM_RSRC2:USER_SGPR: 6
; COMPUTE_PGM_RSRC2:TRAP_HANDLER: 0
; COMPUTE_PGM_RSRC2:TGID_X_EN: 1
; COMPUTE_PGM_RSRC2:TGID_Y_EN: 0
; COMPUTE_PGM_RSRC2:TGID_Z_EN: 0
; COMPUTE_PGM_RSRC2:TIDIG_COMP_CNT: 0
	.section	.text._ZN7rocprim17ROCPRIM_400000_NS6detail17trampoline_kernelINS0_14default_configENS1_22reduce_config_selectorIN6thrust23THRUST_200600_302600_NS5tupleIblNS6_9null_typeES8_S8_S8_S8_S8_S8_S8_EEEEZNS1_11reduce_implILb1ES3_NS6_12zip_iteratorINS7_INS6_11hip_rocprim26transform_input_iterator_tIbNSD_35transform_pair_of_input_iterators_tIbNS6_6detail15normal_iteratorINS6_10device_ptrIKiEEEESL_NS6_8equal_toIiEEEENSG_9not_fun_tINSD_8identityEEEEENSD_19counting_iterator_tIlEES8_S8_S8_S8_S8_S8_S8_S8_EEEEPS9_S9_NSD_9__find_if7functorIS9_EEEE10hipError_tPvRmT1_T2_T3_mT4_P12ihipStream_tbEUlT_E0_NS1_11comp_targetILNS1_3genE3ELNS1_11target_archE908ELNS1_3gpuE7ELNS1_3repE0EEENS1_30default_config_static_selectorELNS0_4arch9wavefront6targetE0EEEvS14_,"axG",@progbits,_ZN7rocprim17ROCPRIM_400000_NS6detail17trampoline_kernelINS0_14default_configENS1_22reduce_config_selectorIN6thrust23THRUST_200600_302600_NS5tupleIblNS6_9null_typeES8_S8_S8_S8_S8_S8_S8_EEEEZNS1_11reduce_implILb1ES3_NS6_12zip_iteratorINS7_INS6_11hip_rocprim26transform_input_iterator_tIbNSD_35transform_pair_of_input_iterators_tIbNS6_6detail15normal_iteratorINS6_10device_ptrIKiEEEESL_NS6_8equal_toIiEEEENSG_9not_fun_tINSD_8identityEEEEENSD_19counting_iterator_tIlEES8_S8_S8_S8_S8_S8_S8_S8_EEEEPS9_S9_NSD_9__find_if7functorIS9_EEEE10hipError_tPvRmT1_T2_T3_mT4_P12ihipStream_tbEUlT_E0_NS1_11comp_targetILNS1_3genE3ELNS1_11target_archE908ELNS1_3gpuE7ELNS1_3repE0EEENS1_30default_config_static_selectorELNS0_4arch9wavefront6targetE0EEEvS14_,comdat
	.protected	_ZN7rocprim17ROCPRIM_400000_NS6detail17trampoline_kernelINS0_14default_configENS1_22reduce_config_selectorIN6thrust23THRUST_200600_302600_NS5tupleIblNS6_9null_typeES8_S8_S8_S8_S8_S8_S8_EEEEZNS1_11reduce_implILb1ES3_NS6_12zip_iteratorINS7_INS6_11hip_rocprim26transform_input_iterator_tIbNSD_35transform_pair_of_input_iterators_tIbNS6_6detail15normal_iteratorINS6_10device_ptrIKiEEEESL_NS6_8equal_toIiEEEENSG_9not_fun_tINSD_8identityEEEEENSD_19counting_iterator_tIlEES8_S8_S8_S8_S8_S8_S8_S8_EEEEPS9_S9_NSD_9__find_if7functorIS9_EEEE10hipError_tPvRmT1_T2_T3_mT4_P12ihipStream_tbEUlT_E0_NS1_11comp_targetILNS1_3genE3ELNS1_11target_archE908ELNS1_3gpuE7ELNS1_3repE0EEENS1_30default_config_static_selectorELNS0_4arch9wavefront6targetE0EEEvS14_ ; -- Begin function _ZN7rocprim17ROCPRIM_400000_NS6detail17trampoline_kernelINS0_14default_configENS1_22reduce_config_selectorIN6thrust23THRUST_200600_302600_NS5tupleIblNS6_9null_typeES8_S8_S8_S8_S8_S8_S8_EEEEZNS1_11reduce_implILb1ES3_NS6_12zip_iteratorINS7_INS6_11hip_rocprim26transform_input_iterator_tIbNSD_35transform_pair_of_input_iterators_tIbNS6_6detail15normal_iteratorINS6_10device_ptrIKiEEEESL_NS6_8equal_toIiEEEENSG_9not_fun_tINSD_8identityEEEEENSD_19counting_iterator_tIlEES8_S8_S8_S8_S8_S8_S8_S8_EEEEPS9_S9_NSD_9__find_if7functorIS9_EEEE10hipError_tPvRmT1_T2_T3_mT4_P12ihipStream_tbEUlT_E0_NS1_11comp_targetILNS1_3genE3ELNS1_11target_archE908ELNS1_3gpuE7ELNS1_3repE0EEENS1_30default_config_static_selectorELNS0_4arch9wavefront6targetE0EEEvS14_
	.globl	_ZN7rocprim17ROCPRIM_400000_NS6detail17trampoline_kernelINS0_14default_configENS1_22reduce_config_selectorIN6thrust23THRUST_200600_302600_NS5tupleIblNS6_9null_typeES8_S8_S8_S8_S8_S8_S8_EEEEZNS1_11reduce_implILb1ES3_NS6_12zip_iteratorINS7_INS6_11hip_rocprim26transform_input_iterator_tIbNSD_35transform_pair_of_input_iterators_tIbNS6_6detail15normal_iteratorINS6_10device_ptrIKiEEEESL_NS6_8equal_toIiEEEENSG_9not_fun_tINSD_8identityEEEEENSD_19counting_iterator_tIlEES8_S8_S8_S8_S8_S8_S8_S8_EEEEPS9_S9_NSD_9__find_if7functorIS9_EEEE10hipError_tPvRmT1_T2_T3_mT4_P12ihipStream_tbEUlT_E0_NS1_11comp_targetILNS1_3genE3ELNS1_11target_archE908ELNS1_3gpuE7ELNS1_3repE0EEENS1_30default_config_static_selectorELNS0_4arch9wavefront6targetE0EEEvS14_
	.p2align	8
	.type	_ZN7rocprim17ROCPRIM_400000_NS6detail17trampoline_kernelINS0_14default_configENS1_22reduce_config_selectorIN6thrust23THRUST_200600_302600_NS5tupleIblNS6_9null_typeES8_S8_S8_S8_S8_S8_S8_EEEEZNS1_11reduce_implILb1ES3_NS6_12zip_iteratorINS7_INS6_11hip_rocprim26transform_input_iterator_tIbNSD_35transform_pair_of_input_iterators_tIbNS6_6detail15normal_iteratorINS6_10device_ptrIKiEEEESL_NS6_8equal_toIiEEEENSG_9not_fun_tINSD_8identityEEEEENSD_19counting_iterator_tIlEES8_S8_S8_S8_S8_S8_S8_S8_EEEEPS9_S9_NSD_9__find_if7functorIS9_EEEE10hipError_tPvRmT1_T2_T3_mT4_P12ihipStream_tbEUlT_E0_NS1_11comp_targetILNS1_3genE3ELNS1_11target_archE908ELNS1_3gpuE7ELNS1_3repE0EEENS1_30default_config_static_selectorELNS0_4arch9wavefront6targetE0EEEvS14_,@function
_ZN7rocprim17ROCPRIM_400000_NS6detail17trampoline_kernelINS0_14default_configENS1_22reduce_config_selectorIN6thrust23THRUST_200600_302600_NS5tupleIblNS6_9null_typeES8_S8_S8_S8_S8_S8_S8_EEEEZNS1_11reduce_implILb1ES3_NS6_12zip_iteratorINS7_INS6_11hip_rocprim26transform_input_iterator_tIbNSD_35transform_pair_of_input_iterators_tIbNS6_6detail15normal_iteratorINS6_10device_ptrIKiEEEESL_NS6_8equal_toIiEEEENSG_9not_fun_tINSD_8identityEEEEENSD_19counting_iterator_tIlEES8_S8_S8_S8_S8_S8_S8_S8_EEEEPS9_S9_NSD_9__find_if7functorIS9_EEEE10hipError_tPvRmT1_T2_T3_mT4_P12ihipStream_tbEUlT_E0_NS1_11comp_targetILNS1_3genE3ELNS1_11target_archE908ELNS1_3gpuE7ELNS1_3repE0EEENS1_30default_config_static_selectorELNS0_4arch9wavefront6targetE0EEEvS14_: ; @_ZN7rocprim17ROCPRIM_400000_NS6detail17trampoline_kernelINS0_14default_configENS1_22reduce_config_selectorIN6thrust23THRUST_200600_302600_NS5tupleIblNS6_9null_typeES8_S8_S8_S8_S8_S8_S8_EEEEZNS1_11reduce_implILb1ES3_NS6_12zip_iteratorINS7_INS6_11hip_rocprim26transform_input_iterator_tIbNSD_35transform_pair_of_input_iterators_tIbNS6_6detail15normal_iteratorINS6_10device_ptrIKiEEEESL_NS6_8equal_toIiEEEENSG_9not_fun_tINSD_8identityEEEEENSD_19counting_iterator_tIlEES8_S8_S8_S8_S8_S8_S8_S8_EEEEPS9_S9_NSD_9__find_if7functorIS9_EEEE10hipError_tPvRmT1_T2_T3_mT4_P12ihipStream_tbEUlT_E0_NS1_11comp_targetILNS1_3genE3ELNS1_11target_archE908ELNS1_3gpuE7ELNS1_3repE0EEENS1_30default_config_static_selectorELNS0_4arch9wavefront6targetE0EEEvS14_
; %bb.0:
	.section	.rodata,"a",@progbits
	.p2align	6, 0x0
	.amdhsa_kernel _ZN7rocprim17ROCPRIM_400000_NS6detail17trampoline_kernelINS0_14default_configENS1_22reduce_config_selectorIN6thrust23THRUST_200600_302600_NS5tupleIblNS6_9null_typeES8_S8_S8_S8_S8_S8_S8_EEEEZNS1_11reduce_implILb1ES3_NS6_12zip_iteratorINS7_INS6_11hip_rocprim26transform_input_iterator_tIbNSD_35transform_pair_of_input_iterators_tIbNS6_6detail15normal_iteratorINS6_10device_ptrIKiEEEESL_NS6_8equal_toIiEEEENSG_9not_fun_tINSD_8identityEEEEENSD_19counting_iterator_tIlEES8_S8_S8_S8_S8_S8_S8_S8_EEEEPS9_S9_NSD_9__find_if7functorIS9_EEEE10hipError_tPvRmT1_T2_T3_mT4_P12ihipStream_tbEUlT_E0_NS1_11comp_targetILNS1_3genE3ELNS1_11target_archE908ELNS1_3gpuE7ELNS1_3repE0EEENS1_30default_config_static_selectorELNS0_4arch9wavefront6targetE0EEEvS14_
		.amdhsa_group_segment_fixed_size 0
		.amdhsa_private_segment_fixed_size 0
		.amdhsa_kernarg_size 104
		.amdhsa_user_sgpr_count 6
		.amdhsa_user_sgpr_private_segment_buffer 1
		.amdhsa_user_sgpr_dispatch_ptr 0
		.amdhsa_user_sgpr_queue_ptr 0
		.amdhsa_user_sgpr_kernarg_segment_ptr 1
		.amdhsa_user_sgpr_dispatch_id 0
		.amdhsa_user_sgpr_flat_scratch_init 0
		.amdhsa_user_sgpr_private_segment_size 0
		.amdhsa_wavefront_size32 1
		.amdhsa_uses_dynamic_stack 0
		.amdhsa_system_sgpr_private_segment_wavefront_offset 0
		.amdhsa_system_sgpr_workgroup_id_x 1
		.amdhsa_system_sgpr_workgroup_id_y 0
		.amdhsa_system_sgpr_workgroup_id_z 0
		.amdhsa_system_sgpr_workgroup_info 0
		.amdhsa_system_vgpr_workitem_id 0
		.amdhsa_next_free_vgpr 1
		.amdhsa_next_free_sgpr 1
		.amdhsa_reserve_vcc 0
		.amdhsa_reserve_flat_scratch 0
		.amdhsa_float_round_mode_32 0
		.amdhsa_float_round_mode_16_64 0
		.amdhsa_float_denorm_mode_32 3
		.amdhsa_float_denorm_mode_16_64 3
		.amdhsa_dx10_clamp 1
		.amdhsa_ieee_mode 1
		.amdhsa_fp16_overflow 0
		.amdhsa_workgroup_processor_mode 1
		.amdhsa_memory_ordered 1
		.amdhsa_forward_progress 1
		.amdhsa_shared_vgpr_count 0
		.amdhsa_exception_fp_ieee_invalid_op 0
		.amdhsa_exception_fp_denorm_src 0
		.amdhsa_exception_fp_ieee_div_zero 0
		.amdhsa_exception_fp_ieee_overflow 0
		.amdhsa_exception_fp_ieee_underflow 0
		.amdhsa_exception_fp_ieee_inexact 0
		.amdhsa_exception_int_div_zero 0
	.end_amdhsa_kernel
	.section	.text._ZN7rocprim17ROCPRIM_400000_NS6detail17trampoline_kernelINS0_14default_configENS1_22reduce_config_selectorIN6thrust23THRUST_200600_302600_NS5tupleIblNS6_9null_typeES8_S8_S8_S8_S8_S8_S8_EEEEZNS1_11reduce_implILb1ES3_NS6_12zip_iteratorINS7_INS6_11hip_rocprim26transform_input_iterator_tIbNSD_35transform_pair_of_input_iterators_tIbNS6_6detail15normal_iteratorINS6_10device_ptrIKiEEEESL_NS6_8equal_toIiEEEENSG_9not_fun_tINSD_8identityEEEEENSD_19counting_iterator_tIlEES8_S8_S8_S8_S8_S8_S8_S8_EEEEPS9_S9_NSD_9__find_if7functorIS9_EEEE10hipError_tPvRmT1_T2_T3_mT4_P12ihipStream_tbEUlT_E0_NS1_11comp_targetILNS1_3genE3ELNS1_11target_archE908ELNS1_3gpuE7ELNS1_3repE0EEENS1_30default_config_static_selectorELNS0_4arch9wavefront6targetE0EEEvS14_,"axG",@progbits,_ZN7rocprim17ROCPRIM_400000_NS6detail17trampoline_kernelINS0_14default_configENS1_22reduce_config_selectorIN6thrust23THRUST_200600_302600_NS5tupleIblNS6_9null_typeES8_S8_S8_S8_S8_S8_S8_EEEEZNS1_11reduce_implILb1ES3_NS6_12zip_iteratorINS7_INS6_11hip_rocprim26transform_input_iterator_tIbNSD_35transform_pair_of_input_iterators_tIbNS6_6detail15normal_iteratorINS6_10device_ptrIKiEEEESL_NS6_8equal_toIiEEEENSG_9not_fun_tINSD_8identityEEEEENSD_19counting_iterator_tIlEES8_S8_S8_S8_S8_S8_S8_S8_EEEEPS9_S9_NSD_9__find_if7functorIS9_EEEE10hipError_tPvRmT1_T2_T3_mT4_P12ihipStream_tbEUlT_E0_NS1_11comp_targetILNS1_3genE3ELNS1_11target_archE908ELNS1_3gpuE7ELNS1_3repE0EEENS1_30default_config_static_selectorELNS0_4arch9wavefront6targetE0EEEvS14_,comdat
.Lfunc_end489:
	.size	_ZN7rocprim17ROCPRIM_400000_NS6detail17trampoline_kernelINS0_14default_configENS1_22reduce_config_selectorIN6thrust23THRUST_200600_302600_NS5tupleIblNS6_9null_typeES8_S8_S8_S8_S8_S8_S8_EEEEZNS1_11reduce_implILb1ES3_NS6_12zip_iteratorINS7_INS6_11hip_rocprim26transform_input_iterator_tIbNSD_35transform_pair_of_input_iterators_tIbNS6_6detail15normal_iteratorINS6_10device_ptrIKiEEEESL_NS6_8equal_toIiEEEENSG_9not_fun_tINSD_8identityEEEEENSD_19counting_iterator_tIlEES8_S8_S8_S8_S8_S8_S8_S8_EEEEPS9_S9_NSD_9__find_if7functorIS9_EEEE10hipError_tPvRmT1_T2_T3_mT4_P12ihipStream_tbEUlT_E0_NS1_11comp_targetILNS1_3genE3ELNS1_11target_archE908ELNS1_3gpuE7ELNS1_3repE0EEENS1_30default_config_static_selectorELNS0_4arch9wavefront6targetE0EEEvS14_, .Lfunc_end489-_ZN7rocprim17ROCPRIM_400000_NS6detail17trampoline_kernelINS0_14default_configENS1_22reduce_config_selectorIN6thrust23THRUST_200600_302600_NS5tupleIblNS6_9null_typeES8_S8_S8_S8_S8_S8_S8_EEEEZNS1_11reduce_implILb1ES3_NS6_12zip_iteratorINS7_INS6_11hip_rocprim26transform_input_iterator_tIbNSD_35transform_pair_of_input_iterators_tIbNS6_6detail15normal_iteratorINS6_10device_ptrIKiEEEESL_NS6_8equal_toIiEEEENSG_9not_fun_tINSD_8identityEEEEENSD_19counting_iterator_tIlEES8_S8_S8_S8_S8_S8_S8_S8_EEEEPS9_S9_NSD_9__find_if7functorIS9_EEEE10hipError_tPvRmT1_T2_T3_mT4_P12ihipStream_tbEUlT_E0_NS1_11comp_targetILNS1_3genE3ELNS1_11target_archE908ELNS1_3gpuE7ELNS1_3repE0EEENS1_30default_config_static_selectorELNS0_4arch9wavefront6targetE0EEEvS14_
                                        ; -- End function
	.set _ZN7rocprim17ROCPRIM_400000_NS6detail17trampoline_kernelINS0_14default_configENS1_22reduce_config_selectorIN6thrust23THRUST_200600_302600_NS5tupleIblNS6_9null_typeES8_S8_S8_S8_S8_S8_S8_EEEEZNS1_11reduce_implILb1ES3_NS6_12zip_iteratorINS7_INS6_11hip_rocprim26transform_input_iterator_tIbNSD_35transform_pair_of_input_iterators_tIbNS6_6detail15normal_iteratorINS6_10device_ptrIKiEEEESL_NS6_8equal_toIiEEEENSG_9not_fun_tINSD_8identityEEEEENSD_19counting_iterator_tIlEES8_S8_S8_S8_S8_S8_S8_S8_EEEEPS9_S9_NSD_9__find_if7functorIS9_EEEE10hipError_tPvRmT1_T2_T3_mT4_P12ihipStream_tbEUlT_E0_NS1_11comp_targetILNS1_3genE3ELNS1_11target_archE908ELNS1_3gpuE7ELNS1_3repE0EEENS1_30default_config_static_selectorELNS0_4arch9wavefront6targetE0EEEvS14_.num_vgpr, 0
	.set _ZN7rocprim17ROCPRIM_400000_NS6detail17trampoline_kernelINS0_14default_configENS1_22reduce_config_selectorIN6thrust23THRUST_200600_302600_NS5tupleIblNS6_9null_typeES8_S8_S8_S8_S8_S8_S8_EEEEZNS1_11reduce_implILb1ES3_NS6_12zip_iteratorINS7_INS6_11hip_rocprim26transform_input_iterator_tIbNSD_35transform_pair_of_input_iterators_tIbNS6_6detail15normal_iteratorINS6_10device_ptrIKiEEEESL_NS6_8equal_toIiEEEENSG_9not_fun_tINSD_8identityEEEEENSD_19counting_iterator_tIlEES8_S8_S8_S8_S8_S8_S8_S8_EEEEPS9_S9_NSD_9__find_if7functorIS9_EEEE10hipError_tPvRmT1_T2_T3_mT4_P12ihipStream_tbEUlT_E0_NS1_11comp_targetILNS1_3genE3ELNS1_11target_archE908ELNS1_3gpuE7ELNS1_3repE0EEENS1_30default_config_static_selectorELNS0_4arch9wavefront6targetE0EEEvS14_.num_agpr, 0
	.set _ZN7rocprim17ROCPRIM_400000_NS6detail17trampoline_kernelINS0_14default_configENS1_22reduce_config_selectorIN6thrust23THRUST_200600_302600_NS5tupleIblNS6_9null_typeES8_S8_S8_S8_S8_S8_S8_EEEEZNS1_11reduce_implILb1ES3_NS6_12zip_iteratorINS7_INS6_11hip_rocprim26transform_input_iterator_tIbNSD_35transform_pair_of_input_iterators_tIbNS6_6detail15normal_iteratorINS6_10device_ptrIKiEEEESL_NS6_8equal_toIiEEEENSG_9not_fun_tINSD_8identityEEEEENSD_19counting_iterator_tIlEES8_S8_S8_S8_S8_S8_S8_S8_EEEEPS9_S9_NSD_9__find_if7functorIS9_EEEE10hipError_tPvRmT1_T2_T3_mT4_P12ihipStream_tbEUlT_E0_NS1_11comp_targetILNS1_3genE3ELNS1_11target_archE908ELNS1_3gpuE7ELNS1_3repE0EEENS1_30default_config_static_selectorELNS0_4arch9wavefront6targetE0EEEvS14_.numbered_sgpr, 0
	.set _ZN7rocprim17ROCPRIM_400000_NS6detail17trampoline_kernelINS0_14default_configENS1_22reduce_config_selectorIN6thrust23THRUST_200600_302600_NS5tupleIblNS6_9null_typeES8_S8_S8_S8_S8_S8_S8_EEEEZNS1_11reduce_implILb1ES3_NS6_12zip_iteratorINS7_INS6_11hip_rocprim26transform_input_iterator_tIbNSD_35transform_pair_of_input_iterators_tIbNS6_6detail15normal_iteratorINS6_10device_ptrIKiEEEESL_NS6_8equal_toIiEEEENSG_9not_fun_tINSD_8identityEEEEENSD_19counting_iterator_tIlEES8_S8_S8_S8_S8_S8_S8_S8_EEEEPS9_S9_NSD_9__find_if7functorIS9_EEEE10hipError_tPvRmT1_T2_T3_mT4_P12ihipStream_tbEUlT_E0_NS1_11comp_targetILNS1_3genE3ELNS1_11target_archE908ELNS1_3gpuE7ELNS1_3repE0EEENS1_30default_config_static_selectorELNS0_4arch9wavefront6targetE0EEEvS14_.num_named_barrier, 0
	.set _ZN7rocprim17ROCPRIM_400000_NS6detail17trampoline_kernelINS0_14default_configENS1_22reduce_config_selectorIN6thrust23THRUST_200600_302600_NS5tupleIblNS6_9null_typeES8_S8_S8_S8_S8_S8_S8_EEEEZNS1_11reduce_implILb1ES3_NS6_12zip_iteratorINS7_INS6_11hip_rocprim26transform_input_iterator_tIbNSD_35transform_pair_of_input_iterators_tIbNS6_6detail15normal_iteratorINS6_10device_ptrIKiEEEESL_NS6_8equal_toIiEEEENSG_9not_fun_tINSD_8identityEEEEENSD_19counting_iterator_tIlEES8_S8_S8_S8_S8_S8_S8_S8_EEEEPS9_S9_NSD_9__find_if7functorIS9_EEEE10hipError_tPvRmT1_T2_T3_mT4_P12ihipStream_tbEUlT_E0_NS1_11comp_targetILNS1_3genE3ELNS1_11target_archE908ELNS1_3gpuE7ELNS1_3repE0EEENS1_30default_config_static_selectorELNS0_4arch9wavefront6targetE0EEEvS14_.private_seg_size, 0
	.set _ZN7rocprim17ROCPRIM_400000_NS6detail17trampoline_kernelINS0_14default_configENS1_22reduce_config_selectorIN6thrust23THRUST_200600_302600_NS5tupleIblNS6_9null_typeES8_S8_S8_S8_S8_S8_S8_EEEEZNS1_11reduce_implILb1ES3_NS6_12zip_iteratorINS7_INS6_11hip_rocprim26transform_input_iterator_tIbNSD_35transform_pair_of_input_iterators_tIbNS6_6detail15normal_iteratorINS6_10device_ptrIKiEEEESL_NS6_8equal_toIiEEEENSG_9not_fun_tINSD_8identityEEEEENSD_19counting_iterator_tIlEES8_S8_S8_S8_S8_S8_S8_S8_EEEEPS9_S9_NSD_9__find_if7functorIS9_EEEE10hipError_tPvRmT1_T2_T3_mT4_P12ihipStream_tbEUlT_E0_NS1_11comp_targetILNS1_3genE3ELNS1_11target_archE908ELNS1_3gpuE7ELNS1_3repE0EEENS1_30default_config_static_selectorELNS0_4arch9wavefront6targetE0EEEvS14_.uses_vcc, 0
	.set _ZN7rocprim17ROCPRIM_400000_NS6detail17trampoline_kernelINS0_14default_configENS1_22reduce_config_selectorIN6thrust23THRUST_200600_302600_NS5tupleIblNS6_9null_typeES8_S8_S8_S8_S8_S8_S8_EEEEZNS1_11reduce_implILb1ES3_NS6_12zip_iteratorINS7_INS6_11hip_rocprim26transform_input_iterator_tIbNSD_35transform_pair_of_input_iterators_tIbNS6_6detail15normal_iteratorINS6_10device_ptrIKiEEEESL_NS6_8equal_toIiEEEENSG_9not_fun_tINSD_8identityEEEEENSD_19counting_iterator_tIlEES8_S8_S8_S8_S8_S8_S8_S8_EEEEPS9_S9_NSD_9__find_if7functorIS9_EEEE10hipError_tPvRmT1_T2_T3_mT4_P12ihipStream_tbEUlT_E0_NS1_11comp_targetILNS1_3genE3ELNS1_11target_archE908ELNS1_3gpuE7ELNS1_3repE0EEENS1_30default_config_static_selectorELNS0_4arch9wavefront6targetE0EEEvS14_.uses_flat_scratch, 0
	.set _ZN7rocprim17ROCPRIM_400000_NS6detail17trampoline_kernelINS0_14default_configENS1_22reduce_config_selectorIN6thrust23THRUST_200600_302600_NS5tupleIblNS6_9null_typeES8_S8_S8_S8_S8_S8_S8_EEEEZNS1_11reduce_implILb1ES3_NS6_12zip_iteratorINS7_INS6_11hip_rocprim26transform_input_iterator_tIbNSD_35transform_pair_of_input_iterators_tIbNS6_6detail15normal_iteratorINS6_10device_ptrIKiEEEESL_NS6_8equal_toIiEEEENSG_9not_fun_tINSD_8identityEEEEENSD_19counting_iterator_tIlEES8_S8_S8_S8_S8_S8_S8_S8_EEEEPS9_S9_NSD_9__find_if7functorIS9_EEEE10hipError_tPvRmT1_T2_T3_mT4_P12ihipStream_tbEUlT_E0_NS1_11comp_targetILNS1_3genE3ELNS1_11target_archE908ELNS1_3gpuE7ELNS1_3repE0EEENS1_30default_config_static_selectorELNS0_4arch9wavefront6targetE0EEEvS14_.has_dyn_sized_stack, 0
	.set _ZN7rocprim17ROCPRIM_400000_NS6detail17trampoline_kernelINS0_14default_configENS1_22reduce_config_selectorIN6thrust23THRUST_200600_302600_NS5tupleIblNS6_9null_typeES8_S8_S8_S8_S8_S8_S8_EEEEZNS1_11reduce_implILb1ES3_NS6_12zip_iteratorINS7_INS6_11hip_rocprim26transform_input_iterator_tIbNSD_35transform_pair_of_input_iterators_tIbNS6_6detail15normal_iteratorINS6_10device_ptrIKiEEEESL_NS6_8equal_toIiEEEENSG_9not_fun_tINSD_8identityEEEEENSD_19counting_iterator_tIlEES8_S8_S8_S8_S8_S8_S8_S8_EEEEPS9_S9_NSD_9__find_if7functorIS9_EEEE10hipError_tPvRmT1_T2_T3_mT4_P12ihipStream_tbEUlT_E0_NS1_11comp_targetILNS1_3genE3ELNS1_11target_archE908ELNS1_3gpuE7ELNS1_3repE0EEENS1_30default_config_static_selectorELNS0_4arch9wavefront6targetE0EEEvS14_.has_recursion, 0
	.set _ZN7rocprim17ROCPRIM_400000_NS6detail17trampoline_kernelINS0_14default_configENS1_22reduce_config_selectorIN6thrust23THRUST_200600_302600_NS5tupleIblNS6_9null_typeES8_S8_S8_S8_S8_S8_S8_EEEEZNS1_11reduce_implILb1ES3_NS6_12zip_iteratorINS7_INS6_11hip_rocprim26transform_input_iterator_tIbNSD_35transform_pair_of_input_iterators_tIbNS6_6detail15normal_iteratorINS6_10device_ptrIKiEEEESL_NS6_8equal_toIiEEEENSG_9not_fun_tINSD_8identityEEEEENSD_19counting_iterator_tIlEES8_S8_S8_S8_S8_S8_S8_S8_EEEEPS9_S9_NSD_9__find_if7functorIS9_EEEE10hipError_tPvRmT1_T2_T3_mT4_P12ihipStream_tbEUlT_E0_NS1_11comp_targetILNS1_3genE3ELNS1_11target_archE908ELNS1_3gpuE7ELNS1_3repE0EEENS1_30default_config_static_selectorELNS0_4arch9wavefront6targetE0EEEvS14_.has_indirect_call, 0
	.section	.AMDGPU.csdata,"",@progbits
; Kernel info:
; codeLenInByte = 0
; TotalNumSgprs: 0
; NumVgprs: 0
; ScratchSize: 0
; MemoryBound: 0
; FloatMode: 240
; IeeeMode: 1
; LDSByteSize: 0 bytes/workgroup (compile time only)
; SGPRBlocks: 0
; VGPRBlocks: 0
; NumSGPRsForWavesPerEU: 1
; NumVGPRsForWavesPerEU: 1
; Occupancy: 16
; WaveLimiterHint : 0
; COMPUTE_PGM_RSRC2:SCRATCH_EN: 0
; COMPUTE_PGM_RSRC2:USER_SGPR: 6
; COMPUTE_PGM_RSRC2:TRAP_HANDLER: 0
; COMPUTE_PGM_RSRC2:TGID_X_EN: 1
; COMPUTE_PGM_RSRC2:TGID_Y_EN: 0
; COMPUTE_PGM_RSRC2:TGID_Z_EN: 0
; COMPUTE_PGM_RSRC2:TIDIG_COMP_CNT: 0
	.section	.text._ZN7rocprim17ROCPRIM_400000_NS6detail17trampoline_kernelINS0_14default_configENS1_22reduce_config_selectorIN6thrust23THRUST_200600_302600_NS5tupleIblNS6_9null_typeES8_S8_S8_S8_S8_S8_S8_EEEEZNS1_11reduce_implILb1ES3_NS6_12zip_iteratorINS7_INS6_11hip_rocprim26transform_input_iterator_tIbNSD_35transform_pair_of_input_iterators_tIbNS6_6detail15normal_iteratorINS6_10device_ptrIKiEEEESL_NS6_8equal_toIiEEEENSG_9not_fun_tINSD_8identityEEEEENSD_19counting_iterator_tIlEES8_S8_S8_S8_S8_S8_S8_S8_EEEEPS9_S9_NSD_9__find_if7functorIS9_EEEE10hipError_tPvRmT1_T2_T3_mT4_P12ihipStream_tbEUlT_E0_NS1_11comp_targetILNS1_3genE2ELNS1_11target_archE906ELNS1_3gpuE6ELNS1_3repE0EEENS1_30default_config_static_selectorELNS0_4arch9wavefront6targetE0EEEvS14_,"axG",@progbits,_ZN7rocprim17ROCPRIM_400000_NS6detail17trampoline_kernelINS0_14default_configENS1_22reduce_config_selectorIN6thrust23THRUST_200600_302600_NS5tupleIblNS6_9null_typeES8_S8_S8_S8_S8_S8_S8_EEEEZNS1_11reduce_implILb1ES3_NS6_12zip_iteratorINS7_INS6_11hip_rocprim26transform_input_iterator_tIbNSD_35transform_pair_of_input_iterators_tIbNS6_6detail15normal_iteratorINS6_10device_ptrIKiEEEESL_NS6_8equal_toIiEEEENSG_9not_fun_tINSD_8identityEEEEENSD_19counting_iterator_tIlEES8_S8_S8_S8_S8_S8_S8_S8_EEEEPS9_S9_NSD_9__find_if7functorIS9_EEEE10hipError_tPvRmT1_T2_T3_mT4_P12ihipStream_tbEUlT_E0_NS1_11comp_targetILNS1_3genE2ELNS1_11target_archE906ELNS1_3gpuE6ELNS1_3repE0EEENS1_30default_config_static_selectorELNS0_4arch9wavefront6targetE0EEEvS14_,comdat
	.protected	_ZN7rocprim17ROCPRIM_400000_NS6detail17trampoline_kernelINS0_14default_configENS1_22reduce_config_selectorIN6thrust23THRUST_200600_302600_NS5tupleIblNS6_9null_typeES8_S8_S8_S8_S8_S8_S8_EEEEZNS1_11reduce_implILb1ES3_NS6_12zip_iteratorINS7_INS6_11hip_rocprim26transform_input_iterator_tIbNSD_35transform_pair_of_input_iterators_tIbNS6_6detail15normal_iteratorINS6_10device_ptrIKiEEEESL_NS6_8equal_toIiEEEENSG_9not_fun_tINSD_8identityEEEEENSD_19counting_iterator_tIlEES8_S8_S8_S8_S8_S8_S8_S8_EEEEPS9_S9_NSD_9__find_if7functorIS9_EEEE10hipError_tPvRmT1_T2_T3_mT4_P12ihipStream_tbEUlT_E0_NS1_11comp_targetILNS1_3genE2ELNS1_11target_archE906ELNS1_3gpuE6ELNS1_3repE0EEENS1_30default_config_static_selectorELNS0_4arch9wavefront6targetE0EEEvS14_ ; -- Begin function _ZN7rocprim17ROCPRIM_400000_NS6detail17trampoline_kernelINS0_14default_configENS1_22reduce_config_selectorIN6thrust23THRUST_200600_302600_NS5tupleIblNS6_9null_typeES8_S8_S8_S8_S8_S8_S8_EEEEZNS1_11reduce_implILb1ES3_NS6_12zip_iteratorINS7_INS6_11hip_rocprim26transform_input_iterator_tIbNSD_35transform_pair_of_input_iterators_tIbNS6_6detail15normal_iteratorINS6_10device_ptrIKiEEEESL_NS6_8equal_toIiEEEENSG_9not_fun_tINSD_8identityEEEEENSD_19counting_iterator_tIlEES8_S8_S8_S8_S8_S8_S8_S8_EEEEPS9_S9_NSD_9__find_if7functorIS9_EEEE10hipError_tPvRmT1_T2_T3_mT4_P12ihipStream_tbEUlT_E0_NS1_11comp_targetILNS1_3genE2ELNS1_11target_archE906ELNS1_3gpuE6ELNS1_3repE0EEENS1_30default_config_static_selectorELNS0_4arch9wavefront6targetE0EEEvS14_
	.globl	_ZN7rocprim17ROCPRIM_400000_NS6detail17trampoline_kernelINS0_14default_configENS1_22reduce_config_selectorIN6thrust23THRUST_200600_302600_NS5tupleIblNS6_9null_typeES8_S8_S8_S8_S8_S8_S8_EEEEZNS1_11reduce_implILb1ES3_NS6_12zip_iteratorINS7_INS6_11hip_rocprim26transform_input_iterator_tIbNSD_35transform_pair_of_input_iterators_tIbNS6_6detail15normal_iteratorINS6_10device_ptrIKiEEEESL_NS6_8equal_toIiEEEENSG_9not_fun_tINSD_8identityEEEEENSD_19counting_iterator_tIlEES8_S8_S8_S8_S8_S8_S8_S8_EEEEPS9_S9_NSD_9__find_if7functorIS9_EEEE10hipError_tPvRmT1_T2_T3_mT4_P12ihipStream_tbEUlT_E0_NS1_11comp_targetILNS1_3genE2ELNS1_11target_archE906ELNS1_3gpuE6ELNS1_3repE0EEENS1_30default_config_static_selectorELNS0_4arch9wavefront6targetE0EEEvS14_
	.p2align	8
	.type	_ZN7rocprim17ROCPRIM_400000_NS6detail17trampoline_kernelINS0_14default_configENS1_22reduce_config_selectorIN6thrust23THRUST_200600_302600_NS5tupleIblNS6_9null_typeES8_S8_S8_S8_S8_S8_S8_EEEEZNS1_11reduce_implILb1ES3_NS6_12zip_iteratorINS7_INS6_11hip_rocprim26transform_input_iterator_tIbNSD_35transform_pair_of_input_iterators_tIbNS6_6detail15normal_iteratorINS6_10device_ptrIKiEEEESL_NS6_8equal_toIiEEEENSG_9not_fun_tINSD_8identityEEEEENSD_19counting_iterator_tIlEES8_S8_S8_S8_S8_S8_S8_S8_EEEEPS9_S9_NSD_9__find_if7functorIS9_EEEE10hipError_tPvRmT1_T2_T3_mT4_P12ihipStream_tbEUlT_E0_NS1_11comp_targetILNS1_3genE2ELNS1_11target_archE906ELNS1_3gpuE6ELNS1_3repE0EEENS1_30default_config_static_selectorELNS0_4arch9wavefront6targetE0EEEvS14_,@function
_ZN7rocprim17ROCPRIM_400000_NS6detail17trampoline_kernelINS0_14default_configENS1_22reduce_config_selectorIN6thrust23THRUST_200600_302600_NS5tupleIblNS6_9null_typeES8_S8_S8_S8_S8_S8_S8_EEEEZNS1_11reduce_implILb1ES3_NS6_12zip_iteratorINS7_INS6_11hip_rocprim26transform_input_iterator_tIbNSD_35transform_pair_of_input_iterators_tIbNS6_6detail15normal_iteratorINS6_10device_ptrIKiEEEESL_NS6_8equal_toIiEEEENSG_9not_fun_tINSD_8identityEEEEENSD_19counting_iterator_tIlEES8_S8_S8_S8_S8_S8_S8_S8_EEEEPS9_S9_NSD_9__find_if7functorIS9_EEEE10hipError_tPvRmT1_T2_T3_mT4_P12ihipStream_tbEUlT_E0_NS1_11comp_targetILNS1_3genE2ELNS1_11target_archE906ELNS1_3gpuE6ELNS1_3repE0EEENS1_30default_config_static_selectorELNS0_4arch9wavefront6targetE0EEEvS14_: ; @_ZN7rocprim17ROCPRIM_400000_NS6detail17trampoline_kernelINS0_14default_configENS1_22reduce_config_selectorIN6thrust23THRUST_200600_302600_NS5tupleIblNS6_9null_typeES8_S8_S8_S8_S8_S8_S8_EEEEZNS1_11reduce_implILb1ES3_NS6_12zip_iteratorINS7_INS6_11hip_rocprim26transform_input_iterator_tIbNSD_35transform_pair_of_input_iterators_tIbNS6_6detail15normal_iteratorINS6_10device_ptrIKiEEEESL_NS6_8equal_toIiEEEENSG_9not_fun_tINSD_8identityEEEEENSD_19counting_iterator_tIlEES8_S8_S8_S8_S8_S8_S8_S8_EEEEPS9_S9_NSD_9__find_if7functorIS9_EEEE10hipError_tPvRmT1_T2_T3_mT4_P12ihipStream_tbEUlT_E0_NS1_11comp_targetILNS1_3genE2ELNS1_11target_archE906ELNS1_3gpuE6ELNS1_3repE0EEENS1_30default_config_static_selectorELNS0_4arch9wavefront6targetE0EEEvS14_
; %bb.0:
	.section	.rodata,"a",@progbits
	.p2align	6, 0x0
	.amdhsa_kernel _ZN7rocprim17ROCPRIM_400000_NS6detail17trampoline_kernelINS0_14default_configENS1_22reduce_config_selectorIN6thrust23THRUST_200600_302600_NS5tupleIblNS6_9null_typeES8_S8_S8_S8_S8_S8_S8_EEEEZNS1_11reduce_implILb1ES3_NS6_12zip_iteratorINS7_INS6_11hip_rocprim26transform_input_iterator_tIbNSD_35transform_pair_of_input_iterators_tIbNS6_6detail15normal_iteratorINS6_10device_ptrIKiEEEESL_NS6_8equal_toIiEEEENSG_9not_fun_tINSD_8identityEEEEENSD_19counting_iterator_tIlEES8_S8_S8_S8_S8_S8_S8_S8_EEEEPS9_S9_NSD_9__find_if7functorIS9_EEEE10hipError_tPvRmT1_T2_T3_mT4_P12ihipStream_tbEUlT_E0_NS1_11comp_targetILNS1_3genE2ELNS1_11target_archE906ELNS1_3gpuE6ELNS1_3repE0EEENS1_30default_config_static_selectorELNS0_4arch9wavefront6targetE0EEEvS14_
		.amdhsa_group_segment_fixed_size 0
		.amdhsa_private_segment_fixed_size 0
		.amdhsa_kernarg_size 104
		.amdhsa_user_sgpr_count 6
		.amdhsa_user_sgpr_private_segment_buffer 1
		.amdhsa_user_sgpr_dispatch_ptr 0
		.amdhsa_user_sgpr_queue_ptr 0
		.amdhsa_user_sgpr_kernarg_segment_ptr 1
		.amdhsa_user_sgpr_dispatch_id 0
		.amdhsa_user_sgpr_flat_scratch_init 0
		.amdhsa_user_sgpr_private_segment_size 0
		.amdhsa_wavefront_size32 1
		.amdhsa_uses_dynamic_stack 0
		.amdhsa_system_sgpr_private_segment_wavefront_offset 0
		.amdhsa_system_sgpr_workgroup_id_x 1
		.amdhsa_system_sgpr_workgroup_id_y 0
		.amdhsa_system_sgpr_workgroup_id_z 0
		.amdhsa_system_sgpr_workgroup_info 0
		.amdhsa_system_vgpr_workitem_id 0
		.amdhsa_next_free_vgpr 1
		.amdhsa_next_free_sgpr 1
		.amdhsa_reserve_vcc 0
		.amdhsa_reserve_flat_scratch 0
		.amdhsa_float_round_mode_32 0
		.amdhsa_float_round_mode_16_64 0
		.amdhsa_float_denorm_mode_32 3
		.amdhsa_float_denorm_mode_16_64 3
		.amdhsa_dx10_clamp 1
		.amdhsa_ieee_mode 1
		.amdhsa_fp16_overflow 0
		.amdhsa_workgroup_processor_mode 1
		.amdhsa_memory_ordered 1
		.amdhsa_forward_progress 1
		.amdhsa_shared_vgpr_count 0
		.amdhsa_exception_fp_ieee_invalid_op 0
		.amdhsa_exception_fp_denorm_src 0
		.amdhsa_exception_fp_ieee_div_zero 0
		.amdhsa_exception_fp_ieee_overflow 0
		.amdhsa_exception_fp_ieee_underflow 0
		.amdhsa_exception_fp_ieee_inexact 0
		.amdhsa_exception_int_div_zero 0
	.end_amdhsa_kernel
	.section	.text._ZN7rocprim17ROCPRIM_400000_NS6detail17trampoline_kernelINS0_14default_configENS1_22reduce_config_selectorIN6thrust23THRUST_200600_302600_NS5tupleIblNS6_9null_typeES8_S8_S8_S8_S8_S8_S8_EEEEZNS1_11reduce_implILb1ES3_NS6_12zip_iteratorINS7_INS6_11hip_rocprim26transform_input_iterator_tIbNSD_35transform_pair_of_input_iterators_tIbNS6_6detail15normal_iteratorINS6_10device_ptrIKiEEEESL_NS6_8equal_toIiEEEENSG_9not_fun_tINSD_8identityEEEEENSD_19counting_iterator_tIlEES8_S8_S8_S8_S8_S8_S8_S8_EEEEPS9_S9_NSD_9__find_if7functorIS9_EEEE10hipError_tPvRmT1_T2_T3_mT4_P12ihipStream_tbEUlT_E0_NS1_11comp_targetILNS1_3genE2ELNS1_11target_archE906ELNS1_3gpuE6ELNS1_3repE0EEENS1_30default_config_static_selectorELNS0_4arch9wavefront6targetE0EEEvS14_,"axG",@progbits,_ZN7rocprim17ROCPRIM_400000_NS6detail17trampoline_kernelINS0_14default_configENS1_22reduce_config_selectorIN6thrust23THRUST_200600_302600_NS5tupleIblNS6_9null_typeES8_S8_S8_S8_S8_S8_S8_EEEEZNS1_11reduce_implILb1ES3_NS6_12zip_iteratorINS7_INS6_11hip_rocprim26transform_input_iterator_tIbNSD_35transform_pair_of_input_iterators_tIbNS6_6detail15normal_iteratorINS6_10device_ptrIKiEEEESL_NS6_8equal_toIiEEEENSG_9not_fun_tINSD_8identityEEEEENSD_19counting_iterator_tIlEES8_S8_S8_S8_S8_S8_S8_S8_EEEEPS9_S9_NSD_9__find_if7functorIS9_EEEE10hipError_tPvRmT1_T2_T3_mT4_P12ihipStream_tbEUlT_E0_NS1_11comp_targetILNS1_3genE2ELNS1_11target_archE906ELNS1_3gpuE6ELNS1_3repE0EEENS1_30default_config_static_selectorELNS0_4arch9wavefront6targetE0EEEvS14_,comdat
.Lfunc_end490:
	.size	_ZN7rocprim17ROCPRIM_400000_NS6detail17trampoline_kernelINS0_14default_configENS1_22reduce_config_selectorIN6thrust23THRUST_200600_302600_NS5tupleIblNS6_9null_typeES8_S8_S8_S8_S8_S8_S8_EEEEZNS1_11reduce_implILb1ES3_NS6_12zip_iteratorINS7_INS6_11hip_rocprim26transform_input_iterator_tIbNSD_35transform_pair_of_input_iterators_tIbNS6_6detail15normal_iteratorINS6_10device_ptrIKiEEEESL_NS6_8equal_toIiEEEENSG_9not_fun_tINSD_8identityEEEEENSD_19counting_iterator_tIlEES8_S8_S8_S8_S8_S8_S8_S8_EEEEPS9_S9_NSD_9__find_if7functorIS9_EEEE10hipError_tPvRmT1_T2_T3_mT4_P12ihipStream_tbEUlT_E0_NS1_11comp_targetILNS1_3genE2ELNS1_11target_archE906ELNS1_3gpuE6ELNS1_3repE0EEENS1_30default_config_static_selectorELNS0_4arch9wavefront6targetE0EEEvS14_, .Lfunc_end490-_ZN7rocprim17ROCPRIM_400000_NS6detail17trampoline_kernelINS0_14default_configENS1_22reduce_config_selectorIN6thrust23THRUST_200600_302600_NS5tupleIblNS6_9null_typeES8_S8_S8_S8_S8_S8_S8_EEEEZNS1_11reduce_implILb1ES3_NS6_12zip_iteratorINS7_INS6_11hip_rocprim26transform_input_iterator_tIbNSD_35transform_pair_of_input_iterators_tIbNS6_6detail15normal_iteratorINS6_10device_ptrIKiEEEESL_NS6_8equal_toIiEEEENSG_9not_fun_tINSD_8identityEEEEENSD_19counting_iterator_tIlEES8_S8_S8_S8_S8_S8_S8_S8_EEEEPS9_S9_NSD_9__find_if7functorIS9_EEEE10hipError_tPvRmT1_T2_T3_mT4_P12ihipStream_tbEUlT_E0_NS1_11comp_targetILNS1_3genE2ELNS1_11target_archE906ELNS1_3gpuE6ELNS1_3repE0EEENS1_30default_config_static_selectorELNS0_4arch9wavefront6targetE0EEEvS14_
                                        ; -- End function
	.set _ZN7rocprim17ROCPRIM_400000_NS6detail17trampoline_kernelINS0_14default_configENS1_22reduce_config_selectorIN6thrust23THRUST_200600_302600_NS5tupleIblNS6_9null_typeES8_S8_S8_S8_S8_S8_S8_EEEEZNS1_11reduce_implILb1ES3_NS6_12zip_iteratorINS7_INS6_11hip_rocprim26transform_input_iterator_tIbNSD_35transform_pair_of_input_iterators_tIbNS6_6detail15normal_iteratorINS6_10device_ptrIKiEEEESL_NS6_8equal_toIiEEEENSG_9not_fun_tINSD_8identityEEEEENSD_19counting_iterator_tIlEES8_S8_S8_S8_S8_S8_S8_S8_EEEEPS9_S9_NSD_9__find_if7functorIS9_EEEE10hipError_tPvRmT1_T2_T3_mT4_P12ihipStream_tbEUlT_E0_NS1_11comp_targetILNS1_3genE2ELNS1_11target_archE906ELNS1_3gpuE6ELNS1_3repE0EEENS1_30default_config_static_selectorELNS0_4arch9wavefront6targetE0EEEvS14_.num_vgpr, 0
	.set _ZN7rocprim17ROCPRIM_400000_NS6detail17trampoline_kernelINS0_14default_configENS1_22reduce_config_selectorIN6thrust23THRUST_200600_302600_NS5tupleIblNS6_9null_typeES8_S8_S8_S8_S8_S8_S8_EEEEZNS1_11reduce_implILb1ES3_NS6_12zip_iteratorINS7_INS6_11hip_rocprim26transform_input_iterator_tIbNSD_35transform_pair_of_input_iterators_tIbNS6_6detail15normal_iteratorINS6_10device_ptrIKiEEEESL_NS6_8equal_toIiEEEENSG_9not_fun_tINSD_8identityEEEEENSD_19counting_iterator_tIlEES8_S8_S8_S8_S8_S8_S8_S8_EEEEPS9_S9_NSD_9__find_if7functorIS9_EEEE10hipError_tPvRmT1_T2_T3_mT4_P12ihipStream_tbEUlT_E0_NS1_11comp_targetILNS1_3genE2ELNS1_11target_archE906ELNS1_3gpuE6ELNS1_3repE0EEENS1_30default_config_static_selectorELNS0_4arch9wavefront6targetE0EEEvS14_.num_agpr, 0
	.set _ZN7rocprim17ROCPRIM_400000_NS6detail17trampoline_kernelINS0_14default_configENS1_22reduce_config_selectorIN6thrust23THRUST_200600_302600_NS5tupleIblNS6_9null_typeES8_S8_S8_S8_S8_S8_S8_EEEEZNS1_11reduce_implILb1ES3_NS6_12zip_iteratorINS7_INS6_11hip_rocprim26transform_input_iterator_tIbNSD_35transform_pair_of_input_iterators_tIbNS6_6detail15normal_iteratorINS6_10device_ptrIKiEEEESL_NS6_8equal_toIiEEEENSG_9not_fun_tINSD_8identityEEEEENSD_19counting_iterator_tIlEES8_S8_S8_S8_S8_S8_S8_S8_EEEEPS9_S9_NSD_9__find_if7functorIS9_EEEE10hipError_tPvRmT1_T2_T3_mT4_P12ihipStream_tbEUlT_E0_NS1_11comp_targetILNS1_3genE2ELNS1_11target_archE906ELNS1_3gpuE6ELNS1_3repE0EEENS1_30default_config_static_selectorELNS0_4arch9wavefront6targetE0EEEvS14_.numbered_sgpr, 0
	.set _ZN7rocprim17ROCPRIM_400000_NS6detail17trampoline_kernelINS0_14default_configENS1_22reduce_config_selectorIN6thrust23THRUST_200600_302600_NS5tupleIblNS6_9null_typeES8_S8_S8_S8_S8_S8_S8_EEEEZNS1_11reduce_implILb1ES3_NS6_12zip_iteratorINS7_INS6_11hip_rocprim26transform_input_iterator_tIbNSD_35transform_pair_of_input_iterators_tIbNS6_6detail15normal_iteratorINS6_10device_ptrIKiEEEESL_NS6_8equal_toIiEEEENSG_9not_fun_tINSD_8identityEEEEENSD_19counting_iterator_tIlEES8_S8_S8_S8_S8_S8_S8_S8_EEEEPS9_S9_NSD_9__find_if7functorIS9_EEEE10hipError_tPvRmT1_T2_T3_mT4_P12ihipStream_tbEUlT_E0_NS1_11comp_targetILNS1_3genE2ELNS1_11target_archE906ELNS1_3gpuE6ELNS1_3repE0EEENS1_30default_config_static_selectorELNS0_4arch9wavefront6targetE0EEEvS14_.num_named_barrier, 0
	.set _ZN7rocprim17ROCPRIM_400000_NS6detail17trampoline_kernelINS0_14default_configENS1_22reduce_config_selectorIN6thrust23THRUST_200600_302600_NS5tupleIblNS6_9null_typeES8_S8_S8_S8_S8_S8_S8_EEEEZNS1_11reduce_implILb1ES3_NS6_12zip_iteratorINS7_INS6_11hip_rocprim26transform_input_iterator_tIbNSD_35transform_pair_of_input_iterators_tIbNS6_6detail15normal_iteratorINS6_10device_ptrIKiEEEESL_NS6_8equal_toIiEEEENSG_9not_fun_tINSD_8identityEEEEENSD_19counting_iterator_tIlEES8_S8_S8_S8_S8_S8_S8_S8_EEEEPS9_S9_NSD_9__find_if7functorIS9_EEEE10hipError_tPvRmT1_T2_T3_mT4_P12ihipStream_tbEUlT_E0_NS1_11comp_targetILNS1_3genE2ELNS1_11target_archE906ELNS1_3gpuE6ELNS1_3repE0EEENS1_30default_config_static_selectorELNS0_4arch9wavefront6targetE0EEEvS14_.private_seg_size, 0
	.set _ZN7rocprim17ROCPRIM_400000_NS6detail17trampoline_kernelINS0_14default_configENS1_22reduce_config_selectorIN6thrust23THRUST_200600_302600_NS5tupleIblNS6_9null_typeES8_S8_S8_S8_S8_S8_S8_EEEEZNS1_11reduce_implILb1ES3_NS6_12zip_iteratorINS7_INS6_11hip_rocprim26transform_input_iterator_tIbNSD_35transform_pair_of_input_iterators_tIbNS6_6detail15normal_iteratorINS6_10device_ptrIKiEEEESL_NS6_8equal_toIiEEEENSG_9not_fun_tINSD_8identityEEEEENSD_19counting_iterator_tIlEES8_S8_S8_S8_S8_S8_S8_S8_EEEEPS9_S9_NSD_9__find_if7functorIS9_EEEE10hipError_tPvRmT1_T2_T3_mT4_P12ihipStream_tbEUlT_E0_NS1_11comp_targetILNS1_3genE2ELNS1_11target_archE906ELNS1_3gpuE6ELNS1_3repE0EEENS1_30default_config_static_selectorELNS0_4arch9wavefront6targetE0EEEvS14_.uses_vcc, 0
	.set _ZN7rocprim17ROCPRIM_400000_NS6detail17trampoline_kernelINS0_14default_configENS1_22reduce_config_selectorIN6thrust23THRUST_200600_302600_NS5tupleIblNS6_9null_typeES8_S8_S8_S8_S8_S8_S8_EEEEZNS1_11reduce_implILb1ES3_NS6_12zip_iteratorINS7_INS6_11hip_rocprim26transform_input_iterator_tIbNSD_35transform_pair_of_input_iterators_tIbNS6_6detail15normal_iteratorINS6_10device_ptrIKiEEEESL_NS6_8equal_toIiEEEENSG_9not_fun_tINSD_8identityEEEEENSD_19counting_iterator_tIlEES8_S8_S8_S8_S8_S8_S8_S8_EEEEPS9_S9_NSD_9__find_if7functorIS9_EEEE10hipError_tPvRmT1_T2_T3_mT4_P12ihipStream_tbEUlT_E0_NS1_11comp_targetILNS1_3genE2ELNS1_11target_archE906ELNS1_3gpuE6ELNS1_3repE0EEENS1_30default_config_static_selectorELNS0_4arch9wavefront6targetE0EEEvS14_.uses_flat_scratch, 0
	.set _ZN7rocprim17ROCPRIM_400000_NS6detail17trampoline_kernelINS0_14default_configENS1_22reduce_config_selectorIN6thrust23THRUST_200600_302600_NS5tupleIblNS6_9null_typeES8_S8_S8_S8_S8_S8_S8_EEEEZNS1_11reduce_implILb1ES3_NS6_12zip_iteratorINS7_INS6_11hip_rocprim26transform_input_iterator_tIbNSD_35transform_pair_of_input_iterators_tIbNS6_6detail15normal_iteratorINS6_10device_ptrIKiEEEESL_NS6_8equal_toIiEEEENSG_9not_fun_tINSD_8identityEEEEENSD_19counting_iterator_tIlEES8_S8_S8_S8_S8_S8_S8_S8_EEEEPS9_S9_NSD_9__find_if7functorIS9_EEEE10hipError_tPvRmT1_T2_T3_mT4_P12ihipStream_tbEUlT_E0_NS1_11comp_targetILNS1_3genE2ELNS1_11target_archE906ELNS1_3gpuE6ELNS1_3repE0EEENS1_30default_config_static_selectorELNS0_4arch9wavefront6targetE0EEEvS14_.has_dyn_sized_stack, 0
	.set _ZN7rocprim17ROCPRIM_400000_NS6detail17trampoline_kernelINS0_14default_configENS1_22reduce_config_selectorIN6thrust23THRUST_200600_302600_NS5tupleIblNS6_9null_typeES8_S8_S8_S8_S8_S8_S8_EEEEZNS1_11reduce_implILb1ES3_NS6_12zip_iteratorINS7_INS6_11hip_rocprim26transform_input_iterator_tIbNSD_35transform_pair_of_input_iterators_tIbNS6_6detail15normal_iteratorINS6_10device_ptrIKiEEEESL_NS6_8equal_toIiEEEENSG_9not_fun_tINSD_8identityEEEEENSD_19counting_iterator_tIlEES8_S8_S8_S8_S8_S8_S8_S8_EEEEPS9_S9_NSD_9__find_if7functorIS9_EEEE10hipError_tPvRmT1_T2_T3_mT4_P12ihipStream_tbEUlT_E0_NS1_11comp_targetILNS1_3genE2ELNS1_11target_archE906ELNS1_3gpuE6ELNS1_3repE0EEENS1_30default_config_static_selectorELNS0_4arch9wavefront6targetE0EEEvS14_.has_recursion, 0
	.set _ZN7rocprim17ROCPRIM_400000_NS6detail17trampoline_kernelINS0_14default_configENS1_22reduce_config_selectorIN6thrust23THRUST_200600_302600_NS5tupleIblNS6_9null_typeES8_S8_S8_S8_S8_S8_S8_EEEEZNS1_11reduce_implILb1ES3_NS6_12zip_iteratorINS7_INS6_11hip_rocprim26transform_input_iterator_tIbNSD_35transform_pair_of_input_iterators_tIbNS6_6detail15normal_iteratorINS6_10device_ptrIKiEEEESL_NS6_8equal_toIiEEEENSG_9not_fun_tINSD_8identityEEEEENSD_19counting_iterator_tIlEES8_S8_S8_S8_S8_S8_S8_S8_EEEEPS9_S9_NSD_9__find_if7functorIS9_EEEE10hipError_tPvRmT1_T2_T3_mT4_P12ihipStream_tbEUlT_E0_NS1_11comp_targetILNS1_3genE2ELNS1_11target_archE906ELNS1_3gpuE6ELNS1_3repE0EEENS1_30default_config_static_selectorELNS0_4arch9wavefront6targetE0EEEvS14_.has_indirect_call, 0
	.section	.AMDGPU.csdata,"",@progbits
; Kernel info:
; codeLenInByte = 0
; TotalNumSgprs: 0
; NumVgprs: 0
; ScratchSize: 0
; MemoryBound: 0
; FloatMode: 240
; IeeeMode: 1
; LDSByteSize: 0 bytes/workgroup (compile time only)
; SGPRBlocks: 0
; VGPRBlocks: 0
; NumSGPRsForWavesPerEU: 1
; NumVGPRsForWavesPerEU: 1
; Occupancy: 16
; WaveLimiterHint : 0
; COMPUTE_PGM_RSRC2:SCRATCH_EN: 0
; COMPUTE_PGM_RSRC2:USER_SGPR: 6
; COMPUTE_PGM_RSRC2:TRAP_HANDLER: 0
; COMPUTE_PGM_RSRC2:TGID_X_EN: 1
; COMPUTE_PGM_RSRC2:TGID_Y_EN: 0
; COMPUTE_PGM_RSRC2:TGID_Z_EN: 0
; COMPUTE_PGM_RSRC2:TIDIG_COMP_CNT: 0
	.section	.text._ZN7rocprim17ROCPRIM_400000_NS6detail17trampoline_kernelINS0_14default_configENS1_22reduce_config_selectorIN6thrust23THRUST_200600_302600_NS5tupleIblNS6_9null_typeES8_S8_S8_S8_S8_S8_S8_EEEEZNS1_11reduce_implILb1ES3_NS6_12zip_iteratorINS7_INS6_11hip_rocprim26transform_input_iterator_tIbNSD_35transform_pair_of_input_iterators_tIbNS6_6detail15normal_iteratorINS6_10device_ptrIKiEEEESL_NS6_8equal_toIiEEEENSG_9not_fun_tINSD_8identityEEEEENSD_19counting_iterator_tIlEES8_S8_S8_S8_S8_S8_S8_S8_EEEEPS9_S9_NSD_9__find_if7functorIS9_EEEE10hipError_tPvRmT1_T2_T3_mT4_P12ihipStream_tbEUlT_E0_NS1_11comp_targetILNS1_3genE10ELNS1_11target_archE1201ELNS1_3gpuE5ELNS1_3repE0EEENS1_30default_config_static_selectorELNS0_4arch9wavefront6targetE0EEEvS14_,"axG",@progbits,_ZN7rocprim17ROCPRIM_400000_NS6detail17trampoline_kernelINS0_14default_configENS1_22reduce_config_selectorIN6thrust23THRUST_200600_302600_NS5tupleIblNS6_9null_typeES8_S8_S8_S8_S8_S8_S8_EEEEZNS1_11reduce_implILb1ES3_NS6_12zip_iteratorINS7_INS6_11hip_rocprim26transform_input_iterator_tIbNSD_35transform_pair_of_input_iterators_tIbNS6_6detail15normal_iteratorINS6_10device_ptrIKiEEEESL_NS6_8equal_toIiEEEENSG_9not_fun_tINSD_8identityEEEEENSD_19counting_iterator_tIlEES8_S8_S8_S8_S8_S8_S8_S8_EEEEPS9_S9_NSD_9__find_if7functorIS9_EEEE10hipError_tPvRmT1_T2_T3_mT4_P12ihipStream_tbEUlT_E0_NS1_11comp_targetILNS1_3genE10ELNS1_11target_archE1201ELNS1_3gpuE5ELNS1_3repE0EEENS1_30default_config_static_selectorELNS0_4arch9wavefront6targetE0EEEvS14_,comdat
	.protected	_ZN7rocprim17ROCPRIM_400000_NS6detail17trampoline_kernelINS0_14default_configENS1_22reduce_config_selectorIN6thrust23THRUST_200600_302600_NS5tupleIblNS6_9null_typeES8_S8_S8_S8_S8_S8_S8_EEEEZNS1_11reduce_implILb1ES3_NS6_12zip_iteratorINS7_INS6_11hip_rocprim26transform_input_iterator_tIbNSD_35transform_pair_of_input_iterators_tIbNS6_6detail15normal_iteratorINS6_10device_ptrIKiEEEESL_NS6_8equal_toIiEEEENSG_9not_fun_tINSD_8identityEEEEENSD_19counting_iterator_tIlEES8_S8_S8_S8_S8_S8_S8_S8_EEEEPS9_S9_NSD_9__find_if7functorIS9_EEEE10hipError_tPvRmT1_T2_T3_mT4_P12ihipStream_tbEUlT_E0_NS1_11comp_targetILNS1_3genE10ELNS1_11target_archE1201ELNS1_3gpuE5ELNS1_3repE0EEENS1_30default_config_static_selectorELNS0_4arch9wavefront6targetE0EEEvS14_ ; -- Begin function _ZN7rocprim17ROCPRIM_400000_NS6detail17trampoline_kernelINS0_14default_configENS1_22reduce_config_selectorIN6thrust23THRUST_200600_302600_NS5tupleIblNS6_9null_typeES8_S8_S8_S8_S8_S8_S8_EEEEZNS1_11reduce_implILb1ES3_NS6_12zip_iteratorINS7_INS6_11hip_rocprim26transform_input_iterator_tIbNSD_35transform_pair_of_input_iterators_tIbNS6_6detail15normal_iteratorINS6_10device_ptrIKiEEEESL_NS6_8equal_toIiEEEENSG_9not_fun_tINSD_8identityEEEEENSD_19counting_iterator_tIlEES8_S8_S8_S8_S8_S8_S8_S8_EEEEPS9_S9_NSD_9__find_if7functorIS9_EEEE10hipError_tPvRmT1_T2_T3_mT4_P12ihipStream_tbEUlT_E0_NS1_11comp_targetILNS1_3genE10ELNS1_11target_archE1201ELNS1_3gpuE5ELNS1_3repE0EEENS1_30default_config_static_selectorELNS0_4arch9wavefront6targetE0EEEvS14_
	.globl	_ZN7rocprim17ROCPRIM_400000_NS6detail17trampoline_kernelINS0_14default_configENS1_22reduce_config_selectorIN6thrust23THRUST_200600_302600_NS5tupleIblNS6_9null_typeES8_S8_S8_S8_S8_S8_S8_EEEEZNS1_11reduce_implILb1ES3_NS6_12zip_iteratorINS7_INS6_11hip_rocprim26transform_input_iterator_tIbNSD_35transform_pair_of_input_iterators_tIbNS6_6detail15normal_iteratorINS6_10device_ptrIKiEEEESL_NS6_8equal_toIiEEEENSG_9not_fun_tINSD_8identityEEEEENSD_19counting_iterator_tIlEES8_S8_S8_S8_S8_S8_S8_S8_EEEEPS9_S9_NSD_9__find_if7functorIS9_EEEE10hipError_tPvRmT1_T2_T3_mT4_P12ihipStream_tbEUlT_E0_NS1_11comp_targetILNS1_3genE10ELNS1_11target_archE1201ELNS1_3gpuE5ELNS1_3repE0EEENS1_30default_config_static_selectorELNS0_4arch9wavefront6targetE0EEEvS14_
	.p2align	8
	.type	_ZN7rocprim17ROCPRIM_400000_NS6detail17trampoline_kernelINS0_14default_configENS1_22reduce_config_selectorIN6thrust23THRUST_200600_302600_NS5tupleIblNS6_9null_typeES8_S8_S8_S8_S8_S8_S8_EEEEZNS1_11reduce_implILb1ES3_NS6_12zip_iteratorINS7_INS6_11hip_rocprim26transform_input_iterator_tIbNSD_35transform_pair_of_input_iterators_tIbNS6_6detail15normal_iteratorINS6_10device_ptrIKiEEEESL_NS6_8equal_toIiEEEENSG_9not_fun_tINSD_8identityEEEEENSD_19counting_iterator_tIlEES8_S8_S8_S8_S8_S8_S8_S8_EEEEPS9_S9_NSD_9__find_if7functorIS9_EEEE10hipError_tPvRmT1_T2_T3_mT4_P12ihipStream_tbEUlT_E0_NS1_11comp_targetILNS1_3genE10ELNS1_11target_archE1201ELNS1_3gpuE5ELNS1_3repE0EEENS1_30default_config_static_selectorELNS0_4arch9wavefront6targetE0EEEvS14_,@function
_ZN7rocprim17ROCPRIM_400000_NS6detail17trampoline_kernelINS0_14default_configENS1_22reduce_config_selectorIN6thrust23THRUST_200600_302600_NS5tupleIblNS6_9null_typeES8_S8_S8_S8_S8_S8_S8_EEEEZNS1_11reduce_implILb1ES3_NS6_12zip_iteratorINS7_INS6_11hip_rocprim26transform_input_iterator_tIbNSD_35transform_pair_of_input_iterators_tIbNS6_6detail15normal_iteratorINS6_10device_ptrIKiEEEESL_NS6_8equal_toIiEEEENSG_9not_fun_tINSD_8identityEEEEENSD_19counting_iterator_tIlEES8_S8_S8_S8_S8_S8_S8_S8_EEEEPS9_S9_NSD_9__find_if7functorIS9_EEEE10hipError_tPvRmT1_T2_T3_mT4_P12ihipStream_tbEUlT_E0_NS1_11comp_targetILNS1_3genE10ELNS1_11target_archE1201ELNS1_3gpuE5ELNS1_3repE0EEENS1_30default_config_static_selectorELNS0_4arch9wavefront6targetE0EEEvS14_: ; @_ZN7rocprim17ROCPRIM_400000_NS6detail17trampoline_kernelINS0_14default_configENS1_22reduce_config_selectorIN6thrust23THRUST_200600_302600_NS5tupleIblNS6_9null_typeES8_S8_S8_S8_S8_S8_S8_EEEEZNS1_11reduce_implILb1ES3_NS6_12zip_iteratorINS7_INS6_11hip_rocprim26transform_input_iterator_tIbNSD_35transform_pair_of_input_iterators_tIbNS6_6detail15normal_iteratorINS6_10device_ptrIKiEEEESL_NS6_8equal_toIiEEEENSG_9not_fun_tINSD_8identityEEEEENSD_19counting_iterator_tIlEES8_S8_S8_S8_S8_S8_S8_S8_EEEEPS9_S9_NSD_9__find_if7functorIS9_EEEE10hipError_tPvRmT1_T2_T3_mT4_P12ihipStream_tbEUlT_E0_NS1_11comp_targetILNS1_3genE10ELNS1_11target_archE1201ELNS1_3gpuE5ELNS1_3repE0EEENS1_30default_config_static_selectorELNS0_4arch9wavefront6targetE0EEEvS14_
; %bb.0:
	.section	.rodata,"a",@progbits
	.p2align	6, 0x0
	.amdhsa_kernel _ZN7rocprim17ROCPRIM_400000_NS6detail17trampoline_kernelINS0_14default_configENS1_22reduce_config_selectorIN6thrust23THRUST_200600_302600_NS5tupleIblNS6_9null_typeES8_S8_S8_S8_S8_S8_S8_EEEEZNS1_11reduce_implILb1ES3_NS6_12zip_iteratorINS7_INS6_11hip_rocprim26transform_input_iterator_tIbNSD_35transform_pair_of_input_iterators_tIbNS6_6detail15normal_iteratorINS6_10device_ptrIKiEEEESL_NS6_8equal_toIiEEEENSG_9not_fun_tINSD_8identityEEEEENSD_19counting_iterator_tIlEES8_S8_S8_S8_S8_S8_S8_S8_EEEEPS9_S9_NSD_9__find_if7functorIS9_EEEE10hipError_tPvRmT1_T2_T3_mT4_P12ihipStream_tbEUlT_E0_NS1_11comp_targetILNS1_3genE10ELNS1_11target_archE1201ELNS1_3gpuE5ELNS1_3repE0EEENS1_30default_config_static_selectorELNS0_4arch9wavefront6targetE0EEEvS14_
		.amdhsa_group_segment_fixed_size 0
		.amdhsa_private_segment_fixed_size 0
		.amdhsa_kernarg_size 104
		.amdhsa_user_sgpr_count 6
		.amdhsa_user_sgpr_private_segment_buffer 1
		.amdhsa_user_sgpr_dispatch_ptr 0
		.amdhsa_user_sgpr_queue_ptr 0
		.amdhsa_user_sgpr_kernarg_segment_ptr 1
		.amdhsa_user_sgpr_dispatch_id 0
		.amdhsa_user_sgpr_flat_scratch_init 0
		.amdhsa_user_sgpr_private_segment_size 0
		.amdhsa_wavefront_size32 1
		.amdhsa_uses_dynamic_stack 0
		.amdhsa_system_sgpr_private_segment_wavefront_offset 0
		.amdhsa_system_sgpr_workgroup_id_x 1
		.amdhsa_system_sgpr_workgroup_id_y 0
		.amdhsa_system_sgpr_workgroup_id_z 0
		.amdhsa_system_sgpr_workgroup_info 0
		.amdhsa_system_vgpr_workitem_id 0
		.amdhsa_next_free_vgpr 1
		.amdhsa_next_free_sgpr 1
		.amdhsa_reserve_vcc 0
		.amdhsa_reserve_flat_scratch 0
		.amdhsa_float_round_mode_32 0
		.amdhsa_float_round_mode_16_64 0
		.amdhsa_float_denorm_mode_32 3
		.amdhsa_float_denorm_mode_16_64 3
		.amdhsa_dx10_clamp 1
		.amdhsa_ieee_mode 1
		.amdhsa_fp16_overflow 0
		.amdhsa_workgroup_processor_mode 1
		.amdhsa_memory_ordered 1
		.amdhsa_forward_progress 1
		.amdhsa_shared_vgpr_count 0
		.amdhsa_exception_fp_ieee_invalid_op 0
		.amdhsa_exception_fp_denorm_src 0
		.amdhsa_exception_fp_ieee_div_zero 0
		.amdhsa_exception_fp_ieee_overflow 0
		.amdhsa_exception_fp_ieee_underflow 0
		.amdhsa_exception_fp_ieee_inexact 0
		.amdhsa_exception_int_div_zero 0
	.end_amdhsa_kernel
	.section	.text._ZN7rocprim17ROCPRIM_400000_NS6detail17trampoline_kernelINS0_14default_configENS1_22reduce_config_selectorIN6thrust23THRUST_200600_302600_NS5tupleIblNS6_9null_typeES8_S8_S8_S8_S8_S8_S8_EEEEZNS1_11reduce_implILb1ES3_NS6_12zip_iteratorINS7_INS6_11hip_rocprim26transform_input_iterator_tIbNSD_35transform_pair_of_input_iterators_tIbNS6_6detail15normal_iteratorINS6_10device_ptrIKiEEEESL_NS6_8equal_toIiEEEENSG_9not_fun_tINSD_8identityEEEEENSD_19counting_iterator_tIlEES8_S8_S8_S8_S8_S8_S8_S8_EEEEPS9_S9_NSD_9__find_if7functorIS9_EEEE10hipError_tPvRmT1_T2_T3_mT4_P12ihipStream_tbEUlT_E0_NS1_11comp_targetILNS1_3genE10ELNS1_11target_archE1201ELNS1_3gpuE5ELNS1_3repE0EEENS1_30default_config_static_selectorELNS0_4arch9wavefront6targetE0EEEvS14_,"axG",@progbits,_ZN7rocprim17ROCPRIM_400000_NS6detail17trampoline_kernelINS0_14default_configENS1_22reduce_config_selectorIN6thrust23THRUST_200600_302600_NS5tupleIblNS6_9null_typeES8_S8_S8_S8_S8_S8_S8_EEEEZNS1_11reduce_implILb1ES3_NS6_12zip_iteratorINS7_INS6_11hip_rocprim26transform_input_iterator_tIbNSD_35transform_pair_of_input_iterators_tIbNS6_6detail15normal_iteratorINS6_10device_ptrIKiEEEESL_NS6_8equal_toIiEEEENSG_9not_fun_tINSD_8identityEEEEENSD_19counting_iterator_tIlEES8_S8_S8_S8_S8_S8_S8_S8_EEEEPS9_S9_NSD_9__find_if7functorIS9_EEEE10hipError_tPvRmT1_T2_T3_mT4_P12ihipStream_tbEUlT_E0_NS1_11comp_targetILNS1_3genE10ELNS1_11target_archE1201ELNS1_3gpuE5ELNS1_3repE0EEENS1_30default_config_static_selectorELNS0_4arch9wavefront6targetE0EEEvS14_,comdat
.Lfunc_end491:
	.size	_ZN7rocprim17ROCPRIM_400000_NS6detail17trampoline_kernelINS0_14default_configENS1_22reduce_config_selectorIN6thrust23THRUST_200600_302600_NS5tupleIblNS6_9null_typeES8_S8_S8_S8_S8_S8_S8_EEEEZNS1_11reduce_implILb1ES3_NS6_12zip_iteratorINS7_INS6_11hip_rocprim26transform_input_iterator_tIbNSD_35transform_pair_of_input_iterators_tIbNS6_6detail15normal_iteratorINS6_10device_ptrIKiEEEESL_NS6_8equal_toIiEEEENSG_9not_fun_tINSD_8identityEEEEENSD_19counting_iterator_tIlEES8_S8_S8_S8_S8_S8_S8_S8_EEEEPS9_S9_NSD_9__find_if7functorIS9_EEEE10hipError_tPvRmT1_T2_T3_mT4_P12ihipStream_tbEUlT_E0_NS1_11comp_targetILNS1_3genE10ELNS1_11target_archE1201ELNS1_3gpuE5ELNS1_3repE0EEENS1_30default_config_static_selectorELNS0_4arch9wavefront6targetE0EEEvS14_, .Lfunc_end491-_ZN7rocprim17ROCPRIM_400000_NS6detail17trampoline_kernelINS0_14default_configENS1_22reduce_config_selectorIN6thrust23THRUST_200600_302600_NS5tupleIblNS6_9null_typeES8_S8_S8_S8_S8_S8_S8_EEEEZNS1_11reduce_implILb1ES3_NS6_12zip_iteratorINS7_INS6_11hip_rocprim26transform_input_iterator_tIbNSD_35transform_pair_of_input_iterators_tIbNS6_6detail15normal_iteratorINS6_10device_ptrIKiEEEESL_NS6_8equal_toIiEEEENSG_9not_fun_tINSD_8identityEEEEENSD_19counting_iterator_tIlEES8_S8_S8_S8_S8_S8_S8_S8_EEEEPS9_S9_NSD_9__find_if7functorIS9_EEEE10hipError_tPvRmT1_T2_T3_mT4_P12ihipStream_tbEUlT_E0_NS1_11comp_targetILNS1_3genE10ELNS1_11target_archE1201ELNS1_3gpuE5ELNS1_3repE0EEENS1_30default_config_static_selectorELNS0_4arch9wavefront6targetE0EEEvS14_
                                        ; -- End function
	.set _ZN7rocprim17ROCPRIM_400000_NS6detail17trampoline_kernelINS0_14default_configENS1_22reduce_config_selectorIN6thrust23THRUST_200600_302600_NS5tupleIblNS6_9null_typeES8_S8_S8_S8_S8_S8_S8_EEEEZNS1_11reduce_implILb1ES3_NS6_12zip_iteratorINS7_INS6_11hip_rocprim26transform_input_iterator_tIbNSD_35transform_pair_of_input_iterators_tIbNS6_6detail15normal_iteratorINS6_10device_ptrIKiEEEESL_NS6_8equal_toIiEEEENSG_9not_fun_tINSD_8identityEEEEENSD_19counting_iterator_tIlEES8_S8_S8_S8_S8_S8_S8_S8_EEEEPS9_S9_NSD_9__find_if7functorIS9_EEEE10hipError_tPvRmT1_T2_T3_mT4_P12ihipStream_tbEUlT_E0_NS1_11comp_targetILNS1_3genE10ELNS1_11target_archE1201ELNS1_3gpuE5ELNS1_3repE0EEENS1_30default_config_static_selectorELNS0_4arch9wavefront6targetE0EEEvS14_.num_vgpr, 0
	.set _ZN7rocprim17ROCPRIM_400000_NS6detail17trampoline_kernelINS0_14default_configENS1_22reduce_config_selectorIN6thrust23THRUST_200600_302600_NS5tupleIblNS6_9null_typeES8_S8_S8_S8_S8_S8_S8_EEEEZNS1_11reduce_implILb1ES3_NS6_12zip_iteratorINS7_INS6_11hip_rocprim26transform_input_iterator_tIbNSD_35transform_pair_of_input_iterators_tIbNS6_6detail15normal_iteratorINS6_10device_ptrIKiEEEESL_NS6_8equal_toIiEEEENSG_9not_fun_tINSD_8identityEEEEENSD_19counting_iterator_tIlEES8_S8_S8_S8_S8_S8_S8_S8_EEEEPS9_S9_NSD_9__find_if7functorIS9_EEEE10hipError_tPvRmT1_T2_T3_mT4_P12ihipStream_tbEUlT_E0_NS1_11comp_targetILNS1_3genE10ELNS1_11target_archE1201ELNS1_3gpuE5ELNS1_3repE0EEENS1_30default_config_static_selectorELNS0_4arch9wavefront6targetE0EEEvS14_.num_agpr, 0
	.set _ZN7rocprim17ROCPRIM_400000_NS6detail17trampoline_kernelINS0_14default_configENS1_22reduce_config_selectorIN6thrust23THRUST_200600_302600_NS5tupleIblNS6_9null_typeES8_S8_S8_S8_S8_S8_S8_EEEEZNS1_11reduce_implILb1ES3_NS6_12zip_iteratorINS7_INS6_11hip_rocprim26transform_input_iterator_tIbNSD_35transform_pair_of_input_iterators_tIbNS6_6detail15normal_iteratorINS6_10device_ptrIKiEEEESL_NS6_8equal_toIiEEEENSG_9not_fun_tINSD_8identityEEEEENSD_19counting_iterator_tIlEES8_S8_S8_S8_S8_S8_S8_S8_EEEEPS9_S9_NSD_9__find_if7functorIS9_EEEE10hipError_tPvRmT1_T2_T3_mT4_P12ihipStream_tbEUlT_E0_NS1_11comp_targetILNS1_3genE10ELNS1_11target_archE1201ELNS1_3gpuE5ELNS1_3repE0EEENS1_30default_config_static_selectorELNS0_4arch9wavefront6targetE0EEEvS14_.numbered_sgpr, 0
	.set _ZN7rocprim17ROCPRIM_400000_NS6detail17trampoline_kernelINS0_14default_configENS1_22reduce_config_selectorIN6thrust23THRUST_200600_302600_NS5tupleIblNS6_9null_typeES8_S8_S8_S8_S8_S8_S8_EEEEZNS1_11reduce_implILb1ES3_NS6_12zip_iteratorINS7_INS6_11hip_rocprim26transform_input_iterator_tIbNSD_35transform_pair_of_input_iterators_tIbNS6_6detail15normal_iteratorINS6_10device_ptrIKiEEEESL_NS6_8equal_toIiEEEENSG_9not_fun_tINSD_8identityEEEEENSD_19counting_iterator_tIlEES8_S8_S8_S8_S8_S8_S8_S8_EEEEPS9_S9_NSD_9__find_if7functorIS9_EEEE10hipError_tPvRmT1_T2_T3_mT4_P12ihipStream_tbEUlT_E0_NS1_11comp_targetILNS1_3genE10ELNS1_11target_archE1201ELNS1_3gpuE5ELNS1_3repE0EEENS1_30default_config_static_selectorELNS0_4arch9wavefront6targetE0EEEvS14_.num_named_barrier, 0
	.set _ZN7rocprim17ROCPRIM_400000_NS6detail17trampoline_kernelINS0_14default_configENS1_22reduce_config_selectorIN6thrust23THRUST_200600_302600_NS5tupleIblNS6_9null_typeES8_S8_S8_S8_S8_S8_S8_EEEEZNS1_11reduce_implILb1ES3_NS6_12zip_iteratorINS7_INS6_11hip_rocprim26transform_input_iterator_tIbNSD_35transform_pair_of_input_iterators_tIbNS6_6detail15normal_iteratorINS6_10device_ptrIKiEEEESL_NS6_8equal_toIiEEEENSG_9not_fun_tINSD_8identityEEEEENSD_19counting_iterator_tIlEES8_S8_S8_S8_S8_S8_S8_S8_EEEEPS9_S9_NSD_9__find_if7functorIS9_EEEE10hipError_tPvRmT1_T2_T3_mT4_P12ihipStream_tbEUlT_E0_NS1_11comp_targetILNS1_3genE10ELNS1_11target_archE1201ELNS1_3gpuE5ELNS1_3repE0EEENS1_30default_config_static_selectorELNS0_4arch9wavefront6targetE0EEEvS14_.private_seg_size, 0
	.set _ZN7rocprim17ROCPRIM_400000_NS6detail17trampoline_kernelINS0_14default_configENS1_22reduce_config_selectorIN6thrust23THRUST_200600_302600_NS5tupleIblNS6_9null_typeES8_S8_S8_S8_S8_S8_S8_EEEEZNS1_11reduce_implILb1ES3_NS6_12zip_iteratorINS7_INS6_11hip_rocprim26transform_input_iterator_tIbNSD_35transform_pair_of_input_iterators_tIbNS6_6detail15normal_iteratorINS6_10device_ptrIKiEEEESL_NS6_8equal_toIiEEEENSG_9not_fun_tINSD_8identityEEEEENSD_19counting_iterator_tIlEES8_S8_S8_S8_S8_S8_S8_S8_EEEEPS9_S9_NSD_9__find_if7functorIS9_EEEE10hipError_tPvRmT1_T2_T3_mT4_P12ihipStream_tbEUlT_E0_NS1_11comp_targetILNS1_3genE10ELNS1_11target_archE1201ELNS1_3gpuE5ELNS1_3repE0EEENS1_30default_config_static_selectorELNS0_4arch9wavefront6targetE0EEEvS14_.uses_vcc, 0
	.set _ZN7rocprim17ROCPRIM_400000_NS6detail17trampoline_kernelINS0_14default_configENS1_22reduce_config_selectorIN6thrust23THRUST_200600_302600_NS5tupleIblNS6_9null_typeES8_S8_S8_S8_S8_S8_S8_EEEEZNS1_11reduce_implILb1ES3_NS6_12zip_iteratorINS7_INS6_11hip_rocprim26transform_input_iterator_tIbNSD_35transform_pair_of_input_iterators_tIbNS6_6detail15normal_iteratorINS6_10device_ptrIKiEEEESL_NS6_8equal_toIiEEEENSG_9not_fun_tINSD_8identityEEEEENSD_19counting_iterator_tIlEES8_S8_S8_S8_S8_S8_S8_S8_EEEEPS9_S9_NSD_9__find_if7functorIS9_EEEE10hipError_tPvRmT1_T2_T3_mT4_P12ihipStream_tbEUlT_E0_NS1_11comp_targetILNS1_3genE10ELNS1_11target_archE1201ELNS1_3gpuE5ELNS1_3repE0EEENS1_30default_config_static_selectorELNS0_4arch9wavefront6targetE0EEEvS14_.uses_flat_scratch, 0
	.set _ZN7rocprim17ROCPRIM_400000_NS6detail17trampoline_kernelINS0_14default_configENS1_22reduce_config_selectorIN6thrust23THRUST_200600_302600_NS5tupleIblNS6_9null_typeES8_S8_S8_S8_S8_S8_S8_EEEEZNS1_11reduce_implILb1ES3_NS6_12zip_iteratorINS7_INS6_11hip_rocprim26transform_input_iterator_tIbNSD_35transform_pair_of_input_iterators_tIbNS6_6detail15normal_iteratorINS6_10device_ptrIKiEEEESL_NS6_8equal_toIiEEEENSG_9not_fun_tINSD_8identityEEEEENSD_19counting_iterator_tIlEES8_S8_S8_S8_S8_S8_S8_S8_EEEEPS9_S9_NSD_9__find_if7functorIS9_EEEE10hipError_tPvRmT1_T2_T3_mT4_P12ihipStream_tbEUlT_E0_NS1_11comp_targetILNS1_3genE10ELNS1_11target_archE1201ELNS1_3gpuE5ELNS1_3repE0EEENS1_30default_config_static_selectorELNS0_4arch9wavefront6targetE0EEEvS14_.has_dyn_sized_stack, 0
	.set _ZN7rocprim17ROCPRIM_400000_NS6detail17trampoline_kernelINS0_14default_configENS1_22reduce_config_selectorIN6thrust23THRUST_200600_302600_NS5tupleIblNS6_9null_typeES8_S8_S8_S8_S8_S8_S8_EEEEZNS1_11reduce_implILb1ES3_NS6_12zip_iteratorINS7_INS6_11hip_rocprim26transform_input_iterator_tIbNSD_35transform_pair_of_input_iterators_tIbNS6_6detail15normal_iteratorINS6_10device_ptrIKiEEEESL_NS6_8equal_toIiEEEENSG_9not_fun_tINSD_8identityEEEEENSD_19counting_iterator_tIlEES8_S8_S8_S8_S8_S8_S8_S8_EEEEPS9_S9_NSD_9__find_if7functorIS9_EEEE10hipError_tPvRmT1_T2_T3_mT4_P12ihipStream_tbEUlT_E0_NS1_11comp_targetILNS1_3genE10ELNS1_11target_archE1201ELNS1_3gpuE5ELNS1_3repE0EEENS1_30default_config_static_selectorELNS0_4arch9wavefront6targetE0EEEvS14_.has_recursion, 0
	.set _ZN7rocprim17ROCPRIM_400000_NS6detail17trampoline_kernelINS0_14default_configENS1_22reduce_config_selectorIN6thrust23THRUST_200600_302600_NS5tupleIblNS6_9null_typeES8_S8_S8_S8_S8_S8_S8_EEEEZNS1_11reduce_implILb1ES3_NS6_12zip_iteratorINS7_INS6_11hip_rocprim26transform_input_iterator_tIbNSD_35transform_pair_of_input_iterators_tIbNS6_6detail15normal_iteratorINS6_10device_ptrIKiEEEESL_NS6_8equal_toIiEEEENSG_9not_fun_tINSD_8identityEEEEENSD_19counting_iterator_tIlEES8_S8_S8_S8_S8_S8_S8_S8_EEEEPS9_S9_NSD_9__find_if7functorIS9_EEEE10hipError_tPvRmT1_T2_T3_mT4_P12ihipStream_tbEUlT_E0_NS1_11comp_targetILNS1_3genE10ELNS1_11target_archE1201ELNS1_3gpuE5ELNS1_3repE0EEENS1_30default_config_static_selectorELNS0_4arch9wavefront6targetE0EEEvS14_.has_indirect_call, 0
	.section	.AMDGPU.csdata,"",@progbits
; Kernel info:
; codeLenInByte = 0
; TotalNumSgprs: 0
; NumVgprs: 0
; ScratchSize: 0
; MemoryBound: 0
; FloatMode: 240
; IeeeMode: 1
; LDSByteSize: 0 bytes/workgroup (compile time only)
; SGPRBlocks: 0
; VGPRBlocks: 0
; NumSGPRsForWavesPerEU: 1
; NumVGPRsForWavesPerEU: 1
; Occupancy: 16
; WaveLimiterHint : 0
; COMPUTE_PGM_RSRC2:SCRATCH_EN: 0
; COMPUTE_PGM_RSRC2:USER_SGPR: 6
; COMPUTE_PGM_RSRC2:TRAP_HANDLER: 0
; COMPUTE_PGM_RSRC2:TGID_X_EN: 1
; COMPUTE_PGM_RSRC2:TGID_Y_EN: 0
; COMPUTE_PGM_RSRC2:TGID_Z_EN: 0
; COMPUTE_PGM_RSRC2:TIDIG_COMP_CNT: 0
	.section	.text._ZN7rocprim17ROCPRIM_400000_NS6detail17trampoline_kernelINS0_14default_configENS1_22reduce_config_selectorIN6thrust23THRUST_200600_302600_NS5tupleIblNS6_9null_typeES8_S8_S8_S8_S8_S8_S8_EEEEZNS1_11reduce_implILb1ES3_NS6_12zip_iteratorINS7_INS6_11hip_rocprim26transform_input_iterator_tIbNSD_35transform_pair_of_input_iterators_tIbNS6_6detail15normal_iteratorINS6_10device_ptrIKiEEEESL_NS6_8equal_toIiEEEENSG_9not_fun_tINSD_8identityEEEEENSD_19counting_iterator_tIlEES8_S8_S8_S8_S8_S8_S8_S8_EEEEPS9_S9_NSD_9__find_if7functorIS9_EEEE10hipError_tPvRmT1_T2_T3_mT4_P12ihipStream_tbEUlT_E0_NS1_11comp_targetILNS1_3genE10ELNS1_11target_archE1200ELNS1_3gpuE4ELNS1_3repE0EEENS1_30default_config_static_selectorELNS0_4arch9wavefront6targetE0EEEvS14_,"axG",@progbits,_ZN7rocprim17ROCPRIM_400000_NS6detail17trampoline_kernelINS0_14default_configENS1_22reduce_config_selectorIN6thrust23THRUST_200600_302600_NS5tupleIblNS6_9null_typeES8_S8_S8_S8_S8_S8_S8_EEEEZNS1_11reduce_implILb1ES3_NS6_12zip_iteratorINS7_INS6_11hip_rocprim26transform_input_iterator_tIbNSD_35transform_pair_of_input_iterators_tIbNS6_6detail15normal_iteratorINS6_10device_ptrIKiEEEESL_NS6_8equal_toIiEEEENSG_9not_fun_tINSD_8identityEEEEENSD_19counting_iterator_tIlEES8_S8_S8_S8_S8_S8_S8_S8_EEEEPS9_S9_NSD_9__find_if7functorIS9_EEEE10hipError_tPvRmT1_T2_T3_mT4_P12ihipStream_tbEUlT_E0_NS1_11comp_targetILNS1_3genE10ELNS1_11target_archE1200ELNS1_3gpuE4ELNS1_3repE0EEENS1_30default_config_static_selectorELNS0_4arch9wavefront6targetE0EEEvS14_,comdat
	.protected	_ZN7rocprim17ROCPRIM_400000_NS6detail17trampoline_kernelINS0_14default_configENS1_22reduce_config_selectorIN6thrust23THRUST_200600_302600_NS5tupleIblNS6_9null_typeES8_S8_S8_S8_S8_S8_S8_EEEEZNS1_11reduce_implILb1ES3_NS6_12zip_iteratorINS7_INS6_11hip_rocprim26transform_input_iterator_tIbNSD_35transform_pair_of_input_iterators_tIbNS6_6detail15normal_iteratorINS6_10device_ptrIKiEEEESL_NS6_8equal_toIiEEEENSG_9not_fun_tINSD_8identityEEEEENSD_19counting_iterator_tIlEES8_S8_S8_S8_S8_S8_S8_S8_EEEEPS9_S9_NSD_9__find_if7functorIS9_EEEE10hipError_tPvRmT1_T2_T3_mT4_P12ihipStream_tbEUlT_E0_NS1_11comp_targetILNS1_3genE10ELNS1_11target_archE1200ELNS1_3gpuE4ELNS1_3repE0EEENS1_30default_config_static_selectorELNS0_4arch9wavefront6targetE0EEEvS14_ ; -- Begin function _ZN7rocprim17ROCPRIM_400000_NS6detail17trampoline_kernelINS0_14default_configENS1_22reduce_config_selectorIN6thrust23THRUST_200600_302600_NS5tupleIblNS6_9null_typeES8_S8_S8_S8_S8_S8_S8_EEEEZNS1_11reduce_implILb1ES3_NS6_12zip_iteratorINS7_INS6_11hip_rocprim26transform_input_iterator_tIbNSD_35transform_pair_of_input_iterators_tIbNS6_6detail15normal_iteratorINS6_10device_ptrIKiEEEESL_NS6_8equal_toIiEEEENSG_9not_fun_tINSD_8identityEEEEENSD_19counting_iterator_tIlEES8_S8_S8_S8_S8_S8_S8_S8_EEEEPS9_S9_NSD_9__find_if7functorIS9_EEEE10hipError_tPvRmT1_T2_T3_mT4_P12ihipStream_tbEUlT_E0_NS1_11comp_targetILNS1_3genE10ELNS1_11target_archE1200ELNS1_3gpuE4ELNS1_3repE0EEENS1_30default_config_static_selectorELNS0_4arch9wavefront6targetE0EEEvS14_
	.globl	_ZN7rocprim17ROCPRIM_400000_NS6detail17trampoline_kernelINS0_14default_configENS1_22reduce_config_selectorIN6thrust23THRUST_200600_302600_NS5tupleIblNS6_9null_typeES8_S8_S8_S8_S8_S8_S8_EEEEZNS1_11reduce_implILb1ES3_NS6_12zip_iteratorINS7_INS6_11hip_rocprim26transform_input_iterator_tIbNSD_35transform_pair_of_input_iterators_tIbNS6_6detail15normal_iteratorINS6_10device_ptrIKiEEEESL_NS6_8equal_toIiEEEENSG_9not_fun_tINSD_8identityEEEEENSD_19counting_iterator_tIlEES8_S8_S8_S8_S8_S8_S8_S8_EEEEPS9_S9_NSD_9__find_if7functorIS9_EEEE10hipError_tPvRmT1_T2_T3_mT4_P12ihipStream_tbEUlT_E0_NS1_11comp_targetILNS1_3genE10ELNS1_11target_archE1200ELNS1_3gpuE4ELNS1_3repE0EEENS1_30default_config_static_selectorELNS0_4arch9wavefront6targetE0EEEvS14_
	.p2align	8
	.type	_ZN7rocprim17ROCPRIM_400000_NS6detail17trampoline_kernelINS0_14default_configENS1_22reduce_config_selectorIN6thrust23THRUST_200600_302600_NS5tupleIblNS6_9null_typeES8_S8_S8_S8_S8_S8_S8_EEEEZNS1_11reduce_implILb1ES3_NS6_12zip_iteratorINS7_INS6_11hip_rocprim26transform_input_iterator_tIbNSD_35transform_pair_of_input_iterators_tIbNS6_6detail15normal_iteratorINS6_10device_ptrIKiEEEESL_NS6_8equal_toIiEEEENSG_9not_fun_tINSD_8identityEEEEENSD_19counting_iterator_tIlEES8_S8_S8_S8_S8_S8_S8_S8_EEEEPS9_S9_NSD_9__find_if7functorIS9_EEEE10hipError_tPvRmT1_T2_T3_mT4_P12ihipStream_tbEUlT_E0_NS1_11comp_targetILNS1_3genE10ELNS1_11target_archE1200ELNS1_3gpuE4ELNS1_3repE0EEENS1_30default_config_static_selectorELNS0_4arch9wavefront6targetE0EEEvS14_,@function
_ZN7rocprim17ROCPRIM_400000_NS6detail17trampoline_kernelINS0_14default_configENS1_22reduce_config_selectorIN6thrust23THRUST_200600_302600_NS5tupleIblNS6_9null_typeES8_S8_S8_S8_S8_S8_S8_EEEEZNS1_11reduce_implILb1ES3_NS6_12zip_iteratorINS7_INS6_11hip_rocprim26transform_input_iterator_tIbNSD_35transform_pair_of_input_iterators_tIbNS6_6detail15normal_iteratorINS6_10device_ptrIKiEEEESL_NS6_8equal_toIiEEEENSG_9not_fun_tINSD_8identityEEEEENSD_19counting_iterator_tIlEES8_S8_S8_S8_S8_S8_S8_S8_EEEEPS9_S9_NSD_9__find_if7functorIS9_EEEE10hipError_tPvRmT1_T2_T3_mT4_P12ihipStream_tbEUlT_E0_NS1_11comp_targetILNS1_3genE10ELNS1_11target_archE1200ELNS1_3gpuE4ELNS1_3repE0EEENS1_30default_config_static_selectorELNS0_4arch9wavefront6targetE0EEEvS14_: ; @_ZN7rocprim17ROCPRIM_400000_NS6detail17trampoline_kernelINS0_14default_configENS1_22reduce_config_selectorIN6thrust23THRUST_200600_302600_NS5tupleIblNS6_9null_typeES8_S8_S8_S8_S8_S8_S8_EEEEZNS1_11reduce_implILb1ES3_NS6_12zip_iteratorINS7_INS6_11hip_rocprim26transform_input_iterator_tIbNSD_35transform_pair_of_input_iterators_tIbNS6_6detail15normal_iteratorINS6_10device_ptrIKiEEEESL_NS6_8equal_toIiEEEENSG_9not_fun_tINSD_8identityEEEEENSD_19counting_iterator_tIlEES8_S8_S8_S8_S8_S8_S8_S8_EEEEPS9_S9_NSD_9__find_if7functorIS9_EEEE10hipError_tPvRmT1_T2_T3_mT4_P12ihipStream_tbEUlT_E0_NS1_11comp_targetILNS1_3genE10ELNS1_11target_archE1200ELNS1_3gpuE4ELNS1_3repE0EEENS1_30default_config_static_selectorELNS0_4arch9wavefront6targetE0EEEvS14_
; %bb.0:
	.section	.rodata,"a",@progbits
	.p2align	6, 0x0
	.amdhsa_kernel _ZN7rocprim17ROCPRIM_400000_NS6detail17trampoline_kernelINS0_14default_configENS1_22reduce_config_selectorIN6thrust23THRUST_200600_302600_NS5tupleIblNS6_9null_typeES8_S8_S8_S8_S8_S8_S8_EEEEZNS1_11reduce_implILb1ES3_NS6_12zip_iteratorINS7_INS6_11hip_rocprim26transform_input_iterator_tIbNSD_35transform_pair_of_input_iterators_tIbNS6_6detail15normal_iteratorINS6_10device_ptrIKiEEEESL_NS6_8equal_toIiEEEENSG_9not_fun_tINSD_8identityEEEEENSD_19counting_iterator_tIlEES8_S8_S8_S8_S8_S8_S8_S8_EEEEPS9_S9_NSD_9__find_if7functorIS9_EEEE10hipError_tPvRmT1_T2_T3_mT4_P12ihipStream_tbEUlT_E0_NS1_11comp_targetILNS1_3genE10ELNS1_11target_archE1200ELNS1_3gpuE4ELNS1_3repE0EEENS1_30default_config_static_selectorELNS0_4arch9wavefront6targetE0EEEvS14_
		.amdhsa_group_segment_fixed_size 0
		.amdhsa_private_segment_fixed_size 0
		.amdhsa_kernarg_size 104
		.amdhsa_user_sgpr_count 6
		.amdhsa_user_sgpr_private_segment_buffer 1
		.amdhsa_user_sgpr_dispatch_ptr 0
		.amdhsa_user_sgpr_queue_ptr 0
		.amdhsa_user_sgpr_kernarg_segment_ptr 1
		.amdhsa_user_sgpr_dispatch_id 0
		.amdhsa_user_sgpr_flat_scratch_init 0
		.amdhsa_user_sgpr_private_segment_size 0
		.amdhsa_wavefront_size32 1
		.amdhsa_uses_dynamic_stack 0
		.amdhsa_system_sgpr_private_segment_wavefront_offset 0
		.amdhsa_system_sgpr_workgroup_id_x 1
		.amdhsa_system_sgpr_workgroup_id_y 0
		.amdhsa_system_sgpr_workgroup_id_z 0
		.amdhsa_system_sgpr_workgroup_info 0
		.amdhsa_system_vgpr_workitem_id 0
		.amdhsa_next_free_vgpr 1
		.amdhsa_next_free_sgpr 1
		.amdhsa_reserve_vcc 0
		.amdhsa_reserve_flat_scratch 0
		.amdhsa_float_round_mode_32 0
		.amdhsa_float_round_mode_16_64 0
		.amdhsa_float_denorm_mode_32 3
		.amdhsa_float_denorm_mode_16_64 3
		.amdhsa_dx10_clamp 1
		.amdhsa_ieee_mode 1
		.amdhsa_fp16_overflow 0
		.amdhsa_workgroup_processor_mode 1
		.amdhsa_memory_ordered 1
		.amdhsa_forward_progress 1
		.amdhsa_shared_vgpr_count 0
		.amdhsa_exception_fp_ieee_invalid_op 0
		.amdhsa_exception_fp_denorm_src 0
		.amdhsa_exception_fp_ieee_div_zero 0
		.amdhsa_exception_fp_ieee_overflow 0
		.amdhsa_exception_fp_ieee_underflow 0
		.amdhsa_exception_fp_ieee_inexact 0
		.amdhsa_exception_int_div_zero 0
	.end_amdhsa_kernel
	.section	.text._ZN7rocprim17ROCPRIM_400000_NS6detail17trampoline_kernelINS0_14default_configENS1_22reduce_config_selectorIN6thrust23THRUST_200600_302600_NS5tupleIblNS6_9null_typeES8_S8_S8_S8_S8_S8_S8_EEEEZNS1_11reduce_implILb1ES3_NS6_12zip_iteratorINS7_INS6_11hip_rocprim26transform_input_iterator_tIbNSD_35transform_pair_of_input_iterators_tIbNS6_6detail15normal_iteratorINS6_10device_ptrIKiEEEESL_NS6_8equal_toIiEEEENSG_9not_fun_tINSD_8identityEEEEENSD_19counting_iterator_tIlEES8_S8_S8_S8_S8_S8_S8_S8_EEEEPS9_S9_NSD_9__find_if7functorIS9_EEEE10hipError_tPvRmT1_T2_T3_mT4_P12ihipStream_tbEUlT_E0_NS1_11comp_targetILNS1_3genE10ELNS1_11target_archE1200ELNS1_3gpuE4ELNS1_3repE0EEENS1_30default_config_static_selectorELNS0_4arch9wavefront6targetE0EEEvS14_,"axG",@progbits,_ZN7rocprim17ROCPRIM_400000_NS6detail17trampoline_kernelINS0_14default_configENS1_22reduce_config_selectorIN6thrust23THRUST_200600_302600_NS5tupleIblNS6_9null_typeES8_S8_S8_S8_S8_S8_S8_EEEEZNS1_11reduce_implILb1ES3_NS6_12zip_iteratorINS7_INS6_11hip_rocprim26transform_input_iterator_tIbNSD_35transform_pair_of_input_iterators_tIbNS6_6detail15normal_iteratorINS6_10device_ptrIKiEEEESL_NS6_8equal_toIiEEEENSG_9not_fun_tINSD_8identityEEEEENSD_19counting_iterator_tIlEES8_S8_S8_S8_S8_S8_S8_S8_EEEEPS9_S9_NSD_9__find_if7functorIS9_EEEE10hipError_tPvRmT1_T2_T3_mT4_P12ihipStream_tbEUlT_E0_NS1_11comp_targetILNS1_3genE10ELNS1_11target_archE1200ELNS1_3gpuE4ELNS1_3repE0EEENS1_30default_config_static_selectorELNS0_4arch9wavefront6targetE0EEEvS14_,comdat
.Lfunc_end492:
	.size	_ZN7rocprim17ROCPRIM_400000_NS6detail17trampoline_kernelINS0_14default_configENS1_22reduce_config_selectorIN6thrust23THRUST_200600_302600_NS5tupleIblNS6_9null_typeES8_S8_S8_S8_S8_S8_S8_EEEEZNS1_11reduce_implILb1ES3_NS6_12zip_iteratorINS7_INS6_11hip_rocprim26transform_input_iterator_tIbNSD_35transform_pair_of_input_iterators_tIbNS6_6detail15normal_iteratorINS6_10device_ptrIKiEEEESL_NS6_8equal_toIiEEEENSG_9not_fun_tINSD_8identityEEEEENSD_19counting_iterator_tIlEES8_S8_S8_S8_S8_S8_S8_S8_EEEEPS9_S9_NSD_9__find_if7functorIS9_EEEE10hipError_tPvRmT1_T2_T3_mT4_P12ihipStream_tbEUlT_E0_NS1_11comp_targetILNS1_3genE10ELNS1_11target_archE1200ELNS1_3gpuE4ELNS1_3repE0EEENS1_30default_config_static_selectorELNS0_4arch9wavefront6targetE0EEEvS14_, .Lfunc_end492-_ZN7rocprim17ROCPRIM_400000_NS6detail17trampoline_kernelINS0_14default_configENS1_22reduce_config_selectorIN6thrust23THRUST_200600_302600_NS5tupleIblNS6_9null_typeES8_S8_S8_S8_S8_S8_S8_EEEEZNS1_11reduce_implILb1ES3_NS6_12zip_iteratorINS7_INS6_11hip_rocprim26transform_input_iterator_tIbNSD_35transform_pair_of_input_iterators_tIbNS6_6detail15normal_iteratorINS6_10device_ptrIKiEEEESL_NS6_8equal_toIiEEEENSG_9not_fun_tINSD_8identityEEEEENSD_19counting_iterator_tIlEES8_S8_S8_S8_S8_S8_S8_S8_EEEEPS9_S9_NSD_9__find_if7functorIS9_EEEE10hipError_tPvRmT1_T2_T3_mT4_P12ihipStream_tbEUlT_E0_NS1_11comp_targetILNS1_3genE10ELNS1_11target_archE1200ELNS1_3gpuE4ELNS1_3repE0EEENS1_30default_config_static_selectorELNS0_4arch9wavefront6targetE0EEEvS14_
                                        ; -- End function
	.set _ZN7rocprim17ROCPRIM_400000_NS6detail17trampoline_kernelINS0_14default_configENS1_22reduce_config_selectorIN6thrust23THRUST_200600_302600_NS5tupleIblNS6_9null_typeES8_S8_S8_S8_S8_S8_S8_EEEEZNS1_11reduce_implILb1ES3_NS6_12zip_iteratorINS7_INS6_11hip_rocprim26transform_input_iterator_tIbNSD_35transform_pair_of_input_iterators_tIbNS6_6detail15normal_iteratorINS6_10device_ptrIKiEEEESL_NS6_8equal_toIiEEEENSG_9not_fun_tINSD_8identityEEEEENSD_19counting_iterator_tIlEES8_S8_S8_S8_S8_S8_S8_S8_EEEEPS9_S9_NSD_9__find_if7functorIS9_EEEE10hipError_tPvRmT1_T2_T3_mT4_P12ihipStream_tbEUlT_E0_NS1_11comp_targetILNS1_3genE10ELNS1_11target_archE1200ELNS1_3gpuE4ELNS1_3repE0EEENS1_30default_config_static_selectorELNS0_4arch9wavefront6targetE0EEEvS14_.num_vgpr, 0
	.set _ZN7rocprim17ROCPRIM_400000_NS6detail17trampoline_kernelINS0_14default_configENS1_22reduce_config_selectorIN6thrust23THRUST_200600_302600_NS5tupleIblNS6_9null_typeES8_S8_S8_S8_S8_S8_S8_EEEEZNS1_11reduce_implILb1ES3_NS6_12zip_iteratorINS7_INS6_11hip_rocprim26transform_input_iterator_tIbNSD_35transform_pair_of_input_iterators_tIbNS6_6detail15normal_iteratorINS6_10device_ptrIKiEEEESL_NS6_8equal_toIiEEEENSG_9not_fun_tINSD_8identityEEEEENSD_19counting_iterator_tIlEES8_S8_S8_S8_S8_S8_S8_S8_EEEEPS9_S9_NSD_9__find_if7functorIS9_EEEE10hipError_tPvRmT1_T2_T3_mT4_P12ihipStream_tbEUlT_E0_NS1_11comp_targetILNS1_3genE10ELNS1_11target_archE1200ELNS1_3gpuE4ELNS1_3repE0EEENS1_30default_config_static_selectorELNS0_4arch9wavefront6targetE0EEEvS14_.num_agpr, 0
	.set _ZN7rocprim17ROCPRIM_400000_NS6detail17trampoline_kernelINS0_14default_configENS1_22reduce_config_selectorIN6thrust23THRUST_200600_302600_NS5tupleIblNS6_9null_typeES8_S8_S8_S8_S8_S8_S8_EEEEZNS1_11reduce_implILb1ES3_NS6_12zip_iteratorINS7_INS6_11hip_rocprim26transform_input_iterator_tIbNSD_35transform_pair_of_input_iterators_tIbNS6_6detail15normal_iteratorINS6_10device_ptrIKiEEEESL_NS6_8equal_toIiEEEENSG_9not_fun_tINSD_8identityEEEEENSD_19counting_iterator_tIlEES8_S8_S8_S8_S8_S8_S8_S8_EEEEPS9_S9_NSD_9__find_if7functorIS9_EEEE10hipError_tPvRmT1_T2_T3_mT4_P12ihipStream_tbEUlT_E0_NS1_11comp_targetILNS1_3genE10ELNS1_11target_archE1200ELNS1_3gpuE4ELNS1_3repE0EEENS1_30default_config_static_selectorELNS0_4arch9wavefront6targetE0EEEvS14_.numbered_sgpr, 0
	.set _ZN7rocprim17ROCPRIM_400000_NS6detail17trampoline_kernelINS0_14default_configENS1_22reduce_config_selectorIN6thrust23THRUST_200600_302600_NS5tupleIblNS6_9null_typeES8_S8_S8_S8_S8_S8_S8_EEEEZNS1_11reduce_implILb1ES3_NS6_12zip_iteratorINS7_INS6_11hip_rocprim26transform_input_iterator_tIbNSD_35transform_pair_of_input_iterators_tIbNS6_6detail15normal_iteratorINS6_10device_ptrIKiEEEESL_NS6_8equal_toIiEEEENSG_9not_fun_tINSD_8identityEEEEENSD_19counting_iterator_tIlEES8_S8_S8_S8_S8_S8_S8_S8_EEEEPS9_S9_NSD_9__find_if7functorIS9_EEEE10hipError_tPvRmT1_T2_T3_mT4_P12ihipStream_tbEUlT_E0_NS1_11comp_targetILNS1_3genE10ELNS1_11target_archE1200ELNS1_3gpuE4ELNS1_3repE0EEENS1_30default_config_static_selectorELNS0_4arch9wavefront6targetE0EEEvS14_.num_named_barrier, 0
	.set _ZN7rocprim17ROCPRIM_400000_NS6detail17trampoline_kernelINS0_14default_configENS1_22reduce_config_selectorIN6thrust23THRUST_200600_302600_NS5tupleIblNS6_9null_typeES8_S8_S8_S8_S8_S8_S8_EEEEZNS1_11reduce_implILb1ES3_NS6_12zip_iteratorINS7_INS6_11hip_rocprim26transform_input_iterator_tIbNSD_35transform_pair_of_input_iterators_tIbNS6_6detail15normal_iteratorINS6_10device_ptrIKiEEEESL_NS6_8equal_toIiEEEENSG_9not_fun_tINSD_8identityEEEEENSD_19counting_iterator_tIlEES8_S8_S8_S8_S8_S8_S8_S8_EEEEPS9_S9_NSD_9__find_if7functorIS9_EEEE10hipError_tPvRmT1_T2_T3_mT4_P12ihipStream_tbEUlT_E0_NS1_11comp_targetILNS1_3genE10ELNS1_11target_archE1200ELNS1_3gpuE4ELNS1_3repE0EEENS1_30default_config_static_selectorELNS0_4arch9wavefront6targetE0EEEvS14_.private_seg_size, 0
	.set _ZN7rocprim17ROCPRIM_400000_NS6detail17trampoline_kernelINS0_14default_configENS1_22reduce_config_selectorIN6thrust23THRUST_200600_302600_NS5tupleIblNS6_9null_typeES8_S8_S8_S8_S8_S8_S8_EEEEZNS1_11reduce_implILb1ES3_NS6_12zip_iteratorINS7_INS6_11hip_rocprim26transform_input_iterator_tIbNSD_35transform_pair_of_input_iterators_tIbNS6_6detail15normal_iteratorINS6_10device_ptrIKiEEEESL_NS6_8equal_toIiEEEENSG_9not_fun_tINSD_8identityEEEEENSD_19counting_iterator_tIlEES8_S8_S8_S8_S8_S8_S8_S8_EEEEPS9_S9_NSD_9__find_if7functorIS9_EEEE10hipError_tPvRmT1_T2_T3_mT4_P12ihipStream_tbEUlT_E0_NS1_11comp_targetILNS1_3genE10ELNS1_11target_archE1200ELNS1_3gpuE4ELNS1_3repE0EEENS1_30default_config_static_selectorELNS0_4arch9wavefront6targetE0EEEvS14_.uses_vcc, 0
	.set _ZN7rocprim17ROCPRIM_400000_NS6detail17trampoline_kernelINS0_14default_configENS1_22reduce_config_selectorIN6thrust23THRUST_200600_302600_NS5tupleIblNS6_9null_typeES8_S8_S8_S8_S8_S8_S8_EEEEZNS1_11reduce_implILb1ES3_NS6_12zip_iteratorINS7_INS6_11hip_rocprim26transform_input_iterator_tIbNSD_35transform_pair_of_input_iterators_tIbNS6_6detail15normal_iteratorINS6_10device_ptrIKiEEEESL_NS6_8equal_toIiEEEENSG_9not_fun_tINSD_8identityEEEEENSD_19counting_iterator_tIlEES8_S8_S8_S8_S8_S8_S8_S8_EEEEPS9_S9_NSD_9__find_if7functorIS9_EEEE10hipError_tPvRmT1_T2_T3_mT4_P12ihipStream_tbEUlT_E0_NS1_11comp_targetILNS1_3genE10ELNS1_11target_archE1200ELNS1_3gpuE4ELNS1_3repE0EEENS1_30default_config_static_selectorELNS0_4arch9wavefront6targetE0EEEvS14_.uses_flat_scratch, 0
	.set _ZN7rocprim17ROCPRIM_400000_NS6detail17trampoline_kernelINS0_14default_configENS1_22reduce_config_selectorIN6thrust23THRUST_200600_302600_NS5tupleIblNS6_9null_typeES8_S8_S8_S8_S8_S8_S8_EEEEZNS1_11reduce_implILb1ES3_NS6_12zip_iteratorINS7_INS6_11hip_rocprim26transform_input_iterator_tIbNSD_35transform_pair_of_input_iterators_tIbNS6_6detail15normal_iteratorINS6_10device_ptrIKiEEEESL_NS6_8equal_toIiEEEENSG_9not_fun_tINSD_8identityEEEEENSD_19counting_iterator_tIlEES8_S8_S8_S8_S8_S8_S8_S8_EEEEPS9_S9_NSD_9__find_if7functorIS9_EEEE10hipError_tPvRmT1_T2_T3_mT4_P12ihipStream_tbEUlT_E0_NS1_11comp_targetILNS1_3genE10ELNS1_11target_archE1200ELNS1_3gpuE4ELNS1_3repE0EEENS1_30default_config_static_selectorELNS0_4arch9wavefront6targetE0EEEvS14_.has_dyn_sized_stack, 0
	.set _ZN7rocprim17ROCPRIM_400000_NS6detail17trampoline_kernelINS0_14default_configENS1_22reduce_config_selectorIN6thrust23THRUST_200600_302600_NS5tupleIblNS6_9null_typeES8_S8_S8_S8_S8_S8_S8_EEEEZNS1_11reduce_implILb1ES3_NS6_12zip_iteratorINS7_INS6_11hip_rocprim26transform_input_iterator_tIbNSD_35transform_pair_of_input_iterators_tIbNS6_6detail15normal_iteratorINS6_10device_ptrIKiEEEESL_NS6_8equal_toIiEEEENSG_9not_fun_tINSD_8identityEEEEENSD_19counting_iterator_tIlEES8_S8_S8_S8_S8_S8_S8_S8_EEEEPS9_S9_NSD_9__find_if7functorIS9_EEEE10hipError_tPvRmT1_T2_T3_mT4_P12ihipStream_tbEUlT_E0_NS1_11comp_targetILNS1_3genE10ELNS1_11target_archE1200ELNS1_3gpuE4ELNS1_3repE0EEENS1_30default_config_static_selectorELNS0_4arch9wavefront6targetE0EEEvS14_.has_recursion, 0
	.set _ZN7rocprim17ROCPRIM_400000_NS6detail17trampoline_kernelINS0_14default_configENS1_22reduce_config_selectorIN6thrust23THRUST_200600_302600_NS5tupleIblNS6_9null_typeES8_S8_S8_S8_S8_S8_S8_EEEEZNS1_11reduce_implILb1ES3_NS6_12zip_iteratorINS7_INS6_11hip_rocprim26transform_input_iterator_tIbNSD_35transform_pair_of_input_iterators_tIbNS6_6detail15normal_iteratorINS6_10device_ptrIKiEEEESL_NS6_8equal_toIiEEEENSG_9not_fun_tINSD_8identityEEEEENSD_19counting_iterator_tIlEES8_S8_S8_S8_S8_S8_S8_S8_EEEEPS9_S9_NSD_9__find_if7functorIS9_EEEE10hipError_tPvRmT1_T2_T3_mT4_P12ihipStream_tbEUlT_E0_NS1_11comp_targetILNS1_3genE10ELNS1_11target_archE1200ELNS1_3gpuE4ELNS1_3repE0EEENS1_30default_config_static_selectorELNS0_4arch9wavefront6targetE0EEEvS14_.has_indirect_call, 0
	.section	.AMDGPU.csdata,"",@progbits
; Kernel info:
; codeLenInByte = 0
; TotalNumSgprs: 0
; NumVgprs: 0
; ScratchSize: 0
; MemoryBound: 0
; FloatMode: 240
; IeeeMode: 1
; LDSByteSize: 0 bytes/workgroup (compile time only)
; SGPRBlocks: 0
; VGPRBlocks: 0
; NumSGPRsForWavesPerEU: 1
; NumVGPRsForWavesPerEU: 1
; Occupancy: 16
; WaveLimiterHint : 0
; COMPUTE_PGM_RSRC2:SCRATCH_EN: 0
; COMPUTE_PGM_RSRC2:USER_SGPR: 6
; COMPUTE_PGM_RSRC2:TRAP_HANDLER: 0
; COMPUTE_PGM_RSRC2:TGID_X_EN: 1
; COMPUTE_PGM_RSRC2:TGID_Y_EN: 0
; COMPUTE_PGM_RSRC2:TGID_Z_EN: 0
; COMPUTE_PGM_RSRC2:TIDIG_COMP_CNT: 0
	.section	.text._ZN7rocprim17ROCPRIM_400000_NS6detail17trampoline_kernelINS0_14default_configENS1_22reduce_config_selectorIN6thrust23THRUST_200600_302600_NS5tupleIblNS6_9null_typeES8_S8_S8_S8_S8_S8_S8_EEEEZNS1_11reduce_implILb1ES3_NS6_12zip_iteratorINS7_INS6_11hip_rocprim26transform_input_iterator_tIbNSD_35transform_pair_of_input_iterators_tIbNS6_6detail15normal_iteratorINS6_10device_ptrIKiEEEESL_NS6_8equal_toIiEEEENSG_9not_fun_tINSD_8identityEEEEENSD_19counting_iterator_tIlEES8_S8_S8_S8_S8_S8_S8_S8_EEEEPS9_S9_NSD_9__find_if7functorIS9_EEEE10hipError_tPvRmT1_T2_T3_mT4_P12ihipStream_tbEUlT_E0_NS1_11comp_targetILNS1_3genE9ELNS1_11target_archE1100ELNS1_3gpuE3ELNS1_3repE0EEENS1_30default_config_static_selectorELNS0_4arch9wavefront6targetE0EEEvS14_,"axG",@progbits,_ZN7rocprim17ROCPRIM_400000_NS6detail17trampoline_kernelINS0_14default_configENS1_22reduce_config_selectorIN6thrust23THRUST_200600_302600_NS5tupleIblNS6_9null_typeES8_S8_S8_S8_S8_S8_S8_EEEEZNS1_11reduce_implILb1ES3_NS6_12zip_iteratorINS7_INS6_11hip_rocprim26transform_input_iterator_tIbNSD_35transform_pair_of_input_iterators_tIbNS6_6detail15normal_iteratorINS6_10device_ptrIKiEEEESL_NS6_8equal_toIiEEEENSG_9not_fun_tINSD_8identityEEEEENSD_19counting_iterator_tIlEES8_S8_S8_S8_S8_S8_S8_S8_EEEEPS9_S9_NSD_9__find_if7functorIS9_EEEE10hipError_tPvRmT1_T2_T3_mT4_P12ihipStream_tbEUlT_E0_NS1_11comp_targetILNS1_3genE9ELNS1_11target_archE1100ELNS1_3gpuE3ELNS1_3repE0EEENS1_30default_config_static_selectorELNS0_4arch9wavefront6targetE0EEEvS14_,comdat
	.protected	_ZN7rocprim17ROCPRIM_400000_NS6detail17trampoline_kernelINS0_14default_configENS1_22reduce_config_selectorIN6thrust23THRUST_200600_302600_NS5tupleIblNS6_9null_typeES8_S8_S8_S8_S8_S8_S8_EEEEZNS1_11reduce_implILb1ES3_NS6_12zip_iteratorINS7_INS6_11hip_rocprim26transform_input_iterator_tIbNSD_35transform_pair_of_input_iterators_tIbNS6_6detail15normal_iteratorINS6_10device_ptrIKiEEEESL_NS6_8equal_toIiEEEENSG_9not_fun_tINSD_8identityEEEEENSD_19counting_iterator_tIlEES8_S8_S8_S8_S8_S8_S8_S8_EEEEPS9_S9_NSD_9__find_if7functorIS9_EEEE10hipError_tPvRmT1_T2_T3_mT4_P12ihipStream_tbEUlT_E0_NS1_11comp_targetILNS1_3genE9ELNS1_11target_archE1100ELNS1_3gpuE3ELNS1_3repE0EEENS1_30default_config_static_selectorELNS0_4arch9wavefront6targetE0EEEvS14_ ; -- Begin function _ZN7rocprim17ROCPRIM_400000_NS6detail17trampoline_kernelINS0_14default_configENS1_22reduce_config_selectorIN6thrust23THRUST_200600_302600_NS5tupleIblNS6_9null_typeES8_S8_S8_S8_S8_S8_S8_EEEEZNS1_11reduce_implILb1ES3_NS6_12zip_iteratorINS7_INS6_11hip_rocprim26transform_input_iterator_tIbNSD_35transform_pair_of_input_iterators_tIbNS6_6detail15normal_iteratorINS6_10device_ptrIKiEEEESL_NS6_8equal_toIiEEEENSG_9not_fun_tINSD_8identityEEEEENSD_19counting_iterator_tIlEES8_S8_S8_S8_S8_S8_S8_S8_EEEEPS9_S9_NSD_9__find_if7functorIS9_EEEE10hipError_tPvRmT1_T2_T3_mT4_P12ihipStream_tbEUlT_E0_NS1_11comp_targetILNS1_3genE9ELNS1_11target_archE1100ELNS1_3gpuE3ELNS1_3repE0EEENS1_30default_config_static_selectorELNS0_4arch9wavefront6targetE0EEEvS14_
	.globl	_ZN7rocprim17ROCPRIM_400000_NS6detail17trampoline_kernelINS0_14default_configENS1_22reduce_config_selectorIN6thrust23THRUST_200600_302600_NS5tupleIblNS6_9null_typeES8_S8_S8_S8_S8_S8_S8_EEEEZNS1_11reduce_implILb1ES3_NS6_12zip_iteratorINS7_INS6_11hip_rocprim26transform_input_iterator_tIbNSD_35transform_pair_of_input_iterators_tIbNS6_6detail15normal_iteratorINS6_10device_ptrIKiEEEESL_NS6_8equal_toIiEEEENSG_9not_fun_tINSD_8identityEEEEENSD_19counting_iterator_tIlEES8_S8_S8_S8_S8_S8_S8_S8_EEEEPS9_S9_NSD_9__find_if7functorIS9_EEEE10hipError_tPvRmT1_T2_T3_mT4_P12ihipStream_tbEUlT_E0_NS1_11comp_targetILNS1_3genE9ELNS1_11target_archE1100ELNS1_3gpuE3ELNS1_3repE0EEENS1_30default_config_static_selectorELNS0_4arch9wavefront6targetE0EEEvS14_
	.p2align	8
	.type	_ZN7rocprim17ROCPRIM_400000_NS6detail17trampoline_kernelINS0_14default_configENS1_22reduce_config_selectorIN6thrust23THRUST_200600_302600_NS5tupleIblNS6_9null_typeES8_S8_S8_S8_S8_S8_S8_EEEEZNS1_11reduce_implILb1ES3_NS6_12zip_iteratorINS7_INS6_11hip_rocprim26transform_input_iterator_tIbNSD_35transform_pair_of_input_iterators_tIbNS6_6detail15normal_iteratorINS6_10device_ptrIKiEEEESL_NS6_8equal_toIiEEEENSG_9not_fun_tINSD_8identityEEEEENSD_19counting_iterator_tIlEES8_S8_S8_S8_S8_S8_S8_S8_EEEEPS9_S9_NSD_9__find_if7functorIS9_EEEE10hipError_tPvRmT1_T2_T3_mT4_P12ihipStream_tbEUlT_E0_NS1_11comp_targetILNS1_3genE9ELNS1_11target_archE1100ELNS1_3gpuE3ELNS1_3repE0EEENS1_30default_config_static_selectorELNS0_4arch9wavefront6targetE0EEEvS14_,@function
_ZN7rocprim17ROCPRIM_400000_NS6detail17trampoline_kernelINS0_14default_configENS1_22reduce_config_selectorIN6thrust23THRUST_200600_302600_NS5tupleIblNS6_9null_typeES8_S8_S8_S8_S8_S8_S8_EEEEZNS1_11reduce_implILb1ES3_NS6_12zip_iteratorINS7_INS6_11hip_rocprim26transform_input_iterator_tIbNSD_35transform_pair_of_input_iterators_tIbNS6_6detail15normal_iteratorINS6_10device_ptrIKiEEEESL_NS6_8equal_toIiEEEENSG_9not_fun_tINSD_8identityEEEEENSD_19counting_iterator_tIlEES8_S8_S8_S8_S8_S8_S8_S8_EEEEPS9_S9_NSD_9__find_if7functorIS9_EEEE10hipError_tPvRmT1_T2_T3_mT4_P12ihipStream_tbEUlT_E0_NS1_11comp_targetILNS1_3genE9ELNS1_11target_archE1100ELNS1_3gpuE3ELNS1_3repE0EEENS1_30default_config_static_selectorELNS0_4arch9wavefront6targetE0EEEvS14_: ; @_ZN7rocprim17ROCPRIM_400000_NS6detail17trampoline_kernelINS0_14default_configENS1_22reduce_config_selectorIN6thrust23THRUST_200600_302600_NS5tupleIblNS6_9null_typeES8_S8_S8_S8_S8_S8_S8_EEEEZNS1_11reduce_implILb1ES3_NS6_12zip_iteratorINS7_INS6_11hip_rocprim26transform_input_iterator_tIbNSD_35transform_pair_of_input_iterators_tIbNS6_6detail15normal_iteratorINS6_10device_ptrIKiEEEESL_NS6_8equal_toIiEEEENSG_9not_fun_tINSD_8identityEEEEENSD_19counting_iterator_tIlEES8_S8_S8_S8_S8_S8_S8_S8_EEEEPS9_S9_NSD_9__find_if7functorIS9_EEEE10hipError_tPvRmT1_T2_T3_mT4_P12ihipStream_tbEUlT_E0_NS1_11comp_targetILNS1_3genE9ELNS1_11target_archE1100ELNS1_3gpuE3ELNS1_3repE0EEENS1_30default_config_static_selectorELNS0_4arch9wavefront6targetE0EEEvS14_
; %bb.0:
	.section	.rodata,"a",@progbits
	.p2align	6, 0x0
	.amdhsa_kernel _ZN7rocprim17ROCPRIM_400000_NS6detail17trampoline_kernelINS0_14default_configENS1_22reduce_config_selectorIN6thrust23THRUST_200600_302600_NS5tupleIblNS6_9null_typeES8_S8_S8_S8_S8_S8_S8_EEEEZNS1_11reduce_implILb1ES3_NS6_12zip_iteratorINS7_INS6_11hip_rocprim26transform_input_iterator_tIbNSD_35transform_pair_of_input_iterators_tIbNS6_6detail15normal_iteratorINS6_10device_ptrIKiEEEESL_NS6_8equal_toIiEEEENSG_9not_fun_tINSD_8identityEEEEENSD_19counting_iterator_tIlEES8_S8_S8_S8_S8_S8_S8_S8_EEEEPS9_S9_NSD_9__find_if7functorIS9_EEEE10hipError_tPvRmT1_T2_T3_mT4_P12ihipStream_tbEUlT_E0_NS1_11comp_targetILNS1_3genE9ELNS1_11target_archE1100ELNS1_3gpuE3ELNS1_3repE0EEENS1_30default_config_static_selectorELNS0_4arch9wavefront6targetE0EEEvS14_
		.amdhsa_group_segment_fixed_size 0
		.amdhsa_private_segment_fixed_size 0
		.amdhsa_kernarg_size 104
		.amdhsa_user_sgpr_count 6
		.amdhsa_user_sgpr_private_segment_buffer 1
		.amdhsa_user_sgpr_dispatch_ptr 0
		.amdhsa_user_sgpr_queue_ptr 0
		.amdhsa_user_sgpr_kernarg_segment_ptr 1
		.amdhsa_user_sgpr_dispatch_id 0
		.amdhsa_user_sgpr_flat_scratch_init 0
		.amdhsa_user_sgpr_private_segment_size 0
		.amdhsa_wavefront_size32 1
		.amdhsa_uses_dynamic_stack 0
		.amdhsa_system_sgpr_private_segment_wavefront_offset 0
		.amdhsa_system_sgpr_workgroup_id_x 1
		.amdhsa_system_sgpr_workgroup_id_y 0
		.amdhsa_system_sgpr_workgroup_id_z 0
		.amdhsa_system_sgpr_workgroup_info 0
		.amdhsa_system_vgpr_workitem_id 0
		.amdhsa_next_free_vgpr 1
		.amdhsa_next_free_sgpr 1
		.amdhsa_reserve_vcc 0
		.amdhsa_reserve_flat_scratch 0
		.amdhsa_float_round_mode_32 0
		.amdhsa_float_round_mode_16_64 0
		.amdhsa_float_denorm_mode_32 3
		.amdhsa_float_denorm_mode_16_64 3
		.amdhsa_dx10_clamp 1
		.amdhsa_ieee_mode 1
		.amdhsa_fp16_overflow 0
		.amdhsa_workgroup_processor_mode 1
		.amdhsa_memory_ordered 1
		.amdhsa_forward_progress 1
		.amdhsa_shared_vgpr_count 0
		.amdhsa_exception_fp_ieee_invalid_op 0
		.amdhsa_exception_fp_denorm_src 0
		.amdhsa_exception_fp_ieee_div_zero 0
		.amdhsa_exception_fp_ieee_overflow 0
		.amdhsa_exception_fp_ieee_underflow 0
		.amdhsa_exception_fp_ieee_inexact 0
		.amdhsa_exception_int_div_zero 0
	.end_amdhsa_kernel
	.section	.text._ZN7rocprim17ROCPRIM_400000_NS6detail17trampoline_kernelINS0_14default_configENS1_22reduce_config_selectorIN6thrust23THRUST_200600_302600_NS5tupleIblNS6_9null_typeES8_S8_S8_S8_S8_S8_S8_EEEEZNS1_11reduce_implILb1ES3_NS6_12zip_iteratorINS7_INS6_11hip_rocprim26transform_input_iterator_tIbNSD_35transform_pair_of_input_iterators_tIbNS6_6detail15normal_iteratorINS6_10device_ptrIKiEEEESL_NS6_8equal_toIiEEEENSG_9not_fun_tINSD_8identityEEEEENSD_19counting_iterator_tIlEES8_S8_S8_S8_S8_S8_S8_S8_EEEEPS9_S9_NSD_9__find_if7functorIS9_EEEE10hipError_tPvRmT1_T2_T3_mT4_P12ihipStream_tbEUlT_E0_NS1_11comp_targetILNS1_3genE9ELNS1_11target_archE1100ELNS1_3gpuE3ELNS1_3repE0EEENS1_30default_config_static_selectorELNS0_4arch9wavefront6targetE0EEEvS14_,"axG",@progbits,_ZN7rocprim17ROCPRIM_400000_NS6detail17trampoline_kernelINS0_14default_configENS1_22reduce_config_selectorIN6thrust23THRUST_200600_302600_NS5tupleIblNS6_9null_typeES8_S8_S8_S8_S8_S8_S8_EEEEZNS1_11reduce_implILb1ES3_NS6_12zip_iteratorINS7_INS6_11hip_rocprim26transform_input_iterator_tIbNSD_35transform_pair_of_input_iterators_tIbNS6_6detail15normal_iteratorINS6_10device_ptrIKiEEEESL_NS6_8equal_toIiEEEENSG_9not_fun_tINSD_8identityEEEEENSD_19counting_iterator_tIlEES8_S8_S8_S8_S8_S8_S8_S8_EEEEPS9_S9_NSD_9__find_if7functorIS9_EEEE10hipError_tPvRmT1_T2_T3_mT4_P12ihipStream_tbEUlT_E0_NS1_11comp_targetILNS1_3genE9ELNS1_11target_archE1100ELNS1_3gpuE3ELNS1_3repE0EEENS1_30default_config_static_selectorELNS0_4arch9wavefront6targetE0EEEvS14_,comdat
.Lfunc_end493:
	.size	_ZN7rocprim17ROCPRIM_400000_NS6detail17trampoline_kernelINS0_14default_configENS1_22reduce_config_selectorIN6thrust23THRUST_200600_302600_NS5tupleIblNS6_9null_typeES8_S8_S8_S8_S8_S8_S8_EEEEZNS1_11reduce_implILb1ES3_NS6_12zip_iteratorINS7_INS6_11hip_rocprim26transform_input_iterator_tIbNSD_35transform_pair_of_input_iterators_tIbNS6_6detail15normal_iteratorINS6_10device_ptrIKiEEEESL_NS6_8equal_toIiEEEENSG_9not_fun_tINSD_8identityEEEEENSD_19counting_iterator_tIlEES8_S8_S8_S8_S8_S8_S8_S8_EEEEPS9_S9_NSD_9__find_if7functorIS9_EEEE10hipError_tPvRmT1_T2_T3_mT4_P12ihipStream_tbEUlT_E0_NS1_11comp_targetILNS1_3genE9ELNS1_11target_archE1100ELNS1_3gpuE3ELNS1_3repE0EEENS1_30default_config_static_selectorELNS0_4arch9wavefront6targetE0EEEvS14_, .Lfunc_end493-_ZN7rocprim17ROCPRIM_400000_NS6detail17trampoline_kernelINS0_14default_configENS1_22reduce_config_selectorIN6thrust23THRUST_200600_302600_NS5tupleIblNS6_9null_typeES8_S8_S8_S8_S8_S8_S8_EEEEZNS1_11reduce_implILb1ES3_NS6_12zip_iteratorINS7_INS6_11hip_rocprim26transform_input_iterator_tIbNSD_35transform_pair_of_input_iterators_tIbNS6_6detail15normal_iteratorINS6_10device_ptrIKiEEEESL_NS6_8equal_toIiEEEENSG_9not_fun_tINSD_8identityEEEEENSD_19counting_iterator_tIlEES8_S8_S8_S8_S8_S8_S8_S8_EEEEPS9_S9_NSD_9__find_if7functorIS9_EEEE10hipError_tPvRmT1_T2_T3_mT4_P12ihipStream_tbEUlT_E0_NS1_11comp_targetILNS1_3genE9ELNS1_11target_archE1100ELNS1_3gpuE3ELNS1_3repE0EEENS1_30default_config_static_selectorELNS0_4arch9wavefront6targetE0EEEvS14_
                                        ; -- End function
	.set _ZN7rocprim17ROCPRIM_400000_NS6detail17trampoline_kernelINS0_14default_configENS1_22reduce_config_selectorIN6thrust23THRUST_200600_302600_NS5tupleIblNS6_9null_typeES8_S8_S8_S8_S8_S8_S8_EEEEZNS1_11reduce_implILb1ES3_NS6_12zip_iteratorINS7_INS6_11hip_rocprim26transform_input_iterator_tIbNSD_35transform_pair_of_input_iterators_tIbNS6_6detail15normal_iteratorINS6_10device_ptrIKiEEEESL_NS6_8equal_toIiEEEENSG_9not_fun_tINSD_8identityEEEEENSD_19counting_iterator_tIlEES8_S8_S8_S8_S8_S8_S8_S8_EEEEPS9_S9_NSD_9__find_if7functorIS9_EEEE10hipError_tPvRmT1_T2_T3_mT4_P12ihipStream_tbEUlT_E0_NS1_11comp_targetILNS1_3genE9ELNS1_11target_archE1100ELNS1_3gpuE3ELNS1_3repE0EEENS1_30default_config_static_selectorELNS0_4arch9wavefront6targetE0EEEvS14_.num_vgpr, 0
	.set _ZN7rocprim17ROCPRIM_400000_NS6detail17trampoline_kernelINS0_14default_configENS1_22reduce_config_selectorIN6thrust23THRUST_200600_302600_NS5tupleIblNS6_9null_typeES8_S8_S8_S8_S8_S8_S8_EEEEZNS1_11reduce_implILb1ES3_NS6_12zip_iteratorINS7_INS6_11hip_rocprim26transform_input_iterator_tIbNSD_35transform_pair_of_input_iterators_tIbNS6_6detail15normal_iteratorINS6_10device_ptrIKiEEEESL_NS6_8equal_toIiEEEENSG_9not_fun_tINSD_8identityEEEEENSD_19counting_iterator_tIlEES8_S8_S8_S8_S8_S8_S8_S8_EEEEPS9_S9_NSD_9__find_if7functorIS9_EEEE10hipError_tPvRmT1_T2_T3_mT4_P12ihipStream_tbEUlT_E0_NS1_11comp_targetILNS1_3genE9ELNS1_11target_archE1100ELNS1_3gpuE3ELNS1_3repE0EEENS1_30default_config_static_selectorELNS0_4arch9wavefront6targetE0EEEvS14_.num_agpr, 0
	.set _ZN7rocprim17ROCPRIM_400000_NS6detail17trampoline_kernelINS0_14default_configENS1_22reduce_config_selectorIN6thrust23THRUST_200600_302600_NS5tupleIblNS6_9null_typeES8_S8_S8_S8_S8_S8_S8_EEEEZNS1_11reduce_implILb1ES3_NS6_12zip_iteratorINS7_INS6_11hip_rocprim26transform_input_iterator_tIbNSD_35transform_pair_of_input_iterators_tIbNS6_6detail15normal_iteratorINS6_10device_ptrIKiEEEESL_NS6_8equal_toIiEEEENSG_9not_fun_tINSD_8identityEEEEENSD_19counting_iterator_tIlEES8_S8_S8_S8_S8_S8_S8_S8_EEEEPS9_S9_NSD_9__find_if7functorIS9_EEEE10hipError_tPvRmT1_T2_T3_mT4_P12ihipStream_tbEUlT_E0_NS1_11comp_targetILNS1_3genE9ELNS1_11target_archE1100ELNS1_3gpuE3ELNS1_3repE0EEENS1_30default_config_static_selectorELNS0_4arch9wavefront6targetE0EEEvS14_.numbered_sgpr, 0
	.set _ZN7rocprim17ROCPRIM_400000_NS6detail17trampoline_kernelINS0_14default_configENS1_22reduce_config_selectorIN6thrust23THRUST_200600_302600_NS5tupleIblNS6_9null_typeES8_S8_S8_S8_S8_S8_S8_EEEEZNS1_11reduce_implILb1ES3_NS6_12zip_iteratorINS7_INS6_11hip_rocprim26transform_input_iterator_tIbNSD_35transform_pair_of_input_iterators_tIbNS6_6detail15normal_iteratorINS6_10device_ptrIKiEEEESL_NS6_8equal_toIiEEEENSG_9not_fun_tINSD_8identityEEEEENSD_19counting_iterator_tIlEES8_S8_S8_S8_S8_S8_S8_S8_EEEEPS9_S9_NSD_9__find_if7functorIS9_EEEE10hipError_tPvRmT1_T2_T3_mT4_P12ihipStream_tbEUlT_E0_NS1_11comp_targetILNS1_3genE9ELNS1_11target_archE1100ELNS1_3gpuE3ELNS1_3repE0EEENS1_30default_config_static_selectorELNS0_4arch9wavefront6targetE0EEEvS14_.num_named_barrier, 0
	.set _ZN7rocprim17ROCPRIM_400000_NS6detail17trampoline_kernelINS0_14default_configENS1_22reduce_config_selectorIN6thrust23THRUST_200600_302600_NS5tupleIblNS6_9null_typeES8_S8_S8_S8_S8_S8_S8_EEEEZNS1_11reduce_implILb1ES3_NS6_12zip_iteratorINS7_INS6_11hip_rocprim26transform_input_iterator_tIbNSD_35transform_pair_of_input_iterators_tIbNS6_6detail15normal_iteratorINS6_10device_ptrIKiEEEESL_NS6_8equal_toIiEEEENSG_9not_fun_tINSD_8identityEEEEENSD_19counting_iterator_tIlEES8_S8_S8_S8_S8_S8_S8_S8_EEEEPS9_S9_NSD_9__find_if7functorIS9_EEEE10hipError_tPvRmT1_T2_T3_mT4_P12ihipStream_tbEUlT_E0_NS1_11comp_targetILNS1_3genE9ELNS1_11target_archE1100ELNS1_3gpuE3ELNS1_3repE0EEENS1_30default_config_static_selectorELNS0_4arch9wavefront6targetE0EEEvS14_.private_seg_size, 0
	.set _ZN7rocprim17ROCPRIM_400000_NS6detail17trampoline_kernelINS0_14default_configENS1_22reduce_config_selectorIN6thrust23THRUST_200600_302600_NS5tupleIblNS6_9null_typeES8_S8_S8_S8_S8_S8_S8_EEEEZNS1_11reduce_implILb1ES3_NS6_12zip_iteratorINS7_INS6_11hip_rocprim26transform_input_iterator_tIbNSD_35transform_pair_of_input_iterators_tIbNS6_6detail15normal_iteratorINS6_10device_ptrIKiEEEESL_NS6_8equal_toIiEEEENSG_9not_fun_tINSD_8identityEEEEENSD_19counting_iterator_tIlEES8_S8_S8_S8_S8_S8_S8_S8_EEEEPS9_S9_NSD_9__find_if7functorIS9_EEEE10hipError_tPvRmT1_T2_T3_mT4_P12ihipStream_tbEUlT_E0_NS1_11comp_targetILNS1_3genE9ELNS1_11target_archE1100ELNS1_3gpuE3ELNS1_3repE0EEENS1_30default_config_static_selectorELNS0_4arch9wavefront6targetE0EEEvS14_.uses_vcc, 0
	.set _ZN7rocprim17ROCPRIM_400000_NS6detail17trampoline_kernelINS0_14default_configENS1_22reduce_config_selectorIN6thrust23THRUST_200600_302600_NS5tupleIblNS6_9null_typeES8_S8_S8_S8_S8_S8_S8_EEEEZNS1_11reduce_implILb1ES3_NS6_12zip_iteratorINS7_INS6_11hip_rocprim26transform_input_iterator_tIbNSD_35transform_pair_of_input_iterators_tIbNS6_6detail15normal_iteratorINS6_10device_ptrIKiEEEESL_NS6_8equal_toIiEEEENSG_9not_fun_tINSD_8identityEEEEENSD_19counting_iterator_tIlEES8_S8_S8_S8_S8_S8_S8_S8_EEEEPS9_S9_NSD_9__find_if7functorIS9_EEEE10hipError_tPvRmT1_T2_T3_mT4_P12ihipStream_tbEUlT_E0_NS1_11comp_targetILNS1_3genE9ELNS1_11target_archE1100ELNS1_3gpuE3ELNS1_3repE0EEENS1_30default_config_static_selectorELNS0_4arch9wavefront6targetE0EEEvS14_.uses_flat_scratch, 0
	.set _ZN7rocprim17ROCPRIM_400000_NS6detail17trampoline_kernelINS0_14default_configENS1_22reduce_config_selectorIN6thrust23THRUST_200600_302600_NS5tupleIblNS6_9null_typeES8_S8_S8_S8_S8_S8_S8_EEEEZNS1_11reduce_implILb1ES3_NS6_12zip_iteratorINS7_INS6_11hip_rocprim26transform_input_iterator_tIbNSD_35transform_pair_of_input_iterators_tIbNS6_6detail15normal_iteratorINS6_10device_ptrIKiEEEESL_NS6_8equal_toIiEEEENSG_9not_fun_tINSD_8identityEEEEENSD_19counting_iterator_tIlEES8_S8_S8_S8_S8_S8_S8_S8_EEEEPS9_S9_NSD_9__find_if7functorIS9_EEEE10hipError_tPvRmT1_T2_T3_mT4_P12ihipStream_tbEUlT_E0_NS1_11comp_targetILNS1_3genE9ELNS1_11target_archE1100ELNS1_3gpuE3ELNS1_3repE0EEENS1_30default_config_static_selectorELNS0_4arch9wavefront6targetE0EEEvS14_.has_dyn_sized_stack, 0
	.set _ZN7rocprim17ROCPRIM_400000_NS6detail17trampoline_kernelINS0_14default_configENS1_22reduce_config_selectorIN6thrust23THRUST_200600_302600_NS5tupleIblNS6_9null_typeES8_S8_S8_S8_S8_S8_S8_EEEEZNS1_11reduce_implILb1ES3_NS6_12zip_iteratorINS7_INS6_11hip_rocprim26transform_input_iterator_tIbNSD_35transform_pair_of_input_iterators_tIbNS6_6detail15normal_iteratorINS6_10device_ptrIKiEEEESL_NS6_8equal_toIiEEEENSG_9not_fun_tINSD_8identityEEEEENSD_19counting_iterator_tIlEES8_S8_S8_S8_S8_S8_S8_S8_EEEEPS9_S9_NSD_9__find_if7functorIS9_EEEE10hipError_tPvRmT1_T2_T3_mT4_P12ihipStream_tbEUlT_E0_NS1_11comp_targetILNS1_3genE9ELNS1_11target_archE1100ELNS1_3gpuE3ELNS1_3repE0EEENS1_30default_config_static_selectorELNS0_4arch9wavefront6targetE0EEEvS14_.has_recursion, 0
	.set _ZN7rocprim17ROCPRIM_400000_NS6detail17trampoline_kernelINS0_14default_configENS1_22reduce_config_selectorIN6thrust23THRUST_200600_302600_NS5tupleIblNS6_9null_typeES8_S8_S8_S8_S8_S8_S8_EEEEZNS1_11reduce_implILb1ES3_NS6_12zip_iteratorINS7_INS6_11hip_rocprim26transform_input_iterator_tIbNSD_35transform_pair_of_input_iterators_tIbNS6_6detail15normal_iteratorINS6_10device_ptrIKiEEEESL_NS6_8equal_toIiEEEENSG_9not_fun_tINSD_8identityEEEEENSD_19counting_iterator_tIlEES8_S8_S8_S8_S8_S8_S8_S8_EEEEPS9_S9_NSD_9__find_if7functorIS9_EEEE10hipError_tPvRmT1_T2_T3_mT4_P12ihipStream_tbEUlT_E0_NS1_11comp_targetILNS1_3genE9ELNS1_11target_archE1100ELNS1_3gpuE3ELNS1_3repE0EEENS1_30default_config_static_selectorELNS0_4arch9wavefront6targetE0EEEvS14_.has_indirect_call, 0
	.section	.AMDGPU.csdata,"",@progbits
; Kernel info:
; codeLenInByte = 0
; TotalNumSgprs: 0
; NumVgprs: 0
; ScratchSize: 0
; MemoryBound: 0
; FloatMode: 240
; IeeeMode: 1
; LDSByteSize: 0 bytes/workgroup (compile time only)
; SGPRBlocks: 0
; VGPRBlocks: 0
; NumSGPRsForWavesPerEU: 1
; NumVGPRsForWavesPerEU: 1
; Occupancy: 16
; WaveLimiterHint : 0
; COMPUTE_PGM_RSRC2:SCRATCH_EN: 0
; COMPUTE_PGM_RSRC2:USER_SGPR: 6
; COMPUTE_PGM_RSRC2:TRAP_HANDLER: 0
; COMPUTE_PGM_RSRC2:TGID_X_EN: 1
; COMPUTE_PGM_RSRC2:TGID_Y_EN: 0
; COMPUTE_PGM_RSRC2:TGID_Z_EN: 0
; COMPUTE_PGM_RSRC2:TIDIG_COMP_CNT: 0
	.section	.text._ZN7rocprim17ROCPRIM_400000_NS6detail17trampoline_kernelINS0_14default_configENS1_22reduce_config_selectorIN6thrust23THRUST_200600_302600_NS5tupleIblNS6_9null_typeES8_S8_S8_S8_S8_S8_S8_EEEEZNS1_11reduce_implILb1ES3_NS6_12zip_iteratorINS7_INS6_11hip_rocprim26transform_input_iterator_tIbNSD_35transform_pair_of_input_iterators_tIbNS6_6detail15normal_iteratorINS6_10device_ptrIKiEEEESL_NS6_8equal_toIiEEEENSG_9not_fun_tINSD_8identityEEEEENSD_19counting_iterator_tIlEES8_S8_S8_S8_S8_S8_S8_S8_EEEEPS9_S9_NSD_9__find_if7functorIS9_EEEE10hipError_tPvRmT1_T2_T3_mT4_P12ihipStream_tbEUlT_E0_NS1_11comp_targetILNS1_3genE8ELNS1_11target_archE1030ELNS1_3gpuE2ELNS1_3repE0EEENS1_30default_config_static_selectorELNS0_4arch9wavefront6targetE0EEEvS14_,"axG",@progbits,_ZN7rocprim17ROCPRIM_400000_NS6detail17trampoline_kernelINS0_14default_configENS1_22reduce_config_selectorIN6thrust23THRUST_200600_302600_NS5tupleIblNS6_9null_typeES8_S8_S8_S8_S8_S8_S8_EEEEZNS1_11reduce_implILb1ES3_NS6_12zip_iteratorINS7_INS6_11hip_rocprim26transform_input_iterator_tIbNSD_35transform_pair_of_input_iterators_tIbNS6_6detail15normal_iteratorINS6_10device_ptrIKiEEEESL_NS6_8equal_toIiEEEENSG_9not_fun_tINSD_8identityEEEEENSD_19counting_iterator_tIlEES8_S8_S8_S8_S8_S8_S8_S8_EEEEPS9_S9_NSD_9__find_if7functorIS9_EEEE10hipError_tPvRmT1_T2_T3_mT4_P12ihipStream_tbEUlT_E0_NS1_11comp_targetILNS1_3genE8ELNS1_11target_archE1030ELNS1_3gpuE2ELNS1_3repE0EEENS1_30default_config_static_selectorELNS0_4arch9wavefront6targetE0EEEvS14_,comdat
	.protected	_ZN7rocprim17ROCPRIM_400000_NS6detail17trampoline_kernelINS0_14default_configENS1_22reduce_config_selectorIN6thrust23THRUST_200600_302600_NS5tupleIblNS6_9null_typeES8_S8_S8_S8_S8_S8_S8_EEEEZNS1_11reduce_implILb1ES3_NS6_12zip_iteratorINS7_INS6_11hip_rocprim26transform_input_iterator_tIbNSD_35transform_pair_of_input_iterators_tIbNS6_6detail15normal_iteratorINS6_10device_ptrIKiEEEESL_NS6_8equal_toIiEEEENSG_9not_fun_tINSD_8identityEEEEENSD_19counting_iterator_tIlEES8_S8_S8_S8_S8_S8_S8_S8_EEEEPS9_S9_NSD_9__find_if7functorIS9_EEEE10hipError_tPvRmT1_T2_T3_mT4_P12ihipStream_tbEUlT_E0_NS1_11comp_targetILNS1_3genE8ELNS1_11target_archE1030ELNS1_3gpuE2ELNS1_3repE0EEENS1_30default_config_static_selectorELNS0_4arch9wavefront6targetE0EEEvS14_ ; -- Begin function _ZN7rocprim17ROCPRIM_400000_NS6detail17trampoline_kernelINS0_14default_configENS1_22reduce_config_selectorIN6thrust23THRUST_200600_302600_NS5tupleIblNS6_9null_typeES8_S8_S8_S8_S8_S8_S8_EEEEZNS1_11reduce_implILb1ES3_NS6_12zip_iteratorINS7_INS6_11hip_rocprim26transform_input_iterator_tIbNSD_35transform_pair_of_input_iterators_tIbNS6_6detail15normal_iteratorINS6_10device_ptrIKiEEEESL_NS6_8equal_toIiEEEENSG_9not_fun_tINSD_8identityEEEEENSD_19counting_iterator_tIlEES8_S8_S8_S8_S8_S8_S8_S8_EEEEPS9_S9_NSD_9__find_if7functorIS9_EEEE10hipError_tPvRmT1_T2_T3_mT4_P12ihipStream_tbEUlT_E0_NS1_11comp_targetILNS1_3genE8ELNS1_11target_archE1030ELNS1_3gpuE2ELNS1_3repE0EEENS1_30default_config_static_selectorELNS0_4arch9wavefront6targetE0EEEvS14_
	.globl	_ZN7rocprim17ROCPRIM_400000_NS6detail17trampoline_kernelINS0_14default_configENS1_22reduce_config_selectorIN6thrust23THRUST_200600_302600_NS5tupleIblNS6_9null_typeES8_S8_S8_S8_S8_S8_S8_EEEEZNS1_11reduce_implILb1ES3_NS6_12zip_iteratorINS7_INS6_11hip_rocprim26transform_input_iterator_tIbNSD_35transform_pair_of_input_iterators_tIbNS6_6detail15normal_iteratorINS6_10device_ptrIKiEEEESL_NS6_8equal_toIiEEEENSG_9not_fun_tINSD_8identityEEEEENSD_19counting_iterator_tIlEES8_S8_S8_S8_S8_S8_S8_S8_EEEEPS9_S9_NSD_9__find_if7functorIS9_EEEE10hipError_tPvRmT1_T2_T3_mT4_P12ihipStream_tbEUlT_E0_NS1_11comp_targetILNS1_3genE8ELNS1_11target_archE1030ELNS1_3gpuE2ELNS1_3repE0EEENS1_30default_config_static_selectorELNS0_4arch9wavefront6targetE0EEEvS14_
	.p2align	8
	.type	_ZN7rocprim17ROCPRIM_400000_NS6detail17trampoline_kernelINS0_14default_configENS1_22reduce_config_selectorIN6thrust23THRUST_200600_302600_NS5tupleIblNS6_9null_typeES8_S8_S8_S8_S8_S8_S8_EEEEZNS1_11reduce_implILb1ES3_NS6_12zip_iteratorINS7_INS6_11hip_rocprim26transform_input_iterator_tIbNSD_35transform_pair_of_input_iterators_tIbNS6_6detail15normal_iteratorINS6_10device_ptrIKiEEEESL_NS6_8equal_toIiEEEENSG_9not_fun_tINSD_8identityEEEEENSD_19counting_iterator_tIlEES8_S8_S8_S8_S8_S8_S8_S8_EEEEPS9_S9_NSD_9__find_if7functorIS9_EEEE10hipError_tPvRmT1_T2_T3_mT4_P12ihipStream_tbEUlT_E0_NS1_11comp_targetILNS1_3genE8ELNS1_11target_archE1030ELNS1_3gpuE2ELNS1_3repE0EEENS1_30default_config_static_selectorELNS0_4arch9wavefront6targetE0EEEvS14_,@function
_ZN7rocprim17ROCPRIM_400000_NS6detail17trampoline_kernelINS0_14default_configENS1_22reduce_config_selectorIN6thrust23THRUST_200600_302600_NS5tupleIblNS6_9null_typeES8_S8_S8_S8_S8_S8_S8_EEEEZNS1_11reduce_implILb1ES3_NS6_12zip_iteratorINS7_INS6_11hip_rocprim26transform_input_iterator_tIbNSD_35transform_pair_of_input_iterators_tIbNS6_6detail15normal_iteratorINS6_10device_ptrIKiEEEESL_NS6_8equal_toIiEEEENSG_9not_fun_tINSD_8identityEEEEENSD_19counting_iterator_tIlEES8_S8_S8_S8_S8_S8_S8_S8_EEEEPS9_S9_NSD_9__find_if7functorIS9_EEEE10hipError_tPvRmT1_T2_T3_mT4_P12ihipStream_tbEUlT_E0_NS1_11comp_targetILNS1_3genE8ELNS1_11target_archE1030ELNS1_3gpuE2ELNS1_3repE0EEENS1_30default_config_static_selectorELNS0_4arch9wavefront6targetE0EEEvS14_: ; @_ZN7rocprim17ROCPRIM_400000_NS6detail17trampoline_kernelINS0_14default_configENS1_22reduce_config_selectorIN6thrust23THRUST_200600_302600_NS5tupleIblNS6_9null_typeES8_S8_S8_S8_S8_S8_S8_EEEEZNS1_11reduce_implILb1ES3_NS6_12zip_iteratorINS7_INS6_11hip_rocprim26transform_input_iterator_tIbNSD_35transform_pair_of_input_iterators_tIbNS6_6detail15normal_iteratorINS6_10device_ptrIKiEEEESL_NS6_8equal_toIiEEEENSG_9not_fun_tINSD_8identityEEEEENSD_19counting_iterator_tIlEES8_S8_S8_S8_S8_S8_S8_S8_EEEEPS9_S9_NSD_9__find_if7functorIS9_EEEE10hipError_tPvRmT1_T2_T3_mT4_P12ihipStream_tbEUlT_E0_NS1_11comp_targetILNS1_3genE8ELNS1_11target_archE1030ELNS1_3gpuE2ELNS1_3repE0EEENS1_30default_config_static_selectorELNS0_4arch9wavefront6targetE0EEEvS14_
; %bb.0:
	s_clause 0x2
	s_load_dwordx8 s[8:15], s[4:5], 0x20
	s_load_dwordx4 s[0:3], s[4:5], 0x0
	s_load_dwordx4 s[16:19], s[4:5], 0x40
	s_mov_b32 s23, 0
	v_lshlrev_b32_e32 v9, 2, v0
	v_mbcnt_lo_u32_b32 v7, -1, 0
	s_mov_b32 s7, s23
	s_waitcnt lgkmcnt(0)
	s_lshl_b64 s[20:21], s[10:11], 2
	s_add_u32 s26, s0, s20
	s_addc_u32 s27, s1, s21
	s_add_u32 s20, s2, s20
	s_addc_u32 s21, s3, s21
	s_lshl_b32 s22, s6, 9
	s_lshr_b64 s[24:25], s[12:13], 9
	s_lshl_b64 s[0:1], s[22:23], 2
	s_add_u32 s2, s26, s0
	s_addc_u32 s3, s27, s1
	s_add_u32 s20, s20, s0
	s_addc_u32 s21, s21, s1
	;; [unrolled: 2-line block ×4, first 2 shown]
	s_cmp_lg_u64 s[24:25], s[6:7]
	s_cbranch_scc0 .LBB494_18
; %bb.1:
	s_clause 0x3
	global_load_dword v1, v9, s[2:3]
	global_load_dword v2, v9, s[20:21]
	global_load_dword v3, v9, s[20:21] offset:1024
	global_load_dword v4, v9, s[2:3] offset:1024
	v_add_co_u32 v5, s0, s10, v0
	v_add_co_ci_u32_e64 v6, null, s11, 0, s0
	v_add_co_u32 v8, vcc_lo, 0x100, v5
	v_add_co_ci_u32_e64 v10, null, 0, v6, vcc_lo
	s_waitcnt vmcnt(2)
	v_cmp_ne_u32_e32 vcc_lo, v1, v2
	s_waitcnt vmcnt(0)
	v_cmp_ne_u32_e64 s0, v4, v3
	v_cndmask_b32_e32 v2, v10, v6, vcc_lo
	v_cndmask_b32_e32 v1, v8, v5, vcc_lo
	s_or_b32 s0, vcc_lo, s0
	v_cndmask_b32_e64 v5, 0, 1, s0
	v_mov_b32_dpp v4, v2 quad_perm:[1,0,3,2] row_mask:0xf bank_mask:0xf
	v_mov_b32_dpp v3, v1 quad_perm:[1,0,3,2] row_mask:0xf bank_mask:0xf
	;; [unrolled: 1-line block ×3, first 2 shown]
	v_cmp_lt_i64_e32 vcc_lo, v[1:2], v[3:4]
	v_and_b32_e32 v6, 1, v6
	s_and_b32 vcc_lo, s0, vcc_lo
	v_cndmask_b32_e32 v3, v3, v1, vcc_lo
	v_cndmask_b32_e32 v4, v4, v2, vcc_lo
	v_cmp_eq_u32_e32 vcc_lo, 1, v6
	v_cndmask_b32_e32 v2, v2, v4, vcc_lo
	v_cndmask_b32_e32 v1, v1, v3, vcc_lo
	v_cndmask_b32_e64 v5, v5, 1, vcc_lo
	v_mov_b32_dpp v4, v2 quad_perm:[2,3,0,1] row_mask:0xf bank_mask:0xf
	v_mov_b32_dpp v3, v1 quad_perm:[2,3,0,1] row_mask:0xf bank_mask:0xf
	v_and_b32_e32 v8, 1, v5
	v_mov_b32_dpp v6, v5 quad_perm:[2,3,0,1] row_mask:0xf bank_mask:0xf
	v_cmp_lt_i64_e32 vcc_lo, v[1:2], v[3:4]
	v_cmp_eq_u32_e64 s0, 1, v8
	v_and_b32_e32 v6, 1, v6
	s_and_b32 vcc_lo, s0, vcc_lo
	v_cmp_eq_u32_e64 s1, 1, v6
	v_cndmask_b32_e32 v3, v3, v1, vcc_lo
	v_cndmask_b32_e32 v4, v4, v2, vcc_lo
	v_cndmask_b32_e64 v5, v5, 1, s1
	v_cndmask_b32_e64 v1, v1, v3, s1
	;; [unrolled: 1-line block ×3, first 2 shown]
	v_and_b32_e32 v8, 1, v5
	v_mov_b32_dpp v3, v1 row_ror:4 row_mask:0xf bank_mask:0xf
	v_mov_b32_dpp v4, v2 row_ror:4 row_mask:0xf bank_mask:0xf
	;; [unrolled: 1-line block ×3, first 2 shown]
	v_cmp_eq_u32_e64 s0, 1, v8
	v_cmp_lt_i64_e32 vcc_lo, v[1:2], v[3:4]
	v_and_b32_e32 v6, 1, v6
	s_and_b32 vcc_lo, s0, vcc_lo
	v_cmp_eq_u32_e64 s1, 1, v6
	v_cndmask_b32_e32 v3, v3, v1, vcc_lo
	v_cndmask_b32_e32 v4, v4, v2, vcc_lo
	v_cndmask_b32_e64 v5, v5, 1, s1
	v_cndmask_b32_e64 v1, v1, v3, s1
	;; [unrolled: 1-line block ×3, first 2 shown]
	v_and_b32_e32 v8, 1, v5
	v_mov_b32_dpp v3, v1 row_ror:8 row_mask:0xf bank_mask:0xf
	v_mov_b32_dpp v4, v2 row_ror:8 row_mask:0xf bank_mask:0xf
	;; [unrolled: 1-line block ×3, first 2 shown]
	v_cmp_eq_u32_e64 s0, 1, v8
	v_cmp_lt_i64_e32 vcc_lo, v[1:2], v[3:4]
	v_and_b32_e32 v6, 1, v6
	s_and_b32 vcc_lo, s0, vcc_lo
	v_cmp_eq_u32_e64 s1, 1, v6
	v_cndmask_b32_e32 v3, v3, v1, vcc_lo
	v_cndmask_b32_e32 v4, v4, v2, vcc_lo
	v_cndmask_b32_e64 v5, v5, 1, s1
	v_cndmask_b32_e64 v1, v1, v3, s1
	;; [unrolled: 1-line block ×3, first 2 shown]
	ds_swizzle_b32 v6, v5 offset:swizzle(BROADCAST,32,15)
	ds_swizzle_b32 v3, v1 offset:swizzle(BROADCAST,32,15)
	ds_swizzle_b32 v4, v2 offset:swizzle(BROADCAST,32,15)
	v_and_b32_e32 v8, 1, v5
	v_cmp_eq_u32_e64 s0, 1, v8
	s_waitcnt lgkmcnt(2)
	v_and_b32_e32 v6, 1, v6
	s_waitcnt lgkmcnt(0)
	v_cmp_lt_i64_e32 vcc_lo, v[1:2], v[3:4]
	v_cmp_eq_u32_e64 s1, 1, v6
	v_mov_b32_e32 v6, 0
	s_and_b32 vcc_lo, s0, vcc_lo
	s_mov_b32 s0, exec_lo
	v_cndmask_b32_e32 v3, v3, v1, vcc_lo
	v_cndmask_b32_e32 v4, v4, v2, vcc_lo
	v_cndmask_b32_e64 v5, v5, 1, s1
	v_cndmask_b32_e64 v1, v1, v3, s1
	;; [unrolled: 1-line block ×3, first 2 shown]
	ds_bpermute_b32 v8, v6, v5 offset:124
	ds_bpermute_b32 v1, v6, v1 offset:124
	;; [unrolled: 1-line block ×3, first 2 shown]
	v_cmpx_eq_u32_e32 0, v7
	s_cbranch_execz .LBB494_3
; %bb.2:
	v_lshrrev_b32_e32 v3, 1, v0
	v_and_b32_e32 v3, 0x70, v3
	s_waitcnt lgkmcnt(2)
	ds_write_b8 v3, v8
	s_waitcnt lgkmcnt(1)
	ds_write_b64 v3, v[1:2] offset:8
.LBB494_3:
	s_or_b32 exec_lo, exec_lo, s0
	s_mov_b32 s0, exec_lo
	s_waitcnt lgkmcnt(0)
	s_barrier
	buffer_gl0_inv
	v_cmpx_gt_u32_e32 32, v0
	s_cbranch_execz .LBB494_17
; %bb.4:
	v_and_b32_e32 v8, 7, v7
	v_lshlrev_b32_e32 v1, 4, v8
	v_cmp_ne_u32_e32 vcc_lo, 7, v8
	ds_read_u8 v11, v1
	ds_read_b64 v[3:4], v1 offset:8
	v_add_co_ci_u32_e64 v2, null, 0, v7, vcc_lo
	v_lshlrev_b32_e32 v2, 2, v2
	s_waitcnt lgkmcnt(1)
	v_and_b32_e32 v1, 0xff, v11
	s_waitcnt lgkmcnt(0)
	ds_bpermute_b32 v5, v2, v3
	ds_bpermute_b32 v6, v2, v4
	;; [unrolled: 1-line block ×3, first 2 shown]
	s_waitcnt lgkmcnt(0)
	v_and_b32_e32 v1, v11, v12
	v_and_b32_e32 v1, 1, v1
	v_cmp_eq_u32_e32 vcc_lo, 1, v1
                                        ; implicit-def: $vgpr1_vgpr2
	s_and_saveexec_b32 s1, vcc_lo
	s_xor_b32 s1, exec_lo, s1
; %bb.5:
	v_cmp_lt_i64_e32 vcc_lo, v[5:6], v[3:4]
                                        ; implicit-def: $vgpr11
                                        ; implicit-def: $vgpr12
	v_cndmask_b32_e32 v2, v4, v6, vcc_lo
	v_cndmask_b32_e32 v1, v3, v5, vcc_lo
                                        ; implicit-def: $vgpr5_vgpr6
                                        ; implicit-def: $vgpr3_vgpr4
; %bb.6:
	s_or_saveexec_b32 s1, s1
	v_mov_b32_e32 v10, 1
	s_xor_b32 exec_lo, exec_lo, s1
; %bb.7:
	v_and_b32_e32 v1, 1, v11
	v_and_b32_e32 v10, 0xff, v12
	v_cmp_eq_u32_e32 vcc_lo, 1, v1
	v_cndmask_b32_e32 v2, v6, v4, vcc_lo
	v_cndmask_b32_e32 v1, v5, v3, vcc_lo
	v_cndmask_b32_e64 v10, v10, 1, vcc_lo
; %bb.8:
	s_or_b32 exec_lo, exec_lo, s1
	v_cmp_gt_u32_e32 vcc_lo, 6, v8
	v_cndmask_b32_e64 v3, 0, 2, vcc_lo
	v_add_lshl_u32 v3, v3, v7, 2
	ds_bpermute_b32 v8, v3, v10
	ds_bpermute_b32 v5, v3, v1
	ds_bpermute_b32 v6, v3, v2
	s_waitcnt lgkmcnt(2)
	v_and_b32_e32 v3, v10, v8
	v_and_b32_e32 v3, 1, v3
	v_cmp_eq_u32_e32 vcc_lo, 1, v3
                                        ; implicit-def: $vgpr3_vgpr4
	s_and_saveexec_b32 s1, vcc_lo
	s_xor_b32 s1, exec_lo, s1
	s_cbranch_execz .LBB494_10
; %bb.9:
	s_waitcnt lgkmcnt(0)
	v_cmp_lt_i64_e32 vcc_lo, v[5:6], v[1:2]
                                        ; implicit-def: $vgpr10
                                        ; implicit-def: $vgpr8
	v_cndmask_b32_e32 v4, v2, v6, vcc_lo
	v_cndmask_b32_e32 v3, v1, v5, vcc_lo
                                        ; implicit-def: $vgpr5_vgpr6
                                        ; implicit-def: $vgpr1_vgpr2
.LBB494_10:
	s_or_saveexec_b32 s1, s1
	v_lshlrev_b32_e32 v12, 2, v7
	v_mov_b32_e32 v11, 1
	s_xor_b32 exec_lo, exec_lo, s1
	s_cbranch_execz .LBB494_12
; %bb.11:
	v_and_b32_e32 v3, 1, v10
	v_and_b32_e32 v8, 0xff, v8
	v_cmp_eq_u32_e32 vcc_lo, 1, v3
	s_waitcnt lgkmcnt(0)
	v_cndmask_b32_e32 v4, v6, v2, vcc_lo
	v_cndmask_b32_e32 v3, v5, v1, vcc_lo
	v_cndmask_b32_e64 v11, v8, 1, vcc_lo
.LBB494_12:
	s_or_b32 exec_lo, exec_lo, s1
	v_or_b32_e32 v1, 16, v12
	ds_bpermute_b32 v10, v1, v11
	s_waitcnt lgkmcnt(2)
	ds_bpermute_b32 v5, v1, v3
	s_waitcnt lgkmcnt(2)
	;; [unrolled: 2-line block ×3, first 2 shown]
	v_and_b32_e32 v1, v11, v10
	v_and_b32_e32 v1, 1, v1
	v_cmp_eq_u32_e32 vcc_lo, 1, v1
                                        ; implicit-def: $vgpr1_vgpr2
	s_and_saveexec_b32 s1, vcc_lo
	s_xor_b32 s1, exec_lo, s1
	s_cbranch_execz .LBB494_14
; %bb.13:
	s_waitcnt lgkmcnt(0)
	v_cmp_lt_i64_e32 vcc_lo, v[5:6], v[3:4]
                                        ; implicit-def: $vgpr11
                                        ; implicit-def: $vgpr10
	v_cndmask_b32_e32 v2, v4, v6, vcc_lo
	v_cndmask_b32_e32 v1, v3, v5, vcc_lo
                                        ; implicit-def: $vgpr5_vgpr6
                                        ; implicit-def: $vgpr3_vgpr4
.LBB494_14:
	s_or_saveexec_b32 s1, s1
	v_mov_b32_e32 v8, 1
	s_xor_b32 exec_lo, exec_lo, s1
	s_cbranch_execz .LBB494_16
; %bb.15:
	v_and_b32_e32 v1, 1, v11
	v_cmp_eq_u32_e32 vcc_lo, 1, v1
	s_waitcnt lgkmcnt(0)
	v_cndmask_b32_e32 v2, v6, v4, vcc_lo
	v_cndmask_b32_e32 v1, v5, v3, vcc_lo
	v_cndmask_b32_e64 v8, v10, 1, vcc_lo
.LBB494_16:
	s_or_b32 exec_lo, exec_lo, s1
.LBB494_17:
	s_or_b32 exec_lo, exec_lo, s0
	s_load_dwordx2 s[8:9], s[4:5], 0x58
	s_branch .LBB494_76
.LBB494_18:
                                        ; implicit-def: $vgpr1_vgpr2
                                        ; implicit-def: $vgpr8
	s_load_dwordx2 s[8:9], s[4:5], 0x58
	s_cbranch_execz .LBB494_76
; %bb.19:
	v_mov_b32_e32 v3, 0
	v_mov_b32_e32 v1, 0
	s_waitcnt lgkmcnt(0)
	v_mov_b32_e32 v5, 0
	v_mov_b32_e32 v4, 0
	;; [unrolled: 1-line block ×4, first 2 shown]
	s_sub_i32 s22, s12, s22
	s_mov_b32 s0, exec_lo
	v_cmpx_gt_u32_e64 s22, v0
	s_cbranch_execz .LBB494_21
; %bb.20:
	s_clause 0x1
	global_load_dword v6, v9, s[2:3]
	global_load_dword v8, v9, s[20:21]
	v_add_co_u32 v1, s1, s10, v0
	v_add_co_ci_u32_e64 v2, null, s11, 0, s1
	s_waitcnt vmcnt(0)
	v_cmp_ne_u32_e32 vcc_lo, v6, v8
	v_cndmask_b32_e64 v6, 0, 1, vcc_lo
.LBB494_21:
	s_or_b32 exec_lo, exec_lo, s0
	v_or_b32_e32 v8, 0x100, v0
	v_cmp_gt_u32_e32 vcc_lo, s22, v8
	s_and_saveexec_b32 s1, vcc_lo
	s_cbranch_execz .LBB494_23
; %bb.22:
	s_clause 0x1
	global_load_dword v5, v9, s[2:3] offset:1024
	global_load_dword v9, v9, s[20:21] offset:1024
	v_add_co_u32 v3, s0, s10, v8
	v_add_co_ci_u32_e64 v4, null, s11, 0, s0
	s_waitcnt vmcnt(0)
	v_cmp_ne_u32_e64 s0, v5, v9
	v_cndmask_b32_e64 v5, 0, 1, s0
.LBB494_23:
	s_or_b32 exec_lo, exec_lo, s1
	v_and_b32_e32 v8, 1, v5
	v_cmp_lt_i64_e64 s0, v[3:4], v[1:2]
	v_and_b32_e32 v9, 1, v6
	v_and_b32_e32 v5, 0xffff, v5
	;; [unrolled: 1-line block ×3, first 2 shown]
	v_cmp_eq_u32_e64 s1, 1, v8
	v_cmp_eq_u32_e64 s2, 1, v9
	s_and_b32 s0, s1, s0
	s_mov_b32 s1, exec_lo
	v_cndmask_b32_e64 v8, v2, v4, s0
	v_cndmask_b32_e64 v9, v1, v3, s0
	v_cmp_ne_u32_e64 s0, 31, v7
	v_cndmask_b32_e64 v5, v5, 1, s2
	v_cndmask_b32_e64 v4, v4, v8, s2
	v_cndmask_b32_e64 v3, v3, v9, s2
	v_add_co_ci_u32_e64 v10, null, 0, v7, s0
	v_cndmask_b32_e32 v8, v6, v5, vcc_lo
	v_cndmask_b32_e32 v2, v2, v4, vcc_lo
	;; [unrolled: 1-line block ×3, first 2 shown]
	v_lshlrev_b32_e32 v9, 2, v10
	v_and_b32_e32 v5, 0xe0, v0
	s_min_u32 s0, s22, 0x100
	ds_bpermute_b32 v6, v9, v8
	ds_bpermute_b32 v3, v9, v1
	;; [unrolled: 1-line block ×3, first 2 shown]
	v_sub_nc_u32_e64 v5, s0, v5 clamp
	v_add_nc_u32_e32 v9, 1, v7
	v_cmpx_lt_u32_e64 v9, v5
	s_cbranch_execz .LBB494_29
; %bb.24:
	s_waitcnt lgkmcnt(2)
	v_and_b32_e32 v9, v8, v6
	s_mov_b32 s2, exec_lo
	v_cmpx_ne_u32_e32 0, v9
	s_xor_b32 s2, exec_lo, s2
	s_cbranch_execz .LBB494_26
; %bb.25:
	s_waitcnt lgkmcnt(0)
	v_cmp_lt_i64_e32 vcc_lo, v[3:4], v[1:2]
                                        ; implicit-def: $vgpr8
                                        ; implicit-def: $vgpr6
	v_cndmask_b32_e32 v2, v2, v4, vcc_lo
	v_cndmask_b32_e32 v1, v1, v3, vcc_lo
                                        ; implicit-def: $vgpr3_vgpr4
.LBB494_26:
	s_or_saveexec_b32 s2, s2
	v_mov_b32_e32 v9, 1
	s_xor_b32 exec_lo, exec_lo, s2
	s_cbranch_execz .LBB494_28
; %bb.27:
	v_and_b32_e32 v8, 1, v8
	v_and_b32_e32 v6, 0xff, v6
	v_cmp_eq_u32_e32 vcc_lo, 1, v8
	s_waitcnt lgkmcnt(0)
	v_cndmask_b32_e32 v2, v4, v2, vcc_lo
	v_cndmask_b32_e32 v1, v3, v1, vcc_lo
	v_cndmask_b32_e64 v9, v6, 1, vcc_lo
.LBB494_28:
	s_or_b32 exec_lo, exec_lo, s2
	v_mov_b32_e32 v8, v9
.LBB494_29:
	s_or_b32 exec_lo, exec_lo, s1
	v_cmp_gt_u32_e32 vcc_lo, 30, v7
	v_add_nc_u32_e32 v9, 2, v7
	s_mov_b32 s1, exec_lo
	s_waitcnt lgkmcnt(1)
	v_cndmask_b32_e64 v3, 0, 2, vcc_lo
	s_waitcnt lgkmcnt(0)
	v_add_lshl_u32 v4, v3, v7, 2
	ds_bpermute_b32 v6, v4, v8
	ds_bpermute_b32 v3, v4, v1
	ds_bpermute_b32 v4, v4, v2
	v_cmpx_lt_u32_e64 v9, v5
	s_cbranch_execz .LBB494_35
; %bb.30:
	s_waitcnt lgkmcnt(2)
	v_and_b32_e32 v9, v8, v6
	s_mov_b32 s2, exec_lo
	v_and_b32_e32 v9, 1, v9
	v_cmpx_eq_u32_e32 1, v9
	s_xor_b32 s2, exec_lo, s2
	s_cbranch_execz .LBB494_32
; %bb.31:
	s_waitcnt lgkmcnt(0)
	v_cmp_lt_i64_e32 vcc_lo, v[3:4], v[1:2]
                                        ; implicit-def: $vgpr8
                                        ; implicit-def: $vgpr6
	v_cndmask_b32_e32 v2, v2, v4, vcc_lo
	v_cndmask_b32_e32 v1, v1, v3, vcc_lo
                                        ; implicit-def: $vgpr3_vgpr4
.LBB494_32:
	s_or_saveexec_b32 s2, s2
	v_mov_b32_e32 v9, 1
	s_xor_b32 exec_lo, exec_lo, s2
	s_cbranch_execz .LBB494_34
; %bb.33:
	v_and_b32_e32 v8, 1, v8
	v_and_b32_e32 v6, 0xff, v6
	v_cmp_eq_u32_e32 vcc_lo, 1, v8
	s_waitcnt lgkmcnt(0)
	v_cndmask_b32_e32 v2, v4, v2, vcc_lo
	v_cndmask_b32_e32 v1, v3, v1, vcc_lo
	v_cndmask_b32_e64 v9, v6, 1, vcc_lo
.LBB494_34:
	s_or_b32 exec_lo, exec_lo, s2
	v_mov_b32_e32 v8, v9
.LBB494_35:
	s_or_b32 exec_lo, exec_lo, s1
	v_cmp_gt_u32_e32 vcc_lo, 28, v7
	v_add_nc_u32_e32 v9, 4, v7
	s_mov_b32 s1, exec_lo
	s_waitcnt lgkmcnt(1)
	v_cndmask_b32_e64 v3, 0, 4, vcc_lo
	s_waitcnt lgkmcnt(0)
	v_add_lshl_u32 v4, v3, v7, 2
	ds_bpermute_b32 v6, v4, v8
	ds_bpermute_b32 v3, v4, v1
	ds_bpermute_b32 v4, v4, v2
	v_cmpx_lt_u32_e64 v9, v5
	s_cbranch_execz .LBB494_41
; %bb.36:
	s_waitcnt lgkmcnt(2)
	v_and_b32_e32 v9, v8, v6
	s_mov_b32 s2, exec_lo
	v_and_b32_e32 v9, 1, v9
	v_cmpx_eq_u32_e32 1, v9
	s_xor_b32 s2, exec_lo, s2
	s_cbranch_execz .LBB494_38
; %bb.37:
	s_waitcnt lgkmcnt(0)
	v_cmp_lt_i64_e32 vcc_lo, v[3:4], v[1:2]
                                        ; implicit-def: $vgpr8
                                        ; implicit-def: $vgpr6
	v_cndmask_b32_e32 v2, v2, v4, vcc_lo
	v_cndmask_b32_e32 v1, v1, v3, vcc_lo
                                        ; implicit-def: $vgpr3_vgpr4
.LBB494_38:
	s_or_saveexec_b32 s2, s2
	v_mov_b32_e32 v9, 1
	s_xor_b32 exec_lo, exec_lo, s2
	s_cbranch_execz .LBB494_40
; %bb.39:
	v_and_b32_e32 v8, 1, v8
	v_and_b32_e32 v6, 0xff, v6
	v_cmp_eq_u32_e32 vcc_lo, 1, v8
	s_waitcnt lgkmcnt(0)
	v_cndmask_b32_e32 v2, v4, v2, vcc_lo
	v_cndmask_b32_e32 v1, v3, v1, vcc_lo
	v_cndmask_b32_e64 v9, v6, 1, vcc_lo
.LBB494_40:
	s_or_b32 exec_lo, exec_lo, s2
	v_mov_b32_e32 v8, v9
.LBB494_41:
	;; [unrolled: 46-line block ×3, first 2 shown]
	s_or_b32 exec_lo, exec_lo, s1
	s_waitcnt lgkmcnt(2)
	v_lshlrev_b32_e32 v6, 2, v7
	v_add_nc_u32_e32 v10, 16, v7
	s_waitcnt lgkmcnt(0)
	v_or_b32_e32 v4, 64, v6
	v_cmp_lt_u32_e32 vcc_lo, v10, v5
	v_mov_b32_e32 v5, v8
	ds_bpermute_b32 v9, v4, v8
	ds_bpermute_b32 v3, v4, v1
	;; [unrolled: 1-line block ×3, first 2 shown]
	s_and_saveexec_b32 s1, vcc_lo
	s_cbranch_execz .LBB494_53
; %bb.48:
	s_waitcnt lgkmcnt(2)
	v_and_b32_e32 v5, v8, v9
	s_mov_b32 s2, exec_lo
	v_and_b32_e32 v5, 1, v5
	v_cmpx_eq_u32_e32 1, v5
	s_xor_b32 s2, exec_lo, s2
	s_cbranch_execz .LBB494_50
; %bb.49:
	s_waitcnt lgkmcnt(0)
	v_cmp_lt_i64_e32 vcc_lo, v[3:4], v[1:2]
                                        ; implicit-def: $vgpr8
                                        ; implicit-def: $vgpr9
	v_cndmask_b32_e32 v2, v2, v4, vcc_lo
	v_cndmask_b32_e32 v1, v1, v3, vcc_lo
                                        ; implicit-def: $vgpr3_vgpr4
.LBB494_50:
	s_or_saveexec_b32 s2, s2
	v_mov_b32_e32 v5, 1
	s_xor_b32 exec_lo, exec_lo, s2
	s_cbranch_execz .LBB494_52
; %bb.51:
	v_and_b32_e32 v5, 1, v8
	v_cmp_eq_u32_e32 vcc_lo, 1, v5
	v_cndmask_b32_e64 v5, v9, 1, vcc_lo
	s_waitcnt lgkmcnt(0)
	v_cndmask_b32_e32 v2, v4, v2, vcc_lo
	v_cndmask_b32_e32 v1, v3, v1, vcc_lo
.LBB494_52:
	s_or_b32 exec_lo, exec_lo, s2
	v_and_b32_e32 v8, 0xff, v5
.LBB494_53:
	s_or_b32 exec_lo, exec_lo, s1
	s_mov_b32 s1, exec_lo
	v_cmpx_eq_u32_e32 0, v7
	s_cbranch_execz .LBB494_55
; %bb.54:
	s_waitcnt lgkmcnt(1)
	v_lshrrev_b32_e32 v3, 1, v0
	v_and_b32_e32 v3, 0x70, v3
	ds_write_b8 v3, v5 offset:128
	ds_write_b64 v3, v[1:2] offset:136
.LBB494_55:
	s_or_b32 exec_lo, exec_lo, s1
	s_mov_b32 s1, exec_lo
	s_waitcnt lgkmcnt(0)
	s_barrier
	buffer_gl0_inv
	v_cmpx_gt_u32_e32 8, v0
	s_cbranch_execz .LBB494_75
; %bb.56:
	v_lshlrev_b32_e32 v1, 4, v7
	v_and_b32_e32 v5, 7, v7
	s_add_i32 s0, s0, 31
	s_mov_b32 s2, exec_lo
	s_lshr_b32 s0, s0, 5
	ds_read_u8 v9, v1 offset:128
	ds_read_b64 v[1:2], v1 offset:136
	v_cmp_ne_u32_e32 vcc_lo, 7, v5
	v_add_nc_u32_e32 v11, 1, v5
	v_add_co_ci_u32_e64 v3, null, 0, v7, vcc_lo
	v_lshlrev_b32_e32 v4, 2, v3
	s_waitcnt lgkmcnt(1)
	v_and_b32_e32 v8, 0xff, v9
	s_waitcnt lgkmcnt(0)
	ds_bpermute_b32 v3, v4, v1
	ds_bpermute_b32 v10, v4, v8
	ds_bpermute_b32 v4, v4, v2
	v_cmpx_gt_u32_e64 s0, v11
	s_cbranch_execz .LBB494_62
; %bb.57:
	s_waitcnt lgkmcnt(1)
	v_and_b32_e32 v8, v8, v10
	s_mov_b32 s3, exec_lo
	v_and_b32_e32 v8, 1, v8
	v_cmpx_eq_u32_e32 1, v8
	s_xor_b32 s3, exec_lo, s3
	s_cbranch_execz .LBB494_59
; %bb.58:
	s_waitcnt lgkmcnt(0)
	v_cmp_lt_i64_e32 vcc_lo, v[3:4], v[1:2]
                                        ; implicit-def: $vgpr9
                                        ; implicit-def: $vgpr10
	v_cndmask_b32_e32 v2, v2, v4, vcc_lo
	v_cndmask_b32_e32 v1, v1, v3, vcc_lo
                                        ; implicit-def: $vgpr3_vgpr4
.LBB494_59:
	s_or_saveexec_b32 s3, s3
	v_mov_b32_e32 v8, 1
	s_xor_b32 exec_lo, exec_lo, s3
	s_cbranch_execz .LBB494_61
; %bb.60:
	v_and_b32_e32 v8, 1, v9
	v_cmp_eq_u32_e32 vcc_lo, 1, v8
	v_and_b32_e32 v8, 0xff, v10
	s_waitcnt lgkmcnt(0)
	v_cndmask_b32_e32 v2, v4, v2, vcc_lo
	v_cndmask_b32_e32 v1, v3, v1, vcc_lo
	v_cndmask_b32_e64 v8, v8, 1, vcc_lo
.LBB494_61:
	s_or_b32 exec_lo, exec_lo, s3
.LBB494_62:
	s_or_b32 exec_lo, exec_lo, s2
	v_cmp_gt_u32_e32 vcc_lo, 6, v5
	v_add_nc_u32_e32 v9, 2, v5
	s_mov_b32 s2, exec_lo
	s_waitcnt lgkmcnt(2)
	v_cndmask_b32_e64 v3, 0, 2, vcc_lo
	s_waitcnt lgkmcnt(0)
	v_add_lshl_u32 v4, v3, v7, 2
	ds_bpermute_b32 v7, v4, v8
	ds_bpermute_b32 v3, v4, v1
	;; [unrolled: 1-line block ×3, first 2 shown]
	v_cmpx_gt_u32_e64 s0, v9
	s_cbranch_execz .LBB494_68
; %bb.63:
	s_waitcnt lgkmcnt(2)
	v_and_b32_e32 v9, v8, v7
	s_mov_b32 s3, exec_lo
	v_and_b32_e32 v9, 1, v9
	v_cmpx_eq_u32_e32 1, v9
	s_xor_b32 s3, exec_lo, s3
	s_cbranch_execz .LBB494_65
; %bb.64:
	s_waitcnt lgkmcnt(0)
	v_cmp_lt_i64_e32 vcc_lo, v[3:4], v[1:2]
                                        ; implicit-def: $vgpr8
                                        ; implicit-def: $vgpr7
	v_cndmask_b32_e32 v2, v2, v4, vcc_lo
	v_cndmask_b32_e32 v1, v1, v3, vcc_lo
                                        ; implicit-def: $vgpr3_vgpr4
.LBB494_65:
	s_or_saveexec_b32 s3, s3
	v_mov_b32_e32 v9, 1
	s_xor_b32 exec_lo, exec_lo, s3
	s_cbranch_execz .LBB494_67
; %bb.66:
	v_and_b32_e32 v8, 1, v8
	v_and_b32_e32 v7, 0xff, v7
	v_cmp_eq_u32_e32 vcc_lo, 1, v8
	s_waitcnt lgkmcnt(0)
	v_cndmask_b32_e32 v2, v4, v2, vcc_lo
	v_cndmask_b32_e32 v1, v3, v1, vcc_lo
	v_cndmask_b32_e64 v9, v7, 1, vcc_lo
.LBB494_67:
	s_or_b32 exec_lo, exec_lo, s3
	v_mov_b32_e32 v8, v9
.LBB494_68:
	s_or_b32 exec_lo, exec_lo, s2
	s_waitcnt lgkmcnt(0)
	v_or_b32_e32 v4, 16, v6
	v_add_nc_u32_e32 v5, 4, v5
	ds_bpermute_b32 v6, v4, v8
	ds_bpermute_b32 v3, v4, v1
	;; [unrolled: 1-line block ×3, first 2 shown]
	v_cmp_gt_u32_e32 vcc_lo, s0, v5
	s_and_saveexec_b32 s0, vcc_lo
	s_cbranch_execz .LBB494_74
; %bb.69:
	s_waitcnt lgkmcnt(2)
	v_and_b32_e32 v5, v8, v6
	s_mov_b32 s2, exec_lo
	v_and_b32_e32 v5, 1, v5
	v_cmpx_eq_u32_e32 1, v5
	s_xor_b32 s2, exec_lo, s2
	s_cbranch_execz .LBB494_71
; %bb.70:
	s_waitcnt lgkmcnt(0)
	v_cmp_lt_i64_e32 vcc_lo, v[3:4], v[1:2]
                                        ; implicit-def: $vgpr8
                                        ; implicit-def: $vgpr6
	v_cndmask_b32_e32 v2, v2, v4, vcc_lo
	v_cndmask_b32_e32 v1, v1, v3, vcc_lo
                                        ; implicit-def: $vgpr3_vgpr4
.LBB494_71:
	s_or_saveexec_b32 s2, s2
	v_mov_b32_e32 v5, 1
	s_xor_b32 exec_lo, exec_lo, s2
	s_cbranch_execz .LBB494_73
; %bb.72:
	v_and_b32_e32 v5, 1, v8
	v_cmp_eq_u32_e32 vcc_lo, 1, v5
	s_waitcnt lgkmcnt(0)
	v_cndmask_b32_e32 v2, v4, v2, vcc_lo
	v_cndmask_b32_e32 v1, v3, v1, vcc_lo
	v_cndmask_b32_e64 v5, v6, 1, vcc_lo
.LBB494_73:
	s_or_b32 exec_lo, exec_lo, s2
	v_mov_b32_e32 v8, v5
.LBB494_74:
	s_or_b32 exec_lo, exec_lo, s0
.LBB494_75:
	s_or_b32 exec_lo, exec_lo, s1
.LBB494_76:
	s_load_dword s0, s[4:5], 0x50
	s_mov_b32 s1, exec_lo
	v_cmpx_eq_u32_e32 0, v0
	s_cbranch_execz .LBB494_78
; %bb.77:
	s_mul_i32 s1, s18, s17
	s_mul_hi_u32 s2, s18, s16
	s_mul_i32 s3, s19, s16
	s_add_i32 s1, s2, s1
	s_mul_i32 s2, s18, s16
	s_add_i32 s3, s1, s3
	v_mov_b32_e32 v0, 0
	s_lshl_b64 s[2:3], s[2:3], 4
	s_add_u32 s1, s14, s2
	s_addc_u32 s4, s15, s3
	s_cmp_eq_u64 s[12:13], 0
	s_cselect_b32 s5, -1, 0
	s_lshl_b64 s[2:3], s[6:7], 4
	s_waitcnt lgkmcnt(0)
	v_cndmask_b32_e64 v3, v8, s0, s5
	v_cndmask_b32_e64 v2, v2, s9, s5
	v_cndmask_b32_e64 v1, v1, s8, s5
	s_add_u32 s0, s1, s2
	s_addc_u32 s1, s4, s3
	global_store_byte v0, v3, s[0:1]
	global_store_dwordx2 v0, v[1:2], s[0:1] offset:8
.LBB494_78:
	s_endpgm
	.section	.rodata,"a",@progbits
	.p2align	6, 0x0
	.amdhsa_kernel _ZN7rocprim17ROCPRIM_400000_NS6detail17trampoline_kernelINS0_14default_configENS1_22reduce_config_selectorIN6thrust23THRUST_200600_302600_NS5tupleIblNS6_9null_typeES8_S8_S8_S8_S8_S8_S8_EEEEZNS1_11reduce_implILb1ES3_NS6_12zip_iteratorINS7_INS6_11hip_rocprim26transform_input_iterator_tIbNSD_35transform_pair_of_input_iterators_tIbNS6_6detail15normal_iteratorINS6_10device_ptrIKiEEEESL_NS6_8equal_toIiEEEENSG_9not_fun_tINSD_8identityEEEEENSD_19counting_iterator_tIlEES8_S8_S8_S8_S8_S8_S8_S8_EEEEPS9_S9_NSD_9__find_if7functorIS9_EEEE10hipError_tPvRmT1_T2_T3_mT4_P12ihipStream_tbEUlT_E0_NS1_11comp_targetILNS1_3genE8ELNS1_11target_archE1030ELNS1_3gpuE2ELNS1_3repE0EEENS1_30default_config_static_selectorELNS0_4arch9wavefront6targetE0EEEvS14_
		.amdhsa_group_segment_fixed_size 256
		.amdhsa_private_segment_fixed_size 0
		.amdhsa_kernarg_size 104
		.amdhsa_user_sgpr_count 6
		.amdhsa_user_sgpr_private_segment_buffer 1
		.amdhsa_user_sgpr_dispatch_ptr 0
		.amdhsa_user_sgpr_queue_ptr 0
		.amdhsa_user_sgpr_kernarg_segment_ptr 1
		.amdhsa_user_sgpr_dispatch_id 0
		.amdhsa_user_sgpr_flat_scratch_init 0
		.amdhsa_user_sgpr_private_segment_size 0
		.amdhsa_wavefront_size32 1
		.amdhsa_uses_dynamic_stack 0
		.amdhsa_system_sgpr_private_segment_wavefront_offset 0
		.amdhsa_system_sgpr_workgroup_id_x 1
		.amdhsa_system_sgpr_workgroup_id_y 0
		.amdhsa_system_sgpr_workgroup_id_z 0
		.amdhsa_system_sgpr_workgroup_info 0
		.amdhsa_system_vgpr_workitem_id 0
		.amdhsa_next_free_vgpr 13
		.amdhsa_next_free_sgpr 28
		.amdhsa_reserve_vcc 1
		.amdhsa_reserve_flat_scratch 0
		.amdhsa_float_round_mode_32 0
		.amdhsa_float_round_mode_16_64 0
		.amdhsa_float_denorm_mode_32 3
		.amdhsa_float_denorm_mode_16_64 3
		.amdhsa_dx10_clamp 1
		.amdhsa_ieee_mode 1
		.amdhsa_fp16_overflow 0
		.amdhsa_workgroup_processor_mode 1
		.amdhsa_memory_ordered 1
		.amdhsa_forward_progress 1
		.amdhsa_shared_vgpr_count 0
		.amdhsa_exception_fp_ieee_invalid_op 0
		.amdhsa_exception_fp_denorm_src 0
		.amdhsa_exception_fp_ieee_div_zero 0
		.amdhsa_exception_fp_ieee_overflow 0
		.amdhsa_exception_fp_ieee_underflow 0
		.amdhsa_exception_fp_ieee_inexact 0
		.amdhsa_exception_int_div_zero 0
	.end_amdhsa_kernel
	.section	.text._ZN7rocprim17ROCPRIM_400000_NS6detail17trampoline_kernelINS0_14default_configENS1_22reduce_config_selectorIN6thrust23THRUST_200600_302600_NS5tupleIblNS6_9null_typeES8_S8_S8_S8_S8_S8_S8_EEEEZNS1_11reduce_implILb1ES3_NS6_12zip_iteratorINS7_INS6_11hip_rocprim26transform_input_iterator_tIbNSD_35transform_pair_of_input_iterators_tIbNS6_6detail15normal_iteratorINS6_10device_ptrIKiEEEESL_NS6_8equal_toIiEEEENSG_9not_fun_tINSD_8identityEEEEENSD_19counting_iterator_tIlEES8_S8_S8_S8_S8_S8_S8_S8_EEEEPS9_S9_NSD_9__find_if7functorIS9_EEEE10hipError_tPvRmT1_T2_T3_mT4_P12ihipStream_tbEUlT_E0_NS1_11comp_targetILNS1_3genE8ELNS1_11target_archE1030ELNS1_3gpuE2ELNS1_3repE0EEENS1_30default_config_static_selectorELNS0_4arch9wavefront6targetE0EEEvS14_,"axG",@progbits,_ZN7rocprim17ROCPRIM_400000_NS6detail17trampoline_kernelINS0_14default_configENS1_22reduce_config_selectorIN6thrust23THRUST_200600_302600_NS5tupleIblNS6_9null_typeES8_S8_S8_S8_S8_S8_S8_EEEEZNS1_11reduce_implILb1ES3_NS6_12zip_iteratorINS7_INS6_11hip_rocprim26transform_input_iterator_tIbNSD_35transform_pair_of_input_iterators_tIbNS6_6detail15normal_iteratorINS6_10device_ptrIKiEEEESL_NS6_8equal_toIiEEEENSG_9not_fun_tINSD_8identityEEEEENSD_19counting_iterator_tIlEES8_S8_S8_S8_S8_S8_S8_S8_EEEEPS9_S9_NSD_9__find_if7functorIS9_EEEE10hipError_tPvRmT1_T2_T3_mT4_P12ihipStream_tbEUlT_E0_NS1_11comp_targetILNS1_3genE8ELNS1_11target_archE1030ELNS1_3gpuE2ELNS1_3repE0EEENS1_30default_config_static_selectorELNS0_4arch9wavefront6targetE0EEEvS14_,comdat
.Lfunc_end494:
	.size	_ZN7rocprim17ROCPRIM_400000_NS6detail17trampoline_kernelINS0_14default_configENS1_22reduce_config_selectorIN6thrust23THRUST_200600_302600_NS5tupleIblNS6_9null_typeES8_S8_S8_S8_S8_S8_S8_EEEEZNS1_11reduce_implILb1ES3_NS6_12zip_iteratorINS7_INS6_11hip_rocprim26transform_input_iterator_tIbNSD_35transform_pair_of_input_iterators_tIbNS6_6detail15normal_iteratorINS6_10device_ptrIKiEEEESL_NS6_8equal_toIiEEEENSG_9not_fun_tINSD_8identityEEEEENSD_19counting_iterator_tIlEES8_S8_S8_S8_S8_S8_S8_S8_EEEEPS9_S9_NSD_9__find_if7functorIS9_EEEE10hipError_tPvRmT1_T2_T3_mT4_P12ihipStream_tbEUlT_E0_NS1_11comp_targetILNS1_3genE8ELNS1_11target_archE1030ELNS1_3gpuE2ELNS1_3repE0EEENS1_30default_config_static_selectorELNS0_4arch9wavefront6targetE0EEEvS14_, .Lfunc_end494-_ZN7rocprim17ROCPRIM_400000_NS6detail17trampoline_kernelINS0_14default_configENS1_22reduce_config_selectorIN6thrust23THRUST_200600_302600_NS5tupleIblNS6_9null_typeES8_S8_S8_S8_S8_S8_S8_EEEEZNS1_11reduce_implILb1ES3_NS6_12zip_iteratorINS7_INS6_11hip_rocprim26transform_input_iterator_tIbNSD_35transform_pair_of_input_iterators_tIbNS6_6detail15normal_iteratorINS6_10device_ptrIKiEEEESL_NS6_8equal_toIiEEEENSG_9not_fun_tINSD_8identityEEEEENSD_19counting_iterator_tIlEES8_S8_S8_S8_S8_S8_S8_S8_EEEEPS9_S9_NSD_9__find_if7functorIS9_EEEE10hipError_tPvRmT1_T2_T3_mT4_P12ihipStream_tbEUlT_E0_NS1_11comp_targetILNS1_3genE8ELNS1_11target_archE1030ELNS1_3gpuE2ELNS1_3repE0EEENS1_30default_config_static_selectorELNS0_4arch9wavefront6targetE0EEEvS14_
                                        ; -- End function
	.set _ZN7rocprim17ROCPRIM_400000_NS6detail17trampoline_kernelINS0_14default_configENS1_22reduce_config_selectorIN6thrust23THRUST_200600_302600_NS5tupleIblNS6_9null_typeES8_S8_S8_S8_S8_S8_S8_EEEEZNS1_11reduce_implILb1ES3_NS6_12zip_iteratorINS7_INS6_11hip_rocprim26transform_input_iterator_tIbNSD_35transform_pair_of_input_iterators_tIbNS6_6detail15normal_iteratorINS6_10device_ptrIKiEEEESL_NS6_8equal_toIiEEEENSG_9not_fun_tINSD_8identityEEEEENSD_19counting_iterator_tIlEES8_S8_S8_S8_S8_S8_S8_S8_EEEEPS9_S9_NSD_9__find_if7functorIS9_EEEE10hipError_tPvRmT1_T2_T3_mT4_P12ihipStream_tbEUlT_E0_NS1_11comp_targetILNS1_3genE8ELNS1_11target_archE1030ELNS1_3gpuE2ELNS1_3repE0EEENS1_30default_config_static_selectorELNS0_4arch9wavefront6targetE0EEEvS14_.num_vgpr, 13
	.set _ZN7rocprim17ROCPRIM_400000_NS6detail17trampoline_kernelINS0_14default_configENS1_22reduce_config_selectorIN6thrust23THRUST_200600_302600_NS5tupleIblNS6_9null_typeES8_S8_S8_S8_S8_S8_S8_EEEEZNS1_11reduce_implILb1ES3_NS6_12zip_iteratorINS7_INS6_11hip_rocprim26transform_input_iterator_tIbNSD_35transform_pair_of_input_iterators_tIbNS6_6detail15normal_iteratorINS6_10device_ptrIKiEEEESL_NS6_8equal_toIiEEEENSG_9not_fun_tINSD_8identityEEEEENSD_19counting_iterator_tIlEES8_S8_S8_S8_S8_S8_S8_S8_EEEEPS9_S9_NSD_9__find_if7functorIS9_EEEE10hipError_tPvRmT1_T2_T3_mT4_P12ihipStream_tbEUlT_E0_NS1_11comp_targetILNS1_3genE8ELNS1_11target_archE1030ELNS1_3gpuE2ELNS1_3repE0EEENS1_30default_config_static_selectorELNS0_4arch9wavefront6targetE0EEEvS14_.num_agpr, 0
	.set _ZN7rocprim17ROCPRIM_400000_NS6detail17trampoline_kernelINS0_14default_configENS1_22reduce_config_selectorIN6thrust23THRUST_200600_302600_NS5tupleIblNS6_9null_typeES8_S8_S8_S8_S8_S8_S8_EEEEZNS1_11reduce_implILb1ES3_NS6_12zip_iteratorINS7_INS6_11hip_rocprim26transform_input_iterator_tIbNSD_35transform_pair_of_input_iterators_tIbNS6_6detail15normal_iteratorINS6_10device_ptrIKiEEEESL_NS6_8equal_toIiEEEENSG_9not_fun_tINSD_8identityEEEEENSD_19counting_iterator_tIlEES8_S8_S8_S8_S8_S8_S8_S8_EEEEPS9_S9_NSD_9__find_if7functorIS9_EEEE10hipError_tPvRmT1_T2_T3_mT4_P12ihipStream_tbEUlT_E0_NS1_11comp_targetILNS1_3genE8ELNS1_11target_archE1030ELNS1_3gpuE2ELNS1_3repE0EEENS1_30default_config_static_selectorELNS0_4arch9wavefront6targetE0EEEvS14_.numbered_sgpr, 28
	.set _ZN7rocprim17ROCPRIM_400000_NS6detail17trampoline_kernelINS0_14default_configENS1_22reduce_config_selectorIN6thrust23THRUST_200600_302600_NS5tupleIblNS6_9null_typeES8_S8_S8_S8_S8_S8_S8_EEEEZNS1_11reduce_implILb1ES3_NS6_12zip_iteratorINS7_INS6_11hip_rocprim26transform_input_iterator_tIbNSD_35transform_pair_of_input_iterators_tIbNS6_6detail15normal_iteratorINS6_10device_ptrIKiEEEESL_NS6_8equal_toIiEEEENSG_9not_fun_tINSD_8identityEEEEENSD_19counting_iterator_tIlEES8_S8_S8_S8_S8_S8_S8_S8_EEEEPS9_S9_NSD_9__find_if7functorIS9_EEEE10hipError_tPvRmT1_T2_T3_mT4_P12ihipStream_tbEUlT_E0_NS1_11comp_targetILNS1_3genE8ELNS1_11target_archE1030ELNS1_3gpuE2ELNS1_3repE0EEENS1_30default_config_static_selectorELNS0_4arch9wavefront6targetE0EEEvS14_.num_named_barrier, 0
	.set _ZN7rocprim17ROCPRIM_400000_NS6detail17trampoline_kernelINS0_14default_configENS1_22reduce_config_selectorIN6thrust23THRUST_200600_302600_NS5tupleIblNS6_9null_typeES8_S8_S8_S8_S8_S8_S8_EEEEZNS1_11reduce_implILb1ES3_NS6_12zip_iteratorINS7_INS6_11hip_rocprim26transform_input_iterator_tIbNSD_35transform_pair_of_input_iterators_tIbNS6_6detail15normal_iteratorINS6_10device_ptrIKiEEEESL_NS6_8equal_toIiEEEENSG_9not_fun_tINSD_8identityEEEEENSD_19counting_iterator_tIlEES8_S8_S8_S8_S8_S8_S8_S8_EEEEPS9_S9_NSD_9__find_if7functorIS9_EEEE10hipError_tPvRmT1_T2_T3_mT4_P12ihipStream_tbEUlT_E0_NS1_11comp_targetILNS1_3genE8ELNS1_11target_archE1030ELNS1_3gpuE2ELNS1_3repE0EEENS1_30default_config_static_selectorELNS0_4arch9wavefront6targetE0EEEvS14_.private_seg_size, 0
	.set _ZN7rocprim17ROCPRIM_400000_NS6detail17trampoline_kernelINS0_14default_configENS1_22reduce_config_selectorIN6thrust23THRUST_200600_302600_NS5tupleIblNS6_9null_typeES8_S8_S8_S8_S8_S8_S8_EEEEZNS1_11reduce_implILb1ES3_NS6_12zip_iteratorINS7_INS6_11hip_rocprim26transform_input_iterator_tIbNSD_35transform_pair_of_input_iterators_tIbNS6_6detail15normal_iteratorINS6_10device_ptrIKiEEEESL_NS6_8equal_toIiEEEENSG_9not_fun_tINSD_8identityEEEEENSD_19counting_iterator_tIlEES8_S8_S8_S8_S8_S8_S8_S8_EEEEPS9_S9_NSD_9__find_if7functorIS9_EEEE10hipError_tPvRmT1_T2_T3_mT4_P12ihipStream_tbEUlT_E0_NS1_11comp_targetILNS1_3genE8ELNS1_11target_archE1030ELNS1_3gpuE2ELNS1_3repE0EEENS1_30default_config_static_selectorELNS0_4arch9wavefront6targetE0EEEvS14_.uses_vcc, 1
	.set _ZN7rocprim17ROCPRIM_400000_NS6detail17trampoline_kernelINS0_14default_configENS1_22reduce_config_selectorIN6thrust23THRUST_200600_302600_NS5tupleIblNS6_9null_typeES8_S8_S8_S8_S8_S8_S8_EEEEZNS1_11reduce_implILb1ES3_NS6_12zip_iteratorINS7_INS6_11hip_rocprim26transform_input_iterator_tIbNSD_35transform_pair_of_input_iterators_tIbNS6_6detail15normal_iteratorINS6_10device_ptrIKiEEEESL_NS6_8equal_toIiEEEENSG_9not_fun_tINSD_8identityEEEEENSD_19counting_iterator_tIlEES8_S8_S8_S8_S8_S8_S8_S8_EEEEPS9_S9_NSD_9__find_if7functorIS9_EEEE10hipError_tPvRmT1_T2_T3_mT4_P12ihipStream_tbEUlT_E0_NS1_11comp_targetILNS1_3genE8ELNS1_11target_archE1030ELNS1_3gpuE2ELNS1_3repE0EEENS1_30default_config_static_selectorELNS0_4arch9wavefront6targetE0EEEvS14_.uses_flat_scratch, 0
	.set _ZN7rocprim17ROCPRIM_400000_NS6detail17trampoline_kernelINS0_14default_configENS1_22reduce_config_selectorIN6thrust23THRUST_200600_302600_NS5tupleIblNS6_9null_typeES8_S8_S8_S8_S8_S8_S8_EEEEZNS1_11reduce_implILb1ES3_NS6_12zip_iteratorINS7_INS6_11hip_rocprim26transform_input_iterator_tIbNSD_35transform_pair_of_input_iterators_tIbNS6_6detail15normal_iteratorINS6_10device_ptrIKiEEEESL_NS6_8equal_toIiEEEENSG_9not_fun_tINSD_8identityEEEEENSD_19counting_iterator_tIlEES8_S8_S8_S8_S8_S8_S8_S8_EEEEPS9_S9_NSD_9__find_if7functorIS9_EEEE10hipError_tPvRmT1_T2_T3_mT4_P12ihipStream_tbEUlT_E0_NS1_11comp_targetILNS1_3genE8ELNS1_11target_archE1030ELNS1_3gpuE2ELNS1_3repE0EEENS1_30default_config_static_selectorELNS0_4arch9wavefront6targetE0EEEvS14_.has_dyn_sized_stack, 0
	.set _ZN7rocprim17ROCPRIM_400000_NS6detail17trampoline_kernelINS0_14default_configENS1_22reduce_config_selectorIN6thrust23THRUST_200600_302600_NS5tupleIblNS6_9null_typeES8_S8_S8_S8_S8_S8_S8_EEEEZNS1_11reduce_implILb1ES3_NS6_12zip_iteratorINS7_INS6_11hip_rocprim26transform_input_iterator_tIbNSD_35transform_pair_of_input_iterators_tIbNS6_6detail15normal_iteratorINS6_10device_ptrIKiEEEESL_NS6_8equal_toIiEEEENSG_9not_fun_tINSD_8identityEEEEENSD_19counting_iterator_tIlEES8_S8_S8_S8_S8_S8_S8_S8_EEEEPS9_S9_NSD_9__find_if7functorIS9_EEEE10hipError_tPvRmT1_T2_T3_mT4_P12ihipStream_tbEUlT_E0_NS1_11comp_targetILNS1_3genE8ELNS1_11target_archE1030ELNS1_3gpuE2ELNS1_3repE0EEENS1_30default_config_static_selectorELNS0_4arch9wavefront6targetE0EEEvS14_.has_recursion, 0
	.set _ZN7rocprim17ROCPRIM_400000_NS6detail17trampoline_kernelINS0_14default_configENS1_22reduce_config_selectorIN6thrust23THRUST_200600_302600_NS5tupleIblNS6_9null_typeES8_S8_S8_S8_S8_S8_S8_EEEEZNS1_11reduce_implILb1ES3_NS6_12zip_iteratorINS7_INS6_11hip_rocprim26transform_input_iterator_tIbNSD_35transform_pair_of_input_iterators_tIbNS6_6detail15normal_iteratorINS6_10device_ptrIKiEEEESL_NS6_8equal_toIiEEEENSG_9not_fun_tINSD_8identityEEEEENSD_19counting_iterator_tIlEES8_S8_S8_S8_S8_S8_S8_S8_EEEEPS9_S9_NSD_9__find_if7functorIS9_EEEE10hipError_tPvRmT1_T2_T3_mT4_P12ihipStream_tbEUlT_E0_NS1_11comp_targetILNS1_3genE8ELNS1_11target_archE1030ELNS1_3gpuE2ELNS1_3repE0EEENS1_30default_config_static_selectorELNS0_4arch9wavefront6targetE0EEEvS14_.has_indirect_call, 0
	.section	.AMDGPU.csdata,"",@progbits
; Kernel info:
; codeLenInByte = 3168
; TotalNumSgprs: 30
; NumVgprs: 13
; ScratchSize: 0
; MemoryBound: 0
; FloatMode: 240
; IeeeMode: 1
; LDSByteSize: 256 bytes/workgroup (compile time only)
; SGPRBlocks: 0
; VGPRBlocks: 1
; NumSGPRsForWavesPerEU: 30
; NumVGPRsForWavesPerEU: 13
; Occupancy: 16
; WaveLimiterHint : 0
; COMPUTE_PGM_RSRC2:SCRATCH_EN: 0
; COMPUTE_PGM_RSRC2:USER_SGPR: 6
; COMPUTE_PGM_RSRC2:TRAP_HANDLER: 0
; COMPUTE_PGM_RSRC2:TGID_X_EN: 1
; COMPUTE_PGM_RSRC2:TGID_Y_EN: 0
; COMPUTE_PGM_RSRC2:TGID_Z_EN: 0
; COMPUTE_PGM_RSRC2:TIDIG_COMP_CNT: 0
	.section	.text._ZN7rocprim17ROCPRIM_400000_NS6detail17trampoline_kernelINS0_14default_configENS1_22reduce_config_selectorIN6thrust23THRUST_200600_302600_NS5tupleIblNS6_9null_typeES8_S8_S8_S8_S8_S8_S8_EEEEZNS1_11reduce_implILb1ES3_NS6_12zip_iteratorINS7_INS6_11hip_rocprim26transform_input_iterator_tIbNSD_35transform_pair_of_input_iterators_tIbNS6_6detail15normal_iteratorINS6_10device_ptrIKiEEEESL_NS6_8equal_toIiEEEENSG_9not_fun_tINSD_8identityEEEEENSD_19counting_iterator_tIlEES8_S8_S8_S8_S8_S8_S8_S8_EEEEPS9_S9_NSD_9__find_if7functorIS9_EEEE10hipError_tPvRmT1_T2_T3_mT4_P12ihipStream_tbEUlT_E1_NS1_11comp_targetILNS1_3genE0ELNS1_11target_archE4294967295ELNS1_3gpuE0ELNS1_3repE0EEENS1_30default_config_static_selectorELNS0_4arch9wavefront6targetE0EEEvS14_,"axG",@progbits,_ZN7rocprim17ROCPRIM_400000_NS6detail17trampoline_kernelINS0_14default_configENS1_22reduce_config_selectorIN6thrust23THRUST_200600_302600_NS5tupleIblNS6_9null_typeES8_S8_S8_S8_S8_S8_S8_EEEEZNS1_11reduce_implILb1ES3_NS6_12zip_iteratorINS7_INS6_11hip_rocprim26transform_input_iterator_tIbNSD_35transform_pair_of_input_iterators_tIbNS6_6detail15normal_iteratorINS6_10device_ptrIKiEEEESL_NS6_8equal_toIiEEEENSG_9not_fun_tINSD_8identityEEEEENSD_19counting_iterator_tIlEES8_S8_S8_S8_S8_S8_S8_S8_EEEEPS9_S9_NSD_9__find_if7functorIS9_EEEE10hipError_tPvRmT1_T2_T3_mT4_P12ihipStream_tbEUlT_E1_NS1_11comp_targetILNS1_3genE0ELNS1_11target_archE4294967295ELNS1_3gpuE0ELNS1_3repE0EEENS1_30default_config_static_selectorELNS0_4arch9wavefront6targetE0EEEvS14_,comdat
	.protected	_ZN7rocprim17ROCPRIM_400000_NS6detail17trampoline_kernelINS0_14default_configENS1_22reduce_config_selectorIN6thrust23THRUST_200600_302600_NS5tupleIblNS6_9null_typeES8_S8_S8_S8_S8_S8_S8_EEEEZNS1_11reduce_implILb1ES3_NS6_12zip_iteratorINS7_INS6_11hip_rocprim26transform_input_iterator_tIbNSD_35transform_pair_of_input_iterators_tIbNS6_6detail15normal_iteratorINS6_10device_ptrIKiEEEESL_NS6_8equal_toIiEEEENSG_9not_fun_tINSD_8identityEEEEENSD_19counting_iterator_tIlEES8_S8_S8_S8_S8_S8_S8_S8_EEEEPS9_S9_NSD_9__find_if7functorIS9_EEEE10hipError_tPvRmT1_T2_T3_mT4_P12ihipStream_tbEUlT_E1_NS1_11comp_targetILNS1_3genE0ELNS1_11target_archE4294967295ELNS1_3gpuE0ELNS1_3repE0EEENS1_30default_config_static_selectorELNS0_4arch9wavefront6targetE0EEEvS14_ ; -- Begin function _ZN7rocprim17ROCPRIM_400000_NS6detail17trampoline_kernelINS0_14default_configENS1_22reduce_config_selectorIN6thrust23THRUST_200600_302600_NS5tupleIblNS6_9null_typeES8_S8_S8_S8_S8_S8_S8_EEEEZNS1_11reduce_implILb1ES3_NS6_12zip_iteratorINS7_INS6_11hip_rocprim26transform_input_iterator_tIbNSD_35transform_pair_of_input_iterators_tIbNS6_6detail15normal_iteratorINS6_10device_ptrIKiEEEESL_NS6_8equal_toIiEEEENSG_9not_fun_tINSD_8identityEEEEENSD_19counting_iterator_tIlEES8_S8_S8_S8_S8_S8_S8_S8_EEEEPS9_S9_NSD_9__find_if7functorIS9_EEEE10hipError_tPvRmT1_T2_T3_mT4_P12ihipStream_tbEUlT_E1_NS1_11comp_targetILNS1_3genE0ELNS1_11target_archE4294967295ELNS1_3gpuE0ELNS1_3repE0EEENS1_30default_config_static_selectorELNS0_4arch9wavefront6targetE0EEEvS14_
	.globl	_ZN7rocprim17ROCPRIM_400000_NS6detail17trampoline_kernelINS0_14default_configENS1_22reduce_config_selectorIN6thrust23THRUST_200600_302600_NS5tupleIblNS6_9null_typeES8_S8_S8_S8_S8_S8_S8_EEEEZNS1_11reduce_implILb1ES3_NS6_12zip_iteratorINS7_INS6_11hip_rocprim26transform_input_iterator_tIbNSD_35transform_pair_of_input_iterators_tIbNS6_6detail15normal_iteratorINS6_10device_ptrIKiEEEESL_NS6_8equal_toIiEEEENSG_9not_fun_tINSD_8identityEEEEENSD_19counting_iterator_tIlEES8_S8_S8_S8_S8_S8_S8_S8_EEEEPS9_S9_NSD_9__find_if7functorIS9_EEEE10hipError_tPvRmT1_T2_T3_mT4_P12ihipStream_tbEUlT_E1_NS1_11comp_targetILNS1_3genE0ELNS1_11target_archE4294967295ELNS1_3gpuE0ELNS1_3repE0EEENS1_30default_config_static_selectorELNS0_4arch9wavefront6targetE0EEEvS14_
	.p2align	8
	.type	_ZN7rocprim17ROCPRIM_400000_NS6detail17trampoline_kernelINS0_14default_configENS1_22reduce_config_selectorIN6thrust23THRUST_200600_302600_NS5tupleIblNS6_9null_typeES8_S8_S8_S8_S8_S8_S8_EEEEZNS1_11reduce_implILb1ES3_NS6_12zip_iteratorINS7_INS6_11hip_rocprim26transform_input_iterator_tIbNSD_35transform_pair_of_input_iterators_tIbNS6_6detail15normal_iteratorINS6_10device_ptrIKiEEEESL_NS6_8equal_toIiEEEENSG_9not_fun_tINSD_8identityEEEEENSD_19counting_iterator_tIlEES8_S8_S8_S8_S8_S8_S8_S8_EEEEPS9_S9_NSD_9__find_if7functorIS9_EEEE10hipError_tPvRmT1_T2_T3_mT4_P12ihipStream_tbEUlT_E1_NS1_11comp_targetILNS1_3genE0ELNS1_11target_archE4294967295ELNS1_3gpuE0ELNS1_3repE0EEENS1_30default_config_static_selectorELNS0_4arch9wavefront6targetE0EEEvS14_,@function
_ZN7rocprim17ROCPRIM_400000_NS6detail17trampoline_kernelINS0_14default_configENS1_22reduce_config_selectorIN6thrust23THRUST_200600_302600_NS5tupleIblNS6_9null_typeES8_S8_S8_S8_S8_S8_S8_EEEEZNS1_11reduce_implILb1ES3_NS6_12zip_iteratorINS7_INS6_11hip_rocprim26transform_input_iterator_tIbNSD_35transform_pair_of_input_iterators_tIbNS6_6detail15normal_iteratorINS6_10device_ptrIKiEEEESL_NS6_8equal_toIiEEEENSG_9not_fun_tINSD_8identityEEEEENSD_19counting_iterator_tIlEES8_S8_S8_S8_S8_S8_S8_S8_EEEEPS9_S9_NSD_9__find_if7functorIS9_EEEE10hipError_tPvRmT1_T2_T3_mT4_P12ihipStream_tbEUlT_E1_NS1_11comp_targetILNS1_3genE0ELNS1_11target_archE4294967295ELNS1_3gpuE0ELNS1_3repE0EEENS1_30default_config_static_selectorELNS0_4arch9wavefront6targetE0EEEvS14_: ; @_ZN7rocprim17ROCPRIM_400000_NS6detail17trampoline_kernelINS0_14default_configENS1_22reduce_config_selectorIN6thrust23THRUST_200600_302600_NS5tupleIblNS6_9null_typeES8_S8_S8_S8_S8_S8_S8_EEEEZNS1_11reduce_implILb1ES3_NS6_12zip_iteratorINS7_INS6_11hip_rocprim26transform_input_iterator_tIbNSD_35transform_pair_of_input_iterators_tIbNS6_6detail15normal_iteratorINS6_10device_ptrIKiEEEESL_NS6_8equal_toIiEEEENSG_9not_fun_tINSD_8identityEEEEENSD_19counting_iterator_tIlEES8_S8_S8_S8_S8_S8_S8_S8_EEEEPS9_S9_NSD_9__find_if7functorIS9_EEEE10hipError_tPvRmT1_T2_T3_mT4_P12ihipStream_tbEUlT_E1_NS1_11comp_targetILNS1_3genE0ELNS1_11target_archE4294967295ELNS1_3gpuE0ELNS1_3repE0EEENS1_30default_config_static_selectorELNS0_4arch9wavefront6targetE0EEEvS14_
; %bb.0:
	.section	.rodata,"a",@progbits
	.p2align	6, 0x0
	.amdhsa_kernel _ZN7rocprim17ROCPRIM_400000_NS6detail17trampoline_kernelINS0_14default_configENS1_22reduce_config_selectorIN6thrust23THRUST_200600_302600_NS5tupleIblNS6_9null_typeES8_S8_S8_S8_S8_S8_S8_EEEEZNS1_11reduce_implILb1ES3_NS6_12zip_iteratorINS7_INS6_11hip_rocprim26transform_input_iterator_tIbNSD_35transform_pair_of_input_iterators_tIbNS6_6detail15normal_iteratorINS6_10device_ptrIKiEEEESL_NS6_8equal_toIiEEEENSG_9not_fun_tINSD_8identityEEEEENSD_19counting_iterator_tIlEES8_S8_S8_S8_S8_S8_S8_S8_EEEEPS9_S9_NSD_9__find_if7functorIS9_EEEE10hipError_tPvRmT1_T2_T3_mT4_P12ihipStream_tbEUlT_E1_NS1_11comp_targetILNS1_3genE0ELNS1_11target_archE4294967295ELNS1_3gpuE0ELNS1_3repE0EEENS1_30default_config_static_selectorELNS0_4arch9wavefront6targetE0EEEvS14_
		.amdhsa_group_segment_fixed_size 0
		.amdhsa_private_segment_fixed_size 0
		.amdhsa_kernarg_size 88
		.amdhsa_user_sgpr_count 6
		.amdhsa_user_sgpr_private_segment_buffer 1
		.amdhsa_user_sgpr_dispatch_ptr 0
		.amdhsa_user_sgpr_queue_ptr 0
		.amdhsa_user_sgpr_kernarg_segment_ptr 1
		.amdhsa_user_sgpr_dispatch_id 0
		.amdhsa_user_sgpr_flat_scratch_init 0
		.amdhsa_user_sgpr_private_segment_size 0
		.amdhsa_wavefront_size32 1
		.amdhsa_uses_dynamic_stack 0
		.amdhsa_system_sgpr_private_segment_wavefront_offset 0
		.amdhsa_system_sgpr_workgroup_id_x 1
		.amdhsa_system_sgpr_workgroup_id_y 0
		.amdhsa_system_sgpr_workgroup_id_z 0
		.amdhsa_system_sgpr_workgroup_info 0
		.amdhsa_system_vgpr_workitem_id 0
		.amdhsa_next_free_vgpr 1
		.amdhsa_next_free_sgpr 1
		.amdhsa_reserve_vcc 0
		.amdhsa_reserve_flat_scratch 0
		.amdhsa_float_round_mode_32 0
		.amdhsa_float_round_mode_16_64 0
		.amdhsa_float_denorm_mode_32 3
		.amdhsa_float_denorm_mode_16_64 3
		.amdhsa_dx10_clamp 1
		.amdhsa_ieee_mode 1
		.amdhsa_fp16_overflow 0
		.amdhsa_workgroup_processor_mode 1
		.amdhsa_memory_ordered 1
		.amdhsa_forward_progress 1
		.amdhsa_shared_vgpr_count 0
		.amdhsa_exception_fp_ieee_invalid_op 0
		.amdhsa_exception_fp_denorm_src 0
		.amdhsa_exception_fp_ieee_div_zero 0
		.amdhsa_exception_fp_ieee_overflow 0
		.amdhsa_exception_fp_ieee_underflow 0
		.amdhsa_exception_fp_ieee_inexact 0
		.amdhsa_exception_int_div_zero 0
	.end_amdhsa_kernel
	.section	.text._ZN7rocprim17ROCPRIM_400000_NS6detail17trampoline_kernelINS0_14default_configENS1_22reduce_config_selectorIN6thrust23THRUST_200600_302600_NS5tupleIblNS6_9null_typeES8_S8_S8_S8_S8_S8_S8_EEEEZNS1_11reduce_implILb1ES3_NS6_12zip_iteratorINS7_INS6_11hip_rocprim26transform_input_iterator_tIbNSD_35transform_pair_of_input_iterators_tIbNS6_6detail15normal_iteratorINS6_10device_ptrIKiEEEESL_NS6_8equal_toIiEEEENSG_9not_fun_tINSD_8identityEEEEENSD_19counting_iterator_tIlEES8_S8_S8_S8_S8_S8_S8_S8_EEEEPS9_S9_NSD_9__find_if7functorIS9_EEEE10hipError_tPvRmT1_T2_T3_mT4_P12ihipStream_tbEUlT_E1_NS1_11comp_targetILNS1_3genE0ELNS1_11target_archE4294967295ELNS1_3gpuE0ELNS1_3repE0EEENS1_30default_config_static_selectorELNS0_4arch9wavefront6targetE0EEEvS14_,"axG",@progbits,_ZN7rocprim17ROCPRIM_400000_NS6detail17trampoline_kernelINS0_14default_configENS1_22reduce_config_selectorIN6thrust23THRUST_200600_302600_NS5tupleIblNS6_9null_typeES8_S8_S8_S8_S8_S8_S8_EEEEZNS1_11reduce_implILb1ES3_NS6_12zip_iteratorINS7_INS6_11hip_rocprim26transform_input_iterator_tIbNSD_35transform_pair_of_input_iterators_tIbNS6_6detail15normal_iteratorINS6_10device_ptrIKiEEEESL_NS6_8equal_toIiEEEENSG_9not_fun_tINSD_8identityEEEEENSD_19counting_iterator_tIlEES8_S8_S8_S8_S8_S8_S8_S8_EEEEPS9_S9_NSD_9__find_if7functorIS9_EEEE10hipError_tPvRmT1_T2_T3_mT4_P12ihipStream_tbEUlT_E1_NS1_11comp_targetILNS1_3genE0ELNS1_11target_archE4294967295ELNS1_3gpuE0ELNS1_3repE0EEENS1_30default_config_static_selectorELNS0_4arch9wavefront6targetE0EEEvS14_,comdat
.Lfunc_end495:
	.size	_ZN7rocprim17ROCPRIM_400000_NS6detail17trampoline_kernelINS0_14default_configENS1_22reduce_config_selectorIN6thrust23THRUST_200600_302600_NS5tupleIblNS6_9null_typeES8_S8_S8_S8_S8_S8_S8_EEEEZNS1_11reduce_implILb1ES3_NS6_12zip_iteratorINS7_INS6_11hip_rocprim26transform_input_iterator_tIbNSD_35transform_pair_of_input_iterators_tIbNS6_6detail15normal_iteratorINS6_10device_ptrIKiEEEESL_NS6_8equal_toIiEEEENSG_9not_fun_tINSD_8identityEEEEENSD_19counting_iterator_tIlEES8_S8_S8_S8_S8_S8_S8_S8_EEEEPS9_S9_NSD_9__find_if7functorIS9_EEEE10hipError_tPvRmT1_T2_T3_mT4_P12ihipStream_tbEUlT_E1_NS1_11comp_targetILNS1_3genE0ELNS1_11target_archE4294967295ELNS1_3gpuE0ELNS1_3repE0EEENS1_30default_config_static_selectorELNS0_4arch9wavefront6targetE0EEEvS14_, .Lfunc_end495-_ZN7rocprim17ROCPRIM_400000_NS6detail17trampoline_kernelINS0_14default_configENS1_22reduce_config_selectorIN6thrust23THRUST_200600_302600_NS5tupleIblNS6_9null_typeES8_S8_S8_S8_S8_S8_S8_EEEEZNS1_11reduce_implILb1ES3_NS6_12zip_iteratorINS7_INS6_11hip_rocprim26transform_input_iterator_tIbNSD_35transform_pair_of_input_iterators_tIbNS6_6detail15normal_iteratorINS6_10device_ptrIKiEEEESL_NS6_8equal_toIiEEEENSG_9not_fun_tINSD_8identityEEEEENSD_19counting_iterator_tIlEES8_S8_S8_S8_S8_S8_S8_S8_EEEEPS9_S9_NSD_9__find_if7functorIS9_EEEE10hipError_tPvRmT1_T2_T3_mT4_P12ihipStream_tbEUlT_E1_NS1_11comp_targetILNS1_3genE0ELNS1_11target_archE4294967295ELNS1_3gpuE0ELNS1_3repE0EEENS1_30default_config_static_selectorELNS0_4arch9wavefront6targetE0EEEvS14_
                                        ; -- End function
	.set _ZN7rocprim17ROCPRIM_400000_NS6detail17trampoline_kernelINS0_14default_configENS1_22reduce_config_selectorIN6thrust23THRUST_200600_302600_NS5tupleIblNS6_9null_typeES8_S8_S8_S8_S8_S8_S8_EEEEZNS1_11reduce_implILb1ES3_NS6_12zip_iteratorINS7_INS6_11hip_rocprim26transform_input_iterator_tIbNSD_35transform_pair_of_input_iterators_tIbNS6_6detail15normal_iteratorINS6_10device_ptrIKiEEEESL_NS6_8equal_toIiEEEENSG_9not_fun_tINSD_8identityEEEEENSD_19counting_iterator_tIlEES8_S8_S8_S8_S8_S8_S8_S8_EEEEPS9_S9_NSD_9__find_if7functorIS9_EEEE10hipError_tPvRmT1_T2_T3_mT4_P12ihipStream_tbEUlT_E1_NS1_11comp_targetILNS1_3genE0ELNS1_11target_archE4294967295ELNS1_3gpuE0ELNS1_3repE0EEENS1_30default_config_static_selectorELNS0_4arch9wavefront6targetE0EEEvS14_.num_vgpr, 0
	.set _ZN7rocprim17ROCPRIM_400000_NS6detail17trampoline_kernelINS0_14default_configENS1_22reduce_config_selectorIN6thrust23THRUST_200600_302600_NS5tupleIblNS6_9null_typeES8_S8_S8_S8_S8_S8_S8_EEEEZNS1_11reduce_implILb1ES3_NS6_12zip_iteratorINS7_INS6_11hip_rocprim26transform_input_iterator_tIbNSD_35transform_pair_of_input_iterators_tIbNS6_6detail15normal_iteratorINS6_10device_ptrIKiEEEESL_NS6_8equal_toIiEEEENSG_9not_fun_tINSD_8identityEEEEENSD_19counting_iterator_tIlEES8_S8_S8_S8_S8_S8_S8_S8_EEEEPS9_S9_NSD_9__find_if7functorIS9_EEEE10hipError_tPvRmT1_T2_T3_mT4_P12ihipStream_tbEUlT_E1_NS1_11comp_targetILNS1_3genE0ELNS1_11target_archE4294967295ELNS1_3gpuE0ELNS1_3repE0EEENS1_30default_config_static_selectorELNS0_4arch9wavefront6targetE0EEEvS14_.num_agpr, 0
	.set _ZN7rocprim17ROCPRIM_400000_NS6detail17trampoline_kernelINS0_14default_configENS1_22reduce_config_selectorIN6thrust23THRUST_200600_302600_NS5tupleIblNS6_9null_typeES8_S8_S8_S8_S8_S8_S8_EEEEZNS1_11reduce_implILb1ES3_NS6_12zip_iteratorINS7_INS6_11hip_rocprim26transform_input_iterator_tIbNSD_35transform_pair_of_input_iterators_tIbNS6_6detail15normal_iteratorINS6_10device_ptrIKiEEEESL_NS6_8equal_toIiEEEENSG_9not_fun_tINSD_8identityEEEEENSD_19counting_iterator_tIlEES8_S8_S8_S8_S8_S8_S8_S8_EEEEPS9_S9_NSD_9__find_if7functorIS9_EEEE10hipError_tPvRmT1_T2_T3_mT4_P12ihipStream_tbEUlT_E1_NS1_11comp_targetILNS1_3genE0ELNS1_11target_archE4294967295ELNS1_3gpuE0ELNS1_3repE0EEENS1_30default_config_static_selectorELNS0_4arch9wavefront6targetE0EEEvS14_.numbered_sgpr, 0
	.set _ZN7rocprim17ROCPRIM_400000_NS6detail17trampoline_kernelINS0_14default_configENS1_22reduce_config_selectorIN6thrust23THRUST_200600_302600_NS5tupleIblNS6_9null_typeES8_S8_S8_S8_S8_S8_S8_EEEEZNS1_11reduce_implILb1ES3_NS6_12zip_iteratorINS7_INS6_11hip_rocprim26transform_input_iterator_tIbNSD_35transform_pair_of_input_iterators_tIbNS6_6detail15normal_iteratorINS6_10device_ptrIKiEEEESL_NS6_8equal_toIiEEEENSG_9not_fun_tINSD_8identityEEEEENSD_19counting_iterator_tIlEES8_S8_S8_S8_S8_S8_S8_S8_EEEEPS9_S9_NSD_9__find_if7functorIS9_EEEE10hipError_tPvRmT1_T2_T3_mT4_P12ihipStream_tbEUlT_E1_NS1_11comp_targetILNS1_3genE0ELNS1_11target_archE4294967295ELNS1_3gpuE0ELNS1_3repE0EEENS1_30default_config_static_selectorELNS0_4arch9wavefront6targetE0EEEvS14_.num_named_barrier, 0
	.set _ZN7rocprim17ROCPRIM_400000_NS6detail17trampoline_kernelINS0_14default_configENS1_22reduce_config_selectorIN6thrust23THRUST_200600_302600_NS5tupleIblNS6_9null_typeES8_S8_S8_S8_S8_S8_S8_EEEEZNS1_11reduce_implILb1ES3_NS6_12zip_iteratorINS7_INS6_11hip_rocprim26transform_input_iterator_tIbNSD_35transform_pair_of_input_iterators_tIbNS6_6detail15normal_iteratorINS6_10device_ptrIKiEEEESL_NS6_8equal_toIiEEEENSG_9not_fun_tINSD_8identityEEEEENSD_19counting_iterator_tIlEES8_S8_S8_S8_S8_S8_S8_S8_EEEEPS9_S9_NSD_9__find_if7functorIS9_EEEE10hipError_tPvRmT1_T2_T3_mT4_P12ihipStream_tbEUlT_E1_NS1_11comp_targetILNS1_3genE0ELNS1_11target_archE4294967295ELNS1_3gpuE0ELNS1_3repE0EEENS1_30default_config_static_selectorELNS0_4arch9wavefront6targetE0EEEvS14_.private_seg_size, 0
	.set _ZN7rocprim17ROCPRIM_400000_NS6detail17trampoline_kernelINS0_14default_configENS1_22reduce_config_selectorIN6thrust23THRUST_200600_302600_NS5tupleIblNS6_9null_typeES8_S8_S8_S8_S8_S8_S8_EEEEZNS1_11reduce_implILb1ES3_NS6_12zip_iteratorINS7_INS6_11hip_rocprim26transform_input_iterator_tIbNSD_35transform_pair_of_input_iterators_tIbNS6_6detail15normal_iteratorINS6_10device_ptrIKiEEEESL_NS6_8equal_toIiEEEENSG_9not_fun_tINSD_8identityEEEEENSD_19counting_iterator_tIlEES8_S8_S8_S8_S8_S8_S8_S8_EEEEPS9_S9_NSD_9__find_if7functorIS9_EEEE10hipError_tPvRmT1_T2_T3_mT4_P12ihipStream_tbEUlT_E1_NS1_11comp_targetILNS1_3genE0ELNS1_11target_archE4294967295ELNS1_3gpuE0ELNS1_3repE0EEENS1_30default_config_static_selectorELNS0_4arch9wavefront6targetE0EEEvS14_.uses_vcc, 0
	.set _ZN7rocprim17ROCPRIM_400000_NS6detail17trampoline_kernelINS0_14default_configENS1_22reduce_config_selectorIN6thrust23THRUST_200600_302600_NS5tupleIblNS6_9null_typeES8_S8_S8_S8_S8_S8_S8_EEEEZNS1_11reduce_implILb1ES3_NS6_12zip_iteratorINS7_INS6_11hip_rocprim26transform_input_iterator_tIbNSD_35transform_pair_of_input_iterators_tIbNS6_6detail15normal_iteratorINS6_10device_ptrIKiEEEESL_NS6_8equal_toIiEEEENSG_9not_fun_tINSD_8identityEEEEENSD_19counting_iterator_tIlEES8_S8_S8_S8_S8_S8_S8_S8_EEEEPS9_S9_NSD_9__find_if7functorIS9_EEEE10hipError_tPvRmT1_T2_T3_mT4_P12ihipStream_tbEUlT_E1_NS1_11comp_targetILNS1_3genE0ELNS1_11target_archE4294967295ELNS1_3gpuE0ELNS1_3repE0EEENS1_30default_config_static_selectorELNS0_4arch9wavefront6targetE0EEEvS14_.uses_flat_scratch, 0
	.set _ZN7rocprim17ROCPRIM_400000_NS6detail17trampoline_kernelINS0_14default_configENS1_22reduce_config_selectorIN6thrust23THRUST_200600_302600_NS5tupleIblNS6_9null_typeES8_S8_S8_S8_S8_S8_S8_EEEEZNS1_11reduce_implILb1ES3_NS6_12zip_iteratorINS7_INS6_11hip_rocprim26transform_input_iterator_tIbNSD_35transform_pair_of_input_iterators_tIbNS6_6detail15normal_iteratorINS6_10device_ptrIKiEEEESL_NS6_8equal_toIiEEEENSG_9not_fun_tINSD_8identityEEEEENSD_19counting_iterator_tIlEES8_S8_S8_S8_S8_S8_S8_S8_EEEEPS9_S9_NSD_9__find_if7functorIS9_EEEE10hipError_tPvRmT1_T2_T3_mT4_P12ihipStream_tbEUlT_E1_NS1_11comp_targetILNS1_3genE0ELNS1_11target_archE4294967295ELNS1_3gpuE0ELNS1_3repE0EEENS1_30default_config_static_selectorELNS0_4arch9wavefront6targetE0EEEvS14_.has_dyn_sized_stack, 0
	.set _ZN7rocprim17ROCPRIM_400000_NS6detail17trampoline_kernelINS0_14default_configENS1_22reduce_config_selectorIN6thrust23THRUST_200600_302600_NS5tupleIblNS6_9null_typeES8_S8_S8_S8_S8_S8_S8_EEEEZNS1_11reduce_implILb1ES3_NS6_12zip_iteratorINS7_INS6_11hip_rocprim26transform_input_iterator_tIbNSD_35transform_pair_of_input_iterators_tIbNS6_6detail15normal_iteratorINS6_10device_ptrIKiEEEESL_NS6_8equal_toIiEEEENSG_9not_fun_tINSD_8identityEEEEENSD_19counting_iterator_tIlEES8_S8_S8_S8_S8_S8_S8_S8_EEEEPS9_S9_NSD_9__find_if7functorIS9_EEEE10hipError_tPvRmT1_T2_T3_mT4_P12ihipStream_tbEUlT_E1_NS1_11comp_targetILNS1_3genE0ELNS1_11target_archE4294967295ELNS1_3gpuE0ELNS1_3repE0EEENS1_30default_config_static_selectorELNS0_4arch9wavefront6targetE0EEEvS14_.has_recursion, 0
	.set _ZN7rocprim17ROCPRIM_400000_NS6detail17trampoline_kernelINS0_14default_configENS1_22reduce_config_selectorIN6thrust23THRUST_200600_302600_NS5tupleIblNS6_9null_typeES8_S8_S8_S8_S8_S8_S8_EEEEZNS1_11reduce_implILb1ES3_NS6_12zip_iteratorINS7_INS6_11hip_rocprim26transform_input_iterator_tIbNSD_35transform_pair_of_input_iterators_tIbNS6_6detail15normal_iteratorINS6_10device_ptrIKiEEEESL_NS6_8equal_toIiEEEENSG_9not_fun_tINSD_8identityEEEEENSD_19counting_iterator_tIlEES8_S8_S8_S8_S8_S8_S8_S8_EEEEPS9_S9_NSD_9__find_if7functorIS9_EEEE10hipError_tPvRmT1_T2_T3_mT4_P12ihipStream_tbEUlT_E1_NS1_11comp_targetILNS1_3genE0ELNS1_11target_archE4294967295ELNS1_3gpuE0ELNS1_3repE0EEENS1_30default_config_static_selectorELNS0_4arch9wavefront6targetE0EEEvS14_.has_indirect_call, 0
	.section	.AMDGPU.csdata,"",@progbits
; Kernel info:
; codeLenInByte = 0
; TotalNumSgprs: 0
; NumVgprs: 0
; ScratchSize: 0
; MemoryBound: 0
; FloatMode: 240
; IeeeMode: 1
; LDSByteSize: 0 bytes/workgroup (compile time only)
; SGPRBlocks: 0
; VGPRBlocks: 0
; NumSGPRsForWavesPerEU: 1
; NumVGPRsForWavesPerEU: 1
; Occupancy: 16
; WaveLimiterHint : 0
; COMPUTE_PGM_RSRC2:SCRATCH_EN: 0
; COMPUTE_PGM_RSRC2:USER_SGPR: 6
; COMPUTE_PGM_RSRC2:TRAP_HANDLER: 0
; COMPUTE_PGM_RSRC2:TGID_X_EN: 1
; COMPUTE_PGM_RSRC2:TGID_Y_EN: 0
; COMPUTE_PGM_RSRC2:TGID_Z_EN: 0
; COMPUTE_PGM_RSRC2:TIDIG_COMP_CNT: 0
	.section	.text._ZN7rocprim17ROCPRIM_400000_NS6detail17trampoline_kernelINS0_14default_configENS1_22reduce_config_selectorIN6thrust23THRUST_200600_302600_NS5tupleIblNS6_9null_typeES8_S8_S8_S8_S8_S8_S8_EEEEZNS1_11reduce_implILb1ES3_NS6_12zip_iteratorINS7_INS6_11hip_rocprim26transform_input_iterator_tIbNSD_35transform_pair_of_input_iterators_tIbNS6_6detail15normal_iteratorINS6_10device_ptrIKiEEEESL_NS6_8equal_toIiEEEENSG_9not_fun_tINSD_8identityEEEEENSD_19counting_iterator_tIlEES8_S8_S8_S8_S8_S8_S8_S8_EEEEPS9_S9_NSD_9__find_if7functorIS9_EEEE10hipError_tPvRmT1_T2_T3_mT4_P12ihipStream_tbEUlT_E1_NS1_11comp_targetILNS1_3genE5ELNS1_11target_archE942ELNS1_3gpuE9ELNS1_3repE0EEENS1_30default_config_static_selectorELNS0_4arch9wavefront6targetE0EEEvS14_,"axG",@progbits,_ZN7rocprim17ROCPRIM_400000_NS6detail17trampoline_kernelINS0_14default_configENS1_22reduce_config_selectorIN6thrust23THRUST_200600_302600_NS5tupleIblNS6_9null_typeES8_S8_S8_S8_S8_S8_S8_EEEEZNS1_11reduce_implILb1ES3_NS6_12zip_iteratorINS7_INS6_11hip_rocprim26transform_input_iterator_tIbNSD_35transform_pair_of_input_iterators_tIbNS6_6detail15normal_iteratorINS6_10device_ptrIKiEEEESL_NS6_8equal_toIiEEEENSG_9not_fun_tINSD_8identityEEEEENSD_19counting_iterator_tIlEES8_S8_S8_S8_S8_S8_S8_S8_EEEEPS9_S9_NSD_9__find_if7functorIS9_EEEE10hipError_tPvRmT1_T2_T3_mT4_P12ihipStream_tbEUlT_E1_NS1_11comp_targetILNS1_3genE5ELNS1_11target_archE942ELNS1_3gpuE9ELNS1_3repE0EEENS1_30default_config_static_selectorELNS0_4arch9wavefront6targetE0EEEvS14_,comdat
	.protected	_ZN7rocprim17ROCPRIM_400000_NS6detail17trampoline_kernelINS0_14default_configENS1_22reduce_config_selectorIN6thrust23THRUST_200600_302600_NS5tupleIblNS6_9null_typeES8_S8_S8_S8_S8_S8_S8_EEEEZNS1_11reduce_implILb1ES3_NS6_12zip_iteratorINS7_INS6_11hip_rocprim26transform_input_iterator_tIbNSD_35transform_pair_of_input_iterators_tIbNS6_6detail15normal_iteratorINS6_10device_ptrIKiEEEESL_NS6_8equal_toIiEEEENSG_9not_fun_tINSD_8identityEEEEENSD_19counting_iterator_tIlEES8_S8_S8_S8_S8_S8_S8_S8_EEEEPS9_S9_NSD_9__find_if7functorIS9_EEEE10hipError_tPvRmT1_T2_T3_mT4_P12ihipStream_tbEUlT_E1_NS1_11comp_targetILNS1_3genE5ELNS1_11target_archE942ELNS1_3gpuE9ELNS1_3repE0EEENS1_30default_config_static_selectorELNS0_4arch9wavefront6targetE0EEEvS14_ ; -- Begin function _ZN7rocprim17ROCPRIM_400000_NS6detail17trampoline_kernelINS0_14default_configENS1_22reduce_config_selectorIN6thrust23THRUST_200600_302600_NS5tupleIblNS6_9null_typeES8_S8_S8_S8_S8_S8_S8_EEEEZNS1_11reduce_implILb1ES3_NS6_12zip_iteratorINS7_INS6_11hip_rocprim26transform_input_iterator_tIbNSD_35transform_pair_of_input_iterators_tIbNS6_6detail15normal_iteratorINS6_10device_ptrIKiEEEESL_NS6_8equal_toIiEEEENSG_9not_fun_tINSD_8identityEEEEENSD_19counting_iterator_tIlEES8_S8_S8_S8_S8_S8_S8_S8_EEEEPS9_S9_NSD_9__find_if7functorIS9_EEEE10hipError_tPvRmT1_T2_T3_mT4_P12ihipStream_tbEUlT_E1_NS1_11comp_targetILNS1_3genE5ELNS1_11target_archE942ELNS1_3gpuE9ELNS1_3repE0EEENS1_30default_config_static_selectorELNS0_4arch9wavefront6targetE0EEEvS14_
	.globl	_ZN7rocprim17ROCPRIM_400000_NS6detail17trampoline_kernelINS0_14default_configENS1_22reduce_config_selectorIN6thrust23THRUST_200600_302600_NS5tupleIblNS6_9null_typeES8_S8_S8_S8_S8_S8_S8_EEEEZNS1_11reduce_implILb1ES3_NS6_12zip_iteratorINS7_INS6_11hip_rocprim26transform_input_iterator_tIbNSD_35transform_pair_of_input_iterators_tIbNS6_6detail15normal_iteratorINS6_10device_ptrIKiEEEESL_NS6_8equal_toIiEEEENSG_9not_fun_tINSD_8identityEEEEENSD_19counting_iterator_tIlEES8_S8_S8_S8_S8_S8_S8_S8_EEEEPS9_S9_NSD_9__find_if7functorIS9_EEEE10hipError_tPvRmT1_T2_T3_mT4_P12ihipStream_tbEUlT_E1_NS1_11comp_targetILNS1_3genE5ELNS1_11target_archE942ELNS1_3gpuE9ELNS1_3repE0EEENS1_30default_config_static_selectorELNS0_4arch9wavefront6targetE0EEEvS14_
	.p2align	8
	.type	_ZN7rocprim17ROCPRIM_400000_NS6detail17trampoline_kernelINS0_14default_configENS1_22reduce_config_selectorIN6thrust23THRUST_200600_302600_NS5tupleIblNS6_9null_typeES8_S8_S8_S8_S8_S8_S8_EEEEZNS1_11reduce_implILb1ES3_NS6_12zip_iteratorINS7_INS6_11hip_rocprim26transform_input_iterator_tIbNSD_35transform_pair_of_input_iterators_tIbNS6_6detail15normal_iteratorINS6_10device_ptrIKiEEEESL_NS6_8equal_toIiEEEENSG_9not_fun_tINSD_8identityEEEEENSD_19counting_iterator_tIlEES8_S8_S8_S8_S8_S8_S8_S8_EEEEPS9_S9_NSD_9__find_if7functorIS9_EEEE10hipError_tPvRmT1_T2_T3_mT4_P12ihipStream_tbEUlT_E1_NS1_11comp_targetILNS1_3genE5ELNS1_11target_archE942ELNS1_3gpuE9ELNS1_3repE0EEENS1_30default_config_static_selectorELNS0_4arch9wavefront6targetE0EEEvS14_,@function
_ZN7rocprim17ROCPRIM_400000_NS6detail17trampoline_kernelINS0_14default_configENS1_22reduce_config_selectorIN6thrust23THRUST_200600_302600_NS5tupleIblNS6_9null_typeES8_S8_S8_S8_S8_S8_S8_EEEEZNS1_11reduce_implILb1ES3_NS6_12zip_iteratorINS7_INS6_11hip_rocprim26transform_input_iterator_tIbNSD_35transform_pair_of_input_iterators_tIbNS6_6detail15normal_iteratorINS6_10device_ptrIKiEEEESL_NS6_8equal_toIiEEEENSG_9not_fun_tINSD_8identityEEEEENSD_19counting_iterator_tIlEES8_S8_S8_S8_S8_S8_S8_S8_EEEEPS9_S9_NSD_9__find_if7functorIS9_EEEE10hipError_tPvRmT1_T2_T3_mT4_P12ihipStream_tbEUlT_E1_NS1_11comp_targetILNS1_3genE5ELNS1_11target_archE942ELNS1_3gpuE9ELNS1_3repE0EEENS1_30default_config_static_selectorELNS0_4arch9wavefront6targetE0EEEvS14_: ; @_ZN7rocprim17ROCPRIM_400000_NS6detail17trampoline_kernelINS0_14default_configENS1_22reduce_config_selectorIN6thrust23THRUST_200600_302600_NS5tupleIblNS6_9null_typeES8_S8_S8_S8_S8_S8_S8_EEEEZNS1_11reduce_implILb1ES3_NS6_12zip_iteratorINS7_INS6_11hip_rocprim26transform_input_iterator_tIbNSD_35transform_pair_of_input_iterators_tIbNS6_6detail15normal_iteratorINS6_10device_ptrIKiEEEESL_NS6_8equal_toIiEEEENSG_9not_fun_tINSD_8identityEEEEENSD_19counting_iterator_tIlEES8_S8_S8_S8_S8_S8_S8_S8_EEEEPS9_S9_NSD_9__find_if7functorIS9_EEEE10hipError_tPvRmT1_T2_T3_mT4_P12ihipStream_tbEUlT_E1_NS1_11comp_targetILNS1_3genE5ELNS1_11target_archE942ELNS1_3gpuE9ELNS1_3repE0EEENS1_30default_config_static_selectorELNS0_4arch9wavefront6targetE0EEEvS14_
; %bb.0:
	.section	.rodata,"a",@progbits
	.p2align	6, 0x0
	.amdhsa_kernel _ZN7rocprim17ROCPRIM_400000_NS6detail17trampoline_kernelINS0_14default_configENS1_22reduce_config_selectorIN6thrust23THRUST_200600_302600_NS5tupleIblNS6_9null_typeES8_S8_S8_S8_S8_S8_S8_EEEEZNS1_11reduce_implILb1ES3_NS6_12zip_iteratorINS7_INS6_11hip_rocprim26transform_input_iterator_tIbNSD_35transform_pair_of_input_iterators_tIbNS6_6detail15normal_iteratorINS6_10device_ptrIKiEEEESL_NS6_8equal_toIiEEEENSG_9not_fun_tINSD_8identityEEEEENSD_19counting_iterator_tIlEES8_S8_S8_S8_S8_S8_S8_S8_EEEEPS9_S9_NSD_9__find_if7functorIS9_EEEE10hipError_tPvRmT1_T2_T3_mT4_P12ihipStream_tbEUlT_E1_NS1_11comp_targetILNS1_3genE5ELNS1_11target_archE942ELNS1_3gpuE9ELNS1_3repE0EEENS1_30default_config_static_selectorELNS0_4arch9wavefront6targetE0EEEvS14_
		.amdhsa_group_segment_fixed_size 0
		.amdhsa_private_segment_fixed_size 0
		.amdhsa_kernarg_size 88
		.amdhsa_user_sgpr_count 6
		.amdhsa_user_sgpr_private_segment_buffer 1
		.amdhsa_user_sgpr_dispatch_ptr 0
		.amdhsa_user_sgpr_queue_ptr 0
		.amdhsa_user_sgpr_kernarg_segment_ptr 1
		.amdhsa_user_sgpr_dispatch_id 0
		.amdhsa_user_sgpr_flat_scratch_init 0
		.amdhsa_user_sgpr_private_segment_size 0
		.amdhsa_wavefront_size32 1
		.amdhsa_uses_dynamic_stack 0
		.amdhsa_system_sgpr_private_segment_wavefront_offset 0
		.amdhsa_system_sgpr_workgroup_id_x 1
		.amdhsa_system_sgpr_workgroup_id_y 0
		.amdhsa_system_sgpr_workgroup_id_z 0
		.amdhsa_system_sgpr_workgroup_info 0
		.amdhsa_system_vgpr_workitem_id 0
		.amdhsa_next_free_vgpr 1
		.amdhsa_next_free_sgpr 1
		.amdhsa_reserve_vcc 0
		.amdhsa_reserve_flat_scratch 0
		.amdhsa_float_round_mode_32 0
		.amdhsa_float_round_mode_16_64 0
		.amdhsa_float_denorm_mode_32 3
		.amdhsa_float_denorm_mode_16_64 3
		.amdhsa_dx10_clamp 1
		.amdhsa_ieee_mode 1
		.amdhsa_fp16_overflow 0
		.amdhsa_workgroup_processor_mode 1
		.amdhsa_memory_ordered 1
		.amdhsa_forward_progress 1
		.amdhsa_shared_vgpr_count 0
		.amdhsa_exception_fp_ieee_invalid_op 0
		.amdhsa_exception_fp_denorm_src 0
		.amdhsa_exception_fp_ieee_div_zero 0
		.amdhsa_exception_fp_ieee_overflow 0
		.amdhsa_exception_fp_ieee_underflow 0
		.amdhsa_exception_fp_ieee_inexact 0
		.amdhsa_exception_int_div_zero 0
	.end_amdhsa_kernel
	.section	.text._ZN7rocprim17ROCPRIM_400000_NS6detail17trampoline_kernelINS0_14default_configENS1_22reduce_config_selectorIN6thrust23THRUST_200600_302600_NS5tupleIblNS6_9null_typeES8_S8_S8_S8_S8_S8_S8_EEEEZNS1_11reduce_implILb1ES3_NS6_12zip_iteratorINS7_INS6_11hip_rocprim26transform_input_iterator_tIbNSD_35transform_pair_of_input_iterators_tIbNS6_6detail15normal_iteratorINS6_10device_ptrIKiEEEESL_NS6_8equal_toIiEEEENSG_9not_fun_tINSD_8identityEEEEENSD_19counting_iterator_tIlEES8_S8_S8_S8_S8_S8_S8_S8_EEEEPS9_S9_NSD_9__find_if7functorIS9_EEEE10hipError_tPvRmT1_T2_T3_mT4_P12ihipStream_tbEUlT_E1_NS1_11comp_targetILNS1_3genE5ELNS1_11target_archE942ELNS1_3gpuE9ELNS1_3repE0EEENS1_30default_config_static_selectorELNS0_4arch9wavefront6targetE0EEEvS14_,"axG",@progbits,_ZN7rocprim17ROCPRIM_400000_NS6detail17trampoline_kernelINS0_14default_configENS1_22reduce_config_selectorIN6thrust23THRUST_200600_302600_NS5tupleIblNS6_9null_typeES8_S8_S8_S8_S8_S8_S8_EEEEZNS1_11reduce_implILb1ES3_NS6_12zip_iteratorINS7_INS6_11hip_rocprim26transform_input_iterator_tIbNSD_35transform_pair_of_input_iterators_tIbNS6_6detail15normal_iteratorINS6_10device_ptrIKiEEEESL_NS6_8equal_toIiEEEENSG_9not_fun_tINSD_8identityEEEEENSD_19counting_iterator_tIlEES8_S8_S8_S8_S8_S8_S8_S8_EEEEPS9_S9_NSD_9__find_if7functorIS9_EEEE10hipError_tPvRmT1_T2_T3_mT4_P12ihipStream_tbEUlT_E1_NS1_11comp_targetILNS1_3genE5ELNS1_11target_archE942ELNS1_3gpuE9ELNS1_3repE0EEENS1_30default_config_static_selectorELNS0_4arch9wavefront6targetE0EEEvS14_,comdat
.Lfunc_end496:
	.size	_ZN7rocprim17ROCPRIM_400000_NS6detail17trampoline_kernelINS0_14default_configENS1_22reduce_config_selectorIN6thrust23THRUST_200600_302600_NS5tupleIblNS6_9null_typeES8_S8_S8_S8_S8_S8_S8_EEEEZNS1_11reduce_implILb1ES3_NS6_12zip_iteratorINS7_INS6_11hip_rocprim26transform_input_iterator_tIbNSD_35transform_pair_of_input_iterators_tIbNS6_6detail15normal_iteratorINS6_10device_ptrIKiEEEESL_NS6_8equal_toIiEEEENSG_9not_fun_tINSD_8identityEEEEENSD_19counting_iterator_tIlEES8_S8_S8_S8_S8_S8_S8_S8_EEEEPS9_S9_NSD_9__find_if7functorIS9_EEEE10hipError_tPvRmT1_T2_T3_mT4_P12ihipStream_tbEUlT_E1_NS1_11comp_targetILNS1_3genE5ELNS1_11target_archE942ELNS1_3gpuE9ELNS1_3repE0EEENS1_30default_config_static_selectorELNS0_4arch9wavefront6targetE0EEEvS14_, .Lfunc_end496-_ZN7rocprim17ROCPRIM_400000_NS6detail17trampoline_kernelINS0_14default_configENS1_22reduce_config_selectorIN6thrust23THRUST_200600_302600_NS5tupleIblNS6_9null_typeES8_S8_S8_S8_S8_S8_S8_EEEEZNS1_11reduce_implILb1ES3_NS6_12zip_iteratorINS7_INS6_11hip_rocprim26transform_input_iterator_tIbNSD_35transform_pair_of_input_iterators_tIbNS6_6detail15normal_iteratorINS6_10device_ptrIKiEEEESL_NS6_8equal_toIiEEEENSG_9not_fun_tINSD_8identityEEEEENSD_19counting_iterator_tIlEES8_S8_S8_S8_S8_S8_S8_S8_EEEEPS9_S9_NSD_9__find_if7functorIS9_EEEE10hipError_tPvRmT1_T2_T3_mT4_P12ihipStream_tbEUlT_E1_NS1_11comp_targetILNS1_3genE5ELNS1_11target_archE942ELNS1_3gpuE9ELNS1_3repE0EEENS1_30default_config_static_selectorELNS0_4arch9wavefront6targetE0EEEvS14_
                                        ; -- End function
	.set _ZN7rocprim17ROCPRIM_400000_NS6detail17trampoline_kernelINS0_14default_configENS1_22reduce_config_selectorIN6thrust23THRUST_200600_302600_NS5tupleIblNS6_9null_typeES8_S8_S8_S8_S8_S8_S8_EEEEZNS1_11reduce_implILb1ES3_NS6_12zip_iteratorINS7_INS6_11hip_rocprim26transform_input_iterator_tIbNSD_35transform_pair_of_input_iterators_tIbNS6_6detail15normal_iteratorINS6_10device_ptrIKiEEEESL_NS6_8equal_toIiEEEENSG_9not_fun_tINSD_8identityEEEEENSD_19counting_iterator_tIlEES8_S8_S8_S8_S8_S8_S8_S8_EEEEPS9_S9_NSD_9__find_if7functorIS9_EEEE10hipError_tPvRmT1_T2_T3_mT4_P12ihipStream_tbEUlT_E1_NS1_11comp_targetILNS1_3genE5ELNS1_11target_archE942ELNS1_3gpuE9ELNS1_3repE0EEENS1_30default_config_static_selectorELNS0_4arch9wavefront6targetE0EEEvS14_.num_vgpr, 0
	.set _ZN7rocprim17ROCPRIM_400000_NS6detail17trampoline_kernelINS0_14default_configENS1_22reduce_config_selectorIN6thrust23THRUST_200600_302600_NS5tupleIblNS6_9null_typeES8_S8_S8_S8_S8_S8_S8_EEEEZNS1_11reduce_implILb1ES3_NS6_12zip_iteratorINS7_INS6_11hip_rocprim26transform_input_iterator_tIbNSD_35transform_pair_of_input_iterators_tIbNS6_6detail15normal_iteratorINS6_10device_ptrIKiEEEESL_NS6_8equal_toIiEEEENSG_9not_fun_tINSD_8identityEEEEENSD_19counting_iterator_tIlEES8_S8_S8_S8_S8_S8_S8_S8_EEEEPS9_S9_NSD_9__find_if7functorIS9_EEEE10hipError_tPvRmT1_T2_T3_mT4_P12ihipStream_tbEUlT_E1_NS1_11comp_targetILNS1_3genE5ELNS1_11target_archE942ELNS1_3gpuE9ELNS1_3repE0EEENS1_30default_config_static_selectorELNS0_4arch9wavefront6targetE0EEEvS14_.num_agpr, 0
	.set _ZN7rocprim17ROCPRIM_400000_NS6detail17trampoline_kernelINS0_14default_configENS1_22reduce_config_selectorIN6thrust23THRUST_200600_302600_NS5tupleIblNS6_9null_typeES8_S8_S8_S8_S8_S8_S8_EEEEZNS1_11reduce_implILb1ES3_NS6_12zip_iteratorINS7_INS6_11hip_rocprim26transform_input_iterator_tIbNSD_35transform_pair_of_input_iterators_tIbNS6_6detail15normal_iteratorINS6_10device_ptrIKiEEEESL_NS6_8equal_toIiEEEENSG_9not_fun_tINSD_8identityEEEEENSD_19counting_iterator_tIlEES8_S8_S8_S8_S8_S8_S8_S8_EEEEPS9_S9_NSD_9__find_if7functorIS9_EEEE10hipError_tPvRmT1_T2_T3_mT4_P12ihipStream_tbEUlT_E1_NS1_11comp_targetILNS1_3genE5ELNS1_11target_archE942ELNS1_3gpuE9ELNS1_3repE0EEENS1_30default_config_static_selectorELNS0_4arch9wavefront6targetE0EEEvS14_.numbered_sgpr, 0
	.set _ZN7rocprim17ROCPRIM_400000_NS6detail17trampoline_kernelINS0_14default_configENS1_22reduce_config_selectorIN6thrust23THRUST_200600_302600_NS5tupleIblNS6_9null_typeES8_S8_S8_S8_S8_S8_S8_EEEEZNS1_11reduce_implILb1ES3_NS6_12zip_iteratorINS7_INS6_11hip_rocprim26transform_input_iterator_tIbNSD_35transform_pair_of_input_iterators_tIbNS6_6detail15normal_iteratorINS6_10device_ptrIKiEEEESL_NS6_8equal_toIiEEEENSG_9not_fun_tINSD_8identityEEEEENSD_19counting_iterator_tIlEES8_S8_S8_S8_S8_S8_S8_S8_EEEEPS9_S9_NSD_9__find_if7functorIS9_EEEE10hipError_tPvRmT1_T2_T3_mT4_P12ihipStream_tbEUlT_E1_NS1_11comp_targetILNS1_3genE5ELNS1_11target_archE942ELNS1_3gpuE9ELNS1_3repE0EEENS1_30default_config_static_selectorELNS0_4arch9wavefront6targetE0EEEvS14_.num_named_barrier, 0
	.set _ZN7rocprim17ROCPRIM_400000_NS6detail17trampoline_kernelINS0_14default_configENS1_22reduce_config_selectorIN6thrust23THRUST_200600_302600_NS5tupleIblNS6_9null_typeES8_S8_S8_S8_S8_S8_S8_EEEEZNS1_11reduce_implILb1ES3_NS6_12zip_iteratorINS7_INS6_11hip_rocprim26transform_input_iterator_tIbNSD_35transform_pair_of_input_iterators_tIbNS6_6detail15normal_iteratorINS6_10device_ptrIKiEEEESL_NS6_8equal_toIiEEEENSG_9not_fun_tINSD_8identityEEEEENSD_19counting_iterator_tIlEES8_S8_S8_S8_S8_S8_S8_S8_EEEEPS9_S9_NSD_9__find_if7functorIS9_EEEE10hipError_tPvRmT1_T2_T3_mT4_P12ihipStream_tbEUlT_E1_NS1_11comp_targetILNS1_3genE5ELNS1_11target_archE942ELNS1_3gpuE9ELNS1_3repE0EEENS1_30default_config_static_selectorELNS0_4arch9wavefront6targetE0EEEvS14_.private_seg_size, 0
	.set _ZN7rocprim17ROCPRIM_400000_NS6detail17trampoline_kernelINS0_14default_configENS1_22reduce_config_selectorIN6thrust23THRUST_200600_302600_NS5tupleIblNS6_9null_typeES8_S8_S8_S8_S8_S8_S8_EEEEZNS1_11reduce_implILb1ES3_NS6_12zip_iteratorINS7_INS6_11hip_rocprim26transform_input_iterator_tIbNSD_35transform_pair_of_input_iterators_tIbNS6_6detail15normal_iteratorINS6_10device_ptrIKiEEEESL_NS6_8equal_toIiEEEENSG_9not_fun_tINSD_8identityEEEEENSD_19counting_iterator_tIlEES8_S8_S8_S8_S8_S8_S8_S8_EEEEPS9_S9_NSD_9__find_if7functorIS9_EEEE10hipError_tPvRmT1_T2_T3_mT4_P12ihipStream_tbEUlT_E1_NS1_11comp_targetILNS1_3genE5ELNS1_11target_archE942ELNS1_3gpuE9ELNS1_3repE0EEENS1_30default_config_static_selectorELNS0_4arch9wavefront6targetE0EEEvS14_.uses_vcc, 0
	.set _ZN7rocprim17ROCPRIM_400000_NS6detail17trampoline_kernelINS0_14default_configENS1_22reduce_config_selectorIN6thrust23THRUST_200600_302600_NS5tupleIblNS6_9null_typeES8_S8_S8_S8_S8_S8_S8_EEEEZNS1_11reduce_implILb1ES3_NS6_12zip_iteratorINS7_INS6_11hip_rocprim26transform_input_iterator_tIbNSD_35transform_pair_of_input_iterators_tIbNS6_6detail15normal_iteratorINS6_10device_ptrIKiEEEESL_NS6_8equal_toIiEEEENSG_9not_fun_tINSD_8identityEEEEENSD_19counting_iterator_tIlEES8_S8_S8_S8_S8_S8_S8_S8_EEEEPS9_S9_NSD_9__find_if7functorIS9_EEEE10hipError_tPvRmT1_T2_T3_mT4_P12ihipStream_tbEUlT_E1_NS1_11comp_targetILNS1_3genE5ELNS1_11target_archE942ELNS1_3gpuE9ELNS1_3repE0EEENS1_30default_config_static_selectorELNS0_4arch9wavefront6targetE0EEEvS14_.uses_flat_scratch, 0
	.set _ZN7rocprim17ROCPRIM_400000_NS6detail17trampoline_kernelINS0_14default_configENS1_22reduce_config_selectorIN6thrust23THRUST_200600_302600_NS5tupleIblNS6_9null_typeES8_S8_S8_S8_S8_S8_S8_EEEEZNS1_11reduce_implILb1ES3_NS6_12zip_iteratorINS7_INS6_11hip_rocprim26transform_input_iterator_tIbNSD_35transform_pair_of_input_iterators_tIbNS6_6detail15normal_iteratorINS6_10device_ptrIKiEEEESL_NS6_8equal_toIiEEEENSG_9not_fun_tINSD_8identityEEEEENSD_19counting_iterator_tIlEES8_S8_S8_S8_S8_S8_S8_S8_EEEEPS9_S9_NSD_9__find_if7functorIS9_EEEE10hipError_tPvRmT1_T2_T3_mT4_P12ihipStream_tbEUlT_E1_NS1_11comp_targetILNS1_3genE5ELNS1_11target_archE942ELNS1_3gpuE9ELNS1_3repE0EEENS1_30default_config_static_selectorELNS0_4arch9wavefront6targetE0EEEvS14_.has_dyn_sized_stack, 0
	.set _ZN7rocprim17ROCPRIM_400000_NS6detail17trampoline_kernelINS0_14default_configENS1_22reduce_config_selectorIN6thrust23THRUST_200600_302600_NS5tupleIblNS6_9null_typeES8_S8_S8_S8_S8_S8_S8_EEEEZNS1_11reduce_implILb1ES3_NS6_12zip_iteratorINS7_INS6_11hip_rocprim26transform_input_iterator_tIbNSD_35transform_pair_of_input_iterators_tIbNS6_6detail15normal_iteratorINS6_10device_ptrIKiEEEESL_NS6_8equal_toIiEEEENSG_9not_fun_tINSD_8identityEEEEENSD_19counting_iterator_tIlEES8_S8_S8_S8_S8_S8_S8_S8_EEEEPS9_S9_NSD_9__find_if7functorIS9_EEEE10hipError_tPvRmT1_T2_T3_mT4_P12ihipStream_tbEUlT_E1_NS1_11comp_targetILNS1_3genE5ELNS1_11target_archE942ELNS1_3gpuE9ELNS1_3repE0EEENS1_30default_config_static_selectorELNS0_4arch9wavefront6targetE0EEEvS14_.has_recursion, 0
	.set _ZN7rocprim17ROCPRIM_400000_NS6detail17trampoline_kernelINS0_14default_configENS1_22reduce_config_selectorIN6thrust23THRUST_200600_302600_NS5tupleIblNS6_9null_typeES8_S8_S8_S8_S8_S8_S8_EEEEZNS1_11reduce_implILb1ES3_NS6_12zip_iteratorINS7_INS6_11hip_rocprim26transform_input_iterator_tIbNSD_35transform_pair_of_input_iterators_tIbNS6_6detail15normal_iteratorINS6_10device_ptrIKiEEEESL_NS6_8equal_toIiEEEENSG_9not_fun_tINSD_8identityEEEEENSD_19counting_iterator_tIlEES8_S8_S8_S8_S8_S8_S8_S8_EEEEPS9_S9_NSD_9__find_if7functorIS9_EEEE10hipError_tPvRmT1_T2_T3_mT4_P12ihipStream_tbEUlT_E1_NS1_11comp_targetILNS1_3genE5ELNS1_11target_archE942ELNS1_3gpuE9ELNS1_3repE0EEENS1_30default_config_static_selectorELNS0_4arch9wavefront6targetE0EEEvS14_.has_indirect_call, 0
	.section	.AMDGPU.csdata,"",@progbits
; Kernel info:
; codeLenInByte = 0
; TotalNumSgprs: 0
; NumVgprs: 0
; ScratchSize: 0
; MemoryBound: 0
; FloatMode: 240
; IeeeMode: 1
; LDSByteSize: 0 bytes/workgroup (compile time only)
; SGPRBlocks: 0
; VGPRBlocks: 0
; NumSGPRsForWavesPerEU: 1
; NumVGPRsForWavesPerEU: 1
; Occupancy: 16
; WaveLimiterHint : 0
; COMPUTE_PGM_RSRC2:SCRATCH_EN: 0
; COMPUTE_PGM_RSRC2:USER_SGPR: 6
; COMPUTE_PGM_RSRC2:TRAP_HANDLER: 0
; COMPUTE_PGM_RSRC2:TGID_X_EN: 1
; COMPUTE_PGM_RSRC2:TGID_Y_EN: 0
; COMPUTE_PGM_RSRC2:TGID_Z_EN: 0
; COMPUTE_PGM_RSRC2:TIDIG_COMP_CNT: 0
	.section	.text._ZN7rocprim17ROCPRIM_400000_NS6detail17trampoline_kernelINS0_14default_configENS1_22reduce_config_selectorIN6thrust23THRUST_200600_302600_NS5tupleIblNS6_9null_typeES8_S8_S8_S8_S8_S8_S8_EEEEZNS1_11reduce_implILb1ES3_NS6_12zip_iteratorINS7_INS6_11hip_rocprim26transform_input_iterator_tIbNSD_35transform_pair_of_input_iterators_tIbNS6_6detail15normal_iteratorINS6_10device_ptrIKiEEEESL_NS6_8equal_toIiEEEENSG_9not_fun_tINSD_8identityEEEEENSD_19counting_iterator_tIlEES8_S8_S8_S8_S8_S8_S8_S8_EEEEPS9_S9_NSD_9__find_if7functorIS9_EEEE10hipError_tPvRmT1_T2_T3_mT4_P12ihipStream_tbEUlT_E1_NS1_11comp_targetILNS1_3genE4ELNS1_11target_archE910ELNS1_3gpuE8ELNS1_3repE0EEENS1_30default_config_static_selectorELNS0_4arch9wavefront6targetE0EEEvS14_,"axG",@progbits,_ZN7rocprim17ROCPRIM_400000_NS6detail17trampoline_kernelINS0_14default_configENS1_22reduce_config_selectorIN6thrust23THRUST_200600_302600_NS5tupleIblNS6_9null_typeES8_S8_S8_S8_S8_S8_S8_EEEEZNS1_11reduce_implILb1ES3_NS6_12zip_iteratorINS7_INS6_11hip_rocprim26transform_input_iterator_tIbNSD_35transform_pair_of_input_iterators_tIbNS6_6detail15normal_iteratorINS6_10device_ptrIKiEEEESL_NS6_8equal_toIiEEEENSG_9not_fun_tINSD_8identityEEEEENSD_19counting_iterator_tIlEES8_S8_S8_S8_S8_S8_S8_S8_EEEEPS9_S9_NSD_9__find_if7functorIS9_EEEE10hipError_tPvRmT1_T2_T3_mT4_P12ihipStream_tbEUlT_E1_NS1_11comp_targetILNS1_3genE4ELNS1_11target_archE910ELNS1_3gpuE8ELNS1_3repE0EEENS1_30default_config_static_selectorELNS0_4arch9wavefront6targetE0EEEvS14_,comdat
	.protected	_ZN7rocprim17ROCPRIM_400000_NS6detail17trampoline_kernelINS0_14default_configENS1_22reduce_config_selectorIN6thrust23THRUST_200600_302600_NS5tupleIblNS6_9null_typeES8_S8_S8_S8_S8_S8_S8_EEEEZNS1_11reduce_implILb1ES3_NS6_12zip_iteratorINS7_INS6_11hip_rocprim26transform_input_iterator_tIbNSD_35transform_pair_of_input_iterators_tIbNS6_6detail15normal_iteratorINS6_10device_ptrIKiEEEESL_NS6_8equal_toIiEEEENSG_9not_fun_tINSD_8identityEEEEENSD_19counting_iterator_tIlEES8_S8_S8_S8_S8_S8_S8_S8_EEEEPS9_S9_NSD_9__find_if7functorIS9_EEEE10hipError_tPvRmT1_T2_T3_mT4_P12ihipStream_tbEUlT_E1_NS1_11comp_targetILNS1_3genE4ELNS1_11target_archE910ELNS1_3gpuE8ELNS1_3repE0EEENS1_30default_config_static_selectorELNS0_4arch9wavefront6targetE0EEEvS14_ ; -- Begin function _ZN7rocprim17ROCPRIM_400000_NS6detail17trampoline_kernelINS0_14default_configENS1_22reduce_config_selectorIN6thrust23THRUST_200600_302600_NS5tupleIblNS6_9null_typeES8_S8_S8_S8_S8_S8_S8_EEEEZNS1_11reduce_implILb1ES3_NS6_12zip_iteratorINS7_INS6_11hip_rocprim26transform_input_iterator_tIbNSD_35transform_pair_of_input_iterators_tIbNS6_6detail15normal_iteratorINS6_10device_ptrIKiEEEESL_NS6_8equal_toIiEEEENSG_9not_fun_tINSD_8identityEEEEENSD_19counting_iterator_tIlEES8_S8_S8_S8_S8_S8_S8_S8_EEEEPS9_S9_NSD_9__find_if7functorIS9_EEEE10hipError_tPvRmT1_T2_T3_mT4_P12ihipStream_tbEUlT_E1_NS1_11comp_targetILNS1_3genE4ELNS1_11target_archE910ELNS1_3gpuE8ELNS1_3repE0EEENS1_30default_config_static_selectorELNS0_4arch9wavefront6targetE0EEEvS14_
	.globl	_ZN7rocprim17ROCPRIM_400000_NS6detail17trampoline_kernelINS0_14default_configENS1_22reduce_config_selectorIN6thrust23THRUST_200600_302600_NS5tupleIblNS6_9null_typeES8_S8_S8_S8_S8_S8_S8_EEEEZNS1_11reduce_implILb1ES3_NS6_12zip_iteratorINS7_INS6_11hip_rocprim26transform_input_iterator_tIbNSD_35transform_pair_of_input_iterators_tIbNS6_6detail15normal_iteratorINS6_10device_ptrIKiEEEESL_NS6_8equal_toIiEEEENSG_9not_fun_tINSD_8identityEEEEENSD_19counting_iterator_tIlEES8_S8_S8_S8_S8_S8_S8_S8_EEEEPS9_S9_NSD_9__find_if7functorIS9_EEEE10hipError_tPvRmT1_T2_T3_mT4_P12ihipStream_tbEUlT_E1_NS1_11comp_targetILNS1_3genE4ELNS1_11target_archE910ELNS1_3gpuE8ELNS1_3repE0EEENS1_30default_config_static_selectorELNS0_4arch9wavefront6targetE0EEEvS14_
	.p2align	8
	.type	_ZN7rocprim17ROCPRIM_400000_NS6detail17trampoline_kernelINS0_14default_configENS1_22reduce_config_selectorIN6thrust23THRUST_200600_302600_NS5tupleIblNS6_9null_typeES8_S8_S8_S8_S8_S8_S8_EEEEZNS1_11reduce_implILb1ES3_NS6_12zip_iteratorINS7_INS6_11hip_rocprim26transform_input_iterator_tIbNSD_35transform_pair_of_input_iterators_tIbNS6_6detail15normal_iteratorINS6_10device_ptrIKiEEEESL_NS6_8equal_toIiEEEENSG_9not_fun_tINSD_8identityEEEEENSD_19counting_iterator_tIlEES8_S8_S8_S8_S8_S8_S8_S8_EEEEPS9_S9_NSD_9__find_if7functorIS9_EEEE10hipError_tPvRmT1_T2_T3_mT4_P12ihipStream_tbEUlT_E1_NS1_11comp_targetILNS1_3genE4ELNS1_11target_archE910ELNS1_3gpuE8ELNS1_3repE0EEENS1_30default_config_static_selectorELNS0_4arch9wavefront6targetE0EEEvS14_,@function
_ZN7rocprim17ROCPRIM_400000_NS6detail17trampoline_kernelINS0_14default_configENS1_22reduce_config_selectorIN6thrust23THRUST_200600_302600_NS5tupleIblNS6_9null_typeES8_S8_S8_S8_S8_S8_S8_EEEEZNS1_11reduce_implILb1ES3_NS6_12zip_iteratorINS7_INS6_11hip_rocprim26transform_input_iterator_tIbNSD_35transform_pair_of_input_iterators_tIbNS6_6detail15normal_iteratorINS6_10device_ptrIKiEEEESL_NS6_8equal_toIiEEEENSG_9not_fun_tINSD_8identityEEEEENSD_19counting_iterator_tIlEES8_S8_S8_S8_S8_S8_S8_S8_EEEEPS9_S9_NSD_9__find_if7functorIS9_EEEE10hipError_tPvRmT1_T2_T3_mT4_P12ihipStream_tbEUlT_E1_NS1_11comp_targetILNS1_3genE4ELNS1_11target_archE910ELNS1_3gpuE8ELNS1_3repE0EEENS1_30default_config_static_selectorELNS0_4arch9wavefront6targetE0EEEvS14_: ; @_ZN7rocprim17ROCPRIM_400000_NS6detail17trampoline_kernelINS0_14default_configENS1_22reduce_config_selectorIN6thrust23THRUST_200600_302600_NS5tupleIblNS6_9null_typeES8_S8_S8_S8_S8_S8_S8_EEEEZNS1_11reduce_implILb1ES3_NS6_12zip_iteratorINS7_INS6_11hip_rocprim26transform_input_iterator_tIbNSD_35transform_pair_of_input_iterators_tIbNS6_6detail15normal_iteratorINS6_10device_ptrIKiEEEESL_NS6_8equal_toIiEEEENSG_9not_fun_tINSD_8identityEEEEENSD_19counting_iterator_tIlEES8_S8_S8_S8_S8_S8_S8_S8_EEEEPS9_S9_NSD_9__find_if7functorIS9_EEEE10hipError_tPvRmT1_T2_T3_mT4_P12ihipStream_tbEUlT_E1_NS1_11comp_targetILNS1_3genE4ELNS1_11target_archE910ELNS1_3gpuE8ELNS1_3repE0EEENS1_30default_config_static_selectorELNS0_4arch9wavefront6targetE0EEEvS14_
; %bb.0:
	.section	.rodata,"a",@progbits
	.p2align	6, 0x0
	.amdhsa_kernel _ZN7rocprim17ROCPRIM_400000_NS6detail17trampoline_kernelINS0_14default_configENS1_22reduce_config_selectorIN6thrust23THRUST_200600_302600_NS5tupleIblNS6_9null_typeES8_S8_S8_S8_S8_S8_S8_EEEEZNS1_11reduce_implILb1ES3_NS6_12zip_iteratorINS7_INS6_11hip_rocprim26transform_input_iterator_tIbNSD_35transform_pair_of_input_iterators_tIbNS6_6detail15normal_iteratorINS6_10device_ptrIKiEEEESL_NS6_8equal_toIiEEEENSG_9not_fun_tINSD_8identityEEEEENSD_19counting_iterator_tIlEES8_S8_S8_S8_S8_S8_S8_S8_EEEEPS9_S9_NSD_9__find_if7functorIS9_EEEE10hipError_tPvRmT1_T2_T3_mT4_P12ihipStream_tbEUlT_E1_NS1_11comp_targetILNS1_3genE4ELNS1_11target_archE910ELNS1_3gpuE8ELNS1_3repE0EEENS1_30default_config_static_selectorELNS0_4arch9wavefront6targetE0EEEvS14_
		.amdhsa_group_segment_fixed_size 0
		.amdhsa_private_segment_fixed_size 0
		.amdhsa_kernarg_size 88
		.amdhsa_user_sgpr_count 6
		.amdhsa_user_sgpr_private_segment_buffer 1
		.amdhsa_user_sgpr_dispatch_ptr 0
		.amdhsa_user_sgpr_queue_ptr 0
		.amdhsa_user_sgpr_kernarg_segment_ptr 1
		.amdhsa_user_sgpr_dispatch_id 0
		.amdhsa_user_sgpr_flat_scratch_init 0
		.amdhsa_user_sgpr_private_segment_size 0
		.amdhsa_wavefront_size32 1
		.amdhsa_uses_dynamic_stack 0
		.amdhsa_system_sgpr_private_segment_wavefront_offset 0
		.amdhsa_system_sgpr_workgroup_id_x 1
		.amdhsa_system_sgpr_workgroup_id_y 0
		.amdhsa_system_sgpr_workgroup_id_z 0
		.amdhsa_system_sgpr_workgroup_info 0
		.amdhsa_system_vgpr_workitem_id 0
		.amdhsa_next_free_vgpr 1
		.amdhsa_next_free_sgpr 1
		.amdhsa_reserve_vcc 0
		.amdhsa_reserve_flat_scratch 0
		.amdhsa_float_round_mode_32 0
		.amdhsa_float_round_mode_16_64 0
		.amdhsa_float_denorm_mode_32 3
		.amdhsa_float_denorm_mode_16_64 3
		.amdhsa_dx10_clamp 1
		.amdhsa_ieee_mode 1
		.amdhsa_fp16_overflow 0
		.amdhsa_workgroup_processor_mode 1
		.amdhsa_memory_ordered 1
		.amdhsa_forward_progress 1
		.amdhsa_shared_vgpr_count 0
		.amdhsa_exception_fp_ieee_invalid_op 0
		.amdhsa_exception_fp_denorm_src 0
		.amdhsa_exception_fp_ieee_div_zero 0
		.amdhsa_exception_fp_ieee_overflow 0
		.amdhsa_exception_fp_ieee_underflow 0
		.amdhsa_exception_fp_ieee_inexact 0
		.amdhsa_exception_int_div_zero 0
	.end_amdhsa_kernel
	.section	.text._ZN7rocprim17ROCPRIM_400000_NS6detail17trampoline_kernelINS0_14default_configENS1_22reduce_config_selectorIN6thrust23THRUST_200600_302600_NS5tupleIblNS6_9null_typeES8_S8_S8_S8_S8_S8_S8_EEEEZNS1_11reduce_implILb1ES3_NS6_12zip_iteratorINS7_INS6_11hip_rocprim26transform_input_iterator_tIbNSD_35transform_pair_of_input_iterators_tIbNS6_6detail15normal_iteratorINS6_10device_ptrIKiEEEESL_NS6_8equal_toIiEEEENSG_9not_fun_tINSD_8identityEEEEENSD_19counting_iterator_tIlEES8_S8_S8_S8_S8_S8_S8_S8_EEEEPS9_S9_NSD_9__find_if7functorIS9_EEEE10hipError_tPvRmT1_T2_T3_mT4_P12ihipStream_tbEUlT_E1_NS1_11comp_targetILNS1_3genE4ELNS1_11target_archE910ELNS1_3gpuE8ELNS1_3repE0EEENS1_30default_config_static_selectorELNS0_4arch9wavefront6targetE0EEEvS14_,"axG",@progbits,_ZN7rocprim17ROCPRIM_400000_NS6detail17trampoline_kernelINS0_14default_configENS1_22reduce_config_selectorIN6thrust23THRUST_200600_302600_NS5tupleIblNS6_9null_typeES8_S8_S8_S8_S8_S8_S8_EEEEZNS1_11reduce_implILb1ES3_NS6_12zip_iteratorINS7_INS6_11hip_rocprim26transform_input_iterator_tIbNSD_35transform_pair_of_input_iterators_tIbNS6_6detail15normal_iteratorINS6_10device_ptrIKiEEEESL_NS6_8equal_toIiEEEENSG_9not_fun_tINSD_8identityEEEEENSD_19counting_iterator_tIlEES8_S8_S8_S8_S8_S8_S8_S8_EEEEPS9_S9_NSD_9__find_if7functorIS9_EEEE10hipError_tPvRmT1_T2_T3_mT4_P12ihipStream_tbEUlT_E1_NS1_11comp_targetILNS1_3genE4ELNS1_11target_archE910ELNS1_3gpuE8ELNS1_3repE0EEENS1_30default_config_static_selectorELNS0_4arch9wavefront6targetE0EEEvS14_,comdat
.Lfunc_end497:
	.size	_ZN7rocprim17ROCPRIM_400000_NS6detail17trampoline_kernelINS0_14default_configENS1_22reduce_config_selectorIN6thrust23THRUST_200600_302600_NS5tupleIblNS6_9null_typeES8_S8_S8_S8_S8_S8_S8_EEEEZNS1_11reduce_implILb1ES3_NS6_12zip_iteratorINS7_INS6_11hip_rocprim26transform_input_iterator_tIbNSD_35transform_pair_of_input_iterators_tIbNS6_6detail15normal_iteratorINS6_10device_ptrIKiEEEESL_NS6_8equal_toIiEEEENSG_9not_fun_tINSD_8identityEEEEENSD_19counting_iterator_tIlEES8_S8_S8_S8_S8_S8_S8_S8_EEEEPS9_S9_NSD_9__find_if7functorIS9_EEEE10hipError_tPvRmT1_T2_T3_mT4_P12ihipStream_tbEUlT_E1_NS1_11comp_targetILNS1_3genE4ELNS1_11target_archE910ELNS1_3gpuE8ELNS1_3repE0EEENS1_30default_config_static_selectorELNS0_4arch9wavefront6targetE0EEEvS14_, .Lfunc_end497-_ZN7rocprim17ROCPRIM_400000_NS6detail17trampoline_kernelINS0_14default_configENS1_22reduce_config_selectorIN6thrust23THRUST_200600_302600_NS5tupleIblNS6_9null_typeES8_S8_S8_S8_S8_S8_S8_EEEEZNS1_11reduce_implILb1ES3_NS6_12zip_iteratorINS7_INS6_11hip_rocprim26transform_input_iterator_tIbNSD_35transform_pair_of_input_iterators_tIbNS6_6detail15normal_iteratorINS6_10device_ptrIKiEEEESL_NS6_8equal_toIiEEEENSG_9not_fun_tINSD_8identityEEEEENSD_19counting_iterator_tIlEES8_S8_S8_S8_S8_S8_S8_S8_EEEEPS9_S9_NSD_9__find_if7functorIS9_EEEE10hipError_tPvRmT1_T2_T3_mT4_P12ihipStream_tbEUlT_E1_NS1_11comp_targetILNS1_3genE4ELNS1_11target_archE910ELNS1_3gpuE8ELNS1_3repE0EEENS1_30default_config_static_selectorELNS0_4arch9wavefront6targetE0EEEvS14_
                                        ; -- End function
	.set _ZN7rocprim17ROCPRIM_400000_NS6detail17trampoline_kernelINS0_14default_configENS1_22reduce_config_selectorIN6thrust23THRUST_200600_302600_NS5tupleIblNS6_9null_typeES8_S8_S8_S8_S8_S8_S8_EEEEZNS1_11reduce_implILb1ES3_NS6_12zip_iteratorINS7_INS6_11hip_rocprim26transform_input_iterator_tIbNSD_35transform_pair_of_input_iterators_tIbNS6_6detail15normal_iteratorINS6_10device_ptrIKiEEEESL_NS6_8equal_toIiEEEENSG_9not_fun_tINSD_8identityEEEEENSD_19counting_iterator_tIlEES8_S8_S8_S8_S8_S8_S8_S8_EEEEPS9_S9_NSD_9__find_if7functorIS9_EEEE10hipError_tPvRmT1_T2_T3_mT4_P12ihipStream_tbEUlT_E1_NS1_11comp_targetILNS1_3genE4ELNS1_11target_archE910ELNS1_3gpuE8ELNS1_3repE0EEENS1_30default_config_static_selectorELNS0_4arch9wavefront6targetE0EEEvS14_.num_vgpr, 0
	.set _ZN7rocprim17ROCPRIM_400000_NS6detail17trampoline_kernelINS0_14default_configENS1_22reduce_config_selectorIN6thrust23THRUST_200600_302600_NS5tupleIblNS6_9null_typeES8_S8_S8_S8_S8_S8_S8_EEEEZNS1_11reduce_implILb1ES3_NS6_12zip_iteratorINS7_INS6_11hip_rocprim26transform_input_iterator_tIbNSD_35transform_pair_of_input_iterators_tIbNS6_6detail15normal_iteratorINS6_10device_ptrIKiEEEESL_NS6_8equal_toIiEEEENSG_9not_fun_tINSD_8identityEEEEENSD_19counting_iterator_tIlEES8_S8_S8_S8_S8_S8_S8_S8_EEEEPS9_S9_NSD_9__find_if7functorIS9_EEEE10hipError_tPvRmT1_T2_T3_mT4_P12ihipStream_tbEUlT_E1_NS1_11comp_targetILNS1_3genE4ELNS1_11target_archE910ELNS1_3gpuE8ELNS1_3repE0EEENS1_30default_config_static_selectorELNS0_4arch9wavefront6targetE0EEEvS14_.num_agpr, 0
	.set _ZN7rocprim17ROCPRIM_400000_NS6detail17trampoline_kernelINS0_14default_configENS1_22reduce_config_selectorIN6thrust23THRUST_200600_302600_NS5tupleIblNS6_9null_typeES8_S8_S8_S8_S8_S8_S8_EEEEZNS1_11reduce_implILb1ES3_NS6_12zip_iteratorINS7_INS6_11hip_rocprim26transform_input_iterator_tIbNSD_35transform_pair_of_input_iterators_tIbNS6_6detail15normal_iteratorINS6_10device_ptrIKiEEEESL_NS6_8equal_toIiEEEENSG_9not_fun_tINSD_8identityEEEEENSD_19counting_iterator_tIlEES8_S8_S8_S8_S8_S8_S8_S8_EEEEPS9_S9_NSD_9__find_if7functorIS9_EEEE10hipError_tPvRmT1_T2_T3_mT4_P12ihipStream_tbEUlT_E1_NS1_11comp_targetILNS1_3genE4ELNS1_11target_archE910ELNS1_3gpuE8ELNS1_3repE0EEENS1_30default_config_static_selectorELNS0_4arch9wavefront6targetE0EEEvS14_.numbered_sgpr, 0
	.set _ZN7rocprim17ROCPRIM_400000_NS6detail17trampoline_kernelINS0_14default_configENS1_22reduce_config_selectorIN6thrust23THRUST_200600_302600_NS5tupleIblNS6_9null_typeES8_S8_S8_S8_S8_S8_S8_EEEEZNS1_11reduce_implILb1ES3_NS6_12zip_iteratorINS7_INS6_11hip_rocprim26transform_input_iterator_tIbNSD_35transform_pair_of_input_iterators_tIbNS6_6detail15normal_iteratorINS6_10device_ptrIKiEEEESL_NS6_8equal_toIiEEEENSG_9not_fun_tINSD_8identityEEEEENSD_19counting_iterator_tIlEES8_S8_S8_S8_S8_S8_S8_S8_EEEEPS9_S9_NSD_9__find_if7functorIS9_EEEE10hipError_tPvRmT1_T2_T3_mT4_P12ihipStream_tbEUlT_E1_NS1_11comp_targetILNS1_3genE4ELNS1_11target_archE910ELNS1_3gpuE8ELNS1_3repE0EEENS1_30default_config_static_selectorELNS0_4arch9wavefront6targetE0EEEvS14_.num_named_barrier, 0
	.set _ZN7rocprim17ROCPRIM_400000_NS6detail17trampoline_kernelINS0_14default_configENS1_22reduce_config_selectorIN6thrust23THRUST_200600_302600_NS5tupleIblNS6_9null_typeES8_S8_S8_S8_S8_S8_S8_EEEEZNS1_11reduce_implILb1ES3_NS6_12zip_iteratorINS7_INS6_11hip_rocprim26transform_input_iterator_tIbNSD_35transform_pair_of_input_iterators_tIbNS6_6detail15normal_iteratorINS6_10device_ptrIKiEEEESL_NS6_8equal_toIiEEEENSG_9not_fun_tINSD_8identityEEEEENSD_19counting_iterator_tIlEES8_S8_S8_S8_S8_S8_S8_S8_EEEEPS9_S9_NSD_9__find_if7functorIS9_EEEE10hipError_tPvRmT1_T2_T3_mT4_P12ihipStream_tbEUlT_E1_NS1_11comp_targetILNS1_3genE4ELNS1_11target_archE910ELNS1_3gpuE8ELNS1_3repE0EEENS1_30default_config_static_selectorELNS0_4arch9wavefront6targetE0EEEvS14_.private_seg_size, 0
	.set _ZN7rocprim17ROCPRIM_400000_NS6detail17trampoline_kernelINS0_14default_configENS1_22reduce_config_selectorIN6thrust23THRUST_200600_302600_NS5tupleIblNS6_9null_typeES8_S8_S8_S8_S8_S8_S8_EEEEZNS1_11reduce_implILb1ES3_NS6_12zip_iteratorINS7_INS6_11hip_rocprim26transform_input_iterator_tIbNSD_35transform_pair_of_input_iterators_tIbNS6_6detail15normal_iteratorINS6_10device_ptrIKiEEEESL_NS6_8equal_toIiEEEENSG_9not_fun_tINSD_8identityEEEEENSD_19counting_iterator_tIlEES8_S8_S8_S8_S8_S8_S8_S8_EEEEPS9_S9_NSD_9__find_if7functorIS9_EEEE10hipError_tPvRmT1_T2_T3_mT4_P12ihipStream_tbEUlT_E1_NS1_11comp_targetILNS1_3genE4ELNS1_11target_archE910ELNS1_3gpuE8ELNS1_3repE0EEENS1_30default_config_static_selectorELNS0_4arch9wavefront6targetE0EEEvS14_.uses_vcc, 0
	.set _ZN7rocprim17ROCPRIM_400000_NS6detail17trampoline_kernelINS0_14default_configENS1_22reduce_config_selectorIN6thrust23THRUST_200600_302600_NS5tupleIblNS6_9null_typeES8_S8_S8_S8_S8_S8_S8_EEEEZNS1_11reduce_implILb1ES3_NS6_12zip_iteratorINS7_INS6_11hip_rocprim26transform_input_iterator_tIbNSD_35transform_pair_of_input_iterators_tIbNS6_6detail15normal_iteratorINS6_10device_ptrIKiEEEESL_NS6_8equal_toIiEEEENSG_9not_fun_tINSD_8identityEEEEENSD_19counting_iterator_tIlEES8_S8_S8_S8_S8_S8_S8_S8_EEEEPS9_S9_NSD_9__find_if7functorIS9_EEEE10hipError_tPvRmT1_T2_T3_mT4_P12ihipStream_tbEUlT_E1_NS1_11comp_targetILNS1_3genE4ELNS1_11target_archE910ELNS1_3gpuE8ELNS1_3repE0EEENS1_30default_config_static_selectorELNS0_4arch9wavefront6targetE0EEEvS14_.uses_flat_scratch, 0
	.set _ZN7rocprim17ROCPRIM_400000_NS6detail17trampoline_kernelINS0_14default_configENS1_22reduce_config_selectorIN6thrust23THRUST_200600_302600_NS5tupleIblNS6_9null_typeES8_S8_S8_S8_S8_S8_S8_EEEEZNS1_11reduce_implILb1ES3_NS6_12zip_iteratorINS7_INS6_11hip_rocprim26transform_input_iterator_tIbNSD_35transform_pair_of_input_iterators_tIbNS6_6detail15normal_iteratorINS6_10device_ptrIKiEEEESL_NS6_8equal_toIiEEEENSG_9not_fun_tINSD_8identityEEEEENSD_19counting_iterator_tIlEES8_S8_S8_S8_S8_S8_S8_S8_EEEEPS9_S9_NSD_9__find_if7functorIS9_EEEE10hipError_tPvRmT1_T2_T3_mT4_P12ihipStream_tbEUlT_E1_NS1_11comp_targetILNS1_3genE4ELNS1_11target_archE910ELNS1_3gpuE8ELNS1_3repE0EEENS1_30default_config_static_selectorELNS0_4arch9wavefront6targetE0EEEvS14_.has_dyn_sized_stack, 0
	.set _ZN7rocprim17ROCPRIM_400000_NS6detail17trampoline_kernelINS0_14default_configENS1_22reduce_config_selectorIN6thrust23THRUST_200600_302600_NS5tupleIblNS6_9null_typeES8_S8_S8_S8_S8_S8_S8_EEEEZNS1_11reduce_implILb1ES3_NS6_12zip_iteratorINS7_INS6_11hip_rocprim26transform_input_iterator_tIbNSD_35transform_pair_of_input_iterators_tIbNS6_6detail15normal_iteratorINS6_10device_ptrIKiEEEESL_NS6_8equal_toIiEEEENSG_9not_fun_tINSD_8identityEEEEENSD_19counting_iterator_tIlEES8_S8_S8_S8_S8_S8_S8_S8_EEEEPS9_S9_NSD_9__find_if7functorIS9_EEEE10hipError_tPvRmT1_T2_T3_mT4_P12ihipStream_tbEUlT_E1_NS1_11comp_targetILNS1_3genE4ELNS1_11target_archE910ELNS1_3gpuE8ELNS1_3repE0EEENS1_30default_config_static_selectorELNS0_4arch9wavefront6targetE0EEEvS14_.has_recursion, 0
	.set _ZN7rocprim17ROCPRIM_400000_NS6detail17trampoline_kernelINS0_14default_configENS1_22reduce_config_selectorIN6thrust23THRUST_200600_302600_NS5tupleIblNS6_9null_typeES8_S8_S8_S8_S8_S8_S8_EEEEZNS1_11reduce_implILb1ES3_NS6_12zip_iteratorINS7_INS6_11hip_rocprim26transform_input_iterator_tIbNSD_35transform_pair_of_input_iterators_tIbNS6_6detail15normal_iteratorINS6_10device_ptrIKiEEEESL_NS6_8equal_toIiEEEENSG_9not_fun_tINSD_8identityEEEEENSD_19counting_iterator_tIlEES8_S8_S8_S8_S8_S8_S8_S8_EEEEPS9_S9_NSD_9__find_if7functorIS9_EEEE10hipError_tPvRmT1_T2_T3_mT4_P12ihipStream_tbEUlT_E1_NS1_11comp_targetILNS1_3genE4ELNS1_11target_archE910ELNS1_3gpuE8ELNS1_3repE0EEENS1_30default_config_static_selectorELNS0_4arch9wavefront6targetE0EEEvS14_.has_indirect_call, 0
	.section	.AMDGPU.csdata,"",@progbits
; Kernel info:
; codeLenInByte = 0
; TotalNumSgprs: 0
; NumVgprs: 0
; ScratchSize: 0
; MemoryBound: 0
; FloatMode: 240
; IeeeMode: 1
; LDSByteSize: 0 bytes/workgroup (compile time only)
; SGPRBlocks: 0
; VGPRBlocks: 0
; NumSGPRsForWavesPerEU: 1
; NumVGPRsForWavesPerEU: 1
; Occupancy: 16
; WaveLimiterHint : 0
; COMPUTE_PGM_RSRC2:SCRATCH_EN: 0
; COMPUTE_PGM_RSRC2:USER_SGPR: 6
; COMPUTE_PGM_RSRC2:TRAP_HANDLER: 0
; COMPUTE_PGM_RSRC2:TGID_X_EN: 1
; COMPUTE_PGM_RSRC2:TGID_Y_EN: 0
; COMPUTE_PGM_RSRC2:TGID_Z_EN: 0
; COMPUTE_PGM_RSRC2:TIDIG_COMP_CNT: 0
	.section	.text._ZN7rocprim17ROCPRIM_400000_NS6detail17trampoline_kernelINS0_14default_configENS1_22reduce_config_selectorIN6thrust23THRUST_200600_302600_NS5tupleIblNS6_9null_typeES8_S8_S8_S8_S8_S8_S8_EEEEZNS1_11reduce_implILb1ES3_NS6_12zip_iteratorINS7_INS6_11hip_rocprim26transform_input_iterator_tIbNSD_35transform_pair_of_input_iterators_tIbNS6_6detail15normal_iteratorINS6_10device_ptrIKiEEEESL_NS6_8equal_toIiEEEENSG_9not_fun_tINSD_8identityEEEEENSD_19counting_iterator_tIlEES8_S8_S8_S8_S8_S8_S8_S8_EEEEPS9_S9_NSD_9__find_if7functorIS9_EEEE10hipError_tPvRmT1_T2_T3_mT4_P12ihipStream_tbEUlT_E1_NS1_11comp_targetILNS1_3genE3ELNS1_11target_archE908ELNS1_3gpuE7ELNS1_3repE0EEENS1_30default_config_static_selectorELNS0_4arch9wavefront6targetE0EEEvS14_,"axG",@progbits,_ZN7rocprim17ROCPRIM_400000_NS6detail17trampoline_kernelINS0_14default_configENS1_22reduce_config_selectorIN6thrust23THRUST_200600_302600_NS5tupleIblNS6_9null_typeES8_S8_S8_S8_S8_S8_S8_EEEEZNS1_11reduce_implILb1ES3_NS6_12zip_iteratorINS7_INS6_11hip_rocprim26transform_input_iterator_tIbNSD_35transform_pair_of_input_iterators_tIbNS6_6detail15normal_iteratorINS6_10device_ptrIKiEEEESL_NS6_8equal_toIiEEEENSG_9not_fun_tINSD_8identityEEEEENSD_19counting_iterator_tIlEES8_S8_S8_S8_S8_S8_S8_S8_EEEEPS9_S9_NSD_9__find_if7functorIS9_EEEE10hipError_tPvRmT1_T2_T3_mT4_P12ihipStream_tbEUlT_E1_NS1_11comp_targetILNS1_3genE3ELNS1_11target_archE908ELNS1_3gpuE7ELNS1_3repE0EEENS1_30default_config_static_selectorELNS0_4arch9wavefront6targetE0EEEvS14_,comdat
	.protected	_ZN7rocprim17ROCPRIM_400000_NS6detail17trampoline_kernelINS0_14default_configENS1_22reduce_config_selectorIN6thrust23THRUST_200600_302600_NS5tupleIblNS6_9null_typeES8_S8_S8_S8_S8_S8_S8_EEEEZNS1_11reduce_implILb1ES3_NS6_12zip_iteratorINS7_INS6_11hip_rocprim26transform_input_iterator_tIbNSD_35transform_pair_of_input_iterators_tIbNS6_6detail15normal_iteratorINS6_10device_ptrIKiEEEESL_NS6_8equal_toIiEEEENSG_9not_fun_tINSD_8identityEEEEENSD_19counting_iterator_tIlEES8_S8_S8_S8_S8_S8_S8_S8_EEEEPS9_S9_NSD_9__find_if7functorIS9_EEEE10hipError_tPvRmT1_T2_T3_mT4_P12ihipStream_tbEUlT_E1_NS1_11comp_targetILNS1_3genE3ELNS1_11target_archE908ELNS1_3gpuE7ELNS1_3repE0EEENS1_30default_config_static_selectorELNS0_4arch9wavefront6targetE0EEEvS14_ ; -- Begin function _ZN7rocprim17ROCPRIM_400000_NS6detail17trampoline_kernelINS0_14default_configENS1_22reduce_config_selectorIN6thrust23THRUST_200600_302600_NS5tupleIblNS6_9null_typeES8_S8_S8_S8_S8_S8_S8_EEEEZNS1_11reduce_implILb1ES3_NS6_12zip_iteratorINS7_INS6_11hip_rocprim26transform_input_iterator_tIbNSD_35transform_pair_of_input_iterators_tIbNS6_6detail15normal_iteratorINS6_10device_ptrIKiEEEESL_NS6_8equal_toIiEEEENSG_9not_fun_tINSD_8identityEEEEENSD_19counting_iterator_tIlEES8_S8_S8_S8_S8_S8_S8_S8_EEEEPS9_S9_NSD_9__find_if7functorIS9_EEEE10hipError_tPvRmT1_T2_T3_mT4_P12ihipStream_tbEUlT_E1_NS1_11comp_targetILNS1_3genE3ELNS1_11target_archE908ELNS1_3gpuE7ELNS1_3repE0EEENS1_30default_config_static_selectorELNS0_4arch9wavefront6targetE0EEEvS14_
	.globl	_ZN7rocprim17ROCPRIM_400000_NS6detail17trampoline_kernelINS0_14default_configENS1_22reduce_config_selectorIN6thrust23THRUST_200600_302600_NS5tupleIblNS6_9null_typeES8_S8_S8_S8_S8_S8_S8_EEEEZNS1_11reduce_implILb1ES3_NS6_12zip_iteratorINS7_INS6_11hip_rocprim26transform_input_iterator_tIbNSD_35transform_pair_of_input_iterators_tIbNS6_6detail15normal_iteratorINS6_10device_ptrIKiEEEESL_NS6_8equal_toIiEEEENSG_9not_fun_tINSD_8identityEEEEENSD_19counting_iterator_tIlEES8_S8_S8_S8_S8_S8_S8_S8_EEEEPS9_S9_NSD_9__find_if7functorIS9_EEEE10hipError_tPvRmT1_T2_T3_mT4_P12ihipStream_tbEUlT_E1_NS1_11comp_targetILNS1_3genE3ELNS1_11target_archE908ELNS1_3gpuE7ELNS1_3repE0EEENS1_30default_config_static_selectorELNS0_4arch9wavefront6targetE0EEEvS14_
	.p2align	8
	.type	_ZN7rocprim17ROCPRIM_400000_NS6detail17trampoline_kernelINS0_14default_configENS1_22reduce_config_selectorIN6thrust23THRUST_200600_302600_NS5tupleIblNS6_9null_typeES8_S8_S8_S8_S8_S8_S8_EEEEZNS1_11reduce_implILb1ES3_NS6_12zip_iteratorINS7_INS6_11hip_rocprim26transform_input_iterator_tIbNSD_35transform_pair_of_input_iterators_tIbNS6_6detail15normal_iteratorINS6_10device_ptrIKiEEEESL_NS6_8equal_toIiEEEENSG_9not_fun_tINSD_8identityEEEEENSD_19counting_iterator_tIlEES8_S8_S8_S8_S8_S8_S8_S8_EEEEPS9_S9_NSD_9__find_if7functorIS9_EEEE10hipError_tPvRmT1_T2_T3_mT4_P12ihipStream_tbEUlT_E1_NS1_11comp_targetILNS1_3genE3ELNS1_11target_archE908ELNS1_3gpuE7ELNS1_3repE0EEENS1_30default_config_static_selectorELNS0_4arch9wavefront6targetE0EEEvS14_,@function
_ZN7rocprim17ROCPRIM_400000_NS6detail17trampoline_kernelINS0_14default_configENS1_22reduce_config_selectorIN6thrust23THRUST_200600_302600_NS5tupleIblNS6_9null_typeES8_S8_S8_S8_S8_S8_S8_EEEEZNS1_11reduce_implILb1ES3_NS6_12zip_iteratorINS7_INS6_11hip_rocprim26transform_input_iterator_tIbNSD_35transform_pair_of_input_iterators_tIbNS6_6detail15normal_iteratorINS6_10device_ptrIKiEEEESL_NS6_8equal_toIiEEEENSG_9not_fun_tINSD_8identityEEEEENSD_19counting_iterator_tIlEES8_S8_S8_S8_S8_S8_S8_S8_EEEEPS9_S9_NSD_9__find_if7functorIS9_EEEE10hipError_tPvRmT1_T2_T3_mT4_P12ihipStream_tbEUlT_E1_NS1_11comp_targetILNS1_3genE3ELNS1_11target_archE908ELNS1_3gpuE7ELNS1_3repE0EEENS1_30default_config_static_selectorELNS0_4arch9wavefront6targetE0EEEvS14_: ; @_ZN7rocprim17ROCPRIM_400000_NS6detail17trampoline_kernelINS0_14default_configENS1_22reduce_config_selectorIN6thrust23THRUST_200600_302600_NS5tupleIblNS6_9null_typeES8_S8_S8_S8_S8_S8_S8_EEEEZNS1_11reduce_implILb1ES3_NS6_12zip_iteratorINS7_INS6_11hip_rocprim26transform_input_iterator_tIbNSD_35transform_pair_of_input_iterators_tIbNS6_6detail15normal_iteratorINS6_10device_ptrIKiEEEESL_NS6_8equal_toIiEEEENSG_9not_fun_tINSD_8identityEEEEENSD_19counting_iterator_tIlEES8_S8_S8_S8_S8_S8_S8_S8_EEEEPS9_S9_NSD_9__find_if7functorIS9_EEEE10hipError_tPvRmT1_T2_T3_mT4_P12ihipStream_tbEUlT_E1_NS1_11comp_targetILNS1_3genE3ELNS1_11target_archE908ELNS1_3gpuE7ELNS1_3repE0EEENS1_30default_config_static_selectorELNS0_4arch9wavefront6targetE0EEEvS14_
; %bb.0:
	.section	.rodata,"a",@progbits
	.p2align	6, 0x0
	.amdhsa_kernel _ZN7rocprim17ROCPRIM_400000_NS6detail17trampoline_kernelINS0_14default_configENS1_22reduce_config_selectorIN6thrust23THRUST_200600_302600_NS5tupleIblNS6_9null_typeES8_S8_S8_S8_S8_S8_S8_EEEEZNS1_11reduce_implILb1ES3_NS6_12zip_iteratorINS7_INS6_11hip_rocprim26transform_input_iterator_tIbNSD_35transform_pair_of_input_iterators_tIbNS6_6detail15normal_iteratorINS6_10device_ptrIKiEEEESL_NS6_8equal_toIiEEEENSG_9not_fun_tINSD_8identityEEEEENSD_19counting_iterator_tIlEES8_S8_S8_S8_S8_S8_S8_S8_EEEEPS9_S9_NSD_9__find_if7functorIS9_EEEE10hipError_tPvRmT1_T2_T3_mT4_P12ihipStream_tbEUlT_E1_NS1_11comp_targetILNS1_3genE3ELNS1_11target_archE908ELNS1_3gpuE7ELNS1_3repE0EEENS1_30default_config_static_selectorELNS0_4arch9wavefront6targetE0EEEvS14_
		.amdhsa_group_segment_fixed_size 0
		.amdhsa_private_segment_fixed_size 0
		.amdhsa_kernarg_size 88
		.amdhsa_user_sgpr_count 6
		.amdhsa_user_sgpr_private_segment_buffer 1
		.amdhsa_user_sgpr_dispatch_ptr 0
		.amdhsa_user_sgpr_queue_ptr 0
		.amdhsa_user_sgpr_kernarg_segment_ptr 1
		.amdhsa_user_sgpr_dispatch_id 0
		.amdhsa_user_sgpr_flat_scratch_init 0
		.amdhsa_user_sgpr_private_segment_size 0
		.amdhsa_wavefront_size32 1
		.amdhsa_uses_dynamic_stack 0
		.amdhsa_system_sgpr_private_segment_wavefront_offset 0
		.amdhsa_system_sgpr_workgroup_id_x 1
		.amdhsa_system_sgpr_workgroup_id_y 0
		.amdhsa_system_sgpr_workgroup_id_z 0
		.amdhsa_system_sgpr_workgroup_info 0
		.amdhsa_system_vgpr_workitem_id 0
		.amdhsa_next_free_vgpr 1
		.amdhsa_next_free_sgpr 1
		.amdhsa_reserve_vcc 0
		.amdhsa_reserve_flat_scratch 0
		.amdhsa_float_round_mode_32 0
		.amdhsa_float_round_mode_16_64 0
		.amdhsa_float_denorm_mode_32 3
		.amdhsa_float_denorm_mode_16_64 3
		.amdhsa_dx10_clamp 1
		.amdhsa_ieee_mode 1
		.amdhsa_fp16_overflow 0
		.amdhsa_workgroup_processor_mode 1
		.amdhsa_memory_ordered 1
		.amdhsa_forward_progress 1
		.amdhsa_shared_vgpr_count 0
		.amdhsa_exception_fp_ieee_invalid_op 0
		.amdhsa_exception_fp_denorm_src 0
		.amdhsa_exception_fp_ieee_div_zero 0
		.amdhsa_exception_fp_ieee_overflow 0
		.amdhsa_exception_fp_ieee_underflow 0
		.amdhsa_exception_fp_ieee_inexact 0
		.amdhsa_exception_int_div_zero 0
	.end_amdhsa_kernel
	.section	.text._ZN7rocprim17ROCPRIM_400000_NS6detail17trampoline_kernelINS0_14default_configENS1_22reduce_config_selectorIN6thrust23THRUST_200600_302600_NS5tupleIblNS6_9null_typeES8_S8_S8_S8_S8_S8_S8_EEEEZNS1_11reduce_implILb1ES3_NS6_12zip_iteratorINS7_INS6_11hip_rocprim26transform_input_iterator_tIbNSD_35transform_pair_of_input_iterators_tIbNS6_6detail15normal_iteratorINS6_10device_ptrIKiEEEESL_NS6_8equal_toIiEEEENSG_9not_fun_tINSD_8identityEEEEENSD_19counting_iterator_tIlEES8_S8_S8_S8_S8_S8_S8_S8_EEEEPS9_S9_NSD_9__find_if7functorIS9_EEEE10hipError_tPvRmT1_T2_T3_mT4_P12ihipStream_tbEUlT_E1_NS1_11comp_targetILNS1_3genE3ELNS1_11target_archE908ELNS1_3gpuE7ELNS1_3repE0EEENS1_30default_config_static_selectorELNS0_4arch9wavefront6targetE0EEEvS14_,"axG",@progbits,_ZN7rocprim17ROCPRIM_400000_NS6detail17trampoline_kernelINS0_14default_configENS1_22reduce_config_selectorIN6thrust23THRUST_200600_302600_NS5tupleIblNS6_9null_typeES8_S8_S8_S8_S8_S8_S8_EEEEZNS1_11reduce_implILb1ES3_NS6_12zip_iteratorINS7_INS6_11hip_rocprim26transform_input_iterator_tIbNSD_35transform_pair_of_input_iterators_tIbNS6_6detail15normal_iteratorINS6_10device_ptrIKiEEEESL_NS6_8equal_toIiEEEENSG_9not_fun_tINSD_8identityEEEEENSD_19counting_iterator_tIlEES8_S8_S8_S8_S8_S8_S8_S8_EEEEPS9_S9_NSD_9__find_if7functorIS9_EEEE10hipError_tPvRmT1_T2_T3_mT4_P12ihipStream_tbEUlT_E1_NS1_11comp_targetILNS1_3genE3ELNS1_11target_archE908ELNS1_3gpuE7ELNS1_3repE0EEENS1_30default_config_static_selectorELNS0_4arch9wavefront6targetE0EEEvS14_,comdat
.Lfunc_end498:
	.size	_ZN7rocprim17ROCPRIM_400000_NS6detail17trampoline_kernelINS0_14default_configENS1_22reduce_config_selectorIN6thrust23THRUST_200600_302600_NS5tupleIblNS6_9null_typeES8_S8_S8_S8_S8_S8_S8_EEEEZNS1_11reduce_implILb1ES3_NS6_12zip_iteratorINS7_INS6_11hip_rocprim26transform_input_iterator_tIbNSD_35transform_pair_of_input_iterators_tIbNS6_6detail15normal_iteratorINS6_10device_ptrIKiEEEESL_NS6_8equal_toIiEEEENSG_9not_fun_tINSD_8identityEEEEENSD_19counting_iterator_tIlEES8_S8_S8_S8_S8_S8_S8_S8_EEEEPS9_S9_NSD_9__find_if7functorIS9_EEEE10hipError_tPvRmT1_T2_T3_mT4_P12ihipStream_tbEUlT_E1_NS1_11comp_targetILNS1_3genE3ELNS1_11target_archE908ELNS1_3gpuE7ELNS1_3repE0EEENS1_30default_config_static_selectorELNS0_4arch9wavefront6targetE0EEEvS14_, .Lfunc_end498-_ZN7rocprim17ROCPRIM_400000_NS6detail17trampoline_kernelINS0_14default_configENS1_22reduce_config_selectorIN6thrust23THRUST_200600_302600_NS5tupleIblNS6_9null_typeES8_S8_S8_S8_S8_S8_S8_EEEEZNS1_11reduce_implILb1ES3_NS6_12zip_iteratorINS7_INS6_11hip_rocprim26transform_input_iterator_tIbNSD_35transform_pair_of_input_iterators_tIbNS6_6detail15normal_iteratorINS6_10device_ptrIKiEEEESL_NS6_8equal_toIiEEEENSG_9not_fun_tINSD_8identityEEEEENSD_19counting_iterator_tIlEES8_S8_S8_S8_S8_S8_S8_S8_EEEEPS9_S9_NSD_9__find_if7functorIS9_EEEE10hipError_tPvRmT1_T2_T3_mT4_P12ihipStream_tbEUlT_E1_NS1_11comp_targetILNS1_3genE3ELNS1_11target_archE908ELNS1_3gpuE7ELNS1_3repE0EEENS1_30default_config_static_selectorELNS0_4arch9wavefront6targetE0EEEvS14_
                                        ; -- End function
	.set _ZN7rocprim17ROCPRIM_400000_NS6detail17trampoline_kernelINS0_14default_configENS1_22reduce_config_selectorIN6thrust23THRUST_200600_302600_NS5tupleIblNS6_9null_typeES8_S8_S8_S8_S8_S8_S8_EEEEZNS1_11reduce_implILb1ES3_NS6_12zip_iteratorINS7_INS6_11hip_rocprim26transform_input_iterator_tIbNSD_35transform_pair_of_input_iterators_tIbNS6_6detail15normal_iteratorINS6_10device_ptrIKiEEEESL_NS6_8equal_toIiEEEENSG_9not_fun_tINSD_8identityEEEEENSD_19counting_iterator_tIlEES8_S8_S8_S8_S8_S8_S8_S8_EEEEPS9_S9_NSD_9__find_if7functorIS9_EEEE10hipError_tPvRmT1_T2_T3_mT4_P12ihipStream_tbEUlT_E1_NS1_11comp_targetILNS1_3genE3ELNS1_11target_archE908ELNS1_3gpuE7ELNS1_3repE0EEENS1_30default_config_static_selectorELNS0_4arch9wavefront6targetE0EEEvS14_.num_vgpr, 0
	.set _ZN7rocprim17ROCPRIM_400000_NS6detail17trampoline_kernelINS0_14default_configENS1_22reduce_config_selectorIN6thrust23THRUST_200600_302600_NS5tupleIblNS6_9null_typeES8_S8_S8_S8_S8_S8_S8_EEEEZNS1_11reduce_implILb1ES3_NS6_12zip_iteratorINS7_INS6_11hip_rocprim26transform_input_iterator_tIbNSD_35transform_pair_of_input_iterators_tIbNS6_6detail15normal_iteratorINS6_10device_ptrIKiEEEESL_NS6_8equal_toIiEEEENSG_9not_fun_tINSD_8identityEEEEENSD_19counting_iterator_tIlEES8_S8_S8_S8_S8_S8_S8_S8_EEEEPS9_S9_NSD_9__find_if7functorIS9_EEEE10hipError_tPvRmT1_T2_T3_mT4_P12ihipStream_tbEUlT_E1_NS1_11comp_targetILNS1_3genE3ELNS1_11target_archE908ELNS1_3gpuE7ELNS1_3repE0EEENS1_30default_config_static_selectorELNS0_4arch9wavefront6targetE0EEEvS14_.num_agpr, 0
	.set _ZN7rocprim17ROCPRIM_400000_NS6detail17trampoline_kernelINS0_14default_configENS1_22reduce_config_selectorIN6thrust23THRUST_200600_302600_NS5tupleIblNS6_9null_typeES8_S8_S8_S8_S8_S8_S8_EEEEZNS1_11reduce_implILb1ES3_NS6_12zip_iteratorINS7_INS6_11hip_rocprim26transform_input_iterator_tIbNSD_35transform_pair_of_input_iterators_tIbNS6_6detail15normal_iteratorINS6_10device_ptrIKiEEEESL_NS6_8equal_toIiEEEENSG_9not_fun_tINSD_8identityEEEEENSD_19counting_iterator_tIlEES8_S8_S8_S8_S8_S8_S8_S8_EEEEPS9_S9_NSD_9__find_if7functorIS9_EEEE10hipError_tPvRmT1_T2_T3_mT4_P12ihipStream_tbEUlT_E1_NS1_11comp_targetILNS1_3genE3ELNS1_11target_archE908ELNS1_3gpuE7ELNS1_3repE0EEENS1_30default_config_static_selectorELNS0_4arch9wavefront6targetE0EEEvS14_.numbered_sgpr, 0
	.set _ZN7rocprim17ROCPRIM_400000_NS6detail17trampoline_kernelINS0_14default_configENS1_22reduce_config_selectorIN6thrust23THRUST_200600_302600_NS5tupleIblNS6_9null_typeES8_S8_S8_S8_S8_S8_S8_EEEEZNS1_11reduce_implILb1ES3_NS6_12zip_iteratorINS7_INS6_11hip_rocprim26transform_input_iterator_tIbNSD_35transform_pair_of_input_iterators_tIbNS6_6detail15normal_iteratorINS6_10device_ptrIKiEEEESL_NS6_8equal_toIiEEEENSG_9not_fun_tINSD_8identityEEEEENSD_19counting_iterator_tIlEES8_S8_S8_S8_S8_S8_S8_S8_EEEEPS9_S9_NSD_9__find_if7functorIS9_EEEE10hipError_tPvRmT1_T2_T3_mT4_P12ihipStream_tbEUlT_E1_NS1_11comp_targetILNS1_3genE3ELNS1_11target_archE908ELNS1_3gpuE7ELNS1_3repE0EEENS1_30default_config_static_selectorELNS0_4arch9wavefront6targetE0EEEvS14_.num_named_barrier, 0
	.set _ZN7rocprim17ROCPRIM_400000_NS6detail17trampoline_kernelINS0_14default_configENS1_22reduce_config_selectorIN6thrust23THRUST_200600_302600_NS5tupleIblNS6_9null_typeES8_S8_S8_S8_S8_S8_S8_EEEEZNS1_11reduce_implILb1ES3_NS6_12zip_iteratorINS7_INS6_11hip_rocprim26transform_input_iterator_tIbNSD_35transform_pair_of_input_iterators_tIbNS6_6detail15normal_iteratorINS6_10device_ptrIKiEEEESL_NS6_8equal_toIiEEEENSG_9not_fun_tINSD_8identityEEEEENSD_19counting_iterator_tIlEES8_S8_S8_S8_S8_S8_S8_S8_EEEEPS9_S9_NSD_9__find_if7functorIS9_EEEE10hipError_tPvRmT1_T2_T3_mT4_P12ihipStream_tbEUlT_E1_NS1_11comp_targetILNS1_3genE3ELNS1_11target_archE908ELNS1_3gpuE7ELNS1_3repE0EEENS1_30default_config_static_selectorELNS0_4arch9wavefront6targetE0EEEvS14_.private_seg_size, 0
	.set _ZN7rocprim17ROCPRIM_400000_NS6detail17trampoline_kernelINS0_14default_configENS1_22reduce_config_selectorIN6thrust23THRUST_200600_302600_NS5tupleIblNS6_9null_typeES8_S8_S8_S8_S8_S8_S8_EEEEZNS1_11reduce_implILb1ES3_NS6_12zip_iteratorINS7_INS6_11hip_rocprim26transform_input_iterator_tIbNSD_35transform_pair_of_input_iterators_tIbNS6_6detail15normal_iteratorINS6_10device_ptrIKiEEEESL_NS6_8equal_toIiEEEENSG_9not_fun_tINSD_8identityEEEEENSD_19counting_iterator_tIlEES8_S8_S8_S8_S8_S8_S8_S8_EEEEPS9_S9_NSD_9__find_if7functorIS9_EEEE10hipError_tPvRmT1_T2_T3_mT4_P12ihipStream_tbEUlT_E1_NS1_11comp_targetILNS1_3genE3ELNS1_11target_archE908ELNS1_3gpuE7ELNS1_3repE0EEENS1_30default_config_static_selectorELNS0_4arch9wavefront6targetE0EEEvS14_.uses_vcc, 0
	.set _ZN7rocprim17ROCPRIM_400000_NS6detail17trampoline_kernelINS0_14default_configENS1_22reduce_config_selectorIN6thrust23THRUST_200600_302600_NS5tupleIblNS6_9null_typeES8_S8_S8_S8_S8_S8_S8_EEEEZNS1_11reduce_implILb1ES3_NS6_12zip_iteratorINS7_INS6_11hip_rocprim26transform_input_iterator_tIbNSD_35transform_pair_of_input_iterators_tIbNS6_6detail15normal_iteratorINS6_10device_ptrIKiEEEESL_NS6_8equal_toIiEEEENSG_9not_fun_tINSD_8identityEEEEENSD_19counting_iterator_tIlEES8_S8_S8_S8_S8_S8_S8_S8_EEEEPS9_S9_NSD_9__find_if7functorIS9_EEEE10hipError_tPvRmT1_T2_T3_mT4_P12ihipStream_tbEUlT_E1_NS1_11comp_targetILNS1_3genE3ELNS1_11target_archE908ELNS1_3gpuE7ELNS1_3repE0EEENS1_30default_config_static_selectorELNS0_4arch9wavefront6targetE0EEEvS14_.uses_flat_scratch, 0
	.set _ZN7rocprim17ROCPRIM_400000_NS6detail17trampoline_kernelINS0_14default_configENS1_22reduce_config_selectorIN6thrust23THRUST_200600_302600_NS5tupleIblNS6_9null_typeES8_S8_S8_S8_S8_S8_S8_EEEEZNS1_11reduce_implILb1ES3_NS6_12zip_iteratorINS7_INS6_11hip_rocprim26transform_input_iterator_tIbNSD_35transform_pair_of_input_iterators_tIbNS6_6detail15normal_iteratorINS6_10device_ptrIKiEEEESL_NS6_8equal_toIiEEEENSG_9not_fun_tINSD_8identityEEEEENSD_19counting_iterator_tIlEES8_S8_S8_S8_S8_S8_S8_S8_EEEEPS9_S9_NSD_9__find_if7functorIS9_EEEE10hipError_tPvRmT1_T2_T3_mT4_P12ihipStream_tbEUlT_E1_NS1_11comp_targetILNS1_3genE3ELNS1_11target_archE908ELNS1_3gpuE7ELNS1_3repE0EEENS1_30default_config_static_selectorELNS0_4arch9wavefront6targetE0EEEvS14_.has_dyn_sized_stack, 0
	.set _ZN7rocprim17ROCPRIM_400000_NS6detail17trampoline_kernelINS0_14default_configENS1_22reduce_config_selectorIN6thrust23THRUST_200600_302600_NS5tupleIblNS6_9null_typeES8_S8_S8_S8_S8_S8_S8_EEEEZNS1_11reduce_implILb1ES3_NS6_12zip_iteratorINS7_INS6_11hip_rocprim26transform_input_iterator_tIbNSD_35transform_pair_of_input_iterators_tIbNS6_6detail15normal_iteratorINS6_10device_ptrIKiEEEESL_NS6_8equal_toIiEEEENSG_9not_fun_tINSD_8identityEEEEENSD_19counting_iterator_tIlEES8_S8_S8_S8_S8_S8_S8_S8_EEEEPS9_S9_NSD_9__find_if7functorIS9_EEEE10hipError_tPvRmT1_T2_T3_mT4_P12ihipStream_tbEUlT_E1_NS1_11comp_targetILNS1_3genE3ELNS1_11target_archE908ELNS1_3gpuE7ELNS1_3repE0EEENS1_30default_config_static_selectorELNS0_4arch9wavefront6targetE0EEEvS14_.has_recursion, 0
	.set _ZN7rocprim17ROCPRIM_400000_NS6detail17trampoline_kernelINS0_14default_configENS1_22reduce_config_selectorIN6thrust23THRUST_200600_302600_NS5tupleIblNS6_9null_typeES8_S8_S8_S8_S8_S8_S8_EEEEZNS1_11reduce_implILb1ES3_NS6_12zip_iteratorINS7_INS6_11hip_rocprim26transform_input_iterator_tIbNSD_35transform_pair_of_input_iterators_tIbNS6_6detail15normal_iteratorINS6_10device_ptrIKiEEEESL_NS6_8equal_toIiEEEENSG_9not_fun_tINSD_8identityEEEEENSD_19counting_iterator_tIlEES8_S8_S8_S8_S8_S8_S8_S8_EEEEPS9_S9_NSD_9__find_if7functorIS9_EEEE10hipError_tPvRmT1_T2_T3_mT4_P12ihipStream_tbEUlT_E1_NS1_11comp_targetILNS1_3genE3ELNS1_11target_archE908ELNS1_3gpuE7ELNS1_3repE0EEENS1_30default_config_static_selectorELNS0_4arch9wavefront6targetE0EEEvS14_.has_indirect_call, 0
	.section	.AMDGPU.csdata,"",@progbits
; Kernel info:
; codeLenInByte = 0
; TotalNumSgprs: 0
; NumVgprs: 0
; ScratchSize: 0
; MemoryBound: 0
; FloatMode: 240
; IeeeMode: 1
; LDSByteSize: 0 bytes/workgroup (compile time only)
; SGPRBlocks: 0
; VGPRBlocks: 0
; NumSGPRsForWavesPerEU: 1
; NumVGPRsForWavesPerEU: 1
; Occupancy: 16
; WaveLimiterHint : 0
; COMPUTE_PGM_RSRC2:SCRATCH_EN: 0
; COMPUTE_PGM_RSRC2:USER_SGPR: 6
; COMPUTE_PGM_RSRC2:TRAP_HANDLER: 0
; COMPUTE_PGM_RSRC2:TGID_X_EN: 1
; COMPUTE_PGM_RSRC2:TGID_Y_EN: 0
; COMPUTE_PGM_RSRC2:TGID_Z_EN: 0
; COMPUTE_PGM_RSRC2:TIDIG_COMP_CNT: 0
	.section	.text._ZN7rocprim17ROCPRIM_400000_NS6detail17trampoline_kernelINS0_14default_configENS1_22reduce_config_selectorIN6thrust23THRUST_200600_302600_NS5tupleIblNS6_9null_typeES8_S8_S8_S8_S8_S8_S8_EEEEZNS1_11reduce_implILb1ES3_NS6_12zip_iteratorINS7_INS6_11hip_rocprim26transform_input_iterator_tIbNSD_35transform_pair_of_input_iterators_tIbNS6_6detail15normal_iteratorINS6_10device_ptrIKiEEEESL_NS6_8equal_toIiEEEENSG_9not_fun_tINSD_8identityEEEEENSD_19counting_iterator_tIlEES8_S8_S8_S8_S8_S8_S8_S8_EEEEPS9_S9_NSD_9__find_if7functorIS9_EEEE10hipError_tPvRmT1_T2_T3_mT4_P12ihipStream_tbEUlT_E1_NS1_11comp_targetILNS1_3genE2ELNS1_11target_archE906ELNS1_3gpuE6ELNS1_3repE0EEENS1_30default_config_static_selectorELNS0_4arch9wavefront6targetE0EEEvS14_,"axG",@progbits,_ZN7rocprim17ROCPRIM_400000_NS6detail17trampoline_kernelINS0_14default_configENS1_22reduce_config_selectorIN6thrust23THRUST_200600_302600_NS5tupleIblNS6_9null_typeES8_S8_S8_S8_S8_S8_S8_EEEEZNS1_11reduce_implILb1ES3_NS6_12zip_iteratorINS7_INS6_11hip_rocprim26transform_input_iterator_tIbNSD_35transform_pair_of_input_iterators_tIbNS6_6detail15normal_iteratorINS6_10device_ptrIKiEEEESL_NS6_8equal_toIiEEEENSG_9not_fun_tINSD_8identityEEEEENSD_19counting_iterator_tIlEES8_S8_S8_S8_S8_S8_S8_S8_EEEEPS9_S9_NSD_9__find_if7functorIS9_EEEE10hipError_tPvRmT1_T2_T3_mT4_P12ihipStream_tbEUlT_E1_NS1_11comp_targetILNS1_3genE2ELNS1_11target_archE906ELNS1_3gpuE6ELNS1_3repE0EEENS1_30default_config_static_selectorELNS0_4arch9wavefront6targetE0EEEvS14_,comdat
	.protected	_ZN7rocprim17ROCPRIM_400000_NS6detail17trampoline_kernelINS0_14default_configENS1_22reduce_config_selectorIN6thrust23THRUST_200600_302600_NS5tupleIblNS6_9null_typeES8_S8_S8_S8_S8_S8_S8_EEEEZNS1_11reduce_implILb1ES3_NS6_12zip_iteratorINS7_INS6_11hip_rocprim26transform_input_iterator_tIbNSD_35transform_pair_of_input_iterators_tIbNS6_6detail15normal_iteratorINS6_10device_ptrIKiEEEESL_NS6_8equal_toIiEEEENSG_9not_fun_tINSD_8identityEEEEENSD_19counting_iterator_tIlEES8_S8_S8_S8_S8_S8_S8_S8_EEEEPS9_S9_NSD_9__find_if7functorIS9_EEEE10hipError_tPvRmT1_T2_T3_mT4_P12ihipStream_tbEUlT_E1_NS1_11comp_targetILNS1_3genE2ELNS1_11target_archE906ELNS1_3gpuE6ELNS1_3repE0EEENS1_30default_config_static_selectorELNS0_4arch9wavefront6targetE0EEEvS14_ ; -- Begin function _ZN7rocprim17ROCPRIM_400000_NS6detail17trampoline_kernelINS0_14default_configENS1_22reduce_config_selectorIN6thrust23THRUST_200600_302600_NS5tupleIblNS6_9null_typeES8_S8_S8_S8_S8_S8_S8_EEEEZNS1_11reduce_implILb1ES3_NS6_12zip_iteratorINS7_INS6_11hip_rocprim26transform_input_iterator_tIbNSD_35transform_pair_of_input_iterators_tIbNS6_6detail15normal_iteratorINS6_10device_ptrIKiEEEESL_NS6_8equal_toIiEEEENSG_9not_fun_tINSD_8identityEEEEENSD_19counting_iterator_tIlEES8_S8_S8_S8_S8_S8_S8_S8_EEEEPS9_S9_NSD_9__find_if7functorIS9_EEEE10hipError_tPvRmT1_T2_T3_mT4_P12ihipStream_tbEUlT_E1_NS1_11comp_targetILNS1_3genE2ELNS1_11target_archE906ELNS1_3gpuE6ELNS1_3repE0EEENS1_30default_config_static_selectorELNS0_4arch9wavefront6targetE0EEEvS14_
	.globl	_ZN7rocprim17ROCPRIM_400000_NS6detail17trampoline_kernelINS0_14default_configENS1_22reduce_config_selectorIN6thrust23THRUST_200600_302600_NS5tupleIblNS6_9null_typeES8_S8_S8_S8_S8_S8_S8_EEEEZNS1_11reduce_implILb1ES3_NS6_12zip_iteratorINS7_INS6_11hip_rocprim26transform_input_iterator_tIbNSD_35transform_pair_of_input_iterators_tIbNS6_6detail15normal_iteratorINS6_10device_ptrIKiEEEESL_NS6_8equal_toIiEEEENSG_9not_fun_tINSD_8identityEEEEENSD_19counting_iterator_tIlEES8_S8_S8_S8_S8_S8_S8_S8_EEEEPS9_S9_NSD_9__find_if7functorIS9_EEEE10hipError_tPvRmT1_T2_T3_mT4_P12ihipStream_tbEUlT_E1_NS1_11comp_targetILNS1_3genE2ELNS1_11target_archE906ELNS1_3gpuE6ELNS1_3repE0EEENS1_30default_config_static_selectorELNS0_4arch9wavefront6targetE0EEEvS14_
	.p2align	8
	.type	_ZN7rocprim17ROCPRIM_400000_NS6detail17trampoline_kernelINS0_14default_configENS1_22reduce_config_selectorIN6thrust23THRUST_200600_302600_NS5tupleIblNS6_9null_typeES8_S8_S8_S8_S8_S8_S8_EEEEZNS1_11reduce_implILb1ES3_NS6_12zip_iteratorINS7_INS6_11hip_rocprim26transform_input_iterator_tIbNSD_35transform_pair_of_input_iterators_tIbNS6_6detail15normal_iteratorINS6_10device_ptrIKiEEEESL_NS6_8equal_toIiEEEENSG_9not_fun_tINSD_8identityEEEEENSD_19counting_iterator_tIlEES8_S8_S8_S8_S8_S8_S8_S8_EEEEPS9_S9_NSD_9__find_if7functorIS9_EEEE10hipError_tPvRmT1_T2_T3_mT4_P12ihipStream_tbEUlT_E1_NS1_11comp_targetILNS1_3genE2ELNS1_11target_archE906ELNS1_3gpuE6ELNS1_3repE0EEENS1_30default_config_static_selectorELNS0_4arch9wavefront6targetE0EEEvS14_,@function
_ZN7rocprim17ROCPRIM_400000_NS6detail17trampoline_kernelINS0_14default_configENS1_22reduce_config_selectorIN6thrust23THRUST_200600_302600_NS5tupleIblNS6_9null_typeES8_S8_S8_S8_S8_S8_S8_EEEEZNS1_11reduce_implILb1ES3_NS6_12zip_iteratorINS7_INS6_11hip_rocprim26transform_input_iterator_tIbNSD_35transform_pair_of_input_iterators_tIbNS6_6detail15normal_iteratorINS6_10device_ptrIKiEEEESL_NS6_8equal_toIiEEEENSG_9not_fun_tINSD_8identityEEEEENSD_19counting_iterator_tIlEES8_S8_S8_S8_S8_S8_S8_S8_EEEEPS9_S9_NSD_9__find_if7functorIS9_EEEE10hipError_tPvRmT1_T2_T3_mT4_P12ihipStream_tbEUlT_E1_NS1_11comp_targetILNS1_3genE2ELNS1_11target_archE906ELNS1_3gpuE6ELNS1_3repE0EEENS1_30default_config_static_selectorELNS0_4arch9wavefront6targetE0EEEvS14_: ; @_ZN7rocprim17ROCPRIM_400000_NS6detail17trampoline_kernelINS0_14default_configENS1_22reduce_config_selectorIN6thrust23THRUST_200600_302600_NS5tupleIblNS6_9null_typeES8_S8_S8_S8_S8_S8_S8_EEEEZNS1_11reduce_implILb1ES3_NS6_12zip_iteratorINS7_INS6_11hip_rocprim26transform_input_iterator_tIbNSD_35transform_pair_of_input_iterators_tIbNS6_6detail15normal_iteratorINS6_10device_ptrIKiEEEESL_NS6_8equal_toIiEEEENSG_9not_fun_tINSD_8identityEEEEENSD_19counting_iterator_tIlEES8_S8_S8_S8_S8_S8_S8_S8_EEEEPS9_S9_NSD_9__find_if7functorIS9_EEEE10hipError_tPvRmT1_T2_T3_mT4_P12ihipStream_tbEUlT_E1_NS1_11comp_targetILNS1_3genE2ELNS1_11target_archE906ELNS1_3gpuE6ELNS1_3repE0EEENS1_30default_config_static_selectorELNS0_4arch9wavefront6targetE0EEEvS14_
; %bb.0:
	.section	.rodata,"a",@progbits
	.p2align	6, 0x0
	.amdhsa_kernel _ZN7rocprim17ROCPRIM_400000_NS6detail17trampoline_kernelINS0_14default_configENS1_22reduce_config_selectorIN6thrust23THRUST_200600_302600_NS5tupleIblNS6_9null_typeES8_S8_S8_S8_S8_S8_S8_EEEEZNS1_11reduce_implILb1ES3_NS6_12zip_iteratorINS7_INS6_11hip_rocprim26transform_input_iterator_tIbNSD_35transform_pair_of_input_iterators_tIbNS6_6detail15normal_iteratorINS6_10device_ptrIKiEEEESL_NS6_8equal_toIiEEEENSG_9not_fun_tINSD_8identityEEEEENSD_19counting_iterator_tIlEES8_S8_S8_S8_S8_S8_S8_S8_EEEEPS9_S9_NSD_9__find_if7functorIS9_EEEE10hipError_tPvRmT1_T2_T3_mT4_P12ihipStream_tbEUlT_E1_NS1_11comp_targetILNS1_3genE2ELNS1_11target_archE906ELNS1_3gpuE6ELNS1_3repE0EEENS1_30default_config_static_selectorELNS0_4arch9wavefront6targetE0EEEvS14_
		.amdhsa_group_segment_fixed_size 0
		.amdhsa_private_segment_fixed_size 0
		.amdhsa_kernarg_size 88
		.amdhsa_user_sgpr_count 6
		.amdhsa_user_sgpr_private_segment_buffer 1
		.amdhsa_user_sgpr_dispatch_ptr 0
		.amdhsa_user_sgpr_queue_ptr 0
		.amdhsa_user_sgpr_kernarg_segment_ptr 1
		.amdhsa_user_sgpr_dispatch_id 0
		.amdhsa_user_sgpr_flat_scratch_init 0
		.amdhsa_user_sgpr_private_segment_size 0
		.amdhsa_wavefront_size32 1
		.amdhsa_uses_dynamic_stack 0
		.amdhsa_system_sgpr_private_segment_wavefront_offset 0
		.amdhsa_system_sgpr_workgroup_id_x 1
		.amdhsa_system_sgpr_workgroup_id_y 0
		.amdhsa_system_sgpr_workgroup_id_z 0
		.amdhsa_system_sgpr_workgroup_info 0
		.amdhsa_system_vgpr_workitem_id 0
		.amdhsa_next_free_vgpr 1
		.amdhsa_next_free_sgpr 1
		.amdhsa_reserve_vcc 0
		.amdhsa_reserve_flat_scratch 0
		.amdhsa_float_round_mode_32 0
		.amdhsa_float_round_mode_16_64 0
		.amdhsa_float_denorm_mode_32 3
		.amdhsa_float_denorm_mode_16_64 3
		.amdhsa_dx10_clamp 1
		.amdhsa_ieee_mode 1
		.amdhsa_fp16_overflow 0
		.amdhsa_workgroup_processor_mode 1
		.amdhsa_memory_ordered 1
		.amdhsa_forward_progress 1
		.amdhsa_shared_vgpr_count 0
		.amdhsa_exception_fp_ieee_invalid_op 0
		.amdhsa_exception_fp_denorm_src 0
		.amdhsa_exception_fp_ieee_div_zero 0
		.amdhsa_exception_fp_ieee_overflow 0
		.amdhsa_exception_fp_ieee_underflow 0
		.amdhsa_exception_fp_ieee_inexact 0
		.amdhsa_exception_int_div_zero 0
	.end_amdhsa_kernel
	.section	.text._ZN7rocprim17ROCPRIM_400000_NS6detail17trampoline_kernelINS0_14default_configENS1_22reduce_config_selectorIN6thrust23THRUST_200600_302600_NS5tupleIblNS6_9null_typeES8_S8_S8_S8_S8_S8_S8_EEEEZNS1_11reduce_implILb1ES3_NS6_12zip_iteratorINS7_INS6_11hip_rocprim26transform_input_iterator_tIbNSD_35transform_pair_of_input_iterators_tIbNS6_6detail15normal_iteratorINS6_10device_ptrIKiEEEESL_NS6_8equal_toIiEEEENSG_9not_fun_tINSD_8identityEEEEENSD_19counting_iterator_tIlEES8_S8_S8_S8_S8_S8_S8_S8_EEEEPS9_S9_NSD_9__find_if7functorIS9_EEEE10hipError_tPvRmT1_T2_T3_mT4_P12ihipStream_tbEUlT_E1_NS1_11comp_targetILNS1_3genE2ELNS1_11target_archE906ELNS1_3gpuE6ELNS1_3repE0EEENS1_30default_config_static_selectorELNS0_4arch9wavefront6targetE0EEEvS14_,"axG",@progbits,_ZN7rocprim17ROCPRIM_400000_NS6detail17trampoline_kernelINS0_14default_configENS1_22reduce_config_selectorIN6thrust23THRUST_200600_302600_NS5tupleIblNS6_9null_typeES8_S8_S8_S8_S8_S8_S8_EEEEZNS1_11reduce_implILb1ES3_NS6_12zip_iteratorINS7_INS6_11hip_rocprim26transform_input_iterator_tIbNSD_35transform_pair_of_input_iterators_tIbNS6_6detail15normal_iteratorINS6_10device_ptrIKiEEEESL_NS6_8equal_toIiEEEENSG_9not_fun_tINSD_8identityEEEEENSD_19counting_iterator_tIlEES8_S8_S8_S8_S8_S8_S8_S8_EEEEPS9_S9_NSD_9__find_if7functorIS9_EEEE10hipError_tPvRmT1_T2_T3_mT4_P12ihipStream_tbEUlT_E1_NS1_11comp_targetILNS1_3genE2ELNS1_11target_archE906ELNS1_3gpuE6ELNS1_3repE0EEENS1_30default_config_static_selectorELNS0_4arch9wavefront6targetE0EEEvS14_,comdat
.Lfunc_end499:
	.size	_ZN7rocprim17ROCPRIM_400000_NS6detail17trampoline_kernelINS0_14default_configENS1_22reduce_config_selectorIN6thrust23THRUST_200600_302600_NS5tupleIblNS6_9null_typeES8_S8_S8_S8_S8_S8_S8_EEEEZNS1_11reduce_implILb1ES3_NS6_12zip_iteratorINS7_INS6_11hip_rocprim26transform_input_iterator_tIbNSD_35transform_pair_of_input_iterators_tIbNS6_6detail15normal_iteratorINS6_10device_ptrIKiEEEESL_NS6_8equal_toIiEEEENSG_9not_fun_tINSD_8identityEEEEENSD_19counting_iterator_tIlEES8_S8_S8_S8_S8_S8_S8_S8_EEEEPS9_S9_NSD_9__find_if7functorIS9_EEEE10hipError_tPvRmT1_T2_T3_mT4_P12ihipStream_tbEUlT_E1_NS1_11comp_targetILNS1_3genE2ELNS1_11target_archE906ELNS1_3gpuE6ELNS1_3repE0EEENS1_30default_config_static_selectorELNS0_4arch9wavefront6targetE0EEEvS14_, .Lfunc_end499-_ZN7rocprim17ROCPRIM_400000_NS6detail17trampoline_kernelINS0_14default_configENS1_22reduce_config_selectorIN6thrust23THRUST_200600_302600_NS5tupleIblNS6_9null_typeES8_S8_S8_S8_S8_S8_S8_EEEEZNS1_11reduce_implILb1ES3_NS6_12zip_iteratorINS7_INS6_11hip_rocprim26transform_input_iterator_tIbNSD_35transform_pair_of_input_iterators_tIbNS6_6detail15normal_iteratorINS6_10device_ptrIKiEEEESL_NS6_8equal_toIiEEEENSG_9not_fun_tINSD_8identityEEEEENSD_19counting_iterator_tIlEES8_S8_S8_S8_S8_S8_S8_S8_EEEEPS9_S9_NSD_9__find_if7functorIS9_EEEE10hipError_tPvRmT1_T2_T3_mT4_P12ihipStream_tbEUlT_E1_NS1_11comp_targetILNS1_3genE2ELNS1_11target_archE906ELNS1_3gpuE6ELNS1_3repE0EEENS1_30default_config_static_selectorELNS0_4arch9wavefront6targetE0EEEvS14_
                                        ; -- End function
	.set _ZN7rocprim17ROCPRIM_400000_NS6detail17trampoline_kernelINS0_14default_configENS1_22reduce_config_selectorIN6thrust23THRUST_200600_302600_NS5tupleIblNS6_9null_typeES8_S8_S8_S8_S8_S8_S8_EEEEZNS1_11reduce_implILb1ES3_NS6_12zip_iteratorINS7_INS6_11hip_rocprim26transform_input_iterator_tIbNSD_35transform_pair_of_input_iterators_tIbNS6_6detail15normal_iteratorINS6_10device_ptrIKiEEEESL_NS6_8equal_toIiEEEENSG_9not_fun_tINSD_8identityEEEEENSD_19counting_iterator_tIlEES8_S8_S8_S8_S8_S8_S8_S8_EEEEPS9_S9_NSD_9__find_if7functorIS9_EEEE10hipError_tPvRmT1_T2_T3_mT4_P12ihipStream_tbEUlT_E1_NS1_11comp_targetILNS1_3genE2ELNS1_11target_archE906ELNS1_3gpuE6ELNS1_3repE0EEENS1_30default_config_static_selectorELNS0_4arch9wavefront6targetE0EEEvS14_.num_vgpr, 0
	.set _ZN7rocprim17ROCPRIM_400000_NS6detail17trampoline_kernelINS0_14default_configENS1_22reduce_config_selectorIN6thrust23THRUST_200600_302600_NS5tupleIblNS6_9null_typeES8_S8_S8_S8_S8_S8_S8_EEEEZNS1_11reduce_implILb1ES3_NS6_12zip_iteratorINS7_INS6_11hip_rocprim26transform_input_iterator_tIbNSD_35transform_pair_of_input_iterators_tIbNS6_6detail15normal_iteratorINS6_10device_ptrIKiEEEESL_NS6_8equal_toIiEEEENSG_9not_fun_tINSD_8identityEEEEENSD_19counting_iterator_tIlEES8_S8_S8_S8_S8_S8_S8_S8_EEEEPS9_S9_NSD_9__find_if7functorIS9_EEEE10hipError_tPvRmT1_T2_T3_mT4_P12ihipStream_tbEUlT_E1_NS1_11comp_targetILNS1_3genE2ELNS1_11target_archE906ELNS1_3gpuE6ELNS1_3repE0EEENS1_30default_config_static_selectorELNS0_4arch9wavefront6targetE0EEEvS14_.num_agpr, 0
	.set _ZN7rocprim17ROCPRIM_400000_NS6detail17trampoline_kernelINS0_14default_configENS1_22reduce_config_selectorIN6thrust23THRUST_200600_302600_NS5tupleIblNS6_9null_typeES8_S8_S8_S8_S8_S8_S8_EEEEZNS1_11reduce_implILb1ES3_NS6_12zip_iteratorINS7_INS6_11hip_rocprim26transform_input_iterator_tIbNSD_35transform_pair_of_input_iterators_tIbNS6_6detail15normal_iteratorINS6_10device_ptrIKiEEEESL_NS6_8equal_toIiEEEENSG_9not_fun_tINSD_8identityEEEEENSD_19counting_iterator_tIlEES8_S8_S8_S8_S8_S8_S8_S8_EEEEPS9_S9_NSD_9__find_if7functorIS9_EEEE10hipError_tPvRmT1_T2_T3_mT4_P12ihipStream_tbEUlT_E1_NS1_11comp_targetILNS1_3genE2ELNS1_11target_archE906ELNS1_3gpuE6ELNS1_3repE0EEENS1_30default_config_static_selectorELNS0_4arch9wavefront6targetE0EEEvS14_.numbered_sgpr, 0
	.set _ZN7rocprim17ROCPRIM_400000_NS6detail17trampoline_kernelINS0_14default_configENS1_22reduce_config_selectorIN6thrust23THRUST_200600_302600_NS5tupleIblNS6_9null_typeES8_S8_S8_S8_S8_S8_S8_EEEEZNS1_11reduce_implILb1ES3_NS6_12zip_iteratorINS7_INS6_11hip_rocprim26transform_input_iterator_tIbNSD_35transform_pair_of_input_iterators_tIbNS6_6detail15normal_iteratorINS6_10device_ptrIKiEEEESL_NS6_8equal_toIiEEEENSG_9not_fun_tINSD_8identityEEEEENSD_19counting_iterator_tIlEES8_S8_S8_S8_S8_S8_S8_S8_EEEEPS9_S9_NSD_9__find_if7functorIS9_EEEE10hipError_tPvRmT1_T2_T3_mT4_P12ihipStream_tbEUlT_E1_NS1_11comp_targetILNS1_3genE2ELNS1_11target_archE906ELNS1_3gpuE6ELNS1_3repE0EEENS1_30default_config_static_selectorELNS0_4arch9wavefront6targetE0EEEvS14_.num_named_barrier, 0
	.set _ZN7rocprim17ROCPRIM_400000_NS6detail17trampoline_kernelINS0_14default_configENS1_22reduce_config_selectorIN6thrust23THRUST_200600_302600_NS5tupleIblNS6_9null_typeES8_S8_S8_S8_S8_S8_S8_EEEEZNS1_11reduce_implILb1ES3_NS6_12zip_iteratorINS7_INS6_11hip_rocprim26transform_input_iterator_tIbNSD_35transform_pair_of_input_iterators_tIbNS6_6detail15normal_iteratorINS6_10device_ptrIKiEEEESL_NS6_8equal_toIiEEEENSG_9not_fun_tINSD_8identityEEEEENSD_19counting_iterator_tIlEES8_S8_S8_S8_S8_S8_S8_S8_EEEEPS9_S9_NSD_9__find_if7functorIS9_EEEE10hipError_tPvRmT1_T2_T3_mT4_P12ihipStream_tbEUlT_E1_NS1_11comp_targetILNS1_3genE2ELNS1_11target_archE906ELNS1_3gpuE6ELNS1_3repE0EEENS1_30default_config_static_selectorELNS0_4arch9wavefront6targetE0EEEvS14_.private_seg_size, 0
	.set _ZN7rocprim17ROCPRIM_400000_NS6detail17trampoline_kernelINS0_14default_configENS1_22reduce_config_selectorIN6thrust23THRUST_200600_302600_NS5tupleIblNS6_9null_typeES8_S8_S8_S8_S8_S8_S8_EEEEZNS1_11reduce_implILb1ES3_NS6_12zip_iteratorINS7_INS6_11hip_rocprim26transform_input_iterator_tIbNSD_35transform_pair_of_input_iterators_tIbNS6_6detail15normal_iteratorINS6_10device_ptrIKiEEEESL_NS6_8equal_toIiEEEENSG_9not_fun_tINSD_8identityEEEEENSD_19counting_iterator_tIlEES8_S8_S8_S8_S8_S8_S8_S8_EEEEPS9_S9_NSD_9__find_if7functorIS9_EEEE10hipError_tPvRmT1_T2_T3_mT4_P12ihipStream_tbEUlT_E1_NS1_11comp_targetILNS1_3genE2ELNS1_11target_archE906ELNS1_3gpuE6ELNS1_3repE0EEENS1_30default_config_static_selectorELNS0_4arch9wavefront6targetE0EEEvS14_.uses_vcc, 0
	.set _ZN7rocprim17ROCPRIM_400000_NS6detail17trampoline_kernelINS0_14default_configENS1_22reduce_config_selectorIN6thrust23THRUST_200600_302600_NS5tupleIblNS6_9null_typeES8_S8_S8_S8_S8_S8_S8_EEEEZNS1_11reduce_implILb1ES3_NS6_12zip_iteratorINS7_INS6_11hip_rocprim26transform_input_iterator_tIbNSD_35transform_pair_of_input_iterators_tIbNS6_6detail15normal_iteratorINS6_10device_ptrIKiEEEESL_NS6_8equal_toIiEEEENSG_9not_fun_tINSD_8identityEEEEENSD_19counting_iterator_tIlEES8_S8_S8_S8_S8_S8_S8_S8_EEEEPS9_S9_NSD_9__find_if7functorIS9_EEEE10hipError_tPvRmT1_T2_T3_mT4_P12ihipStream_tbEUlT_E1_NS1_11comp_targetILNS1_3genE2ELNS1_11target_archE906ELNS1_3gpuE6ELNS1_3repE0EEENS1_30default_config_static_selectorELNS0_4arch9wavefront6targetE0EEEvS14_.uses_flat_scratch, 0
	.set _ZN7rocprim17ROCPRIM_400000_NS6detail17trampoline_kernelINS0_14default_configENS1_22reduce_config_selectorIN6thrust23THRUST_200600_302600_NS5tupleIblNS6_9null_typeES8_S8_S8_S8_S8_S8_S8_EEEEZNS1_11reduce_implILb1ES3_NS6_12zip_iteratorINS7_INS6_11hip_rocprim26transform_input_iterator_tIbNSD_35transform_pair_of_input_iterators_tIbNS6_6detail15normal_iteratorINS6_10device_ptrIKiEEEESL_NS6_8equal_toIiEEEENSG_9not_fun_tINSD_8identityEEEEENSD_19counting_iterator_tIlEES8_S8_S8_S8_S8_S8_S8_S8_EEEEPS9_S9_NSD_9__find_if7functorIS9_EEEE10hipError_tPvRmT1_T2_T3_mT4_P12ihipStream_tbEUlT_E1_NS1_11comp_targetILNS1_3genE2ELNS1_11target_archE906ELNS1_3gpuE6ELNS1_3repE0EEENS1_30default_config_static_selectorELNS0_4arch9wavefront6targetE0EEEvS14_.has_dyn_sized_stack, 0
	.set _ZN7rocprim17ROCPRIM_400000_NS6detail17trampoline_kernelINS0_14default_configENS1_22reduce_config_selectorIN6thrust23THRUST_200600_302600_NS5tupleIblNS6_9null_typeES8_S8_S8_S8_S8_S8_S8_EEEEZNS1_11reduce_implILb1ES3_NS6_12zip_iteratorINS7_INS6_11hip_rocprim26transform_input_iterator_tIbNSD_35transform_pair_of_input_iterators_tIbNS6_6detail15normal_iteratorINS6_10device_ptrIKiEEEESL_NS6_8equal_toIiEEEENSG_9not_fun_tINSD_8identityEEEEENSD_19counting_iterator_tIlEES8_S8_S8_S8_S8_S8_S8_S8_EEEEPS9_S9_NSD_9__find_if7functorIS9_EEEE10hipError_tPvRmT1_T2_T3_mT4_P12ihipStream_tbEUlT_E1_NS1_11comp_targetILNS1_3genE2ELNS1_11target_archE906ELNS1_3gpuE6ELNS1_3repE0EEENS1_30default_config_static_selectorELNS0_4arch9wavefront6targetE0EEEvS14_.has_recursion, 0
	.set _ZN7rocprim17ROCPRIM_400000_NS6detail17trampoline_kernelINS0_14default_configENS1_22reduce_config_selectorIN6thrust23THRUST_200600_302600_NS5tupleIblNS6_9null_typeES8_S8_S8_S8_S8_S8_S8_EEEEZNS1_11reduce_implILb1ES3_NS6_12zip_iteratorINS7_INS6_11hip_rocprim26transform_input_iterator_tIbNSD_35transform_pair_of_input_iterators_tIbNS6_6detail15normal_iteratorINS6_10device_ptrIKiEEEESL_NS6_8equal_toIiEEEENSG_9not_fun_tINSD_8identityEEEEENSD_19counting_iterator_tIlEES8_S8_S8_S8_S8_S8_S8_S8_EEEEPS9_S9_NSD_9__find_if7functorIS9_EEEE10hipError_tPvRmT1_T2_T3_mT4_P12ihipStream_tbEUlT_E1_NS1_11comp_targetILNS1_3genE2ELNS1_11target_archE906ELNS1_3gpuE6ELNS1_3repE0EEENS1_30default_config_static_selectorELNS0_4arch9wavefront6targetE0EEEvS14_.has_indirect_call, 0
	.section	.AMDGPU.csdata,"",@progbits
; Kernel info:
; codeLenInByte = 0
; TotalNumSgprs: 0
; NumVgprs: 0
; ScratchSize: 0
; MemoryBound: 0
; FloatMode: 240
; IeeeMode: 1
; LDSByteSize: 0 bytes/workgroup (compile time only)
; SGPRBlocks: 0
; VGPRBlocks: 0
; NumSGPRsForWavesPerEU: 1
; NumVGPRsForWavesPerEU: 1
; Occupancy: 16
; WaveLimiterHint : 0
; COMPUTE_PGM_RSRC2:SCRATCH_EN: 0
; COMPUTE_PGM_RSRC2:USER_SGPR: 6
; COMPUTE_PGM_RSRC2:TRAP_HANDLER: 0
; COMPUTE_PGM_RSRC2:TGID_X_EN: 1
; COMPUTE_PGM_RSRC2:TGID_Y_EN: 0
; COMPUTE_PGM_RSRC2:TGID_Z_EN: 0
; COMPUTE_PGM_RSRC2:TIDIG_COMP_CNT: 0
	.section	.text._ZN7rocprim17ROCPRIM_400000_NS6detail17trampoline_kernelINS0_14default_configENS1_22reduce_config_selectorIN6thrust23THRUST_200600_302600_NS5tupleIblNS6_9null_typeES8_S8_S8_S8_S8_S8_S8_EEEEZNS1_11reduce_implILb1ES3_NS6_12zip_iteratorINS7_INS6_11hip_rocprim26transform_input_iterator_tIbNSD_35transform_pair_of_input_iterators_tIbNS6_6detail15normal_iteratorINS6_10device_ptrIKiEEEESL_NS6_8equal_toIiEEEENSG_9not_fun_tINSD_8identityEEEEENSD_19counting_iterator_tIlEES8_S8_S8_S8_S8_S8_S8_S8_EEEEPS9_S9_NSD_9__find_if7functorIS9_EEEE10hipError_tPvRmT1_T2_T3_mT4_P12ihipStream_tbEUlT_E1_NS1_11comp_targetILNS1_3genE10ELNS1_11target_archE1201ELNS1_3gpuE5ELNS1_3repE0EEENS1_30default_config_static_selectorELNS0_4arch9wavefront6targetE0EEEvS14_,"axG",@progbits,_ZN7rocprim17ROCPRIM_400000_NS6detail17trampoline_kernelINS0_14default_configENS1_22reduce_config_selectorIN6thrust23THRUST_200600_302600_NS5tupleIblNS6_9null_typeES8_S8_S8_S8_S8_S8_S8_EEEEZNS1_11reduce_implILb1ES3_NS6_12zip_iteratorINS7_INS6_11hip_rocprim26transform_input_iterator_tIbNSD_35transform_pair_of_input_iterators_tIbNS6_6detail15normal_iteratorINS6_10device_ptrIKiEEEESL_NS6_8equal_toIiEEEENSG_9not_fun_tINSD_8identityEEEEENSD_19counting_iterator_tIlEES8_S8_S8_S8_S8_S8_S8_S8_EEEEPS9_S9_NSD_9__find_if7functorIS9_EEEE10hipError_tPvRmT1_T2_T3_mT4_P12ihipStream_tbEUlT_E1_NS1_11comp_targetILNS1_3genE10ELNS1_11target_archE1201ELNS1_3gpuE5ELNS1_3repE0EEENS1_30default_config_static_selectorELNS0_4arch9wavefront6targetE0EEEvS14_,comdat
	.protected	_ZN7rocprim17ROCPRIM_400000_NS6detail17trampoline_kernelINS0_14default_configENS1_22reduce_config_selectorIN6thrust23THRUST_200600_302600_NS5tupleIblNS6_9null_typeES8_S8_S8_S8_S8_S8_S8_EEEEZNS1_11reduce_implILb1ES3_NS6_12zip_iteratorINS7_INS6_11hip_rocprim26transform_input_iterator_tIbNSD_35transform_pair_of_input_iterators_tIbNS6_6detail15normal_iteratorINS6_10device_ptrIKiEEEESL_NS6_8equal_toIiEEEENSG_9not_fun_tINSD_8identityEEEEENSD_19counting_iterator_tIlEES8_S8_S8_S8_S8_S8_S8_S8_EEEEPS9_S9_NSD_9__find_if7functorIS9_EEEE10hipError_tPvRmT1_T2_T3_mT4_P12ihipStream_tbEUlT_E1_NS1_11comp_targetILNS1_3genE10ELNS1_11target_archE1201ELNS1_3gpuE5ELNS1_3repE0EEENS1_30default_config_static_selectorELNS0_4arch9wavefront6targetE0EEEvS14_ ; -- Begin function _ZN7rocprim17ROCPRIM_400000_NS6detail17trampoline_kernelINS0_14default_configENS1_22reduce_config_selectorIN6thrust23THRUST_200600_302600_NS5tupleIblNS6_9null_typeES8_S8_S8_S8_S8_S8_S8_EEEEZNS1_11reduce_implILb1ES3_NS6_12zip_iteratorINS7_INS6_11hip_rocprim26transform_input_iterator_tIbNSD_35transform_pair_of_input_iterators_tIbNS6_6detail15normal_iteratorINS6_10device_ptrIKiEEEESL_NS6_8equal_toIiEEEENSG_9not_fun_tINSD_8identityEEEEENSD_19counting_iterator_tIlEES8_S8_S8_S8_S8_S8_S8_S8_EEEEPS9_S9_NSD_9__find_if7functorIS9_EEEE10hipError_tPvRmT1_T2_T3_mT4_P12ihipStream_tbEUlT_E1_NS1_11comp_targetILNS1_3genE10ELNS1_11target_archE1201ELNS1_3gpuE5ELNS1_3repE0EEENS1_30default_config_static_selectorELNS0_4arch9wavefront6targetE0EEEvS14_
	.globl	_ZN7rocprim17ROCPRIM_400000_NS6detail17trampoline_kernelINS0_14default_configENS1_22reduce_config_selectorIN6thrust23THRUST_200600_302600_NS5tupleIblNS6_9null_typeES8_S8_S8_S8_S8_S8_S8_EEEEZNS1_11reduce_implILb1ES3_NS6_12zip_iteratorINS7_INS6_11hip_rocprim26transform_input_iterator_tIbNSD_35transform_pair_of_input_iterators_tIbNS6_6detail15normal_iteratorINS6_10device_ptrIKiEEEESL_NS6_8equal_toIiEEEENSG_9not_fun_tINSD_8identityEEEEENSD_19counting_iterator_tIlEES8_S8_S8_S8_S8_S8_S8_S8_EEEEPS9_S9_NSD_9__find_if7functorIS9_EEEE10hipError_tPvRmT1_T2_T3_mT4_P12ihipStream_tbEUlT_E1_NS1_11comp_targetILNS1_3genE10ELNS1_11target_archE1201ELNS1_3gpuE5ELNS1_3repE0EEENS1_30default_config_static_selectorELNS0_4arch9wavefront6targetE0EEEvS14_
	.p2align	8
	.type	_ZN7rocprim17ROCPRIM_400000_NS6detail17trampoline_kernelINS0_14default_configENS1_22reduce_config_selectorIN6thrust23THRUST_200600_302600_NS5tupleIblNS6_9null_typeES8_S8_S8_S8_S8_S8_S8_EEEEZNS1_11reduce_implILb1ES3_NS6_12zip_iteratorINS7_INS6_11hip_rocprim26transform_input_iterator_tIbNSD_35transform_pair_of_input_iterators_tIbNS6_6detail15normal_iteratorINS6_10device_ptrIKiEEEESL_NS6_8equal_toIiEEEENSG_9not_fun_tINSD_8identityEEEEENSD_19counting_iterator_tIlEES8_S8_S8_S8_S8_S8_S8_S8_EEEEPS9_S9_NSD_9__find_if7functorIS9_EEEE10hipError_tPvRmT1_T2_T3_mT4_P12ihipStream_tbEUlT_E1_NS1_11comp_targetILNS1_3genE10ELNS1_11target_archE1201ELNS1_3gpuE5ELNS1_3repE0EEENS1_30default_config_static_selectorELNS0_4arch9wavefront6targetE0EEEvS14_,@function
_ZN7rocprim17ROCPRIM_400000_NS6detail17trampoline_kernelINS0_14default_configENS1_22reduce_config_selectorIN6thrust23THRUST_200600_302600_NS5tupleIblNS6_9null_typeES8_S8_S8_S8_S8_S8_S8_EEEEZNS1_11reduce_implILb1ES3_NS6_12zip_iteratorINS7_INS6_11hip_rocprim26transform_input_iterator_tIbNSD_35transform_pair_of_input_iterators_tIbNS6_6detail15normal_iteratorINS6_10device_ptrIKiEEEESL_NS6_8equal_toIiEEEENSG_9not_fun_tINSD_8identityEEEEENSD_19counting_iterator_tIlEES8_S8_S8_S8_S8_S8_S8_S8_EEEEPS9_S9_NSD_9__find_if7functorIS9_EEEE10hipError_tPvRmT1_T2_T3_mT4_P12ihipStream_tbEUlT_E1_NS1_11comp_targetILNS1_3genE10ELNS1_11target_archE1201ELNS1_3gpuE5ELNS1_3repE0EEENS1_30default_config_static_selectorELNS0_4arch9wavefront6targetE0EEEvS14_: ; @_ZN7rocprim17ROCPRIM_400000_NS6detail17trampoline_kernelINS0_14default_configENS1_22reduce_config_selectorIN6thrust23THRUST_200600_302600_NS5tupleIblNS6_9null_typeES8_S8_S8_S8_S8_S8_S8_EEEEZNS1_11reduce_implILb1ES3_NS6_12zip_iteratorINS7_INS6_11hip_rocprim26transform_input_iterator_tIbNSD_35transform_pair_of_input_iterators_tIbNS6_6detail15normal_iteratorINS6_10device_ptrIKiEEEESL_NS6_8equal_toIiEEEENSG_9not_fun_tINSD_8identityEEEEENSD_19counting_iterator_tIlEES8_S8_S8_S8_S8_S8_S8_S8_EEEEPS9_S9_NSD_9__find_if7functorIS9_EEEE10hipError_tPvRmT1_T2_T3_mT4_P12ihipStream_tbEUlT_E1_NS1_11comp_targetILNS1_3genE10ELNS1_11target_archE1201ELNS1_3gpuE5ELNS1_3repE0EEENS1_30default_config_static_selectorELNS0_4arch9wavefront6targetE0EEEvS14_
; %bb.0:
	.section	.rodata,"a",@progbits
	.p2align	6, 0x0
	.amdhsa_kernel _ZN7rocprim17ROCPRIM_400000_NS6detail17trampoline_kernelINS0_14default_configENS1_22reduce_config_selectorIN6thrust23THRUST_200600_302600_NS5tupleIblNS6_9null_typeES8_S8_S8_S8_S8_S8_S8_EEEEZNS1_11reduce_implILb1ES3_NS6_12zip_iteratorINS7_INS6_11hip_rocprim26transform_input_iterator_tIbNSD_35transform_pair_of_input_iterators_tIbNS6_6detail15normal_iteratorINS6_10device_ptrIKiEEEESL_NS6_8equal_toIiEEEENSG_9not_fun_tINSD_8identityEEEEENSD_19counting_iterator_tIlEES8_S8_S8_S8_S8_S8_S8_S8_EEEEPS9_S9_NSD_9__find_if7functorIS9_EEEE10hipError_tPvRmT1_T2_T3_mT4_P12ihipStream_tbEUlT_E1_NS1_11comp_targetILNS1_3genE10ELNS1_11target_archE1201ELNS1_3gpuE5ELNS1_3repE0EEENS1_30default_config_static_selectorELNS0_4arch9wavefront6targetE0EEEvS14_
		.amdhsa_group_segment_fixed_size 0
		.amdhsa_private_segment_fixed_size 0
		.amdhsa_kernarg_size 88
		.amdhsa_user_sgpr_count 6
		.amdhsa_user_sgpr_private_segment_buffer 1
		.amdhsa_user_sgpr_dispatch_ptr 0
		.amdhsa_user_sgpr_queue_ptr 0
		.amdhsa_user_sgpr_kernarg_segment_ptr 1
		.amdhsa_user_sgpr_dispatch_id 0
		.amdhsa_user_sgpr_flat_scratch_init 0
		.amdhsa_user_sgpr_private_segment_size 0
		.amdhsa_wavefront_size32 1
		.amdhsa_uses_dynamic_stack 0
		.amdhsa_system_sgpr_private_segment_wavefront_offset 0
		.amdhsa_system_sgpr_workgroup_id_x 1
		.amdhsa_system_sgpr_workgroup_id_y 0
		.amdhsa_system_sgpr_workgroup_id_z 0
		.amdhsa_system_sgpr_workgroup_info 0
		.amdhsa_system_vgpr_workitem_id 0
		.amdhsa_next_free_vgpr 1
		.amdhsa_next_free_sgpr 1
		.amdhsa_reserve_vcc 0
		.amdhsa_reserve_flat_scratch 0
		.amdhsa_float_round_mode_32 0
		.amdhsa_float_round_mode_16_64 0
		.amdhsa_float_denorm_mode_32 3
		.amdhsa_float_denorm_mode_16_64 3
		.amdhsa_dx10_clamp 1
		.amdhsa_ieee_mode 1
		.amdhsa_fp16_overflow 0
		.amdhsa_workgroup_processor_mode 1
		.amdhsa_memory_ordered 1
		.amdhsa_forward_progress 1
		.amdhsa_shared_vgpr_count 0
		.amdhsa_exception_fp_ieee_invalid_op 0
		.amdhsa_exception_fp_denorm_src 0
		.amdhsa_exception_fp_ieee_div_zero 0
		.amdhsa_exception_fp_ieee_overflow 0
		.amdhsa_exception_fp_ieee_underflow 0
		.amdhsa_exception_fp_ieee_inexact 0
		.amdhsa_exception_int_div_zero 0
	.end_amdhsa_kernel
	.section	.text._ZN7rocprim17ROCPRIM_400000_NS6detail17trampoline_kernelINS0_14default_configENS1_22reduce_config_selectorIN6thrust23THRUST_200600_302600_NS5tupleIblNS6_9null_typeES8_S8_S8_S8_S8_S8_S8_EEEEZNS1_11reduce_implILb1ES3_NS6_12zip_iteratorINS7_INS6_11hip_rocprim26transform_input_iterator_tIbNSD_35transform_pair_of_input_iterators_tIbNS6_6detail15normal_iteratorINS6_10device_ptrIKiEEEESL_NS6_8equal_toIiEEEENSG_9not_fun_tINSD_8identityEEEEENSD_19counting_iterator_tIlEES8_S8_S8_S8_S8_S8_S8_S8_EEEEPS9_S9_NSD_9__find_if7functorIS9_EEEE10hipError_tPvRmT1_T2_T3_mT4_P12ihipStream_tbEUlT_E1_NS1_11comp_targetILNS1_3genE10ELNS1_11target_archE1201ELNS1_3gpuE5ELNS1_3repE0EEENS1_30default_config_static_selectorELNS0_4arch9wavefront6targetE0EEEvS14_,"axG",@progbits,_ZN7rocprim17ROCPRIM_400000_NS6detail17trampoline_kernelINS0_14default_configENS1_22reduce_config_selectorIN6thrust23THRUST_200600_302600_NS5tupleIblNS6_9null_typeES8_S8_S8_S8_S8_S8_S8_EEEEZNS1_11reduce_implILb1ES3_NS6_12zip_iteratorINS7_INS6_11hip_rocprim26transform_input_iterator_tIbNSD_35transform_pair_of_input_iterators_tIbNS6_6detail15normal_iteratorINS6_10device_ptrIKiEEEESL_NS6_8equal_toIiEEEENSG_9not_fun_tINSD_8identityEEEEENSD_19counting_iterator_tIlEES8_S8_S8_S8_S8_S8_S8_S8_EEEEPS9_S9_NSD_9__find_if7functorIS9_EEEE10hipError_tPvRmT1_T2_T3_mT4_P12ihipStream_tbEUlT_E1_NS1_11comp_targetILNS1_3genE10ELNS1_11target_archE1201ELNS1_3gpuE5ELNS1_3repE0EEENS1_30default_config_static_selectorELNS0_4arch9wavefront6targetE0EEEvS14_,comdat
.Lfunc_end500:
	.size	_ZN7rocprim17ROCPRIM_400000_NS6detail17trampoline_kernelINS0_14default_configENS1_22reduce_config_selectorIN6thrust23THRUST_200600_302600_NS5tupleIblNS6_9null_typeES8_S8_S8_S8_S8_S8_S8_EEEEZNS1_11reduce_implILb1ES3_NS6_12zip_iteratorINS7_INS6_11hip_rocprim26transform_input_iterator_tIbNSD_35transform_pair_of_input_iterators_tIbNS6_6detail15normal_iteratorINS6_10device_ptrIKiEEEESL_NS6_8equal_toIiEEEENSG_9not_fun_tINSD_8identityEEEEENSD_19counting_iterator_tIlEES8_S8_S8_S8_S8_S8_S8_S8_EEEEPS9_S9_NSD_9__find_if7functorIS9_EEEE10hipError_tPvRmT1_T2_T3_mT4_P12ihipStream_tbEUlT_E1_NS1_11comp_targetILNS1_3genE10ELNS1_11target_archE1201ELNS1_3gpuE5ELNS1_3repE0EEENS1_30default_config_static_selectorELNS0_4arch9wavefront6targetE0EEEvS14_, .Lfunc_end500-_ZN7rocprim17ROCPRIM_400000_NS6detail17trampoline_kernelINS0_14default_configENS1_22reduce_config_selectorIN6thrust23THRUST_200600_302600_NS5tupleIblNS6_9null_typeES8_S8_S8_S8_S8_S8_S8_EEEEZNS1_11reduce_implILb1ES3_NS6_12zip_iteratorINS7_INS6_11hip_rocprim26transform_input_iterator_tIbNSD_35transform_pair_of_input_iterators_tIbNS6_6detail15normal_iteratorINS6_10device_ptrIKiEEEESL_NS6_8equal_toIiEEEENSG_9not_fun_tINSD_8identityEEEEENSD_19counting_iterator_tIlEES8_S8_S8_S8_S8_S8_S8_S8_EEEEPS9_S9_NSD_9__find_if7functorIS9_EEEE10hipError_tPvRmT1_T2_T3_mT4_P12ihipStream_tbEUlT_E1_NS1_11comp_targetILNS1_3genE10ELNS1_11target_archE1201ELNS1_3gpuE5ELNS1_3repE0EEENS1_30default_config_static_selectorELNS0_4arch9wavefront6targetE0EEEvS14_
                                        ; -- End function
	.set _ZN7rocprim17ROCPRIM_400000_NS6detail17trampoline_kernelINS0_14default_configENS1_22reduce_config_selectorIN6thrust23THRUST_200600_302600_NS5tupleIblNS6_9null_typeES8_S8_S8_S8_S8_S8_S8_EEEEZNS1_11reduce_implILb1ES3_NS6_12zip_iteratorINS7_INS6_11hip_rocprim26transform_input_iterator_tIbNSD_35transform_pair_of_input_iterators_tIbNS6_6detail15normal_iteratorINS6_10device_ptrIKiEEEESL_NS6_8equal_toIiEEEENSG_9not_fun_tINSD_8identityEEEEENSD_19counting_iterator_tIlEES8_S8_S8_S8_S8_S8_S8_S8_EEEEPS9_S9_NSD_9__find_if7functorIS9_EEEE10hipError_tPvRmT1_T2_T3_mT4_P12ihipStream_tbEUlT_E1_NS1_11comp_targetILNS1_3genE10ELNS1_11target_archE1201ELNS1_3gpuE5ELNS1_3repE0EEENS1_30default_config_static_selectorELNS0_4arch9wavefront6targetE0EEEvS14_.num_vgpr, 0
	.set _ZN7rocprim17ROCPRIM_400000_NS6detail17trampoline_kernelINS0_14default_configENS1_22reduce_config_selectorIN6thrust23THRUST_200600_302600_NS5tupleIblNS6_9null_typeES8_S8_S8_S8_S8_S8_S8_EEEEZNS1_11reduce_implILb1ES3_NS6_12zip_iteratorINS7_INS6_11hip_rocprim26transform_input_iterator_tIbNSD_35transform_pair_of_input_iterators_tIbNS6_6detail15normal_iteratorINS6_10device_ptrIKiEEEESL_NS6_8equal_toIiEEEENSG_9not_fun_tINSD_8identityEEEEENSD_19counting_iterator_tIlEES8_S8_S8_S8_S8_S8_S8_S8_EEEEPS9_S9_NSD_9__find_if7functorIS9_EEEE10hipError_tPvRmT1_T2_T3_mT4_P12ihipStream_tbEUlT_E1_NS1_11comp_targetILNS1_3genE10ELNS1_11target_archE1201ELNS1_3gpuE5ELNS1_3repE0EEENS1_30default_config_static_selectorELNS0_4arch9wavefront6targetE0EEEvS14_.num_agpr, 0
	.set _ZN7rocprim17ROCPRIM_400000_NS6detail17trampoline_kernelINS0_14default_configENS1_22reduce_config_selectorIN6thrust23THRUST_200600_302600_NS5tupleIblNS6_9null_typeES8_S8_S8_S8_S8_S8_S8_EEEEZNS1_11reduce_implILb1ES3_NS6_12zip_iteratorINS7_INS6_11hip_rocprim26transform_input_iterator_tIbNSD_35transform_pair_of_input_iterators_tIbNS6_6detail15normal_iteratorINS6_10device_ptrIKiEEEESL_NS6_8equal_toIiEEEENSG_9not_fun_tINSD_8identityEEEEENSD_19counting_iterator_tIlEES8_S8_S8_S8_S8_S8_S8_S8_EEEEPS9_S9_NSD_9__find_if7functorIS9_EEEE10hipError_tPvRmT1_T2_T3_mT4_P12ihipStream_tbEUlT_E1_NS1_11comp_targetILNS1_3genE10ELNS1_11target_archE1201ELNS1_3gpuE5ELNS1_3repE0EEENS1_30default_config_static_selectorELNS0_4arch9wavefront6targetE0EEEvS14_.numbered_sgpr, 0
	.set _ZN7rocprim17ROCPRIM_400000_NS6detail17trampoline_kernelINS0_14default_configENS1_22reduce_config_selectorIN6thrust23THRUST_200600_302600_NS5tupleIblNS6_9null_typeES8_S8_S8_S8_S8_S8_S8_EEEEZNS1_11reduce_implILb1ES3_NS6_12zip_iteratorINS7_INS6_11hip_rocprim26transform_input_iterator_tIbNSD_35transform_pair_of_input_iterators_tIbNS6_6detail15normal_iteratorINS6_10device_ptrIKiEEEESL_NS6_8equal_toIiEEEENSG_9not_fun_tINSD_8identityEEEEENSD_19counting_iterator_tIlEES8_S8_S8_S8_S8_S8_S8_S8_EEEEPS9_S9_NSD_9__find_if7functorIS9_EEEE10hipError_tPvRmT1_T2_T3_mT4_P12ihipStream_tbEUlT_E1_NS1_11comp_targetILNS1_3genE10ELNS1_11target_archE1201ELNS1_3gpuE5ELNS1_3repE0EEENS1_30default_config_static_selectorELNS0_4arch9wavefront6targetE0EEEvS14_.num_named_barrier, 0
	.set _ZN7rocprim17ROCPRIM_400000_NS6detail17trampoline_kernelINS0_14default_configENS1_22reduce_config_selectorIN6thrust23THRUST_200600_302600_NS5tupleIblNS6_9null_typeES8_S8_S8_S8_S8_S8_S8_EEEEZNS1_11reduce_implILb1ES3_NS6_12zip_iteratorINS7_INS6_11hip_rocprim26transform_input_iterator_tIbNSD_35transform_pair_of_input_iterators_tIbNS6_6detail15normal_iteratorINS6_10device_ptrIKiEEEESL_NS6_8equal_toIiEEEENSG_9not_fun_tINSD_8identityEEEEENSD_19counting_iterator_tIlEES8_S8_S8_S8_S8_S8_S8_S8_EEEEPS9_S9_NSD_9__find_if7functorIS9_EEEE10hipError_tPvRmT1_T2_T3_mT4_P12ihipStream_tbEUlT_E1_NS1_11comp_targetILNS1_3genE10ELNS1_11target_archE1201ELNS1_3gpuE5ELNS1_3repE0EEENS1_30default_config_static_selectorELNS0_4arch9wavefront6targetE0EEEvS14_.private_seg_size, 0
	.set _ZN7rocprim17ROCPRIM_400000_NS6detail17trampoline_kernelINS0_14default_configENS1_22reduce_config_selectorIN6thrust23THRUST_200600_302600_NS5tupleIblNS6_9null_typeES8_S8_S8_S8_S8_S8_S8_EEEEZNS1_11reduce_implILb1ES3_NS6_12zip_iteratorINS7_INS6_11hip_rocprim26transform_input_iterator_tIbNSD_35transform_pair_of_input_iterators_tIbNS6_6detail15normal_iteratorINS6_10device_ptrIKiEEEESL_NS6_8equal_toIiEEEENSG_9not_fun_tINSD_8identityEEEEENSD_19counting_iterator_tIlEES8_S8_S8_S8_S8_S8_S8_S8_EEEEPS9_S9_NSD_9__find_if7functorIS9_EEEE10hipError_tPvRmT1_T2_T3_mT4_P12ihipStream_tbEUlT_E1_NS1_11comp_targetILNS1_3genE10ELNS1_11target_archE1201ELNS1_3gpuE5ELNS1_3repE0EEENS1_30default_config_static_selectorELNS0_4arch9wavefront6targetE0EEEvS14_.uses_vcc, 0
	.set _ZN7rocprim17ROCPRIM_400000_NS6detail17trampoline_kernelINS0_14default_configENS1_22reduce_config_selectorIN6thrust23THRUST_200600_302600_NS5tupleIblNS6_9null_typeES8_S8_S8_S8_S8_S8_S8_EEEEZNS1_11reduce_implILb1ES3_NS6_12zip_iteratorINS7_INS6_11hip_rocprim26transform_input_iterator_tIbNSD_35transform_pair_of_input_iterators_tIbNS6_6detail15normal_iteratorINS6_10device_ptrIKiEEEESL_NS6_8equal_toIiEEEENSG_9not_fun_tINSD_8identityEEEEENSD_19counting_iterator_tIlEES8_S8_S8_S8_S8_S8_S8_S8_EEEEPS9_S9_NSD_9__find_if7functorIS9_EEEE10hipError_tPvRmT1_T2_T3_mT4_P12ihipStream_tbEUlT_E1_NS1_11comp_targetILNS1_3genE10ELNS1_11target_archE1201ELNS1_3gpuE5ELNS1_3repE0EEENS1_30default_config_static_selectorELNS0_4arch9wavefront6targetE0EEEvS14_.uses_flat_scratch, 0
	.set _ZN7rocprim17ROCPRIM_400000_NS6detail17trampoline_kernelINS0_14default_configENS1_22reduce_config_selectorIN6thrust23THRUST_200600_302600_NS5tupleIblNS6_9null_typeES8_S8_S8_S8_S8_S8_S8_EEEEZNS1_11reduce_implILb1ES3_NS6_12zip_iteratorINS7_INS6_11hip_rocprim26transform_input_iterator_tIbNSD_35transform_pair_of_input_iterators_tIbNS6_6detail15normal_iteratorINS6_10device_ptrIKiEEEESL_NS6_8equal_toIiEEEENSG_9not_fun_tINSD_8identityEEEEENSD_19counting_iterator_tIlEES8_S8_S8_S8_S8_S8_S8_S8_EEEEPS9_S9_NSD_9__find_if7functorIS9_EEEE10hipError_tPvRmT1_T2_T3_mT4_P12ihipStream_tbEUlT_E1_NS1_11comp_targetILNS1_3genE10ELNS1_11target_archE1201ELNS1_3gpuE5ELNS1_3repE0EEENS1_30default_config_static_selectorELNS0_4arch9wavefront6targetE0EEEvS14_.has_dyn_sized_stack, 0
	.set _ZN7rocprim17ROCPRIM_400000_NS6detail17trampoline_kernelINS0_14default_configENS1_22reduce_config_selectorIN6thrust23THRUST_200600_302600_NS5tupleIblNS6_9null_typeES8_S8_S8_S8_S8_S8_S8_EEEEZNS1_11reduce_implILb1ES3_NS6_12zip_iteratorINS7_INS6_11hip_rocprim26transform_input_iterator_tIbNSD_35transform_pair_of_input_iterators_tIbNS6_6detail15normal_iteratorINS6_10device_ptrIKiEEEESL_NS6_8equal_toIiEEEENSG_9not_fun_tINSD_8identityEEEEENSD_19counting_iterator_tIlEES8_S8_S8_S8_S8_S8_S8_S8_EEEEPS9_S9_NSD_9__find_if7functorIS9_EEEE10hipError_tPvRmT1_T2_T3_mT4_P12ihipStream_tbEUlT_E1_NS1_11comp_targetILNS1_3genE10ELNS1_11target_archE1201ELNS1_3gpuE5ELNS1_3repE0EEENS1_30default_config_static_selectorELNS0_4arch9wavefront6targetE0EEEvS14_.has_recursion, 0
	.set _ZN7rocprim17ROCPRIM_400000_NS6detail17trampoline_kernelINS0_14default_configENS1_22reduce_config_selectorIN6thrust23THRUST_200600_302600_NS5tupleIblNS6_9null_typeES8_S8_S8_S8_S8_S8_S8_EEEEZNS1_11reduce_implILb1ES3_NS6_12zip_iteratorINS7_INS6_11hip_rocprim26transform_input_iterator_tIbNSD_35transform_pair_of_input_iterators_tIbNS6_6detail15normal_iteratorINS6_10device_ptrIKiEEEESL_NS6_8equal_toIiEEEENSG_9not_fun_tINSD_8identityEEEEENSD_19counting_iterator_tIlEES8_S8_S8_S8_S8_S8_S8_S8_EEEEPS9_S9_NSD_9__find_if7functorIS9_EEEE10hipError_tPvRmT1_T2_T3_mT4_P12ihipStream_tbEUlT_E1_NS1_11comp_targetILNS1_3genE10ELNS1_11target_archE1201ELNS1_3gpuE5ELNS1_3repE0EEENS1_30default_config_static_selectorELNS0_4arch9wavefront6targetE0EEEvS14_.has_indirect_call, 0
	.section	.AMDGPU.csdata,"",@progbits
; Kernel info:
; codeLenInByte = 0
; TotalNumSgprs: 0
; NumVgprs: 0
; ScratchSize: 0
; MemoryBound: 0
; FloatMode: 240
; IeeeMode: 1
; LDSByteSize: 0 bytes/workgroup (compile time only)
; SGPRBlocks: 0
; VGPRBlocks: 0
; NumSGPRsForWavesPerEU: 1
; NumVGPRsForWavesPerEU: 1
; Occupancy: 16
; WaveLimiterHint : 0
; COMPUTE_PGM_RSRC2:SCRATCH_EN: 0
; COMPUTE_PGM_RSRC2:USER_SGPR: 6
; COMPUTE_PGM_RSRC2:TRAP_HANDLER: 0
; COMPUTE_PGM_RSRC2:TGID_X_EN: 1
; COMPUTE_PGM_RSRC2:TGID_Y_EN: 0
; COMPUTE_PGM_RSRC2:TGID_Z_EN: 0
; COMPUTE_PGM_RSRC2:TIDIG_COMP_CNT: 0
	.section	.text._ZN7rocprim17ROCPRIM_400000_NS6detail17trampoline_kernelINS0_14default_configENS1_22reduce_config_selectorIN6thrust23THRUST_200600_302600_NS5tupleIblNS6_9null_typeES8_S8_S8_S8_S8_S8_S8_EEEEZNS1_11reduce_implILb1ES3_NS6_12zip_iteratorINS7_INS6_11hip_rocprim26transform_input_iterator_tIbNSD_35transform_pair_of_input_iterators_tIbNS6_6detail15normal_iteratorINS6_10device_ptrIKiEEEESL_NS6_8equal_toIiEEEENSG_9not_fun_tINSD_8identityEEEEENSD_19counting_iterator_tIlEES8_S8_S8_S8_S8_S8_S8_S8_EEEEPS9_S9_NSD_9__find_if7functorIS9_EEEE10hipError_tPvRmT1_T2_T3_mT4_P12ihipStream_tbEUlT_E1_NS1_11comp_targetILNS1_3genE10ELNS1_11target_archE1200ELNS1_3gpuE4ELNS1_3repE0EEENS1_30default_config_static_selectorELNS0_4arch9wavefront6targetE0EEEvS14_,"axG",@progbits,_ZN7rocprim17ROCPRIM_400000_NS6detail17trampoline_kernelINS0_14default_configENS1_22reduce_config_selectorIN6thrust23THRUST_200600_302600_NS5tupleIblNS6_9null_typeES8_S8_S8_S8_S8_S8_S8_EEEEZNS1_11reduce_implILb1ES3_NS6_12zip_iteratorINS7_INS6_11hip_rocprim26transform_input_iterator_tIbNSD_35transform_pair_of_input_iterators_tIbNS6_6detail15normal_iteratorINS6_10device_ptrIKiEEEESL_NS6_8equal_toIiEEEENSG_9not_fun_tINSD_8identityEEEEENSD_19counting_iterator_tIlEES8_S8_S8_S8_S8_S8_S8_S8_EEEEPS9_S9_NSD_9__find_if7functorIS9_EEEE10hipError_tPvRmT1_T2_T3_mT4_P12ihipStream_tbEUlT_E1_NS1_11comp_targetILNS1_3genE10ELNS1_11target_archE1200ELNS1_3gpuE4ELNS1_3repE0EEENS1_30default_config_static_selectorELNS0_4arch9wavefront6targetE0EEEvS14_,comdat
	.protected	_ZN7rocprim17ROCPRIM_400000_NS6detail17trampoline_kernelINS0_14default_configENS1_22reduce_config_selectorIN6thrust23THRUST_200600_302600_NS5tupleIblNS6_9null_typeES8_S8_S8_S8_S8_S8_S8_EEEEZNS1_11reduce_implILb1ES3_NS6_12zip_iteratorINS7_INS6_11hip_rocprim26transform_input_iterator_tIbNSD_35transform_pair_of_input_iterators_tIbNS6_6detail15normal_iteratorINS6_10device_ptrIKiEEEESL_NS6_8equal_toIiEEEENSG_9not_fun_tINSD_8identityEEEEENSD_19counting_iterator_tIlEES8_S8_S8_S8_S8_S8_S8_S8_EEEEPS9_S9_NSD_9__find_if7functorIS9_EEEE10hipError_tPvRmT1_T2_T3_mT4_P12ihipStream_tbEUlT_E1_NS1_11comp_targetILNS1_3genE10ELNS1_11target_archE1200ELNS1_3gpuE4ELNS1_3repE0EEENS1_30default_config_static_selectorELNS0_4arch9wavefront6targetE0EEEvS14_ ; -- Begin function _ZN7rocprim17ROCPRIM_400000_NS6detail17trampoline_kernelINS0_14default_configENS1_22reduce_config_selectorIN6thrust23THRUST_200600_302600_NS5tupleIblNS6_9null_typeES8_S8_S8_S8_S8_S8_S8_EEEEZNS1_11reduce_implILb1ES3_NS6_12zip_iteratorINS7_INS6_11hip_rocprim26transform_input_iterator_tIbNSD_35transform_pair_of_input_iterators_tIbNS6_6detail15normal_iteratorINS6_10device_ptrIKiEEEESL_NS6_8equal_toIiEEEENSG_9not_fun_tINSD_8identityEEEEENSD_19counting_iterator_tIlEES8_S8_S8_S8_S8_S8_S8_S8_EEEEPS9_S9_NSD_9__find_if7functorIS9_EEEE10hipError_tPvRmT1_T2_T3_mT4_P12ihipStream_tbEUlT_E1_NS1_11comp_targetILNS1_3genE10ELNS1_11target_archE1200ELNS1_3gpuE4ELNS1_3repE0EEENS1_30default_config_static_selectorELNS0_4arch9wavefront6targetE0EEEvS14_
	.globl	_ZN7rocprim17ROCPRIM_400000_NS6detail17trampoline_kernelINS0_14default_configENS1_22reduce_config_selectorIN6thrust23THRUST_200600_302600_NS5tupleIblNS6_9null_typeES8_S8_S8_S8_S8_S8_S8_EEEEZNS1_11reduce_implILb1ES3_NS6_12zip_iteratorINS7_INS6_11hip_rocprim26transform_input_iterator_tIbNSD_35transform_pair_of_input_iterators_tIbNS6_6detail15normal_iteratorINS6_10device_ptrIKiEEEESL_NS6_8equal_toIiEEEENSG_9not_fun_tINSD_8identityEEEEENSD_19counting_iterator_tIlEES8_S8_S8_S8_S8_S8_S8_S8_EEEEPS9_S9_NSD_9__find_if7functorIS9_EEEE10hipError_tPvRmT1_T2_T3_mT4_P12ihipStream_tbEUlT_E1_NS1_11comp_targetILNS1_3genE10ELNS1_11target_archE1200ELNS1_3gpuE4ELNS1_3repE0EEENS1_30default_config_static_selectorELNS0_4arch9wavefront6targetE0EEEvS14_
	.p2align	8
	.type	_ZN7rocprim17ROCPRIM_400000_NS6detail17trampoline_kernelINS0_14default_configENS1_22reduce_config_selectorIN6thrust23THRUST_200600_302600_NS5tupleIblNS6_9null_typeES8_S8_S8_S8_S8_S8_S8_EEEEZNS1_11reduce_implILb1ES3_NS6_12zip_iteratorINS7_INS6_11hip_rocprim26transform_input_iterator_tIbNSD_35transform_pair_of_input_iterators_tIbNS6_6detail15normal_iteratorINS6_10device_ptrIKiEEEESL_NS6_8equal_toIiEEEENSG_9not_fun_tINSD_8identityEEEEENSD_19counting_iterator_tIlEES8_S8_S8_S8_S8_S8_S8_S8_EEEEPS9_S9_NSD_9__find_if7functorIS9_EEEE10hipError_tPvRmT1_T2_T3_mT4_P12ihipStream_tbEUlT_E1_NS1_11comp_targetILNS1_3genE10ELNS1_11target_archE1200ELNS1_3gpuE4ELNS1_3repE0EEENS1_30default_config_static_selectorELNS0_4arch9wavefront6targetE0EEEvS14_,@function
_ZN7rocprim17ROCPRIM_400000_NS6detail17trampoline_kernelINS0_14default_configENS1_22reduce_config_selectorIN6thrust23THRUST_200600_302600_NS5tupleIblNS6_9null_typeES8_S8_S8_S8_S8_S8_S8_EEEEZNS1_11reduce_implILb1ES3_NS6_12zip_iteratorINS7_INS6_11hip_rocprim26transform_input_iterator_tIbNSD_35transform_pair_of_input_iterators_tIbNS6_6detail15normal_iteratorINS6_10device_ptrIKiEEEESL_NS6_8equal_toIiEEEENSG_9not_fun_tINSD_8identityEEEEENSD_19counting_iterator_tIlEES8_S8_S8_S8_S8_S8_S8_S8_EEEEPS9_S9_NSD_9__find_if7functorIS9_EEEE10hipError_tPvRmT1_T2_T3_mT4_P12ihipStream_tbEUlT_E1_NS1_11comp_targetILNS1_3genE10ELNS1_11target_archE1200ELNS1_3gpuE4ELNS1_3repE0EEENS1_30default_config_static_selectorELNS0_4arch9wavefront6targetE0EEEvS14_: ; @_ZN7rocprim17ROCPRIM_400000_NS6detail17trampoline_kernelINS0_14default_configENS1_22reduce_config_selectorIN6thrust23THRUST_200600_302600_NS5tupleIblNS6_9null_typeES8_S8_S8_S8_S8_S8_S8_EEEEZNS1_11reduce_implILb1ES3_NS6_12zip_iteratorINS7_INS6_11hip_rocprim26transform_input_iterator_tIbNSD_35transform_pair_of_input_iterators_tIbNS6_6detail15normal_iteratorINS6_10device_ptrIKiEEEESL_NS6_8equal_toIiEEEENSG_9not_fun_tINSD_8identityEEEEENSD_19counting_iterator_tIlEES8_S8_S8_S8_S8_S8_S8_S8_EEEEPS9_S9_NSD_9__find_if7functorIS9_EEEE10hipError_tPvRmT1_T2_T3_mT4_P12ihipStream_tbEUlT_E1_NS1_11comp_targetILNS1_3genE10ELNS1_11target_archE1200ELNS1_3gpuE4ELNS1_3repE0EEENS1_30default_config_static_selectorELNS0_4arch9wavefront6targetE0EEEvS14_
; %bb.0:
	.section	.rodata,"a",@progbits
	.p2align	6, 0x0
	.amdhsa_kernel _ZN7rocprim17ROCPRIM_400000_NS6detail17trampoline_kernelINS0_14default_configENS1_22reduce_config_selectorIN6thrust23THRUST_200600_302600_NS5tupleIblNS6_9null_typeES8_S8_S8_S8_S8_S8_S8_EEEEZNS1_11reduce_implILb1ES3_NS6_12zip_iteratorINS7_INS6_11hip_rocprim26transform_input_iterator_tIbNSD_35transform_pair_of_input_iterators_tIbNS6_6detail15normal_iteratorINS6_10device_ptrIKiEEEESL_NS6_8equal_toIiEEEENSG_9not_fun_tINSD_8identityEEEEENSD_19counting_iterator_tIlEES8_S8_S8_S8_S8_S8_S8_S8_EEEEPS9_S9_NSD_9__find_if7functorIS9_EEEE10hipError_tPvRmT1_T2_T3_mT4_P12ihipStream_tbEUlT_E1_NS1_11comp_targetILNS1_3genE10ELNS1_11target_archE1200ELNS1_3gpuE4ELNS1_3repE0EEENS1_30default_config_static_selectorELNS0_4arch9wavefront6targetE0EEEvS14_
		.amdhsa_group_segment_fixed_size 0
		.amdhsa_private_segment_fixed_size 0
		.amdhsa_kernarg_size 88
		.amdhsa_user_sgpr_count 6
		.amdhsa_user_sgpr_private_segment_buffer 1
		.amdhsa_user_sgpr_dispatch_ptr 0
		.amdhsa_user_sgpr_queue_ptr 0
		.amdhsa_user_sgpr_kernarg_segment_ptr 1
		.amdhsa_user_sgpr_dispatch_id 0
		.amdhsa_user_sgpr_flat_scratch_init 0
		.amdhsa_user_sgpr_private_segment_size 0
		.amdhsa_wavefront_size32 1
		.amdhsa_uses_dynamic_stack 0
		.amdhsa_system_sgpr_private_segment_wavefront_offset 0
		.amdhsa_system_sgpr_workgroup_id_x 1
		.amdhsa_system_sgpr_workgroup_id_y 0
		.amdhsa_system_sgpr_workgroup_id_z 0
		.amdhsa_system_sgpr_workgroup_info 0
		.amdhsa_system_vgpr_workitem_id 0
		.amdhsa_next_free_vgpr 1
		.amdhsa_next_free_sgpr 1
		.amdhsa_reserve_vcc 0
		.amdhsa_reserve_flat_scratch 0
		.amdhsa_float_round_mode_32 0
		.amdhsa_float_round_mode_16_64 0
		.amdhsa_float_denorm_mode_32 3
		.amdhsa_float_denorm_mode_16_64 3
		.amdhsa_dx10_clamp 1
		.amdhsa_ieee_mode 1
		.amdhsa_fp16_overflow 0
		.amdhsa_workgroup_processor_mode 1
		.amdhsa_memory_ordered 1
		.amdhsa_forward_progress 1
		.amdhsa_shared_vgpr_count 0
		.amdhsa_exception_fp_ieee_invalid_op 0
		.amdhsa_exception_fp_denorm_src 0
		.amdhsa_exception_fp_ieee_div_zero 0
		.amdhsa_exception_fp_ieee_overflow 0
		.amdhsa_exception_fp_ieee_underflow 0
		.amdhsa_exception_fp_ieee_inexact 0
		.amdhsa_exception_int_div_zero 0
	.end_amdhsa_kernel
	.section	.text._ZN7rocprim17ROCPRIM_400000_NS6detail17trampoline_kernelINS0_14default_configENS1_22reduce_config_selectorIN6thrust23THRUST_200600_302600_NS5tupleIblNS6_9null_typeES8_S8_S8_S8_S8_S8_S8_EEEEZNS1_11reduce_implILb1ES3_NS6_12zip_iteratorINS7_INS6_11hip_rocprim26transform_input_iterator_tIbNSD_35transform_pair_of_input_iterators_tIbNS6_6detail15normal_iteratorINS6_10device_ptrIKiEEEESL_NS6_8equal_toIiEEEENSG_9not_fun_tINSD_8identityEEEEENSD_19counting_iterator_tIlEES8_S8_S8_S8_S8_S8_S8_S8_EEEEPS9_S9_NSD_9__find_if7functorIS9_EEEE10hipError_tPvRmT1_T2_T3_mT4_P12ihipStream_tbEUlT_E1_NS1_11comp_targetILNS1_3genE10ELNS1_11target_archE1200ELNS1_3gpuE4ELNS1_3repE0EEENS1_30default_config_static_selectorELNS0_4arch9wavefront6targetE0EEEvS14_,"axG",@progbits,_ZN7rocprim17ROCPRIM_400000_NS6detail17trampoline_kernelINS0_14default_configENS1_22reduce_config_selectorIN6thrust23THRUST_200600_302600_NS5tupleIblNS6_9null_typeES8_S8_S8_S8_S8_S8_S8_EEEEZNS1_11reduce_implILb1ES3_NS6_12zip_iteratorINS7_INS6_11hip_rocprim26transform_input_iterator_tIbNSD_35transform_pair_of_input_iterators_tIbNS6_6detail15normal_iteratorINS6_10device_ptrIKiEEEESL_NS6_8equal_toIiEEEENSG_9not_fun_tINSD_8identityEEEEENSD_19counting_iterator_tIlEES8_S8_S8_S8_S8_S8_S8_S8_EEEEPS9_S9_NSD_9__find_if7functorIS9_EEEE10hipError_tPvRmT1_T2_T3_mT4_P12ihipStream_tbEUlT_E1_NS1_11comp_targetILNS1_3genE10ELNS1_11target_archE1200ELNS1_3gpuE4ELNS1_3repE0EEENS1_30default_config_static_selectorELNS0_4arch9wavefront6targetE0EEEvS14_,comdat
.Lfunc_end501:
	.size	_ZN7rocprim17ROCPRIM_400000_NS6detail17trampoline_kernelINS0_14default_configENS1_22reduce_config_selectorIN6thrust23THRUST_200600_302600_NS5tupleIblNS6_9null_typeES8_S8_S8_S8_S8_S8_S8_EEEEZNS1_11reduce_implILb1ES3_NS6_12zip_iteratorINS7_INS6_11hip_rocprim26transform_input_iterator_tIbNSD_35transform_pair_of_input_iterators_tIbNS6_6detail15normal_iteratorINS6_10device_ptrIKiEEEESL_NS6_8equal_toIiEEEENSG_9not_fun_tINSD_8identityEEEEENSD_19counting_iterator_tIlEES8_S8_S8_S8_S8_S8_S8_S8_EEEEPS9_S9_NSD_9__find_if7functorIS9_EEEE10hipError_tPvRmT1_T2_T3_mT4_P12ihipStream_tbEUlT_E1_NS1_11comp_targetILNS1_3genE10ELNS1_11target_archE1200ELNS1_3gpuE4ELNS1_3repE0EEENS1_30default_config_static_selectorELNS0_4arch9wavefront6targetE0EEEvS14_, .Lfunc_end501-_ZN7rocprim17ROCPRIM_400000_NS6detail17trampoline_kernelINS0_14default_configENS1_22reduce_config_selectorIN6thrust23THRUST_200600_302600_NS5tupleIblNS6_9null_typeES8_S8_S8_S8_S8_S8_S8_EEEEZNS1_11reduce_implILb1ES3_NS6_12zip_iteratorINS7_INS6_11hip_rocprim26transform_input_iterator_tIbNSD_35transform_pair_of_input_iterators_tIbNS6_6detail15normal_iteratorINS6_10device_ptrIKiEEEESL_NS6_8equal_toIiEEEENSG_9not_fun_tINSD_8identityEEEEENSD_19counting_iterator_tIlEES8_S8_S8_S8_S8_S8_S8_S8_EEEEPS9_S9_NSD_9__find_if7functorIS9_EEEE10hipError_tPvRmT1_T2_T3_mT4_P12ihipStream_tbEUlT_E1_NS1_11comp_targetILNS1_3genE10ELNS1_11target_archE1200ELNS1_3gpuE4ELNS1_3repE0EEENS1_30default_config_static_selectorELNS0_4arch9wavefront6targetE0EEEvS14_
                                        ; -- End function
	.set _ZN7rocprim17ROCPRIM_400000_NS6detail17trampoline_kernelINS0_14default_configENS1_22reduce_config_selectorIN6thrust23THRUST_200600_302600_NS5tupleIblNS6_9null_typeES8_S8_S8_S8_S8_S8_S8_EEEEZNS1_11reduce_implILb1ES3_NS6_12zip_iteratorINS7_INS6_11hip_rocprim26transform_input_iterator_tIbNSD_35transform_pair_of_input_iterators_tIbNS6_6detail15normal_iteratorINS6_10device_ptrIKiEEEESL_NS6_8equal_toIiEEEENSG_9not_fun_tINSD_8identityEEEEENSD_19counting_iterator_tIlEES8_S8_S8_S8_S8_S8_S8_S8_EEEEPS9_S9_NSD_9__find_if7functorIS9_EEEE10hipError_tPvRmT1_T2_T3_mT4_P12ihipStream_tbEUlT_E1_NS1_11comp_targetILNS1_3genE10ELNS1_11target_archE1200ELNS1_3gpuE4ELNS1_3repE0EEENS1_30default_config_static_selectorELNS0_4arch9wavefront6targetE0EEEvS14_.num_vgpr, 0
	.set _ZN7rocprim17ROCPRIM_400000_NS6detail17trampoline_kernelINS0_14default_configENS1_22reduce_config_selectorIN6thrust23THRUST_200600_302600_NS5tupleIblNS6_9null_typeES8_S8_S8_S8_S8_S8_S8_EEEEZNS1_11reduce_implILb1ES3_NS6_12zip_iteratorINS7_INS6_11hip_rocprim26transform_input_iterator_tIbNSD_35transform_pair_of_input_iterators_tIbNS6_6detail15normal_iteratorINS6_10device_ptrIKiEEEESL_NS6_8equal_toIiEEEENSG_9not_fun_tINSD_8identityEEEEENSD_19counting_iterator_tIlEES8_S8_S8_S8_S8_S8_S8_S8_EEEEPS9_S9_NSD_9__find_if7functorIS9_EEEE10hipError_tPvRmT1_T2_T3_mT4_P12ihipStream_tbEUlT_E1_NS1_11comp_targetILNS1_3genE10ELNS1_11target_archE1200ELNS1_3gpuE4ELNS1_3repE0EEENS1_30default_config_static_selectorELNS0_4arch9wavefront6targetE0EEEvS14_.num_agpr, 0
	.set _ZN7rocprim17ROCPRIM_400000_NS6detail17trampoline_kernelINS0_14default_configENS1_22reduce_config_selectorIN6thrust23THRUST_200600_302600_NS5tupleIblNS6_9null_typeES8_S8_S8_S8_S8_S8_S8_EEEEZNS1_11reduce_implILb1ES3_NS6_12zip_iteratorINS7_INS6_11hip_rocprim26transform_input_iterator_tIbNSD_35transform_pair_of_input_iterators_tIbNS6_6detail15normal_iteratorINS6_10device_ptrIKiEEEESL_NS6_8equal_toIiEEEENSG_9not_fun_tINSD_8identityEEEEENSD_19counting_iterator_tIlEES8_S8_S8_S8_S8_S8_S8_S8_EEEEPS9_S9_NSD_9__find_if7functorIS9_EEEE10hipError_tPvRmT1_T2_T3_mT4_P12ihipStream_tbEUlT_E1_NS1_11comp_targetILNS1_3genE10ELNS1_11target_archE1200ELNS1_3gpuE4ELNS1_3repE0EEENS1_30default_config_static_selectorELNS0_4arch9wavefront6targetE0EEEvS14_.numbered_sgpr, 0
	.set _ZN7rocprim17ROCPRIM_400000_NS6detail17trampoline_kernelINS0_14default_configENS1_22reduce_config_selectorIN6thrust23THRUST_200600_302600_NS5tupleIblNS6_9null_typeES8_S8_S8_S8_S8_S8_S8_EEEEZNS1_11reduce_implILb1ES3_NS6_12zip_iteratorINS7_INS6_11hip_rocprim26transform_input_iterator_tIbNSD_35transform_pair_of_input_iterators_tIbNS6_6detail15normal_iteratorINS6_10device_ptrIKiEEEESL_NS6_8equal_toIiEEEENSG_9not_fun_tINSD_8identityEEEEENSD_19counting_iterator_tIlEES8_S8_S8_S8_S8_S8_S8_S8_EEEEPS9_S9_NSD_9__find_if7functorIS9_EEEE10hipError_tPvRmT1_T2_T3_mT4_P12ihipStream_tbEUlT_E1_NS1_11comp_targetILNS1_3genE10ELNS1_11target_archE1200ELNS1_3gpuE4ELNS1_3repE0EEENS1_30default_config_static_selectorELNS0_4arch9wavefront6targetE0EEEvS14_.num_named_barrier, 0
	.set _ZN7rocprim17ROCPRIM_400000_NS6detail17trampoline_kernelINS0_14default_configENS1_22reduce_config_selectorIN6thrust23THRUST_200600_302600_NS5tupleIblNS6_9null_typeES8_S8_S8_S8_S8_S8_S8_EEEEZNS1_11reduce_implILb1ES3_NS6_12zip_iteratorINS7_INS6_11hip_rocprim26transform_input_iterator_tIbNSD_35transform_pair_of_input_iterators_tIbNS6_6detail15normal_iteratorINS6_10device_ptrIKiEEEESL_NS6_8equal_toIiEEEENSG_9not_fun_tINSD_8identityEEEEENSD_19counting_iterator_tIlEES8_S8_S8_S8_S8_S8_S8_S8_EEEEPS9_S9_NSD_9__find_if7functorIS9_EEEE10hipError_tPvRmT1_T2_T3_mT4_P12ihipStream_tbEUlT_E1_NS1_11comp_targetILNS1_3genE10ELNS1_11target_archE1200ELNS1_3gpuE4ELNS1_3repE0EEENS1_30default_config_static_selectorELNS0_4arch9wavefront6targetE0EEEvS14_.private_seg_size, 0
	.set _ZN7rocprim17ROCPRIM_400000_NS6detail17trampoline_kernelINS0_14default_configENS1_22reduce_config_selectorIN6thrust23THRUST_200600_302600_NS5tupleIblNS6_9null_typeES8_S8_S8_S8_S8_S8_S8_EEEEZNS1_11reduce_implILb1ES3_NS6_12zip_iteratorINS7_INS6_11hip_rocprim26transform_input_iterator_tIbNSD_35transform_pair_of_input_iterators_tIbNS6_6detail15normal_iteratorINS6_10device_ptrIKiEEEESL_NS6_8equal_toIiEEEENSG_9not_fun_tINSD_8identityEEEEENSD_19counting_iterator_tIlEES8_S8_S8_S8_S8_S8_S8_S8_EEEEPS9_S9_NSD_9__find_if7functorIS9_EEEE10hipError_tPvRmT1_T2_T3_mT4_P12ihipStream_tbEUlT_E1_NS1_11comp_targetILNS1_3genE10ELNS1_11target_archE1200ELNS1_3gpuE4ELNS1_3repE0EEENS1_30default_config_static_selectorELNS0_4arch9wavefront6targetE0EEEvS14_.uses_vcc, 0
	.set _ZN7rocprim17ROCPRIM_400000_NS6detail17trampoline_kernelINS0_14default_configENS1_22reduce_config_selectorIN6thrust23THRUST_200600_302600_NS5tupleIblNS6_9null_typeES8_S8_S8_S8_S8_S8_S8_EEEEZNS1_11reduce_implILb1ES3_NS6_12zip_iteratorINS7_INS6_11hip_rocprim26transform_input_iterator_tIbNSD_35transform_pair_of_input_iterators_tIbNS6_6detail15normal_iteratorINS6_10device_ptrIKiEEEESL_NS6_8equal_toIiEEEENSG_9not_fun_tINSD_8identityEEEEENSD_19counting_iterator_tIlEES8_S8_S8_S8_S8_S8_S8_S8_EEEEPS9_S9_NSD_9__find_if7functorIS9_EEEE10hipError_tPvRmT1_T2_T3_mT4_P12ihipStream_tbEUlT_E1_NS1_11comp_targetILNS1_3genE10ELNS1_11target_archE1200ELNS1_3gpuE4ELNS1_3repE0EEENS1_30default_config_static_selectorELNS0_4arch9wavefront6targetE0EEEvS14_.uses_flat_scratch, 0
	.set _ZN7rocprim17ROCPRIM_400000_NS6detail17trampoline_kernelINS0_14default_configENS1_22reduce_config_selectorIN6thrust23THRUST_200600_302600_NS5tupleIblNS6_9null_typeES8_S8_S8_S8_S8_S8_S8_EEEEZNS1_11reduce_implILb1ES3_NS6_12zip_iteratorINS7_INS6_11hip_rocprim26transform_input_iterator_tIbNSD_35transform_pair_of_input_iterators_tIbNS6_6detail15normal_iteratorINS6_10device_ptrIKiEEEESL_NS6_8equal_toIiEEEENSG_9not_fun_tINSD_8identityEEEEENSD_19counting_iterator_tIlEES8_S8_S8_S8_S8_S8_S8_S8_EEEEPS9_S9_NSD_9__find_if7functorIS9_EEEE10hipError_tPvRmT1_T2_T3_mT4_P12ihipStream_tbEUlT_E1_NS1_11comp_targetILNS1_3genE10ELNS1_11target_archE1200ELNS1_3gpuE4ELNS1_3repE0EEENS1_30default_config_static_selectorELNS0_4arch9wavefront6targetE0EEEvS14_.has_dyn_sized_stack, 0
	.set _ZN7rocprim17ROCPRIM_400000_NS6detail17trampoline_kernelINS0_14default_configENS1_22reduce_config_selectorIN6thrust23THRUST_200600_302600_NS5tupleIblNS6_9null_typeES8_S8_S8_S8_S8_S8_S8_EEEEZNS1_11reduce_implILb1ES3_NS6_12zip_iteratorINS7_INS6_11hip_rocprim26transform_input_iterator_tIbNSD_35transform_pair_of_input_iterators_tIbNS6_6detail15normal_iteratorINS6_10device_ptrIKiEEEESL_NS6_8equal_toIiEEEENSG_9not_fun_tINSD_8identityEEEEENSD_19counting_iterator_tIlEES8_S8_S8_S8_S8_S8_S8_S8_EEEEPS9_S9_NSD_9__find_if7functorIS9_EEEE10hipError_tPvRmT1_T2_T3_mT4_P12ihipStream_tbEUlT_E1_NS1_11comp_targetILNS1_3genE10ELNS1_11target_archE1200ELNS1_3gpuE4ELNS1_3repE0EEENS1_30default_config_static_selectorELNS0_4arch9wavefront6targetE0EEEvS14_.has_recursion, 0
	.set _ZN7rocprim17ROCPRIM_400000_NS6detail17trampoline_kernelINS0_14default_configENS1_22reduce_config_selectorIN6thrust23THRUST_200600_302600_NS5tupleIblNS6_9null_typeES8_S8_S8_S8_S8_S8_S8_EEEEZNS1_11reduce_implILb1ES3_NS6_12zip_iteratorINS7_INS6_11hip_rocprim26transform_input_iterator_tIbNSD_35transform_pair_of_input_iterators_tIbNS6_6detail15normal_iteratorINS6_10device_ptrIKiEEEESL_NS6_8equal_toIiEEEENSG_9not_fun_tINSD_8identityEEEEENSD_19counting_iterator_tIlEES8_S8_S8_S8_S8_S8_S8_S8_EEEEPS9_S9_NSD_9__find_if7functorIS9_EEEE10hipError_tPvRmT1_T2_T3_mT4_P12ihipStream_tbEUlT_E1_NS1_11comp_targetILNS1_3genE10ELNS1_11target_archE1200ELNS1_3gpuE4ELNS1_3repE0EEENS1_30default_config_static_selectorELNS0_4arch9wavefront6targetE0EEEvS14_.has_indirect_call, 0
	.section	.AMDGPU.csdata,"",@progbits
; Kernel info:
; codeLenInByte = 0
; TotalNumSgprs: 0
; NumVgprs: 0
; ScratchSize: 0
; MemoryBound: 0
; FloatMode: 240
; IeeeMode: 1
; LDSByteSize: 0 bytes/workgroup (compile time only)
; SGPRBlocks: 0
; VGPRBlocks: 0
; NumSGPRsForWavesPerEU: 1
; NumVGPRsForWavesPerEU: 1
; Occupancy: 16
; WaveLimiterHint : 0
; COMPUTE_PGM_RSRC2:SCRATCH_EN: 0
; COMPUTE_PGM_RSRC2:USER_SGPR: 6
; COMPUTE_PGM_RSRC2:TRAP_HANDLER: 0
; COMPUTE_PGM_RSRC2:TGID_X_EN: 1
; COMPUTE_PGM_RSRC2:TGID_Y_EN: 0
; COMPUTE_PGM_RSRC2:TGID_Z_EN: 0
; COMPUTE_PGM_RSRC2:TIDIG_COMP_CNT: 0
	.section	.text._ZN7rocprim17ROCPRIM_400000_NS6detail17trampoline_kernelINS0_14default_configENS1_22reduce_config_selectorIN6thrust23THRUST_200600_302600_NS5tupleIblNS6_9null_typeES8_S8_S8_S8_S8_S8_S8_EEEEZNS1_11reduce_implILb1ES3_NS6_12zip_iteratorINS7_INS6_11hip_rocprim26transform_input_iterator_tIbNSD_35transform_pair_of_input_iterators_tIbNS6_6detail15normal_iteratorINS6_10device_ptrIKiEEEESL_NS6_8equal_toIiEEEENSG_9not_fun_tINSD_8identityEEEEENSD_19counting_iterator_tIlEES8_S8_S8_S8_S8_S8_S8_S8_EEEEPS9_S9_NSD_9__find_if7functorIS9_EEEE10hipError_tPvRmT1_T2_T3_mT4_P12ihipStream_tbEUlT_E1_NS1_11comp_targetILNS1_3genE9ELNS1_11target_archE1100ELNS1_3gpuE3ELNS1_3repE0EEENS1_30default_config_static_selectorELNS0_4arch9wavefront6targetE0EEEvS14_,"axG",@progbits,_ZN7rocprim17ROCPRIM_400000_NS6detail17trampoline_kernelINS0_14default_configENS1_22reduce_config_selectorIN6thrust23THRUST_200600_302600_NS5tupleIblNS6_9null_typeES8_S8_S8_S8_S8_S8_S8_EEEEZNS1_11reduce_implILb1ES3_NS6_12zip_iteratorINS7_INS6_11hip_rocprim26transform_input_iterator_tIbNSD_35transform_pair_of_input_iterators_tIbNS6_6detail15normal_iteratorINS6_10device_ptrIKiEEEESL_NS6_8equal_toIiEEEENSG_9not_fun_tINSD_8identityEEEEENSD_19counting_iterator_tIlEES8_S8_S8_S8_S8_S8_S8_S8_EEEEPS9_S9_NSD_9__find_if7functorIS9_EEEE10hipError_tPvRmT1_T2_T3_mT4_P12ihipStream_tbEUlT_E1_NS1_11comp_targetILNS1_3genE9ELNS1_11target_archE1100ELNS1_3gpuE3ELNS1_3repE0EEENS1_30default_config_static_selectorELNS0_4arch9wavefront6targetE0EEEvS14_,comdat
	.protected	_ZN7rocprim17ROCPRIM_400000_NS6detail17trampoline_kernelINS0_14default_configENS1_22reduce_config_selectorIN6thrust23THRUST_200600_302600_NS5tupleIblNS6_9null_typeES8_S8_S8_S8_S8_S8_S8_EEEEZNS1_11reduce_implILb1ES3_NS6_12zip_iteratorINS7_INS6_11hip_rocprim26transform_input_iterator_tIbNSD_35transform_pair_of_input_iterators_tIbNS6_6detail15normal_iteratorINS6_10device_ptrIKiEEEESL_NS6_8equal_toIiEEEENSG_9not_fun_tINSD_8identityEEEEENSD_19counting_iterator_tIlEES8_S8_S8_S8_S8_S8_S8_S8_EEEEPS9_S9_NSD_9__find_if7functorIS9_EEEE10hipError_tPvRmT1_T2_T3_mT4_P12ihipStream_tbEUlT_E1_NS1_11comp_targetILNS1_3genE9ELNS1_11target_archE1100ELNS1_3gpuE3ELNS1_3repE0EEENS1_30default_config_static_selectorELNS0_4arch9wavefront6targetE0EEEvS14_ ; -- Begin function _ZN7rocprim17ROCPRIM_400000_NS6detail17trampoline_kernelINS0_14default_configENS1_22reduce_config_selectorIN6thrust23THRUST_200600_302600_NS5tupleIblNS6_9null_typeES8_S8_S8_S8_S8_S8_S8_EEEEZNS1_11reduce_implILb1ES3_NS6_12zip_iteratorINS7_INS6_11hip_rocprim26transform_input_iterator_tIbNSD_35transform_pair_of_input_iterators_tIbNS6_6detail15normal_iteratorINS6_10device_ptrIKiEEEESL_NS6_8equal_toIiEEEENSG_9not_fun_tINSD_8identityEEEEENSD_19counting_iterator_tIlEES8_S8_S8_S8_S8_S8_S8_S8_EEEEPS9_S9_NSD_9__find_if7functorIS9_EEEE10hipError_tPvRmT1_T2_T3_mT4_P12ihipStream_tbEUlT_E1_NS1_11comp_targetILNS1_3genE9ELNS1_11target_archE1100ELNS1_3gpuE3ELNS1_3repE0EEENS1_30default_config_static_selectorELNS0_4arch9wavefront6targetE0EEEvS14_
	.globl	_ZN7rocprim17ROCPRIM_400000_NS6detail17trampoline_kernelINS0_14default_configENS1_22reduce_config_selectorIN6thrust23THRUST_200600_302600_NS5tupleIblNS6_9null_typeES8_S8_S8_S8_S8_S8_S8_EEEEZNS1_11reduce_implILb1ES3_NS6_12zip_iteratorINS7_INS6_11hip_rocprim26transform_input_iterator_tIbNSD_35transform_pair_of_input_iterators_tIbNS6_6detail15normal_iteratorINS6_10device_ptrIKiEEEESL_NS6_8equal_toIiEEEENSG_9not_fun_tINSD_8identityEEEEENSD_19counting_iterator_tIlEES8_S8_S8_S8_S8_S8_S8_S8_EEEEPS9_S9_NSD_9__find_if7functorIS9_EEEE10hipError_tPvRmT1_T2_T3_mT4_P12ihipStream_tbEUlT_E1_NS1_11comp_targetILNS1_3genE9ELNS1_11target_archE1100ELNS1_3gpuE3ELNS1_3repE0EEENS1_30default_config_static_selectorELNS0_4arch9wavefront6targetE0EEEvS14_
	.p2align	8
	.type	_ZN7rocprim17ROCPRIM_400000_NS6detail17trampoline_kernelINS0_14default_configENS1_22reduce_config_selectorIN6thrust23THRUST_200600_302600_NS5tupleIblNS6_9null_typeES8_S8_S8_S8_S8_S8_S8_EEEEZNS1_11reduce_implILb1ES3_NS6_12zip_iteratorINS7_INS6_11hip_rocprim26transform_input_iterator_tIbNSD_35transform_pair_of_input_iterators_tIbNS6_6detail15normal_iteratorINS6_10device_ptrIKiEEEESL_NS6_8equal_toIiEEEENSG_9not_fun_tINSD_8identityEEEEENSD_19counting_iterator_tIlEES8_S8_S8_S8_S8_S8_S8_S8_EEEEPS9_S9_NSD_9__find_if7functorIS9_EEEE10hipError_tPvRmT1_T2_T3_mT4_P12ihipStream_tbEUlT_E1_NS1_11comp_targetILNS1_3genE9ELNS1_11target_archE1100ELNS1_3gpuE3ELNS1_3repE0EEENS1_30default_config_static_selectorELNS0_4arch9wavefront6targetE0EEEvS14_,@function
_ZN7rocprim17ROCPRIM_400000_NS6detail17trampoline_kernelINS0_14default_configENS1_22reduce_config_selectorIN6thrust23THRUST_200600_302600_NS5tupleIblNS6_9null_typeES8_S8_S8_S8_S8_S8_S8_EEEEZNS1_11reduce_implILb1ES3_NS6_12zip_iteratorINS7_INS6_11hip_rocprim26transform_input_iterator_tIbNSD_35transform_pair_of_input_iterators_tIbNS6_6detail15normal_iteratorINS6_10device_ptrIKiEEEESL_NS6_8equal_toIiEEEENSG_9not_fun_tINSD_8identityEEEEENSD_19counting_iterator_tIlEES8_S8_S8_S8_S8_S8_S8_S8_EEEEPS9_S9_NSD_9__find_if7functorIS9_EEEE10hipError_tPvRmT1_T2_T3_mT4_P12ihipStream_tbEUlT_E1_NS1_11comp_targetILNS1_3genE9ELNS1_11target_archE1100ELNS1_3gpuE3ELNS1_3repE0EEENS1_30default_config_static_selectorELNS0_4arch9wavefront6targetE0EEEvS14_: ; @_ZN7rocprim17ROCPRIM_400000_NS6detail17trampoline_kernelINS0_14default_configENS1_22reduce_config_selectorIN6thrust23THRUST_200600_302600_NS5tupleIblNS6_9null_typeES8_S8_S8_S8_S8_S8_S8_EEEEZNS1_11reduce_implILb1ES3_NS6_12zip_iteratorINS7_INS6_11hip_rocprim26transform_input_iterator_tIbNSD_35transform_pair_of_input_iterators_tIbNS6_6detail15normal_iteratorINS6_10device_ptrIKiEEEESL_NS6_8equal_toIiEEEENSG_9not_fun_tINSD_8identityEEEEENSD_19counting_iterator_tIlEES8_S8_S8_S8_S8_S8_S8_S8_EEEEPS9_S9_NSD_9__find_if7functorIS9_EEEE10hipError_tPvRmT1_T2_T3_mT4_P12ihipStream_tbEUlT_E1_NS1_11comp_targetILNS1_3genE9ELNS1_11target_archE1100ELNS1_3gpuE3ELNS1_3repE0EEENS1_30default_config_static_selectorELNS0_4arch9wavefront6targetE0EEEvS14_
; %bb.0:
	.section	.rodata,"a",@progbits
	.p2align	6, 0x0
	.amdhsa_kernel _ZN7rocprim17ROCPRIM_400000_NS6detail17trampoline_kernelINS0_14default_configENS1_22reduce_config_selectorIN6thrust23THRUST_200600_302600_NS5tupleIblNS6_9null_typeES8_S8_S8_S8_S8_S8_S8_EEEEZNS1_11reduce_implILb1ES3_NS6_12zip_iteratorINS7_INS6_11hip_rocprim26transform_input_iterator_tIbNSD_35transform_pair_of_input_iterators_tIbNS6_6detail15normal_iteratorINS6_10device_ptrIKiEEEESL_NS6_8equal_toIiEEEENSG_9not_fun_tINSD_8identityEEEEENSD_19counting_iterator_tIlEES8_S8_S8_S8_S8_S8_S8_S8_EEEEPS9_S9_NSD_9__find_if7functorIS9_EEEE10hipError_tPvRmT1_T2_T3_mT4_P12ihipStream_tbEUlT_E1_NS1_11comp_targetILNS1_3genE9ELNS1_11target_archE1100ELNS1_3gpuE3ELNS1_3repE0EEENS1_30default_config_static_selectorELNS0_4arch9wavefront6targetE0EEEvS14_
		.amdhsa_group_segment_fixed_size 0
		.amdhsa_private_segment_fixed_size 0
		.amdhsa_kernarg_size 88
		.amdhsa_user_sgpr_count 6
		.amdhsa_user_sgpr_private_segment_buffer 1
		.amdhsa_user_sgpr_dispatch_ptr 0
		.amdhsa_user_sgpr_queue_ptr 0
		.amdhsa_user_sgpr_kernarg_segment_ptr 1
		.amdhsa_user_sgpr_dispatch_id 0
		.amdhsa_user_sgpr_flat_scratch_init 0
		.amdhsa_user_sgpr_private_segment_size 0
		.amdhsa_wavefront_size32 1
		.amdhsa_uses_dynamic_stack 0
		.amdhsa_system_sgpr_private_segment_wavefront_offset 0
		.amdhsa_system_sgpr_workgroup_id_x 1
		.amdhsa_system_sgpr_workgroup_id_y 0
		.amdhsa_system_sgpr_workgroup_id_z 0
		.amdhsa_system_sgpr_workgroup_info 0
		.amdhsa_system_vgpr_workitem_id 0
		.amdhsa_next_free_vgpr 1
		.amdhsa_next_free_sgpr 1
		.amdhsa_reserve_vcc 0
		.amdhsa_reserve_flat_scratch 0
		.amdhsa_float_round_mode_32 0
		.amdhsa_float_round_mode_16_64 0
		.amdhsa_float_denorm_mode_32 3
		.amdhsa_float_denorm_mode_16_64 3
		.amdhsa_dx10_clamp 1
		.amdhsa_ieee_mode 1
		.amdhsa_fp16_overflow 0
		.amdhsa_workgroup_processor_mode 1
		.amdhsa_memory_ordered 1
		.amdhsa_forward_progress 1
		.amdhsa_shared_vgpr_count 0
		.amdhsa_exception_fp_ieee_invalid_op 0
		.amdhsa_exception_fp_denorm_src 0
		.amdhsa_exception_fp_ieee_div_zero 0
		.amdhsa_exception_fp_ieee_overflow 0
		.amdhsa_exception_fp_ieee_underflow 0
		.amdhsa_exception_fp_ieee_inexact 0
		.amdhsa_exception_int_div_zero 0
	.end_amdhsa_kernel
	.section	.text._ZN7rocprim17ROCPRIM_400000_NS6detail17trampoline_kernelINS0_14default_configENS1_22reduce_config_selectorIN6thrust23THRUST_200600_302600_NS5tupleIblNS6_9null_typeES8_S8_S8_S8_S8_S8_S8_EEEEZNS1_11reduce_implILb1ES3_NS6_12zip_iteratorINS7_INS6_11hip_rocprim26transform_input_iterator_tIbNSD_35transform_pair_of_input_iterators_tIbNS6_6detail15normal_iteratorINS6_10device_ptrIKiEEEESL_NS6_8equal_toIiEEEENSG_9not_fun_tINSD_8identityEEEEENSD_19counting_iterator_tIlEES8_S8_S8_S8_S8_S8_S8_S8_EEEEPS9_S9_NSD_9__find_if7functorIS9_EEEE10hipError_tPvRmT1_T2_T3_mT4_P12ihipStream_tbEUlT_E1_NS1_11comp_targetILNS1_3genE9ELNS1_11target_archE1100ELNS1_3gpuE3ELNS1_3repE0EEENS1_30default_config_static_selectorELNS0_4arch9wavefront6targetE0EEEvS14_,"axG",@progbits,_ZN7rocprim17ROCPRIM_400000_NS6detail17trampoline_kernelINS0_14default_configENS1_22reduce_config_selectorIN6thrust23THRUST_200600_302600_NS5tupleIblNS6_9null_typeES8_S8_S8_S8_S8_S8_S8_EEEEZNS1_11reduce_implILb1ES3_NS6_12zip_iteratorINS7_INS6_11hip_rocprim26transform_input_iterator_tIbNSD_35transform_pair_of_input_iterators_tIbNS6_6detail15normal_iteratorINS6_10device_ptrIKiEEEESL_NS6_8equal_toIiEEEENSG_9not_fun_tINSD_8identityEEEEENSD_19counting_iterator_tIlEES8_S8_S8_S8_S8_S8_S8_S8_EEEEPS9_S9_NSD_9__find_if7functorIS9_EEEE10hipError_tPvRmT1_T2_T3_mT4_P12ihipStream_tbEUlT_E1_NS1_11comp_targetILNS1_3genE9ELNS1_11target_archE1100ELNS1_3gpuE3ELNS1_3repE0EEENS1_30default_config_static_selectorELNS0_4arch9wavefront6targetE0EEEvS14_,comdat
.Lfunc_end502:
	.size	_ZN7rocprim17ROCPRIM_400000_NS6detail17trampoline_kernelINS0_14default_configENS1_22reduce_config_selectorIN6thrust23THRUST_200600_302600_NS5tupleIblNS6_9null_typeES8_S8_S8_S8_S8_S8_S8_EEEEZNS1_11reduce_implILb1ES3_NS6_12zip_iteratorINS7_INS6_11hip_rocprim26transform_input_iterator_tIbNSD_35transform_pair_of_input_iterators_tIbNS6_6detail15normal_iteratorINS6_10device_ptrIKiEEEESL_NS6_8equal_toIiEEEENSG_9not_fun_tINSD_8identityEEEEENSD_19counting_iterator_tIlEES8_S8_S8_S8_S8_S8_S8_S8_EEEEPS9_S9_NSD_9__find_if7functorIS9_EEEE10hipError_tPvRmT1_T2_T3_mT4_P12ihipStream_tbEUlT_E1_NS1_11comp_targetILNS1_3genE9ELNS1_11target_archE1100ELNS1_3gpuE3ELNS1_3repE0EEENS1_30default_config_static_selectorELNS0_4arch9wavefront6targetE0EEEvS14_, .Lfunc_end502-_ZN7rocprim17ROCPRIM_400000_NS6detail17trampoline_kernelINS0_14default_configENS1_22reduce_config_selectorIN6thrust23THRUST_200600_302600_NS5tupleIblNS6_9null_typeES8_S8_S8_S8_S8_S8_S8_EEEEZNS1_11reduce_implILb1ES3_NS6_12zip_iteratorINS7_INS6_11hip_rocprim26transform_input_iterator_tIbNSD_35transform_pair_of_input_iterators_tIbNS6_6detail15normal_iteratorINS6_10device_ptrIKiEEEESL_NS6_8equal_toIiEEEENSG_9not_fun_tINSD_8identityEEEEENSD_19counting_iterator_tIlEES8_S8_S8_S8_S8_S8_S8_S8_EEEEPS9_S9_NSD_9__find_if7functorIS9_EEEE10hipError_tPvRmT1_T2_T3_mT4_P12ihipStream_tbEUlT_E1_NS1_11comp_targetILNS1_3genE9ELNS1_11target_archE1100ELNS1_3gpuE3ELNS1_3repE0EEENS1_30default_config_static_selectorELNS0_4arch9wavefront6targetE0EEEvS14_
                                        ; -- End function
	.set _ZN7rocprim17ROCPRIM_400000_NS6detail17trampoline_kernelINS0_14default_configENS1_22reduce_config_selectorIN6thrust23THRUST_200600_302600_NS5tupleIblNS6_9null_typeES8_S8_S8_S8_S8_S8_S8_EEEEZNS1_11reduce_implILb1ES3_NS6_12zip_iteratorINS7_INS6_11hip_rocprim26transform_input_iterator_tIbNSD_35transform_pair_of_input_iterators_tIbNS6_6detail15normal_iteratorINS6_10device_ptrIKiEEEESL_NS6_8equal_toIiEEEENSG_9not_fun_tINSD_8identityEEEEENSD_19counting_iterator_tIlEES8_S8_S8_S8_S8_S8_S8_S8_EEEEPS9_S9_NSD_9__find_if7functorIS9_EEEE10hipError_tPvRmT1_T2_T3_mT4_P12ihipStream_tbEUlT_E1_NS1_11comp_targetILNS1_3genE9ELNS1_11target_archE1100ELNS1_3gpuE3ELNS1_3repE0EEENS1_30default_config_static_selectorELNS0_4arch9wavefront6targetE0EEEvS14_.num_vgpr, 0
	.set _ZN7rocprim17ROCPRIM_400000_NS6detail17trampoline_kernelINS0_14default_configENS1_22reduce_config_selectorIN6thrust23THRUST_200600_302600_NS5tupleIblNS6_9null_typeES8_S8_S8_S8_S8_S8_S8_EEEEZNS1_11reduce_implILb1ES3_NS6_12zip_iteratorINS7_INS6_11hip_rocprim26transform_input_iterator_tIbNSD_35transform_pair_of_input_iterators_tIbNS6_6detail15normal_iteratorINS6_10device_ptrIKiEEEESL_NS6_8equal_toIiEEEENSG_9not_fun_tINSD_8identityEEEEENSD_19counting_iterator_tIlEES8_S8_S8_S8_S8_S8_S8_S8_EEEEPS9_S9_NSD_9__find_if7functorIS9_EEEE10hipError_tPvRmT1_T2_T3_mT4_P12ihipStream_tbEUlT_E1_NS1_11comp_targetILNS1_3genE9ELNS1_11target_archE1100ELNS1_3gpuE3ELNS1_3repE0EEENS1_30default_config_static_selectorELNS0_4arch9wavefront6targetE0EEEvS14_.num_agpr, 0
	.set _ZN7rocprim17ROCPRIM_400000_NS6detail17trampoline_kernelINS0_14default_configENS1_22reduce_config_selectorIN6thrust23THRUST_200600_302600_NS5tupleIblNS6_9null_typeES8_S8_S8_S8_S8_S8_S8_EEEEZNS1_11reduce_implILb1ES3_NS6_12zip_iteratorINS7_INS6_11hip_rocprim26transform_input_iterator_tIbNSD_35transform_pair_of_input_iterators_tIbNS6_6detail15normal_iteratorINS6_10device_ptrIKiEEEESL_NS6_8equal_toIiEEEENSG_9not_fun_tINSD_8identityEEEEENSD_19counting_iterator_tIlEES8_S8_S8_S8_S8_S8_S8_S8_EEEEPS9_S9_NSD_9__find_if7functorIS9_EEEE10hipError_tPvRmT1_T2_T3_mT4_P12ihipStream_tbEUlT_E1_NS1_11comp_targetILNS1_3genE9ELNS1_11target_archE1100ELNS1_3gpuE3ELNS1_3repE0EEENS1_30default_config_static_selectorELNS0_4arch9wavefront6targetE0EEEvS14_.numbered_sgpr, 0
	.set _ZN7rocprim17ROCPRIM_400000_NS6detail17trampoline_kernelINS0_14default_configENS1_22reduce_config_selectorIN6thrust23THRUST_200600_302600_NS5tupleIblNS6_9null_typeES8_S8_S8_S8_S8_S8_S8_EEEEZNS1_11reduce_implILb1ES3_NS6_12zip_iteratorINS7_INS6_11hip_rocprim26transform_input_iterator_tIbNSD_35transform_pair_of_input_iterators_tIbNS6_6detail15normal_iteratorINS6_10device_ptrIKiEEEESL_NS6_8equal_toIiEEEENSG_9not_fun_tINSD_8identityEEEEENSD_19counting_iterator_tIlEES8_S8_S8_S8_S8_S8_S8_S8_EEEEPS9_S9_NSD_9__find_if7functorIS9_EEEE10hipError_tPvRmT1_T2_T3_mT4_P12ihipStream_tbEUlT_E1_NS1_11comp_targetILNS1_3genE9ELNS1_11target_archE1100ELNS1_3gpuE3ELNS1_3repE0EEENS1_30default_config_static_selectorELNS0_4arch9wavefront6targetE0EEEvS14_.num_named_barrier, 0
	.set _ZN7rocprim17ROCPRIM_400000_NS6detail17trampoline_kernelINS0_14default_configENS1_22reduce_config_selectorIN6thrust23THRUST_200600_302600_NS5tupleIblNS6_9null_typeES8_S8_S8_S8_S8_S8_S8_EEEEZNS1_11reduce_implILb1ES3_NS6_12zip_iteratorINS7_INS6_11hip_rocprim26transform_input_iterator_tIbNSD_35transform_pair_of_input_iterators_tIbNS6_6detail15normal_iteratorINS6_10device_ptrIKiEEEESL_NS6_8equal_toIiEEEENSG_9not_fun_tINSD_8identityEEEEENSD_19counting_iterator_tIlEES8_S8_S8_S8_S8_S8_S8_S8_EEEEPS9_S9_NSD_9__find_if7functorIS9_EEEE10hipError_tPvRmT1_T2_T3_mT4_P12ihipStream_tbEUlT_E1_NS1_11comp_targetILNS1_3genE9ELNS1_11target_archE1100ELNS1_3gpuE3ELNS1_3repE0EEENS1_30default_config_static_selectorELNS0_4arch9wavefront6targetE0EEEvS14_.private_seg_size, 0
	.set _ZN7rocprim17ROCPRIM_400000_NS6detail17trampoline_kernelINS0_14default_configENS1_22reduce_config_selectorIN6thrust23THRUST_200600_302600_NS5tupleIblNS6_9null_typeES8_S8_S8_S8_S8_S8_S8_EEEEZNS1_11reduce_implILb1ES3_NS6_12zip_iteratorINS7_INS6_11hip_rocprim26transform_input_iterator_tIbNSD_35transform_pair_of_input_iterators_tIbNS6_6detail15normal_iteratorINS6_10device_ptrIKiEEEESL_NS6_8equal_toIiEEEENSG_9not_fun_tINSD_8identityEEEEENSD_19counting_iterator_tIlEES8_S8_S8_S8_S8_S8_S8_S8_EEEEPS9_S9_NSD_9__find_if7functorIS9_EEEE10hipError_tPvRmT1_T2_T3_mT4_P12ihipStream_tbEUlT_E1_NS1_11comp_targetILNS1_3genE9ELNS1_11target_archE1100ELNS1_3gpuE3ELNS1_3repE0EEENS1_30default_config_static_selectorELNS0_4arch9wavefront6targetE0EEEvS14_.uses_vcc, 0
	.set _ZN7rocprim17ROCPRIM_400000_NS6detail17trampoline_kernelINS0_14default_configENS1_22reduce_config_selectorIN6thrust23THRUST_200600_302600_NS5tupleIblNS6_9null_typeES8_S8_S8_S8_S8_S8_S8_EEEEZNS1_11reduce_implILb1ES3_NS6_12zip_iteratorINS7_INS6_11hip_rocprim26transform_input_iterator_tIbNSD_35transform_pair_of_input_iterators_tIbNS6_6detail15normal_iteratorINS6_10device_ptrIKiEEEESL_NS6_8equal_toIiEEEENSG_9not_fun_tINSD_8identityEEEEENSD_19counting_iterator_tIlEES8_S8_S8_S8_S8_S8_S8_S8_EEEEPS9_S9_NSD_9__find_if7functorIS9_EEEE10hipError_tPvRmT1_T2_T3_mT4_P12ihipStream_tbEUlT_E1_NS1_11comp_targetILNS1_3genE9ELNS1_11target_archE1100ELNS1_3gpuE3ELNS1_3repE0EEENS1_30default_config_static_selectorELNS0_4arch9wavefront6targetE0EEEvS14_.uses_flat_scratch, 0
	.set _ZN7rocprim17ROCPRIM_400000_NS6detail17trampoline_kernelINS0_14default_configENS1_22reduce_config_selectorIN6thrust23THRUST_200600_302600_NS5tupleIblNS6_9null_typeES8_S8_S8_S8_S8_S8_S8_EEEEZNS1_11reduce_implILb1ES3_NS6_12zip_iteratorINS7_INS6_11hip_rocprim26transform_input_iterator_tIbNSD_35transform_pair_of_input_iterators_tIbNS6_6detail15normal_iteratorINS6_10device_ptrIKiEEEESL_NS6_8equal_toIiEEEENSG_9not_fun_tINSD_8identityEEEEENSD_19counting_iterator_tIlEES8_S8_S8_S8_S8_S8_S8_S8_EEEEPS9_S9_NSD_9__find_if7functorIS9_EEEE10hipError_tPvRmT1_T2_T3_mT4_P12ihipStream_tbEUlT_E1_NS1_11comp_targetILNS1_3genE9ELNS1_11target_archE1100ELNS1_3gpuE3ELNS1_3repE0EEENS1_30default_config_static_selectorELNS0_4arch9wavefront6targetE0EEEvS14_.has_dyn_sized_stack, 0
	.set _ZN7rocprim17ROCPRIM_400000_NS6detail17trampoline_kernelINS0_14default_configENS1_22reduce_config_selectorIN6thrust23THRUST_200600_302600_NS5tupleIblNS6_9null_typeES8_S8_S8_S8_S8_S8_S8_EEEEZNS1_11reduce_implILb1ES3_NS6_12zip_iteratorINS7_INS6_11hip_rocprim26transform_input_iterator_tIbNSD_35transform_pair_of_input_iterators_tIbNS6_6detail15normal_iteratorINS6_10device_ptrIKiEEEESL_NS6_8equal_toIiEEEENSG_9not_fun_tINSD_8identityEEEEENSD_19counting_iterator_tIlEES8_S8_S8_S8_S8_S8_S8_S8_EEEEPS9_S9_NSD_9__find_if7functorIS9_EEEE10hipError_tPvRmT1_T2_T3_mT4_P12ihipStream_tbEUlT_E1_NS1_11comp_targetILNS1_3genE9ELNS1_11target_archE1100ELNS1_3gpuE3ELNS1_3repE0EEENS1_30default_config_static_selectorELNS0_4arch9wavefront6targetE0EEEvS14_.has_recursion, 0
	.set _ZN7rocprim17ROCPRIM_400000_NS6detail17trampoline_kernelINS0_14default_configENS1_22reduce_config_selectorIN6thrust23THRUST_200600_302600_NS5tupleIblNS6_9null_typeES8_S8_S8_S8_S8_S8_S8_EEEEZNS1_11reduce_implILb1ES3_NS6_12zip_iteratorINS7_INS6_11hip_rocprim26transform_input_iterator_tIbNSD_35transform_pair_of_input_iterators_tIbNS6_6detail15normal_iteratorINS6_10device_ptrIKiEEEESL_NS6_8equal_toIiEEEENSG_9not_fun_tINSD_8identityEEEEENSD_19counting_iterator_tIlEES8_S8_S8_S8_S8_S8_S8_S8_EEEEPS9_S9_NSD_9__find_if7functorIS9_EEEE10hipError_tPvRmT1_T2_T3_mT4_P12ihipStream_tbEUlT_E1_NS1_11comp_targetILNS1_3genE9ELNS1_11target_archE1100ELNS1_3gpuE3ELNS1_3repE0EEENS1_30default_config_static_selectorELNS0_4arch9wavefront6targetE0EEEvS14_.has_indirect_call, 0
	.section	.AMDGPU.csdata,"",@progbits
; Kernel info:
; codeLenInByte = 0
; TotalNumSgprs: 0
; NumVgprs: 0
; ScratchSize: 0
; MemoryBound: 0
; FloatMode: 240
; IeeeMode: 1
; LDSByteSize: 0 bytes/workgroup (compile time only)
; SGPRBlocks: 0
; VGPRBlocks: 0
; NumSGPRsForWavesPerEU: 1
; NumVGPRsForWavesPerEU: 1
; Occupancy: 16
; WaveLimiterHint : 0
; COMPUTE_PGM_RSRC2:SCRATCH_EN: 0
; COMPUTE_PGM_RSRC2:USER_SGPR: 6
; COMPUTE_PGM_RSRC2:TRAP_HANDLER: 0
; COMPUTE_PGM_RSRC2:TGID_X_EN: 1
; COMPUTE_PGM_RSRC2:TGID_Y_EN: 0
; COMPUTE_PGM_RSRC2:TGID_Z_EN: 0
; COMPUTE_PGM_RSRC2:TIDIG_COMP_CNT: 0
	.section	.text._ZN7rocprim17ROCPRIM_400000_NS6detail17trampoline_kernelINS0_14default_configENS1_22reduce_config_selectorIN6thrust23THRUST_200600_302600_NS5tupleIblNS6_9null_typeES8_S8_S8_S8_S8_S8_S8_EEEEZNS1_11reduce_implILb1ES3_NS6_12zip_iteratorINS7_INS6_11hip_rocprim26transform_input_iterator_tIbNSD_35transform_pair_of_input_iterators_tIbNS6_6detail15normal_iteratorINS6_10device_ptrIKiEEEESL_NS6_8equal_toIiEEEENSG_9not_fun_tINSD_8identityEEEEENSD_19counting_iterator_tIlEES8_S8_S8_S8_S8_S8_S8_S8_EEEEPS9_S9_NSD_9__find_if7functorIS9_EEEE10hipError_tPvRmT1_T2_T3_mT4_P12ihipStream_tbEUlT_E1_NS1_11comp_targetILNS1_3genE8ELNS1_11target_archE1030ELNS1_3gpuE2ELNS1_3repE0EEENS1_30default_config_static_selectorELNS0_4arch9wavefront6targetE0EEEvS14_,"axG",@progbits,_ZN7rocprim17ROCPRIM_400000_NS6detail17trampoline_kernelINS0_14default_configENS1_22reduce_config_selectorIN6thrust23THRUST_200600_302600_NS5tupleIblNS6_9null_typeES8_S8_S8_S8_S8_S8_S8_EEEEZNS1_11reduce_implILb1ES3_NS6_12zip_iteratorINS7_INS6_11hip_rocprim26transform_input_iterator_tIbNSD_35transform_pair_of_input_iterators_tIbNS6_6detail15normal_iteratorINS6_10device_ptrIKiEEEESL_NS6_8equal_toIiEEEENSG_9not_fun_tINSD_8identityEEEEENSD_19counting_iterator_tIlEES8_S8_S8_S8_S8_S8_S8_S8_EEEEPS9_S9_NSD_9__find_if7functorIS9_EEEE10hipError_tPvRmT1_T2_T3_mT4_P12ihipStream_tbEUlT_E1_NS1_11comp_targetILNS1_3genE8ELNS1_11target_archE1030ELNS1_3gpuE2ELNS1_3repE0EEENS1_30default_config_static_selectorELNS0_4arch9wavefront6targetE0EEEvS14_,comdat
	.protected	_ZN7rocprim17ROCPRIM_400000_NS6detail17trampoline_kernelINS0_14default_configENS1_22reduce_config_selectorIN6thrust23THRUST_200600_302600_NS5tupleIblNS6_9null_typeES8_S8_S8_S8_S8_S8_S8_EEEEZNS1_11reduce_implILb1ES3_NS6_12zip_iteratorINS7_INS6_11hip_rocprim26transform_input_iterator_tIbNSD_35transform_pair_of_input_iterators_tIbNS6_6detail15normal_iteratorINS6_10device_ptrIKiEEEESL_NS6_8equal_toIiEEEENSG_9not_fun_tINSD_8identityEEEEENSD_19counting_iterator_tIlEES8_S8_S8_S8_S8_S8_S8_S8_EEEEPS9_S9_NSD_9__find_if7functorIS9_EEEE10hipError_tPvRmT1_T2_T3_mT4_P12ihipStream_tbEUlT_E1_NS1_11comp_targetILNS1_3genE8ELNS1_11target_archE1030ELNS1_3gpuE2ELNS1_3repE0EEENS1_30default_config_static_selectorELNS0_4arch9wavefront6targetE0EEEvS14_ ; -- Begin function _ZN7rocprim17ROCPRIM_400000_NS6detail17trampoline_kernelINS0_14default_configENS1_22reduce_config_selectorIN6thrust23THRUST_200600_302600_NS5tupleIblNS6_9null_typeES8_S8_S8_S8_S8_S8_S8_EEEEZNS1_11reduce_implILb1ES3_NS6_12zip_iteratorINS7_INS6_11hip_rocprim26transform_input_iterator_tIbNSD_35transform_pair_of_input_iterators_tIbNS6_6detail15normal_iteratorINS6_10device_ptrIKiEEEESL_NS6_8equal_toIiEEEENSG_9not_fun_tINSD_8identityEEEEENSD_19counting_iterator_tIlEES8_S8_S8_S8_S8_S8_S8_S8_EEEEPS9_S9_NSD_9__find_if7functorIS9_EEEE10hipError_tPvRmT1_T2_T3_mT4_P12ihipStream_tbEUlT_E1_NS1_11comp_targetILNS1_3genE8ELNS1_11target_archE1030ELNS1_3gpuE2ELNS1_3repE0EEENS1_30default_config_static_selectorELNS0_4arch9wavefront6targetE0EEEvS14_
	.globl	_ZN7rocprim17ROCPRIM_400000_NS6detail17trampoline_kernelINS0_14default_configENS1_22reduce_config_selectorIN6thrust23THRUST_200600_302600_NS5tupleIblNS6_9null_typeES8_S8_S8_S8_S8_S8_S8_EEEEZNS1_11reduce_implILb1ES3_NS6_12zip_iteratorINS7_INS6_11hip_rocprim26transform_input_iterator_tIbNSD_35transform_pair_of_input_iterators_tIbNS6_6detail15normal_iteratorINS6_10device_ptrIKiEEEESL_NS6_8equal_toIiEEEENSG_9not_fun_tINSD_8identityEEEEENSD_19counting_iterator_tIlEES8_S8_S8_S8_S8_S8_S8_S8_EEEEPS9_S9_NSD_9__find_if7functorIS9_EEEE10hipError_tPvRmT1_T2_T3_mT4_P12ihipStream_tbEUlT_E1_NS1_11comp_targetILNS1_3genE8ELNS1_11target_archE1030ELNS1_3gpuE2ELNS1_3repE0EEENS1_30default_config_static_selectorELNS0_4arch9wavefront6targetE0EEEvS14_
	.p2align	8
	.type	_ZN7rocprim17ROCPRIM_400000_NS6detail17trampoline_kernelINS0_14default_configENS1_22reduce_config_selectorIN6thrust23THRUST_200600_302600_NS5tupleIblNS6_9null_typeES8_S8_S8_S8_S8_S8_S8_EEEEZNS1_11reduce_implILb1ES3_NS6_12zip_iteratorINS7_INS6_11hip_rocprim26transform_input_iterator_tIbNSD_35transform_pair_of_input_iterators_tIbNS6_6detail15normal_iteratorINS6_10device_ptrIKiEEEESL_NS6_8equal_toIiEEEENSG_9not_fun_tINSD_8identityEEEEENSD_19counting_iterator_tIlEES8_S8_S8_S8_S8_S8_S8_S8_EEEEPS9_S9_NSD_9__find_if7functorIS9_EEEE10hipError_tPvRmT1_T2_T3_mT4_P12ihipStream_tbEUlT_E1_NS1_11comp_targetILNS1_3genE8ELNS1_11target_archE1030ELNS1_3gpuE2ELNS1_3repE0EEENS1_30default_config_static_selectorELNS0_4arch9wavefront6targetE0EEEvS14_,@function
_ZN7rocprim17ROCPRIM_400000_NS6detail17trampoline_kernelINS0_14default_configENS1_22reduce_config_selectorIN6thrust23THRUST_200600_302600_NS5tupleIblNS6_9null_typeES8_S8_S8_S8_S8_S8_S8_EEEEZNS1_11reduce_implILb1ES3_NS6_12zip_iteratorINS7_INS6_11hip_rocprim26transform_input_iterator_tIbNSD_35transform_pair_of_input_iterators_tIbNS6_6detail15normal_iteratorINS6_10device_ptrIKiEEEESL_NS6_8equal_toIiEEEENSG_9not_fun_tINSD_8identityEEEEENSD_19counting_iterator_tIlEES8_S8_S8_S8_S8_S8_S8_S8_EEEEPS9_S9_NSD_9__find_if7functorIS9_EEEE10hipError_tPvRmT1_T2_T3_mT4_P12ihipStream_tbEUlT_E1_NS1_11comp_targetILNS1_3genE8ELNS1_11target_archE1030ELNS1_3gpuE2ELNS1_3repE0EEENS1_30default_config_static_selectorELNS0_4arch9wavefront6targetE0EEEvS14_: ; @_ZN7rocprim17ROCPRIM_400000_NS6detail17trampoline_kernelINS0_14default_configENS1_22reduce_config_selectorIN6thrust23THRUST_200600_302600_NS5tupleIblNS6_9null_typeES8_S8_S8_S8_S8_S8_S8_EEEEZNS1_11reduce_implILb1ES3_NS6_12zip_iteratorINS7_INS6_11hip_rocprim26transform_input_iterator_tIbNSD_35transform_pair_of_input_iterators_tIbNS6_6detail15normal_iteratorINS6_10device_ptrIKiEEEESL_NS6_8equal_toIiEEEENSG_9not_fun_tINSD_8identityEEEEENSD_19counting_iterator_tIlEES8_S8_S8_S8_S8_S8_S8_S8_EEEEPS9_S9_NSD_9__find_if7functorIS9_EEEE10hipError_tPvRmT1_T2_T3_mT4_P12ihipStream_tbEUlT_E1_NS1_11comp_targetILNS1_3genE8ELNS1_11target_archE1030ELNS1_3gpuE2ELNS1_3repE0EEENS1_30default_config_static_selectorELNS0_4arch9wavefront6targetE0EEEvS14_
; %bb.0:
	s_clause 0x4
	s_load_dword s25, s[4:5], 0x4
	s_load_dwordx4 s[16:19], s[4:5], 0x8
	s_load_dwordx4 s[12:15], s[4:5], 0x28
	s_load_dword s24, s[4:5], 0x40
	s_load_dwordx2 s[20:21], s[4:5], 0x48
	s_waitcnt lgkmcnt(0)
	s_cmp_lt_i32 s25, 4
	s_cbranch_scc1 .LBB503_21
; %bb.1:
	s_cmp_gt_i32 s25, 7
	s_cbranch_scc0 .LBB503_22
; %bb.2:
	s_cmp_eq_u32 s25, 8
	s_mov_b32 s26, 0
	s_cbranch_scc0 .LBB503_23
; %bb.3:
	s_mov_b32 s7, 0
	s_lshl_b32 s8, s6, 11
	s_mov_b32 s9, s7
	s_lshr_b64 s[2:3], s[14:15], 11
	s_lshl_b64 s[0:1], s[8:9], 2
	s_add_u32 s10, s16, s0
	s_addc_u32 s11, s17, s1
	s_add_u32 s22, s18, s0
	s_addc_u32 s23, s19, s1
	;; [unrolled: 2-line block ×3, first 2 shown]
	s_cmp_lg_u64 s[2:3], s[6:7]
	s_cbranch_scc0 .LBB503_44
; %bb.4:
	v_lshlrev_b32_e32 v1, 2, v0
	s_clause 0x3
	global_load_dword v13, v1, s[10:11]
	global_load_dword v14, v1, s[22:23]
	global_load_dword v15, v1, s[22:23] offset:1024
	global_load_dword v16, v1, s[10:11] offset:1024
	v_add_co_u32 v9, s0, s10, v1
	v_add_co_ci_u32_e64 v10, null, s11, 0, s0
	v_add_co_u32 v11, s0, s22, v1
	v_add_co_u32 v1, vcc_lo, 0x800, v9
	v_add_co_ci_u32_e64 v12, null, s23, 0, s0
	v_add_co_ci_u32_e64 v2, null, 0, v10, vcc_lo
	v_add_co_u32 v3, vcc_lo, v9, 0x1000
	v_add_co_ci_u32_e64 v4, null, 0, v10, vcc_lo
	v_add_co_u32 v5, vcc_lo, 0x800, v11
	;; [unrolled: 2-line block ×3, first 2 shown]
	global_load_dword v17, v[1:2], off offset:1024
	global_load_dword v18, v[5:6], off offset:1024
	v_add_co_ci_u32_e64 v8, null, 0, v12, vcc_lo
	v_add_co_u32 v1, vcc_lo, 0x1000, v9
	v_add_co_ci_u32_e64 v2, null, 0, v10, vcc_lo
	v_add_co_u32 v5, vcc_lo, 0x1000, v11
	v_add_co_ci_u32_e64 v6, null, 0, v12, vcc_lo
	s_clause 0x1
	global_load_dword v19, v[3:4], off offset:-2048
	global_load_dword v20, v[3:4], off
	s_clause 0x1
	global_load_dword v21, v[7:8], off offset:-2048
	global_load_dword v7, v[7:8], off
	global_load_dword v8, v[1:2], off offset:1024
	global_load_dword v5, v[5:6], off offset:1024
	v_add_co_u32 v1, vcc_lo, 0x1800, v11
	v_add_co_ci_u32_e64 v2, null, 0, v12, vcc_lo
	v_add_co_u32 v3, vcc_lo, 0x1800, v9
	v_add_co_ci_u32_e64 v4, null, 0, v10, vcc_lo
	global_load_dword v6, v[1:2], off
	s_clause 0x1
	global_load_dword v9, v[3:4], off
	global_load_dword v3, v[3:4], off offset:1024
	global_load_dword v1, v[1:2], off offset:1024
	v_mov_b32_e32 v2, 0x100
	v_mov_b32_e32 v4, 0x300
	;; [unrolled: 1-line block ×3, first 2 shown]
	s_waitcnt vmcnt(14)
	v_cmp_ne_u32_e64 s0, v13, v14
	s_waitcnt vmcnt(12)
	v_cmp_ne_u32_e32 vcc_lo, v16, v15
	v_cndmask_b32_e32 v2, 0x200, v2, vcc_lo
	s_or_b32 s3, s0, vcc_lo
	v_cndmask_b32_e64 v2, v2, 0, s0
	s_waitcnt vmcnt(10)
	v_cmp_ne_u32_e64 s0, v17, v18
	v_cndmask_b32_e64 v4, 0x400, v4, s0
	s_waitcnt vmcnt(7)
	v_cmp_ne_u32_e32 vcc_lo, v19, v21
	s_waitcnt vmcnt(6)
	v_cmp_ne_u32_e64 s1, v20, v7
	s_waitcnt vmcnt(4)
	v_cmp_ne_u32_e64 s2, v8, v5
	s_or_b32 vcc_lo, s3, vcc_lo
	v_cndmask_b32_e32 v2, v4, v2, vcc_lo
	v_cndmask_b32_e64 v5, 0x600, v10, s2
	s_or_b32 s0, vcc_lo, s0
	s_or_b32 s0, s0, s1
	s_waitcnt vmcnt(2)
	v_cmp_ne_u32_e32 vcc_lo, v9, v6
	v_cndmask_b32_e64 v2, v5, v2, s0
	s_or_b32 s0, s0, s2
	s_or_b32 vcc_lo, s0, vcc_lo
	v_add_co_u32 v4, s0, s28, v0
	v_cndmask_b32_e32 v2, 0x700, v2, vcc_lo
	v_add_co_ci_u32_e64 v5, null, s29, 0, s0
	s_waitcnt vmcnt(0)
	v_cmp_ne_u32_e64 s0, v3, v1
	v_add_co_u32 v1, s1, v4, v2
	v_add_co_ci_u32_e64 v2, null, 0, v5, s1
	s_or_b32 s0, vcc_lo, s0
	v_mov_b32_dpp v3, v1 quad_perm:[1,0,3,2] row_mask:0xf bank_mask:0xf
	v_cndmask_b32_e64 v5, 0, 1, s0
	v_mov_b32_dpp v4, v2 quad_perm:[1,0,3,2] row_mask:0xf bank_mask:0xf
	v_mov_b32_dpp v6, v5 quad_perm:[1,0,3,2] row_mask:0xf bank_mask:0xf
	v_cmp_lt_i64_e32 vcc_lo, v[1:2], v[3:4]
	v_and_b32_e32 v6, 1, v6
	s_and_b32 vcc_lo, s0, vcc_lo
	v_cndmask_b32_e32 v3, v3, v1, vcc_lo
	v_cndmask_b32_e32 v4, v4, v2, vcc_lo
	v_cmp_eq_u32_e32 vcc_lo, 1, v6
	v_cndmask_b32_e32 v2, v2, v4, vcc_lo
	v_cndmask_b32_e32 v1, v1, v3, vcc_lo
	v_cndmask_b32_e64 v5, v5, 1, vcc_lo
	v_mov_b32_dpp v4, v2 quad_perm:[2,3,0,1] row_mask:0xf bank_mask:0xf
	v_mov_b32_dpp v3, v1 quad_perm:[2,3,0,1] row_mask:0xf bank_mask:0xf
	v_and_b32_e32 v7, 1, v5
	v_mov_b32_dpp v6, v5 quad_perm:[2,3,0,1] row_mask:0xf bank_mask:0xf
	v_cmp_lt_i64_e32 vcc_lo, v[1:2], v[3:4]
	v_cmp_eq_u32_e64 s0, 1, v7
	v_and_b32_e32 v6, 1, v6
	s_and_b32 vcc_lo, s0, vcc_lo
	v_cmp_eq_u32_e64 s1, 1, v6
	v_cndmask_b32_e32 v3, v3, v1, vcc_lo
	v_cndmask_b32_e32 v4, v4, v2, vcc_lo
	v_cndmask_b32_e64 v5, v5, 1, s1
	v_cndmask_b32_e64 v1, v1, v3, s1
	;; [unrolled: 1-line block ×3, first 2 shown]
	v_and_b32_e32 v7, 1, v5
	v_mov_b32_dpp v3, v1 row_ror:4 row_mask:0xf bank_mask:0xf
	v_mov_b32_dpp v4, v2 row_ror:4 row_mask:0xf bank_mask:0xf
	;; [unrolled: 1-line block ×3, first 2 shown]
	v_cmp_eq_u32_e64 s0, 1, v7
	v_cmp_lt_i64_e32 vcc_lo, v[1:2], v[3:4]
	v_and_b32_e32 v6, 1, v6
	s_and_b32 vcc_lo, s0, vcc_lo
	v_cmp_eq_u32_e64 s1, 1, v6
	v_cndmask_b32_e32 v3, v3, v1, vcc_lo
	v_cndmask_b32_e32 v4, v4, v2, vcc_lo
	v_cndmask_b32_e64 v5, v5, 1, s1
	v_cndmask_b32_e64 v1, v1, v3, s1
	v_cndmask_b32_e64 v2, v2, v4, s1
	v_and_b32_e32 v7, 1, v5
	v_mov_b32_dpp v3, v1 row_ror:8 row_mask:0xf bank_mask:0xf
	v_mov_b32_dpp v4, v2 row_ror:8 row_mask:0xf bank_mask:0xf
	v_mov_b32_dpp v6, v5 row_ror:8 row_mask:0xf bank_mask:0xf
	v_cmp_eq_u32_e64 s0, 1, v7
	v_cmp_lt_i64_e32 vcc_lo, v[1:2], v[3:4]
	v_and_b32_e32 v6, 1, v6
	s_and_b32 vcc_lo, s0, vcc_lo
	v_cmp_eq_u32_e64 s1, 1, v6
	v_cndmask_b32_e32 v3, v3, v1, vcc_lo
	v_cndmask_b32_e32 v4, v4, v2, vcc_lo
	v_cndmask_b32_e64 v5, v5, 1, s1
	v_cndmask_b32_e64 v1, v1, v3, s1
	;; [unrolled: 1-line block ×3, first 2 shown]
	ds_swizzle_b32 v6, v5 offset:swizzle(BROADCAST,32,15)
	ds_swizzle_b32 v3, v1 offset:swizzle(BROADCAST,32,15)
	;; [unrolled: 1-line block ×3, first 2 shown]
	v_and_b32_e32 v7, 1, v5
	v_cmp_eq_u32_e64 s0, 1, v7
	v_mbcnt_lo_u32_b32 v7, -1, 0
	s_waitcnt lgkmcnt(2)
	v_and_b32_e32 v6, 1, v6
	s_waitcnt lgkmcnt(0)
	v_cmp_lt_i64_e32 vcc_lo, v[1:2], v[3:4]
	v_cmp_eq_u32_e64 s1, 1, v6
	v_mov_b32_e32 v6, 0
	s_and_b32 vcc_lo, s0, vcc_lo
	s_mov_b32 s0, exec_lo
	v_cndmask_b32_e32 v3, v3, v1, vcc_lo
	v_cndmask_b32_e32 v4, v4, v2, vcc_lo
	v_cndmask_b32_e64 v5, v5, 1, s1
	v_cndmask_b32_e64 v1, v1, v3, s1
	;; [unrolled: 1-line block ×3, first 2 shown]
	ds_bpermute_b32 v17, v6, v5 offset:124
	ds_bpermute_b32 v1, v6, v1 offset:124
	;; [unrolled: 1-line block ×3, first 2 shown]
	v_cmpx_eq_u32_e32 0, v7
	s_cbranch_execz .LBB503_6
; %bb.5:
	v_lshrrev_b32_e32 v3, 1, v0
	v_and_b32_e32 v3, 0x70, v3
	s_waitcnt lgkmcnt(2)
	ds_write_b8 v3, v17 offset:384
	s_waitcnt lgkmcnt(1)
	ds_write_b64 v3, v[1:2] offset:392
.LBB503_6:
	s_or_b32 exec_lo, exec_lo, s0
	s_mov_b32 s0, exec_lo
	s_waitcnt lgkmcnt(0)
	s_barrier
	buffer_gl0_inv
	v_cmpx_gt_u32_e32 32, v0
	s_cbranch_execz .LBB503_20
; %bb.7:
	v_and_b32_e32 v8, 7, v7
	v_lshlrev_b32_e32 v1, 4, v8
	v_cmp_ne_u32_e32 vcc_lo, 7, v8
	ds_read_u8 v10, v1 offset:384
	ds_read_b64 v[3:4], v1 offset:392
	v_add_co_ci_u32_e64 v2, null, 0, v7, vcc_lo
	v_lshlrev_b32_e32 v2, 2, v2
	s_waitcnt lgkmcnt(1)
	v_and_b32_e32 v1, 0xff, v10
	s_waitcnt lgkmcnt(0)
	ds_bpermute_b32 v5, v2, v3
	ds_bpermute_b32 v6, v2, v4
	;; [unrolled: 1-line block ×3, first 2 shown]
	s_waitcnt lgkmcnt(0)
	v_and_b32_e32 v1, v10, v11
	v_and_b32_e32 v1, 1, v1
	v_cmp_eq_u32_e32 vcc_lo, 1, v1
                                        ; implicit-def: $vgpr1_vgpr2
	s_and_saveexec_b32 s1, vcc_lo
	s_xor_b32 s1, exec_lo, s1
; %bb.8:
	v_cmp_lt_i64_e32 vcc_lo, v[5:6], v[3:4]
                                        ; implicit-def: $vgpr10
                                        ; implicit-def: $vgpr11
	v_cndmask_b32_e32 v2, v4, v6, vcc_lo
	v_cndmask_b32_e32 v1, v3, v5, vcc_lo
                                        ; implicit-def: $vgpr5_vgpr6
                                        ; implicit-def: $vgpr3_vgpr4
; %bb.9:
	s_or_saveexec_b32 s1, s1
	v_mov_b32_e32 v9, 1
	s_xor_b32 exec_lo, exec_lo, s1
; %bb.10:
	v_and_b32_e32 v1, 1, v10
	v_and_b32_e32 v9, 0xff, v11
	v_cmp_eq_u32_e32 vcc_lo, 1, v1
	v_cndmask_b32_e32 v2, v6, v4, vcc_lo
	v_cndmask_b32_e32 v1, v5, v3, vcc_lo
	v_cndmask_b32_e64 v9, v9, 1, vcc_lo
; %bb.11:
	s_or_b32 exec_lo, exec_lo, s1
	v_cmp_gt_u32_e32 vcc_lo, 6, v8
	v_cndmask_b32_e64 v3, 0, 2, vcc_lo
	v_add_lshl_u32 v3, v3, v7, 2
	ds_bpermute_b32 v8, v3, v9
	ds_bpermute_b32 v5, v3, v1
	ds_bpermute_b32 v6, v3, v2
	s_waitcnt lgkmcnt(2)
	v_and_b32_e32 v3, v9, v8
	v_and_b32_e32 v3, 1, v3
	v_cmp_eq_u32_e32 vcc_lo, 1, v3
                                        ; implicit-def: $vgpr3_vgpr4
	s_and_saveexec_b32 s1, vcc_lo
	s_xor_b32 s1, exec_lo, s1
	s_cbranch_execz .LBB503_13
; %bb.12:
	s_waitcnt lgkmcnt(0)
	v_cmp_lt_i64_e32 vcc_lo, v[5:6], v[1:2]
                                        ; implicit-def: $vgpr9
                                        ; implicit-def: $vgpr8
	v_cndmask_b32_e32 v4, v2, v6, vcc_lo
	v_cndmask_b32_e32 v3, v1, v5, vcc_lo
                                        ; implicit-def: $vgpr5_vgpr6
                                        ; implicit-def: $vgpr1_vgpr2
.LBB503_13:
	s_or_saveexec_b32 s1, s1
	v_lshlrev_b32_e32 v10, 2, v7
	v_mov_b32_e32 v7, 1
	s_xor_b32 exec_lo, exec_lo, s1
	s_cbranch_execz .LBB503_15
; %bb.14:
	v_and_b32_e32 v3, 1, v9
	v_and_b32_e32 v7, 0xff, v8
	v_cmp_eq_u32_e32 vcc_lo, 1, v3
	s_waitcnt lgkmcnt(0)
	v_cndmask_b32_e32 v4, v6, v2, vcc_lo
	v_cndmask_b32_e32 v3, v5, v1, vcc_lo
	v_cndmask_b32_e64 v7, v7, 1, vcc_lo
.LBB503_15:
	s_or_b32 exec_lo, exec_lo, s1
	v_or_b32_e32 v1, 16, v10
	ds_bpermute_b32 v8, v1, v7
	s_waitcnt lgkmcnt(2)
	ds_bpermute_b32 v5, v1, v3
	s_waitcnt lgkmcnt(2)
	;; [unrolled: 2-line block ×3, first 2 shown]
	v_and_b32_e32 v1, v7, v8
	v_and_b32_e32 v1, 1, v1
	v_cmp_eq_u32_e32 vcc_lo, 1, v1
                                        ; implicit-def: $vgpr1_vgpr2
	s_and_saveexec_b32 s1, vcc_lo
	s_xor_b32 s1, exec_lo, s1
	s_cbranch_execz .LBB503_17
; %bb.16:
	s_waitcnt lgkmcnt(0)
	v_cmp_lt_i64_e32 vcc_lo, v[5:6], v[3:4]
                                        ; implicit-def: $vgpr7
                                        ; implicit-def: $vgpr8
	v_cndmask_b32_e32 v2, v4, v6, vcc_lo
	v_cndmask_b32_e32 v1, v3, v5, vcc_lo
                                        ; implicit-def: $vgpr5_vgpr6
                                        ; implicit-def: $vgpr3_vgpr4
.LBB503_17:
	s_or_saveexec_b32 s1, s1
	v_mov_b32_e32 v17, 1
	s_xor_b32 exec_lo, exec_lo, s1
	s_cbranch_execz .LBB503_19
; %bb.18:
	v_and_b32_e32 v1, 1, v7
	v_cmp_eq_u32_e32 vcc_lo, 1, v1
	s_waitcnt lgkmcnt(0)
	v_cndmask_b32_e32 v2, v6, v4, vcc_lo
	v_cndmask_b32_e32 v1, v5, v3, vcc_lo
	v_cndmask_b32_e64 v17, v8, 1, vcc_lo
.LBB503_19:
	s_or_b32 exec_lo, exec_lo, s1
.LBB503_20:
	s_or_b32 exec_lo, exec_lo, s0
	s_branch .LBB503_167
.LBB503_21:
	s_mov_b32 s22, 0
                                        ; implicit-def: $vgpr3_vgpr4
                                        ; implicit-def: $vgpr5
                                        ; implicit-def: $vgpr1_vgpr2
	s_cbranch_execnz .LBB503_247
	s_branch .LBB503_356
.LBB503_22:
	s_mov_b32 s26, -1
.LBB503_23:
	s_mov_b32 s22, 0
                                        ; implicit-def: $vgpr3_vgpr4
                                        ; implicit-def: $vgpr5
                                        ; implicit-def: $vgpr1_vgpr2
	s_and_b32 vcc_lo, exec_lo, s26
	s_cbranch_vccz .LBB503_172
.LBB503_24:
	s_cmp_eq_u32 s25, 4
	s_cbranch_scc0 .LBB503_43
; %bb.25:
	s_mov_b32 s7, 0
	s_lshl_b32 s10, s6, 10
	s_mov_b32 s11, s7
	s_lshr_b64 s[26:27], s[14:15], 10
	s_lshl_b64 s[0:1], s[10:11], 2
	s_add_u32 s2, s16, s0
	s_addc_u32 s3, s17, s1
	s_add_u32 s8, s18, s0
	s_addc_u32 s9, s19, s1
	s_add_u32 s11, s12, s10
	s_addc_u32 s23, s13, 0
	s_cmp_lg_u64 s[26:27], s[6:7]
	s_cbranch_scc0 .LBB503_67
; %bb.26:
	s_waitcnt lgkmcnt(1)
	v_lshlrev_b32_e32 v5, 2, v0
	v_add_co_u32 v1, s0, s2, v5
	v_add_co_ci_u32_e64 v2, null, s3, 0, s0
	v_add_co_u32 v3, s0, s8, v5
	s_waitcnt lgkmcnt(0)
	v_add_co_ci_u32_e64 v4, null, s9, 0, s0
	v_add_co_u32 v1, vcc_lo, 0x800, v1
	v_add_co_ci_u32_e64 v2, null, 0, v2, vcc_lo
	v_add_co_u32 v3, vcc_lo, 0x800, v3
	v_add_co_ci_u32_e64 v4, null, 0, v4, vcc_lo
	s_clause 0x3
	global_load_dword v6, v5, s[8:9] offset:1024
	global_load_dword v7, v5, s[2:3] offset:1024
	global_load_dword v8, v5, s[8:9]
	global_load_dword v5, v5, s[2:3]
	global_load_dword v9, v[3:4], off
	s_clause 0x1
	global_load_dword v10, v[1:2], off
	global_load_dword v1, v[1:2], off offset:1024
	global_load_dword v2, v[3:4], off offset:1024
	v_mov_b32_e32 v3, 0x100
	s_waitcnt vmcnt(6)
	v_cmp_ne_u32_e32 vcc_lo, v7, v6
	s_waitcnt vmcnt(4)
	v_cmp_ne_u32_e64 s0, v5, v8
	s_waitcnt vmcnt(2)
	v_cmp_ne_u32_e64 s1, v10, v9
	v_cndmask_b32_e32 v3, 0x200, v3, vcc_lo
	v_cndmask_b32_e64 v3, v3, 0, s0
	s_or_b32 s0, s0, vcc_lo
	s_or_b32 vcc_lo, s0, s1
	v_add_co_u32 v4, s0, s11, v0
	v_cndmask_b32_e32 v3, 0x300, v3, vcc_lo
	v_add_co_ci_u32_e64 v5, null, s23, 0, s0
	s_waitcnt vmcnt(0)
	v_cmp_ne_u32_e64 s0, v1, v2
	v_add_co_u32 v1, s1, v4, v3
	v_add_co_ci_u32_e64 v2, null, 0, v5, s1
	s_or_b32 s0, vcc_lo, s0
	v_mov_b32_dpp v3, v1 quad_perm:[1,0,3,2] row_mask:0xf bank_mask:0xf
	v_cndmask_b32_e64 v5, 0, 1, s0
	v_mov_b32_dpp v4, v2 quad_perm:[1,0,3,2] row_mask:0xf bank_mask:0xf
	v_mov_b32_dpp v6, v5 quad_perm:[1,0,3,2] row_mask:0xf bank_mask:0xf
	v_cmp_lt_i64_e32 vcc_lo, v[1:2], v[3:4]
	v_and_b32_e32 v6, 1, v6
	s_and_b32 vcc_lo, s0, vcc_lo
	v_cndmask_b32_e32 v3, v3, v1, vcc_lo
	v_cndmask_b32_e32 v4, v4, v2, vcc_lo
	v_cmp_eq_u32_e32 vcc_lo, 1, v6
	v_cndmask_b32_e32 v2, v2, v4, vcc_lo
	v_cndmask_b32_e32 v1, v1, v3, vcc_lo
	v_cndmask_b32_e64 v5, v5, 1, vcc_lo
	v_mov_b32_dpp v4, v2 quad_perm:[2,3,0,1] row_mask:0xf bank_mask:0xf
	v_mov_b32_dpp v3, v1 quad_perm:[2,3,0,1] row_mask:0xf bank_mask:0xf
	v_and_b32_e32 v7, 1, v5
	v_mov_b32_dpp v6, v5 quad_perm:[2,3,0,1] row_mask:0xf bank_mask:0xf
	v_cmp_lt_i64_e32 vcc_lo, v[1:2], v[3:4]
	v_cmp_eq_u32_e64 s0, 1, v7
	v_and_b32_e32 v6, 1, v6
	s_and_b32 vcc_lo, s0, vcc_lo
	v_cmp_eq_u32_e64 s1, 1, v6
	v_cndmask_b32_e32 v3, v3, v1, vcc_lo
	v_cndmask_b32_e32 v4, v4, v2, vcc_lo
	v_cndmask_b32_e64 v5, v5, 1, s1
	v_cndmask_b32_e64 v1, v1, v3, s1
	;; [unrolled: 1-line block ×3, first 2 shown]
	v_and_b32_e32 v7, 1, v5
	v_mov_b32_dpp v3, v1 row_ror:4 row_mask:0xf bank_mask:0xf
	v_mov_b32_dpp v4, v2 row_ror:4 row_mask:0xf bank_mask:0xf
	;; [unrolled: 1-line block ×3, first 2 shown]
	v_cmp_eq_u32_e64 s0, 1, v7
	v_cmp_lt_i64_e32 vcc_lo, v[1:2], v[3:4]
	v_and_b32_e32 v6, 1, v6
	s_and_b32 vcc_lo, s0, vcc_lo
	v_cmp_eq_u32_e64 s1, 1, v6
	v_cndmask_b32_e32 v3, v3, v1, vcc_lo
	v_cndmask_b32_e32 v4, v4, v2, vcc_lo
	v_cndmask_b32_e64 v5, v5, 1, s1
	v_cndmask_b32_e64 v1, v1, v3, s1
	;; [unrolled: 1-line block ×3, first 2 shown]
	v_and_b32_e32 v7, 1, v5
	v_mov_b32_dpp v3, v1 row_ror:8 row_mask:0xf bank_mask:0xf
	v_mov_b32_dpp v4, v2 row_ror:8 row_mask:0xf bank_mask:0xf
	;; [unrolled: 1-line block ×3, first 2 shown]
	v_cmp_eq_u32_e64 s0, 1, v7
	v_cmp_lt_i64_e32 vcc_lo, v[1:2], v[3:4]
	v_and_b32_e32 v6, 1, v6
	s_and_b32 vcc_lo, s0, vcc_lo
	v_cmp_eq_u32_e64 s1, 1, v6
	v_cndmask_b32_e32 v3, v3, v1, vcc_lo
	v_cndmask_b32_e32 v4, v4, v2, vcc_lo
	v_cndmask_b32_e64 v5, v5, 1, s1
	v_cndmask_b32_e64 v1, v1, v3, s1
	;; [unrolled: 1-line block ×3, first 2 shown]
	ds_swizzle_b32 v6, v5 offset:swizzle(BROADCAST,32,15)
	ds_swizzle_b32 v3, v1 offset:swizzle(BROADCAST,32,15)
	;; [unrolled: 1-line block ×3, first 2 shown]
	v_and_b32_e32 v7, 1, v5
	v_cmp_eq_u32_e64 s0, 1, v7
	v_mbcnt_lo_u32_b32 v7, -1, 0
	s_waitcnt lgkmcnt(2)
	v_and_b32_e32 v6, 1, v6
	s_waitcnt lgkmcnt(0)
	v_cmp_lt_i64_e32 vcc_lo, v[1:2], v[3:4]
	v_cmp_eq_u32_e64 s1, 1, v6
	v_mov_b32_e32 v6, 0
	s_and_b32 vcc_lo, s0, vcc_lo
	s_mov_b32 s0, exec_lo
	v_cndmask_b32_e32 v3, v3, v1, vcc_lo
	v_cndmask_b32_e32 v4, v4, v2, vcc_lo
	v_cndmask_b32_e64 v5, v5, 1, s1
	v_cndmask_b32_e64 v1, v1, v3, s1
	;; [unrolled: 1-line block ×3, first 2 shown]
	ds_bpermute_b32 v9, v6, v5 offset:124
	ds_bpermute_b32 v1, v6, v1 offset:124
	;; [unrolled: 1-line block ×3, first 2 shown]
	v_cmpx_eq_u32_e32 0, v7
	s_cbranch_execz .LBB503_28
; %bb.27:
	v_lshrrev_b32_e32 v3, 1, v0
	v_and_b32_e32 v3, 0x70, v3
	s_waitcnt lgkmcnt(2)
	ds_write_b8 v3, v9 offset:256
	s_waitcnt lgkmcnt(1)
	ds_write_b64 v3, v[1:2] offset:264
.LBB503_28:
	s_or_b32 exec_lo, exec_lo, s0
	s_mov_b32 s0, exec_lo
	s_waitcnt lgkmcnt(0)
	s_barrier
	buffer_gl0_inv
	v_cmpx_gt_u32_e32 32, v0
	s_cbranch_execz .LBB503_42
; %bb.29:
	v_and_b32_e32 v8, 7, v7
	v_lshlrev_b32_e32 v1, 4, v8
	v_cmp_ne_u32_e32 vcc_lo, 7, v8
	ds_read_u8 v10, v1 offset:256
	ds_read_b64 v[3:4], v1 offset:264
	v_add_co_ci_u32_e64 v2, null, 0, v7, vcc_lo
	v_lshlrev_b32_e32 v2, 2, v2
	s_waitcnt lgkmcnt(1)
	v_and_b32_e32 v1, 0xff, v10
	s_waitcnt lgkmcnt(0)
	ds_bpermute_b32 v5, v2, v3
	ds_bpermute_b32 v6, v2, v4
	;; [unrolled: 1-line block ×3, first 2 shown]
	s_waitcnt lgkmcnt(0)
	v_and_b32_e32 v1, v10, v11
	v_and_b32_e32 v1, 1, v1
	v_cmp_eq_u32_e32 vcc_lo, 1, v1
                                        ; implicit-def: $vgpr1_vgpr2
	s_and_saveexec_b32 s1, vcc_lo
	s_xor_b32 s1, exec_lo, s1
; %bb.30:
	v_cmp_lt_i64_e32 vcc_lo, v[5:6], v[3:4]
                                        ; implicit-def: $vgpr10
                                        ; implicit-def: $vgpr11
	v_cndmask_b32_e32 v2, v4, v6, vcc_lo
	v_cndmask_b32_e32 v1, v3, v5, vcc_lo
                                        ; implicit-def: $vgpr5_vgpr6
                                        ; implicit-def: $vgpr3_vgpr4
; %bb.31:
	s_or_saveexec_b32 s1, s1
	v_mov_b32_e32 v9, 1
	s_xor_b32 exec_lo, exec_lo, s1
; %bb.32:
	v_and_b32_e32 v1, 1, v10
	v_and_b32_e32 v9, 0xff, v11
	v_cmp_eq_u32_e32 vcc_lo, 1, v1
	v_cndmask_b32_e32 v2, v6, v4, vcc_lo
	v_cndmask_b32_e32 v1, v5, v3, vcc_lo
	v_cndmask_b32_e64 v9, v9, 1, vcc_lo
; %bb.33:
	s_or_b32 exec_lo, exec_lo, s1
	v_cmp_gt_u32_e32 vcc_lo, 6, v8
	v_cndmask_b32_e64 v3, 0, 2, vcc_lo
	v_add_lshl_u32 v3, v3, v7, 2
	ds_bpermute_b32 v8, v3, v9
	ds_bpermute_b32 v5, v3, v1
	;; [unrolled: 1-line block ×3, first 2 shown]
	s_waitcnt lgkmcnt(2)
	v_and_b32_e32 v3, v9, v8
	v_and_b32_e32 v3, 1, v3
	v_cmp_eq_u32_e32 vcc_lo, 1, v3
                                        ; implicit-def: $vgpr3_vgpr4
	s_and_saveexec_b32 s1, vcc_lo
	s_xor_b32 s1, exec_lo, s1
	s_cbranch_execz .LBB503_35
; %bb.34:
	s_waitcnt lgkmcnt(0)
	v_cmp_lt_i64_e32 vcc_lo, v[5:6], v[1:2]
                                        ; implicit-def: $vgpr9
                                        ; implicit-def: $vgpr8
	v_cndmask_b32_e32 v4, v2, v6, vcc_lo
	v_cndmask_b32_e32 v3, v1, v5, vcc_lo
                                        ; implicit-def: $vgpr5_vgpr6
                                        ; implicit-def: $vgpr1_vgpr2
.LBB503_35:
	s_or_saveexec_b32 s1, s1
	v_lshlrev_b32_e32 v10, 2, v7
	v_mov_b32_e32 v7, 1
	s_xor_b32 exec_lo, exec_lo, s1
	s_cbranch_execz .LBB503_37
; %bb.36:
	v_and_b32_e32 v3, 1, v9
	v_and_b32_e32 v7, 0xff, v8
	v_cmp_eq_u32_e32 vcc_lo, 1, v3
	s_waitcnt lgkmcnt(0)
	v_cndmask_b32_e32 v4, v6, v2, vcc_lo
	v_cndmask_b32_e32 v3, v5, v1, vcc_lo
	v_cndmask_b32_e64 v7, v7, 1, vcc_lo
.LBB503_37:
	s_or_b32 exec_lo, exec_lo, s1
	v_or_b32_e32 v1, 16, v10
	ds_bpermute_b32 v8, v1, v7
	s_waitcnt lgkmcnt(2)
	ds_bpermute_b32 v5, v1, v3
	s_waitcnt lgkmcnt(2)
	ds_bpermute_b32 v6, v1, v4
	s_waitcnt lgkmcnt(2)
	v_and_b32_e32 v1, v7, v8
	v_and_b32_e32 v1, 1, v1
	v_cmp_eq_u32_e32 vcc_lo, 1, v1
                                        ; implicit-def: $vgpr1_vgpr2
	s_and_saveexec_b32 s1, vcc_lo
	s_xor_b32 s1, exec_lo, s1
	s_cbranch_execz .LBB503_39
; %bb.38:
	s_waitcnt lgkmcnt(0)
	v_cmp_lt_i64_e32 vcc_lo, v[5:6], v[3:4]
                                        ; implicit-def: $vgpr7
                                        ; implicit-def: $vgpr8
	v_cndmask_b32_e32 v2, v4, v6, vcc_lo
	v_cndmask_b32_e32 v1, v3, v5, vcc_lo
                                        ; implicit-def: $vgpr5_vgpr6
                                        ; implicit-def: $vgpr3_vgpr4
.LBB503_39:
	s_or_saveexec_b32 s1, s1
	v_mov_b32_e32 v9, 1
	s_xor_b32 exec_lo, exec_lo, s1
	s_cbranch_execz .LBB503_41
; %bb.40:
	v_and_b32_e32 v1, 1, v7
	v_cmp_eq_u32_e32 vcc_lo, 1, v1
	s_waitcnt lgkmcnt(0)
	v_cndmask_b32_e32 v2, v6, v4, vcc_lo
	v_cndmask_b32_e32 v1, v5, v3, vcc_lo
	v_cndmask_b32_e64 v9, v8, 1, vcc_lo
.LBB503_41:
	s_or_b32 exec_lo, exec_lo, s1
.LBB503_42:
	s_or_b32 exec_lo, exec_lo, s0
	s_branch .LBB503_242
.LBB503_43:
                                        ; implicit-def: $vgpr3_vgpr4
                                        ; implicit-def: $vgpr5
                                        ; implicit-def: $vgpr1_vgpr2
	s_branch .LBB503_356
.LBB503_44:
                                        ; implicit-def: $vgpr1_vgpr2
                                        ; implicit-def: $vgpr17
	s_cbranch_execz .LBB503_167
; %bb.45:
	v_mov_b32_e32 v15, 0
	v_mov_b32_e32 v1, 0
	;; [unrolled: 1-line block ×6, first 2 shown]
	s_sub_i32 s27, s14, s8
	s_mov_b32 s0, exec_lo
	v_cmpx_gt_u32_e64 s27, v0
	s_cbranch_execz .LBB503_47
; %bb.46:
	v_lshlrev_b32_e32 v1, 2, v0
	s_clause 0x1
	global_load_dword v3, v1, s[10:11]
	global_load_dword v4, v1, s[22:23]
	v_add_co_u32 v1, s1, s28, v0
	v_add_co_ci_u32_e64 v2, null, s29, 0, s1
	s_waitcnt vmcnt(0)
	v_cmp_ne_u32_e32 vcc_lo, v3, v4
	v_cndmask_b32_e64 v17, 0, 1, vcc_lo
.LBB503_47:
	s_or_b32 exec_lo, exec_lo, s0
	v_or_b32_e32 v3, 0x100, v0
	v_cmp_gt_u32_e64 s9, s27, v3
	s_and_saveexec_b32 s0, s9
	s_cbranch_execz .LBB503_49
; %bb.48:
	v_lshlrev_b32_e32 v4, 2, v0
	v_add_co_u32 v15, s1, s28, v3
	v_add_co_ci_u32_e64 v16, null, s29, 0, s1
	s_waitcnt lgkmcnt(1)
	s_clause 0x1
	global_load_dword v5, v4, s[10:11] offset:1024
	global_load_dword v4, v4, s[22:23] offset:1024
	s_waitcnt vmcnt(0)
	v_cmp_ne_u32_e32 vcc_lo, v5, v4
	v_cndmask_b32_e64 v24, 0, 1, vcc_lo
.LBB503_49:
	s_or_b32 exec_lo, exec_lo, s0
	v_or_b32_e32 v3, 0x200, v0
	v_mov_b32_e32 v11, 0
	v_mov_b32_e32 v13, 0
	;; [unrolled: 1-line block ×5, first 2 shown]
	v_cmp_gt_u32_e64 s8, s27, v3
	v_mov_b32_e32 v23, 0
	s_and_saveexec_b32 s0, s8
	s_cbranch_execz .LBB503_51
; %bb.50:
	v_lshlrev_b32_e32 v4, 2, v3
	v_add_co_u32 v13, s1, s28, v3
	v_add_co_ci_u32_e64 v14, null, s29, 0, s1
	s_waitcnt lgkmcnt(1)
	s_clause 0x1
	global_load_dword v5, v4, s[10:11]
	global_load_dword v4, v4, s[22:23]
	s_waitcnt vmcnt(0)
	v_cmp_ne_u32_e32 vcc_lo, v5, v4
	v_cndmask_b32_e64 v23, 0, 1, vcc_lo
.LBB503_51:
	s_or_b32 exec_lo, exec_lo, s0
	v_or_b32_e32 v3, 0x300, v0
	v_cmp_gt_u32_e64 s3, s27, v3
	s_and_saveexec_b32 s0, s3
	s_cbranch_execz .LBB503_53
; %bb.52:
	v_lshlrev_b32_e32 v4, 2, v3
	v_add_co_u32 v11, s1, s28, v3
	v_add_co_ci_u32_e64 v12, null, s29, 0, s1
	s_waitcnt lgkmcnt(1)
	s_clause 0x1
	global_load_dword v5, v4, s[10:11]
	global_load_dword v4, v4, s[22:23]
	s_waitcnt vmcnt(0)
	v_cmp_ne_u32_e32 vcc_lo, v5, v4
	v_cndmask_b32_e64 v22, 0, 1, vcc_lo
.LBB503_53:
	s_or_b32 exec_lo, exec_lo, s0
	v_or_b32_e32 v3, 0x400, v0
	v_mov_b32_e32 v7, 0
	v_mov_b32_e32 v9, 0
	;; [unrolled: 1-line block ×5, first 2 shown]
	v_cmp_gt_u32_e64 s2, s27, v3
	v_mov_b32_e32 v21, 0
	s_and_saveexec_b32 s0, s2
	s_cbranch_execz .LBB503_55
; %bb.54:
	v_lshlrev_b32_e32 v4, 2, v3
	v_add_co_u32 v9, s1, s28, v3
	v_add_co_ci_u32_e64 v10, null, s29, 0, s1
	s_waitcnt lgkmcnt(1)
	s_clause 0x1
	global_load_dword v5, v4, s[10:11]
	global_load_dword v4, v4, s[22:23]
	s_waitcnt vmcnt(0)
	v_cmp_ne_u32_e32 vcc_lo, v5, v4
	v_cndmask_b32_e64 v21, 0, 1, vcc_lo
.LBB503_55:
	s_or_b32 exec_lo, exec_lo, s0
	v_or_b32_e32 v3, 0x500, v0
	v_cmp_gt_u32_e64 s1, s27, v3
	s_and_saveexec_b32 s0, s1
	s_cbranch_execz .LBB503_57
; %bb.56:
	v_lshlrev_b32_e32 v4, 2, v3
	v_add_co_u32 v7, s30, s28, v3
	v_add_co_ci_u32_e64 v8, null, s29, 0, s30
	s_waitcnt lgkmcnt(1)
	s_clause 0x1
	global_load_dword v5, v4, s[10:11]
	global_load_dword v4, v4, s[22:23]
	s_waitcnt vmcnt(0)
	v_cmp_ne_u32_e32 vcc_lo, v5, v4
	v_cndmask_b32_e64 v20, 0, 1, vcc_lo
.LBB503_57:
	s_or_b32 exec_lo, exec_lo, s0
	v_or_b32_e32 v25, 0x600, v0
	v_mov_b32_e32 v3, 0
	s_waitcnt lgkmcnt(0)
	v_mov_b32_e32 v5, 0
	v_mov_b32_e32 v4, 0
	;; [unrolled: 1-line block ×4, first 2 shown]
	v_cmp_gt_u32_e64 s0, s27, v25
	v_mov_b32_e32 v19, 0
	s_and_saveexec_b32 s30, s0
	s_cbranch_execz .LBB503_59
; %bb.58:
	v_lshlrev_b32_e32 v5, 2, v25
	s_clause 0x1
	global_load_dword v19, v5, s[10:11]
	global_load_dword v26, v5, s[22:23]
	v_add_co_u32 v5, s31, s28, v25
	v_add_co_ci_u32_e64 v6, null, s29, 0, s31
	s_waitcnt vmcnt(0)
	v_cmp_ne_u32_e32 vcc_lo, v19, v26
	v_cndmask_b32_e64 v19, 0, 1, vcc_lo
.LBB503_59:
	s_or_b32 exec_lo, exec_lo, s30
	v_or_b32_e32 v25, 0x700, v0
	v_cmp_gt_u32_e32 vcc_lo, s27, v25
	s_and_saveexec_b32 s30, vcc_lo
	s_cbranch_execnz .LBB503_78
; %bb.60:
	s_or_b32 exec_lo, exec_lo, s30
	s_and_saveexec_b32 s11, s9
	s_cbranch_execnz .LBB503_79
.LBB503_61:
	s_or_b32 exec_lo, exec_lo, s11
	s_and_saveexec_b32 s10, s8
	s_cbranch_execnz .LBB503_84
.LBB503_62:
	s_or_b32 exec_lo, exec_lo, s10
	s_and_saveexec_b32 s9, s3
	s_cbranch_execnz .LBB503_89
.LBB503_63:
	s_or_b32 exec_lo, exec_lo, s9
	s_and_saveexec_b32 s8, s2
	s_cbranch_execnz .LBB503_94
.LBB503_64:
	s_or_b32 exec_lo, exec_lo, s8
	s_and_saveexec_b32 s3, s1
	s_cbranch_execnz .LBB503_99
.LBB503_65:
	s_or_b32 exec_lo, exec_lo, s3
	s_and_saveexec_b32 s2, s0
	s_cbranch_execnz .LBB503_104
.LBB503_66:
	s_or_b32 exec_lo, exec_lo, s2
	s_and_saveexec_b32 s1, vcc_lo
	s_cbranch_execnz .LBB503_109
	s_branch .LBB503_114
.LBB503_67:
                                        ; implicit-def: $vgpr1_vgpr2
                                        ; implicit-def: $vgpr9
	s_cbranch_execz .LBB503_242
; %bb.68:
	v_mov_b32_e32 v7, 0
	v_mov_b32_e32 v1, 0
	;; [unrolled: 1-line block ×6, first 2 shown]
	s_sub_i32 s10, s14, s10
	s_mov_b32 s0, exec_lo
	v_cmpx_gt_u32_e64 s10, v0
	s_cbranch_execz .LBB503_70
; %bb.69:
	v_lshlrev_b32_e32 v1, 2, v0
	s_waitcnt lgkmcnt(1)
	global_load_dword v3, v1, s[2:3]
	s_waitcnt lgkmcnt(0)
	global_load_dword v4, v1, s[8:9]
	v_add_co_u32 v1, s1, s11, v0
	v_add_co_ci_u32_e64 v2, null, s23, 0, s1
	s_waitcnt vmcnt(0)
	v_cmp_ne_u32_e32 vcc_lo, v3, v4
	v_cndmask_b32_e64 v9, 0, 1, vcc_lo
.LBB503_70:
	s_or_b32 exec_lo, exec_lo, s0
	s_waitcnt lgkmcnt(1)
	v_or_b32_e32 v3, 0x100, v0
	v_cmp_gt_u32_e64 s1, s10, v3
	s_and_saveexec_b32 s0, s1
	s_cbranch_execz .LBB503_72
; %bb.71:
	s_waitcnt lgkmcnt(0)
	v_lshlrev_b32_e32 v4, 2, v0
	v_add_co_u32 v7, s26, s11, v3
	v_add_co_ci_u32_e64 v8, null, s23, 0, s26
	s_clause 0x1
	global_load_dword v5, v4, s[2:3] offset:1024
	global_load_dword v4, v4, s[8:9] offset:1024
	s_waitcnt vmcnt(0)
	v_cmp_ne_u32_e32 vcc_lo, v5, v4
	v_cndmask_b32_e64 v12, 0, 1, vcc_lo
.LBB503_72:
	s_or_b32 exec_lo, exec_lo, s0
	v_or_b32_e32 v13, 0x200, v0
	s_waitcnt lgkmcnt(0)
	v_mov_b32_e32 v3, 0
	v_mov_b32_e32 v5, 0
	;; [unrolled: 1-line block ×5, first 2 shown]
	v_cmp_gt_u32_e64 s0, s10, v13
	v_mov_b32_e32 v11, 0
	s_and_saveexec_b32 s26, s0
	s_cbranch_execz .LBB503_74
; %bb.73:
	v_lshlrev_b32_e32 v5, 2, v13
	s_clause 0x1
	global_load_dword v11, v5, s[2:3]
	global_load_dword v14, v5, s[8:9]
	v_add_co_u32 v5, s27, s11, v13
	v_add_co_ci_u32_e64 v6, null, s23, 0, s27
	s_waitcnt vmcnt(0)
	v_cmp_ne_u32_e32 vcc_lo, v11, v14
	v_cndmask_b32_e64 v11, 0, 1, vcc_lo
.LBB503_74:
	s_or_b32 exec_lo, exec_lo, s26
	v_or_b32_e32 v13, 0x300, v0
	v_cmp_gt_u32_e32 vcc_lo, s10, v13
	s_and_saveexec_b32 s26, vcc_lo
	s_cbranch_execnz .LBB503_173
; %bb.75:
	s_or_b32 exec_lo, exec_lo, s26
	s_and_saveexec_b32 s3, s1
	s_cbranch_execnz .LBB503_174
.LBB503_76:
	s_or_b32 exec_lo, exec_lo, s3
	s_and_saveexec_b32 s2, s0
	s_cbranch_execnz .LBB503_179
.LBB503_77:
	s_or_b32 exec_lo, exec_lo, s2
	s_and_saveexec_b32 s1, vcc_lo
	s_cbranch_execnz .LBB503_184
	s_branch .LBB503_189
.LBB503_78:
	v_lshlrev_b32_e32 v3, 2, v25
	s_clause 0x1
	global_load_dword v18, v3, s[10:11]
	global_load_dword v26, v3, s[22:23]
	v_add_co_u32 v3, s10, s28, v25
	v_add_co_ci_u32_e64 v4, null, s29, 0, s10
	s_waitcnt vmcnt(0)
	v_cmp_ne_u32_e64 s10, v18, v26
	v_cndmask_b32_e64 v18, 0, 1, s10
	s_or_b32 exec_lo, exec_lo, s30
	s_and_saveexec_b32 s11, s9
	s_cbranch_execz .LBB503_61
.LBB503_79:
	v_and_b32_e32 v17, 1, v17
	v_and_b32_e32 v25, 1, v24
	v_cmp_eq_u32_e64 s9, 1, v17
	v_cmp_eq_u32_e64 s10, 1, v25
                                        ; implicit-def: $vgpr17
	s_and_b32 s10, s9, s10
	s_xor_b32 s10, s10, -1
	s_and_saveexec_b32 s22, s10
	s_xor_b32 s10, exec_lo, s22
; %bb.80:
	v_and_b32_e32 v17, 0xffff, v24
	v_cndmask_b32_e64 v2, v16, v2, s9
	v_cndmask_b32_e64 v1, v15, v1, s9
                                        ; implicit-def: $vgpr15_vgpr16
	v_cndmask_b32_e64 v17, v17, 1, s9
; %bb.81:
	s_andn2_saveexec_b32 s10, s10
; %bb.82:
	v_cmp_lt_i64_e64 s9, v[15:16], v[1:2]
	v_mov_b32_e32 v17, 1
	v_cndmask_b32_e64 v2, v2, v16, s9
	v_cndmask_b32_e64 v1, v1, v15, s9
; %bb.83:
	s_or_b32 exec_lo, exec_lo, s10
	s_or_b32 exec_lo, exec_lo, s11
	s_and_saveexec_b32 s10, s8
	s_cbranch_execz .LBB503_62
.LBB503_84:
	v_and_b32_e32 v15, 1, v17
	v_and_b32_e32 v16, 1, v23
                                        ; implicit-def: $vgpr17
	v_cmp_eq_u32_e64 s8, 1, v15
	v_cmp_eq_u32_e64 s9, 1, v16
	s_and_b32 s9, s8, s9
	s_xor_b32 s9, s9, -1
	s_and_saveexec_b32 s11, s9
	s_xor_b32 s9, exec_lo, s11
; %bb.85:
	v_and_b32_e32 v15, 0xffff, v23
	v_cndmask_b32_e64 v2, v14, v2, s8
	v_cndmask_b32_e64 v1, v13, v1, s8
                                        ; implicit-def: $vgpr13_vgpr14
	v_cndmask_b32_e64 v17, v15, 1, s8
; %bb.86:
	s_andn2_saveexec_b32 s9, s9
; %bb.87:
	v_cmp_lt_i64_e64 s8, v[13:14], v[1:2]
	v_mov_b32_e32 v17, 1
	v_cndmask_b32_e64 v2, v2, v14, s8
	v_cndmask_b32_e64 v1, v1, v13, s8
; %bb.88:
	s_or_b32 exec_lo, exec_lo, s9
	s_or_b32 exec_lo, exec_lo, s10
	s_and_saveexec_b32 s9, s3
	s_cbranch_execz .LBB503_63
.LBB503_89:
	v_and_b32_e32 v13, 1, v17
	v_and_b32_e32 v14, 1, v22
                                        ; implicit-def: $vgpr17
	v_cmp_eq_u32_e64 s3, 1, v13
	v_cmp_eq_u32_e64 s8, 1, v14
	s_and_b32 s8, s3, s8
	s_xor_b32 s8, s8, -1
	s_and_saveexec_b32 s10, s8
	s_xor_b32 s8, exec_lo, s10
; %bb.90:
	v_and_b32_e32 v13, 0xffff, v22
	v_cndmask_b32_e64 v2, v12, v2, s3
	v_cndmask_b32_e64 v1, v11, v1, s3
                                        ; implicit-def: $vgpr11_vgpr12
	v_cndmask_b32_e64 v17, v13, 1, s3
; %bb.91:
	s_andn2_saveexec_b32 s8, s8
; %bb.92:
	v_cmp_lt_i64_e64 s3, v[11:12], v[1:2]
	v_mov_b32_e32 v17, 1
	v_cndmask_b32_e64 v2, v2, v12, s3
	v_cndmask_b32_e64 v1, v1, v11, s3
; %bb.93:
	s_or_b32 exec_lo, exec_lo, s8
	s_or_b32 exec_lo, exec_lo, s9
	s_and_saveexec_b32 s8, s2
	s_cbranch_execz .LBB503_64
.LBB503_94:
	v_and_b32_e32 v11, 1, v17
	v_and_b32_e32 v12, 1, v21
                                        ; implicit-def: $vgpr17
	v_cmp_eq_u32_e64 s2, 1, v11
	v_cmp_eq_u32_e64 s3, 1, v12
	s_and_b32 s3, s2, s3
	s_xor_b32 s3, s3, -1
	s_and_saveexec_b32 s9, s3
	s_xor_b32 s3, exec_lo, s9
; %bb.95:
	v_and_b32_e32 v11, 0xffff, v21
	v_cndmask_b32_e64 v2, v10, v2, s2
	v_cndmask_b32_e64 v1, v9, v1, s2
                                        ; implicit-def: $vgpr9_vgpr10
	v_cndmask_b32_e64 v17, v11, 1, s2
; %bb.96:
	s_andn2_saveexec_b32 s3, s3
; %bb.97:
	v_cmp_lt_i64_e64 s2, v[9:10], v[1:2]
	v_mov_b32_e32 v17, 1
	v_cndmask_b32_e64 v2, v2, v10, s2
	v_cndmask_b32_e64 v1, v1, v9, s2
; %bb.98:
	s_or_b32 exec_lo, exec_lo, s3
	s_or_b32 exec_lo, exec_lo, s8
	s_and_saveexec_b32 s3, s1
	s_cbranch_execz .LBB503_65
.LBB503_99:
	v_and_b32_e32 v9, 1, v17
	v_and_b32_e32 v10, 1, v20
                                        ; implicit-def: $vgpr17
	v_cmp_eq_u32_e64 s1, 1, v9
	v_cmp_eq_u32_e64 s2, 1, v10
	s_and_b32 s2, s1, s2
	s_xor_b32 s2, s2, -1
	s_and_saveexec_b32 s8, s2
	s_xor_b32 s2, exec_lo, s8
; %bb.100:
	v_and_b32_e32 v9, 0xffff, v20
	v_cndmask_b32_e64 v2, v8, v2, s1
	v_cndmask_b32_e64 v1, v7, v1, s1
                                        ; implicit-def: $vgpr7_vgpr8
	v_cndmask_b32_e64 v17, v9, 1, s1
; %bb.101:
	s_andn2_saveexec_b32 s2, s2
; %bb.102:
	v_cmp_lt_i64_e64 s1, v[7:8], v[1:2]
	v_mov_b32_e32 v17, 1
	v_cndmask_b32_e64 v2, v2, v8, s1
	v_cndmask_b32_e64 v1, v1, v7, s1
; %bb.103:
	s_or_b32 exec_lo, exec_lo, s2
	s_or_b32 exec_lo, exec_lo, s3
	s_and_saveexec_b32 s2, s0
	s_cbranch_execz .LBB503_66
.LBB503_104:
	v_and_b32_e32 v7, 1, v17
	v_and_b32_e32 v8, 1, v19
                                        ; implicit-def: $vgpr17
	v_cmp_eq_u32_e64 s0, 1, v7
	v_cmp_eq_u32_e64 s1, 1, v8
	s_and_b32 s1, s0, s1
	s_xor_b32 s1, s1, -1
	s_and_saveexec_b32 s3, s1
	s_xor_b32 s1, exec_lo, s3
; %bb.105:
	v_and_b32_e32 v7, 0xffff, v19
	v_cndmask_b32_e64 v2, v6, v2, s0
	v_cndmask_b32_e64 v1, v5, v1, s0
                                        ; implicit-def: $vgpr5_vgpr6
	v_cndmask_b32_e64 v17, v7, 1, s0
; %bb.106:
	s_andn2_saveexec_b32 s1, s1
; %bb.107:
	v_cmp_lt_i64_e64 s0, v[5:6], v[1:2]
	v_mov_b32_e32 v17, 1
	v_cndmask_b32_e64 v2, v2, v6, s0
	v_cndmask_b32_e64 v1, v1, v5, s0
; %bb.108:
	s_or_b32 exec_lo, exec_lo, s1
	s_or_b32 exec_lo, exec_lo, s2
	s_and_saveexec_b32 s1, vcc_lo
	s_cbranch_execz .LBB503_114
.LBB503_109:
	v_and_b32_e32 v5, 1, v17
	v_and_b32_e32 v6, 1, v18
                                        ; implicit-def: $vgpr17
	v_cmp_eq_u32_e32 vcc_lo, 1, v5
	v_cmp_eq_u32_e64 s0, 1, v6
	s_and_b32 s0, vcc_lo, s0
	s_xor_b32 s0, s0, -1
	s_and_saveexec_b32 s2, s0
	s_xor_b32 s0, exec_lo, s2
; %bb.110:
	v_and_b32_e32 v5, 0xffff, v18
	v_cndmask_b32_e32 v2, v4, v2, vcc_lo
	v_cndmask_b32_e32 v1, v3, v1, vcc_lo
                                        ; implicit-def: $vgpr3_vgpr4
	v_cndmask_b32_e64 v17, v5, 1, vcc_lo
; %bb.111:
	s_andn2_saveexec_b32 s0, s0
; %bb.112:
	v_cmp_lt_i64_e32 vcc_lo, v[3:4], v[1:2]
	v_mov_b32_e32 v17, 1
	v_cndmask_b32_e32 v2, v2, v4, vcc_lo
	v_cndmask_b32_e32 v1, v1, v3, vcc_lo
; %bb.113:
	s_or_b32 exec_lo, exec_lo, s0
.LBB503_114:
	s_or_b32 exec_lo, exec_lo, s1
	v_mbcnt_lo_u32_b32 v5, -1, 0
	v_and_b32_e32 v6, 0xe0, v0
	s_min_u32 s0, s27, 0x100
	s_mov_b32 s1, exec_lo
	v_cmp_ne_u32_e32 vcc_lo, 31, v5
	v_sub_nc_u32_e64 v6, s0, v6 clamp
	v_add_nc_u32_e32 v8, 1, v5
	v_add_co_ci_u32_e64 v3, null, 0, v5, vcc_lo
	v_lshlrev_b32_e32 v4, 2, v3
	ds_bpermute_b32 v7, v4, v17
	ds_bpermute_b32 v3, v4, v1
	;; [unrolled: 1-line block ×3, first 2 shown]
	v_cmpx_lt_u32_e64 v8, v6
	s_xor_b32 s1, exec_lo, s1
	s_cbranch_execz .LBB503_120
; %bb.115:
	s_waitcnt lgkmcnt(2)
	v_and_b32_e32 v8, v7, v17
	s_mov_b32 s2, exec_lo
	v_cmpx_ne_u32_e32 0, v8
	s_xor_b32 s2, exec_lo, s2
	s_cbranch_execz .LBB503_117
; %bb.116:
	s_waitcnt lgkmcnt(0)
	v_cmp_lt_i64_e32 vcc_lo, v[3:4], v[1:2]
                                        ; implicit-def: $vgpr17
                                        ; implicit-def: $vgpr7
	v_cndmask_b32_e32 v2, v2, v4, vcc_lo
	v_cndmask_b32_e32 v1, v1, v3, vcc_lo
                                        ; implicit-def: $vgpr3_vgpr4
.LBB503_117:
	s_or_saveexec_b32 s2, s2
	v_mov_b32_e32 v8, 1
	s_xor_b32 exec_lo, exec_lo, s2
	s_cbranch_execz .LBB503_119
; %bb.118:
	v_and_b32_e32 v8, 1, v17
	v_and_b32_e32 v7, 0xff, v7
	v_cmp_eq_u32_e32 vcc_lo, 1, v8
	s_waitcnt lgkmcnt(0)
	v_cndmask_b32_e32 v2, v4, v2, vcc_lo
	v_cndmask_b32_e32 v1, v3, v1, vcc_lo
	v_cndmask_b32_e64 v8, v7, 1, vcc_lo
.LBB503_119:
	s_or_b32 exec_lo, exec_lo, s2
	v_mov_b32_e32 v17, v8
.LBB503_120:
	s_or_b32 exec_lo, exec_lo, s1
	v_cmp_gt_u32_e32 vcc_lo, 30, v5
	v_add_nc_u32_e32 v8, 2, v5
	s_mov_b32 s1, exec_lo
	s_waitcnt lgkmcnt(1)
	v_cndmask_b32_e64 v3, 0, 2, vcc_lo
	s_waitcnt lgkmcnt(0)
	v_add_lshl_u32 v4, v3, v5, 2
	ds_bpermute_b32 v7, v4, v17
	ds_bpermute_b32 v3, v4, v1
	ds_bpermute_b32 v4, v4, v2
	v_cmpx_lt_u32_e64 v8, v6
	s_cbranch_execz .LBB503_126
; %bb.121:
	s_waitcnt lgkmcnt(2)
	v_and_b32_e32 v8, v17, v7
	s_mov_b32 s2, exec_lo
	v_and_b32_e32 v8, 1, v8
	v_cmpx_eq_u32_e32 1, v8
	s_xor_b32 s2, exec_lo, s2
	s_cbranch_execz .LBB503_123
; %bb.122:
	s_waitcnt lgkmcnt(0)
	v_cmp_lt_i64_e32 vcc_lo, v[3:4], v[1:2]
                                        ; implicit-def: $vgpr17
                                        ; implicit-def: $vgpr7
	v_cndmask_b32_e32 v2, v2, v4, vcc_lo
	v_cndmask_b32_e32 v1, v1, v3, vcc_lo
                                        ; implicit-def: $vgpr3_vgpr4
.LBB503_123:
	s_or_saveexec_b32 s2, s2
	v_mov_b32_e32 v8, 1
	s_xor_b32 exec_lo, exec_lo, s2
	s_cbranch_execz .LBB503_125
; %bb.124:
	v_and_b32_e32 v8, 1, v17
	v_and_b32_e32 v7, 0xff, v7
	v_cmp_eq_u32_e32 vcc_lo, 1, v8
	s_waitcnt lgkmcnt(0)
	v_cndmask_b32_e32 v2, v4, v2, vcc_lo
	v_cndmask_b32_e32 v1, v3, v1, vcc_lo
	v_cndmask_b32_e64 v8, v7, 1, vcc_lo
.LBB503_125:
	s_or_b32 exec_lo, exec_lo, s2
	v_mov_b32_e32 v17, v8
.LBB503_126:
	s_or_b32 exec_lo, exec_lo, s1
	v_cmp_gt_u32_e32 vcc_lo, 28, v5
	v_add_nc_u32_e32 v8, 4, v5
	s_mov_b32 s1, exec_lo
	s_waitcnt lgkmcnt(1)
	v_cndmask_b32_e64 v3, 0, 4, vcc_lo
	s_waitcnt lgkmcnt(0)
	v_add_lshl_u32 v4, v3, v5, 2
	ds_bpermute_b32 v7, v4, v17
	ds_bpermute_b32 v3, v4, v1
	ds_bpermute_b32 v4, v4, v2
	v_cmpx_lt_u32_e64 v8, v6
	s_cbranch_execz .LBB503_132
; %bb.127:
	s_waitcnt lgkmcnt(2)
	v_and_b32_e32 v8, v17, v7
	s_mov_b32 s2, exec_lo
	v_and_b32_e32 v8, 1, v8
	v_cmpx_eq_u32_e32 1, v8
	s_xor_b32 s2, exec_lo, s2
	s_cbranch_execz .LBB503_129
; %bb.128:
	s_waitcnt lgkmcnt(0)
	v_cmp_lt_i64_e32 vcc_lo, v[3:4], v[1:2]
                                        ; implicit-def: $vgpr17
                                        ; implicit-def: $vgpr7
	v_cndmask_b32_e32 v2, v2, v4, vcc_lo
	v_cndmask_b32_e32 v1, v1, v3, vcc_lo
                                        ; implicit-def: $vgpr3_vgpr4
.LBB503_129:
	s_or_saveexec_b32 s2, s2
	v_mov_b32_e32 v8, 1
	s_xor_b32 exec_lo, exec_lo, s2
	s_cbranch_execz .LBB503_131
; %bb.130:
	v_and_b32_e32 v8, 1, v17
	v_and_b32_e32 v7, 0xff, v7
	v_cmp_eq_u32_e32 vcc_lo, 1, v8
	s_waitcnt lgkmcnt(0)
	v_cndmask_b32_e32 v2, v4, v2, vcc_lo
	v_cndmask_b32_e32 v1, v3, v1, vcc_lo
	v_cndmask_b32_e64 v8, v7, 1, vcc_lo
.LBB503_131:
	s_or_b32 exec_lo, exec_lo, s2
	v_mov_b32_e32 v17, v8
.LBB503_132:
	;; [unrolled: 46-line block ×3, first 2 shown]
	s_or_b32 exec_lo, exec_lo, s1
	s_waitcnt lgkmcnt(2)
	v_lshlrev_b32_e32 v7, 2, v5
	v_add_nc_u32_e32 v9, 16, v5
	s_waitcnt lgkmcnt(0)
	v_or_b32_e32 v4, 64, v7
	v_cmp_lt_u32_e32 vcc_lo, v9, v6
	v_mov_b32_e32 v6, v17
	ds_bpermute_b32 v8, v4, v17
	ds_bpermute_b32 v3, v4, v1
	;; [unrolled: 1-line block ×3, first 2 shown]
	s_and_saveexec_b32 s1, vcc_lo
	s_cbranch_execz .LBB503_144
; %bb.139:
	s_waitcnt lgkmcnt(2)
	v_and_b32_e32 v6, v17, v8
	s_mov_b32 s2, exec_lo
	v_and_b32_e32 v6, 1, v6
	v_cmpx_eq_u32_e32 1, v6
	s_xor_b32 s2, exec_lo, s2
	s_cbranch_execz .LBB503_141
; %bb.140:
	s_waitcnt lgkmcnt(0)
	v_cmp_lt_i64_e32 vcc_lo, v[3:4], v[1:2]
                                        ; implicit-def: $vgpr17
                                        ; implicit-def: $vgpr8
	v_cndmask_b32_e32 v2, v2, v4, vcc_lo
	v_cndmask_b32_e32 v1, v1, v3, vcc_lo
                                        ; implicit-def: $vgpr3_vgpr4
.LBB503_141:
	s_or_saveexec_b32 s2, s2
	v_mov_b32_e32 v6, 1
	s_xor_b32 exec_lo, exec_lo, s2
	s_cbranch_execz .LBB503_143
; %bb.142:
	v_and_b32_e32 v6, 1, v17
	v_cmp_eq_u32_e32 vcc_lo, 1, v6
	v_cndmask_b32_e64 v6, v8, 1, vcc_lo
	s_waitcnt lgkmcnt(0)
	v_cndmask_b32_e32 v2, v4, v2, vcc_lo
	v_cndmask_b32_e32 v1, v3, v1, vcc_lo
.LBB503_143:
	s_or_b32 exec_lo, exec_lo, s2
	v_and_b32_e32 v17, 0xff, v6
.LBB503_144:
	s_or_b32 exec_lo, exec_lo, s1
	s_mov_b32 s1, exec_lo
	v_cmpx_eq_u32_e32 0, v5
	s_cbranch_execz .LBB503_146
; %bb.145:
	s_waitcnt lgkmcnt(1)
	v_lshrrev_b32_e32 v3, 1, v0
	v_and_b32_e32 v3, 0x70, v3
	ds_write_b8 v3, v6 offset:512
	ds_write_b64 v3, v[1:2] offset:520
.LBB503_146:
	s_or_b32 exec_lo, exec_lo, s1
	s_mov_b32 s1, exec_lo
	s_waitcnt lgkmcnt(0)
	s_barrier
	buffer_gl0_inv
	v_cmpx_gt_u32_e32 8, v0
	s_cbranch_execz .LBB503_166
; %bb.147:
	v_lshlrev_b32_e32 v1, 4, v5
	v_and_b32_e32 v6, 7, v5
	s_add_i32 s0, s0, 31
	s_mov_b32 s2, exec_lo
	s_lshr_b32 s0, s0, 5
	ds_read_u8 v8, v1 offset:512
	ds_read_b64 v[1:2], v1 offset:520
	v_cmp_ne_u32_e32 vcc_lo, 7, v6
	v_add_nc_u32_e32 v10, 1, v6
	v_add_co_ci_u32_e64 v3, null, 0, v5, vcc_lo
	v_lshlrev_b32_e32 v4, 2, v3
	s_waitcnt lgkmcnt(1)
	v_and_b32_e32 v17, 0xff, v8
	s_waitcnt lgkmcnt(0)
	ds_bpermute_b32 v3, v4, v1
	ds_bpermute_b32 v9, v4, v17
	;; [unrolled: 1-line block ×3, first 2 shown]
	v_cmpx_gt_u32_e64 s0, v10
	s_cbranch_execz .LBB503_153
; %bb.148:
	s_waitcnt lgkmcnt(1)
	v_and_b32_e32 v10, v17, v9
	s_mov_b32 s3, exec_lo
	v_and_b32_e32 v10, 1, v10
	v_cmpx_eq_u32_e32 1, v10
	s_xor_b32 s3, exec_lo, s3
	s_cbranch_execz .LBB503_150
; %bb.149:
	s_waitcnt lgkmcnt(0)
	v_cmp_lt_i64_e32 vcc_lo, v[3:4], v[1:2]
                                        ; implicit-def: $vgpr8
                                        ; implicit-def: $vgpr9
	v_cndmask_b32_e32 v2, v2, v4, vcc_lo
	v_cndmask_b32_e32 v1, v1, v3, vcc_lo
                                        ; implicit-def: $vgpr3_vgpr4
.LBB503_150:
	s_or_saveexec_b32 s3, s3
	v_mov_b32_e32 v17, 1
	s_xor_b32 exec_lo, exec_lo, s3
	s_cbranch_execz .LBB503_152
; %bb.151:
	v_and_b32_e32 v8, 1, v8
	v_cmp_eq_u32_e32 vcc_lo, 1, v8
	v_and_b32_e32 v8, 0xff, v9
	s_waitcnt lgkmcnt(0)
	v_cndmask_b32_e32 v2, v4, v2, vcc_lo
	v_cndmask_b32_e32 v1, v3, v1, vcc_lo
	v_cndmask_b32_e64 v17, v8, 1, vcc_lo
.LBB503_152:
	s_or_b32 exec_lo, exec_lo, s3
.LBB503_153:
	s_or_b32 exec_lo, exec_lo, s2
	v_cmp_gt_u32_e32 vcc_lo, 6, v6
	v_add_nc_u32_e32 v8, 2, v6
	s_mov_b32 s2, exec_lo
	s_waitcnt lgkmcnt(2)
	v_cndmask_b32_e64 v3, 0, 2, vcc_lo
	s_waitcnt lgkmcnt(0)
	v_add_lshl_u32 v4, v3, v5, 2
	ds_bpermute_b32 v5, v4, v17
	ds_bpermute_b32 v3, v4, v1
	ds_bpermute_b32 v4, v4, v2
	v_cmpx_gt_u32_e64 s0, v8
	s_cbranch_execz .LBB503_159
; %bb.154:
	s_waitcnt lgkmcnt(2)
	v_and_b32_e32 v8, v17, v5
	s_mov_b32 s3, exec_lo
	v_and_b32_e32 v8, 1, v8
	v_cmpx_eq_u32_e32 1, v8
	s_xor_b32 s3, exec_lo, s3
	s_cbranch_execz .LBB503_156
; %bb.155:
	s_waitcnt lgkmcnt(0)
	v_cmp_lt_i64_e32 vcc_lo, v[3:4], v[1:2]
                                        ; implicit-def: $vgpr17
                                        ; implicit-def: $vgpr5
	v_cndmask_b32_e32 v2, v2, v4, vcc_lo
	v_cndmask_b32_e32 v1, v1, v3, vcc_lo
                                        ; implicit-def: $vgpr3_vgpr4
.LBB503_156:
	s_or_saveexec_b32 s3, s3
	v_mov_b32_e32 v8, 1
	s_xor_b32 exec_lo, exec_lo, s3
	s_cbranch_execz .LBB503_158
; %bb.157:
	v_and_b32_e32 v8, 1, v17
	v_and_b32_e32 v5, 0xff, v5
	v_cmp_eq_u32_e32 vcc_lo, 1, v8
	s_waitcnt lgkmcnt(0)
	v_cndmask_b32_e32 v2, v4, v2, vcc_lo
	v_cndmask_b32_e32 v1, v3, v1, vcc_lo
	v_cndmask_b32_e64 v8, v5, 1, vcc_lo
.LBB503_158:
	s_or_b32 exec_lo, exec_lo, s3
	v_mov_b32_e32 v17, v8
.LBB503_159:
	s_or_b32 exec_lo, exec_lo, s2
	s_waitcnt lgkmcnt(0)
	v_or_b32_e32 v4, 16, v7
	v_add_nc_u32_e32 v6, 4, v6
	ds_bpermute_b32 v5, v4, v17
	ds_bpermute_b32 v3, v4, v1
	;; [unrolled: 1-line block ×3, first 2 shown]
	v_cmp_gt_u32_e32 vcc_lo, s0, v6
	s_and_saveexec_b32 s0, vcc_lo
	s_cbranch_execz .LBB503_165
; %bb.160:
	s_waitcnt lgkmcnt(2)
	v_and_b32_e32 v6, v17, v5
	s_mov_b32 s2, exec_lo
	v_and_b32_e32 v6, 1, v6
	v_cmpx_eq_u32_e32 1, v6
	s_xor_b32 s2, exec_lo, s2
	s_cbranch_execz .LBB503_162
; %bb.161:
	s_waitcnt lgkmcnt(0)
	v_cmp_lt_i64_e32 vcc_lo, v[3:4], v[1:2]
                                        ; implicit-def: $vgpr17
                                        ; implicit-def: $vgpr5
	v_cndmask_b32_e32 v2, v2, v4, vcc_lo
	v_cndmask_b32_e32 v1, v1, v3, vcc_lo
                                        ; implicit-def: $vgpr3_vgpr4
.LBB503_162:
	s_or_saveexec_b32 s2, s2
	v_mov_b32_e32 v6, 1
	s_xor_b32 exec_lo, exec_lo, s2
	s_cbranch_execz .LBB503_164
; %bb.163:
	v_and_b32_e32 v6, 1, v17
	v_cmp_eq_u32_e32 vcc_lo, 1, v6
	s_waitcnt lgkmcnt(0)
	v_cndmask_b32_e32 v2, v4, v2, vcc_lo
	v_cndmask_b32_e32 v1, v3, v1, vcc_lo
	v_cndmask_b32_e64 v6, v5, 1, vcc_lo
.LBB503_164:
	s_or_b32 exec_lo, exec_lo, s2
	v_mov_b32_e32 v17, v6
.LBB503_165:
	s_or_b32 exec_lo, exec_lo, s0
.LBB503_166:
	s_or_b32 exec_lo, exec_lo, s1
.LBB503_167:
	s_mov_b32 s22, 0
                                        ; implicit-def: $vgpr3_vgpr4
                                        ; implicit-def: $vgpr5
	s_mov_b32 s0, exec_lo
	v_cmpx_eq_u32_e32 0, v0
	s_xor_b32 s2, exec_lo, s0
	s_cbranch_execz .LBB503_171
; %bb.168:
	s_waitcnt lgkmcnt(0)
	v_mov_b32_e32 v3, s20
	v_mov_b32_e32 v4, s21
	;; [unrolled: 1-line block ×3, first 2 shown]
	s_cmp_eq_u64 s[14:15], 0
	s_cbranch_scc1 .LBB503_170
; %bb.169:
	v_and_b32_e32 v3, 1, v17
	v_cmp_gt_i64_e32 vcc_lo, s[20:21], v[1:2]
	s_bitcmp1_b32 s24, 0
	s_cselect_b32 s1, -1, 0
	v_cmp_eq_u32_e64 s0, 1, v3
	v_cndmask_b32_e64 v5, v17, 1, s1
	s_and_b32 vcc_lo, s0, vcc_lo
	v_cndmask_b32_e32 v3, s20, v1, vcc_lo
	v_cndmask_b32_e32 v4, s21, v2, vcc_lo
	v_cndmask_b32_e64 v3, v1, v3, s1
	v_cndmask_b32_e64 v4, v2, v4, s1
.LBB503_170:
	s_mov_b32 s22, exec_lo
.LBB503_171:
	s_or_b32 exec_lo, exec_lo, s2
	v_mov_b32_e32 v1, s6
	v_mov_b32_e32 v2, s7
	s_and_b32 vcc_lo, exec_lo, s26
	s_cbranch_vccnz .LBB503_24
.LBB503_172:
	s_branch .LBB503_356
.LBB503_173:
	v_lshlrev_b32_e32 v3, 2, v13
	s_clause 0x1
	global_load_dword v10, v3, s[2:3]
	global_load_dword v14, v3, s[8:9]
	v_add_co_u32 v3, s2, s11, v13
	v_add_co_ci_u32_e64 v4, null, s23, 0, s2
	s_waitcnt vmcnt(0)
	v_cmp_ne_u32_e64 s2, v10, v14
	v_cndmask_b32_e64 v10, 0, 1, s2
	s_or_b32 exec_lo, exec_lo, s26
	s_and_saveexec_b32 s3, s1
	s_cbranch_execz .LBB503_76
.LBB503_174:
	v_and_b32_e32 v9, 1, v9
	v_and_b32_e32 v13, 1, v12
	v_cmp_eq_u32_e64 s1, 1, v9
	v_cmp_eq_u32_e64 s2, 1, v13
                                        ; implicit-def: $vgpr9
	s_and_b32 s2, s1, s2
	s_xor_b32 s2, s2, -1
	s_and_saveexec_b32 s8, s2
	s_xor_b32 s2, exec_lo, s8
; %bb.175:
	v_and_b32_e32 v9, 0xffff, v12
	v_cndmask_b32_e64 v2, v8, v2, s1
	v_cndmask_b32_e64 v1, v7, v1, s1
                                        ; implicit-def: $vgpr7_vgpr8
	v_cndmask_b32_e64 v9, v9, 1, s1
; %bb.176:
	s_andn2_saveexec_b32 s2, s2
; %bb.177:
	v_cmp_lt_i64_e64 s1, v[7:8], v[1:2]
	v_mov_b32_e32 v9, 1
	v_cndmask_b32_e64 v2, v2, v8, s1
	v_cndmask_b32_e64 v1, v1, v7, s1
; %bb.178:
	s_or_b32 exec_lo, exec_lo, s2
	s_or_b32 exec_lo, exec_lo, s3
	s_and_saveexec_b32 s2, s0
	s_cbranch_execz .LBB503_77
.LBB503_179:
	v_and_b32_e32 v7, 1, v9
	v_and_b32_e32 v8, 1, v11
                                        ; implicit-def: $vgpr9
	v_cmp_eq_u32_e64 s0, 1, v7
	v_cmp_eq_u32_e64 s1, 1, v8
	s_and_b32 s1, s0, s1
	s_xor_b32 s1, s1, -1
	s_and_saveexec_b32 s3, s1
	s_xor_b32 s1, exec_lo, s3
; %bb.180:
	v_and_b32_e32 v7, 0xffff, v11
	v_cndmask_b32_e64 v2, v6, v2, s0
	v_cndmask_b32_e64 v1, v5, v1, s0
                                        ; implicit-def: $vgpr5_vgpr6
	v_cndmask_b32_e64 v9, v7, 1, s0
; %bb.181:
	s_andn2_saveexec_b32 s1, s1
; %bb.182:
	v_cmp_lt_i64_e64 s0, v[5:6], v[1:2]
	v_mov_b32_e32 v9, 1
	v_cndmask_b32_e64 v2, v2, v6, s0
	v_cndmask_b32_e64 v1, v1, v5, s0
; %bb.183:
	s_or_b32 exec_lo, exec_lo, s1
	s_or_b32 exec_lo, exec_lo, s2
	s_and_saveexec_b32 s1, vcc_lo
	s_cbranch_execz .LBB503_189
.LBB503_184:
	v_and_b32_e32 v5, 1, v9
	v_and_b32_e32 v6, 1, v10
                                        ; implicit-def: $vgpr9
	v_cmp_eq_u32_e32 vcc_lo, 1, v5
	v_cmp_eq_u32_e64 s0, 1, v6
	s_and_b32 s0, vcc_lo, s0
	s_xor_b32 s0, s0, -1
	s_and_saveexec_b32 s2, s0
	s_xor_b32 s0, exec_lo, s2
; %bb.185:
	v_and_b32_e32 v5, 0xffff, v10
	v_cndmask_b32_e32 v2, v4, v2, vcc_lo
	v_cndmask_b32_e32 v1, v3, v1, vcc_lo
                                        ; implicit-def: $vgpr3_vgpr4
	v_cndmask_b32_e64 v9, v5, 1, vcc_lo
; %bb.186:
	s_andn2_saveexec_b32 s0, s0
; %bb.187:
	v_cmp_lt_i64_e32 vcc_lo, v[3:4], v[1:2]
	v_mov_b32_e32 v9, 1
	v_cndmask_b32_e32 v2, v2, v4, vcc_lo
	v_cndmask_b32_e32 v1, v1, v3, vcc_lo
; %bb.188:
	s_or_b32 exec_lo, exec_lo, s0
.LBB503_189:
	s_or_b32 exec_lo, exec_lo, s1
	v_mbcnt_lo_u32_b32 v5, -1, 0
	v_and_b32_e32 v6, 0xe0, v0
	s_min_u32 s0, s10, 0x100
	s_mov_b32 s1, exec_lo
	v_cmp_ne_u32_e32 vcc_lo, 31, v5
	v_sub_nc_u32_e64 v6, s0, v6 clamp
	v_add_nc_u32_e32 v8, 1, v5
	v_add_co_ci_u32_e64 v3, null, 0, v5, vcc_lo
	v_lshlrev_b32_e32 v4, 2, v3
	ds_bpermute_b32 v7, v4, v9
	ds_bpermute_b32 v3, v4, v1
	ds_bpermute_b32 v4, v4, v2
	v_cmpx_lt_u32_e64 v8, v6
	s_xor_b32 s1, exec_lo, s1
	s_cbranch_execz .LBB503_195
; %bb.190:
	s_waitcnt lgkmcnt(2)
	v_and_b32_e32 v8, v7, v9
	s_mov_b32 s2, exec_lo
	v_cmpx_ne_u32_e32 0, v8
	s_xor_b32 s2, exec_lo, s2
	s_cbranch_execz .LBB503_192
; %bb.191:
	s_waitcnt lgkmcnt(0)
	v_cmp_lt_i64_e32 vcc_lo, v[3:4], v[1:2]
                                        ; implicit-def: $vgpr9
                                        ; implicit-def: $vgpr7
	v_cndmask_b32_e32 v2, v2, v4, vcc_lo
	v_cndmask_b32_e32 v1, v1, v3, vcc_lo
                                        ; implicit-def: $vgpr3_vgpr4
.LBB503_192:
	s_or_saveexec_b32 s2, s2
	v_mov_b32_e32 v8, 1
	s_xor_b32 exec_lo, exec_lo, s2
	s_cbranch_execz .LBB503_194
; %bb.193:
	v_and_b32_e32 v8, 1, v9
	v_and_b32_e32 v7, 0xff, v7
	v_cmp_eq_u32_e32 vcc_lo, 1, v8
	s_waitcnt lgkmcnt(0)
	v_cndmask_b32_e32 v2, v4, v2, vcc_lo
	v_cndmask_b32_e32 v1, v3, v1, vcc_lo
	v_cndmask_b32_e64 v8, v7, 1, vcc_lo
.LBB503_194:
	s_or_b32 exec_lo, exec_lo, s2
	v_mov_b32_e32 v9, v8
.LBB503_195:
	s_or_b32 exec_lo, exec_lo, s1
	v_cmp_gt_u32_e32 vcc_lo, 30, v5
	v_add_nc_u32_e32 v8, 2, v5
	s_mov_b32 s1, exec_lo
	s_waitcnt lgkmcnt(1)
	v_cndmask_b32_e64 v3, 0, 2, vcc_lo
	s_waitcnt lgkmcnt(0)
	v_add_lshl_u32 v4, v3, v5, 2
	ds_bpermute_b32 v7, v4, v9
	ds_bpermute_b32 v3, v4, v1
	ds_bpermute_b32 v4, v4, v2
	v_cmpx_lt_u32_e64 v8, v6
	s_cbranch_execz .LBB503_201
; %bb.196:
	s_waitcnt lgkmcnt(2)
	v_and_b32_e32 v8, v9, v7
	s_mov_b32 s2, exec_lo
	v_and_b32_e32 v8, 1, v8
	v_cmpx_eq_u32_e32 1, v8
	s_xor_b32 s2, exec_lo, s2
	s_cbranch_execz .LBB503_198
; %bb.197:
	s_waitcnt lgkmcnt(0)
	v_cmp_lt_i64_e32 vcc_lo, v[3:4], v[1:2]
                                        ; implicit-def: $vgpr9
                                        ; implicit-def: $vgpr7
	v_cndmask_b32_e32 v2, v2, v4, vcc_lo
	v_cndmask_b32_e32 v1, v1, v3, vcc_lo
                                        ; implicit-def: $vgpr3_vgpr4
.LBB503_198:
	s_or_saveexec_b32 s2, s2
	v_mov_b32_e32 v8, 1
	s_xor_b32 exec_lo, exec_lo, s2
	s_cbranch_execz .LBB503_200
; %bb.199:
	v_and_b32_e32 v8, 1, v9
	v_and_b32_e32 v7, 0xff, v7
	v_cmp_eq_u32_e32 vcc_lo, 1, v8
	s_waitcnt lgkmcnt(0)
	v_cndmask_b32_e32 v2, v4, v2, vcc_lo
	v_cndmask_b32_e32 v1, v3, v1, vcc_lo
	v_cndmask_b32_e64 v8, v7, 1, vcc_lo
.LBB503_200:
	s_or_b32 exec_lo, exec_lo, s2
	v_mov_b32_e32 v9, v8
.LBB503_201:
	s_or_b32 exec_lo, exec_lo, s1
	v_cmp_gt_u32_e32 vcc_lo, 28, v5
	v_add_nc_u32_e32 v8, 4, v5
	s_mov_b32 s1, exec_lo
	s_waitcnt lgkmcnt(1)
	v_cndmask_b32_e64 v3, 0, 4, vcc_lo
	s_waitcnt lgkmcnt(0)
	v_add_lshl_u32 v4, v3, v5, 2
	ds_bpermute_b32 v7, v4, v9
	ds_bpermute_b32 v3, v4, v1
	ds_bpermute_b32 v4, v4, v2
	v_cmpx_lt_u32_e64 v8, v6
	s_cbranch_execz .LBB503_207
; %bb.202:
	s_waitcnt lgkmcnt(2)
	v_and_b32_e32 v8, v9, v7
	s_mov_b32 s2, exec_lo
	v_and_b32_e32 v8, 1, v8
	v_cmpx_eq_u32_e32 1, v8
	s_xor_b32 s2, exec_lo, s2
	s_cbranch_execz .LBB503_204
; %bb.203:
	s_waitcnt lgkmcnt(0)
	v_cmp_lt_i64_e32 vcc_lo, v[3:4], v[1:2]
                                        ; implicit-def: $vgpr9
                                        ; implicit-def: $vgpr7
	v_cndmask_b32_e32 v2, v2, v4, vcc_lo
	v_cndmask_b32_e32 v1, v1, v3, vcc_lo
                                        ; implicit-def: $vgpr3_vgpr4
.LBB503_204:
	s_or_saveexec_b32 s2, s2
	v_mov_b32_e32 v8, 1
	s_xor_b32 exec_lo, exec_lo, s2
	s_cbranch_execz .LBB503_206
; %bb.205:
	v_and_b32_e32 v8, 1, v9
	v_and_b32_e32 v7, 0xff, v7
	v_cmp_eq_u32_e32 vcc_lo, 1, v8
	s_waitcnt lgkmcnt(0)
	v_cndmask_b32_e32 v2, v4, v2, vcc_lo
	v_cndmask_b32_e32 v1, v3, v1, vcc_lo
	v_cndmask_b32_e64 v8, v7, 1, vcc_lo
.LBB503_206:
	s_or_b32 exec_lo, exec_lo, s2
	v_mov_b32_e32 v9, v8
.LBB503_207:
	;; [unrolled: 46-line block ×3, first 2 shown]
	s_or_b32 exec_lo, exec_lo, s1
	s_waitcnt lgkmcnt(2)
	v_lshlrev_b32_e32 v7, 2, v5
	v_add_nc_u32_e32 v10, 16, v5
	s_waitcnt lgkmcnt(0)
	v_or_b32_e32 v4, 64, v7
	v_cmp_lt_u32_e32 vcc_lo, v10, v6
	v_mov_b32_e32 v6, v9
	ds_bpermute_b32 v8, v4, v9
	ds_bpermute_b32 v3, v4, v1
	;; [unrolled: 1-line block ×3, first 2 shown]
	s_and_saveexec_b32 s1, vcc_lo
	s_cbranch_execz .LBB503_219
; %bb.214:
	s_waitcnt lgkmcnt(2)
	v_and_b32_e32 v6, v9, v8
	s_mov_b32 s2, exec_lo
	v_and_b32_e32 v6, 1, v6
	v_cmpx_eq_u32_e32 1, v6
	s_xor_b32 s2, exec_lo, s2
	s_cbranch_execz .LBB503_216
; %bb.215:
	s_waitcnt lgkmcnt(0)
	v_cmp_lt_i64_e32 vcc_lo, v[3:4], v[1:2]
                                        ; implicit-def: $vgpr9
                                        ; implicit-def: $vgpr8
	v_cndmask_b32_e32 v2, v2, v4, vcc_lo
	v_cndmask_b32_e32 v1, v1, v3, vcc_lo
                                        ; implicit-def: $vgpr3_vgpr4
.LBB503_216:
	s_or_saveexec_b32 s2, s2
	v_mov_b32_e32 v6, 1
	s_xor_b32 exec_lo, exec_lo, s2
	s_cbranch_execz .LBB503_218
; %bb.217:
	v_and_b32_e32 v6, 1, v9
	v_cmp_eq_u32_e32 vcc_lo, 1, v6
	v_cndmask_b32_e64 v6, v8, 1, vcc_lo
	s_waitcnt lgkmcnt(0)
	v_cndmask_b32_e32 v2, v4, v2, vcc_lo
	v_cndmask_b32_e32 v1, v3, v1, vcc_lo
.LBB503_218:
	s_or_b32 exec_lo, exec_lo, s2
	v_and_b32_e32 v9, 0xff, v6
.LBB503_219:
	s_or_b32 exec_lo, exec_lo, s1
	s_mov_b32 s1, exec_lo
	v_cmpx_eq_u32_e32 0, v5
	s_cbranch_execz .LBB503_221
; %bb.220:
	s_waitcnt lgkmcnt(1)
	v_lshrrev_b32_e32 v3, 1, v0
	v_and_b32_e32 v3, 0x70, v3
	ds_write_b8 v3, v6 offset:512
	ds_write_b64 v3, v[1:2] offset:520
.LBB503_221:
	s_or_b32 exec_lo, exec_lo, s1
	s_mov_b32 s1, exec_lo
	s_waitcnt lgkmcnt(0)
	s_barrier
	buffer_gl0_inv
	v_cmpx_gt_u32_e32 8, v0
	s_cbranch_execz .LBB503_241
; %bb.222:
	v_lshlrev_b32_e32 v1, 4, v5
	v_and_b32_e32 v6, 7, v5
	s_add_i32 s0, s0, 31
	s_mov_b32 s2, exec_lo
	s_lshr_b32 s0, s0, 5
	ds_read_u8 v8, v1 offset:512
	ds_read_b64 v[1:2], v1 offset:520
	v_cmp_ne_u32_e32 vcc_lo, 7, v6
	v_add_nc_u32_e32 v11, 1, v6
	v_add_co_ci_u32_e64 v3, null, 0, v5, vcc_lo
	v_lshlrev_b32_e32 v4, 2, v3
	s_waitcnt lgkmcnt(1)
	v_and_b32_e32 v9, 0xff, v8
	s_waitcnt lgkmcnt(0)
	ds_bpermute_b32 v3, v4, v1
	ds_bpermute_b32 v10, v4, v9
	;; [unrolled: 1-line block ×3, first 2 shown]
	v_cmpx_gt_u32_e64 s0, v11
	s_cbranch_execz .LBB503_228
; %bb.223:
	s_waitcnt lgkmcnt(1)
	v_and_b32_e32 v9, v9, v10
	s_mov_b32 s3, exec_lo
	v_and_b32_e32 v9, 1, v9
	v_cmpx_eq_u32_e32 1, v9
	s_xor_b32 s3, exec_lo, s3
	s_cbranch_execz .LBB503_225
; %bb.224:
	s_waitcnt lgkmcnt(0)
	v_cmp_lt_i64_e32 vcc_lo, v[3:4], v[1:2]
                                        ; implicit-def: $vgpr8
                                        ; implicit-def: $vgpr10
	v_cndmask_b32_e32 v2, v2, v4, vcc_lo
	v_cndmask_b32_e32 v1, v1, v3, vcc_lo
                                        ; implicit-def: $vgpr3_vgpr4
.LBB503_225:
	s_or_saveexec_b32 s3, s3
	v_mov_b32_e32 v9, 1
	s_xor_b32 exec_lo, exec_lo, s3
	s_cbranch_execz .LBB503_227
; %bb.226:
	v_and_b32_e32 v8, 1, v8
	v_cmp_eq_u32_e32 vcc_lo, 1, v8
	v_and_b32_e32 v8, 0xff, v10
	s_waitcnt lgkmcnt(0)
	v_cndmask_b32_e32 v2, v4, v2, vcc_lo
	v_cndmask_b32_e32 v1, v3, v1, vcc_lo
	v_cndmask_b32_e64 v9, v8, 1, vcc_lo
.LBB503_227:
	s_or_b32 exec_lo, exec_lo, s3
.LBB503_228:
	s_or_b32 exec_lo, exec_lo, s2
	v_cmp_gt_u32_e32 vcc_lo, 6, v6
	v_add_nc_u32_e32 v8, 2, v6
	s_mov_b32 s2, exec_lo
	s_waitcnt lgkmcnt(2)
	v_cndmask_b32_e64 v3, 0, 2, vcc_lo
	s_waitcnt lgkmcnt(0)
	v_add_lshl_u32 v4, v3, v5, 2
	ds_bpermute_b32 v5, v4, v9
	ds_bpermute_b32 v3, v4, v1
	;; [unrolled: 1-line block ×3, first 2 shown]
	v_cmpx_gt_u32_e64 s0, v8
	s_cbranch_execz .LBB503_234
; %bb.229:
	s_waitcnt lgkmcnt(2)
	v_and_b32_e32 v8, v9, v5
	s_mov_b32 s3, exec_lo
	v_and_b32_e32 v8, 1, v8
	v_cmpx_eq_u32_e32 1, v8
	s_xor_b32 s3, exec_lo, s3
	s_cbranch_execz .LBB503_231
; %bb.230:
	s_waitcnt lgkmcnt(0)
	v_cmp_lt_i64_e32 vcc_lo, v[3:4], v[1:2]
                                        ; implicit-def: $vgpr9
                                        ; implicit-def: $vgpr5
	v_cndmask_b32_e32 v2, v2, v4, vcc_lo
	v_cndmask_b32_e32 v1, v1, v3, vcc_lo
                                        ; implicit-def: $vgpr3_vgpr4
.LBB503_231:
	s_or_saveexec_b32 s3, s3
	v_mov_b32_e32 v8, 1
	s_xor_b32 exec_lo, exec_lo, s3
	s_cbranch_execz .LBB503_233
; %bb.232:
	v_and_b32_e32 v8, 1, v9
	v_and_b32_e32 v5, 0xff, v5
	v_cmp_eq_u32_e32 vcc_lo, 1, v8
	s_waitcnt lgkmcnt(0)
	v_cndmask_b32_e32 v2, v4, v2, vcc_lo
	v_cndmask_b32_e32 v1, v3, v1, vcc_lo
	v_cndmask_b32_e64 v8, v5, 1, vcc_lo
.LBB503_233:
	s_or_b32 exec_lo, exec_lo, s3
	v_mov_b32_e32 v9, v8
.LBB503_234:
	s_or_b32 exec_lo, exec_lo, s2
	s_waitcnt lgkmcnt(0)
	v_or_b32_e32 v4, 16, v7
	v_add_nc_u32_e32 v6, 4, v6
	ds_bpermute_b32 v5, v4, v9
	ds_bpermute_b32 v3, v4, v1
	;; [unrolled: 1-line block ×3, first 2 shown]
	v_cmp_gt_u32_e32 vcc_lo, s0, v6
	s_and_saveexec_b32 s0, vcc_lo
	s_cbranch_execz .LBB503_240
; %bb.235:
	s_waitcnt lgkmcnt(2)
	v_and_b32_e32 v6, v9, v5
	s_mov_b32 s2, exec_lo
	v_and_b32_e32 v6, 1, v6
	v_cmpx_eq_u32_e32 1, v6
	s_xor_b32 s2, exec_lo, s2
	s_cbranch_execz .LBB503_237
; %bb.236:
	s_waitcnt lgkmcnt(0)
	v_cmp_lt_i64_e32 vcc_lo, v[3:4], v[1:2]
                                        ; implicit-def: $vgpr9
                                        ; implicit-def: $vgpr5
	v_cndmask_b32_e32 v2, v2, v4, vcc_lo
	v_cndmask_b32_e32 v1, v1, v3, vcc_lo
                                        ; implicit-def: $vgpr3_vgpr4
.LBB503_237:
	s_or_saveexec_b32 s2, s2
	v_mov_b32_e32 v6, 1
	s_xor_b32 exec_lo, exec_lo, s2
	s_cbranch_execz .LBB503_239
; %bb.238:
	v_and_b32_e32 v6, 1, v9
	v_cmp_eq_u32_e32 vcc_lo, 1, v6
	s_waitcnt lgkmcnt(0)
	v_cndmask_b32_e32 v2, v4, v2, vcc_lo
	v_cndmask_b32_e32 v1, v3, v1, vcc_lo
	v_cndmask_b32_e64 v6, v5, 1, vcc_lo
.LBB503_239:
	s_or_b32 exec_lo, exec_lo, s2
	v_mov_b32_e32 v9, v6
.LBB503_240:
	s_or_b32 exec_lo, exec_lo, s0
.LBB503_241:
	s_or_b32 exec_lo, exec_lo, s1
.LBB503_242:
                                        ; implicit-def: $vgpr3_vgpr4
                                        ; implicit-def: $vgpr5
	s_mov_b32 s0, exec_lo
	v_cmpx_eq_u32_e32 0, v0
	s_xor_b32 s2, exec_lo, s0
	s_cbranch_execz .LBB503_246
; %bb.243:
	s_waitcnt lgkmcnt(0)
	v_mov_b32_e32 v3, s20
	v_mov_b32_e32 v4, s21
	;; [unrolled: 1-line block ×3, first 2 shown]
	s_cmp_eq_u64 s[14:15], 0
	s_cbranch_scc1 .LBB503_245
; %bb.244:
	v_and_b32_e32 v3, 1, v9
	v_cmp_gt_i64_e32 vcc_lo, s[20:21], v[1:2]
	s_bitcmp1_b32 s24, 0
	s_cselect_b32 s1, -1, 0
	v_cmp_eq_u32_e64 s0, 1, v3
	v_cndmask_b32_e64 v5, v9, 1, s1
	s_and_b32 vcc_lo, s0, vcc_lo
	v_cndmask_b32_e32 v3, s20, v1, vcc_lo
	v_cndmask_b32_e32 v4, s21, v2, vcc_lo
	v_cndmask_b32_e64 v3, v1, v3, s1
	v_cndmask_b32_e64 v4, v2, v4, s1
.LBB503_245:
	s_or_b32 s22, s22, exec_lo
.LBB503_246:
	s_or_b32 exec_lo, exec_lo, s2
	v_mov_b32_e32 v1, s6
	v_mov_b32_e32 v2, s7
	s_branch .LBB503_356
.LBB503_247:
	s_cmp_gt_i32 s25, 1
	s_cbranch_scc0 .LBB503_267
; %bb.248:
	s_cmp_eq_u32 s25, 2
	s_cbranch_scc0 .LBB503_268
; %bb.249:
	s_mov_b32 s7, 0
	s_lshl_b32 s10, s6, 9
	s_mov_b32 s11, s7
	s_lshr_b64 s[26:27], s[14:15], 9
	s_lshl_b64 s[0:1], s[10:11], 2
	s_add_u32 s2, s16, s0
	s_addc_u32 s3, s17, s1
	s_add_u32 s8, s18, s0
	s_addc_u32 s9, s19, s1
	;; [unrolled: 2-line block ×3, first 2 shown]
	s_cmp_lg_u64 s[26:27], s[6:7]
	s_cbranch_scc0 .LBB503_269
; %bb.250:
	v_lshlrev_b32_e32 v1, 2, v0
	s_waitcnt lgkmcnt(1)
	v_add_co_u32 v5, s0, s11, v0
	s_waitcnt lgkmcnt(0)
	v_add_co_ci_u32_e64 v6, null, s23, 0, s0
	s_clause 0x3
	global_load_dword v2, v1, s[2:3]
	global_load_dword v3, v1, s[8:9]
	global_load_dword v4, v1, s[8:9] offset:1024
	global_load_dword v1, v1, s[2:3] offset:1024
	v_add_co_u32 v7, vcc_lo, 0x100, v5
	v_add_co_ci_u32_e64 v8, null, 0, v6, vcc_lo
	s_waitcnt vmcnt(2)
	v_cmp_ne_u32_e32 vcc_lo, v2, v3
	s_waitcnt vmcnt(0)
	v_cmp_ne_u32_e64 s0, v1, v4
	v_cndmask_b32_e32 v2, v8, v6, vcc_lo
	v_cndmask_b32_e32 v1, v7, v5, vcc_lo
	s_or_b32 s0, vcc_lo, s0
	v_mbcnt_lo_u32_b32 v8, -1, 0
	v_cndmask_b32_e64 v5, 0, 1, s0
	v_mov_b32_dpp v4, v2 quad_perm:[1,0,3,2] row_mask:0xf bank_mask:0xf
	v_mov_b32_dpp v3, v1 quad_perm:[1,0,3,2] row_mask:0xf bank_mask:0xf
	v_mov_b32_dpp v6, v5 quad_perm:[1,0,3,2] row_mask:0xf bank_mask:0xf
	v_cmp_lt_i64_e32 vcc_lo, v[1:2], v[3:4]
	v_and_b32_e32 v6, 1, v6
	s_and_b32 vcc_lo, s0, vcc_lo
	v_cndmask_b32_e32 v3, v3, v1, vcc_lo
	v_cndmask_b32_e32 v4, v4, v2, vcc_lo
	v_cmp_eq_u32_e32 vcc_lo, 1, v6
	v_cndmask_b32_e32 v2, v2, v4, vcc_lo
	v_cndmask_b32_e32 v1, v1, v3, vcc_lo
	v_cndmask_b32_e64 v5, v5, 1, vcc_lo
	v_mov_b32_dpp v4, v2 quad_perm:[2,3,0,1] row_mask:0xf bank_mask:0xf
	v_mov_b32_dpp v3, v1 quad_perm:[2,3,0,1] row_mask:0xf bank_mask:0xf
	v_and_b32_e32 v7, 1, v5
	v_mov_b32_dpp v6, v5 quad_perm:[2,3,0,1] row_mask:0xf bank_mask:0xf
	v_cmp_lt_i64_e32 vcc_lo, v[1:2], v[3:4]
	v_cmp_eq_u32_e64 s0, 1, v7
	v_and_b32_e32 v6, 1, v6
	s_and_b32 vcc_lo, s0, vcc_lo
	v_cmp_eq_u32_e64 s1, 1, v6
	v_cndmask_b32_e32 v3, v3, v1, vcc_lo
	v_cndmask_b32_e32 v4, v4, v2, vcc_lo
	v_cndmask_b32_e64 v5, v5, 1, s1
	v_cndmask_b32_e64 v1, v1, v3, s1
	;; [unrolled: 1-line block ×3, first 2 shown]
	v_and_b32_e32 v7, 1, v5
	v_mov_b32_dpp v3, v1 row_ror:4 row_mask:0xf bank_mask:0xf
	v_mov_b32_dpp v4, v2 row_ror:4 row_mask:0xf bank_mask:0xf
	;; [unrolled: 1-line block ×3, first 2 shown]
	v_cmp_eq_u32_e64 s0, 1, v7
	v_cmp_lt_i64_e32 vcc_lo, v[1:2], v[3:4]
	v_and_b32_e32 v6, 1, v6
	s_and_b32 vcc_lo, s0, vcc_lo
	v_cmp_eq_u32_e64 s1, 1, v6
	v_cndmask_b32_e32 v3, v3, v1, vcc_lo
	v_cndmask_b32_e32 v4, v4, v2, vcc_lo
	v_cndmask_b32_e64 v5, v5, 1, s1
	v_cndmask_b32_e64 v1, v1, v3, s1
	;; [unrolled: 1-line block ×3, first 2 shown]
	v_and_b32_e32 v7, 1, v5
	v_mov_b32_dpp v3, v1 row_ror:8 row_mask:0xf bank_mask:0xf
	v_mov_b32_dpp v4, v2 row_ror:8 row_mask:0xf bank_mask:0xf
	;; [unrolled: 1-line block ×3, first 2 shown]
	v_cmp_eq_u32_e64 s0, 1, v7
	v_cmp_lt_i64_e32 vcc_lo, v[1:2], v[3:4]
	v_and_b32_e32 v6, 1, v6
	s_and_b32 vcc_lo, s0, vcc_lo
	v_cmp_eq_u32_e64 s1, 1, v6
	v_cndmask_b32_e32 v3, v3, v1, vcc_lo
	v_cndmask_b32_e32 v4, v4, v2, vcc_lo
	v_cndmask_b32_e64 v5, v5, 1, s1
	v_cndmask_b32_e64 v1, v1, v3, s1
	;; [unrolled: 1-line block ×3, first 2 shown]
	ds_swizzle_b32 v6, v5 offset:swizzle(BROADCAST,32,15)
	ds_swizzle_b32 v3, v1 offset:swizzle(BROADCAST,32,15)
	;; [unrolled: 1-line block ×3, first 2 shown]
	v_and_b32_e32 v7, 1, v5
	v_cmp_eq_u32_e64 s0, 1, v7
	s_waitcnt lgkmcnt(2)
	v_and_b32_e32 v6, 1, v6
	s_waitcnt lgkmcnt(0)
	v_cmp_lt_i64_e32 vcc_lo, v[1:2], v[3:4]
	v_cmp_eq_u32_e64 s1, 1, v6
	v_mov_b32_e32 v6, 0
	s_and_b32 vcc_lo, s0, vcc_lo
	s_mov_b32 s0, exec_lo
	v_cndmask_b32_e32 v3, v3, v1, vcc_lo
	v_cndmask_b32_e32 v4, v4, v2, vcc_lo
	v_cndmask_b32_e64 v5, v5, 1, s1
	v_cndmask_b32_e64 v1, v1, v3, s1
	;; [unrolled: 1-line block ×3, first 2 shown]
	ds_bpermute_b32 v7, v6, v5 offset:124
	ds_bpermute_b32 v1, v6, v1 offset:124
	;; [unrolled: 1-line block ×3, first 2 shown]
	v_cmpx_eq_u32_e32 0, v8
	s_cbranch_execz .LBB503_252
; %bb.251:
	v_lshrrev_b32_e32 v3, 1, v0
	v_and_b32_e32 v3, 0x70, v3
	s_waitcnt lgkmcnt(2)
	ds_write_b8 v3, v7 offset:128
	s_waitcnt lgkmcnt(1)
	ds_write_b64 v3, v[1:2] offset:136
.LBB503_252:
	s_or_b32 exec_lo, exec_lo, s0
	s_mov_b32 s0, exec_lo
	s_waitcnt lgkmcnt(0)
	s_barrier
	buffer_gl0_inv
	v_cmpx_gt_u32_e32 32, v0
	s_cbranch_execz .LBB503_266
; %bb.253:
	v_and_b32_e32 v7, 7, v8
	v_lshlrev_b32_e32 v1, 4, v7
	v_cmp_ne_u32_e32 vcc_lo, 7, v7
	ds_read_u8 v10, v1 offset:128
	ds_read_b64 v[3:4], v1 offset:136
	v_add_co_ci_u32_e64 v2, null, 0, v8, vcc_lo
	v_lshlrev_b32_e32 v2, 2, v2
	s_waitcnt lgkmcnt(1)
	v_and_b32_e32 v1, 0xff, v10
	s_waitcnt lgkmcnt(0)
	ds_bpermute_b32 v5, v2, v3
	ds_bpermute_b32 v6, v2, v4
	ds_bpermute_b32 v11, v2, v1
	s_waitcnt lgkmcnt(0)
	v_and_b32_e32 v1, v10, v11
	v_and_b32_e32 v1, 1, v1
	v_cmp_eq_u32_e32 vcc_lo, 1, v1
                                        ; implicit-def: $vgpr1_vgpr2
	s_and_saveexec_b32 s1, vcc_lo
	s_xor_b32 s1, exec_lo, s1
; %bb.254:
	v_cmp_lt_i64_e32 vcc_lo, v[5:6], v[3:4]
                                        ; implicit-def: $vgpr10
                                        ; implicit-def: $vgpr11
	v_cndmask_b32_e32 v2, v4, v6, vcc_lo
	v_cndmask_b32_e32 v1, v3, v5, vcc_lo
                                        ; implicit-def: $vgpr5_vgpr6
                                        ; implicit-def: $vgpr3_vgpr4
; %bb.255:
	s_or_saveexec_b32 s1, s1
	v_mov_b32_e32 v9, 1
	s_xor_b32 exec_lo, exec_lo, s1
; %bb.256:
	v_and_b32_e32 v1, 1, v10
	v_and_b32_e32 v9, 0xff, v11
	v_cmp_eq_u32_e32 vcc_lo, 1, v1
	v_cndmask_b32_e32 v2, v6, v4, vcc_lo
	v_cndmask_b32_e32 v1, v5, v3, vcc_lo
	v_cndmask_b32_e64 v9, v9, 1, vcc_lo
; %bb.257:
	s_or_b32 exec_lo, exec_lo, s1
	v_cmp_gt_u32_e32 vcc_lo, 6, v7
	v_cndmask_b32_e64 v3, 0, 2, vcc_lo
	v_add_lshl_u32 v3, v3, v8, 2
	ds_bpermute_b32 v7, v3, v9
	ds_bpermute_b32 v5, v3, v1
	;; [unrolled: 1-line block ×3, first 2 shown]
	s_waitcnt lgkmcnt(2)
	v_and_b32_e32 v3, v9, v7
	v_and_b32_e32 v3, 1, v3
	v_cmp_eq_u32_e32 vcc_lo, 1, v3
                                        ; implicit-def: $vgpr3_vgpr4
	s_and_saveexec_b32 s1, vcc_lo
	s_xor_b32 s1, exec_lo, s1
	s_cbranch_execz .LBB503_259
; %bb.258:
	s_waitcnt lgkmcnt(0)
	v_cmp_lt_i64_e32 vcc_lo, v[5:6], v[1:2]
                                        ; implicit-def: $vgpr9
                                        ; implicit-def: $vgpr7
	v_cndmask_b32_e32 v4, v2, v6, vcc_lo
	v_cndmask_b32_e32 v3, v1, v5, vcc_lo
                                        ; implicit-def: $vgpr5_vgpr6
                                        ; implicit-def: $vgpr1_vgpr2
.LBB503_259:
	s_or_saveexec_b32 s1, s1
	v_lshlrev_b32_e32 v10, 2, v8
	v_mov_b32_e32 v8, 1
	s_xor_b32 exec_lo, exec_lo, s1
	s_cbranch_execz .LBB503_261
; %bb.260:
	v_and_b32_e32 v3, 1, v9
	v_and_b32_e32 v7, 0xff, v7
	v_cmp_eq_u32_e32 vcc_lo, 1, v3
	s_waitcnt lgkmcnt(0)
	v_cndmask_b32_e32 v4, v6, v2, vcc_lo
	v_cndmask_b32_e32 v3, v5, v1, vcc_lo
	v_cndmask_b32_e64 v8, v7, 1, vcc_lo
.LBB503_261:
	s_or_b32 exec_lo, exec_lo, s1
	v_or_b32_e32 v1, 16, v10
	ds_bpermute_b32 v9, v1, v8
	s_waitcnt lgkmcnt(2)
	ds_bpermute_b32 v5, v1, v3
	s_waitcnt lgkmcnt(2)
	;; [unrolled: 2-line block ×3, first 2 shown]
	v_and_b32_e32 v1, v8, v9
	v_and_b32_e32 v1, 1, v1
	v_cmp_eq_u32_e32 vcc_lo, 1, v1
                                        ; implicit-def: $vgpr1_vgpr2
	s_and_saveexec_b32 s1, vcc_lo
	s_xor_b32 s1, exec_lo, s1
	s_cbranch_execz .LBB503_263
; %bb.262:
	s_waitcnt lgkmcnt(0)
	v_cmp_lt_i64_e32 vcc_lo, v[5:6], v[3:4]
                                        ; implicit-def: $vgpr8
                                        ; implicit-def: $vgpr9
	v_cndmask_b32_e32 v2, v4, v6, vcc_lo
	v_cndmask_b32_e32 v1, v3, v5, vcc_lo
                                        ; implicit-def: $vgpr5_vgpr6
                                        ; implicit-def: $vgpr3_vgpr4
.LBB503_263:
	s_or_saveexec_b32 s1, s1
	v_mov_b32_e32 v7, 1
	s_xor_b32 exec_lo, exec_lo, s1
	s_cbranch_execz .LBB503_265
; %bb.264:
	v_and_b32_e32 v1, 1, v8
	v_cmp_eq_u32_e32 vcc_lo, 1, v1
	s_waitcnt lgkmcnt(0)
	v_cndmask_b32_e32 v2, v6, v4, vcc_lo
	v_cndmask_b32_e32 v1, v5, v3, vcc_lo
	v_cndmask_b32_e64 v7, v9, 1, vcc_lo
.LBB503_265:
	s_or_b32 exec_lo, exec_lo, s1
.LBB503_266:
	s_or_b32 exec_lo, exec_lo, s0
	s_branch .LBB503_327
.LBB503_267:
                                        ; implicit-def: $vgpr3_vgpr4
                                        ; implicit-def: $vgpr5
                                        ; implicit-def: $vgpr1_vgpr2
	s_cbranch_execnz .LBB503_332
	s_branch .LBB503_356
.LBB503_268:
                                        ; implicit-def: $vgpr3_vgpr4
                                        ; implicit-def: $vgpr5
                                        ; implicit-def: $vgpr1_vgpr2
	s_branch .LBB503_356
.LBB503_269:
                                        ; implicit-def: $vgpr1_vgpr2
                                        ; implicit-def: $vgpr7
	s_cbranch_execz .LBB503_327
; %bb.270:
	s_waitcnt lgkmcnt(0)
	v_mov_b32_e32 v3, 0
	v_mov_b32_e32 v1, 0
	;; [unrolled: 1-line block ×6, first 2 shown]
	s_sub_i32 s10, s14, s10
	s_mov_b32 s0, exec_lo
	v_cmpx_gt_u32_e64 s10, v0
	s_cbranch_execz .LBB503_272
; %bb.271:
	v_lshlrev_b32_e32 v1, 2, v0
	s_clause 0x1
	global_load_dword v6, v1, s[2:3]
	global_load_dword v7, v1, s[8:9]
	v_add_co_u32 v1, s1, s11, v0
	v_add_co_ci_u32_e64 v2, null, s23, 0, s1
	s_waitcnt vmcnt(0)
	v_cmp_ne_u32_e32 vcc_lo, v6, v7
	v_cndmask_b32_e64 v6, 0, 1, vcc_lo
.LBB503_272:
	s_or_b32 exec_lo, exec_lo, s0
	v_or_b32_e32 v7, 0x100, v0
	v_cmp_gt_u32_e32 vcc_lo, s10, v7
	s_and_saveexec_b32 s1, vcc_lo
	s_cbranch_execz .LBB503_274
; %bb.273:
	v_lshlrev_b32_e32 v3, 2, v0
	s_clause 0x1
	global_load_dword v5, v3, s[2:3] offset:1024
	global_load_dword v8, v3, s[8:9] offset:1024
	v_add_co_u32 v3, s0, s11, v7
	v_add_co_ci_u32_e64 v4, null, s23, 0, s0
	s_waitcnt vmcnt(0)
	v_cmp_ne_u32_e64 s0, v5, v8
	v_cndmask_b32_e64 v5, 0, 1, s0
.LBB503_274:
	s_or_b32 exec_lo, exec_lo, s1
	v_and_b32_e32 v7, 1, v5
	v_cmp_lt_i64_e64 s0, v[3:4], v[1:2]
	v_and_b32_e32 v8, 0xffff, v5
	v_mbcnt_lo_u32_b32 v5, -1, 0
	v_cmp_eq_u32_e64 s1, 1, v7
	v_and_b32_e32 v7, 0xffff, v6
	v_and_b32_e32 v6, 1, v6
	s_and_b32 s0, s1, s0
	v_cmp_ne_u32_e64 s1, 31, v5
	v_cndmask_b32_e64 v9, v2, v4, s0
	v_cndmask_b32_e64 v10, v1, v3, s0
	v_cmp_eq_u32_e64 s0, 1, v6
	v_cndmask_b32_e64 v6, v8, 1, s0
	v_add_co_ci_u32_e64 v8, null, 0, v5, s1
	v_cndmask_b32_e64 v3, v3, v10, s0
	v_cndmask_b32_e64 v4, v4, v9, s0
	v_cndmask_b32_e32 v7, v7, v6, vcc_lo
	v_lshlrev_b32_e32 v6, 2, v8
	s_min_u32 s0, s10, 0x100
	v_cndmask_b32_e32 v1, v1, v3, vcc_lo
	v_cndmask_b32_e32 v2, v2, v4, vcc_lo
	v_add_nc_u32_e32 v9, 1, v5
	ds_bpermute_b32 v8, v6, v7
	s_mov_b32 s1, exec_lo
	ds_bpermute_b32 v3, v6, v1
	ds_bpermute_b32 v4, v6, v2
	v_and_b32_e32 v6, 0xe0, v0
	v_sub_nc_u32_e64 v6, s0, v6 clamp
	v_cmpx_lt_u32_e64 v9, v6
	s_cbranch_execz .LBB503_280
; %bb.275:
	s_waitcnt lgkmcnt(2)
	v_and_b32_e32 v9, v7, v8
	s_mov_b32 s2, exec_lo
	v_cmpx_ne_u32_e32 0, v9
	s_xor_b32 s2, exec_lo, s2
	s_cbranch_execz .LBB503_277
; %bb.276:
	s_waitcnt lgkmcnt(0)
	v_cmp_lt_i64_e32 vcc_lo, v[3:4], v[1:2]
                                        ; implicit-def: $vgpr7
                                        ; implicit-def: $vgpr8
	v_cndmask_b32_e32 v2, v2, v4, vcc_lo
	v_cndmask_b32_e32 v1, v1, v3, vcc_lo
                                        ; implicit-def: $vgpr3_vgpr4
.LBB503_277:
	s_or_saveexec_b32 s2, s2
	v_mov_b32_e32 v9, 1
	s_xor_b32 exec_lo, exec_lo, s2
	s_cbranch_execz .LBB503_279
; %bb.278:
	v_and_b32_e32 v7, 1, v7
	v_cmp_eq_u32_e32 vcc_lo, 1, v7
	v_and_b32_e32 v7, 0xff, v8
	s_waitcnt lgkmcnt(0)
	v_cndmask_b32_e32 v2, v4, v2, vcc_lo
	v_cndmask_b32_e32 v1, v3, v1, vcc_lo
	v_cndmask_b32_e64 v9, v7, 1, vcc_lo
.LBB503_279:
	s_or_b32 exec_lo, exec_lo, s2
	v_mov_b32_e32 v7, v9
.LBB503_280:
	s_or_b32 exec_lo, exec_lo, s1
	v_cmp_gt_u32_e32 vcc_lo, 30, v5
	v_add_nc_u32_e32 v9, 2, v5
	s_mov_b32 s1, exec_lo
	s_waitcnt lgkmcnt(1)
	v_cndmask_b32_e64 v3, 0, 2, vcc_lo
	s_waitcnt lgkmcnt(0)
	v_add_lshl_u32 v4, v3, v5, 2
	ds_bpermute_b32 v8, v4, v7
	ds_bpermute_b32 v3, v4, v1
	ds_bpermute_b32 v4, v4, v2
	v_cmpx_lt_u32_e64 v9, v6
	s_cbranch_execz .LBB503_286
; %bb.281:
	s_waitcnt lgkmcnt(2)
	v_and_b32_e32 v9, v7, v8
	s_mov_b32 s2, exec_lo
	v_and_b32_e32 v9, 1, v9
	v_cmpx_eq_u32_e32 1, v9
	s_xor_b32 s2, exec_lo, s2
	s_cbranch_execz .LBB503_283
; %bb.282:
	s_waitcnt lgkmcnt(0)
	v_cmp_lt_i64_e32 vcc_lo, v[3:4], v[1:2]
                                        ; implicit-def: $vgpr7
                                        ; implicit-def: $vgpr8
	v_cndmask_b32_e32 v2, v2, v4, vcc_lo
	v_cndmask_b32_e32 v1, v1, v3, vcc_lo
                                        ; implicit-def: $vgpr3_vgpr4
.LBB503_283:
	s_or_saveexec_b32 s2, s2
	v_mov_b32_e32 v9, 1
	s_xor_b32 exec_lo, exec_lo, s2
	s_cbranch_execz .LBB503_285
; %bb.284:
	v_and_b32_e32 v7, 1, v7
	v_cmp_eq_u32_e32 vcc_lo, 1, v7
	v_and_b32_e32 v7, 0xff, v8
	s_waitcnt lgkmcnt(0)
	v_cndmask_b32_e32 v2, v4, v2, vcc_lo
	v_cndmask_b32_e32 v1, v3, v1, vcc_lo
	v_cndmask_b32_e64 v9, v7, 1, vcc_lo
.LBB503_285:
	s_or_b32 exec_lo, exec_lo, s2
	v_mov_b32_e32 v7, v9
.LBB503_286:
	s_or_b32 exec_lo, exec_lo, s1
	v_cmp_gt_u32_e32 vcc_lo, 28, v5
	v_add_nc_u32_e32 v9, 4, v5
	s_mov_b32 s1, exec_lo
	s_waitcnt lgkmcnt(1)
	v_cndmask_b32_e64 v3, 0, 4, vcc_lo
	s_waitcnt lgkmcnt(0)
	v_add_lshl_u32 v4, v3, v5, 2
	ds_bpermute_b32 v8, v4, v7
	ds_bpermute_b32 v3, v4, v1
	ds_bpermute_b32 v4, v4, v2
	v_cmpx_lt_u32_e64 v9, v6
	s_cbranch_execz .LBB503_292
; %bb.287:
	s_waitcnt lgkmcnt(2)
	v_and_b32_e32 v9, v7, v8
	s_mov_b32 s2, exec_lo
	v_and_b32_e32 v9, 1, v9
	v_cmpx_eq_u32_e32 1, v9
	s_xor_b32 s2, exec_lo, s2
	s_cbranch_execz .LBB503_289
; %bb.288:
	s_waitcnt lgkmcnt(0)
	v_cmp_lt_i64_e32 vcc_lo, v[3:4], v[1:2]
                                        ; implicit-def: $vgpr7
                                        ; implicit-def: $vgpr8
	v_cndmask_b32_e32 v2, v2, v4, vcc_lo
	v_cndmask_b32_e32 v1, v1, v3, vcc_lo
                                        ; implicit-def: $vgpr3_vgpr4
.LBB503_289:
	s_or_saveexec_b32 s2, s2
	v_mov_b32_e32 v9, 1
	s_xor_b32 exec_lo, exec_lo, s2
	s_cbranch_execz .LBB503_291
; %bb.290:
	v_and_b32_e32 v7, 1, v7
	v_cmp_eq_u32_e32 vcc_lo, 1, v7
	v_and_b32_e32 v7, 0xff, v8
	s_waitcnt lgkmcnt(0)
	v_cndmask_b32_e32 v2, v4, v2, vcc_lo
	v_cndmask_b32_e32 v1, v3, v1, vcc_lo
	v_cndmask_b32_e64 v9, v7, 1, vcc_lo
.LBB503_291:
	s_or_b32 exec_lo, exec_lo, s2
	v_mov_b32_e32 v7, v9
.LBB503_292:
	;; [unrolled: 46-line block ×3, first 2 shown]
	s_or_b32 exec_lo, exec_lo, s1
	s_waitcnt lgkmcnt(2)
	v_lshlrev_b32_e32 v8, 2, v5
	v_add_nc_u32_e32 v10, 16, v5
	s_waitcnt lgkmcnt(0)
	v_or_b32_e32 v4, 64, v8
	v_cmp_lt_u32_e32 vcc_lo, v10, v6
	v_mov_b32_e32 v6, v7
	ds_bpermute_b32 v9, v4, v7
	ds_bpermute_b32 v3, v4, v1
	;; [unrolled: 1-line block ×3, first 2 shown]
	s_and_saveexec_b32 s1, vcc_lo
	s_cbranch_execz .LBB503_304
; %bb.299:
	s_waitcnt lgkmcnt(2)
	v_and_b32_e32 v6, v7, v9
	s_mov_b32 s2, exec_lo
	v_and_b32_e32 v6, 1, v6
	v_cmpx_eq_u32_e32 1, v6
	s_xor_b32 s2, exec_lo, s2
	s_cbranch_execz .LBB503_301
; %bb.300:
	s_waitcnt lgkmcnt(0)
	v_cmp_lt_i64_e32 vcc_lo, v[3:4], v[1:2]
                                        ; implicit-def: $vgpr7
                                        ; implicit-def: $vgpr9
	v_cndmask_b32_e32 v2, v2, v4, vcc_lo
	v_cndmask_b32_e32 v1, v1, v3, vcc_lo
                                        ; implicit-def: $vgpr3_vgpr4
.LBB503_301:
	s_or_saveexec_b32 s2, s2
	v_mov_b32_e32 v6, 1
	s_xor_b32 exec_lo, exec_lo, s2
	s_cbranch_execz .LBB503_303
; %bb.302:
	v_and_b32_e32 v6, 1, v7
	v_cmp_eq_u32_e32 vcc_lo, 1, v6
	v_cndmask_b32_e64 v6, v9, 1, vcc_lo
	s_waitcnt lgkmcnt(0)
	v_cndmask_b32_e32 v2, v4, v2, vcc_lo
	v_cndmask_b32_e32 v1, v3, v1, vcc_lo
.LBB503_303:
	s_or_b32 exec_lo, exec_lo, s2
	v_and_b32_e32 v7, 0xff, v6
.LBB503_304:
	s_or_b32 exec_lo, exec_lo, s1
	s_mov_b32 s1, exec_lo
	v_cmpx_eq_u32_e32 0, v5
	s_cbranch_execz .LBB503_306
; %bb.305:
	s_waitcnt lgkmcnt(1)
	v_lshrrev_b32_e32 v3, 1, v0
	v_and_b32_e32 v3, 0x70, v3
	ds_write_b8 v3, v6 offset:512
	ds_write_b64 v3, v[1:2] offset:520
.LBB503_306:
	s_or_b32 exec_lo, exec_lo, s1
	s_mov_b32 s1, exec_lo
	s_waitcnt lgkmcnt(0)
	s_barrier
	buffer_gl0_inv
	v_cmpx_gt_u32_e32 8, v0
	s_cbranch_execz .LBB503_326
; %bb.307:
	v_lshlrev_b32_e32 v1, 4, v5
	v_and_b32_e32 v6, 7, v5
	s_add_i32 s0, s0, 31
	s_mov_b32 s2, exec_lo
	s_lshr_b32 s0, s0, 5
	ds_read_u8 v9, v1 offset:512
	ds_read_b64 v[1:2], v1 offset:520
	v_cmp_ne_u32_e32 vcc_lo, 7, v6
	v_add_nc_u32_e32 v11, 1, v6
	v_add_co_ci_u32_e64 v3, null, 0, v5, vcc_lo
	v_lshlrev_b32_e32 v4, 2, v3
	s_waitcnt lgkmcnt(1)
	v_and_b32_e32 v7, 0xff, v9
	s_waitcnt lgkmcnt(0)
	ds_bpermute_b32 v3, v4, v1
	ds_bpermute_b32 v10, v4, v7
	;; [unrolled: 1-line block ×3, first 2 shown]
	v_cmpx_gt_u32_e64 s0, v11
	s_cbranch_execz .LBB503_313
; %bb.308:
	s_waitcnt lgkmcnt(1)
	v_and_b32_e32 v7, v7, v10
	s_mov_b32 s3, exec_lo
	v_and_b32_e32 v7, 1, v7
	v_cmpx_eq_u32_e32 1, v7
	s_xor_b32 s3, exec_lo, s3
	s_cbranch_execz .LBB503_310
; %bb.309:
	s_waitcnt lgkmcnt(0)
	v_cmp_lt_i64_e32 vcc_lo, v[3:4], v[1:2]
                                        ; implicit-def: $vgpr9
                                        ; implicit-def: $vgpr10
	v_cndmask_b32_e32 v2, v2, v4, vcc_lo
	v_cndmask_b32_e32 v1, v1, v3, vcc_lo
                                        ; implicit-def: $vgpr3_vgpr4
.LBB503_310:
	s_or_saveexec_b32 s3, s3
	v_mov_b32_e32 v7, 1
	s_xor_b32 exec_lo, exec_lo, s3
	s_cbranch_execz .LBB503_312
; %bb.311:
	v_and_b32_e32 v7, 1, v9
	v_cmp_eq_u32_e32 vcc_lo, 1, v7
	v_and_b32_e32 v7, 0xff, v10
	s_waitcnt lgkmcnt(0)
	v_cndmask_b32_e32 v2, v4, v2, vcc_lo
	v_cndmask_b32_e32 v1, v3, v1, vcc_lo
	v_cndmask_b32_e64 v7, v7, 1, vcc_lo
.LBB503_312:
	s_or_b32 exec_lo, exec_lo, s3
.LBB503_313:
	s_or_b32 exec_lo, exec_lo, s2
	v_cmp_gt_u32_e32 vcc_lo, 6, v6
	v_add_nc_u32_e32 v9, 2, v6
	s_mov_b32 s2, exec_lo
	s_waitcnt lgkmcnt(2)
	v_cndmask_b32_e64 v3, 0, 2, vcc_lo
	s_waitcnt lgkmcnt(0)
	v_add_lshl_u32 v4, v3, v5, 2
	ds_bpermute_b32 v5, v4, v7
	ds_bpermute_b32 v3, v4, v1
	;; [unrolled: 1-line block ×3, first 2 shown]
	v_cmpx_gt_u32_e64 s0, v9
	s_cbranch_execz .LBB503_319
; %bb.314:
	s_waitcnt lgkmcnt(2)
	v_and_b32_e32 v9, v7, v5
	s_mov_b32 s3, exec_lo
	v_and_b32_e32 v9, 1, v9
	v_cmpx_eq_u32_e32 1, v9
	s_xor_b32 s3, exec_lo, s3
	s_cbranch_execz .LBB503_316
; %bb.315:
	s_waitcnt lgkmcnt(0)
	v_cmp_lt_i64_e32 vcc_lo, v[3:4], v[1:2]
                                        ; implicit-def: $vgpr7
                                        ; implicit-def: $vgpr5
	v_cndmask_b32_e32 v2, v2, v4, vcc_lo
	v_cndmask_b32_e32 v1, v1, v3, vcc_lo
                                        ; implicit-def: $vgpr3_vgpr4
.LBB503_316:
	s_or_saveexec_b32 s3, s3
	v_mov_b32_e32 v9, 1
	s_xor_b32 exec_lo, exec_lo, s3
	s_cbranch_execz .LBB503_318
; %bb.317:
	v_and_b32_e32 v7, 1, v7
	v_and_b32_e32 v5, 0xff, v5
	v_cmp_eq_u32_e32 vcc_lo, 1, v7
	s_waitcnt lgkmcnt(0)
	v_cndmask_b32_e32 v2, v4, v2, vcc_lo
	v_cndmask_b32_e32 v1, v3, v1, vcc_lo
	v_cndmask_b32_e64 v9, v5, 1, vcc_lo
.LBB503_318:
	s_or_b32 exec_lo, exec_lo, s3
	v_mov_b32_e32 v7, v9
.LBB503_319:
	s_or_b32 exec_lo, exec_lo, s2
	s_waitcnt lgkmcnt(0)
	v_or_b32_e32 v4, 16, v8
	v_add_nc_u32_e32 v6, 4, v6
	ds_bpermute_b32 v5, v4, v7
	ds_bpermute_b32 v3, v4, v1
	;; [unrolled: 1-line block ×3, first 2 shown]
	v_cmp_gt_u32_e32 vcc_lo, s0, v6
	s_and_saveexec_b32 s0, vcc_lo
	s_cbranch_execz .LBB503_325
; %bb.320:
	s_waitcnt lgkmcnt(2)
	v_and_b32_e32 v6, v7, v5
	s_mov_b32 s2, exec_lo
	v_and_b32_e32 v6, 1, v6
	v_cmpx_eq_u32_e32 1, v6
	s_xor_b32 s2, exec_lo, s2
	s_cbranch_execz .LBB503_322
; %bb.321:
	s_waitcnt lgkmcnt(0)
	v_cmp_lt_i64_e32 vcc_lo, v[3:4], v[1:2]
                                        ; implicit-def: $vgpr7
                                        ; implicit-def: $vgpr5
	v_cndmask_b32_e32 v2, v2, v4, vcc_lo
	v_cndmask_b32_e32 v1, v1, v3, vcc_lo
                                        ; implicit-def: $vgpr3_vgpr4
.LBB503_322:
	s_or_saveexec_b32 s2, s2
	v_mov_b32_e32 v6, 1
	s_xor_b32 exec_lo, exec_lo, s2
	s_cbranch_execz .LBB503_324
; %bb.323:
	v_and_b32_e32 v6, 1, v7
	v_cmp_eq_u32_e32 vcc_lo, 1, v6
	s_waitcnt lgkmcnt(0)
	v_cndmask_b32_e32 v2, v4, v2, vcc_lo
	v_cndmask_b32_e32 v1, v3, v1, vcc_lo
	v_cndmask_b32_e64 v6, v5, 1, vcc_lo
.LBB503_324:
	s_or_b32 exec_lo, exec_lo, s2
	v_mov_b32_e32 v7, v6
.LBB503_325:
	s_or_b32 exec_lo, exec_lo, s0
.LBB503_326:
	s_or_b32 exec_lo, exec_lo, s1
.LBB503_327:
                                        ; implicit-def: $vgpr3_vgpr4
                                        ; implicit-def: $vgpr5
	s_mov_b32 s0, exec_lo
	v_cmpx_eq_u32_e32 0, v0
	s_xor_b32 s2, exec_lo, s0
	s_cbranch_execz .LBB503_331
; %bb.328:
	s_waitcnt lgkmcnt(0)
	v_mov_b32_e32 v3, s20
	v_mov_b32_e32 v4, s21
	;; [unrolled: 1-line block ×3, first 2 shown]
	s_cmp_eq_u64 s[14:15], 0
	s_cbranch_scc1 .LBB503_330
; %bb.329:
	v_and_b32_e32 v3, 1, v7
	v_cmp_gt_i64_e32 vcc_lo, s[20:21], v[1:2]
	s_bitcmp1_b32 s24, 0
	s_cselect_b32 s1, -1, 0
	v_cmp_eq_u32_e64 s0, 1, v3
	v_cndmask_b32_e64 v5, v7, 1, s1
	s_and_b32 vcc_lo, s0, vcc_lo
	v_cndmask_b32_e32 v3, s20, v1, vcc_lo
	v_cndmask_b32_e32 v4, s21, v2, vcc_lo
	v_cndmask_b32_e64 v3, v1, v3, s1
	v_cndmask_b32_e64 v4, v2, v4, s1
.LBB503_330:
	s_or_b32 s22, s22, exec_lo
.LBB503_331:
	s_or_b32 exec_lo, exec_lo, s2
	v_mov_b32_e32 v1, s6
	v_mov_b32_e32 v2, s7
	s_branch .LBB503_356
.LBB503_332:
	s_cmp_eq_u32 s25, 1
	s_cbranch_scc0 .LBB503_355
; %bb.333:
	s_mov_b32 s3, 0
	s_lshr_b64 s[0:1], s[14:15], 8
	s_mov_b32 s7, s3
	s_lshl_b32 s2, s6, 8
	s_cmp_lg_u64 s[0:1], s[6:7]
	s_cbranch_scc0 .LBB503_359
; %bb.334:
	s_lshl_b64 s[0:1], s[2:3], 2
	v_lshlrev_b32_e32 v1, 2, v0
	s_add_u32 s8, s16, s0
	s_addc_u32 s9, s17, s1
	s_add_u32 s0, s18, s0
	s_addc_u32 s1, s19, s1
	s_waitcnt lgkmcnt(0)
	s_clause 0x1
	global_load_dword v4, v1, s[8:9]
	global_load_dword v5, v1, s[0:1]
	s_add_u32 s0, s12, s2
	s_addc_u32 s1, s13, 0
	v_add_co_u32 v1, s0, s0, v0
	v_add_co_ci_u32_e64 v2, null, s1, 0, s0
                                        ; implicit-def: $vgpr7
	v_mov_b32_dpp v3, v1 quad_perm:[1,0,3,2] row_mask:0xf bank_mask:0xf
	s_waitcnt vmcnt(0)
	v_cmp_ne_u32_e32 vcc_lo, v4, v5
	v_mov_b32_dpp v4, v2 quad_perm:[1,0,3,2] row_mask:0xf bank_mask:0xf
	v_cndmask_b32_e64 v5, 0, 1, vcc_lo
	v_cmp_lt_i64_e64 s0, v[1:2], v[3:4]
	v_mov_b32_dpp v5, v5 quad_perm:[1,0,3,2] row_mask:0xf bank_mask:0xf
	s_and_b32 s0, vcc_lo, s0
	v_cndmask_b32_e64 v3, v3, v1, s0
	v_and_b32_e32 v5, 1, v5
	v_cndmask_b32_e64 v4, v4, v2, s0
	v_cmp_eq_u32_e64 s0, 1, v5
	s_or_b32 s1, s0, vcc_lo
	v_cndmask_b32_e64 v4, v2, v4, s0
	v_cndmask_b32_e64 v2, 0, 1, s1
	;; [unrolled: 1-line block ×3, first 2 shown]
	v_mov_b32_dpp v6, v4 quad_perm:[2,3,0,1] row_mask:0xf bank_mask:0xf
	v_mov_b32_dpp v2, v2 quad_perm:[2,3,0,1] row_mask:0xf bank_mask:0xf
	;; [unrolled: 1-line block ×3, first 2 shown]
	v_and_b32_e32 v2, 1, v2
	v_cmp_eq_u32_e32 vcc_lo, 1, v2
                                        ; implicit-def: $vgpr1_vgpr2
	s_and_b32 s0, vcc_lo, s1
	s_xor_b32 s0, s0, -1
	s_and_saveexec_b32 s8, s0
	s_xor_b32 s0, exec_lo, s8
; %bb.335:
	s_or_b32 s1, vcc_lo, s1
	v_cndmask_b32_e32 v2, v4, v6, vcc_lo
	v_cndmask_b32_e32 v1, v3, v5, vcc_lo
	v_cndmask_b32_e64 v7, 0, 1, s1
                                        ; implicit-def: $vgpr3_vgpr4
                                        ; implicit-def: $vgpr5_vgpr6
; %bb.336:
	s_andn2_saveexec_b32 s0, s0
; %bb.337:
	v_cmp_lt_i64_e32 vcc_lo, v[3:4], v[5:6]
	v_mov_b32_e32 v7, 1
	v_cndmask_b32_e32 v2, v6, v4, vcc_lo
	v_cndmask_b32_e32 v1, v5, v3, vcc_lo
; %bb.338:
	s_or_b32 exec_lo, exec_lo, s0
	v_mov_b32_dpp v3, v1 row_ror:4 row_mask:0xf bank_mask:0xf
	v_mov_b32_dpp v4, v2 row_ror:4 row_mask:0xf bank_mask:0xf
	v_and_b32_e32 v6, 1, v7
	v_mov_b32_dpp v5, v7 row_ror:4 row_mask:0xf bank_mask:0xf
	v_mbcnt_lo_u32_b32 v8, -1, 0
	v_cmp_lt_i64_e32 vcc_lo, v[1:2], v[3:4]
	v_cmp_eq_u32_e64 s0, 1, v6
	v_and_b32_e32 v5, 1, v5
	s_and_b32 vcc_lo, s0, vcc_lo
	v_cmp_eq_u32_e64 s1, 1, v5
	v_cndmask_b32_e32 v3, v3, v1, vcc_lo
	v_cndmask_b32_e32 v4, v4, v2, vcc_lo
	v_cndmask_b32_e64 v5, v7, 1, s1
	v_cndmask_b32_e64 v1, v1, v3, s1
	;; [unrolled: 1-line block ×3, first 2 shown]
	v_and_b32_e32 v7, 1, v5
	v_mov_b32_dpp v3, v1 row_ror:8 row_mask:0xf bank_mask:0xf
	v_mov_b32_dpp v4, v2 row_ror:8 row_mask:0xf bank_mask:0xf
	;; [unrolled: 1-line block ×3, first 2 shown]
	v_cmp_eq_u32_e64 s0, 1, v7
	v_cmp_lt_i64_e32 vcc_lo, v[1:2], v[3:4]
	v_and_b32_e32 v6, 1, v6
	v_cmp_eq_u32_e64 s1, 1, v6
	s_and_b32 vcc_lo, s0, vcc_lo
	v_cndmask_b32_e32 v3, v3, v1, vcc_lo
	v_cndmask_b32_e32 v4, v4, v2, vcc_lo
	v_cndmask_b32_e64 v5, v5, 1, s1
	v_cndmask_b32_e64 v1, v1, v3, s1
	;; [unrolled: 1-line block ×3, first 2 shown]
	ds_swizzle_b32 v6, v5 offset:swizzle(BROADCAST,32,15)
	v_and_b32_e32 v7, 1, v5
	ds_swizzle_b32 v3, v1 offset:swizzle(BROADCAST,32,15)
	ds_swizzle_b32 v4, v2 offset:swizzle(BROADCAST,32,15)
	v_cmp_eq_u32_e64 s0, 1, v7
	s_waitcnt lgkmcnt(2)
	v_and_b32_e32 v6, 1, v6
	s_waitcnt lgkmcnt(0)
	v_cmp_lt_i64_e32 vcc_lo, v[1:2], v[3:4]
	v_cmp_eq_u32_e64 s1, 1, v6
	v_mov_b32_e32 v6, 0
	s_and_b32 vcc_lo, s0, vcc_lo
	v_cndmask_b32_e64 v5, v5, 1, s1
	v_cndmask_b32_e32 v3, v3, v1, vcc_lo
	v_cndmask_b32_e32 v4, v4, v2, vcc_lo
	s_mov_b32 s0, exec_lo
	ds_bpermute_b32 v7, v6, v5 offset:124
	v_cndmask_b32_e64 v1, v1, v3, s1
	v_cndmask_b32_e64 v2, v2, v4, s1
	ds_bpermute_b32 v1, v6, v1 offset:124
	ds_bpermute_b32 v2, v6, v2 offset:124
	v_cmpx_eq_u32_e32 0, v8
	s_cbranch_execz .LBB503_340
; %bb.339:
	v_lshrrev_b32_e32 v3, 1, v0
	v_and_b32_e32 v3, 0x70, v3
	s_waitcnt lgkmcnt(2)
	ds_write_b8 v3, v7
	s_waitcnt lgkmcnt(1)
	ds_write_b64 v3, v[1:2] offset:8
.LBB503_340:
	s_or_b32 exec_lo, exec_lo, s0
	s_mov_b32 s0, exec_lo
	s_waitcnt lgkmcnt(0)
	s_barrier
	buffer_gl0_inv
	v_cmpx_gt_u32_e32 32, v0
	s_cbranch_execz .LBB503_354
; %bb.341:
	v_and_b32_e32 v7, 7, v8
	v_lshlrev_b32_e32 v1, 4, v7
	v_cmp_ne_u32_e32 vcc_lo, 7, v7
	ds_read_u8 v10, v1
	ds_read_b64 v[3:4], v1 offset:8
	v_add_co_ci_u32_e64 v2, null, 0, v8, vcc_lo
	v_lshlrev_b32_e32 v2, 2, v2
	s_waitcnt lgkmcnt(1)
	v_and_b32_e32 v1, 0xff, v10
	s_waitcnt lgkmcnt(0)
	ds_bpermute_b32 v5, v2, v3
	ds_bpermute_b32 v6, v2, v4
	;; [unrolled: 1-line block ×3, first 2 shown]
	s_waitcnt lgkmcnt(0)
	v_and_b32_e32 v1, v10, v11
	v_and_b32_e32 v1, 1, v1
	v_cmp_eq_u32_e32 vcc_lo, 1, v1
                                        ; implicit-def: $vgpr1_vgpr2
	s_and_saveexec_b32 s1, vcc_lo
	s_xor_b32 s1, exec_lo, s1
; %bb.342:
	v_cmp_lt_i64_e32 vcc_lo, v[5:6], v[3:4]
                                        ; implicit-def: $vgpr10
                                        ; implicit-def: $vgpr11
	v_cndmask_b32_e32 v2, v4, v6, vcc_lo
	v_cndmask_b32_e32 v1, v3, v5, vcc_lo
                                        ; implicit-def: $vgpr5_vgpr6
                                        ; implicit-def: $vgpr3_vgpr4
; %bb.343:
	s_or_saveexec_b32 s1, s1
	v_mov_b32_e32 v9, 1
	s_xor_b32 exec_lo, exec_lo, s1
; %bb.344:
	v_and_b32_e32 v1, 1, v10
	v_and_b32_e32 v9, 0xff, v11
	v_cmp_eq_u32_e32 vcc_lo, 1, v1
	v_cndmask_b32_e32 v2, v6, v4, vcc_lo
	v_cndmask_b32_e32 v1, v5, v3, vcc_lo
	v_cndmask_b32_e64 v9, v9, 1, vcc_lo
; %bb.345:
	s_or_b32 exec_lo, exec_lo, s1
	v_cmp_gt_u32_e32 vcc_lo, 6, v7
	v_cndmask_b32_e64 v3, 0, 2, vcc_lo
	v_add_lshl_u32 v3, v3, v8, 2
	ds_bpermute_b32 v7, v3, v9
	ds_bpermute_b32 v5, v3, v1
	;; [unrolled: 1-line block ×3, first 2 shown]
	s_waitcnt lgkmcnt(2)
	v_and_b32_e32 v3, v9, v7
	v_and_b32_e32 v3, 1, v3
	v_cmp_eq_u32_e32 vcc_lo, 1, v3
                                        ; implicit-def: $vgpr3_vgpr4
	s_and_saveexec_b32 s1, vcc_lo
	s_xor_b32 s1, exec_lo, s1
	s_cbranch_execz .LBB503_347
; %bb.346:
	s_waitcnt lgkmcnt(0)
	v_cmp_lt_i64_e32 vcc_lo, v[5:6], v[1:2]
                                        ; implicit-def: $vgpr9
                                        ; implicit-def: $vgpr7
	v_cndmask_b32_e32 v4, v2, v6, vcc_lo
	v_cndmask_b32_e32 v3, v1, v5, vcc_lo
                                        ; implicit-def: $vgpr5_vgpr6
                                        ; implicit-def: $vgpr1_vgpr2
.LBB503_347:
	s_or_saveexec_b32 s1, s1
	v_lshlrev_b32_e32 v10, 2, v8
	v_mov_b32_e32 v8, 1
	s_xor_b32 exec_lo, exec_lo, s1
	s_cbranch_execz .LBB503_349
; %bb.348:
	v_and_b32_e32 v3, 1, v9
	v_and_b32_e32 v7, 0xff, v7
	v_cmp_eq_u32_e32 vcc_lo, 1, v3
	s_waitcnt lgkmcnt(0)
	v_cndmask_b32_e32 v4, v6, v2, vcc_lo
	v_cndmask_b32_e32 v3, v5, v1, vcc_lo
	v_cndmask_b32_e64 v8, v7, 1, vcc_lo
.LBB503_349:
	s_or_b32 exec_lo, exec_lo, s1
	v_or_b32_e32 v1, 16, v10
	ds_bpermute_b32 v9, v1, v8
	s_waitcnt lgkmcnt(2)
	ds_bpermute_b32 v5, v1, v3
	s_waitcnt lgkmcnt(2)
	;; [unrolled: 2-line block ×3, first 2 shown]
	v_and_b32_e32 v1, v8, v9
	v_and_b32_e32 v1, 1, v1
	v_cmp_eq_u32_e32 vcc_lo, 1, v1
                                        ; implicit-def: $vgpr1_vgpr2
	s_and_saveexec_b32 s1, vcc_lo
	s_xor_b32 s1, exec_lo, s1
	s_cbranch_execz .LBB503_351
; %bb.350:
	s_waitcnt lgkmcnt(0)
	v_cmp_lt_i64_e32 vcc_lo, v[5:6], v[3:4]
                                        ; implicit-def: $vgpr8
                                        ; implicit-def: $vgpr9
	v_cndmask_b32_e32 v2, v4, v6, vcc_lo
	v_cndmask_b32_e32 v1, v3, v5, vcc_lo
                                        ; implicit-def: $vgpr5_vgpr6
                                        ; implicit-def: $vgpr3_vgpr4
.LBB503_351:
	s_or_saveexec_b32 s1, s1
	v_mov_b32_e32 v7, 1
	s_xor_b32 exec_lo, exec_lo, s1
	s_cbranch_execz .LBB503_353
; %bb.352:
	v_and_b32_e32 v1, 1, v8
	v_cmp_eq_u32_e32 vcc_lo, 1, v1
	s_waitcnt lgkmcnt(0)
	v_cndmask_b32_e32 v2, v6, v4, vcc_lo
	v_cndmask_b32_e32 v1, v5, v3, vcc_lo
	v_cndmask_b32_e64 v7, v9, 1, vcc_lo
.LBB503_353:
	s_or_b32 exec_lo, exec_lo, s1
.LBB503_354:
	s_or_b32 exec_lo, exec_lo, s0
	s_branch .LBB503_415
.LBB503_355:
                                        ; implicit-def: $vgpr3_vgpr4
                                        ; implicit-def: $vgpr5
                                        ; implicit-def: $vgpr1_vgpr2
.LBB503_356:
	s_and_saveexec_b32 s0, s22
	s_cbranch_execz .LBB503_358
.LBB503_357:
	s_load_dwordx2 s[0:1], s[4:5], 0x38
	v_lshlrev_b64 v[0:1], 4, v[1:2]
	s_waitcnt lgkmcnt(0)
	v_add_co_u32 v0, vcc_lo, s0, v0
	v_add_co_ci_u32_e64 v1, null, s1, v1, vcc_lo
	global_store_byte v[0:1], v5, off
	global_store_dwordx2 v[0:1], v[3:4], off offset:8
.LBB503_358:
	s_endpgm
.LBB503_359:
                                        ; implicit-def: $vgpr1_vgpr2
                                        ; implicit-def: $vgpr7
	s_cbranch_execz .LBB503_415
; %bb.360:
	v_mov_b32_e32 v1, 0
	v_mov_b32_e32 v2, 0
	;; [unrolled: 1-line block ×3, first 2 shown]
	s_sub_i32 s0, s14, s2
	s_mov_b32 s1, exec_lo
	v_cmpx_gt_u32_e64 s0, v0
	s_cbranch_execz .LBB503_362
; %bb.361:
	s_lshl_b64 s[8:9], s[2:3], 2
	v_lshlrev_b32_e32 v1, 2, v0
	s_add_u32 s10, s18, s8
	s_addc_u32 s11, s19, s9
	s_add_u32 s8, s16, s8
	s_addc_u32 s9, s17, s9
	s_add_u32 s2, s12, s2
	s_waitcnt lgkmcnt(1)
	global_load_dword v3, v1, s[8:9]
	s_waitcnt lgkmcnt(0)
	global_load_dword v4, v1, s[10:11]
	s_addc_u32 s3, s13, 0
	v_add_co_u32 v1, s2, s2, v0
	v_add_co_ci_u32_e64 v2, null, s3, 0, s2
	s_waitcnt vmcnt(0)
	v_cmp_ne_u32_e32 vcc_lo, v3, v4
	v_cndmask_b32_e64 v8, 0, 1, vcc_lo
.LBB503_362:
	s_or_b32 exec_lo, exec_lo, s1
	s_waitcnt lgkmcnt(1)
	v_mbcnt_lo_u32_b32 v5, -1, 0
	v_and_b32_e32 v7, 0xffff, v8
	s_waitcnt lgkmcnt(0)
	v_and_b32_e32 v6, 0xe0, v0
	s_min_u32 s0, s0, 0x100
	s_mov_b32 s1, exec_lo
	v_cmp_ne_u32_e32 vcc_lo, 31, v5
	v_add_nc_u32_e32 v10, 1, v5
	v_sub_nc_u32_e64 v6, s0, v6 clamp
	v_add_co_ci_u32_e64 v3, null, 0, v5, vcc_lo
	v_lshlrev_b32_e32 v4, 2, v3
	ds_bpermute_b32 v9, v4, v7
	ds_bpermute_b32 v3, v4, v1
	;; [unrolled: 1-line block ×3, first 2 shown]
	v_cmpx_lt_u32_e64 v10, v6
	s_cbranch_execz .LBB503_368
; %bb.363:
	s_waitcnt lgkmcnt(2)
	v_and_b32_e32 v7, v9, v7
	s_mov_b32 s2, exec_lo
	v_and_b32_e32 v7, 1, v7
	v_cmpx_eq_u32_e32 1, v7
	s_xor_b32 s2, exec_lo, s2
	s_cbranch_execz .LBB503_365
; %bb.364:
	s_waitcnt lgkmcnt(0)
	v_cmp_lt_i64_e32 vcc_lo, v[3:4], v[1:2]
                                        ; implicit-def: $vgpr8
                                        ; implicit-def: $vgpr9
	v_cndmask_b32_e32 v2, v2, v4, vcc_lo
	v_cndmask_b32_e32 v1, v1, v3, vcc_lo
                                        ; implicit-def: $vgpr3_vgpr4
.LBB503_365:
	s_or_saveexec_b32 s2, s2
	v_mov_b32_e32 v7, 1
	s_xor_b32 exec_lo, exec_lo, s2
	s_cbranch_execz .LBB503_367
; %bb.366:
	v_and_b32_e32 v7, 1, v8
	v_cmp_eq_u32_e32 vcc_lo, 1, v7
	v_and_b32_e32 v7, 0xff, v9
	s_waitcnt lgkmcnt(0)
	v_cndmask_b32_e32 v2, v4, v2, vcc_lo
	v_cndmask_b32_e32 v1, v3, v1, vcc_lo
	v_cndmask_b32_e64 v7, v7, 1, vcc_lo
.LBB503_367:
	s_or_b32 exec_lo, exec_lo, s2
.LBB503_368:
	s_or_b32 exec_lo, exec_lo, s1
	v_cmp_gt_u32_e32 vcc_lo, 30, v5
	s_waitcnt lgkmcnt(2)
	v_add_nc_u32_e32 v9, 2, v5
	s_mov_b32 s1, exec_lo
	s_waitcnt lgkmcnt(1)
	v_cndmask_b32_e64 v3, 0, 2, vcc_lo
	s_waitcnt lgkmcnt(0)
	v_add_lshl_u32 v4, v3, v5, 2
	ds_bpermute_b32 v8, v4, v7
	ds_bpermute_b32 v3, v4, v1
	;; [unrolled: 1-line block ×3, first 2 shown]
	v_cmpx_lt_u32_e64 v9, v6
	s_cbranch_execz .LBB503_374
; %bb.369:
	s_waitcnt lgkmcnt(2)
	v_and_b32_e32 v9, v7, v8
	s_mov_b32 s2, exec_lo
	v_and_b32_e32 v9, 1, v9
	v_cmpx_eq_u32_e32 1, v9
	s_xor_b32 s2, exec_lo, s2
	s_cbranch_execz .LBB503_371
; %bb.370:
	s_waitcnt lgkmcnt(0)
	v_cmp_lt_i64_e32 vcc_lo, v[3:4], v[1:2]
                                        ; implicit-def: $vgpr7
                                        ; implicit-def: $vgpr8
	v_cndmask_b32_e32 v2, v2, v4, vcc_lo
	v_cndmask_b32_e32 v1, v1, v3, vcc_lo
                                        ; implicit-def: $vgpr3_vgpr4
.LBB503_371:
	s_or_saveexec_b32 s2, s2
	v_mov_b32_e32 v9, 1
	s_xor_b32 exec_lo, exec_lo, s2
	s_cbranch_execz .LBB503_373
; %bb.372:
	v_and_b32_e32 v7, 1, v7
	v_cmp_eq_u32_e32 vcc_lo, 1, v7
	v_and_b32_e32 v7, 0xff, v8
	s_waitcnt lgkmcnt(0)
	v_cndmask_b32_e32 v2, v4, v2, vcc_lo
	v_cndmask_b32_e32 v1, v3, v1, vcc_lo
	v_cndmask_b32_e64 v9, v7, 1, vcc_lo
.LBB503_373:
	s_or_b32 exec_lo, exec_lo, s2
	v_mov_b32_e32 v7, v9
.LBB503_374:
	s_or_b32 exec_lo, exec_lo, s1
	v_cmp_gt_u32_e32 vcc_lo, 28, v5
	v_add_nc_u32_e32 v9, 4, v5
	s_mov_b32 s1, exec_lo
	s_waitcnt lgkmcnt(1)
	v_cndmask_b32_e64 v3, 0, 4, vcc_lo
	s_waitcnt lgkmcnt(0)
	v_add_lshl_u32 v4, v3, v5, 2
	ds_bpermute_b32 v8, v4, v7
	ds_bpermute_b32 v3, v4, v1
	;; [unrolled: 1-line block ×3, first 2 shown]
	v_cmpx_lt_u32_e64 v9, v6
	s_cbranch_execz .LBB503_380
; %bb.375:
	s_waitcnt lgkmcnt(2)
	v_and_b32_e32 v9, v7, v8
	s_mov_b32 s2, exec_lo
	v_and_b32_e32 v9, 1, v9
	v_cmpx_eq_u32_e32 1, v9
	s_xor_b32 s2, exec_lo, s2
	s_cbranch_execz .LBB503_377
; %bb.376:
	s_waitcnt lgkmcnt(0)
	v_cmp_lt_i64_e32 vcc_lo, v[3:4], v[1:2]
                                        ; implicit-def: $vgpr7
                                        ; implicit-def: $vgpr8
	v_cndmask_b32_e32 v2, v2, v4, vcc_lo
	v_cndmask_b32_e32 v1, v1, v3, vcc_lo
                                        ; implicit-def: $vgpr3_vgpr4
.LBB503_377:
	s_or_saveexec_b32 s2, s2
	v_mov_b32_e32 v9, 1
	s_xor_b32 exec_lo, exec_lo, s2
	s_cbranch_execz .LBB503_379
; %bb.378:
	v_and_b32_e32 v7, 1, v7
	v_cmp_eq_u32_e32 vcc_lo, 1, v7
	v_and_b32_e32 v7, 0xff, v8
	s_waitcnt lgkmcnt(0)
	v_cndmask_b32_e32 v2, v4, v2, vcc_lo
	v_cndmask_b32_e32 v1, v3, v1, vcc_lo
	v_cndmask_b32_e64 v9, v7, 1, vcc_lo
.LBB503_379:
	s_or_b32 exec_lo, exec_lo, s2
	v_mov_b32_e32 v7, v9
.LBB503_380:
	s_or_b32 exec_lo, exec_lo, s1
	v_cmp_gt_u32_e32 vcc_lo, 24, v5
	v_add_nc_u32_e32 v9, 8, v5
	s_mov_b32 s1, exec_lo
	s_waitcnt lgkmcnt(1)
	v_cndmask_b32_e64 v3, 0, 8, vcc_lo
	s_waitcnt lgkmcnt(0)
	v_add_lshl_u32 v4, v3, v5, 2
	ds_bpermute_b32 v8, v4, v7
	ds_bpermute_b32 v3, v4, v1
	;; [unrolled: 1-line block ×3, first 2 shown]
	v_cmpx_lt_u32_e64 v9, v6
	s_cbranch_execz .LBB503_386
; %bb.381:
	s_waitcnt lgkmcnt(2)
	v_and_b32_e32 v9, v7, v8
	s_mov_b32 s2, exec_lo
	v_and_b32_e32 v9, 1, v9
	v_cmpx_eq_u32_e32 1, v9
	s_xor_b32 s2, exec_lo, s2
	s_cbranch_execz .LBB503_383
; %bb.382:
	s_waitcnt lgkmcnt(0)
	v_cmp_lt_i64_e32 vcc_lo, v[3:4], v[1:2]
                                        ; implicit-def: $vgpr7
                                        ; implicit-def: $vgpr8
	v_cndmask_b32_e32 v2, v2, v4, vcc_lo
	v_cndmask_b32_e32 v1, v1, v3, vcc_lo
                                        ; implicit-def: $vgpr3_vgpr4
.LBB503_383:
	s_or_saveexec_b32 s2, s2
	v_mov_b32_e32 v9, 1
	s_xor_b32 exec_lo, exec_lo, s2
	s_cbranch_execz .LBB503_385
; %bb.384:
	v_and_b32_e32 v7, 1, v7
	v_cmp_eq_u32_e32 vcc_lo, 1, v7
	v_and_b32_e32 v7, 0xff, v8
	s_waitcnt lgkmcnt(0)
	v_cndmask_b32_e32 v2, v4, v2, vcc_lo
	v_cndmask_b32_e32 v1, v3, v1, vcc_lo
	v_cndmask_b32_e64 v9, v7, 1, vcc_lo
.LBB503_385:
	s_or_b32 exec_lo, exec_lo, s2
	v_mov_b32_e32 v7, v9
.LBB503_386:
	s_or_b32 exec_lo, exec_lo, s1
	s_waitcnt lgkmcnt(2)
	v_lshlrev_b32_e32 v8, 2, v5
	v_add_nc_u32_e32 v10, 16, v5
	s_waitcnt lgkmcnt(0)
	v_or_b32_e32 v4, 64, v8
	v_cmp_lt_u32_e32 vcc_lo, v10, v6
	v_mov_b32_e32 v6, v7
	ds_bpermute_b32 v9, v4, v7
	ds_bpermute_b32 v3, v4, v1
	;; [unrolled: 1-line block ×3, first 2 shown]
	s_and_saveexec_b32 s1, vcc_lo
	s_cbranch_execz .LBB503_392
; %bb.387:
	s_waitcnt lgkmcnt(2)
	v_and_b32_e32 v6, v7, v9
	s_mov_b32 s2, exec_lo
	v_and_b32_e32 v6, 1, v6
	v_cmpx_eq_u32_e32 1, v6
	s_xor_b32 s2, exec_lo, s2
	s_cbranch_execz .LBB503_389
; %bb.388:
	s_waitcnt lgkmcnt(0)
	v_cmp_lt_i64_e32 vcc_lo, v[3:4], v[1:2]
                                        ; implicit-def: $vgpr7
                                        ; implicit-def: $vgpr9
	v_cndmask_b32_e32 v2, v2, v4, vcc_lo
	v_cndmask_b32_e32 v1, v1, v3, vcc_lo
                                        ; implicit-def: $vgpr3_vgpr4
.LBB503_389:
	s_or_saveexec_b32 s2, s2
	v_mov_b32_e32 v6, 1
	s_xor_b32 exec_lo, exec_lo, s2
	s_cbranch_execz .LBB503_391
; %bb.390:
	v_and_b32_e32 v6, 1, v7
	v_cmp_eq_u32_e32 vcc_lo, 1, v6
	v_cndmask_b32_e64 v6, v9, 1, vcc_lo
	s_waitcnt lgkmcnt(0)
	v_cndmask_b32_e32 v2, v4, v2, vcc_lo
	v_cndmask_b32_e32 v1, v3, v1, vcc_lo
.LBB503_391:
	s_or_b32 exec_lo, exec_lo, s2
	v_and_b32_e32 v7, 0xff, v6
.LBB503_392:
	s_or_b32 exec_lo, exec_lo, s1
	s_mov_b32 s1, exec_lo
	v_cmpx_eq_u32_e32 0, v5
	s_cbranch_execz .LBB503_394
; %bb.393:
	s_waitcnt lgkmcnt(1)
	v_lshrrev_b32_e32 v3, 1, v0
	v_and_b32_e32 v3, 0x70, v3
	ds_write_b8 v3, v6 offset:512
	ds_write_b64 v3, v[1:2] offset:520
.LBB503_394:
	s_or_b32 exec_lo, exec_lo, s1
	s_mov_b32 s1, exec_lo
	s_waitcnt lgkmcnt(0)
	s_barrier
	buffer_gl0_inv
	v_cmpx_gt_u32_e32 8, v0
	s_cbranch_execz .LBB503_414
; %bb.395:
	v_lshlrev_b32_e32 v1, 4, v5
	v_and_b32_e32 v6, 7, v5
	s_add_i32 s0, s0, 31
	s_mov_b32 s2, exec_lo
	s_lshr_b32 s0, s0, 5
	ds_read_u8 v9, v1 offset:512
	ds_read_b64 v[1:2], v1 offset:520
	v_cmp_ne_u32_e32 vcc_lo, 7, v6
	v_add_nc_u32_e32 v11, 1, v6
	v_add_co_ci_u32_e64 v3, null, 0, v5, vcc_lo
	v_lshlrev_b32_e32 v4, 2, v3
	s_waitcnt lgkmcnt(1)
	v_and_b32_e32 v7, 0xff, v9
	s_waitcnt lgkmcnt(0)
	ds_bpermute_b32 v3, v4, v1
	ds_bpermute_b32 v10, v4, v7
	ds_bpermute_b32 v4, v4, v2
	v_cmpx_gt_u32_e64 s0, v11
	s_cbranch_execz .LBB503_401
; %bb.396:
	s_waitcnt lgkmcnt(1)
	v_and_b32_e32 v7, v7, v10
	s_mov_b32 s3, exec_lo
	v_and_b32_e32 v7, 1, v7
	v_cmpx_eq_u32_e32 1, v7
	s_xor_b32 s3, exec_lo, s3
	s_cbranch_execz .LBB503_398
; %bb.397:
	s_waitcnt lgkmcnt(0)
	v_cmp_lt_i64_e32 vcc_lo, v[3:4], v[1:2]
                                        ; implicit-def: $vgpr9
                                        ; implicit-def: $vgpr10
	v_cndmask_b32_e32 v2, v2, v4, vcc_lo
	v_cndmask_b32_e32 v1, v1, v3, vcc_lo
                                        ; implicit-def: $vgpr3_vgpr4
.LBB503_398:
	s_or_saveexec_b32 s3, s3
	v_mov_b32_e32 v7, 1
	s_xor_b32 exec_lo, exec_lo, s3
	s_cbranch_execz .LBB503_400
; %bb.399:
	v_and_b32_e32 v7, 1, v9
	v_cmp_eq_u32_e32 vcc_lo, 1, v7
	v_and_b32_e32 v7, 0xff, v10
	s_waitcnt lgkmcnt(0)
	v_cndmask_b32_e32 v2, v4, v2, vcc_lo
	v_cndmask_b32_e32 v1, v3, v1, vcc_lo
	v_cndmask_b32_e64 v7, v7, 1, vcc_lo
.LBB503_400:
	s_or_b32 exec_lo, exec_lo, s3
.LBB503_401:
	s_or_b32 exec_lo, exec_lo, s2
	v_cmp_gt_u32_e32 vcc_lo, 6, v6
	v_add_nc_u32_e32 v9, 2, v6
	s_mov_b32 s2, exec_lo
	s_waitcnt lgkmcnt(2)
	v_cndmask_b32_e64 v3, 0, 2, vcc_lo
	s_waitcnt lgkmcnt(0)
	v_add_lshl_u32 v4, v3, v5, 2
	ds_bpermute_b32 v5, v4, v7
	ds_bpermute_b32 v3, v4, v1
	;; [unrolled: 1-line block ×3, first 2 shown]
	v_cmpx_gt_u32_e64 s0, v9
	s_cbranch_execz .LBB503_407
; %bb.402:
	s_waitcnt lgkmcnt(2)
	v_and_b32_e32 v9, v7, v5
	s_mov_b32 s3, exec_lo
	v_and_b32_e32 v9, 1, v9
	v_cmpx_eq_u32_e32 1, v9
	s_xor_b32 s3, exec_lo, s3
	s_cbranch_execz .LBB503_404
; %bb.403:
	s_waitcnt lgkmcnt(0)
	v_cmp_lt_i64_e32 vcc_lo, v[3:4], v[1:2]
                                        ; implicit-def: $vgpr7
                                        ; implicit-def: $vgpr5
	v_cndmask_b32_e32 v2, v2, v4, vcc_lo
	v_cndmask_b32_e32 v1, v1, v3, vcc_lo
                                        ; implicit-def: $vgpr3_vgpr4
.LBB503_404:
	s_or_saveexec_b32 s3, s3
	v_mov_b32_e32 v9, 1
	s_xor_b32 exec_lo, exec_lo, s3
	s_cbranch_execz .LBB503_406
; %bb.405:
	v_and_b32_e32 v7, 1, v7
	v_and_b32_e32 v5, 0xff, v5
	v_cmp_eq_u32_e32 vcc_lo, 1, v7
	s_waitcnt lgkmcnt(0)
	v_cndmask_b32_e32 v2, v4, v2, vcc_lo
	v_cndmask_b32_e32 v1, v3, v1, vcc_lo
	v_cndmask_b32_e64 v9, v5, 1, vcc_lo
.LBB503_406:
	s_or_b32 exec_lo, exec_lo, s3
	v_mov_b32_e32 v7, v9
.LBB503_407:
	s_or_b32 exec_lo, exec_lo, s2
	s_waitcnt lgkmcnt(0)
	v_or_b32_e32 v4, 16, v8
	v_add_nc_u32_e32 v6, 4, v6
	ds_bpermute_b32 v5, v4, v7
	ds_bpermute_b32 v3, v4, v1
	;; [unrolled: 1-line block ×3, first 2 shown]
	v_cmp_gt_u32_e32 vcc_lo, s0, v6
	s_and_saveexec_b32 s0, vcc_lo
	s_cbranch_execz .LBB503_413
; %bb.408:
	s_waitcnt lgkmcnt(2)
	v_and_b32_e32 v6, v7, v5
	s_mov_b32 s2, exec_lo
	v_and_b32_e32 v6, 1, v6
	v_cmpx_eq_u32_e32 1, v6
	s_xor_b32 s2, exec_lo, s2
	s_cbranch_execz .LBB503_410
; %bb.409:
	s_waitcnt lgkmcnt(0)
	v_cmp_lt_i64_e32 vcc_lo, v[3:4], v[1:2]
                                        ; implicit-def: $vgpr7
                                        ; implicit-def: $vgpr5
	v_cndmask_b32_e32 v2, v2, v4, vcc_lo
	v_cndmask_b32_e32 v1, v1, v3, vcc_lo
                                        ; implicit-def: $vgpr3_vgpr4
.LBB503_410:
	s_or_saveexec_b32 s2, s2
	v_mov_b32_e32 v6, 1
	s_xor_b32 exec_lo, exec_lo, s2
	s_cbranch_execz .LBB503_412
; %bb.411:
	v_and_b32_e32 v6, 1, v7
	v_cmp_eq_u32_e32 vcc_lo, 1, v6
	s_waitcnt lgkmcnt(0)
	v_cndmask_b32_e32 v2, v4, v2, vcc_lo
	v_cndmask_b32_e32 v1, v3, v1, vcc_lo
	v_cndmask_b32_e64 v6, v5, 1, vcc_lo
.LBB503_412:
	s_or_b32 exec_lo, exec_lo, s2
	v_mov_b32_e32 v7, v6
.LBB503_413:
	s_or_b32 exec_lo, exec_lo, s0
.LBB503_414:
	s_or_b32 exec_lo, exec_lo, s1
.LBB503_415:
	s_mov_b32 s2, exec_lo
                                        ; implicit-def: $vgpr3_vgpr4
                                        ; implicit-def: $vgpr5
	v_cmpx_eq_u32_e32 0, v0
	s_cbranch_execz .LBB503_419
; %bb.416:
	s_waitcnt lgkmcnt(0)
	v_mov_b32_e32 v3, s20
	v_mov_b32_e32 v4, s21
	;; [unrolled: 1-line block ×3, first 2 shown]
	s_cmp_eq_u64 s[14:15], 0
	s_cbranch_scc1 .LBB503_418
; %bb.417:
	v_and_b32_e32 v0, 1, v7
	v_cmp_gt_i64_e32 vcc_lo, s[20:21], v[1:2]
	s_bitcmp1_b32 s24, 0
	s_cselect_b32 s1, -1, 0
	v_cmp_eq_u32_e64 s0, 1, v0
	v_cndmask_b32_e64 v5, v7, 1, s1
	s_and_b32 vcc_lo, s0, vcc_lo
	v_cndmask_b32_e32 v0, s20, v1, vcc_lo
	v_cndmask_b32_e32 v3, s21, v2, vcc_lo
	v_cndmask_b32_e64 v4, v2, v3, s1
	v_cndmask_b32_e64 v3, v1, v0, s1
.LBB503_418:
	s_or_b32 s22, s22, exec_lo
.LBB503_419:
	s_or_b32 exec_lo, exec_lo, s2
	v_mov_b32_e32 v1, s6
	v_mov_b32_e32 v2, s7
	s_and_saveexec_b32 s0, s22
	s_cbranch_execnz .LBB503_357
	s_branch .LBB503_358
	.section	.rodata,"a",@progbits
	.p2align	6, 0x0
	.amdhsa_kernel _ZN7rocprim17ROCPRIM_400000_NS6detail17trampoline_kernelINS0_14default_configENS1_22reduce_config_selectorIN6thrust23THRUST_200600_302600_NS5tupleIblNS6_9null_typeES8_S8_S8_S8_S8_S8_S8_EEEEZNS1_11reduce_implILb1ES3_NS6_12zip_iteratorINS7_INS6_11hip_rocprim26transform_input_iterator_tIbNSD_35transform_pair_of_input_iterators_tIbNS6_6detail15normal_iteratorINS6_10device_ptrIKiEEEESL_NS6_8equal_toIiEEEENSG_9not_fun_tINSD_8identityEEEEENSD_19counting_iterator_tIlEES8_S8_S8_S8_S8_S8_S8_S8_EEEEPS9_S9_NSD_9__find_if7functorIS9_EEEE10hipError_tPvRmT1_T2_T3_mT4_P12ihipStream_tbEUlT_E1_NS1_11comp_targetILNS1_3genE8ELNS1_11target_archE1030ELNS1_3gpuE2ELNS1_3repE0EEENS1_30default_config_static_selectorELNS0_4arch9wavefront6targetE0EEEvS14_
		.amdhsa_group_segment_fixed_size 640
		.amdhsa_private_segment_fixed_size 0
		.amdhsa_kernarg_size 88
		.amdhsa_user_sgpr_count 6
		.amdhsa_user_sgpr_private_segment_buffer 1
		.amdhsa_user_sgpr_dispatch_ptr 0
		.amdhsa_user_sgpr_queue_ptr 0
		.amdhsa_user_sgpr_kernarg_segment_ptr 1
		.amdhsa_user_sgpr_dispatch_id 0
		.amdhsa_user_sgpr_flat_scratch_init 0
		.amdhsa_user_sgpr_private_segment_size 0
		.amdhsa_wavefront_size32 1
		.amdhsa_uses_dynamic_stack 0
		.amdhsa_system_sgpr_private_segment_wavefront_offset 0
		.amdhsa_system_sgpr_workgroup_id_x 1
		.amdhsa_system_sgpr_workgroup_id_y 0
		.amdhsa_system_sgpr_workgroup_id_z 0
		.amdhsa_system_sgpr_workgroup_info 0
		.amdhsa_system_vgpr_workitem_id 0
		.amdhsa_next_free_vgpr 27
		.amdhsa_next_free_sgpr 32
		.amdhsa_reserve_vcc 1
		.amdhsa_reserve_flat_scratch 0
		.amdhsa_float_round_mode_32 0
		.amdhsa_float_round_mode_16_64 0
		.amdhsa_float_denorm_mode_32 3
		.amdhsa_float_denorm_mode_16_64 3
		.amdhsa_dx10_clamp 1
		.amdhsa_ieee_mode 1
		.amdhsa_fp16_overflow 0
		.amdhsa_workgroup_processor_mode 1
		.amdhsa_memory_ordered 1
		.amdhsa_forward_progress 1
		.amdhsa_shared_vgpr_count 0
		.amdhsa_exception_fp_ieee_invalid_op 0
		.amdhsa_exception_fp_denorm_src 0
		.amdhsa_exception_fp_ieee_div_zero 0
		.amdhsa_exception_fp_ieee_overflow 0
		.amdhsa_exception_fp_ieee_underflow 0
		.amdhsa_exception_fp_ieee_inexact 0
		.amdhsa_exception_int_div_zero 0
	.end_amdhsa_kernel
	.section	.text._ZN7rocprim17ROCPRIM_400000_NS6detail17trampoline_kernelINS0_14default_configENS1_22reduce_config_selectorIN6thrust23THRUST_200600_302600_NS5tupleIblNS6_9null_typeES8_S8_S8_S8_S8_S8_S8_EEEEZNS1_11reduce_implILb1ES3_NS6_12zip_iteratorINS7_INS6_11hip_rocprim26transform_input_iterator_tIbNSD_35transform_pair_of_input_iterators_tIbNS6_6detail15normal_iteratorINS6_10device_ptrIKiEEEESL_NS6_8equal_toIiEEEENSG_9not_fun_tINSD_8identityEEEEENSD_19counting_iterator_tIlEES8_S8_S8_S8_S8_S8_S8_S8_EEEEPS9_S9_NSD_9__find_if7functorIS9_EEEE10hipError_tPvRmT1_T2_T3_mT4_P12ihipStream_tbEUlT_E1_NS1_11comp_targetILNS1_3genE8ELNS1_11target_archE1030ELNS1_3gpuE2ELNS1_3repE0EEENS1_30default_config_static_selectorELNS0_4arch9wavefront6targetE0EEEvS14_,"axG",@progbits,_ZN7rocprim17ROCPRIM_400000_NS6detail17trampoline_kernelINS0_14default_configENS1_22reduce_config_selectorIN6thrust23THRUST_200600_302600_NS5tupleIblNS6_9null_typeES8_S8_S8_S8_S8_S8_S8_EEEEZNS1_11reduce_implILb1ES3_NS6_12zip_iteratorINS7_INS6_11hip_rocprim26transform_input_iterator_tIbNSD_35transform_pair_of_input_iterators_tIbNS6_6detail15normal_iteratorINS6_10device_ptrIKiEEEESL_NS6_8equal_toIiEEEENSG_9not_fun_tINSD_8identityEEEEENSD_19counting_iterator_tIlEES8_S8_S8_S8_S8_S8_S8_S8_EEEEPS9_S9_NSD_9__find_if7functorIS9_EEEE10hipError_tPvRmT1_T2_T3_mT4_P12ihipStream_tbEUlT_E1_NS1_11comp_targetILNS1_3genE8ELNS1_11target_archE1030ELNS1_3gpuE2ELNS1_3repE0EEENS1_30default_config_static_selectorELNS0_4arch9wavefront6targetE0EEEvS14_,comdat
.Lfunc_end503:
	.size	_ZN7rocprim17ROCPRIM_400000_NS6detail17trampoline_kernelINS0_14default_configENS1_22reduce_config_selectorIN6thrust23THRUST_200600_302600_NS5tupleIblNS6_9null_typeES8_S8_S8_S8_S8_S8_S8_EEEEZNS1_11reduce_implILb1ES3_NS6_12zip_iteratorINS7_INS6_11hip_rocprim26transform_input_iterator_tIbNSD_35transform_pair_of_input_iterators_tIbNS6_6detail15normal_iteratorINS6_10device_ptrIKiEEEESL_NS6_8equal_toIiEEEENSG_9not_fun_tINSD_8identityEEEEENSD_19counting_iterator_tIlEES8_S8_S8_S8_S8_S8_S8_S8_EEEEPS9_S9_NSD_9__find_if7functorIS9_EEEE10hipError_tPvRmT1_T2_T3_mT4_P12ihipStream_tbEUlT_E1_NS1_11comp_targetILNS1_3genE8ELNS1_11target_archE1030ELNS1_3gpuE2ELNS1_3repE0EEENS1_30default_config_static_selectorELNS0_4arch9wavefront6targetE0EEEvS14_, .Lfunc_end503-_ZN7rocprim17ROCPRIM_400000_NS6detail17trampoline_kernelINS0_14default_configENS1_22reduce_config_selectorIN6thrust23THRUST_200600_302600_NS5tupleIblNS6_9null_typeES8_S8_S8_S8_S8_S8_S8_EEEEZNS1_11reduce_implILb1ES3_NS6_12zip_iteratorINS7_INS6_11hip_rocprim26transform_input_iterator_tIbNSD_35transform_pair_of_input_iterators_tIbNS6_6detail15normal_iteratorINS6_10device_ptrIKiEEEESL_NS6_8equal_toIiEEEENSG_9not_fun_tINSD_8identityEEEEENSD_19counting_iterator_tIlEES8_S8_S8_S8_S8_S8_S8_S8_EEEEPS9_S9_NSD_9__find_if7functorIS9_EEEE10hipError_tPvRmT1_T2_T3_mT4_P12ihipStream_tbEUlT_E1_NS1_11comp_targetILNS1_3genE8ELNS1_11target_archE1030ELNS1_3gpuE2ELNS1_3repE0EEENS1_30default_config_static_selectorELNS0_4arch9wavefront6targetE0EEEvS14_
                                        ; -- End function
	.set _ZN7rocprim17ROCPRIM_400000_NS6detail17trampoline_kernelINS0_14default_configENS1_22reduce_config_selectorIN6thrust23THRUST_200600_302600_NS5tupleIblNS6_9null_typeES8_S8_S8_S8_S8_S8_S8_EEEEZNS1_11reduce_implILb1ES3_NS6_12zip_iteratorINS7_INS6_11hip_rocprim26transform_input_iterator_tIbNSD_35transform_pair_of_input_iterators_tIbNS6_6detail15normal_iteratorINS6_10device_ptrIKiEEEESL_NS6_8equal_toIiEEEENSG_9not_fun_tINSD_8identityEEEEENSD_19counting_iterator_tIlEES8_S8_S8_S8_S8_S8_S8_S8_EEEEPS9_S9_NSD_9__find_if7functorIS9_EEEE10hipError_tPvRmT1_T2_T3_mT4_P12ihipStream_tbEUlT_E1_NS1_11comp_targetILNS1_3genE8ELNS1_11target_archE1030ELNS1_3gpuE2ELNS1_3repE0EEENS1_30default_config_static_selectorELNS0_4arch9wavefront6targetE0EEEvS14_.num_vgpr, 27
	.set _ZN7rocprim17ROCPRIM_400000_NS6detail17trampoline_kernelINS0_14default_configENS1_22reduce_config_selectorIN6thrust23THRUST_200600_302600_NS5tupleIblNS6_9null_typeES8_S8_S8_S8_S8_S8_S8_EEEEZNS1_11reduce_implILb1ES3_NS6_12zip_iteratorINS7_INS6_11hip_rocprim26transform_input_iterator_tIbNSD_35transform_pair_of_input_iterators_tIbNS6_6detail15normal_iteratorINS6_10device_ptrIKiEEEESL_NS6_8equal_toIiEEEENSG_9not_fun_tINSD_8identityEEEEENSD_19counting_iterator_tIlEES8_S8_S8_S8_S8_S8_S8_S8_EEEEPS9_S9_NSD_9__find_if7functorIS9_EEEE10hipError_tPvRmT1_T2_T3_mT4_P12ihipStream_tbEUlT_E1_NS1_11comp_targetILNS1_3genE8ELNS1_11target_archE1030ELNS1_3gpuE2ELNS1_3repE0EEENS1_30default_config_static_selectorELNS0_4arch9wavefront6targetE0EEEvS14_.num_agpr, 0
	.set _ZN7rocprim17ROCPRIM_400000_NS6detail17trampoline_kernelINS0_14default_configENS1_22reduce_config_selectorIN6thrust23THRUST_200600_302600_NS5tupleIblNS6_9null_typeES8_S8_S8_S8_S8_S8_S8_EEEEZNS1_11reduce_implILb1ES3_NS6_12zip_iteratorINS7_INS6_11hip_rocprim26transform_input_iterator_tIbNSD_35transform_pair_of_input_iterators_tIbNS6_6detail15normal_iteratorINS6_10device_ptrIKiEEEESL_NS6_8equal_toIiEEEENSG_9not_fun_tINSD_8identityEEEEENSD_19counting_iterator_tIlEES8_S8_S8_S8_S8_S8_S8_S8_EEEEPS9_S9_NSD_9__find_if7functorIS9_EEEE10hipError_tPvRmT1_T2_T3_mT4_P12ihipStream_tbEUlT_E1_NS1_11comp_targetILNS1_3genE8ELNS1_11target_archE1030ELNS1_3gpuE2ELNS1_3repE0EEENS1_30default_config_static_selectorELNS0_4arch9wavefront6targetE0EEEvS14_.numbered_sgpr, 32
	.set _ZN7rocprim17ROCPRIM_400000_NS6detail17trampoline_kernelINS0_14default_configENS1_22reduce_config_selectorIN6thrust23THRUST_200600_302600_NS5tupleIblNS6_9null_typeES8_S8_S8_S8_S8_S8_S8_EEEEZNS1_11reduce_implILb1ES3_NS6_12zip_iteratorINS7_INS6_11hip_rocprim26transform_input_iterator_tIbNSD_35transform_pair_of_input_iterators_tIbNS6_6detail15normal_iteratorINS6_10device_ptrIKiEEEESL_NS6_8equal_toIiEEEENSG_9not_fun_tINSD_8identityEEEEENSD_19counting_iterator_tIlEES8_S8_S8_S8_S8_S8_S8_S8_EEEEPS9_S9_NSD_9__find_if7functorIS9_EEEE10hipError_tPvRmT1_T2_T3_mT4_P12ihipStream_tbEUlT_E1_NS1_11comp_targetILNS1_3genE8ELNS1_11target_archE1030ELNS1_3gpuE2ELNS1_3repE0EEENS1_30default_config_static_selectorELNS0_4arch9wavefront6targetE0EEEvS14_.num_named_barrier, 0
	.set _ZN7rocprim17ROCPRIM_400000_NS6detail17trampoline_kernelINS0_14default_configENS1_22reduce_config_selectorIN6thrust23THRUST_200600_302600_NS5tupleIblNS6_9null_typeES8_S8_S8_S8_S8_S8_S8_EEEEZNS1_11reduce_implILb1ES3_NS6_12zip_iteratorINS7_INS6_11hip_rocprim26transform_input_iterator_tIbNSD_35transform_pair_of_input_iterators_tIbNS6_6detail15normal_iteratorINS6_10device_ptrIKiEEEESL_NS6_8equal_toIiEEEENSG_9not_fun_tINSD_8identityEEEEENSD_19counting_iterator_tIlEES8_S8_S8_S8_S8_S8_S8_S8_EEEEPS9_S9_NSD_9__find_if7functorIS9_EEEE10hipError_tPvRmT1_T2_T3_mT4_P12ihipStream_tbEUlT_E1_NS1_11comp_targetILNS1_3genE8ELNS1_11target_archE1030ELNS1_3gpuE2ELNS1_3repE0EEENS1_30default_config_static_selectorELNS0_4arch9wavefront6targetE0EEEvS14_.private_seg_size, 0
	.set _ZN7rocprim17ROCPRIM_400000_NS6detail17trampoline_kernelINS0_14default_configENS1_22reduce_config_selectorIN6thrust23THRUST_200600_302600_NS5tupleIblNS6_9null_typeES8_S8_S8_S8_S8_S8_S8_EEEEZNS1_11reduce_implILb1ES3_NS6_12zip_iteratorINS7_INS6_11hip_rocprim26transform_input_iterator_tIbNSD_35transform_pair_of_input_iterators_tIbNS6_6detail15normal_iteratorINS6_10device_ptrIKiEEEESL_NS6_8equal_toIiEEEENSG_9not_fun_tINSD_8identityEEEEENSD_19counting_iterator_tIlEES8_S8_S8_S8_S8_S8_S8_S8_EEEEPS9_S9_NSD_9__find_if7functorIS9_EEEE10hipError_tPvRmT1_T2_T3_mT4_P12ihipStream_tbEUlT_E1_NS1_11comp_targetILNS1_3genE8ELNS1_11target_archE1030ELNS1_3gpuE2ELNS1_3repE0EEENS1_30default_config_static_selectorELNS0_4arch9wavefront6targetE0EEEvS14_.uses_vcc, 1
	.set _ZN7rocprim17ROCPRIM_400000_NS6detail17trampoline_kernelINS0_14default_configENS1_22reduce_config_selectorIN6thrust23THRUST_200600_302600_NS5tupleIblNS6_9null_typeES8_S8_S8_S8_S8_S8_S8_EEEEZNS1_11reduce_implILb1ES3_NS6_12zip_iteratorINS7_INS6_11hip_rocprim26transform_input_iterator_tIbNSD_35transform_pair_of_input_iterators_tIbNS6_6detail15normal_iteratorINS6_10device_ptrIKiEEEESL_NS6_8equal_toIiEEEENSG_9not_fun_tINSD_8identityEEEEENSD_19counting_iterator_tIlEES8_S8_S8_S8_S8_S8_S8_S8_EEEEPS9_S9_NSD_9__find_if7functorIS9_EEEE10hipError_tPvRmT1_T2_T3_mT4_P12ihipStream_tbEUlT_E1_NS1_11comp_targetILNS1_3genE8ELNS1_11target_archE1030ELNS1_3gpuE2ELNS1_3repE0EEENS1_30default_config_static_selectorELNS0_4arch9wavefront6targetE0EEEvS14_.uses_flat_scratch, 0
	.set _ZN7rocprim17ROCPRIM_400000_NS6detail17trampoline_kernelINS0_14default_configENS1_22reduce_config_selectorIN6thrust23THRUST_200600_302600_NS5tupleIblNS6_9null_typeES8_S8_S8_S8_S8_S8_S8_EEEEZNS1_11reduce_implILb1ES3_NS6_12zip_iteratorINS7_INS6_11hip_rocprim26transform_input_iterator_tIbNSD_35transform_pair_of_input_iterators_tIbNS6_6detail15normal_iteratorINS6_10device_ptrIKiEEEESL_NS6_8equal_toIiEEEENSG_9not_fun_tINSD_8identityEEEEENSD_19counting_iterator_tIlEES8_S8_S8_S8_S8_S8_S8_S8_EEEEPS9_S9_NSD_9__find_if7functorIS9_EEEE10hipError_tPvRmT1_T2_T3_mT4_P12ihipStream_tbEUlT_E1_NS1_11comp_targetILNS1_3genE8ELNS1_11target_archE1030ELNS1_3gpuE2ELNS1_3repE0EEENS1_30default_config_static_selectorELNS0_4arch9wavefront6targetE0EEEvS14_.has_dyn_sized_stack, 0
	.set _ZN7rocprim17ROCPRIM_400000_NS6detail17trampoline_kernelINS0_14default_configENS1_22reduce_config_selectorIN6thrust23THRUST_200600_302600_NS5tupleIblNS6_9null_typeES8_S8_S8_S8_S8_S8_S8_EEEEZNS1_11reduce_implILb1ES3_NS6_12zip_iteratorINS7_INS6_11hip_rocprim26transform_input_iterator_tIbNSD_35transform_pair_of_input_iterators_tIbNS6_6detail15normal_iteratorINS6_10device_ptrIKiEEEESL_NS6_8equal_toIiEEEENSG_9not_fun_tINSD_8identityEEEEENSD_19counting_iterator_tIlEES8_S8_S8_S8_S8_S8_S8_S8_EEEEPS9_S9_NSD_9__find_if7functorIS9_EEEE10hipError_tPvRmT1_T2_T3_mT4_P12ihipStream_tbEUlT_E1_NS1_11comp_targetILNS1_3genE8ELNS1_11target_archE1030ELNS1_3gpuE2ELNS1_3repE0EEENS1_30default_config_static_selectorELNS0_4arch9wavefront6targetE0EEEvS14_.has_recursion, 0
	.set _ZN7rocprim17ROCPRIM_400000_NS6detail17trampoline_kernelINS0_14default_configENS1_22reduce_config_selectorIN6thrust23THRUST_200600_302600_NS5tupleIblNS6_9null_typeES8_S8_S8_S8_S8_S8_S8_EEEEZNS1_11reduce_implILb1ES3_NS6_12zip_iteratorINS7_INS6_11hip_rocprim26transform_input_iterator_tIbNSD_35transform_pair_of_input_iterators_tIbNS6_6detail15normal_iteratorINS6_10device_ptrIKiEEEESL_NS6_8equal_toIiEEEENSG_9not_fun_tINSD_8identityEEEEENSD_19counting_iterator_tIlEES8_S8_S8_S8_S8_S8_S8_S8_EEEEPS9_S9_NSD_9__find_if7functorIS9_EEEE10hipError_tPvRmT1_T2_T3_mT4_P12ihipStream_tbEUlT_E1_NS1_11comp_targetILNS1_3genE8ELNS1_11target_archE1030ELNS1_3gpuE2ELNS1_3repE0EEENS1_30default_config_static_selectorELNS0_4arch9wavefront6targetE0EEEvS14_.has_indirect_call, 0
	.section	.AMDGPU.csdata,"",@progbits
; Kernel info:
; codeLenInByte = 14960
; TotalNumSgprs: 34
; NumVgprs: 27
; ScratchSize: 0
; MemoryBound: 0
; FloatMode: 240
; IeeeMode: 1
; LDSByteSize: 640 bytes/workgroup (compile time only)
; SGPRBlocks: 0
; VGPRBlocks: 3
; NumSGPRsForWavesPerEU: 34
; NumVGPRsForWavesPerEU: 27
; Occupancy: 16
; WaveLimiterHint : 0
; COMPUTE_PGM_RSRC2:SCRATCH_EN: 0
; COMPUTE_PGM_RSRC2:USER_SGPR: 6
; COMPUTE_PGM_RSRC2:TRAP_HANDLER: 0
; COMPUTE_PGM_RSRC2:TGID_X_EN: 1
; COMPUTE_PGM_RSRC2:TGID_Y_EN: 0
; COMPUTE_PGM_RSRC2:TGID_Z_EN: 0
; COMPUTE_PGM_RSRC2:TIDIG_COMP_CNT: 0
	.section	.text._ZN6thrust23THRUST_200600_302600_NS11hip_rocprim14__parallel_for6kernelILj256ENS1_20__uninitialized_fill7functorINS0_10device_ptrIsEEsEEmLj1EEEvT0_T1_SA_,"axG",@progbits,_ZN6thrust23THRUST_200600_302600_NS11hip_rocprim14__parallel_for6kernelILj256ENS1_20__uninitialized_fill7functorINS0_10device_ptrIsEEsEEmLj1EEEvT0_T1_SA_,comdat
	.protected	_ZN6thrust23THRUST_200600_302600_NS11hip_rocprim14__parallel_for6kernelILj256ENS1_20__uninitialized_fill7functorINS0_10device_ptrIsEEsEEmLj1EEEvT0_T1_SA_ ; -- Begin function _ZN6thrust23THRUST_200600_302600_NS11hip_rocprim14__parallel_for6kernelILj256ENS1_20__uninitialized_fill7functorINS0_10device_ptrIsEEsEEmLj1EEEvT0_T1_SA_
	.globl	_ZN6thrust23THRUST_200600_302600_NS11hip_rocprim14__parallel_for6kernelILj256ENS1_20__uninitialized_fill7functorINS0_10device_ptrIsEEsEEmLj1EEEvT0_T1_SA_
	.p2align	8
	.type	_ZN6thrust23THRUST_200600_302600_NS11hip_rocprim14__parallel_for6kernelILj256ENS1_20__uninitialized_fill7functorINS0_10device_ptrIsEEsEEmLj1EEEvT0_T1_SA_,@function
_ZN6thrust23THRUST_200600_302600_NS11hip_rocprim14__parallel_for6kernelILj256ENS1_20__uninitialized_fill7functorINS0_10device_ptrIsEEsEEmLj1EEEvT0_T1_SA_: ; @_ZN6thrust23THRUST_200600_302600_NS11hip_rocprim14__parallel_for6kernelILj256ENS1_20__uninitialized_fill7functorINS0_10device_ptrIsEEsEEmLj1EEEvT0_T1_SA_
; %bb.0:
	s_clause 0x2
	s_load_dwordx4 s[8:11], s[4:5], 0x10
	s_load_dwordx2 s[0:1], s[4:5], 0x0
	s_load_dword s7, s[4:5], 0x8
	s_lshl_b32 s2, s6, 8
	s_waitcnt lgkmcnt(0)
	s_add_u32 s2, s10, s2
	s_addc_u32 s3, s11, 0
	s_sub_u32 s4, s8, s2
	s_subb_u32 s5, s9, s3
	v_cmp_lt_u64_e64 s5, 0xff, s[4:5]
	s_and_b32 vcc_lo, exec_lo, s5
	s_mov_b32 s5, -1
	s_cbranch_vccz .LBB504_3
; %bb.1:
	s_andn2_b32 vcc_lo, exec_lo, s5
	s_cbranch_vccz .LBB504_6
.LBB504_2:
	s_endpgm
.LBB504_3:
	v_cmp_gt_u32_e32 vcc_lo, s4, v0
	s_and_saveexec_b32 s4, vcc_lo
	s_cbranch_execz .LBB504_5
; %bb.4:
	v_lshlrev_b32_e32 v1, 1, v0
	s_lshl_b64 s[8:9], s[2:3], 1
	v_mov_b32_e32 v3, s7
	s_add_u32 s5, s0, s8
	s_addc_u32 s6, s1, s9
	v_add_co_u32 v1, s5, s5, v1
	v_add_co_ci_u32_e64 v2, null, s6, 0, s5
	flat_store_short v[1:2], v3
.LBB504_5:
	s_or_b32 exec_lo, exec_lo, s4
	s_cbranch_execnz .LBB504_2
.LBB504_6:
	v_lshlrev_b32_e32 v0, 1, v0
	s_lshl_b64 s[2:3], s[2:3], 1
	v_mov_b32_e32 v2, s7
	s_add_u32 s0, s0, s2
	s_addc_u32 s1, s1, s3
	v_add_co_u32 v0, s0, s0, v0
	v_add_co_ci_u32_e64 v1, null, s1, 0, s0
	flat_store_short v[0:1], v2
	s_endpgm
	.section	.rodata,"a",@progbits
	.p2align	6, 0x0
	.amdhsa_kernel _ZN6thrust23THRUST_200600_302600_NS11hip_rocprim14__parallel_for6kernelILj256ENS1_20__uninitialized_fill7functorINS0_10device_ptrIsEEsEEmLj1EEEvT0_T1_SA_
		.amdhsa_group_segment_fixed_size 0
		.amdhsa_private_segment_fixed_size 0
		.amdhsa_kernarg_size 32
		.amdhsa_user_sgpr_count 6
		.amdhsa_user_sgpr_private_segment_buffer 1
		.amdhsa_user_sgpr_dispatch_ptr 0
		.amdhsa_user_sgpr_queue_ptr 0
		.amdhsa_user_sgpr_kernarg_segment_ptr 1
		.amdhsa_user_sgpr_dispatch_id 0
		.amdhsa_user_sgpr_flat_scratch_init 0
		.amdhsa_user_sgpr_private_segment_size 0
		.amdhsa_wavefront_size32 1
		.amdhsa_uses_dynamic_stack 0
		.amdhsa_system_sgpr_private_segment_wavefront_offset 0
		.amdhsa_system_sgpr_workgroup_id_x 1
		.amdhsa_system_sgpr_workgroup_id_y 0
		.amdhsa_system_sgpr_workgroup_id_z 0
		.amdhsa_system_sgpr_workgroup_info 0
		.amdhsa_system_vgpr_workitem_id 0
		.amdhsa_next_free_vgpr 4
		.amdhsa_next_free_sgpr 12
		.amdhsa_reserve_vcc 1
		.amdhsa_reserve_flat_scratch 0
		.amdhsa_float_round_mode_32 0
		.amdhsa_float_round_mode_16_64 0
		.amdhsa_float_denorm_mode_32 3
		.amdhsa_float_denorm_mode_16_64 3
		.amdhsa_dx10_clamp 1
		.amdhsa_ieee_mode 1
		.amdhsa_fp16_overflow 0
		.amdhsa_workgroup_processor_mode 1
		.amdhsa_memory_ordered 1
		.amdhsa_forward_progress 1
		.amdhsa_shared_vgpr_count 0
		.amdhsa_exception_fp_ieee_invalid_op 0
		.amdhsa_exception_fp_denorm_src 0
		.amdhsa_exception_fp_ieee_div_zero 0
		.amdhsa_exception_fp_ieee_overflow 0
		.amdhsa_exception_fp_ieee_underflow 0
		.amdhsa_exception_fp_ieee_inexact 0
		.amdhsa_exception_int_div_zero 0
	.end_amdhsa_kernel
	.section	.text._ZN6thrust23THRUST_200600_302600_NS11hip_rocprim14__parallel_for6kernelILj256ENS1_20__uninitialized_fill7functorINS0_10device_ptrIsEEsEEmLj1EEEvT0_T1_SA_,"axG",@progbits,_ZN6thrust23THRUST_200600_302600_NS11hip_rocprim14__parallel_for6kernelILj256ENS1_20__uninitialized_fill7functorINS0_10device_ptrIsEEsEEmLj1EEEvT0_T1_SA_,comdat
.Lfunc_end504:
	.size	_ZN6thrust23THRUST_200600_302600_NS11hip_rocprim14__parallel_for6kernelILj256ENS1_20__uninitialized_fill7functorINS0_10device_ptrIsEEsEEmLj1EEEvT0_T1_SA_, .Lfunc_end504-_ZN6thrust23THRUST_200600_302600_NS11hip_rocprim14__parallel_for6kernelILj256ENS1_20__uninitialized_fill7functorINS0_10device_ptrIsEEsEEmLj1EEEvT0_T1_SA_
                                        ; -- End function
	.set _ZN6thrust23THRUST_200600_302600_NS11hip_rocprim14__parallel_for6kernelILj256ENS1_20__uninitialized_fill7functorINS0_10device_ptrIsEEsEEmLj1EEEvT0_T1_SA_.num_vgpr, 4
	.set _ZN6thrust23THRUST_200600_302600_NS11hip_rocprim14__parallel_for6kernelILj256ENS1_20__uninitialized_fill7functorINS0_10device_ptrIsEEsEEmLj1EEEvT0_T1_SA_.num_agpr, 0
	.set _ZN6thrust23THRUST_200600_302600_NS11hip_rocprim14__parallel_for6kernelILj256ENS1_20__uninitialized_fill7functorINS0_10device_ptrIsEEsEEmLj1EEEvT0_T1_SA_.numbered_sgpr, 12
	.set _ZN6thrust23THRUST_200600_302600_NS11hip_rocprim14__parallel_for6kernelILj256ENS1_20__uninitialized_fill7functorINS0_10device_ptrIsEEsEEmLj1EEEvT0_T1_SA_.num_named_barrier, 0
	.set _ZN6thrust23THRUST_200600_302600_NS11hip_rocprim14__parallel_for6kernelILj256ENS1_20__uninitialized_fill7functorINS0_10device_ptrIsEEsEEmLj1EEEvT0_T1_SA_.private_seg_size, 0
	.set _ZN6thrust23THRUST_200600_302600_NS11hip_rocprim14__parallel_for6kernelILj256ENS1_20__uninitialized_fill7functorINS0_10device_ptrIsEEsEEmLj1EEEvT0_T1_SA_.uses_vcc, 1
	.set _ZN6thrust23THRUST_200600_302600_NS11hip_rocprim14__parallel_for6kernelILj256ENS1_20__uninitialized_fill7functorINS0_10device_ptrIsEEsEEmLj1EEEvT0_T1_SA_.uses_flat_scratch, 0
	.set _ZN6thrust23THRUST_200600_302600_NS11hip_rocprim14__parallel_for6kernelILj256ENS1_20__uninitialized_fill7functorINS0_10device_ptrIsEEsEEmLj1EEEvT0_T1_SA_.has_dyn_sized_stack, 0
	.set _ZN6thrust23THRUST_200600_302600_NS11hip_rocprim14__parallel_for6kernelILj256ENS1_20__uninitialized_fill7functorINS0_10device_ptrIsEEsEEmLj1EEEvT0_T1_SA_.has_recursion, 0
	.set _ZN6thrust23THRUST_200600_302600_NS11hip_rocprim14__parallel_for6kernelILj256ENS1_20__uninitialized_fill7functorINS0_10device_ptrIsEEsEEmLj1EEEvT0_T1_SA_.has_indirect_call, 0
	.section	.AMDGPU.csdata,"",@progbits
; Kernel info:
; codeLenInByte = 200
; TotalNumSgprs: 14
; NumVgprs: 4
; ScratchSize: 0
; MemoryBound: 0
; FloatMode: 240
; IeeeMode: 1
; LDSByteSize: 0 bytes/workgroup (compile time only)
; SGPRBlocks: 0
; VGPRBlocks: 0
; NumSGPRsForWavesPerEU: 14
; NumVGPRsForWavesPerEU: 4
; Occupancy: 16
; WaveLimiterHint : 0
; COMPUTE_PGM_RSRC2:SCRATCH_EN: 0
; COMPUTE_PGM_RSRC2:USER_SGPR: 6
; COMPUTE_PGM_RSRC2:TRAP_HANDLER: 0
; COMPUTE_PGM_RSRC2:TGID_X_EN: 1
; COMPUTE_PGM_RSRC2:TGID_Y_EN: 0
; COMPUTE_PGM_RSRC2:TGID_Z_EN: 0
; COMPUTE_PGM_RSRC2:TIDIG_COMP_CNT: 0
	.section	.text._ZN7rocprim17ROCPRIM_400000_NS6detail44device_merge_sort_compile_time_verifier_archINS1_11comp_targetILNS1_3genE0ELNS1_11target_archE4294967295ELNS1_3gpuE0ELNS1_3repE0EEES8_NS0_14default_configES9_NS1_37merge_sort_block_sort_config_selectorIsNS0_10empty_typeEEENS1_38merge_sort_block_merge_config_selectorIsSB_EEEEvv,"axG",@progbits,_ZN7rocprim17ROCPRIM_400000_NS6detail44device_merge_sort_compile_time_verifier_archINS1_11comp_targetILNS1_3genE0ELNS1_11target_archE4294967295ELNS1_3gpuE0ELNS1_3repE0EEES8_NS0_14default_configES9_NS1_37merge_sort_block_sort_config_selectorIsNS0_10empty_typeEEENS1_38merge_sort_block_merge_config_selectorIsSB_EEEEvv,comdat
	.protected	_ZN7rocprim17ROCPRIM_400000_NS6detail44device_merge_sort_compile_time_verifier_archINS1_11comp_targetILNS1_3genE0ELNS1_11target_archE4294967295ELNS1_3gpuE0ELNS1_3repE0EEES8_NS0_14default_configES9_NS1_37merge_sort_block_sort_config_selectorIsNS0_10empty_typeEEENS1_38merge_sort_block_merge_config_selectorIsSB_EEEEvv ; -- Begin function _ZN7rocprim17ROCPRIM_400000_NS6detail44device_merge_sort_compile_time_verifier_archINS1_11comp_targetILNS1_3genE0ELNS1_11target_archE4294967295ELNS1_3gpuE0ELNS1_3repE0EEES8_NS0_14default_configES9_NS1_37merge_sort_block_sort_config_selectorIsNS0_10empty_typeEEENS1_38merge_sort_block_merge_config_selectorIsSB_EEEEvv
	.globl	_ZN7rocprim17ROCPRIM_400000_NS6detail44device_merge_sort_compile_time_verifier_archINS1_11comp_targetILNS1_3genE0ELNS1_11target_archE4294967295ELNS1_3gpuE0ELNS1_3repE0EEES8_NS0_14default_configES9_NS1_37merge_sort_block_sort_config_selectorIsNS0_10empty_typeEEENS1_38merge_sort_block_merge_config_selectorIsSB_EEEEvv
	.p2align	8
	.type	_ZN7rocprim17ROCPRIM_400000_NS6detail44device_merge_sort_compile_time_verifier_archINS1_11comp_targetILNS1_3genE0ELNS1_11target_archE4294967295ELNS1_3gpuE0ELNS1_3repE0EEES8_NS0_14default_configES9_NS1_37merge_sort_block_sort_config_selectorIsNS0_10empty_typeEEENS1_38merge_sort_block_merge_config_selectorIsSB_EEEEvv,@function
_ZN7rocprim17ROCPRIM_400000_NS6detail44device_merge_sort_compile_time_verifier_archINS1_11comp_targetILNS1_3genE0ELNS1_11target_archE4294967295ELNS1_3gpuE0ELNS1_3repE0EEES8_NS0_14default_configES9_NS1_37merge_sort_block_sort_config_selectorIsNS0_10empty_typeEEENS1_38merge_sort_block_merge_config_selectorIsSB_EEEEvv: ; @_ZN7rocprim17ROCPRIM_400000_NS6detail44device_merge_sort_compile_time_verifier_archINS1_11comp_targetILNS1_3genE0ELNS1_11target_archE4294967295ELNS1_3gpuE0ELNS1_3repE0EEES8_NS0_14default_configES9_NS1_37merge_sort_block_sort_config_selectorIsNS0_10empty_typeEEENS1_38merge_sort_block_merge_config_selectorIsSB_EEEEvv
; %bb.0:
	s_endpgm
	.section	.rodata,"a",@progbits
	.p2align	6, 0x0
	.amdhsa_kernel _ZN7rocprim17ROCPRIM_400000_NS6detail44device_merge_sort_compile_time_verifier_archINS1_11comp_targetILNS1_3genE0ELNS1_11target_archE4294967295ELNS1_3gpuE0ELNS1_3repE0EEES8_NS0_14default_configES9_NS1_37merge_sort_block_sort_config_selectorIsNS0_10empty_typeEEENS1_38merge_sort_block_merge_config_selectorIsSB_EEEEvv
		.amdhsa_group_segment_fixed_size 0
		.amdhsa_private_segment_fixed_size 0
		.amdhsa_kernarg_size 0
		.amdhsa_user_sgpr_count 4
		.amdhsa_user_sgpr_private_segment_buffer 1
		.amdhsa_user_sgpr_dispatch_ptr 0
		.amdhsa_user_sgpr_queue_ptr 0
		.amdhsa_user_sgpr_kernarg_segment_ptr 0
		.amdhsa_user_sgpr_dispatch_id 0
		.amdhsa_user_sgpr_flat_scratch_init 0
		.amdhsa_user_sgpr_private_segment_size 0
		.amdhsa_wavefront_size32 1
		.amdhsa_uses_dynamic_stack 0
		.amdhsa_system_sgpr_private_segment_wavefront_offset 0
		.amdhsa_system_sgpr_workgroup_id_x 1
		.amdhsa_system_sgpr_workgroup_id_y 0
		.amdhsa_system_sgpr_workgroup_id_z 0
		.amdhsa_system_sgpr_workgroup_info 0
		.amdhsa_system_vgpr_workitem_id 0
		.amdhsa_next_free_vgpr 1
		.amdhsa_next_free_sgpr 1
		.amdhsa_reserve_vcc 0
		.amdhsa_reserve_flat_scratch 0
		.amdhsa_float_round_mode_32 0
		.amdhsa_float_round_mode_16_64 0
		.amdhsa_float_denorm_mode_32 3
		.amdhsa_float_denorm_mode_16_64 3
		.amdhsa_dx10_clamp 1
		.amdhsa_ieee_mode 1
		.amdhsa_fp16_overflow 0
		.amdhsa_workgroup_processor_mode 1
		.amdhsa_memory_ordered 1
		.amdhsa_forward_progress 1
		.amdhsa_shared_vgpr_count 0
		.amdhsa_exception_fp_ieee_invalid_op 0
		.amdhsa_exception_fp_denorm_src 0
		.amdhsa_exception_fp_ieee_div_zero 0
		.amdhsa_exception_fp_ieee_overflow 0
		.amdhsa_exception_fp_ieee_underflow 0
		.amdhsa_exception_fp_ieee_inexact 0
		.amdhsa_exception_int_div_zero 0
	.end_amdhsa_kernel
	.section	.text._ZN7rocprim17ROCPRIM_400000_NS6detail44device_merge_sort_compile_time_verifier_archINS1_11comp_targetILNS1_3genE0ELNS1_11target_archE4294967295ELNS1_3gpuE0ELNS1_3repE0EEES8_NS0_14default_configES9_NS1_37merge_sort_block_sort_config_selectorIsNS0_10empty_typeEEENS1_38merge_sort_block_merge_config_selectorIsSB_EEEEvv,"axG",@progbits,_ZN7rocprim17ROCPRIM_400000_NS6detail44device_merge_sort_compile_time_verifier_archINS1_11comp_targetILNS1_3genE0ELNS1_11target_archE4294967295ELNS1_3gpuE0ELNS1_3repE0EEES8_NS0_14default_configES9_NS1_37merge_sort_block_sort_config_selectorIsNS0_10empty_typeEEENS1_38merge_sort_block_merge_config_selectorIsSB_EEEEvv,comdat
.Lfunc_end505:
	.size	_ZN7rocprim17ROCPRIM_400000_NS6detail44device_merge_sort_compile_time_verifier_archINS1_11comp_targetILNS1_3genE0ELNS1_11target_archE4294967295ELNS1_3gpuE0ELNS1_3repE0EEES8_NS0_14default_configES9_NS1_37merge_sort_block_sort_config_selectorIsNS0_10empty_typeEEENS1_38merge_sort_block_merge_config_selectorIsSB_EEEEvv, .Lfunc_end505-_ZN7rocprim17ROCPRIM_400000_NS6detail44device_merge_sort_compile_time_verifier_archINS1_11comp_targetILNS1_3genE0ELNS1_11target_archE4294967295ELNS1_3gpuE0ELNS1_3repE0EEES8_NS0_14default_configES9_NS1_37merge_sort_block_sort_config_selectorIsNS0_10empty_typeEEENS1_38merge_sort_block_merge_config_selectorIsSB_EEEEvv
                                        ; -- End function
	.set _ZN7rocprim17ROCPRIM_400000_NS6detail44device_merge_sort_compile_time_verifier_archINS1_11comp_targetILNS1_3genE0ELNS1_11target_archE4294967295ELNS1_3gpuE0ELNS1_3repE0EEES8_NS0_14default_configES9_NS1_37merge_sort_block_sort_config_selectorIsNS0_10empty_typeEEENS1_38merge_sort_block_merge_config_selectorIsSB_EEEEvv.num_vgpr, 0
	.set _ZN7rocprim17ROCPRIM_400000_NS6detail44device_merge_sort_compile_time_verifier_archINS1_11comp_targetILNS1_3genE0ELNS1_11target_archE4294967295ELNS1_3gpuE0ELNS1_3repE0EEES8_NS0_14default_configES9_NS1_37merge_sort_block_sort_config_selectorIsNS0_10empty_typeEEENS1_38merge_sort_block_merge_config_selectorIsSB_EEEEvv.num_agpr, 0
	.set _ZN7rocprim17ROCPRIM_400000_NS6detail44device_merge_sort_compile_time_verifier_archINS1_11comp_targetILNS1_3genE0ELNS1_11target_archE4294967295ELNS1_3gpuE0ELNS1_3repE0EEES8_NS0_14default_configES9_NS1_37merge_sort_block_sort_config_selectorIsNS0_10empty_typeEEENS1_38merge_sort_block_merge_config_selectorIsSB_EEEEvv.numbered_sgpr, 0
	.set _ZN7rocprim17ROCPRIM_400000_NS6detail44device_merge_sort_compile_time_verifier_archINS1_11comp_targetILNS1_3genE0ELNS1_11target_archE4294967295ELNS1_3gpuE0ELNS1_3repE0EEES8_NS0_14default_configES9_NS1_37merge_sort_block_sort_config_selectorIsNS0_10empty_typeEEENS1_38merge_sort_block_merge_config_selectorIsSB_EEEEvv.num_named_barrier, 0
	.set _ZN7rocprim17ROCPRIM_400000_NS6detail44device_merge_sort_compile_time_verifier_archINS1_11comp_targetILNS1_3genE0ELNS1_11target_archE4294967295ELNS1_3gpuE0ELNS1_3repE0EEES8_NS0_14default_configES9_NS1_37merge_sort_block_sort_config_selectorIsNS0_10empty_typeEEENS1_38merge_sort_block_merge_config_selectorIsSB_EEEEvv.private_seg_size, 0
	.set _ZN7rocprim17ROCPRIM_400000_NS6detail44device_merge_sort_compile_time_verifier_archINS1_11comp_targetILNS1_3genE0ELNS1_11target_archE4294967295ELNS1_3gpuE0ELNS1_3repE0EEES8_NS0_14default_configES9_NS1_37merge_sort_block_sort_config_selectorIsNS0_10empty_typeEEENS1_38merge_sort_block_merge_config_selectorIsSB_EEEEvv.uses_vcc, 0
	.set _ZN7rocprim17ROCPRIM_400000_NS6detail44device_merge_sort_compile_time_verifier_archINS1_11comp_targetILNS1_3genE0ELNS1_11target_archE4294967295ELNS1_3gpuE0ELNS1_3repE0EEES8_NS0_14default_configES9_NS1_37merge_sort_block_sort_config_selectorIsNS0_10empty_typeEEENS1_38merge_sort_block_merge_config_selectorIsSB_EEEEvv.uses_flat_scratch, 0
	.set _ZN7rocprim17ROCPRIM_400000_NS6detail44device_merge_sort_compile_time_verifier_archINS1_11comp_targetILNS1_3genE0ELNS1_11target_archE4294967295ELNS1_3gpuE0ELNS1_3repE0EEES8_NS0_14default_configES9_NS1_37merge_sort_block_sort_config_selectorIsNS0_10empty_typeEEENS1_38merge_sort_block_merge_config_selectorIsSB_EEEEvv.has_dyn_sized_stack, 0
	.set _ZN7rocprim17ROCPRIM_400000_NS6detail44device_merge_sort_compile_time_verifier_archINS1_11comp_targetILNS1_3genE0ELNS1_11target_archE4294967295ELNS1_3gpuE0ELNS1_3repE0EEES8_NS0_14default_configES9_NS1_37merge_sort_block_sort_config_selectorIsNS0_10empty_typeEEENS1_38merge_sort_block_merge_config_selectorIsSB_EEEEvv.has_recursion, 0
	.set _ZN7rocprim17ROCPRIM_400000_NS6detail44device_merge_sort_compile_time_verifier_archINS1_11comp_targetILNS1_3genE0ELNS1_11target_archE4294967295ELNS1_3gpuE0ELNS1_3repE0EEES8_NS0_14default_configES9_NS1_37merge_sort_block_sort_config_selectorIsNS0_10empty_typeEEENS1_38merge_sort_block_merge_config_selectorIsSB_EEEEvv.has_indirect_call, 0
	.section	.AMDGPU.csdata,"",@progbits
; Kernel info:
; codeLenInByte = 4
; TotalNumSgprs: 0
; NumVgprs: 0
; ScratchSize: 0
; MemoryBound: 0
; FloatMode: 240
; IeeeMode: 1
; LDSByteSize: 0 bytes/workgroup (compile time only)
; SGPRBlocks: 0
; VGPRBlocks: 0
; NumSGPRsForWavesPerEU: 1
; NumVGPRsForWavesPerEU: 1
; Occupancy: 16
; WaveLimiterHint : 0
; COMPUTE_PGM_RSRC2:SCRATCH_EN: 0
; COMPUTE_PGM_RSRC2:USER_SGPR: 4
; COMPUTE_PGM_RSRC2:TRAP_HANDLER: 0
; COMPUTE_PGM_RSRC2:TGID_X_EN: 1
; COMPUTE_PGM_RSRC2:TGID_Y_EN: 0
; COMPUTE_PGM_RSRC2:TGID_Z_EN: 0
; COMPUTE_PGM_RSRC2:TIDIG_COMP_CNT: 0
	.section	.text._ZN7rocprim17ROCPRIM_400000_NS6detail44device_merge_sort_compile_time_verifier_archINS1_11comp_targetILNS1_3genE5ELNS1_11target_archE942ELNS1_3gpuE9ELNS1_3repE0EEES8_NS0_14default_configES9_NS1_37merge_sort_block_sort_config_selectorIsNS0_10empty_typeEEENS1_38merge_sort_block_merge_config_selectorIsSB_EEEEvv,"axG",@progbits,_ZN7rocprim17ROCPRIM_400000_NS6detail44device_merge_sort_compile_time_verifier_archINS1_11comp_targetILNS1_3genE5ELNS1_11target_archE942ELNS1_3gpuE9ELNS1_3repE0EEES8_NS0_14default_configES9_NS1_37merge_sort_block_sort_config_selectorIsNS0_10empty_typeEEENS1_38merge_sort_block_merge_config_selectorIsSB_EEEEvv,comdat
	.protected	_ZN7rocprim17ROCPRIM_400000_NS6detail44device_merge_sort_compile_time_verifier_archINS1_11comp_targetILNS1_3genE5ELNS1_11target_archE942ELNS1_3gpuE9ELNS1_3repE0EEES8_NS0_14default_configES9_NS1_37merge_sort_block_sort_config_selectorIsNS0_10empty_typeEEENS1_38merge_sort_block_merge_config_selectorIsSB_EEEEvv ; -- Begin function _ZN7rocprim17ROCPRIM_400000_NS6detail44device_merge_sort_compile_time_verifier_archINS1_11comp_targetILNS1_3genE5ELNS1_11target_archE942ELNS1_3gpuE9ELNS1_3repE0EEES8_NS0_14default_configES9_NS1_37merge_sort_block_sort_config_selectorIsNS0_10empty_typeEEENS1_38merge_sort_block_merge_config_selectorIsSB_EEEEvv
	.globl	_ZN7rocprim17ROCPRIM_400000_NS6detail44device_merge_sort_compile_time_verifier_archINS1_11comp_targetILNS1_3genE5ELNS1_11target_archE942ELNS1_3gpuE9ELNS1_3repE0EEES8_NS0_14default_configES9_NS1_37merge_sort_block_sort_config_selectorIsNS0_10empty_typeEEENS1_38merge_sort_block_merge_config_selectorIsSB_EEEEvv
	.p2align	8
	.type	_ZN7rocprim17ROCPRIM_400000_NS6detail44device_merge_sort_compile_time_verifier_archINS1_11comp_targetILNS1_3genE5ELNS1_11target_archE942ELNS1_3gpuE9ELNS1_3repE0EEES8_NS0_14default_configES9_NS1_37merge_sort_block_sort_config_selectorIsNS0_10empty_typeEEENS1_38merge_sort_block_merge_config_selectorIsSB_EEEEvv,@function
_ZN7rocprim17ROCPRIM_400000_NS6detail44device_merge_sort_compile_time_verifier_archINS1_11comp_targetILNS1_3genE5ELNS1_11target_archE942ELNS1_3gpuE9ELNS1_3repE0EEES8_NS0_14default_configES9_NS1_37merge_sort_block_sort_config_selectorIsNS0_10empty_typeEEENS1_38merge_sort_block_merge_config_selectorIsSB_EEEEvv: ; @_ZN7rocprim17ROCPRIM_400000_NS6detail44device_merge_sort_compile_time_verifier_archINS1_11comp_targetILNS1_3genE5ELNS1_11target_archE942ELNS1_3gpuE9ELNS1_3repE0EEES8_NS0_14default_configES9_NS1_37merge_sort_block_sort_config_selectorIsNS0_10empty_typeEEENS1_38merge_sort_block_merge_config_selectorIsSB_EEEEvv
; %bb.0:
	s_endpgm
	.section	.rodata,"a",@progbits
	.p2align	6, 0x0
	.amdhsa_kernel _ZN7rocprim17ROCPRIM_400000_NS6detail44device_merge_sort_compile_time_verifier_archINS1_11comp_targetILNS1_3genE5ELNS1_11target_archE942ELNS1_3gpuE9ELNS1_3repE0EEES8_NS0_14default_configES9_NS1_37merge_sort_block_sort_config_selectorIsNS0_10empty_typeEEENS1_38merge_sort_block_merge_config_selectorIsSB_EEEEvv
		.amdhsa_group_segment_fixed_size 0
		.amdhsa_private_segment_fixed_size 0
		.amdhsa_kernarg_size 0
		.amdhsa_user_sgpr_count 4
		.amdhsa_user_sgpr_private_segment_buffer 1
		.amdhsa_user_sgpr_dispatch_ptr 0
		.amdhsa_user_sgpr_queue_ptr 0
		.amdhsa_user_sgpr_kernarg_segment_ptr 0
		.amdhsa_user_sgpr_dispatch_id 0
		.amdhsa_user_sgpr_flat_scratch_init 0
		.amdhsa_user_sgpr_private_segment_size 0
		.amdhsa_wavefront_size32 1
		.amdhsa_uses_dynamic_stack 0
		.amdhsa_system_sgpr_private_segment_wavefront_offset 0
		.amdhsa_system_sgpr_workgroup_id_x 1
		.amdhsa_system_sgpr_workgroup_id_y 0
		.amdhsa_system_sgpr_workgroup_id_z 0
		.amdhsa_system_sgpr_workgroup_info 0
		.amdhsa_system_vgpr_workitem_id 0
		.amdhsa_next_free_vgpr 1
		.amdhsa_next_free_sgpr 1
		.amdhsa_reserve_vcc 0
		.amdhsa_reserve_flat_scratch 0
		.amdhsa_float_round_mode_32 0
		.amdhsa_float_round_mode_16_64 0
		.amdhsa_float_denorm_mode_32 3
		.amdhsa_float_denorm_mode_16_64 3
		.amdhsa_dx10_clamp 1
		.amdhsa_ieee_mode 1
		.amdhsa_fp16_overflow 0
		.amdhsa_workgroup_processor_mode 1
		.amdhsa_memory_ordered 1
		.amdhsa_forward_progress 1
		.amdhsa_shared_vgpr_count 0
		.amdhsa_exception_fp_ieee_invalid_op 0
		.amdhsa_exception_fp_denorm_src 0
		.amdhsa_exception_fp_ieee_div_zero 0
		.amdhsa_exception_fp_ieee_overflow 0
		.amdhsa_exception_fp_ieee_underflow 0
		.amdhsa_exception_fp_ieee_inexact 0
		.amdhsa_exception_int_div_zero 0
	.end_amdhsa_kernel
	.section	.text._ZN7rocprim17ROCPRIM_400000_NS6detail44device_merge_sort_compile_time_verifier_archINS1_11comp_targetILNS1_3genE5ELNS1_11target_archE942ELNS1_3gpuE9ELNS1_3repE0EEES8_NS0_14default_configES9_NS1_37merge_sort_block_sort_config_selectorIsNS0_10empty_typeEEENS1_38merge_sort_block_merge_config_selectorIsSB_EEEEvv,"axG",@progbits,_ZN7rocprim17ROCPRIM_400000_NS6detail44device_merge_sort_compile_time_verifier_archINS1_11comp_targetILNS1_3genE5ELNS1_11target_archE942ELNS1_3gpuE9ELNS1_3repE0EEES8_NS0_14default_configES9_NS1_37merge_sort_block_sort_config_selectorIsNS0_10empty_typeEEENS1_38merge_sort_block_merge_config_selectorIsSB_EEEEvv,comdat
.Lfunc_end506:
	.size	_ZN7rocprim17ROCPRIM_400000_NS6detail44device_merge_sort_compile_time_verifier_archINS1_11comp_targetILNS1_3genE5ELNS1_11target_archE942ELNS1_3gpuE9ELNS1_3repE0EEES8_NS0_14default_configES9_NS1_37merge_sort_block_sort_config_selectorIsNS0_10empty_typeEEENS1_38merge_sort_block_merge_config_selectorIsSB_EEEEvv, .Lfunc_end506-_ZN7rocprim17ROCPRIM_400000_NS6detail44device_merge_sort_compile_time_verifier_archINS1_11comp_targetILNS1_3genE5ELNS1_11target_archE942ELNS1_3gpuE9ELNS1_3repE0EEES8_NS0_14default_configES9_NS1_37merge_sort_block_sort_config_selectorIsNS0_10empty_typeEEENS1_38merge_sort_block_merge_config_selectorIsSB_EEEEvv
                                        ; -- End function
	.set _ZN7rocprim17ROCPRIM_400000_NS6detail44device_merge_sort_compile_time_verifier_archINS1_11comp_targetILNS1_3genE5ELNS1_11target_archE942ELNS1_3gpuE9ELNS1_3repE0EEES8_NS0_14default_configES9_NS1_37merge_sort_block_sort_config_selectorIsNS0_10empty_typeEEENS1_38merge_sort_block_merge_config_selectorIsSB_EEEEvv.num_vgpr, 0
	.set _ZN7rocprim17ROCPRIM_400000_NS6detail44device_merge_sort_compile_time_verifier_archINS1_11comp_targetILNS1_3genE5ELNS1_11target_archE942ELNS1_3gpuE9ELNS1_3repE0EEES8_NS0_14default_configES9_NS1_37merge_sort_block_sort_config_selectorIsNS0_10empty_typeEEENS1_38merge_sort_block_merge_config_selectorIsSB_EEEEvv.num_agpr, 0
	.set _ZN7rocprim17ROCPRIM_400000_NS6detail44device_merge_sort_compile_time_verifier_archINS1_11comp_targetILNS1_3genE5ELNS1_11target_archE942ELNS1_3gpuE9ELNS1_3repE0EEES8_NS0_14default_configES9_NS1_37merge_sort_block_sort_config_selectorIsNS0_10empty_typeEEENS1_38merge_sort_block_merge_config_selectorIsSB_EEEEvv.numbered_sgpr, 0
	.set _ZN7rocprim17ROCPRIM_400000_NS6detail44device_merge_sort_compile_time_verifier_archINS1_11comp_targetILNS1_3genE5ELNS1_11target_archE942ELNS1_3gpuE9ELNS1_3repE0EEES8_NS0_14default_configES9_NS1_37merge_sort_block_sort_config_selectorIsNS0_10empty_typeEEENS1_38merge_sort_block_merge_config_selectorIsSB_EEEEvv.num_named_barrier, 0
	.set _ZN7rocprim17ROCPRIM_400000_NS6detail44device_merge_sort_compile_time_verifier_archINS1_11comp_targetILNS1_3genE5ELNS1_11target_archE942ELNS1_3gpuE9ELNS1_3repE0EEES8_NS0_14default_configES9_NS1_37merge_sort_block_sort_config_selectorIsNS0_10empty_typeEEENS1_38merge_sort_block_merge_config_selectorIsSB_EEEEvv.private_seg_size, 0
	.set _ZN7rocprim17ROCPRIM_400000_NS6detail44device_merge_sort_compile_time_verifier_archINS1_11comp_targetILNS1_3genE5ELNS1_11target_archE942ELNS1_3gpuE9ELNS1_3repE0EEES8_NS0_14default_configES9_NS1_37merge_sort_block_sort_config_selectorIsNS0_10empty_typeEEENS1_38merge_sort_block_merge_config_selectorIsSB_EEEEvv.uses_vcc, 0
	.set _ZN7rocprim17ROCPRIM_400000_NS6detail44device_merge_sort_compile_time_verifier_archINS1_11comp_targetILNS1_3genE5ELNS1_11target_archE942ELNS1_3gpuE9ELNS1_3repE0EEES8_NS0_14default_configES9_NS1_37merge_sort_block_sort_config_selectorIsNS0_10empty_typeEEENS1_38merge_sort_block_merge_config_selectorIsSB_EEEEvv.uses_flat_scratch, 0
	.set _ZN7rocprim17ROCPRIM_400000_NS6detail44device_merge_sort_compile_time_verifier_archINS1_11comp_targetILNS1_3genE5ELNS1_11target_archE942ELNS1_3gpuE9ELNS1_3repE0EEES8_NS0_14default_configES9_NS1_37merge_sort_block_sort_config_selectorIsNS0_10empty_typeEEENS1_38merge_sort_block_merge_config_selectorIsSB_EEEEvv.has_dyn_sized_stack, 0
	.set _ZN7rocprim17ROCPRIM_400000_NS6detail44device_merge_sort_compile_time_verifier_archINS1_11comp_targetILNS1_3genE5ELNS1_11target_archE942ELNS1_3gpuE9ELNS1_3repE0EEES8_NS0_14default_configES9_NS1_37merge_sort_block_sort_config_selectorIsNS0_10empty_typeEEENS1_38merge_sort_block_merge_config_selectorIsSB_EEEEvv.has_recursion, 0
	.set _ZN7rocprim17ROCPRIM_400000_NS6detail44device_merge_sort_compile_time_verifier_archINS1_11comp_targetILNS1_3genE5ELNS1_11target_archE942ELNS1_3gpuE9ELNS1_3repE0EEES8_NS0_14default_configES9_NS1_37merge_sort_block_sort_config_selectorIsNS0_10empty_typeEEENS1_38merge_sort_block_merge_config_selectorIsSB_EEEEvv.has_indirect_call, 0
	.section	.AMDGPU.csdata,"",@progbits
; Kernel info:
; codeLenInByte = 4
; TotalNumSgprs: 0
; NumVgprs: 0
; ScratchSize: 0
; MemoryBound: 0
; FloatMode: 240
; IeeeMode: 1
; LDSByteSize: 0 bytes/workgroup (compile time only)
; SGPRBlocks: 0
; VGPRBlocks: 0
; NumSGPRsForWavesPerEU: 1
; NumVGPRsForWavesPerEU: 1
; Occupancy: 16
; WaveLimiterHint : 0
; COMPUTE_PGM_RSRC2:SCRATCH_EN: 0
; COMPUTE_PGM_RSRC2:USER_SGPR: 4
; COMPUTE_PGM_RSRC2:TRAP_HANDLER: 0
; COMPUTE_PGM_RSRC2:TGID_X_EN: 1
; COMPUTE_PGM_RSRC2:TGID_Y_EN: 0
; COMPUTE_PGM_RSRC2:TGID_Z_EN: 0
; COMPUTE_PGM_RSRC2:TIDIG_COMP_CNT: 0
	.section	.text._ZN7rocprim17ROCPRIM_400000_NS6detail44device_merge_sort_compile_time_verifier_archINS1_11comp_targetILNS1_3genE4ELNS1_11target_archE910ELNS1_3gpuE8ELNS1_3repE0EEES8_NS0_14default_configES9_NS1_37merge_sort_block_sort_config_selectorIsNS0_10empty_typeEEENS1_38merge_sort_block_merge_config_selectorIsSB_EEEEvv,"axG",@progbits,_ZN7rocprim17ROCPRIM_400000_NS6detail44device_merge_sort_compile_time_verifier_archINS1_11comp_targetILNS1_3genE4ELNS1_11target_archE910ELNS1_3gpuE8ELNS1_3repE0EEES8_NS0_14default_configES9_NS1_37merge_sort_block_sort_config_selectorIsNS0_10empty_typeEEENS1_38merge_sort_block_merge_config_selectorIsSB_EEEEvv,comdat
	.protected	_ZN7rocprim17ROCPRIM_400000_NS6detail44device_merge_sort_compile_time_verifier_archINS1_11comp_targetILNS1_3genE4ELNS1_11target_archE910ELNS1_3gpuE8ELNS1_3repE0EEES8_NS0_14default_configES9_NS1_37merge_sort_block_sort_config_selectorIsNS0_10empty_typeEEENS1_38merge_sort_block_merge_config_selectorIsSB_EEEEvv ; -- Begin function _ZN7rocprim17ROCPRIM_400000_NS6detail44device_merge_sort_compile_time_verifier_archINS1_11comp_targetILNS1_3genE4ELNS1_11target_archE910ELNS1_3gpuE8ELNS1_3repE0EEES8_NS0_14default_configES9_NS1_37merge_sort_block_sort_config_selectorIsNS0_10empty_typeEEENS1_38merge_sort_block_merge_config_selectorIsSB_EEEEvv
	.globl	_ZN7rocprim17ROCPRIM_400000_NS6detail44device_merge_sort_compile_time_verifier_archINS1_11comp_targetILNS1_3genE4ELNS1_11target_archE910ELNS1_3gpuE8ELNS1_3repE0EEES8_NS0_14default_configES9_NS1_37merge_sort_block_sort_config_selectorIsNS0_10empty_typeEEENS1_38merge_sort_block_merge_config_selectorIsSB_EEEEvv
	.p2align	8
	.type	_ZN7rocprim17ROCPRIM_400000_NS6detail44device_merge_sort_compile_time_verifier_archINS1_11comp_targetILNS1_3genE4ELNS1_11target_archE910ELNS1_3gpuE8ELNS1_3repE0EEES8_NS0_14default_configES9_NS1_37merge_sort_block_sort_config_selectorIsNS0_10empty_typeEEENS1_38merge_sort_block_merge_config_selectorIsSB_EEEEvv,@function
_ZN7rocprim17ROCPRIM_400000_NS6detail44device_merge_sort_compile_time_verifier_archINS1_11comp_targetILNS1_3genE4ELNS1_11target_archE910ELNS1_3gpuE8ELNS1_3repE0EEES8_NS0_14default_configES9_NS1_37merge_sort_block_sort_config_selectorIsNS0_10empty_typeEEENS1_38merge_sort_block_merge_config_selectorIsSB_EEEEvv: ; @_ZN7rocprim17ROCPRIM_400000_NS6detail44device_merge_sort_compile_time_verifier_archINS1_11comp_targetILNS1_3genE4ELNS1_11target_archE910ELNS1_3gpuE8ELNS1_3repE0EEES8_NS0_14default_configES9_NS1_37merge_sort_block_sort_config_selectorIsNS0_10empty_typeEEENS1_38merge_sort_block_merge_config_selectorIsSB_EEEEvv
; %bb.0:
	s_endpgm
	.section	.rodata,"a",@progbits
	.p2align	6, 0x0
	.amdhsa_kernel _ZN7rocprim17ROCPRIM_400000_NS6detail44device_merge_sort_compile_time_verifier_archINS1_11comp_targetILNS1_3genE4ELNS1_11target_archE910ELNS1_3gpuE8ELNS1_3repE0EEES8_NS0_14default_configES9_NS1_37merge_sort_block_sort_config_selectorIsNS0_10empty_typeEEENS1_38merge_sort_block_merge_config_selectorIsSB_EEEEvv
		.amdhsa_group_segment_fixed_size 0
		.amdhsa_private_segment_fixed_size 0
		.amdhsa_kernarg_size 0
		.amdhsa_user_sgpr_count 4
		.amdhsa_user_sgpr_private_segment_buffer 1
		.amdhsa_user_sgpr_dispatch_ptr 0
		.amdhsa_user_sgpr_queue_ptr 0
		.amdhsa_user_sgpr_kernarg_segment_ptr 0
		.amdhsa_user_sgpr_dispatch_id 0
		.amdhsa_user_sgpr_flat_scratch_init 0
		.amdhsa_user_sgpr_private_segment_size 0
		.amdhsa_wavefront_size32 1
		.amdhsa_uses_dynamic_stack 0
		.amdhsa_system_sgpr_private_segment_wavefront_offset 0
		.amdhsa_system_sgpr_workgroup_id_x 1
		.amdhsa_system_sgpr_workgroup_id_y 0
		.amdhsa_system_sgpr_workgroup_id_z 0
		.amdhsa_system_sgpr_workgroup_info 0
		.amdhsa_system_vgpr_workitem_id 0
		.amdhsa_next_free_vgpr 1
		.amdhsa_next_free_sgpr 1
		.amdhsa_reserve_vcc 0
		.amdhsa_reserve_flat_scratch 0
		.amdhsa_float_round_mode_32 0
		.amdhsa_float_round_mode_16_64 0
		.amdhsa_float_denorm_mode_32 3
		.amdhsa_float_denorm_mode_16_64 3
		.amdhsa_dx10_clamp 1
		.amdhsa_ieee_mode 1
		.amdhsa_fp16_overflow 0
		.amdhsa_workgroup_processor_mode 1
		.amdhsa_memory_ordered 1
		.amdhsa_forward_progress 1
		.amdhsa_shared_vgpr_count 0
		.amdhsa_exception_fp_ieee_invalid_op 0
		.amdhsa_exception_fp_denorm_src 0
		.amdhsa_exception_fp_ieee_div_zero 0
		.amdhsa_exception_fp_ieee_overflow 0
		.amdhsa_exception_fp_ieee_underflow 0
		.amdhsa_exception_fp_ieee_inexact 0
		.amdhsa_exception_int_div_zero 0
	.end_amdhsa_kernel
	.section	.text._ZN7rocprim17ROCPRIM_400000_NS6detail44device_merge_sort_compile_time_verifier_archINS1_11comp_targetILNS1_3genE4ELNS1_11target_archE910ELNS1_3gpuE8ELNS1_3repE0EEES8_NS0_14default_configES9_NS1_37merge_sort_block_sort_config_selectorIsNS0_10empty_typeEEENS1_38merge_sort_block_merge_config_selectorIsSB_EEEEvv,"axG",@progbits,_ZN7rocprim17ROCPRIM_400000_NS6detail44device_merge_sort_compile_time_verifier_archINS1_11comp_targetILNS1_3genE4ELNS1_11target_archE910ELNS1_3gpuE8ELNS1_3repE0EEES8_NS0_14default_configES9_NS1_37merge_sort_block_sort_config_selectorIsNS0_10empty_typeEEENS1_38merge_sort_block_merge_config_selectorIsSB_EEEEvv,comdat
.Lfunc_end507:
	.size	_ZN7rocprim17ROCPRIM_400000_NS6detail44device_merge_sort_compile_time_verifier_archINS1_11comp_targetILNS1_3genE4ELNS1_11target_archE910ELNS1_3gpuE8ELNS1_3repE0EEES8_NS0_14default_configES9_NS1_37merge_sort_block_sort_config_selectorIsNS0_10empty_typeEEENS1_38merge_sort_block_merge_config_selectorIsSB_EEEEvv, .Lfunc_end507-_ZN7rocprim17ROCPRIM_400000_NS6detail44device_merge_sort_compile_time_verifier_archINS1_11comp_targetILNS1_3genE4ELNS1_11target_archE910ELNS1_3gpuE8ELNS1_3repE0EEES8_NS0_14default_configES9_NS1_37merge_sort_block_sort_config_selectorIsNS0_10empty_typeEEENS1_38merge_sort_block_merge_config_selectorIsSB_EEEEvv
                                        ; -- End function
	.set _ZN7rocprim17ROCPRIM_400000_NS6detail44device_merge_sort_compile_time_verifier_archINS1_11comp_targetILNS1_3genE4ELNS1_11target_archE910ELNS1_3gpuE8ELNS1_3repE0EEES8_NS0_14default_configES9_NS1_37merge_sort_block_sort_config_selectorIsNS0_10empty_typeEEENS1_38merge_sort_block_merge_config_selectorIsSB_EEEEvv.num_vgpr, 0
	.set _ZN7rocprim17ROCPRIM_400000_NS6detail44device_merge_sort_compile_time_verifier_archINS1_11comp_targetILNS1_3genE4ELNS1_11target_archE910ELNS1_3gpuE8ELNS1_3repE0EEES8_NS0_14default_configES9_NS1_37merge_sort_block_sort_config_selectorIsNS0_10empty_typeEEENS1_38merge_sort_block_merge_config_selectorIsSB_EEEEvv.num_agpr, 0
	.set _ZN7rocprim17ROCPRIM_400000_NS6detail44device_merge_sort_compile_time_verifier_archINS1_11comp_targetILNS1_3genE4ELNS1_11target_archE910ELNS1_3gpuE8ELNS1_3repE0EEES8_NS0_14default_configES9_NS1_37merge_sort_block_sort_config_selectorIsNS0_10empty_typeEEENS1_38merge_sort_block_merge_config_selectorIsSB_EEEEvv.numbered_sgpr, 0
	.set _ZN7rocprim17ROCPRIM_400000_NS6detail44device_merge_sort_compile_time_verifier_archINS1_11comp_targetILNS1_3genE4ELNS1_11target_archE910ELNS1_3gpuE8ELNS1_3repE0EEES8_NS0_14default_configES9_NS1_37merge_sort_block_sort_config_selectorIsNS0_10empty_typeEEENS1_38merge_sort_block_merge_config_selectorIsSB_EEEEvv.num_named_barrier, 0
	.set _ZN7rocprim17ROCPRIM_400000_NS6detail44device_merge_sort_compile_time_verifier_archINS1_11comp_targetILNS1_3genE4ELNS1_11target_archE910ELNS1_3gpuE8ELNS1_3repE0EEES8_NS0_14default_configES9_NS1_37merge_sort_block_sort_config_selectorIsNS0_10empty_typeEEENS1_38merge_sort_block_merge_config_selectorIsSB_EEEEvv.private_seg_size, 0
	.set _ZN7rocprim17ROCPRIM_400000_NS6detail44device_merge_sort_compile_time_verifier_archINS1_11comp_targetILNS1_3genE4ELNS1_11target_archE910ELNS1_3gpuE8ELNS1_3repE0EEES8_NS0_14default_configES9_NS1_37merge_sort_block_sort_config_selectorIsNS0_10empty_typeEEENS1_38merge_sort_block_merge_config_selectorIsSB_EEEEvv.uses_vcc, 0
	.set _ZN7rocprim17ROCPRIM_400000_NS6detail44device_merge_sort_compile_time_verifier_archINS1_11comp_targetILNS1_3genE4ELNS1_11target_archE910ELNS1_3gpuE8ELNS1_3repE0EEES8_NS0_14default_configES9_NS1_37merge_sort_block_sort_config_selectorIsNS0_10empty_typeEEENS1_38merge_sort_block_merge_config_selectorIsSB_EEEEvv.uses_flat_scratch, 0
	.set _ZN7rocprim17ROCPRIM_400000_NS6detail44device_merge_sort_compile_time_verifier_archINS1_11comp_targetILNS1_3genE4ELNS1_11target_archE910ELNS1_3gpuE8ELNS1_3repE0EEES8_NS0_14default_configES9_NS1_37merge_sort_block_sort_config_selectorIsNS0_10empty_typeEEENS1_38merge_sort_block_merge_config_selectorIsSB_EEEEvv.has_dyn_sized_stack, 0
	.set _ZN7rocprim17ROCPRIM_400000_NS6detail44device_merge_sort_compile_time_verifier_archINS1_11comp_targetILNS1_3genE4ELNS1_11target_archE910ELNS1_3gpuE8ELNS1_3repE0EEES8_NS0_14default_configES9_NS1_37merge_sort_block_sort_config_selectorIsNS0_10empty_typeEEENS1_38merge_sort_block_merge_config_selectorIsSB_EEEEvv.has_recursion, 0
	.set _ZN7rocprim17ROCPRIM_400000_NS6detail44device_merge_sort_compile_time_verifier_archINS1_11comp_targetILNS1_3genE4ELNS1_11target_archE910ELNS1_3gpuE8ELNS1_3repE0EEES8_NS0_14default_configES9_NS1_37merge_sort_block_sort_config_selectorIsNS0_10empty_typeEEENS1_38merge_sort_block_merge_config_selectorIsSB_EEEEvv.has_indirect_call, 0
	.section	.AMDGPU.csdata,"",@progbits
; Kernel info:
; codeLenInByte = 4
; TotalNumSgprs: 0
; NumVgprs: 0
; ScratchSize: 0
; MemoryBound: 0
; FloatMode: 240
; IeeeMode: 1
; LDSByteSize: 0 bytes/workgroup (compile time only)
; SGPRBlocks: 0
; VGPRBlocks: 0
; NumSGPRsForWavesPerEU: 1
; NumVGPRsForWavesPerEU: 1
; Occupancy: 16
; WaveLimiterHint : 0
; COMPUTE_PGM_RSRC2:SCRATCH_EN: 0
; COMPUTE_PGM_RSRC2:USER_SGPR: 4
; COMPUTE_PGM_RSRC2:TRAP_HANDLER: 0
; COMPUTE_PGM_RSRC2:TGID_X_EN: 1
; COMPUTE_PGM_RSRC2:TGID_Y_EN: 0
; COMPUTE_PGM_RSRC2:TGID_Z_EN: 0
; COMPUTE_PGM_RSRC2:TIDIG_COMP_CNT: 0
	.section	.text._ZN7rocprim17ROCPRIM_400000_NS6detail44device_merge_sort_compile_time_verifier_archINS1_11comp_targetILNS1_3genE3ELNS1_11target_archE908ELNS1_3gpuE7ELNS1_3repE0EEES8_NS0_14default_configES9_NS1_37merge_sort_block_sort_config_selectorIsNS0_10empty_typeEEENS1_38merge_sort_block_merge_config_selectorIsSB_EEEEvv,"axG",@progbits,_ZN7rocprim17ROCPRIM_400000_NS6detail44device_merge_sort_compile_time_verifier_archINS1_11comp_targetILNS1_3genE3ELNS1_11target_archE908ELNS1_3gpuE7ELNS1_3repE0EEES8_NS0_14default_configES9_NS1_37merge_sort_block_sort_config_selectorIsNS0_10empty_typeEEENS1_38merge_sort_block_merge_config_selectorIsSB_EEEEvv,comdat
	.protected	_ZN7rocprim17ROCPRIM_400000_NS6detail44device_merge_sort_compile_time_verifier_archINS1_11comp_targetILNS1_3genE3ELNS1_11target_archE908ELNS1_3gpuE7ELNS1_3repE0EEES8_NS0_14default_configES9_NS1_37merge_sort_block_sort_config_selectorIsNS0_10empty_typeEEENS1_38merge_sort_block_merge_config_selectorIsSB_EEEEvv ; -- Begin function _ZN7rocprim17ROCPRIM_400000_NS6detail44device_merge_sort_compile_time_verifier_archINS1_11comp_targetILNS1_3genE3ELNS1_11target_archE908ELNS1_3gpuE7ELNS1_3repE0EEES8_NS0_14default_configES9_NS1_37merge_sort_block_sort_config_selectorIsNS0_10empty_typeEEENS1_38merge_sort_block_merge_config_selectorIsSB_EEEEvv
	.globl	_ZN7rocprim17ROCPRIM_400000_NS6detail44device_merge_sort_compile_time_verifier_archINS1_11comp_targetILNS1_3genE3ELNS1_11target_archE908ELNS1_3gpuE7ELNS1_3repE0EEES8_NS0_14default_configES9_NS1_37merge_sort_block_sort_config_selectorIsNS0_10empty_typeEEENS1_38merge_sort_block_merge_config_selectorIsSB_EEEEvv
	.p2align	8
	.type	_ZN7rocprim17ROCPRIM_400000_NS6detail44device_merge_sort_compile_time_verifier_archINS1_11comp_targetILNS1_3genE3ELNS1_11target_archE908ELNS1_3gpuE7ELNS1_3repE0EEES8_NS0_14default_configES9_NS1_37merge_sort_block_sort_config_selectorIsNS0_10empty_typeEEENS1_38merge_sort_block_merge_config_selectorIsSB_EEEEvv,@function
_ZN7rocprim17ROCPRIM_400000_NS6detail44device_merge_sort_compile_time_verifier_archINS1_11comp_targetILNS1_3genE3ELNS1_11target_archE908ELNS1_3gpuE7ELNS1_3repE0EEES8_NS0_14default_configES9_NS1_37merge_sort_block_sort_config_selectorIsNS0_10empty_typeEEENS1_38merge_sort_block_merge_config_selectorIsSB_EEEEvv: ; @_ZN7rocprim17ROCPRIM_400000_NS6detail44device_merge_sort_compile_time_verifier_archINS1_11comp_targetILNS1_3genE3ELNS1_11target_archE908ELNS1_3gpuE7ELNS1_3repE0EEES8_NS0_14default_configES9_NS1_37merge_sort_block_sort_config_selectorIsNS0_10empty_typeEEENS1_38merge_sort_block_merge_config_selectorIsSB_EEEEvv
; %bb.0:
	s_endpgm
	.section	.rodata,"a",@progbits
	.p2align	6, 0x0
	.amdhsa_kernel _ZN7rocprim17ROCPRIM_400000_NS6detail44device_merge_sort_compile_time_verifier_archINS1_11comp_targetILNS1_3genE3ELNS1_11target_archE908ELNS1_3gpuE7ELNS1_3repE0EEES8_NS0_14default_configES9_NS1_37merge_sort_block_sort_config_selectorIsNS0_10empty_typeEEENS1_38merge_sort_block_merge_config_selectorIsSB_EEEEvv
		.amdhsa_group_segment_fixed_size 0
		.amdhsa_private_segment_fixed_size 0
		.amdhsa_kernarg_size 0
		.amdhsa_user_sgpr_count 4
		.amdhsa_user_sgpr_private_segment_buffer 1
		.amdhsa_user_sgpr_dispatch_ptr 0
		.amdhsa_user_sgpr_queue_ptr 0
		.amdhsa_user_sgpr_kernarg_segment_ptr 0
		.amdhsa_user_sgpr_dispatch_id 0
		.amdhsa_user_sgpr_flat_scratch_init 0
		.amdhsa_user_sgpr_private_segment_size 0
		.amdhsa_wavefront_size32 1
		.amdhsa_uses_dynamic_stack 0
		.amdhsa_system_sgpr_private_segment_wavefront_offset 0
		.amdhsa_system_sgpr_workgroup_id_x 1
		.amdhsa_system_sgpr_workgroup_id_y 0
		.amdhsa_system_sgpr_workgroup_id_z 0
		.amdhsa_system_sgpr_workgroup_info 0
		.amdhsa_system_vgpr_workitem_id 0
		.amdhsa_next_free_vgpr 1
		.amdhsa_next_free_sgpr 1
		.amdhsa_reserve_vcc 0
		.amdhsa_reserve_flat_scratch 0
		.amdhsa_float_round_mode_32 0
		.amdhsa_float_round_mode_16_64 0
		.amdhsa_float_denorm_mode_32 3
		.amdhsa_float_denorm_mode_16_64 3
		.amdhsa_dx10_clamp 1
		.amdhsa_ieee_mode 1
		.amdhsa_fp16_overflow 0
		.amdhsa_workgroup_processor_mode 1
		.amdhsa_memory_ordered 1
		.amdhsa_forward_progress 1
		.amdhsa_shared_vgpr_count 0
		.amdhsa_exception_fp_ieee_invalid_op 0
		.amdhsa_exception_fp_denorm_src 0
		.amdhsa_exception_fp_ieee_div_zero 0
		.amdhsa_exception_fp_ieee_overflow 0
		.amdhsa_exception_fp_ieee_underflow 0
		.amdhsa_exception_fp_ieee_inexact 0
		.amdhsa_exception_int_div_zero 0
	.end_amdhsa_kernel
	.section	.text._ZN7rocprim17ROCPRIM_400000_NS6detail44device_merge_sort_compile_time_verifier_archINS1_11comp_targetILNS1_3genE3ELNS1_11target_archE908ELNS1_3gpuE7ELNS1_3repE0EEES8_NS0_14default_configES9_NS1_37merge_sort_block_sort_config_selectorIsNS0_10empty_typeEEENS1_38merge_sort_block_merge_config_selectorIsSB_EEEEvv,"axG",@progbits,_ZN7rocprim17ROCPRIM_400000_NS6detail44device_merge_sort_compile_time_verifier_archINS1_11comp_targetILNS1_3genE3ELNS1_11target_archE908ELNS1_3gpuE7ELNS1_3repE0EEES8_NS0_14default_configES9_NS1_37merge_sort_block_sort_config_selectorIsNS0_10empty_typeEEENS1_38merge_sort_block_merge_config_selectorIsSB_EEEEvv,comdat
.Lfunc_end508:
	.size	_ZN7rocprim17ROCPRIM_400000_NS6detail44device_merge_sort_compile_time_verifier_archINS1_11comp_targetILNS1_3genE3ELNS1_11target_archE908ELNS1_3gpuE7ELNS1_3repE0EEES8_NS0_14default_configES9_NS1_37merge_sort_block_sort_config_selectorIsNS0_10empty_typeEEENS1_38merge_sort_block_merge_config_selectorIsSB_EEEEvv, .Lfunc_end508-_ZN7rocprim17ROCPRIM_400000_NS6detail44device_merge_sort_compile_time_verifier_archINS1_11comp_targetILNS1_3genE3ELNS1_11target_archE908ELNS1_3gpuE7ELNS1_3repE0EEES8_NS0_14default_configES9_NS1_37merge_sort_block_sort_config_selectorIsNS0_10empty_typeEEENS1_38merge_sort_block_merge_config_selectorIsSB_EEEEvv
                                        ; -- End function
	.set _ZN7rocprim17ROCPRIM_400000_NS6detail44device_merge_sort_compile_time_verifier_archINS1_11comp_targetILNS1_3genE3ELNS1_11target_archE908ELNS1_3gpuE7ELNS1_3repE0EEES8_NS0_14default_configES9_NS1_37merge_sort_block_sort_config_selectorIsNS0_10empty_typeEEENS1_38merge_sort_block_merge_config_selectorIsSB_EEEEvv.num_vgpr, 0
	.set _ZN7rocprim17ROCPRIM_400000_NS6detail44device_merge_sort_compile_time_verifier_archINS1_11comp_targetILNS1_3genE3ELNS1_11target_archE908ELNS1_3gpuE7ELNS1_3repE0EEES8_NS0_14default_configES9_NS1_37merge_sort_block_sort_config_selectorIsNS0_10empty_typeEEENS1_38merge_sort_block_merge_config_selectorIsSB_EEEEvv.num_agpr, 0
	.set _ZN7rocprim17ROCPRIM_400000_NS6detail44device_merge_sort_compile_time_verifier_archINS1_11comp_targetILNS1_3genE3ELNS1_11target_archE908ELNS1_3gpuE7ELNS1_3repE0EEES8_NS0_14default_configES9_NS1_37merge_sort_block_sort_config_selectorIsNS0_10empty_typeEEENS1_38merge_sort_block_merge_config_selectorIsSB_EEEEvv.numbered_sgpr, 0
	.set _ZN7rocprim17ROCPRIM_400000_NS6detail44device_merge_sort_compile_time_verifier_archINS1_11comp_targetILNS1_3genE3ELNS1_11target_archE908ELNS1_3gpuE7ELNS1_3repE0EEES8_NS0_14default_configES9_NS1_37merge_sort_block_sort_config_selectorIsNS0_10empty_typeEEENS1_38merge_sort_block_merge_config_selectorIsSB_EEEEvv.num_named_barrier, 0
	.set _ZN7rocprim17ROCPRIM_400000_NS6detail44device_merge_sort_compile_time_verifier_archINS1_11comp_targetILNS1_3genE3ELNS1_11target_archE908ELNS1_3gpuE7ELNS1_3repE0EEES8_NS0_14default_configES9_NS1_37merge_sort_block_sort_config_selectorIsNS0_10empty_typeEEENS1_38merge_sort_block_merge_config_selectorIsSB_EEEEvv.private_seg_size, 0
	.set _ZN7rocprim17ROCPRIM_400000_NS6detail44device_merge_sort_compile_time_verifier_archINS1_11comp_targetILNS1_3genE3ELNS1_11target_archE908ELNS1_3gpuE7ELNS1_3repE0EEES8_NS0_14default_configES9_NS1_37merge_sort_block_sort_config_selectorIsNS0_10empty_typeEEENS1_38merge_sort_block_merge_config_selectorIsSB_EEEEvv.uses_vcc, 0
	.set _ZN7rocprim17ROCPRIM_400000_NS6detail44device_merge_sort_compile_time_verifier_archINS1_11comp_targetILNS1_3genE3ELNS1_11target_archE908ELNS1_3gpuE7ELNS1_3repE0EEES8_NS0_14default_configES9_NS1_37merge_sort_block_sort_config_selectorIsNS0_10empty_typeEEENS1_38merge_sort_block_merge_config_selectorIsSB_EEEEvv.uses_flat_scratch, 0
	.set _ZN7rocprim17ROCPRIM_400000_NS6detail44device_merge_sort_compile_time_verifier_archINS1_11comp_targetILNS1_3genE3ELNS1_11target_archE908ELNS1_3gpuE7ELNS1_3repE0EEES8_NS0_14default_configES9_NS1_37merge_sort_block_sort_config_selectorIsNS0_10empty_typeEEENS1_38merge_sort_block_merge_config_selectorIsSB_EEEEvv.has_dyn_sized_stack, 0
	.set _ZN7rocprim17ROCPRIM_400000_NS6detail44device_merge_sort_compile_time_verifier_archINS1_11comp_targetILNS1_3genE3ELNS1_11target_archE908ELNS1_3gpuE7ELNS1_3repE0EEES8_NS0_14default_configES9_NS1_37merge_sort_block_sort_config_selectorIsNS0_10empty_typeEEENS1_38merge_sort_block_merge_config_selectorIsSB_EEEEvv.has_recursion, 0
	.set _ZN7rocprim17ROCPRIM_400000_NS6detail44device_merge_sort_compile_time_verifier_archINS1_11comp_targetILNS1_3genE3ELNS1_11target_archE908ELNS1_3gpuE7ELNS1_3repE0EEES8_NS0_14default_configES9_NS1_37merge_sort_block_sort_config_selectorIsNS0_10empty_typeEEENS1_38merge_sort_block_merge_config_selectorIsSB_EEEEvv.has_indirect_call, 0
	.section	.AMDGPU.csdata,"",@progbits
; Kernel info:
; codeLenInByte = 4
; TotalNumSgprs: 0
; NumVgprs: 0
; ScratchSize: 0
; MemoryBound: 0
; FloatMode: 240
; IeeeMode: 1
; LDSByteSize: 0 bytes/workgroup (compile time only)
; SGPRBlocks: 0
; VGPRBlocks: 0
; NumSGPRsForWavesPerEU: 1
; NumVGPRsForWavesPerEU: 1
; Occupancy: 16
; WaveLimiterHint : 0
; COMPUTE_PGM_RSRC2:SCRATCH_EN: 0
; COMPUTE_PGM_RSRC2:USER_SGPR: 4
; COMPUTE_PGM_RSRC2:TRAP_HANDLER: 0
; COMPUTE_PGM_RSRC2:TGID_X_EN: 1
; COMPUTE_PGM_RSRC2:TGID_Y_EN: 0
; COMPUTE_PGM_RSRC2:TGID_Z_EN: 0
; COMPUTE_PGM_RSRC2:TIDIG_COMP_CNT: 0
	.section	.text._ZN7rocprim17ROCPRIM_400000_NS6detail44device_merge_sort_compile_time_verifier_archINS1_11comp_targetILNS1_3genE2ELNS1_11target_archE906ELNS1_3gpuE6ELNS1_3repE0EEES8_NS0_14default_configES9_NS1_37merge_sort_block_sort_config_selectorIsNS0_10empty_typeEEENS1_38merge_sort_block_merge_config_selectorIsSB_EEEEvv,"axG",@progbits,_ZN7rocprim17ROCPRIM_400000_NS6detail44device_merge_sort_compile_time_verifier_archINS1_11comp_targetILNS1_3genE2ELNS1_11target_archE906ELNS1_3gpuE6ELNS1_3repE0EEES8_NS0_14default_configES9_NS1_37merge_sort_block_sort_config_selectorIsNS0_10empty_typeEEENS1_38merge_sort_block_merge_config_selectorIsSB_EEEEvv,comdat
	.protected	_ZN7rocprim17ROCPRIM_400000_NS6detail44device_merge_sort_compile_time_verifier_archINS1_11comp_targetILNS1_3genE2ELNS1_11target_archE906ELNS1_3gpuE6ELNS1_3repE0EEES8_NS0_14default_configES9_NS1_37merge_sort_block_sort_config_selectorIsNS0_10empty_typeEEENS1_38merge_sort_block_merge_config_selectorIsSB_EEEEvv ; -- Begin function _ZN7rocprim17ROCPRIM_400000_NS6detail44device_merge_sort_compile_time_verifier_archINS1_11comp_targetILNS1_3genE2ELNS1_11target_archE906ELNS1_3gpuE6ELNS1_3repE0EEES8_NS0_14default_configES9_NS1_37merge_sort_block_sort_config_selectorIsNS0_10empty_typeEEENS1_38merge_sort_block_merge_config_selectorIsSB_EEEEvv
	.globl	_ZN7rocprim17ROCPRIM_400000_NS6detail44device_merge_sort_compile_time_verifier_archINS1_11comp_targetILNS1_3genE2ELNS1_11target_archE906ELNS1_3gpuE6ELNS1_3repE0EEES8_NS0_14default_configES9_NS1_37merge_sort_block_sort_config_selectorIsNS0_10empty_typeEEENS1_38merge_sort_block_merge_config_selectorIsSB_EEEEvv
	.p2align	8
	.type	_ZN7rocprim17ROCPRIM_400000_NS6detail44device_merge_sort_compile_time_verifier_archINS1_11comp_targetILNS1_3genE2ELNS1_11target_archE906ELNS1_3gpuE6ELNS1_3repE0EEES8_NS0_14default_configES9_NS1_37merge_sort_block_sort_config_selectorIsNS0_10empty_typeEEENS1_38merge_sort_block_merge_config_selectorIsSB_EEEEvv,@function
_ZN7rocprim17ROCPRIM_400000_NS6detail44device_merge_sort_compile_time_verifier_archINS1_11comp_targetILNS1_3genE2ELNS1_11target_archE906ELNS1_3gpuE6ELNS1_3repE0EEES8_NS0_14default_configES9_NS1_37merge_sort_block_sort_config_selectorIsNS0_10empty_typeEEENS1_38merge_sort_block_merge_config_selectorIsSB_EEEEvv: ; @_ZN7rocprim17ROCPRIM_400000_NS6detail44device_merge_sort_compile_time_verifier_archINS1_11comp_targetILNS1_3genE2ELNS1_11target_archE906ELNS1_3gpuE6ELNS1_3repE0EEES8_NS0_14default_configES9_NS1_37merge_sort_block_sort_config_selectorIsNS0_10empty_typeEEENS1_38merge_sort_block_merge_config_selectorIsSB_EEEEvv
; %bb.0:
	s_endpgm
	.section	.rodata,"a",@progbits
	.p2align	6, 0x0
	.amdhsa_kernel _ZN7rocprim17ROCPRIM_400000_NS6detail44device_merge_sort_compile_time_verifier_archINS1_11comp_targetILNS1_3genE2ELNS1_11target_archE906ELNS1_3gpuE6ELNS1_3repE0EEES8_NS0_14default_configES9_NS1_37merge_sort_block_sort_config_selectorIsNS0_10empty_typeEEENS1_38merge_sort_block_merge_config_selectorIsSB_EEEEvv
		.amdhsa_group_segment_fixed_size 0
		.amdhsa_private_segment_fixed_size 0
		.amdhsa_kernarg_size 0
		.amdhsa_user_sgpr_count 4
		.amdhsa_user_sgpr_private_segment_buffer 1
		.amdhsa_user_sgpr_dispatch_ptr 0
		.amdhsa_user_sgpr_queue_ptr 0
		.amdhsa_user_sgpr_kernarg_segment_ptr 0
		.amdhsa_user_sgpr_dispatch_id 0
		.amdhsa_user_sgpr_flat_scratch_init 0
		.amdhsa_user_sgpr_private_segment_size 0
		.amdhsa_wavefront_size32 1
		.amdhsa_uses_dynamic_stack 0
		.amdhsa_system_sgpr_private_segment_wavefront_offset 0
		.amdhsa_system_sgpr_workgroup_id_x 1
		.amdhsa_system_sgpr_workgroup_id_y 0
		.amdhsa_system_sgpr_workgroup_id_z 0
		.amdhsa_system_sgpr_workgroup_info 0
		.amdhsa_system_vgpr_workitem_id 0
		.amdhsa_next_free_vgpr 1
		.amdhsa_next_free_sgpr 1
		.amdhsa_reserve_vcc 0
		.amdhsa_reserve_flat_scratch 0
		.amdhsa_float_round_mode_32 0
		.amdhsa_float_round_mode_16_64 0
		.amdhsa_float_denorm_mode_32 3
		.amdhsa_float_denorm_mode_16_64 3
		.amdhsa_dx10_clamp 1
		.amdhsa_ieee_mode 1
		.amdhsa_fp16_overflow 0
		.amdhsa_workgroup_processor_mode 1
		.amdhsa_memory_ordered 1
		.amdhsa_forward_progress 1
		.amdhsa_shared_vgpr_count 0
		.amdhsa_exception_fp_ieee_invalid_op 0
		.amdhsa_exception_fp_denorm_src 0
		.amdhsa_exception_fp_ieee_div_zero 0
		.amdhsa_exception_fp_ieee_overflow 0
		.amdhsa_exception_fp_ieee_underflow 0
		.amdhsa_exception_fp_ieee_inexact 0
		.amdhsa_exception_int_div_zero 0
	.end_amdhsa_kernel
	.section	.text._ZN7rocprim17ROCPRIM_400000_NS6detail44device_merge_sort_compile_time_verifier_archINS1_11comp_targetILNS1_3genE2ELNS1_11target_archE906ELNS1_3gpuE6ELNS1_3repE0EEES8_NS0_14default_configES9_NS1_37merge_sort_block_sort_config_selectorIsNS0_10empty_typeEEENS1_38merge_sort_block_merge_config_selectorIsSB_EEEEvv,"axG",@progbits,_ZN7rocprim17ROCPRIM_400000_NS6detail44device_merge_sort_compile_time_verifier_archINS1_11comp_targetILNS1_3genE2ELNS1_11target_archE906ELNS1_3gpuE6ELNS1_3repE0EEES8_NS0_14default_configES9_NS1_37merge_sort_block_sort_config_selectorIsNS0_10empty_typeEEENS1_38merge_sort_block_merge_config_selectorIsSB_EEEEvv,comdat
.Lfunc_end509:
	.size	_ZN7rocprim17ROCPRIM_400000_NS6detail44device_merge_sort_compile_time_verifier_archINS1_11comp_targetILNS1_3genE2ELNS1_11target_archE906ELNS1_3gpuE6ELNS1_3repE0EEES8_NS0_14default_configES9_NS1_37merge_sort_block_sort_config_selectorIsNS0_10empty_typeEEENS1_38merge_sort_block_merge_config_selectorIsSB_EEEEvv, .Lfunc_end509-_ZN7rocprim17ROCPRIM_400000_NS6detail44device_merge_sort_compile_time_verifier_archINS1_11comp_targetILNS1_3genE2ELNS1_11target_archE906ELNS1_3gpuE6ELNS1_3repE0EEES8_NS0_14default_configES9_NS1_37merge_sort_block_sort_config_selectorIsNS0_10empty_typeEEENS1_38merge_sort_block_merge_config_selectorIsSB_EEEEvv
                                        ; -- End function
	.set _ZN7rocprim17ROCPRIM_400000_NS6detail44device_merge_sort_compile_time_verifier_archINS1_11comp_targetILNS1_3genE2ELNS1_11target_archE906ELNS1_3gpuE6ELNS1_3repE0EEES8_NS0_14default_configES9_NS1_37merge_sort_block_sort_config_selectorIsNS0_10empty_typeEEENS1_38merge_sort_block_merge_config_selectorIsSB_EEEEvv.num_vgpr, 0
	.set _ZN7rocprim17ROCPRIM_400000_NS6detail44device_merge_sort_compile_time_verifier_archINS1_11comp_targetILNS1_3genE2ELNS1_11target_archE906ELNS1_3gpuE6ELNS1_3repE0EEES8_NS0_14default_configES9_NS1_37merge_sort_block_sort_config_selectorIsNS0_10empty_typeEEENS1_38merge_sort_block_merge_config_selectorIsSB_EEEEvv.num_agpr, 0
	.set _ZN7rocprim17ROCPRIM_400000_NS6detail44device_merge_sort_compile_time_verifier_archINS1_11comp_targetILNS1_3genE2ELNS1_11target_archE906ELNS1_3gpuE6ELNS1_3repE0EEES8_NS0_14default_configES9_NS1_37merge_sort_block_sort_config_selectorIsNS0_10empty_typeEEENS1_38merge_sort_block_merge_config_selectorIsSB_EEEEvv.numbered_sgpr, 0
	.set _ZN7rocprim17ROCPRIM_400000_NS6detail44device_merge_sort_compile_time_verifier_archINS1_11comp_targetILNS1_3genE2ELNS1_11target_archE906ELNS1_3gpuE6ELNS1_3repE0EEES8_NS0_14default_configES9_NS1_37merge_sort_block_sort_config_selectorIsNS0_10empty_typeEEENS1_38merge_sort_block_merge_config_selectorIsSB_EEEEvv.num_named_barrier, 0
	.set _ZN7rocprim17ROCPRIM_400000_NS6detail44device_merge_sort_compile_time_verifier_archINS1_11comp_targetILNS1_3genE2ELNS1_11target_archE906ELNS1_3gpuE6ELNS1_3repE0EEES8_NS0_14default_configES9_NS1_37merge_sort_block_sort_config_selectorIsNS0_10empty_typeEEENS1_38merge_sort_block_merge_config_selectorIsSB_EEEEvv.private_seg_size, 0
	.set _ZN7rocprim17ROCPRIM_400000_NS6detail44device_merge_sort_compile_time_verifier_archINS1_11comp_targetILNS1_3genE2ELNS1_11target_archE906ELNS1_3gpuE6ELNS1_3repE0EEES8_NS0_14default_configES9_NS1_37merge_sort_block_sort_config_selectorIsNS0_10empty_typeEEENS1_38merge_sort_block_merge_config_selectorIsSB_EEEEvv.uses_vcc, 0
	.set _ZN7rocprim17ROCPRIM_400000_NS6detail44device_merge_sort_compile_time_verifier_archINS1_11comp_targetILNS1_3genE2ELNS1_11target_archE906ELNS1_3gpuE6ELNS1_3repE0EEES8_NS0_14default_configES9_NS1_37merge_sort_block_sort_config_selectorIsNS0_10empty_typeEEENS1_38merge_sort_block_merge_config_selectorIsSB_EEEEvv.uses_flat_scratch, 0
	.set _ZN7rocprim17ROCPRIM_400000_NS6detail44device_merge_sort_compile_time_verifier_archINS1_11comp_targetILNS1_3genE2ELNS1_11target_archE906ELNS1_3gpuE6ELNS1_3repE0EEES8_NS0_14default_configES9_NS1_37merge_sort_block_sort_config_selectorIsNS0_10empty_typeEEENS1_38merge_sort_block_merge_config_selectorIsSB_EEEEvv.has_dyn_sized_stack, 0
	.set _ZN7rocprim17ROCPRIM_400000_NS6detail44device_merge_sort_compile_time_verifier_archINS1_11comp_targetILNS1_3genE2ELNS1_11target_archE906ELNS1_3gpuE6ELNS1_3repE0EEES8_NS0_14default_configES9_NS1_37merge_sort_block_sort_config_selectorIsNS0_10empty_typeEEENS1_38merge_sort_block_merge_config_selectorIsSB_EEEEvv.has_recursion, 0
	.set _ZN7rocprim17ROCPRIM_400000_NS6detail44device_merge_sort_compile_time_verifier_archINS1_11comp_targetILNS1_3genE2ELNS1_11target_archE906ELNS1_3gpuE6ELNS1_3repE0EEES8_NS0_14default_configES9_NS1_37merge_sort_block_sort_config_selectorIsNS0_10empty_typeEEENS1_38merge_sort_block_merge_config_selectorIsSB_EEEEvv.has_indirect_call, 0
	.section	.AMDGPU.csdata,"",@progbits
; Kernel info:
; codeLenInByte = 4
; TotalNumSgprs: 0
; NumVgprs: 0
; ScratchSize: 0
; MemoryBound: 0
; FloatMode: 240
; IeeeMode: 1
; LDSByteSize: 0 bytes/workgroup (compile time only)
; SGPRBlocks: 0
; VGPRBlocks: 0
; NumSGPRsForWavesPerEU: 1
; NumVGPRsForWavesPerEU: 1
; Occupancy: 16
; WaveLimiterHint : 0
; COMPUTE_PGM_RSRC2:SCRATCH_EN: 0
; COMPUTE_PGM_RSRC2:USER_SGPR: 4
; COMPUTE_PGM_RSRC2:TRAP_HANDLER: 0
; COMPUTE_PGM_RSRC2:TGID_X_EN: 1
; COMPUTE_PGM_RSRC2:TGID_Y_EN: 0
; COMPUTE_PGM_RSRC2:TGID_Z_EN: 0
; COMPUTE_PGM_RSRC2:TIDIG_COMP_CNT: 0
	.section	.text._ZN7rocprim17ROCPRIM_400000_NS6detail44device_merge_sort_compile_time_verifier_archINS1_11comp_targetILNS1_3genE10ELNS1_11target_archE1201ELNS1_3gpuE5ELNS1_3repE0EEES8_NS0_14default_configES9_NS1_37merge_sort_block_sort_config_selectorIsNS0_10empty_typeEEENS1_38merge_sort_block_merge_config_selectorIsSB_EEEEvv,"axG",@progbits,_ZN7rocprim17ROCPRIM_400000_NS6detail44device_merge_sort_compile_time_verifier_archINS1_11comp_targetILNS1_3genE10ELNS1_11target_archE1201ELNS1_3gpuE5ELNS1_3repE0EEES8_NS0_14default_configES9_NS1_37merge_sort_block_sort_config_selectorIsNS0_10empty_typeEEENS1_38merge_sort_block_merge_config_selectorIsSB_EEEEvv,comdat
	.protected	_ZN7rocprim17ROCPRIM_400000_NS6detail44device_merge_sort_compile_time_verifier_archINS1_11comp_targetILNS1_3genE10ELNS1_11target_archE1201ELNS1_3gpuE5ELNS1_3repE0EEES8_NS0_14default_configES9_NS1_37merge_sort_block_sort_config_selectorIsNS0_10empty_typeEEENS1_38merge_sort_block_merge_config_selectorIsSB_EEEEvv ; -- Begin function _ZN7rocprim17ROCPRIM_400000_NS6detail44device_merge_sort_compile_time_verifier_archINS1_11comp_targetILNS1_3genE10ELNS1_11target_archE1201ELNS1_3gpuE5ELNS1_3repE0EEES8_NS0_14default_configES9_NS1_37merge_sort_block_sort_config_selectorIsNS0_10empty_typeEEENS1_38merge_sort_block_merge_config_selectorIsSB_EEEEvv
	.globl	_ZN7rocprim17ROCPRIM_400000_NS6detail44device_merge_sort_compile_time_verifier_archINS1_11comp_targetILNS1_3genE10ELNS1_11target_archE1201ELNS1_3gpuE5ELNS1_3repE0EEES8_NS0_14default_configES9_NS1_37merge_sort_block_sort_config_selectorIsNS0_10empty_typeEEENS1_38merge_sort_block_merge_config_selectorIsSB_EEEEvv
	.p2align	8
	.type	_ZN7rocprim17ROCPRIM_400000_NS6detail44device_merge_sort_compile_time_verifier_archINS1_11comp_targetILNS1_3genE10ELNS1_11target_archE1201ELNS1_3gpuE5ELNS1_3repE0EEES8_NS0_14default_configES9_NS1_37merge_sort_block_sort_config_selectorIsNS0_10empty_typeEEENS1_38merge_sort_block_merge_config_selectorIsSB_EEEEvv,@function
_ZN7rocprim17ROCPRIM_400000_NS6detail44device_merge_sort_compile_time_verifier_archINS1_11comp_targetILNS1_3genE10ELNS1_11target_archE1201ELNS1_3gpuE5ELNS1_3repE0EEES8_NS0_14default_configES9_NS1_37merge_sort_block_sort_config_selectorIsNS0_10empty_typeEEENS1_38merge_sort_block_merge_config_selectorIsSB_EEEEvv: ; @_ZN7rocprim17ROCPRIM_400000_NS6detail44device_merge_sort_compile_time_verifier_archINS1_11comp_targetILNS1_3genE10ELNS1_11target_archE1201ELNS1_3gpuE5ELNS1_3repE0EEES8_NS0_14default_configES9_NS1_37merge_sort_block_sort_config_selectorIsNS0_10empty_typeEEENS1_38merge_sort_block_merge_config_selectorIsSB_EEEEvv
; %bb.0:
	s_endpgm
	.section	.rodata,"a",@progbits
	.p2align	6, 0x0
	.amdhsa_kernel _ZN7rocprim17ROCPRIM_400000_NS6detail44device_merge_sort_compile_time_verifier_archINS1_11comp_targetILNS1_3genE10ELNS1_11target_archE1201ELNS1_3gpuE5ELNS1_3repE0EEES8_NS0_14default_configES9_NS1_37merge_sort_block_sort_config_selectorIsNS0_10empty_typeEEENS1_38merge_sort_block_merge_config_selectorIsSB_EEEEvv
		.amdhsa_group_segment_fixed_size 0
		.amdhsa_private_segment_fixed_size 0
		.amdhsa_kernarg_size 0
		.amdhsa_user_sgpr_count 4
		.amdhsa_user_sgpr_private_segment_buffer 1
		.amdhsa_user_sgpr_dispatch_ptr 0
		.amdhsa_user_sgpr_queue_ptr 0
		.amdhsa_user_sgpr_kernarg_segment_ptr 0
		.amdhsa_user_sgpr_dispatch_id 0
		.amdhsa_user_sgpr_flat_scratch_init 0
		.amdhsa_user_sgpr_private_segment_size 0
		.amdhsa_wavefront_size32 1
		.amdhsa_uses_dynamic_stack 0
		.amdhsa_system_sgpr_private_segment_wavefront_offset 0
		.amdhsa_system_sgpr_workgroup_id_x 1
		.amdhsa_system_sgpr_workgroup_id_y 0
		.amdhsa_system_sgpr_workgroup_id_z 0
		.amdhsa_system_sgpr_workgroup_info 0
		.amdhsa_system_vgpr_workitem_id 0
		.amdhsa_next_free_vgpr 1
		.amdhsa_next_free_sgpr 1
		.amdhsa_reserve_vcc 0
		.amdhsa_reserve_flat_scratch 0
		.amdhsa_float_round_mode_32 0
		.amdhsa_float_round_mode_16_64 0
		.amdhsa_float_denorm_mode_32 3
		.amdhsa_float_denorm_mode_16_64 3
		.amdhsa_dx10_clamp 1
		.amdhsa_ieee_mode 1
		.amdhsa_fp16_overflow 0
		.amdhsa_workgroup_processor_mode 1
		.amdhsa_memory_ordered 1
		.amdhsa_forward_progress 1
		.amdhsa_shared_vgpr_count 0
		.amdhsa_exception_fp_ieee_invalid_op 0
		.amdhsa_exception_fp_denorm_src 0
		.amdhsa_exception_fp_ieee_div_zero 0
		.amdhsa_exception_fp_ieee_overflow 0
		.amdhsa_exception_fp_ieee_underflow 0
		.amdhsa_exception_fp_ieee_inexact 0
		.amdhsa_exception_int_div_zero 0
	.end_amdhsa_kernel
	.section	.text._ZN7rocprim17ROCPRIM_400000_NS6detail44device_merge_sort_compile_time_verifier_archINS1_11comp_targetILNS1_3genE10ELNS1_11target_archE1201ELNS1_3gpuE5ELNS1_3repE0EEES8_NS0_14default_configES9_NS1_37merge_sort_block_sort_config_selectorIsNS0_10empty_typeEEENS1_38merge_sort_block_merge_config_selectorIsSB_EEEEvv,"axG",@progbits,_ZN7rocprim17ROCPRIM_400000_NS6detail44device_merge_sort_compile_time_verifier_archINS1_11comp_targetILNS1_3genE10ELNS1_11target_archE1201ELNS1_3gpuE5ELNS1_3repE0EEES8_NS0_14default_configES9_NS1_37merge_sort_block_sort_config_selectorIsNS0_10empty_typeEEENS1_38merge_sort_block_merge_config_selectorIsSB_EEEEvv,comdat
.Lfunc_end510:
	.size	_ZN7rocprim17ROCPRIM_400000_NS6detail44device_merge_sort_compile_time_verifier_archINS1_11comp_targetILNS1_3genE10ELNS1_11target_archE1201ELNS1_3gpuE5ELNS1_3repE0EEES8_NS0_14default_configES9_NS1_37merge_sort_block_sort_config_selectorIsNS0_10empty_typeEEENS1_38merge_sort_block_merge_config_selectorIsSB_EEEEvv, .Lfunc_end510-_ZN7rocprim17ROCPRIM_400000_NS6detail44device_merge_sort_compile_time_verifier_archINS1_11comp_targetILNS1_3genE10ELNS1_11target_archE1201ELNS1_3gpuE5ELNS1_3repE0EEES8_NS0_14default_configES9_NS1_37merge_sort_block_sort_config_selectorIsNS0_10empty_typeEEENS1_38merge_sort_block_merge_config_selectorIsSB_EEEEvv
                                        ; -- End function
	.set _ZN7rocprim17ROCPRIM_400000_NS6detail44device_merge_sort_compile_time_verifier_archINS1_11comp_targetILNS1_3genE10ELNS1_11target_archE1201ELNS1_3gpuE5ELNS1_3repE0EEES8_NS0_14default_configES9_NS1_37merge_sort_block_sort_config_selectorIsNS0_10empty_typeEEENS1_38merge_sort_block_merge_config_selectorIsSB_EEEEvv.num_vgpr, 0
	.set _ZN7rocprim17ROCPRIM_400000_NS6detail44device_merge_sort_compile_time_verifier_archINS1_11comp_targetILNS1_3genE10ELNS1_11target_archE1201ELNS1_3gpuE5ELNS1_3repE0EEES8_NS0_14default_configES9_NS1_37merge_sort_block_sort_config_selectorIsNS0_10empty_typeEEENS1_38merge_sort_block_merge_config_selectorIsSB_EEEEvv.num_agpr, 0
	.set _ZN7rocprim17ROCPRIM_400000_NS6detail44device_merge_sort_compile_time_verifier_archINS1_11comp_targetILNS1_3genE10ELNS1_11target_archE1201ELNS1_3gpuE5ELNS1_3repE0EEES8_NS0_14default_configES9_NS1_37merge_sort_block_sort_config_selectorIsNS0_10empty_typeEEENS1_38merge_sort_block_merge_config_selectorIsSB_EEEEvv.numbered_sgpr, 0
	.set _ZN7rocprim17ROCPRIM_400000_NS6detail44device_merge_sort_compile_time_verifier_archINS1_11comp_targetILNS1_3genE10ELNS1_11target_archE1201ELNS1_3gpuE5ELNS1_3repE0EEES8_NS0_14default_configES9_NS1_37merge_sort_block_sort_config_selectorIsNS0_10empty_typeEEENS1_38merge_sort_block_merge_config_selectorIsSB_EEEEvv.num_named_barrier, 0
	.set _ZN7rocprim17ROCPRIM_400000_NS6detail44device_merge_sort_compile_time_verifier_archINS1_11comp_targetILNS1_3genE10ELNS1_11target_archE1201ELNS1_3gpuE5ELNS1_3repE0EEES8_NS0_14default_configES9_NS1_37merge_sort_block_sort_config_selectorIsNS0_10empty_typeEEENS1_38merge_sort_block_merge_config_selectorIsSB_EEEEvv.private_seg_size, 0
	.set _ZN7rocprim17ROCPRIM_400000_NS6detail44device_merge_sort_compile_time_verifier_archINS1_11comp_targetILNS1_3genE10ELNS1_11target_archE1201ELNS1_3gpuE5ELNS1_3repE0EEES8_NS0_14default_configES9_NS1_37merge_sort_block_sort_config_selectorIsNS0_10empty_typeEEENS1_38merge_sort_block_merge_config_selectorIsSB_EEEEvv.uses_vcc, 0
	.set _ZN7rocprim17ROCPRIM_400000_NS6detail44device_merge_sort_compile_time_verifier_archINS1_11comp_targetILNS1_3genE10ELNS1_11target_archE1201ELNS1_3gpuE5ELNS1_3repE0EEES8_NS0_14default_configES9_NS1_37merge_sort_block_sort_config_selectorIsNS0_10empty_typeEEENS1_38merge_sort_block_merge_config_selectorIsSB_EEEEvv.uses_flat_scratch, 0
	.set _ZN7rocprim17ROCPRIM_400000_NS6detail44device_merge_sort_compile_time_verifier_archINS1_11comp_targetILNS1_3genE10ELNS1_11target_archE1201ELNS1_3gpuE5ELNS1_3repE0EEES8_NS0_14default_configES9_NS1_37merge_sort_block_sort_config_selectorIsNS0_10empty_typeEEENS1_38merge_sort_block_merge_config_selectorIsSB_EEEEvv.has_dyn_sized_stack, 0
	.set _ZN7rocprim17ROCPRIM_400000_NS6detail44device_merge_sort_compile_time_verifier_archINS1_11comp_targetILNS1_3genE10ELNS1_11target_archE1201ELNS1_3gpuE5ELNS1_3repE0EEES8_NS0_14default_configES9_NS1_37merge_sort_block_sort_config_selectorIsNS0_10empty_typeEEENS1_38merge_sort_block_merge_config_selectorIsSB_EEEEvv.has_recursion, 0
	.set _ZN7rocprim17ROCPRIM_400000_NS6detail44device_merge_sort_compile_time_verifier_archINS1_11comp_targetILNS1_3genE10ELNS1_11target_archE1201ELNS1_3gpuE5ELNS1_3repE0EEES8_NS0_14default_configES9_NS1_37merge_sort_block_sort_config_selectorIsNS0_10empty_typeEEENS1_38merge_sort_block_merge_config_selectorIsSB_EEEEvv.has_indirect_call, 0
	.section	.AMDGPU.csdata,"",@progbits
; Kernel info:
; codeLenInByte = 4
; TotalNumSgprs: 0
; NumVgprs: 0
; ScratchSize: 0
; MemoryBound: 0
; FloatMode: 240
; IeeeMode: 1
; LDSByteSize: 0 bytes/workgroup (compile time only)
; SGPRBlocks: 0
; VGPRBlocks: 0
; NumSGPRsForWavesPerEU: 1
; NumVGPRsForWavesPerEU: 1
; Occupancy: 16
; WaveLimiterHint : 0
; COMPUTE_PGM_RSRC2:SCRATCH_EN: 0
; COMPUTE_PGM_RSRC2:USER_SGPR: 4
; COMPUTE_PGM_RSRC2:TRAP_HANDLER: 0
; COMPUTE_PGM_RSRC2:TGID_X_EN: 1
; COMPUTE_PGM_RSRC2:TGID_Y_EN: 0
; COMPUTE_PGM_RSRC2:TGID_Z_EN: 0
; COMPUTE_PGM_RSRC2:TIDIG_COMP_CNT: 0
	.section	.text._ZN7rocprim17ROCPRIM_400000_NS6detail44device_merge_sort_compile_time_verifier_archINS1_11comp_targetILNS1_3genE10ELNS1_11target_archE1200ELNS1_3gpuE4ELNS1_3repE0EEENS3_ILS4_10ELS5_1201ELS6_5ELS7_0EEENS0_14default_configESA_NS1_37merge_sort_block_sort_config_selectorIsNS0_10empty_typeEEENS1_38merge_sort_block_merge_config_selectorIsSC_EEEEvv,"axG",@progbits,_ZN7rocprim17ROCPRIM_400000_NS6detail44device_merge_sort_compile_time_verifier_archINS1_11comp_targetILNS1_3genE10ELNS1_11target_archE1200ELNS1_3gpuE4ELNS1_3repE0EEENS3_ILS4_10ELS5_1201ELS6_5ELS7_0EEENS0_14default_configESA_NS1_37merge_sort_block_sort_config_selectorIsNS0_10empty_typeEEENS1_38merge_sort_block_merge_config_selectorIsSC_EEEEvv,comdat
	.protected	_ZN7rocprim17ROCPRIM_400000_NS6detail44device_merge_sort_compile_time_verifier_archINS1_11comp_targetILNS1_3genE10ELNS1_11target_archE1200ELNS1_3gpuE4ELNS1_3repE0EEENS3_ILS4_10ELS5_1201ELS6_5ELS7_0EEENS0_14default_configESA_NS1_37merge_sort_block_sort_config_selectorIsNS0_10empty_typeEEENS1_38merge_sort_block_merge_config_selectorIsSC_EEEEvv ; -- Begin function _ZN7rocprim17ROCPRIM_400000_NS6detail44device_merge_sort_compile_time_verifier_archINS1_11comp_targetILNS1_3genE10ELNS1_11target_archE1200ELNS1_3gpuE4ELNS1_3repE0EEENS3_ILS4_10ELS5_1201ELS6_5ELS7_0EEENS0_14default_configESA_NS1_37merge_sort_block_sort_config_selectorIsNS0_10empty_typeEEENS1_38merge_sort_block_merge_config_selectorIsSC_EEEEvv
	.globl	_ZN7rocprim17ROCPRIM_400000_NS6detail44device_merge_sort_compile_time_verifier_archINS1_11comp_targetILNS1_3genE10ELNS1_11target_archE1200ELNS1_3gpuE4ELNS1_3repE0EEENS3_ILS4_10ELS5_1201ELS6_5ELS7_0EEENS0_14default_configESA_NS1_37merge_sort_block_sort_config_selectorIsNS0_10empty_typeEEENS1_38merge_sort_block_merge_config_selectorIsSC_EEEEvv
	.p2align	8
	.type	_ZN7rocprim17ROCPRIM_400000_NS6detail44device_merge_sort_compile_time_verifier_archINS1_11comp_targetILNS1_3genE10ELNS1_11target_archE1200ELNS1_3gpuE4ELNS1_3repE0EEENS3_ILS4_10ELS5_1201ELS6_5ELS7_0EEENS0_14default_configESA_NS1_37merge_sort_block_sort_config_selectorIsNS0_10empty_typeEEENS1_38merge_sort_block_merge_config_selectorIsSC_EEEEvv,@function
_ZN7rocprim17ROCPRIM_400000_NS6detail44device_merge_sort_compile_time_verifier_archINS1_11comp_targetILNS1_3genE10ELNS1_11target_archE1200ELNS1_3gpuE4ELNS1_3repE0EEENS3_ILS4_10ELS5_1201ELS6_5ELS7_0EEENS0_14default_configESA_NS1_37merge_sort_block_sort_config_selectorIsNS0_10empty_typeEEENS1_38merge_sort_block_merge_config_selectorIsSC_EEEEvv: ; @_ZN7rocprim17ROCPRIM_400000_NS6detail44device_merge_sort_compile_time_verifier_archINS1_11comp_targetILNS1_3genE10ELNS1_11target_archE1200ELNS1_3gpuE4ELNS1_3repE0EEENS3_ILS4_10ELS5_1201ELS6_5ELS7_0EEENS0_14default_configESA_NS1_37merge_sort_block_sort_config_selectorIsNS0_10empty_typeEEENS1_38merge_sort_block_merge_config_selectorIsSC_EEEEvv
; %bb.0:
	s_endpgm
	.section	.rodata,"a",@progbits
	.p2align	6, 0x0
	.amdhsa_kernel _ZN7rocprim17ROCPRIM_400000_NS6detail44device_merge_sort_compile_time_verifier_archINS1_11comp_targetILNS1_3genE10ELNS1_11target_archE1200ELNS1_3gpuE4ELNS1_3repE0EEENS3_ILS4_10ELS5_1201ELS6_5ELS7_0EEENS0_14default_configESA_NS1_37merge_sort_block_sort_config_selectorIsNS0_10empty_typeEEENS1_38merge_sort_block_merge_config_selectorIsSC_EEEEvv
		.amdhsa_group_segment_fixed_size 0
		.amdhsa_private_segment_fixed_size 0
		.amdhsa_kernarg_size 0
		.amdhsa_user_sgpr_count 4
		.amdhsa_user_sgpr_private_segment_buffer 1
		.amdhsa_user_sgpr_dispatch_ptr 0
		.amdhsa_user_sgpr_queue_ptr 0
		.amdhsa_user_sgpr_kernarg_segment_ptr 0
		.amdhsa_user_sgpr_dispatch_id 0
		.amdhsa_user_sgpr_flat_scratch_init 0
		.amdhsa_user_sgpr_private_segment_size 0
		.amdhsa_wavefront_size32 1
		.amdhsa_uses_dynamic_stack 0
		.amdhsa_system_sgpr_private_segment_wavefront_offset 0
		.amdhsa_system_sgpr_workgroup_id_x 1
		.amdhsa_system_sgpr_workgroup_id_y 0
		.amdhsa_system_sgpr_workgroup_id_z 0
		.amdhsa_system_sgpr_workgroup_info 0
		.amdhsa_system_vgpr_workitem_id 0
		.amdhsa_next_free_vgpr 1
		.amdhsa_next_free_sgpr 1
		.amdhsa_reserve_vcc 0
		.amdhsa_reserve_flat_scratch 0
		.amdhsa_float_round_mode_32 0
		.amdhsa_float_round_mode_16_64 0
		.amdhsa_float_denorm_mode_32 3
		.amdhsa_float_denorm_mode_16_64 3
		.amdhsa_dx10_clamp 1
		.amdhsa_ieee_mode 1
		.amdhsa_fp16_overflow 0
		.amdhsa_workgroup_processor_mode 1
		.amdhsa_memory_ordered 1
		.amdhsa_forward_progress 1
		.amdhsa_shared_vgpr_count 0
		.amdhsa_exception_fp_ieee_invalid_op 0
		.amdhsa_exception_fp_denorm_src 0
		.amdhsa_exception_fp_ieee_div_zero 0
		.amdhsa_exception_fp_ieee_overflow 0
		.amdhsa_exception_fp_ieee_underflow 0
		.amdhsa_exception_fp_ieee_inexact 0
		.amdhsa_exception_int_div_zero 0
	.end_amdhsa_kernel
	.section	.text._ZN7rocprim17ROCPRIM_400000_NS6detail44device_merge_sort_compile_time_verifier_archINS1_11comp_targetILNS1_3genE10ELNS1_11target_archE1200ELNS1_3gpuE4ELNS1_3repE0EEENS3_ILS4_10ELS5_1201ELS6_5ELS7_0EEENS0_14default_configESA_NS1_37merge_sort_block_sort_config_selectorIsNS0_10empty_typeEEENS1_38merge_sort_block_merge_config_selectorIsSC_EEEEvv,"axG",@progbits,_ZN7rocprim17ROCPRIM_400000_NS6detail44device_merge_sort_compile_time_verifier_archINS1_11comp_targetILNS1_3genE10ELNS1_11target_archE1200ELNS1_3gpuE4ELNS1_3repE0EEENS3_ILS4_10ELS5_1201ELS6_5ELS7_0EEENS0_14default_configESA_NS1_37merge_sort_block_sort_config_selectorIsNS0_10empty_typeEEENS1_38merge_sort_block_merge_config_selectorIsSC_EEEEvv,comdat
.Lfunc_end511:
	.size	_ZN7rocprim17ROCPRIM_400000_NS6detail44device_merge_sort_compile_time_verifier_archINS1_11comp_targetILNS1_3genE10ELNS1_11target_archE1200ELNS1_3gpuE4ELNS1_3repE0EEENS3_ILS4_10ELS5_1201ELS6_5ELS7_0EEENS0_14default_configESA_NS1_37merge_sort_block_sort_config_selectorIsNS0_10empty_typeEEENS1_38merge_sort_block_merge_config_selectorIsSC_EEEEvv, .Lfunc_end511-_ZN7rocprim17ROCPRIM_400000_NS6detail44device_merge_sort_compile_time_verifier_archINS1_11comp_targetILNS1_3genE10ELNS1_11target_archE1200ELNS1_3gpuE4ELNS1_3repE0EEENS3_ILS4_10ELS5_1201ELS6_5ELS7_0EEENS0_14default_configESA_NS1_37merge_sort_block_sort_config_selectorIsNS0_10empty_typeEEENS1_38merge_sort_block_merge_config_selectorIsSC_EEEEvv
                                        ; -- End function
	.set _ZN7rocprim17ROCPRIM_400000_NS6detail44device_merge_sort_compile_time_verifier_archINS1_11comp_targetILNS1_3genE10ELNS1_11target_archE1200ELNS1_3gpuE4ELNS1_3repE0EEENS3_ILS4_10ELS5_1201ELS6_5ELS7_0EEENS0_14default_configESA_NS1_37merge_sort_block_sort_config_selectorIsNS0_10empty_typeEEENS1_38merge_sort_block_merge_config_selectorIsSC_EEEEvv.num_vgpr, 0
	.set _ZN7rocprim17ROCPRIM_400000_NS6detail44device_merge_sort_compile_time_verifier_archINS1_11comp_targetILNS1_3genE10ELNS1_11target_archE1200ELNS1_3gpuE4ELNS1_3repE0EEENS3_ILS4_10ELS5_1201ELS6_5ELS7_0EEENS0_14default_configESA_NS1_37merge_sort_block_sort_config_selectorIsNS0_10empty_typeEEENS1_38merge_sort_block_merge_config_selectorIsSC_EEEEvv.num_agpr, 0
	.set _ZN7rocprim17ROCPRIM_400000_NS6detail44device_merge_sort_compile_time_verifier_archINS1_11comp_targetILNS1_3genE10ELNS1_11target_archE1200ELNS1_3gpuE4ELNS1_3repE0EEENS3_ILS4_10ELS5_1201ELS6_5ELS7_0EEENS0_14default_configESA_NS1_37merge_sort_block_sort_config_selectorIsNS0_10empty_typeEEENS1_38merge_sort_block_merge_config_selectorIsSC_EEEEvv.numbered_sgpr, 0
	.set _ZN7rocprim17ROCPRIM_400000_NS6detail44device_merge_sort_compile_time_verifier_archINS1_11comp_targetILNS1_3genE10ELNS1_11target_archE1200ELNS1_3gpuE4ELNS1_3repE0EEENS3_ILS4_10ELS5_1201ELS6_5ELS7_0EEENS0_14default_configESA_NS1_37merge_sort_block_sort_config_selectorIsNS0_10empty_typeEEENS1_38merge_sort_block_merge_config_selectorIsSC_EEEEvv.num_named_barrier, 0
	.set _ZN7rocprim17ROCPRIM_400000_NS6detail44device_merge_sort_compile_time_verifier_archINS1_11comp_targetILNS1_3genE10ELNS1_11target_archE1200ELNS1_3gpuE4ELNS1_3repE0EEENS3_ILS4_10ELS5_1201ELS6_5ELS7_0EEENS0_14default_configESA_NS1_37merge_sort_block_sort_config_selectorIsNS0_10empty_typeEEENS1_38merge_sort_block_merge_config_selectorIsSC_EEEEvv.private_seg_size, 0
	.set _ZN7rocprim17ROCPRIM_400000_NS6detail44device_merge_sort_compile_time_verifier_archINS1_11comp_targetILNS1_3genE10ELNS1_11target_archE1200ELNS1_3gpuE4ELNS1_3repE0EEENS3_ILS4_10ELS5_1201ELS6_5ELS7_0EEENS0_14default_configESA_NS1_37merge_sort_block_sort_config_selectorIsNS0_10empty_typeEEENS1_38merge_sort_block_merge_config_selectorIsSC_EEEEvv.uses_vcc, 0
	.set _ZN7rocprim17ROCPRIM_400000_NS6detail44device_merge_sort_compile_time_verifier_archINS1_11comp_targetILNS1_3genE10ELNS1_11target_archE1200ELNS1_3gpuE4ELNS1_3repE0EEENS3_ILS4_10ELS5_1201ELS6_5ELS7_0EEENS0_14default_configESA_NS1_37merge_sort_block_sort_config_selectorIsNS0_10empty_typeEEENS1_38merge_sort_block_merge_config_selectorIsSC_EEEEvv.uses_flat_scratch, 0
	.set _ZN7rocprim17ROCPRIM_400000_NS6detail44device_merge_sort_compile_time_verifier_archINS1_11comp_targetILNS1_3genE10ELNS1_11target_archE1200ELNS1_3gpuE4ELNS1_3repE0EEENS3_ILS4_10ELS5_1201ELS6_5ELS7_0EEENS0_14default_configESA_NS1_37merge_sort_block_sort_config_selectorIsNS0_10empty_typeEEENS1_38merge_sort_block_merge_config_selectorIsSC_EEEEvv.has_dyn_sized_stack, 0
	.set _ZN7rocprim17ROCPRIM_400000_NS6detail44device_merge_sort_compile_time_verifier_archINS1_11comp_targetILNS1_3genE10ELNS1_11target_archE1200ELNS1_3gpuE4ELNS1_3repE0EEENS3_ILS4_10ELS5_1201ELS6_5ELS7_0EEENS0_14default_configESA_NS1_37merge_sort_block_sort_config_selectorIsNS0_10empty_typeEEENS1_38merge_sort_block_merge_config_selectorIsSC_EEEEvv.has_recursion, 0
	.set _ZN7rocprim17ROCPRIM_400000_NS6detail44device_merge_sort_compile_time_verifier_archINS1_11comp_targetILNS1_3genE10ELNS1_11target_archE1200ELNS1_3gpuE4ELNS1_3repE0EEENS3_ILS4_10ELS5_1201ELS6_5ELS7_0EEENS0_14default_configESA_NS1_37merge_sort_block_sort_config_selectorIsNS0_10empty_typeEEENS1_38merge_sort_block_merge_config_selectorIsSC_EEEEvv.has_indirect_call, 0
	.section	.AMDGPU.csdata,"",@progbits
; Kernel info:
; codeLenInByte = 4
; TotalNumSgprs: 0
; NumVgprs: 0
; ScratchSize: 0
; MemoryBound: 0
; FloatMode: 240
; IeeeMode: 1
; LDSByteSize: 0 bytes/workgroup (compile time only)
; SGPRBlocks: 0
; VGPRBlocks: 0
; NumSGPRsForWavesPerEU: 1
; NumVGPRsForWavesPerEU: 1
; Occupancy: 16
; WaveLimiterHint : 0
; COMPUTE_PGM_RSRC2:SCRATCH_EN: 0
; COMPUTE_PGM_RSRC2:USER_SGPR: 4
; COMPUTE_PGM_RSRC2:TRAP_HANDLER: 0
; COMPUTE_PGM_RSRC2:TGID_X_EN: 1
; COMPUTE_PGM_RSRC2:TGID_Y_EN: 0
; COMPUTE_PGM_RSRC2:TGID_Z_EN: 0
; COMPUTE_PGM_RSRC2:TIDIG_COMP_CNT: 0
	.section	.text._ZN7rocprim17ROCPRIM_400000_NS6detail44device_merge_sort_compile_time_verifier_archINS1_11comp_targetILNS1_3genE9ELNS1_11target_archE1100ELNS1_3gpuE3ELNS1_3repE0EEES8_NS0_14default_configES9_NS1_37merge_sort_block_sort_config_selectorIsNS0_10empty_typeEEENS1_38merge_sort_block_merge_config_selectorIsSB_EEEEvv,"axG",@progbits,_ZN7rocprim17ROCPRIM_400000_NS6detail44device_merge_sort_compile_time_verifier_archINS1_11comp_targetILNS1_3genE9ELNS1_11target_archE1100ELNS1_3gpuE3ELNS1_3repE0EEES8_NS0_14default_configES9_NS1_37merge_sort_block_sort_config_selectorIsNS0_10empty_typeEEENS1_38merge_sort_block_merge_config_selectorIsSB_EEEEvv,comdat
	.protected	_ZN7rocprim17ROCPRIM_400000_NS6detail44device_merge_sort_compile_time_verifier_archINS1_11comp_targetILNS1_3genE9ELNS1_11target_archE1100ELNS1_3gpuE3ELNS1_3repE0EEES8_NS0_14default_configES9_NS1_37merge_sort_block_sort_config_selectorIsNS0_10empty_typeEEENS1_38merge_sort_block_merge_config_selectorIsSB_EEEEvv ; -- Begin function _ZN7rocprim17ROCPRIM_400000_NS6detail44device_merge_sort_compile_time_verifier_archINS1_11comp_targetILNS1_3genE9ELNS1_11target_archE1100ELNS1_3gpuE3ELNS1_3repE0EEES8_NS0_14default_configES9_NS1_37merge_sort_block_sort_config_selectorIsNS0_10empty_typeEEENS1_38merge_sort_block_merge_config_selectorIsSB_EEEEvv
	.globl	_ZN7rocprim17ROCPRIM_400000_NS6detail44device_merge_sort_compile_time_verifier_archINS1_11comp_targetILNS1_3genE9ELNS1_11target_archE1100ELNS1_3gpuE3ELNS1_3repE0EEES8_NS0_14default_configES9_NS1_37merge_sort_block_sort_config_selectorIsNS0_10empty_typeEEENS1_38merge_sort_block_merge_config_selectorIsSB_EEEEvv
	.p2align	8
	.type	_ZN7rocprim17ROCPRIM_400000_NS6detail44device_merge_sort_compile_time_verifier_archINS1_11comp_targetILNS1_3genE9ELNS1_11target_archE1100ELNS1_3gpuE3ELNS1_3repE0EEES8_NS0_14default_configES9_NS1_37merge_sort_block_sort_config_selectorIsNS0_10empty_typeEEENS1_38merge_sort_block_merge_config_selectorIsSB_EEEEvv,@function
_ZN7rocprim17ROCPRIM_400000_NS6detail44device_merge_sort_compile_time_verifier_archINS1_11comp_targetILNS1_3genE9ELNS1_11target_archE1100ELNS1_3gpuE3ELNS1_3repE0EEES8_NS0_14default_configES9_NS1_37merge_sort_block_sort_config_selectorIsNS0_10empty_typeEEENS1_38merge_sort_block_merge_config_selectorIsSB_EEEEvv: ; @_ZN7rocprim17ROCPRIM_400000_NS6detail44device_merge_sort_compile_time_verifier_archINS1_11comp_targetILNS1_3genE9ELNS1_11target_archE1100ELNS1_3gpuE3ELNS1_3repE0EEES8_NS0_14default_configES9_NS1_37merge_sort_block_sort_config_selectorIsNS0_10empty_typeEEENS1_38merge_sort_block_merge_config_selectorIsSB_EEEEvv
; %bb.0:
	s_endpgm
	.section	.rodata,"a",@progbits
	.p2align	6, 0x0
	.amdhsa_kernel _ZN7rocprim17ROCPRIM_400000_NS6detail44device_merge_sort_compile_time_verifier_archINS1_11comp_targetILNS1_3genE9ELNS1_11target_archE1100ELNS1_3gpuE3ELNS1_3repE0EEES8_NS0_14default_configES9_NS1_37merge_sort_block_sort_config_selectorIsNS0_10empty_typeEEENS1_38merge_sort_block_merge_config_selectorIsSB_EEEEvv
		.amdhsa_group_segment_fixed_size 0
		.amdhsa_private_segment_fixed_size 0
		.amdhsa_kernarg_size 0
		.amdhsa_user_sgpr_count 4
		.amdhsa_user_sgpr_private_segment_buffer 1
		.amdhsa_user_sgpr_dispatch_ptr 0
		.amdhsa_user_sgpr_queue_ptr 0
		.amdhsa_user_sgpr_kernarg_segment_ptr 0
		.amdhsa_user_sgpr_dispatch_id 0
		.amdhsa_user_sgpr_flat_scratch_init 0
		.amdhsa_user_sgpr_private_segment_size 0
		.amdhsa_wavefront_size32 1
		.amdhsa_uses_dynamic_stack 0
		.amdhsa_system_sgpr_private_segment_wavefront_offset 0
		.amdhsa_system_sgpr_workgroup_id_x 1
		.amdhsa_system_sgpr_workgroup_id_y 0
		.amdhsa_system_sgpr_workgroup_id_z 0
		.amdhsa_system_sgpr_workgroup_info 0
		.amdhsa_system_vgpr_workitem_id 0
		.amdhsa_next_free_vgpr 1
		.amdhsa_next_free_sgpr 1
		.amdhsa_reserve_vcc 0
		.amdhsa_reserve_flat_scratch 0
		.amdhsa_float_round_mode_32 0
		.amdhsa_float_round_mode_16_64 0
		.amdhsa_float_denorm_mode_32 3
		.amdhsa_float_denorm_mode_16_64 3
		.amdhsa_dx10_clamp 1
		.amdhsa_ieee_mode 1
		.amdhsa_fp16_overflow 0
		.amdhsa_workgroup_processor_mode 1
		.amdhsa_memory_ordered 1
		.amdhsa_forward_progress 1
		.amdhsa_shared_vgpr_count 0
		.amdhsa_exception_fp_ieee_invalid_op 0
		.amdhsa_exception_fp_denorm_src 0
		.amdhsa_exception_fp_ieee_div_zero 0
		.amdhsa_exception_fp_ieee_overflow 0
		.amdhsa_exception_fp_ieee_underflow 0
		.amdhsa_exception_fp_ieee_inexact 0
		.amdhsa_exception_int_div_zero 0
	.end_amdhsa_kernel
	.section	.text._ZN7rocprim17ROCPRIM_400000_NS6detail44device_merge_sort_compile_time_verifier_archINS1_11comp_targetILNS1_3genE9ELNS1_11target_archE1100ELNS1_3gpuE3ELNS1_3repE0EEES8_NS0_14default_configES9_NS1_37merge_sort_block_sort_config_selectorIsNS0_10empty_typeEEENS1_38merge_sort_block_merge_config_selectorIsSB_EEEEvv,"axG",@progbits,_ZN7rocprim17ROCPRIM_400000_NS6detail44device_merge_sort_compile_time_verifier_archINS1_11comp_targetILNS1_3genE9ELNS1_11target_archE1100ELNS1_3gpuE3ELNS1_3repE0EEES8_NS0_14default_configES9_NS1_37merge_sort_block_sort_config_selectorIsNS0_10empty_typeEEENS1_38merge_sort_block_merge_config_selectorIsSB_EEEEvv,comdat
.Lfunc_end512:
	.size	_ZN7rocprim17ROCPRIM_400000_NS6detail44device_merge_sort_compile_time_verifier_archINS1_11comp_targetILNS1_3genE9ELNS1_11target_archE1100ELNS1_3gpuE3ELNS1_3repE0EEES8_NS0_14default_configES9_NS1_37merge_sort_block_sort_config_selectorIsNS0_10empty_typeEEENS1_38merge_sort_block_merge_config_selectorIsSB_EEEEvv, .Lfunc_end512-_ZN7rocprim17ROCPRIM_400000_NS6detail44device_merge_sort_compile_time_verifier_archINS1_11comp_targetILNS1_3genE9ELNS1_11target_archE1100ELNS1_3gpuE3ELNS1_3repE0EEES8_NS0_14default_configES9_NS1_37merge_sort_block_sort_config_selectorIsNS0_10empty_typeEEENS1_38merge_sort_block_merge_config_selectorIsSB_EEEEvv
                                        ; -- End function
	.set _ZN7rocprim17ROCPRIM_400000_NS6detail44device_merge_sort_compile_time_verifier_archINS1_11comp_targetILNS1_3genE9ELNS1_11target_archE1100ELNS1_3gpuE3ELNS1_3repE0EEES8_NS0_14default_configES9_NS1_37merge_sort_block_sort_config_selectorIsNS0_10empty_typeEEENS1_38merge_sort_block_merge_config_selectorIsSB_EEEEvv.num_vgpr, 0
	.set _ZN7rocprim17ROCPRIM_400000_NS6detail44device_merge_sort_compile_time_verifier_archINS1_11comp_targetILNS1_3genE9ELNS1_11target_archE1100ELNS1_3gpuE3ELNS1_3repE0EEES8_NS0_14default_configES9_NS1_37merge_sort_block_sort_config_selectorIsNS0_10empty_typeEEENS1_38merge_sort_block_merge_config_selectorIsSB_EEEEvv.num_agpr, 0
	.set _ZN7rocprim17ROCPRIM_400000_NS6detail44device_merge_sort_compile_time_verifier_archINS1_11comp_targetILNS1_3genE9ELNS1_11target_archE1100ELNS1_3gpuE3ELNS1_3repE0EEES8_NS0_14default_configES9_NS1_37merge_sort_block_sort_config_selectorIsNS0_10empty_typeEEENS1_38merge_sort_block_merge_config_selectorIsSB_EEEEvv.numbered_sgpr, 0
	.set _ZN7rocprim17ROCPRIM_400000_NS6detail44device_merge_sort_compile_time_verifier_archINS1_11comp_targetILNS1_3genE9ELNS1_11target_archE1100ELNS1_3gpuE3ELNS1_3repE0EEES8_NS0_14default_configES9_NS1_37merge_sort_block_sort_config_selectorIsNS0_10empty_typeEEENS1_38merge_sort_block_merge_config_selectorIsSB_EEEEvv.num_named_barrier, 0
	.set _ZN7rocprim17ROCPRIM_400000_NS6detail44device_merge_sort_compile_time_verifier_archINS1_11comp_targetILNS1_3genE9ELNS1_11target_archE1100ELNS1_3gpuE3ELNS1_3repE0EEES8_NS0_14default_configES9_NS1_37merge_sort_block_sort_config_selectorIsNS0_10empty_typeEEENS1_38merge_sort_block_merge_config_selectorIsSB_EEEEvv.private_seg_size, 0
	.set _ZN7rocprim17ROCPRIM_400000_NS6detail44device_merge_sort_compile_time_verifier_archINS1_11comp_targetILNS1_3genE9ELNS1_11target_archE1100ELNS1_3gpuE3ELNS1_3repE0EEES8_NS0_14default_configES9_NS1_37merge_sort_block_sort_config_selectorIsNS0_10empty_typeEEENS1_38merge_sort_block_merge_config_selectorIsSB_EEEEvv.uses_vcc, 0
	.set _ZN7rocprim17ROCPRIM_400000_NS6detail44device_merge_sort_compile_time_verifier_archINS1_11comp_targetILNS1_3genE9ELNS1_11target_archE1100ELNS1_3gpuE3ELNS1_3repE0EEES8_NS0_14default_configES9_NS1_37merge_sort_block_sort_config_selectorIsNS0_10empty_typeEEENS1_38merge_sort_block_merge_config_selectorIsSB_EEEEvv.uses_flat_scratch, 0
	.set _ZN7rocprim17ROCPRIM_400000_NS6detail44device_merge_sort_compile_time_verifier_archINS1_11comp_targetILNS1_3genE9ELNS1_11target_archE1100ELNS1_3gpuE3ELNS1_3repE0EEES8_NS0_14default_configES9_NS1_37merge_sort_block_sort_config_selectorIsNS0_10empty_typeEEENS1_38merge_sort_block_merge_config_selectorIsSB_EEEEvv.has_dyn_sized_stack, 0
	.set _ZN7rocprim17ROCPRIM_400000_NS6detail44device_merge_sort_compile_time_verifier_archINS1_11comp_targetILNS1_3genE9ELNS1_11target_archE1100ELNS1_3gpuE3ELNS1_3repE0EEES8_NS0_14default_configES9_NS1_37merge_sort_block_sort_config_selectorIsNS0_10empty_typeEEENS1_38merge_sort_block_merge_config_selectorIsSB_EEEEvv.has_recursion, 0
	.set _ZN7rocprim17ROCPRIM_400000_NS6detail44device_merge_sort_compile_time_verifier_archINS1_11comp_targetILNS1_3genE9ELNS1_11target_archE1100ELNS1_3gpuE3ELNS1_3repE0EEES8_NS0_14default_configES9_NS1_37merge_sort_block_sort_config_selectorIsNS0_10empty_typeEEENS1_38merge_sort_block_merge_config_selectorIsSB_EEEEvv.has_indirect_call, 0
	.section	.AMDGPU.csdata,"",@progbits
; Kernel info:
; codeLenInByte = 4
; TotalNumSgprs: 0
; NumVgprs: 0
; ScratchSize: 0
; MemoryBound: 0
; FloatMode: 240
; IeeeMode: 1
; LDSByteSize: 0 bytes/workgroup (compile time only)
; SGPRBlocks: 0
; VGPRBlocks: 0
; NumSGPRsForWavesPerEU: 1
; NumVGPRsForWavesPerEU: 1
; Occupancy: 16
; WaveLimiterHint : 0
; COMPUTE_PGM_RSRC2:SCRATCH_EN: 0
; COMPUTE_PGM_RSRC2:USER_SGPR: 4
; COMPUTE_PGM_RSRC2:TRAP_HANDLER: 0
; COMPUTE_PGM_RSRC2:TGID_X_EN: 1
; COMPUTE_PGM_RSRC2:TGID_Y_EN: 0
; COMPUTE_PGM_RSRC2:TGID_Z_EN: 0
; COMPUTE_PGM_RSRC2:TIDIG_COMP_CNT: 0
	.section	.text._ZN7rocprim17ROCPRIM_400000_NS6detail44device_merge_sort_compile_time_verifier_archINS1_11comp_targetILNS1_3genE8ELNS1_11target_archE1030ELNS1_3gpuE2ELNS1_3repE0EEES8_NS0_14default_configES9_NS1_37merge_sort_block_sort_config_selectorIsNS0_10empty_typeEEENS1_38merge_sort_block_merge_config_selectorIsSB_EEEEvv,"axG",@progbits,_ZN7rocprim17ROCPRIM_400000_NS6detail44device_merge_sort_compile_time_verifier_archINS1_11comp_targetILNS1_3genE8ELNS1_11target_archE1030ELNS1_3gpuE2ELNS1_3repE0EEES8_NS0_14default_configES9_NS1_37merge_sort_block_sort_config_selectorIsNS0_10empty_typeEEENS1_38merge_sort_block_merge_config_selectorIsSB_EEEEvv,comdat
	.protected	_ZN7rocprim17ROCPRIM_400000_NS6detail44device_merge_sort_compile_time_verifier_archINS1_11comp_targetILNS1_3genE8ELNS1_11target_archE1030ELNS1_3gpuE2ELNS1_3repE0EEES8_NS0_14default_configES9_NS1_37merge_sort_block_sort_config_selectorIsNS0_10empty_typeEEENS1_38merge_sort_block_merge_config_selectorIsSB_EEEEvv ; -- Begin function _ZN7rocprim17ROCPRIM_400000_NS6detail44device_merge_sort_compile_time_verifier_archINS1_11comp_targetILNS1_3genE8ELNS1_11target_archE1030ELNS1_3gpuE2ELNS1_3repE0EEES8_NS0_14default_configES9_NS1_37merge_sort_block_sort_config_selectorIsNS0_10empty_typeEEENS1_38merge_sort_block_merge_config_selectorIsSB_EEEEvv
	.globl	_ZN7rocprim17ROCPRIM_400000_NS6detail44device_merge_sort_compile_time_verifier_archINS1_11comp_targetILNS1_3genE8ELNS1_11target_archE1030ELNS1_3gpuE2ELNS1_3repE0EEES8_NS0_14default_configES9_NS1_37merge_sort_block_sort_config_selectorIsNS0_10empty_typeEEENS1_38merge_sort_block_merge_config_selectorIsSB_EEEEvv
	.p2align	8
	.type	_ZN7rocprim17ROCPRIM_400000_NS6detail44device_merge_sort_compile_time_verifier_archINS1_11comp_targetILNS1_3genE8ELNS1_11target_archE1030ELNS1_3gpuE2ELNS1_3repE0EEES8_NS0_14default_configES9_NS1_37merge_sort_block_sort_config_selectorIsNS0_10empty_typeEEENS1_38merge_sort_block_merge_config_selectorIsSB_EEEEvv,@function
_ZN7rocprim17ROCPRIM_400000_NS6detail44device_merge_sort_compile_time_verifier_archINS1_11comp_targetILNS1_3genE8ELNS1_11target_archE1030ELNS1_3gpuE2ELNS1_3repE0EEES8_NS0_14default_configES9_NS1_37merge_sort_block_sort_config_selectorIsNS0_10empty_typeEEENS1_38merge_sort_block_merge_config_selectorIsSB_EEEEvv: ; @_ZN7rocprim17ROCPRIM_400000_NS6detail44device_merge_sort_compile_time_verifier_archINS1_11comp_targetILNS1_3genE8ELNS1_11target_archE1030ELNS1_3gpuE2ELNS1_3repE0EEES8_NS0_14default_configES9_NS1_37merge_sort_block_sort_config_selectorIsNS0_10empty_typeEEENS1_38merge_sort_block_merge_config_selectorIsSB_EEEEvv
; %bb.0:
	s_endpgm
	.section	.rodata,"a",@progbits
	.p2align	6, 0x0
	.amdhsa_kernel _ZN7rocprim17ROCPRIM_400000_NS6detail44device_merge_sort_compile_time_verifier_archINS1_11comp_targetILNS1_3genE8ELNS1_11target_archE1030ELNS1_3gpuE2ELNS1_3repE0EEES8_NS0_14default_configES9_NS1_37merge_sort_block_sort_config_selectorIsNS0_10empty_typeEEENS1_38merge_sort_block_merge_config_selectorIsSB_EEEEvv
		.amdhsa_group_segment_fixed_size 0
		.amdhsa_private_segment_fixed_size 0
		.amdhsa_kernarg_size 0
		.amdhsa_user_sgpr_count 4
		.amdhsa_user_sgpr_private_segment_buffer 1
		.amdhsa_user_sgpr_dispatch_ptr 0
		.amdhsa_user_sgpr_queue_ptr 0
		.amdhsa_user_sgpr_kernarg_segment_ptr 0
		.amdhsa_user_sgpr_dispatch_id 0
		.amdhsa_user_sgpr_flat_scratch_init 0
		.amdhsa_user_sgpr_private_segment_size 0
		.amdhsa_wavefront_size32 1
		.amdhsa_uses_dynamic_stack 0
		.amdhsa_system_sgpr_private_segment_wavefront_offset 0
		.amdhsa_system_sgpr_workgroup_id_x 1
		.amdhsa_system_sgpr_workgroup_id_y 0
		.amdhsa_system_sgpr_workgroup_id_z 0
		.amdhsa_system_sgpr_workgroup_info 0
		.amdhsa_system_vgpr_workitem_id 0
		.amdhsa_next_free_vgpr 1
		.amdhsa_next_free_sgpr 1
		.amdhsa_reserve_vcc 0
		.amdhsa_reserve_flat_scratch 0
		.amdhsa_float_round_mode_32 0
		.amdhsa_float_round_mode_16_64 0
		.amdhsa_float_denorm_mode_32 3
		.amdhsa_float_denorm_mode_16_64 3
		.amdhsa_dx10_clamp 1
		.amdhsa_ieee_mode 1
		.amdhsa_fp16_overflow 0
		.amdhsa_workgroup_processor_mode 1
		.amdhsa_memory_ordered 1
		.amdhsa_forward_progress 1
		.amdhsa_shared_vgpr_count 0
		.amdhsa_exception_fp_ieee_invalid_op 0
		.amdhsa_exception_fp_denorm_src 0
		.amdhsa_exception_fp_ieee_div_zero 0
		.amdhsa_exception_fp_ieee_overflow 0
		.amdhsa_exception_fp_ieee_underflow 0
		.amdhsa_exception_fp_ieee_inexact 0
		.amdhsa_exception_int_div_zero 0
	.end_amdhsa_kernel
	.section	.text._ZN7rocprim17ROCPRIM_400000_NS6detail44device_merge_sort_compile_time_verifier_archINS1_11comp_targetILNS1_3genE8ELNS1_11target_archE1030ELNS1_3gpuE2ELNS1_3repE0EEES8_NS0_14default_configES9_NS1_37merge_sort_block_sort_config_selectorIsNS0_10empty_typeEEENS1_38merge_sort_block_merge_config_selectorIsSB_EEEEvv,"axG",@progbits,_ZN7rocprim17ROCPRIM_400000_NS6detail44device_merge_sort_compile_time_verifier_archINS1_11comp_targetILNS1_3genE8ELNS1_11target_archE1030ELNS1_3gpuE2ELNS1_3repE0EEES8_NS0_14default_configES9_NS1_37merge_sort_block_sort_config_selectorIsNS0_10empty_typeEEENS1_38merge_sort_block_merge_config_selectorIsSB_EEEEvv,comdat
.Lfunc_end513:
	.size	_ZN7rocprim17ROCPRIM_400000_NS6detail44device_merge_sort_compile_time_verifier_archINS1_11comp_targetILNS1_3genE8ELNS1_11target_archE1030ELNS1_3gpuE2ELNS1_3repE0EEES8_NS0_14default_configES9_NS1_37merge_sort_block_sort_config_selectorIsNS0_10empty_typeEEENS1_38merge_sort_block_merge_config_selectorIsSB_EEEEvv, .Lfunc_end513-_ZN7rocprim17ROCPRIM_400000_NS6detail44device_merge_sort_compile_time_verifier_archINS1_11comp_targetILNS1_3genE8ELNS1_11target_archE1030ELNS1_3gpuE2ELNS1_3repE0EEES8_NS0_14default_configES9_NS1_37merge_sort_block_sort_config_selectorIsNS0_10empty_typeEEENS1_38merge_sort_block_merge_config_selectorIsSB_EEEEvv
                                        ; -- End function
	.set _ZN7rocprim17ROCPRIM_400000_NS6detail44device_merge_sort_compile_time_verifier_archINS1_11comp_targetILNS1_3genE8ELNS1_11target_archE1030ELNS1_3gpuE2ELNS1_3repE0EEES8_NS0_14default_configES9_NS1_37merge_sort_block_sort_config_selectorIsNS0_10empty_typeEEENS1_38merge_sort_block_merge_config_selectorIsSB_EEEEvv.num_vgpr, 0
	.set _ZN7rocprim17ROCPRIM_400000_NS6detail44device_merge_sort_compile_time_verifier_archINS1_11comp_targetILNS1_3genE8ELNS1_11target_archE1030ELNS1_3gpuE2ELNS1_3repE0EEES8_NS0_14default_configES9_NS1_37merge_sort_block_sort_config_selectorIsNS0_10empty_typeEEENS1_38merge_sort_block_merge_config_selectorIsSB_EEEEvv.num_agpr, 0
	.set _ZN7rocprim17ROCPRIM_400000_NS6detail44device_merge_sort_compile_time_verifier_archINS1_11comp_targetILNS1_3genE8ELNS1_11target_archE1030ELNS1_3gpuE2ELNS1_3repE0EEES8_NS0_14default_configES9_NS1_37merge_sort_block_sort_config_selectorIsNS0_10empty_typeEEENS1_38merge_sort_block_merge_config_selectorIsSB_EEEEvv.numbered_sgpr, 0
	.set _ZN7rocprim17ROCPRIM_400000_NS6detail44device_merge_sort_compile_time_verifier_archINS1_11comp_targetILNS1_3genE8ELNS1_11target_archE1030ELNS1_3gpuE2ELNS1_3repE0EEES8_NS0_14default_configES9_NS1_37merge_sort_block_sort_config_selectorIsNS0_10empty_typeEEENS1_38merge_sort_block_merge_config_selectorIsSB_EEEEvv.num_named_barrier, 0
	.set _ZN7rocprim17ROCPRIM_400000_NS6detail44device_merge_sort_compile_time_verifier_archINS1_11comp_targetILNS1_3genE8ELNS1_11target_archE1030ELNS1_3gpuE2ELNS1_3repE0EEES8_NS0_14default_configES9_NS1_37merge_sort_block_sort_config_selectorIsNS0_10empty_typeEEENS1_38merge_sort_block_merge_config_selectorIsSB_EEEEvv.private_seg_size, 0
	.set _ZN7rocprim17ROCPRIM_400000_NS6detail44device_merge_sort_compile_time_verifier_archINS1_11comp_targetILNS1_3genE8ELNS1_11target_archE1030ELNS1_3gpuE2ELNS1_3repE0EEES8_NS0_14default_configES9_NS1_37merge_sort_block_sort_config_selectorIsNS0_10empty_typeEEENS1_38merge_sort_block_merge_config_selectorIsSB_EEEEvv.uses_vcc, 0
	.set _ZN7rocprim17ROCPRIM_400000_NS6detail44device_merge_sort_compile_time_verifier_archINS1_11comp_targetILNS1_3genE8ELNS1_11target_archE1030ELNS1_3gpuE2ELNS1_3repE0EEES8_NS0_14default_configES9_NS1_37merge_sort_block_sort_config_selectorIsNS0_10empty_typeEEENS1_38merge_sort_block_merge_config_selectorIsSB_EEEEvv.uses_flat_scratch, 0
	.set _ZN7rocprim17ROCPRIM_400000_NS6detail44device_merge_sort_compile_time_verifier_archINS1_11comp_targetILNS1_3genE8ELNS1_11target_archE1030ELNS1_3gpuE2ELNS1_3repE0EEES8_NS0_14default_configES9_NS1_37merge_sort_block_sort_config_selectorIsNS0_10empty_typeEEENS1_38merge_sort_block_merge_config_selectorIsSB_EEEEvv.has_dyn_sized_stack, 0
	.set _ZN7rocprim17ROCPRIM_400000_NS6detail44device_merge_sort_compile_time_verifier_archINS1_11comp_targetILNS1_3genE8ELNS1_11target_archE1030ELNS1_3gpuE2ELNS1_3repE0EEES8_NS0_14default_configES9_NS1_37merge_sort_block_sort_config_selectorIsNS0_10empty_typeEEENS1_38merge_sort_block_merge_config_selectorIsSB_EEEEvv.has_recursion, 0
	.set _ZN7rocprim17ROCPRIM_400000_NS6detail44device_merge_sort_compile_time_verifier_archINS1_11comp_targetILNS1_3genE8ELNS1_11target_archE1030ELNS1_3gpuE2ELNS1_3repE0EEES8_NS0_14default_configES9_NS1_37merge_sort_block_sort_config_selectorIsNS0_10empty_typeEEENS1_38merge_sort_block_merge_config_selectorIsSB_EEEEvv.has_indirect_call, 0
	.section	.AMDGPU.csdata,"",@progbits
; Kernel info:
; codeLenInByte = 4
; TotalNumSgprs: 0
; NumVgprs: 0
; ScratchSize: 0
; MemoryBound: 0
; FloatMode: 240
; IeeeMode: 1
; LDSByteSize: 0 bytes/workgroup (compile time only)
; SGPRBlocks: 0
; VGPRBlocks: 0
; NumSGPRsForWavesPerEU: 1
; NumVGPRsForWavesPerEU: 1
; Occupancy: 16
; WaveLimiterHint : 0
; COMPUTE_PGM_RSRC2:SCRATCH_EN: 0
; COMPUTE_PGM_RSRC2:USER_SGPR: 4
; COMPUTE_PGM_RSRC2:TRAP_HANDLER: 0
; COMPUTE_PGM_RSRC2:TGID_X_EN: 1
; COMPUTE_PGM_RSRC2:TGID_Y_EN: 0
; COMPUTE_PGM_RSRC2:TGID_Z_EN: 0
; COMPUTE_PGM_RSRC2:TIDIG_COMP_CNT: 0
	.section	.text._ZN7rocprim17ROCPRIM_400000_NS6detail17trampoline_kernelINS0_14default_configENS1_37merge_sort_block_sort_config_selectorIsNS0_10empty_typeEEEZNS1_21merge_sort_block_sortIS3_N6thrust23THRUST_200600_302600_NS6detail15normal_iteratorINS9_10device_ptrIsEEEESE_PS5_SF_11less_div_10IsEEE10hipError_tT0_T1_T2_T3_mRjT4_P12ihipStream_tbNS1_7vsmem_tEEUlT_E_NS1_11comp_targetILNS1_3genE0ELNS1_11target_archE4294967295ELNS1_3gpuE0ELNS1_3repE0EEENS1_30default_config_static_selectorELNS0_4arch9wavefront6targetE0EEEvSK_,"axG",@progbits,_ZN7rocprim17ROCPRIM_400000_NS6detail17trampoline_kernelINS0_14default_configENS1_37merge_sort_block_sort_config_selectorIsNS0_10empty_typeEEEZNS1_21merge_sort_block_sortIS3_N6thrust23THRUST_200600_302600_NS6detail15normal_iteratorINS9_10device_ptrIsEEEESE_PS5_SF_11less_div_10IsEEE10hipError_tT0_T1_T2_T3_mRjT4_P12ihipStream_tbNS1_7vsmem_tEEUlT_E_NS1_11comp_targetILNS1_3genE0ELNS1_11target_archE4294967295ELNS1_3gpuE0ELNS1_3repE0EEENS1_30default_config_static_selectorELNS0_4arch9wavefront6targetE0EEEvSK_,comdat
	.protected	_ZN7rocprim17ROCPRIM_400000_NS6detail17trampoline_kernelINS0_14default_configENS1_37merge_sort_block_sort_config_selectorIsNS0_10empty_typeEEEZNS1_21merge_sort_block_sortIS3_N6thrust23THRUST_200600_302600_NS6detail15normal_iteratorINS9_10device_ptrIsEEEESE_PS5_SF_11less_div_10IsEEE10hipError_tT0_T1_T2_T3_mRjT4_P12ihipStream_tbNS1_7vsmem_tEEUlT_E_NS1_11comp_targetILNS1_3genE0ELNS1_11target_archE4294967295ELNS1_3gpuE0ELNS1_3repE0EEENS1_30default_config_static_selectorELNS0_4arch9wavefront6targetE0EEEvSK_ ; -- Begin function _ZN7rocprim17ROCPRIM_400000_NS6detail17trampoline_kernelINS0_14default_configENS1_37merge_sort_block_sort_config_selectorIsNS0_10empty_typeEEEZNS1_21merge_sort_block_sortIS3_N6thrust23THRUST_200600_302600_NS6detail15normal_iteratorINS9_10device_ptrIsEEEESE_PS5_SF_11less_div_10IsEEE10hipError_tT0_T1_T2_T3_mRjT4_P12ihipStream_tbNS1_7vsmem_tEEUlT_E_NS1_11comp_targetILNS1_3genE0ELNS1_11target_archE4294967295ELNS1_3gpuE0ELNS1_3repE0EEENS1_30default_config_static_selectorELNS0_4arch9wavefront6targetE0EEEvSK_
	.globl	_ZN7rocprim17ROCPRIM_400000_NS6detail17trampoline_kernelINS0_14default_configENS1_37merge_sort_block_sort_config_selectorIsNS0_10empty_typeEEEZNS1_21merge_sort_block_sortIS3_N6thrust23THRUST_200600_302600_NS6detail15normal_iteratorINS9_10device_ptrIsEEEESE_PS5_SF_11less_div_10IsEEE10hipError_tT0_T1_T2_T3_mRjT4_P12ihipStream_tbNS1_7vsmem_tEEUlT_E_NS1_11comp_targetILNS1_3genE0ELNS1_11target_archE4294967295ELNS1_3gpuE0ELNS1_3repE0EEENS1_30default_config_static_selectorELNS0_4arch9wavefront6targetE0EEEvSK_
	.p2align	8
	.type	_ZN7rocprim17ROCPRIM_400000_NS6detail17trampoline_kernelINS0_14default_configENS1_37merge_sort_block_sort_config_selectorIsNS0_10empty_typeEEEZNS1_21merge_sort_block_sortIS3_N6thrust23THRUST_200600_302600_NS6detail15normal_iteratorINS9_10device_ptrIsEEEESE_PS5_SF_11less_div_10IsEEE10hipError_tT0_T1_T2_T3_mRjT4_P12ihipStream_tbNS1_7vsmem_tEEUlT_E_NS1_11comp_targetILNS1_3genE0ELNS1_11target_archE4294967295ELNS1_3gpuE0ELNS1_3repE0EEENS1_30default_config_static_selectorELNS0_4arch9wavefront6targetE0EEEvSK_,@function
_ZN7rocprim17ROCPRIM_400000_NS6detail17trampoline_kernelINS0_14default_configENS1_37merge_sort_block_sort_config_selectorIsNS0_10empty_typeEEEZNS1_21merge_sort_block_sortIS3_N6thrust23THRUST_200600_302600_NS6detail15normal_iteratorINS9_10device_ptrIsEEEESE_PS5_SF_11less_div_10IsEEE10hipError_tT0_T1_T2_T3_mRjT4_P12ihipStream_tbNS1_7vsmem_tEEUlT_E_NS1_11comp_targetILNS1_3genE0ELNS1_11target_archE4294967295ELNS1_3gpuE0ELNS1_3repE0EEENS1_30default_config_static_selectorELNS0_4arch9wavefront6targetE0EEEvSK_: ; @_ZN7rocprim17ROCPRIM_400000_NS6detail17trampoline_kernelINS0_14default_configENS1_37merge_sort_block_sort_config_selectorIsNS0_10empty_typeEEEZNS1_21merge_sort_block_sortIS3_N6thrust23THRUST_200600_302600_NS6detail15normal_iteratorINS9_10device_ptrIsEEEESE_PS5_SF_11less_div_10IsEEE10hipError_tT0_T1_T2_T3_mRjT4_P12ihipStream_tbNS1_7vsmem_tEEUlT_E_NS1_11comp_targetILNS1_3genE0ELNS1_11target_archE4294967295ELNS1_3gpuE0ELNS1_3repE0EEENS1_30default_config_static_selectorELNS0_4arch9wavefront6targetE0EEEvSK_
; %bb.0:
	.section	.rodata,"a",@progbits
	.p2align	6, 0x0
	.amdhsa_kernel _ZN7rocprim17ROCPRIM_400000_NS6detail17trampoline_kernelINS0_14default_configENS1_37merge_sort_block_sort_config_selectorIsNS0_10empty_typeEEEZNS1_21merge_sort_block_sortIS3_N6thrust23THRUST_200600_302600_NS6detail15normal_iteratorINS9_10device_ptrIsEEEESE_PS5_SF_11less_div_10IsEEE10hipError_tT0_T1_T2_T3_mRjT4_P12ihipStream_tbNS1_7vsmem_tEEUlT_E_NS1_11comp_targetILNS1_3genE0ELNS1_11target_archE4294967295ELNS1_3gpuE0ELNS1_3repE0EEENS1_30default_config_static_selectorELNS0_4arch9wavefront6targetE0EEEvSK_
		.amdhsa_group_segment_fixed_size 0
		.amdhsa_private_segment_fixed_size 0
		.amdhsa_kernarg_size 64
		.amdhsa_user_sgpr_count 6
		.amdhsa_user_sgpr_private_segment_buffer 1
		.amdhsa_user_sgpr_dispatch_ptr 0
		.amdhsa_user_sgpr_queue_ptr 0
		.amdhsa_user_sgpr_kernarg_segment_ptr 1
		.amdhsa_user_sgpr_dispatch_id 0
		.amdhsa_user_sgpr_flat_scratch_init 0
		.amdhsa_user_sgpr_private_segment_size 0
		.amdhsa_wavefront_size32 1
		.amdhsa_uses_dynamic_stack 0
		.amdhsa_system_sgpr_private_segment_wavefront_offset 0
		.amdhsa_system_sgpr_workgroup_id_x 1
		.amdhsa_system_sgpr_workgroup_id_y 0
		.amdhsa_system_sgpr_workgroup_id_z 0
		.amdhsa_system_sgpr_workgroup_info 0
		.amdhsa_system_vgpr_workitem_id 0
		.amdhsa_next_free_vgpr 1
		.amdhsa_next_free_sgpr 1
		.amdhsa_reserve_vcc 0
		.amdhsa_reserve_flat_scratch 0
		.amdhsa_float_round_mode_32 0
		.amdhsa_float_round_mode_16_64 0
		.amdhsa_float_denorm_mode_32 3
		.amdhsa_float_denorm_mode_16_64 3
		.amdhsa_dx10_clamp 1
		.amdhsa_ieee_mode 1
		.amdhsa_fp16_overflow 0
		.amdhsa_workgroup_processor_mode 1
		.amdhsa_memory_ordered 1
		.amdhsa_forward_progress 1
		.amdhsa_shared_vgpr_count 0
		.amdhsa_exception_fp_ieee_invalid_op 0
		.amdhsa_exception_fp_denorm_src 0
		.amdhsa_exception_fp_ieee_div_zero 0
		.amdhsa_exception_fp_ieee_overflow 0
		.amdhsa_exception_fp_ieee_underflow 0
		.amdhsa_exception_fp_ieee_inexact 0
		.amdhsa_exception_int_div_zero 0
	.end_amdhsa_kernel
	.section	.text._ZN7rocprim17ROCPRIM_400000_NS6detail17trampoline_kernelINS0_14default_configENS1_37merge_sort_block_sort_config_selectorIsNS0_10empty_typeEEEZNS1_21merge_sort_block_sortIS3_N6thrust23THRUST_200600_302600_NS6detail15normal_iteratorINS9_10device_ptrIsEEEESE_PS5_SF_11less_div_10IsEEE10hipError_tT0_T1_T2_T3_mRjT4_P12ihipStream_tbNS1_7vsmem_tEEUlT_E_NS1_11comp_targetILNS1_3genE0ELNS1_11target_archE4294967295ELNS1_3gpuE0ELNS1_3repE0EEENS1_30default_config_static_selectorELNS0_4arch9wavefront6targetE0EEEvSK_,"axG",@progbits,_ZN7rocprim17ROCPRIM_400000_NS6detail17trampoline_kernelINS0_14default_configENS1_37merge_sort_block_sort_config_selectorIsNS0_10empty_typeEEEZNS1_21merge_sort_block_sortIS3_N6thrust23THRUST_200600_302600_NS6detail15normal_iteratorINS9_10device_ptrIsEEEESE_PS5_SF_11less_div_10IsEEE10hipError_tT0_T1_T2_T3_mRjT4_P12ihipStream_tbNS1_7vsmem_tEEUlT_E_NS1_11comp_targetILNS1_3genE0ELNS1_11target_archE4294967295ELNS1_3gpuE0ELNS1_3repE0EEENS1_30default_config_static_selectorELNS0_4arch9wavefront6targetE0EEEvSK_,comdat
.Lfunc_end514:
	.size	_ZN7rocprim17ROCPRIM_400000_NS6detail17trampoline_kernelINS0_14default_configENS1_37merge_sort_block_sort_config_selectorIsNS0_10empty_typeEEEZNS1_21merge_sort_block_sortIS3_N6thrust23THRUST_200600_302600_NS6detail15normal_iteratorINS9_10device_ptrIsEEEESE_PS5_SF_11less_div_10IsEEE10hipError_tT0_T1_T2_T3_mRjT4_P12ihipStream_tbNS1_7vsmem_tEEUlT_E_NS1_11comp_targetILNS1_3genE0ELNS1_11target_archE4294967295ELNS1_3gpuE0ELNS1_3repE0EEENS1_30default_config_static_selectorELNS0_4arch9wavefront6targetE0EEEvSK_, .Lfunc_end514-_ZN7rocprim17ROCPRIM_400000_NS6detail17trampoline_kernelINS0_14default_configENS1_37merge_sort_block_sort_config_selectorIsNS0_10empty_typeEEEZNS1_21merge_sort_block_sortIS3_N6thrust23THRUST_200600_302600_NS6detail15normal_iteratorINS9_10device_ptrIsEEEESE_PS5_SF_11less_div_10IsEEE10hipError_tT0_T1_T2_T3_mRjT4_P12ihipStream_tbNS1_7vsmem_tEEUlT_E_NS1_11comp_targetILNS1_3genE0ELNS1_11target_archE4294967295ELNS1_3gpuE0ELNS1_3repE0EEENS1_30default_config_static_selectorELNS0_4arch9wavefront6targetE0EEEvSK_
                                        ; -- End function
	.set _ZN7rocprim17ROCPRIM_400000_NS6detail17trampoline_kernelINS0_14default_configENS1_37merge_sort_block_sort_config_selectorIsNS0_10empty_typeEEEZNS1_21merge_sort_block_sortIS3_N6thrust23THRUST_200600_302600_NS6detail15normal_iteratorINS9_10device_ptrIsEEEESE_PS5_SF_11less_div_10IsEEE10hipError_tT0_T1_T2_T3_mRjT4_P12ihipStream_tbNS1_7vsmem_tEEUlT_E_NS1_11comp_targetILNS1_3genE0ELNS1_11target_archE4294967295ELNS1_3gpuE0ELNS1_3repE0EEENS1_30default_config_static_selectorELNS0_4arch9wavefront6targetE0EEEvSK_.num_vgpr, 0
	.set _ZN7rocprim17ROCPRIM_400000_NS6detail17trampoline_kernelINS0_14default_configENS1_37merge_sort_block_sort_config_selectorIsNS0_10empty_typeEEEZNS1_21merge_sort_block_sortIS3_N6thrust23THRUST_200600_302600_NS6detail15normal_iteratorINS9_10device_ptrIsEEEESE_PS5_SF_11less_div_10IsEEE10hipError_tT0_T1_T2_T3_mRjT4_P12ihipStream_tbNS1_7vsmem_tEEUlT_E_NS1_11comp_targetILNS1_3genE0ELNS1_11target_archE4294967295ELNS1_3gpuE0ELNS1_3repE0EEENS1_30default_config_static_selectorELNS0_4arch9wavefront6targetE0EEEvSK_.num_agpr, 0
	.set _ZN7rocprim17ROCPRIM_400000_NS6detail17trampoline_kernelINS0_14default_configENS1_37merge_sort_block_sort_config_selectorIsNS0_10empty_typeEEEZNS1_21merge_sort_block_sortIS3_N6thrust23THRUST_200600_302600_NS6detail15normal_iteratorINS9_10device_ptrIsEEEESE_PS5_SF_11less_div_10IsEEE10hipError_tT0_T1_T2_T3_mRjT4_P12ihipStream_tbNS1_7vsmem_tEEUlT_E_NS1_11comp_targetILNS1_3genE0ELNS1_11target_archE4294967295ELNS1_3gpuE0ELNS1_3repE0EEENS1_30default_config_static_selectorELNS0_4arch9wavefront6targetE0EEEvSK_.numbered_sgpr, 0
	.set _ZN7rocprim17ROCPRIM_400000_NS6detail17trampoline_kernelINS0_14default_configENS1_37merge_sort_block_sort_config_selectorIsNS0_10empty_typeEEEZNS1_21merge_sort_block_sortIS3_N6thrust23THRUST_200600_302600_NS6detail15normal_iteratorINS9_10device_ptrIsEEEESE_PS5_SF_11less_div_10IsEEE10hipError_tT0_T1_T2_T3_mRjT4_P12ihipStream_tbNS1_7vsmem_tEEUlT_E_NS1_11comp_targetILNS1_3genE0ELNS1_11target_archE4294967295ELNS1_3gpuE0ELNS1_3repE0EEENS1_30default_config_static_selectorELNS0_4arch9wavefront6targetE0EEEvSK_.num_named_barrier, 0
	.set _ZN7rocprim17ROCPRIM_400000_NS6detail17trampoline_kernelINS0_14default_configENS1_37merge_sort_block_sort_config_selectorIsNS0_10empty_typeEEEZNS1_21merge_sort_block_sortIS3_N6thrust23THRUST_200600_302600_NS6detail15normal_iteratorINS9_10device_ptrIsEEEESE_PS5_SF_11less_div_10IsEEE10hipError_tT0_T1_T2_T3_mRjT4_P12ihipStream_tbNS1_7vsmem_tEEUlT_E_NS1_11comp_targetILNS1_3genE0ELNS1_11target_archE4294967295ELNS1_3gpuE0ELNS1_3repE0EEENS1_30default_config_static_selectorELNS0_4arch9wavefront6targetE0EEEvSK_.private_seg_size, 0
	.set _ZN7rocprim17ROCPRIM_400000_NS6detail17trampoline_kernelINS0_14default_configENS1_37merge_sort_block_sort_config_selectorIsNS0_10empty_typeEEEZNS1_21merge_sort_block_sortIS3_N6thrust23THRUST_200600_302600_NS6detail15normal_iteratorINS9_10device_ptrIsEEEESE_PS5_SF_11less_div_10IsEEE10hipError_tT0_T1_T2_T3_mRjT4_P12ihipStream_tbNS1_7vsmem_tEEUlT_E_NS1_11comp_targetILNS1_3genE0ELNS1_11target_archE4294967295ELNS1_3gpuE0ELNS1_3repE0EEENS1_30default_config_static_selectorELNS0_4arch9wavefront6targetE0EEEvSK_.uses_vcc, 0
	.set _ZN7rocprim17ROCPRIM_400000_NS6detail17trampoline_kernelINS0_14default_configENS1_37merge_sort_block_sort_config_selectorIsNS0_10empty_typeEEEZNS1_21merge_sort_block_sortIS3_N6thrust23THRUST_200600_302600_NS6detail15normal_iteratorINS9_10device_ptrIsEEEESE_PS5_SF_11less_div_10IsEEE10hipError_tT0_T1_T2_T3_mRjT4_P12ihipStream_tbNS1_7vsmem_tEEUlT_E_NS1_11comp_targetILNS1_3genE0ELNS1_11target_archE4294967295ELNS1_3gpuE0ELNS1_3repE0EEENS1_30default_config_static_selectorELNS0_4arch9wavefront6targetE0EEEvSK_.uses_flat_scratch, 0
	.set _ZN7rocprim17ROCPRIM_400000_NS6detail17trampoline_kernelINS0_14default_configENS1_37merge_sort_block_sort_config_selectorIsNS0_10empty_typeEEEZNS1_21merge_sort_block_sortIS3_N6thrust23THRUST_200600_302600_NS6detail15normal_iteratorINS9_10device_ptrIsEEEESE_PS5_SF_11less_div_10IsEEE10hipError_tT0_T1_T2_T3_mRjT4_P12ihipStream_tbNS1_7vsmem_tEEUlT_E_NS1_11comp_targetILNS1_3genE0ELNS1_11target_archE4294967295ELNS1_3gpuE0ELNS1_3repE0EEENS1_30default_config_static_selectorELNS0_4arch9wavefront6targetE0EEEvSK_.has_dyn_sized_stack, 0
	.set _ZN7rocprim17ROCPRIM_400000_NS6detail17trampoline_kernelINS0_14default_configENS1_37merge_sort_block_sort_config_selectorIsNS0_10empty_typeEEEZNS1_21merge_sort_block_sortIS3_N6thrust23THRUST_200600_302600_NS6detail15normal_iteratorINS9_10device_ptrIsEEEESE_PS5_SF_11less_div_10IsEEE10hipError_tT0_T1_T2_T3_mRjT4_P12ihipStream_tbNS1_7vsmem_tEEUlT_E_NS1_11comp_targetILNS1_3genE0ELNS1_11target_archE4294967295ELNS1_3gpuE0ELNS1_3repE0EEENS1_30default_config_static_selectorELNS0_4arch9wavefront6targetE0EEEvSK_.has_recursion, 0
	.set _ZN7rocprim17ROCPRIM_400000_NS6detail17trampoline_kernelINS0_14default_configENS1_37merge_sort_block_sort_config_selectorIsNS0_10empty_typeEEEZNS1_21merge_sort_block_sortIS3_N6thrust23THRUST_200600_302600_NS6detail15normal_iteratorINS9_10device_ptrIsEEEESE_PS5_SF_11less_div_10IsEEE10hipError_tT0_T1_T2_T3_mRjT4_P12ihipStream_tbNS1_7vsmem_tEEUlT_E_NS1_11comp_targetILNS1_3genE0ELNS1_11target_archE4294967295ELNS1_3gpuE0ELNS1_3repE0EEENS1_30default_config_static_selectorELNS0_4arch9wavefront6targetE0EEEvSK_.has_indirect_call, 0
	.section	.AMDGPU.csdata,"",@progbits
; Kernel info:
; codeLenInByte = 0
; TotalNumSgprs: 0
; NumVgprs: 0
; ScratchSize: 0
; MemoryBound: 0
; FloatMode: 240
; IeeeMode: 1
; LDSByteSize: 0 bytes/workgroup (compile time only)
; SGPRBlocks: 0
; VGPRBlocks: 0
; NumSGPRsForWavesPerEU: 1
; NumVGPRsForWavesPerEU: 1
; Occupancy: 16
; WaveLimiterHint : 0
; COMPUTE_PGM_RSRC2:SCRATCH_EN: 0
; COMPUTE_PGM_RSRC2:USER_SGPR: 6
; COMPUTE_PGM_RSRC2:TRAP_HANDLER: 0
; COMPUTE_PGM_RSRC2:TGID_X_EN: 1
; COMPUTE_PGM_RSRC2:TGID_Y_EN: 0
; COMPUTE_PGM_RSRC2:TGID_Z_EN: 0
; COMPUTE_PGM_RSRC2:TIDIG_COMP_CNT: 0
	.section	.text._ZN7rocprim17ROCPRIM_400000_NS6detail17trampoline_kernelINS0_14default_configENS1_37merge_sort_block_sort_config_selectorIsNS0_10empty_typeEEEZNS1_21merge_sort_block_sortIS3_N6thrust23THRUST_200600_302600_NS6detail15normal_iteratorINS9_10device_ptrIsEEEESE_PS5_SF_11less_div_10IsEEE10hipError_tT0_T1_T2_T3_mRjT4_P12ihipStream_tbNS1_7vsmem_tEEUlT_E_NS1_11comp_targetILNS1_3genE5ELNS1_11target_archE942ELNS1_3gpuE9ELNS1_3repE0EEENS1_30default_config_static_selectorELNS0_4arch9wavefront6targetE0EEEvSK_,"axG",@progbits,_ZN7rocprim17ROCPRIM_400000_NS6detail17trampoline_kernelINS0_14default_configENS1_37merge_sort_block_sort_config_selectorIsNS0_10empty_typeEEEZNS1_21merge_sort_block_sortIS3_N6thrust23THRUST_200600_302600_NS6detail15normal_iteratorINS9_10device_ptrIsEEEESE_PS5_SF_11less_div_10IsEEE10hipError_tT0_T1_T2_T3_mRjT4_P12ihipStream_tbNS1_7vsmem_tEEUlT_E_NS1_11comp_targetILNS1_3genE5ELNS1_11target_archE942ELNS1_3gpuE9ELNS1_3repE0EEENS1_30default_config_static_selectorELNS0_4arch9wavefront6targetE0EEEvSK_,comdat
	.protected	_ZN7rocprim17ROCPRIM_400000_NS6detail17trampoline_kernelINS0_14default_configENS1_37merge_sort_block_sort_config_selectorIsNS0_10empty_typeEEEZNS1_21merge_sort_block_sortIS3_N6thrust23THRUST_200600_302600_NS6detail15normal_iteratorINS9_10device_ptrIsEEEESE_PS5_SF_11less_div_10IsEEE10hipError_tT0_T1_T2_T3_mRjT4_P12ihipStream_tbNS1_7vsmem_tEEUlT_E_NS1_11comp_targetILNS1_3genE5ELNS1_11target_archE942ELNS1_3gpuE9ELNS1_3repE0EEENS1_30default_config_static_selectorELNS0_4arch9wavefront6targetE0EEEvSK_ ; -- Begin function _ZN7rocprim17ROCPRIM_400000_NS6detail17trampoline_kernelINS0_14default_configENS1_37merge_sort_block_sort_config_selectorIsNS0_10empty_typeEEEZNS1_21merge_sort_block_sortIS3_N6thrust23THRUST_200600_302600_NS6detail15normal_iteratorINS9_10device_ptrIsEEEESE_PS5_SF_11less_div_10IsEEE10hipError_tT0_T1_T2_T3_mRjT4_P12ihipStream_tbNS1_7vsmem_tEEUlT_E_NS1_11comp_targetILNS1_3genE5ELNS1_11target_archE942ELNS1_3gpuE9ELNS1_3repE0EEENS1_30default_config_static_selectorELNS0_4arch9wavefront6targetE0EEEvSK_
	.globl	_ZN7rocprim17ROCPRIM_400000_NS6detail17trampoline_kernelINS0_14default_configENS1_37merge_sort_block_sort_config_selectorIsNS0_10empty_typeEEEZNS1_21merge_sort_block_sortIS3_N6thrust23THRUST_200600_302600_NS6detail15normal_iteratorINS9_10device_ptrIsEEEESE_PS5_SF_11less_div_10IsEEE10hipError_tT0_T1_T2_T3_mRjT4_P12ihipStream_tbNS1_7vsmem_tEEUlT_E_NS1_11comp_targetILNS1_3genE5ELNS1_11target_archE942ELNS1_3gpuE9ELNS1_3repE0EEENS1_30default_config_static_selectorELNS0_4arch9wavefront6targetE0EEEvSK_
	.p2align	8
	.type	_ZN7rocprim17ROCPRIM_400000_NS6detail17trampoline_kernelINS0_14default_configENS1_37merge_sort_block_sort_config_selectorIsNS0_10empty_typeEEEZNS1_21merge_sort_block_sortIS3_N6thrust23THRUST_200600_302600_NS6detail15normal_iteratorINS9_10device_ptrIsEEEESE_PS5_SF_11less_div_10IsEEE10hipError_tT0_T1_T2_T3_mRjT4_P12ihipStream_tbNS1_7vsmem_tEEUlT_E_NS1_11comp_targetILNS1_3genE5ELNS1_11target_archE942ELNS1_3gpuE9ELNS1_3repE0EEENS1_30default_config_static_selectorELNS0_4arch9wavefront6targetE0EEEvSK_,@function
_ZN7rocprim17ROCPRIM_400000_NS6detail17trampoline_kernelINS0_14default_configENS1_37merge_sort_block_sort_config_selectorIsNS0_10empty_typeEEEZNS1_21merge_sort_block_sortIS3_N6thrust23THRUST_200600_302600_NS6detail15normal_iteratorINS9_10device_ptrIsEEEESE_PS5_SF_11less_div_10IsEEE10hipError_tT0_T1_T2_T3_mRjT4_P12ihipStream_tbNS1_7vsmem_tEEUlT_E_NS1_11comp_targetILNS1_3genE5ELNS1_11target_archE942ELNS1_3gpuE9ELNS1_3repE0EEENS1_30default_config_static_selectorELNS0_4arch9wavefront6targetE0EEEvSK_: ; @_ZN7rocprim17ROCPRIM_400000_NS6detail17trampoline_kernelINS0_14default_configENS1_37merge_sort_block_sort_config_selectorIsNS0_10empty_typeEEEZNS1_21merge_sort_block_sortIS3_N6thrust23THRUST_200600_302600_NS6detail15normal_iteratorINS9_10device_ptrIsEEEESE_PS5_SF_11less_div_10IsEEE10hipError_tT0_T1_T2_T3_mRjT4_P12ihipStream_tbNS1_7vsmem_tEEUlT_E_NS1_11comp_targetILNS1_3genE5ELNS1_11target_archE942ELNS1_3gpuE9ELNS1_3repE0EEENS1_30default_config_static_selectorELNS0_4arch9wavefront6targetE0EEEvSK_
; %bb.0:
	.section	.rodata,"a",@progbits
	.p2align	6, 0x0
	.amdhsa_kernel _ZN7rocprim17ROCPRIM_400000_NS6detail17trampoline_kernelINS0_14default_configENS1_37merge_sort_block_sort_config_selectorIsNS0_10empty_typeEEEZNS1_21merge_sort_block_sortIS3_N6thrust23THRUST_200600_302600_NS6detail15normal_iteratorINS9_10device_ptrIsEEEESE_PS5_SF_11less_div_10IsEEE10hipError_tT0_T1_T2_T3_mRjT4_P12ihipStream_tbNS1_7vsmem_tEEUlT_E_NS1_11comp_targetILNS1_3genE5ELNS1_11target_archE942ELNS1_3gpuE9ELNS1_3repE0EEENS1_30default_config_static_selectorELNS0_4arch9wavefront6targetE0EEEvSK_
		.amdhsa_group_segment_fixed_size 0
		.amdhsa_private_segment_fixed_size 0
		.amdhsa_kernarg_size 64
		.amdhsa_user_sgpr_count 6
		.amdhsa_user_sgpr_private_segment_buffer 1
		.amdhsa_user_sgpr_dispatch_ptr 0
		.amdhsa_user_sgpr_queue_ptr 0
		.amdhsa_user_sgpr_kernarg_segment_ptr 1
		.amdhsa_user_sgpr_dispatch_id 0
		.amdhsa_user_sgpr_flat_scratch_init 0
		.amdhsa_user_sgpr_private_segment_size 0
		.amdhsa_wavefront_size32 1
		.amdhsa_uses_dynamic_stack 0
		.amdhsa_system_sgpr_private_segment_wavefront_offset 0
		.amdhsa_system_sgpr_workgroup_id_x 1
		.amdhsa_system_sgpr_workgroup_id_y 0
		.amdhsa_system_sgpr_workgroup_id_z 0
		.amdhsa_system_sgpr_workgroup_info 0
		.amdhsa_system_vgpr_workitem_id 0
		.amdhsa_next_free_vgpr 1
		.amdhsa_next_free_sgpr 1
		.amdhsa_reserve_vcc 0
		.amdhsa_reserve_flat_scratch 0
		.amdhsa_float_round_mode_32 0
		.amdhsa_float_round_mode_16_64 0
		.amdhsa_float_denorm_mode_32 3
		.amdhsa_float_denorm_mode_16_64 3
		.amdhsa_dx10_clamp 1
		.amdhsa_ieee_mode 1
		.amdhsa_fp16_overflow 0
		.amdhsa_workgroup_processor_mode 1
		.amdhsa_memory_ordered 1
		.amdhsa_forward_progress 1
		.amdhsa_shared_vgpr_count 0
		.amdhsa_exception_fp_ieee_invalid_op 0
		.amdhsa_exception_fp_denorm_src 0
		.amdhsa_exception_fp_ieee_div_zero 0
		.amdhsa_exception_fp_ieee_overflow 0
		.amdhsa_exception_fp_ieee_underflow 0
		.amdhsa_exception_fp_ieee_inexact 0
		.amdhsa_exception_int_div_zero 0
	.end_amdhsa_kernel
	.section	.text._ZN7rocprim17ROCPRIM_400000_NS6detail17trampoline_kernelINS0_14default_configENS1_37merge_sort_block_sort_config_selectorIsNS0_10empty_typeEEEZNS1_21merge_sort_block_sortIS3_N6thrust23THRUST_200600_302600_NS6detail15normal_iteratorINS9_10device_ptrIsEEEESE_PS5_SF_11less_div_10IsEEE10hipError_tT0_T1_T2_T3_mRjT4_P12ihipStream_tbNS1_7vsmem_tEEUlT_E_NS1_11comp_targetILNS1_3genE5ELNS1_11target_archE942ELNS1_3gpuE9ELNS1_3repE0EEENS1_30default_config_static_selectorELNS0_4arch9wavefront6targetE0EEEvSK_,"axG",@progbits,_ZN7rocprim17ROCPRIM_400000_NS6detail17trampoline_kernelINS0_14default_configENS1_37merge_sort_block_sort_config_selectorIsNS0_10empty_typeEEEZNS1_21merge_sort_block_sortIS3_N6thrust23THRUST_200600_302600_NS6detail15normal_iteratorINS9_10device_ptrIsEEEESE_PS5_SF_11less_div_10IsEEE10hipError_tT0_T1_T2_T3_mRjT4_P12ihipStream_tbNS1_7vsmem_tEEUlT_E_NS1_11comp_targetILNS1_3genE5ELNS1_11target_archE942ELNS1_3gpuE9ELNS1_3repE0EEENS1_30default_config_static_selectorELNS0_4arch9wavefront6targetE0EEEvSK_,comdat
.Lfunc_end515:
	.size	_ZN7rocprim17ROCPRIM_400000_NS6detail17trampoline_kernelINS0_14default_configENS1_37merge_sort_block_sort_config_selectorIsNS0_10empty_typeEEEZNS1_21merge_sort_block_sortIS3_N6thrust23THRUST_200600_302600_NS6detail15normal_iteratorINS9_10device_ptrIsEEEESE_PS5_SF_11less_div_10IsEEE10hipError_tT0_T1_T2_T3_mRjT4_P12ihipStream_tbNS1_7vsmem_tEEUlT_E_NS1_11comp_targetILNS1_3genE5ELNS1_11target_archE942ELNS1_3gpuE9ELNS1_3repE0EEENS1_30default_config_static_selectorELNS0_4arch9wavefront6targetE0EEEvSK_, .Lfunc_end515-_ZN7rocprim17ROCPRIM_400000_NS6detail17trampoline_kernelINS0_14default_configENS1_37merge_sort_block_sort_config_selectorIsNS0_10empty_typeEEEZNS1_21merge_sort_block_sortIS3_N6thrust23THRUST_200600_302600_NS6detail15normal_iteratorINS9_10device_ptrIsEEEESE_PS5_SF_11less_div_10IsEEE10hipError_tT0_T1_T2_T3_mRjT4_P12ihipStream_tbNS1_7vsmem_tEEUlT_E_NS1_11comp_targetILNS1_3genE5ELNS1_11target_archE942ELNS1_3gpuE9ELNS1_3repE0EEENS1_30default_config_static_selectorELNS0_4arch9wavefront6targetE0EEEvSK_
                                        ; -- End function
	.set _ZN7rocprim17ROCPRIM_400000_NS6detail17trampoline_kernelINS0_14default_configENS1_37merge_sort_block_sort_config_selectorIsNS0_10empty_typeEEEZNS1_21merge_sort_block_sortIS3_N6thrust23THRUST_200600_302600_NS6detail15normal_iteratorINS9_10device_ptrIsEEEESE_PS5_SF_11less_div_10IsEEE10hipError_tT0_T1_T2_T3_mRjT4_P12ihipStream_tbNS1_7vsmem_tEEUlT_E_NS1_11comp_targetILNS1_3genE5ELNS1_11target_archE942ELNS1_3gpuE9ELNS1_3repE0EEENS1_30default_config_static_selectorELNS0_4arch9wavefront6targetE0EEEvSK_.num_vgpr, 0
	.set _ZN7rocprim17ROCPRIM_400000_NS6detail17trampoline_kernelINS0_14default_configENS1_37merge_sort_block_sort_config_selectorIsNS0_10empty_typeEEEZNS1_21merge_sort_block_sortIS3_N6thrust23THRUST_200600_302600_NS6detail15normal_iteratorINS9_10device_ptrIsEEEESE_PS5_SF_11less_div_10IsEEE10hipError_tT0_T1_T2_T3_mRjT4_P12ihipStream_tbNS1_7vsmem_tEEUlT_E_NS1_11comp_targetILNS1_3genE5ELNS1_11target_archE942ELNS1_3gpuE9ELNS1_3repE0EEENS1_30default_config_static_selectorELNS0_4arch9wavefront6targetE0EEEvSK_.num_agpr, 0
	.set _ZN7rocprim17ROCPRIM_400000_NS6detail17trampoline_kernelINS0_14default_configENS1_37merge_sort_block_sort_config_selectorIsNS0_10empty_typeEEEZNS1_21merge_sort_block_sortIS3_N6thrust23THRUST_200600_302600_NS6detail15normal_iteratorINS9_10device_ptrIsEEEESE_PS5_SF_11less_div_10IsEEE10hipError_tT0_T1_T2_T3_mRjT4_P12ihipStream_tbNS1_7vsmem_tEEUlT_E_NS1_11comp_targetILNS1_3genE5ELNS1_11target_archE942ELNS1_3gpuE9ELNS1_3repE0EEENS1_30default_config_static_selectorELNS0_4arch9wavefront6targetE0EEEvSK_.numbered_sgpr, 0
	.set _ZN7rocprim17ROCPRIM_400000_NS6detail17trampoline_kernelINS0_14default_configENS1_37merge_sort_block_sort_config_selectorIsNS0_10empty_typeEEEZNS1_21merge_sort_block_sortIS3_N6thrust23THRUST_200600_302600_NS6detail15normal_iteratorINS9_10device_ptrIsEEEESE_PS5_SF_11less_div_10IsEEE10hipError_tT0_T1_T2_T3_mRjT4_P12ihipStream_tbNS1_7vsmem_tEEUlT_E_NS1_11comp_targetILNS1_3genE5ELNS1_11target_archE942ELNS1_3gpuE9ELNS1_3repE0EEENS1_30default_config_static_selectorELNS0_4arch9wavefront6targetE0EEEvSK_.num_named_barrier, 0
	.set _ZN7rocprim17ROCPRIM_400000_NS6detail17trampoline_kernelINS0_14default_configENS1_37merge_sort_block_sort_config_selectorIsNS0_10empty_typeEEEZNS1_21merge_sort_block_sortIS3_N6thrust23THRUST_200600_302600_NS6detail15normal_iteratorINS9_10device_ptrIsEEEESE_PS5_SF_11less_div_10IsEEE10hipError_tT0_T1_T2_T3_mRjT4_P12ihipStream_tbNS1_7vsmem_tEEUlT_E_NS1_11comp_targetILNS1_3genE5ELNS1_11target_archE942ELNS1_3gpuE9ELNS1_3repE0EEENS1_30default_config_static_selectorELNS0_4arch9wavefront6targetE0EEEvSK_.private_seg_size, 0
	.set _ZN7rocprim17ROCPRIM_400000_NS6detail17trampoline_kernelINS0_14default_configENS1_37merge_sort_block_sort_config_selectorIsNS0_10empty_typeEEEZNS1_21merge_sort_block_sortIS3_N6thrust23THRUST_200600_302600_NS6detail15normal_iteratorINS9_10device_ptrIsEEEESE_PS5_SF_11less_div_10IsEEE10hipError_tT0_T1_T2_T3_mRjT4_P12ihipStream_tbNS1_7vsmem_tEEUlT_E_NS1_11comp_targetILNS1_3genE5ELNS1_11target_archE942ELNS1_3gpuE9ELNS1_3repE0EEENS1_30default_config_static_selectorELNS0_4arch9wavefront6targetE0EEEvSK_.uses_vcc, 0
	.set _ZN7rocprim17ROCPRIM_400000_NS6detail17trampoline_kernelINS0_14default_configENS1_37merge_sort_block_sort_config_selectorIsNS0_10empty_typeEEEZNS1_21merge_sort_block_sortIS3_N6thrust23THRUST_200600_302600_NS6detail15normal_iteratorINS9_10device_ptrIsEEEESE_PS5_SF_11less_div_10IsEEE10hipError_tT0_T1_T2_T3_mRjT4_P12ihipStream_tbNS1_7vsmem_tEEUlT_E_NS1_11comp_targetILNS1_3genE5ELNS1_11target_archE942ELNS1_3gpuE9ELNS1_3repE0EEENS1_30default_config_static_selectorELNS0_4arch9wavefront6targetE0EEEvSK_.uses_flat_scratch, 0
	.set _ZN7rocprim17ROCPRIM_400000_NS6detail17trampoline_kernelINS0_14default_configENS1_37merge_sort_block_sort_config_selectorIsNS0_10empty_typeEEEZNS1_21merge_sort_block_sortIS3_N6thrust23THRUST_200600_302600_NS6detail15normal_iteratorINS9_10device_ptrIsEEEESE_PS5_SF_11less_div_10IsEEE10hipError_tT0_T1_T2_T3_mRjT4_P12ihipStream_tbNS1_7vsmem_tEEUlT_E_NS1_11comp_targetILNS1_3genE5ELNS1_11target_archE942ELNS1_3gpuE9ELNS1_3repE0EEENS1_30default_config_static_selectorELNS0_4arch9wavefront6targetE0EEEvSK_.has_dyn_sized_stack, 0
	.set _ZN7rocprim17ROCPRIM_400000_NS6detail17trampoline_kernelINS0_14default_configENS1_37merge_sort_block_sort_config_selectorIsNS0_10empty_typeEEEZNS1_21merge_sort_block_sortIS3_N6thrust23THRUST_200600_302600_NS6detail15normal_iteratorINS9_10device_ptrIsEEEESE_PS5_SF_11less_div_10IsEEE10hipError_tT0_T1_T2_T3_mRjT4_P12ihipStream_tbNS1_7vsmem_tEEUlT_E_NS1_11comp_targetILNS1_3genE5ELNS1_11target_archE942ELNS1_3gpuE9ELNS1_3repE0EEENS1_30default_config_static_selectorELNS0_4arch9wavefront6targetE0EEEvSK_.has_recursion, 0
	.set _ZN7rocprim17ROCPRIM_400000_NS6detail17trampoline_kernelINS0_14default_configENS1_37merge_sort_block_sort_config_selectorIsNS0_10empty_typeEEEZNS1_21merge_sort_block_sortIS3_N6thrust23THRUST_200600_302600_NS6detail15normal_iteratorINS9_10device_ptrIsEEEESE_PS5_SF_11less_div_10IsEEE10hipError_tT0_T1_T2_T3_mRjT4_P12ihipStream_tbNS1_7vsmem_tEEUlT_E_NS1_11comp_targetILNS1_3genE5ELNS1_11target_archE942ELNS1_3gpuE9ELNS1_3repE0EEENS1_30default_config_static_selectorELNS0_4arch9wavefront6targetE0EEEvSK_.has_indirect_call, 0
	.section	.AMDGPU.csdata,"",@progbits
; Kernel info:
; codeLenInByte = 0
; TotalNumSgprs: 0
; NumVgprs: 0
; ScratchSize: 0
; MemoryBound: 0
; FloatMode: 240
; IeeeMode: 1
; LDSByteSize: 0 bytes/workgroup (compile time only)
; SGPRBlocks: 0
; VGPRBlocks: 0
; NumSGPRsForWavesPerEU: 1
; NumVGPRsForWavesPerEU: 1
; Occupancy: 16
; WaveLimiterHint : 0
; COMPUTE_PGM_RSRC2:SCRATCH_EN: 0
; COMPUTE_PGM_RSRC2:USER_SGPR: 6
; COMPUTE_PGM_RSRC2:TRAP_HANDLER: 0
; COMPUTE_PGM_RSRC2:TGID_X_EN: 1
; COMPUTE_PGM_RSRC2:TGID_Y_EN: 0
; COMPUTE_PGM_RSRC2:TGID_Z_EN: 0
; COMPUTE_PGM_RSRC2:TIDIG_COMP_CNT: 0
	.section	.text._ZN7rocprim17ROCPRIM_400000_NS6detail17trampoline_kernelINS0_14default_configENS1_37merge_sort_block_sort_config_selectorIsNS0_10empty_typeEEEZNS1_21merge_sort_block_sortIS3_N6thrust23THRUST_200600_302600_NS6detail15normal_iteratorINS9_10device_ptrIsEEEESE_PS5_SF_11less_div_10IsEEE10hipError_tT0_T1_T2_T3_mRjT4_P12ihipStream_tbNS1_7vsmem_tEEUlT_E_NS1_11comp_targetILNS1_3genE4ELNS1_11target_archE910ELNS1_3gpuE8ELNS1_3repE0EEENS1_30default_config_static_selectorELNS0_4arch9wavefront6targetE0EEEvSK_,"axG",@progbits,_ZN7rocprim17ROCPRIM_400000_NS6detail17trampoline_kernelINS0_14default_configENS1_37merge_sort_block_sort_config_selectorIsNS0_10empty_typeEEEZNS1_21merge_sort_block_sortIS3_N6thrust23THRUST_200600_302600_NS6detail15normal_iteratorINS9_10device_ptrIsEEEESE_PS5_SF_11less_div_10IsEEE10hipError_tT0_T1_T2_T3_mRjT4_P12ihipStream_tbNS1_7vsmem_tEEUlT_E_NS1_11comp_targetILNS1_3genE4ELNS1_11target_archE910ELNS1_3gpuE8ELNS1_3repE0EEENS1_30default_config_static_selectorELNS0_4arch9wavefront6targetE0EEEvSK_,comdat
	.protected	_ZN7rocprim17ROCPRIM_400000_NS6detail17trampoline_kernelINS0_14default_configENS1_37merge_sort_block_sort_config_selectorIsNS0_10empty_typeEEEZNS1_21merge_sort_block_sortIS3_N6thrust23THRUST_200600_302600_NS6detail15normal_iteratorINS9_10device_ptrIsEEEESE_PS5_SF_11less_div_10IsEEE10hipError_tT0_T1_T2_T3_mRjT4_P12ihipStream_tbNS1_7vsmem_tEEUlT_E_NS1_11comp_targetILNS1_3genE4ELNS1_11target_archE910ELNS1_3gpuE8ELNS1_3repE0EEENS1_30default_config_static_selectorELNS0_4arch9wavefront6targetE0EEEvSK_ ; -- Begin function _ZN7rocprim17ROCPRIM_400000_NS6detail17trampoline_kernelINS0_14default_configENS1_37merge_sort_block_sort_config_selectorIsNS0_10empty_typeEEEZNS1_21merge_sort_block_sortIS3_N6thrust23THRUST_200600_302600_NS6detail15normal_iteratorINS9_10device_ptrIsEEEESE_PS5_SF_11less_div_10IsEEE10hipError_tT0_T1_T2_T3_mRjT4_P12ihipStream_tbNS1_7vsmem_tEEUlT_E_NS1_11comp_targetILNS1_3genE4ELNS1_11target_archE910ELNS1_3gpuE8ELNS1_3repE0EEENS1_30default_config_static_selectorELNS0_4arch9wavefront6targetE0EEEvSK_
	.globl	_ZN7rocprim17ROCPRIM_400000_NS6detail17trampoline_kernelINS0_14default_configENS1_37merge_sort_block_sort_config_selectorIsNS0_10empty_typeEEEZNS1_21merge_sort_block_sortIS3_N6thrust23THRUST_200600_302600_NS6detail15normal_iteratorINS9_10device_ptrIsEEEESE_PS5_SF_11less_div_10IsEEE10hipError_tT0_T1_T2_T3_mRjT4_P12ihipStream_tbNS1_7vsmem_tEEUlT_E_NS1_11comp_targetILNS1_3genE4ELNS1_11target_archE910ELNS1_3gpuE8ELNS1_3repE0EEENS1_30default_config_static_selectorELNS0_4arch9wavefront6targetE0EEEvSK_
	.p2align	8
	.type	_ZN7rocprim17ROCPRIM_400000_NS6detail17trampoline_kernelINS0_14default_configENS1_37merge_sort_block_sort_config_selectorIsNS0_10empty_typeEEEZNS1_21merge_sort_block_sortIS3_N6thrust23THRUST_200600_302600_NS6detail15normal_iteratorINS9_10device_ptrIsEEEESE_PS5_SF_11less_div_10IsEEE10hipError_tT0_T1_T2_T3_mRjT4_P12ihipStream_tbNS1_7vsmem_tEEUlT_E_NS1_11comp_targetILNS1_3genE4ELNS1_11target_archE910ELNS1_3gpuE8ELNS1_3repE0EEENS1_30default_config_static_selectorELNS0_4arch9wavefront6targetE0EEEvSK_,@function
_ZN7rocprim17ROCPRIM_400000_NS6detail17trampoline_kernelINS0_14default_configENS1_37merge_sort_block_sort_config_selectorIsNS0_10empty_typeEEEZNS1_21merge_sort_block_sortIS3_N6thrust23THRUST_200600_302600_NS6detail15normal_iteratorINS9_10device_ptrIsEEEESE_PS5_SF_11less_div_10IsEEE10hipError_tT0_T1_T2_T3_mRjT4_P12ihipStream_tbNS1_7vsmem_tEEUlT_E_NS1_11comp_targetILNS1_3genE4ELNS1_11target_archE910ELNS1_3gpuE8ELNS1_3repE0EEENS1_30default_config_static_selectorELNS0_4arch9wavefront6targetE0EEEvSK_: ; @_ZN7rocprim17ROCPRIM_400000_NS6detail17trampoline_kernelINS0_14default_configENS1_37merge_sort_block_sort_config_selectorIsNS0_10empty_typeEEEZNS1_21merge_sort_block_sortIS3_N6thrust23THRUST_200600_302600_NS6detail15normal_iteratorINS9_10device_ptrIsEEEESE_PS5_SF_11less_div_10IsEEE10hipError_tT0_T1_T2_T3_mRjT4_P12ihipStream_tbNS1_7vsmem_tEEUlT_E_NS1_11comp_targetILNS1_3genE4ELNS1_11target_archE910ELNS1_3gpuE8ELNS1_3repE0EEENS1_30default_config_static_selectorELNS0_4arch9wavefront6targetE0EEEvSK_
; %bb.0:
	.section	.rodata,"a",@progbits
	.p2align	6, 0x0
	.amdhsa_kernel _ZN7rocprim17ROCPRIM_400000_NS6detail17trampoline_kernelINS0_14default_configENS1_37merge_sort_block_sort_config_selectorIsNS0_10empty_typeEEEZNS1_21merge_sort_block_sortIS3_N6thrust23THRUST_200600_302600_NS6detail15normal_iteratorINS9_10device_ptrIsEEEESE_PS5_SF_11less_div_10IsEEE10hipError_tT0_T1_T2_T3_mRjT4_P12ihipStream_tbNS1_7vsmem_tEEUlT_E_NS1_11comp_targetILNS1_3genE4ELNS1_11target_archE910ELNS1_3gpuE8ELNS1_3repE0EEENS1_30default_config_static_selectorELNS0_4arch9wavefront6targetE0EEEvSK_
		.amdhsa_group_segment_fixed_size 0
		.amdhsa_private_segment_fixed_size 0
		.amdhsa_kernarg_size 64
		.amdhsa_user_sgpr_count 6
		.amdhsa_user_sgpr_private_segment_buffer 1
		.amdhsa_user_sgpr_dispatch_ptr 0
		.amdhsa_user_sgpr_queue_ptr 0
		.amdhsa_user_sgpr_kernarg_segment_ptr 1
		.amdhsa_user_sgpr_dispatch_id 0
		.amdhsa_user_sgpr_flat_scratch_init 0
		.amdhsa_user_sgpr_private_segment_size 0
		.amdhsa_wavefront_size32 1
		.amdhsa_uses_dynamic_stack 0
		.amdhsa_system_sgpr_private_segment_wavefront_offset 0
		.amdhsa_system_sgpr_workgroup_id_x 1
		.amdhsa_system_sgpr_workgroup_id_y 0
		.amdhsa_system_sgpr_workgroup_id_z 0
		.amdhsa_system_sgpr_workgroup_info 0
		.amdhsa_system_vgpr_workitem_id 0
		.amdhsa_next_free_vgpr 1
		.amdhsa_next_free_sgpr 1
		.amdhsa_reserve_vcc 0
		.amdhsa_reserve_flat_scratch 0
		.amdhsa_float_round_mode_32 0
		.amdhsa_float_round_mode_16_64 0
		.amdhsa_float_denorm_mode_32 3
		.amdhsa_float_denorm_mode_16_64 3
		.amdhsa_dx10_clamp 1
		.amdhsa_ieee_mode 1
		.amdhsa_fp16_overflow 0
		.amdhsa_workgroup_processor_mode 1
		.amdhsa_memory_ordered 1
		.amdhsa_forward_progress 1
		.amdhsa_shared_vgpr_count 0
		.amdhsa_exception_fp_ieee_invalid_op 0
		.amdhsa_exception_fp_denorm_src 0
		.amdhsa_exception_fp_ieee_div_zero 0
		.amdhsa_exception_fp_ieee_overflow 0
		.amdhsa_exception_fp_ieee_underflow 0
		.amdhsa_exception_fp_ieee_inexact 0
		.amdhsa_exception_int_div_zero 0
	.end_amdhsa_kernel
	.section	.text._ZN7rocprim17ROCPRIM_400000_NS6detail17trampoline_kernelINS0_14default_configENS1_37merge_sort_block_sort_config_selectorIsNS0_10empty_typeEEEZNS1_21merge_sort_block_sortIS3_N6thrust23THRUST_200600_302600_NS6detail15normal_iteratorINS9_10device_ptrIsEEEESE_PS5_SF_11less_div_10IsEEE10hipError_tT0_T1_T2_T3_mRjT4_P12ihipStream_tbNS1_7vsmem_tEEUlT_E_NS1_11comp_targetILNS1_3genE4ELNS1_11target_archE910ELNS1_3gpuE8ELNS1_3repE0EEENS1_30default_config_static_selectorELNS0_4arch9wavefront6targetE0EEEvSK_,"axG",@progbits,_ZN7rocprim17ROCPRIM_400000_NS6detail17trampoline_kernelINS0_14default_configENS1_37merge_sort_block_sort_config_selectorIsNS0_10empty_typeEEEZNS1_21merge_sort_block_sortIS3_N6thrust23THRUST_200600_302600_NS6detail15normal_iteratorINS9_10device_ptrIsEEEESE_PS5_SF_11less_div_10IsEEE10hipError_tT0_T1_T2_T3_mRjT4_P12ihipStream_tbNS1_7vsmem_tEEUlT_E_NS1_11comp_targetILNS1_3genE4ELNS1_11target_archE910ELNS1_3gpuE8ELNS1_3repE0EEENS1_30default_config_static_selectorELNS0_4arch9wavefront6targetE0EEEvSK_,comdat
.Lfunc_end516:
	.size	_ZN7rocprim17ROCPRIM_400000_NS6detail17trampoline_kernelINS0_14default_configENS1_37merge_sort_block_sort_config_selectorIsNS0_10empty_typeEEEZNS1_21merge_sort_block_sortIS3_N6thrust23THRUST_200600_302600_NS6detail15normal_iteratorINS9_10device_ptrIsEEEESE_PS5_SF_11less_div_10IsEEE10hipError_tT0_T1_T2_T3_mRjT4_P12ihipStream_tbNS1_7vsmem_tEEUlT_E_NS1_11comp_targetILNS1_3genE4ELNS1_11target_archE910ELNS1_3gpuE8ELNS1_3repE0EEENS1_30default_config_static_selectorELNS0_4arch9wavefront6targetE0EEEvSK_, .Lfunc_end516-_ZN7rocprim17ROCPRIM_400000_NS6detail17trampoline_kernelINS0_14default_configENS1_37merge_sort_block_sort_config_selectorIsNS0_10empty_typeEEEZNS1_21merge_sort_block_sortIS3_N6thrust23THRUST_200600_302600_NS6detail15normal_iteratorINS9_10device_ptrIsEEEESE_PS5_SF_11less_div_10IsEEE10hipError_tT0_T1_T2_T3_mRjT4_P12ihipStream_tbNS1_7vsmem_tEEUlT_E_NS1_11comp_targetILNS1_3genE4ELNS1_11target_archE910ELNS1_3gpuE8ELNS1_3repE0EEENS1_30default_config_static_selectorELNS0_4arch9wavefront6targetE0EEEvSK_
                                        ; -- End function
	.set _ZN7rocprim17ROCPRIM_400000_NS6detail17trampoline_kernelINS0_14default_configENS1_37merge_sort_block_sort_config_selectorIsNS0_10empty_typeEEEZNS1_21merge_sort_block_sortIS3_N6thrust23THRUST_200600_302600_NS6detail15normal_iteratorINS9_10device_ptrIsEEEESE_PS5_SF_11less_div_10IsEEE10hipError_tT0_T1_T2_T3_mRjT4_P12ihipStream_tbNS1_7vsmem_tEEUlT_E_NS1_11comp_targetILNS1_3genE4ELNS1_11target_archE910ELNS1_3gpuE8ELNS1_3repE0EEENS1_30default_config_static_selectorELNS0_4arch9wavefront6targetE0EEEvSK_.num_vgpr, 0
	.set _ZN7rocprim17ROCPRIM_400000_NS6detail17trampoline_kernelINS0_14default_configENS1_37merge_sort_block_sort_config_selectorIsNS0_10empty_typeEEEZNS1_21merge_sort_block_sortIS3_N6thrust23THRUST_200600_302600_NS6detail15normal_iteratorINS9_10device_ptrIsEEEESE_PS5_SF_11less_div_10IsEEE10hipError_tT0_T1_T2_T3_mRjT4_P12ihipStream_tbNS1_7vsmem_tEEUlT_E_NS1_11comp_targetILNS1_3genE4ELNS1_11target_archE910ELNS1_3gpuE8ELNS1_3repE0EEENS1_30default_config_static_selectorELNS0_4arch9wavefront6targetE0EEEvSK_.num_agpr, 0
	.set _ZN7rocprim17ROCPRIM_400000_NS6detail17trampoline_kernelINS0_14default_configENS1_37merge_sort_block_sort_config_selectorIsNS0_10empty_typeEEEZNS1_21merge_sort_block_sortIS3_N6thrust23THRUST_200600_302600_NS6detail15normal_iteratorINS9_10device_ptrIsEEEESE_PS5_SF_11less_div_10IsEEE10hipError_tT0_T1_T2_T3_mRjT4_P12ihipStream_tbNS1_7vsmem_tEEUlT_E_NS1_11comp_targetILNS1_3genE4ELNS1_11target_archE910ELNS1_3gpuE8ELNS1_3repE0EEENS1_30default_config_static_selectorELNS0_4arch9wavefront6targetE0EEEvSK_.numbered_sgpr, 0
	.set _ZN7rocprim17ROCPRIM_400000_NS6detail17trampoline_kernelINS0_14default_configENS1_37merge_sort_block_sort_config_selectorIsNS0_10empty_typeEEEZNS1_21merge_sort_block_sortIS3_N6thrust23THRUST_200600_302600_NS6detail15normal_iteratorINS9_10device_ptrIsEEEESE_PS5_SF_11less_div_10IsEEE10hipError_tT0_T1_T2_T3_mRjT4_P12ihipStream_tbNS1_7vsmem_tEEUlT_E_NS1_11comp_targetILNS1_3genE4ELNS1_11target_archE910ELNS1_3gpuE8ELNS1_3repE0EEENS1_30default_config_static_selectorELNS0_4arch9wavefront6targetE0EEEvSK_.num_named_barrier, 0
	.set _ZN7rocprim17ROCPRIM_400000_NS6detail17trampoline_kernelINS0_14default_configENS1_37merge_sort_block_sort_config_selectorIsNS0_10empty_typeEEEZNS1_21merge_sort_block_sortIS3_N6thrust23THRUST_200600_302600_NS6detail15normal_iteratorINS9_10device_ptrIsEEEESE_PS5_SF_11less_div_10IsEEE10hipError_tT0_T1_T2_T3_mRjT4_P12ihipStream_tbNS1_7vsmem_tEEUlT_E_NS1_11comp_targetILNS1_3genE4ELNS1_11target_archE910ELNS1_3gpuE8ELNS1_3repE0EEENS1_30default_config_static_selectorELNS0_4arch9wavefront6targetE0EEEvSK_.private_seg_size, 0
	.set _ZN7rocprim17ROCPRIM_400000_NS6detail17trampoline_kernelINS0_14default_configENS1_37merge_sort_block_sort_config_selectorIsNS0_10empty_typeEEEZNS1_21merge_sort_block_sortIS3_N6thrust23THRUST_200600_302600_NS6detail15normal_iteratorINS9_10device_ptrIsEEEESE_PS5_SF_11less_div_10IsEEE10hipError_tT0_T1_T2_T3_mRjT4_P12ihipStream_tbNS1_7vsmem_tEEUlT_E_NS1_11comp_targetILNS1_3genE4ELNS1_11target_archE910ELNS1_3gpuE8ELNS1_3repE0EEENS1_30default_config_static_selectorELNS0_4arch9wavefront6targetE0EEEvSK_.uses_vcc, 0
	.set _ZN7rocprim17ROCPRIM_400000_NS6detail17trampoline_kernelINS0_14default_configENS1_37merge_sort_block_sort_config_selectorIsNS0_10empty_typeEEEZNS1_21merge_sort_block_sortIS3_N6thrust23THRUST_200600_302600_NS6detail15normal_iteratorINS9_10device_ptrIsEEEESE_PS5_SF_11less_div_10IsEEE10hipError_tT0_T1_T2_T3_mRjT4_P12ihipStream_tbNS1_7vsmem_tEEUlT_E_NS1_11comp_targetILNS1_3genE4ELNS1_11target_archE910ELNS1_3gpuE8ELNS1_3repE0EEENS1_30default_config_static_selectorELNS0_4arch9wavefront6targetE0EEEvSK_.uses_flat_scratch, 0
	.set _ZN7rocprim17ROCPRIM_400000_NS6detail17trampoline_kernelINS0_14default_configENS1_37merge_sort_block_sort_config_selectorIsNS0_10empty_typeEEEZNS1_21merge_sort_block_sortIS3_N6thrust23THRUST_200600_302600_NS6detail15normal_iteratorINS9_10device_ptrIsEEEESE_PS5_SF_11less_div_10IsEEE10hipError_tT0_T1_T2_T3_mRjT4_P12ihipStream_tbNS1_7vsmem_tEEUlT_E_NS1_11comp_targetILNS1_3genE4ELNS1_11target_archE910ELNS1_3gpuE8ELNS1_3repE0EEENS1_30default_config_static_selectorELNS0_4arch9wavefront6targetE0EEEvSK_.has_dyn_sized_stack, 0
	.set _ZN7rocprim17ROCPRIM_400000_NS6detail17trampoline_kernelINS0_14default_configENS1_37merge_sort_block_sort_config_selectorIsNS0_10empty_typeEEEZNS1_21merge_sort_block_sortIS3_N6thrust23THRUST_200600_302600_NS6detail15normal_iteratorINS9_10device_ptrIsEEEESE_PS5_SF_11less_div_10IsEEE10hipError_tT0_T1_T2_T3_mRjT4_P12ihipStream_tbNS1_7vsmem_tEEUlT_E_NS1_11comp_targetILNS1_3genE4ELNS1_11target_archE910ELNS1_3gpuE8ELNS1_3repE0EEENS1_30default_config_static_selectorELNS0_4arch9wavefront6targetE0EEEvSK_.has_recursion, 0
	.set _ZN7rocprim17ROCPRIM_400000_NS6detail17trampoline_kernelINS0_14default_configENS1_37merge_sort_block_sort_config_selectorIsNS0_10empty_typeEEEZNS1_21merge_sort_block_sortIS3_N6thrust23THRUST_200600_302600_NS6detail15normal_iteratorINS9_10device_ptrIsEEEESE_PS5_SF_11less_div_10IsEEE10hipError_tT0_T1_T2_T3_mRjT4_P12ihipStream_tbNS1_7vsmem_tEEUlT_E_NS1_11comp_targetILNS1_3genE4ELNS1_11target_archE910ELNS1_3gpuE8ELNS1_3repE0EEENS1_30default_config_static_selectorELNS0_4arch9wavefront6targetE0EEEvSK_.has_indirect_call, 0
	.section	.AMDGPU.csdata,"",@progbits
; Kernel info:
; codeLenInByte = 0
; TotalNumSgprs: 0
; NumVgprs: 0
; ScratchSize: 0
; MemoryBound: 0
; FloatMode: 240
; IeeeMode: 1
; LDSByteSize: 0 bytes/workgroup (compile time only)
; SGPRBlocks: 0
; VGPRBlocks: 0
; NumSGPRsForWavesPerEU: 1
; NumVGPRsForWavesPerEU: 1
; Occupancy: 16
; WaveLimiterHint : 0
; COMPUTE_PGM_RSRC2:SCRATCH_EN: 0
; COMPUTE_PGM_RSRC2:USER_SGPR: 6
; COMPUTE_PGM_RSRC2:TRAP_HANDLER: 0
; COMPUTE_PGM_RSRC2:TGID_X_EN: 1
; COMPUTE_PGM_RSRC2:TGID_Y_EN: 0
; COMPUTE_PGM_RSRC2:TGID_Z_EN: 0
; COMPUTE_PGM_RSRC2:TIDIG_COMP_CNT: 0
	.section	.text._ZN7rocprim17ROCPRIM_400000_NS6detail17trampoline_kernelINS0_14default_configENS1_37merge_sort_block_sort_config_selectorIsNS0_10empty_typeEEEZNS1_21merge_sort_block_sortIS3_N6thrust23THRUST_200600_302600_NS6detail15normal_iteratorINS9_10device_ptrIsEEEESE_PS5_SF_11less_div_10IsEEE10hipError_tT0_T1_T2_T3_mRjT4_P12ihipStream_tbNS1_7vsmem_tEEUlT_E_NS1_11comp_targetILNS1_3genE3ELNS1_11target_archE908ELNS1_3gpuE7ELNS1_3repE0EEENS1_30default_config_static_selectorELNS0_4arch9wavefront6targetE0EEEvSK_,"axG",@progbits,_ZN7rocprim17ROCPRIM_400000_NS6detail17trampoline_kernelINS0_14default_configENS1_37merge_sort_block_sort_config_selectorIsNS0_10empty_typeEEEZNS1_21merge_sort_block_sortIS3_N6thrust23THRUST_200600_302600_NS6detail15normal_iteratorINS9_10device_ptrIsEEEESE_PS5_SF_11less_div_10IsEEE10hipError_tT0_T1_T2_T3_mRjT4_P12ihipStream_tbNS1_7vsmem_tEEUlT_E_NS1_11comp_targetILNS1_3genE3ELNS1_11target_archE908ELNS1_3gpuE7ELNS1_3repE0EEENS1_30default_config_static_selectorELNS0_4arch9wavefront6targetE0EEEvSK_,comdat
	.protected	_ZN7rocprim17ROCPRIM_400000_NS6detail17trampoline_kernelINS0_14default_configENS1_37merge_sort_block_sort_config_selectorIsNS0_10empty_typeEEEZNS1_21merge_sort_block_sortIS3_N6thrust23THRUST_200600_302600_NS6detail15normal_iteratorINS9_10device_ptrIsEEEESE_PS5_SF_11less_div_10IsEEE10hipError_tT0_T1_T2_T3_mRjT4_P12ihipStream_tbNS1_7vsmem_tEEUlT_E_NS1_11comp_targetILNS1_3genE3ELNS1_11target_archE908ELNS1_3gpuE7ELNS1_3repE0EEENS1_30default_config_static_selectorELNS0_4arch9wavefront6targetE0EEEvSK_ ; -- Begin function _ZN7rocprim17ROCPRIM_400000_NS6detail17trampoline_kernelINS0_14default_configENS1_37merge_sort_block_sort_config_selectorIsNS0_10empty_typeEEEZNS1_21merge_sort_block_sortIS3_N6thrust23THRUST_200600_302600_NS6detail15normal_iteratorINS9_10device_ptrIsEEEESE_PS5_SF_11less_div_10IsEEE10hipError_tT0_T1_T2_T3_mRjT4_P12ihipStream_tbNS1_7vsmem_tEEUlT_E_NS1_11comp_targetILNS1_3genE3ELNS1_11target_archE908ELNS1_3gpuE7ELNS1_3repE0EEENS1_30default_config_static_selectorELNS0_4arch9wavefront6targetE0EEEvSK_
	.globl	_ZN7rocprim17ROCPRIM_400000_NS6detail17trampoline_kernelINS0_14default_configENS1_37merge_sort_block_sort_config_selectorIsNS0_10empty_typeEEEZNS1_21merge_sort_block_sortIS3_N6thrust23THRUST_200600_302600_NS6detail15normal_iteratorINS9_10device_ptrIsEEEESE_PS5_SF_11less_div_10IsEEE10hipError_tT0_T1_T2_T3_mRjT4_P12ihipStream_tbNS1_7vsmem_tEEUlT_E_NS1_11comp_targetILNS1_3genE3ELNS1_11target_archE908ELNS1_3gpuE7ELNS1_3repE0EEENS1_30default_config_static_selectorELNS0_4arch9wavefront6targetE0EEEvSK_
	.p2align	8
	.type	_ZN7rocprim17ROCPRIM_400000_NS6detail17trampoline_kernelINS0_14default_configENS1_37merge_sort_block_sort_config_selectorIsNS0_10empty_typeEEEZNS1_21merge_sort_block_sortIS3_N6thrust23THRUST_200600_302600_NS6detail15normal_iteratorINS9_10device_ptrIsEEEESE_PS5_SF_11less_div_10IsEEE10hipError_tT0_T1_T2_T3_mRjT4_P12ihipStream_tbNS1_7vsmem_tEEUlT_E_NS1_11comp_targetILNS1_3genE3ELNS1_11target_archE908ELNS1_3gpuE7ELNS1_3repE0EEENS1_30default_config_static_selectorELNS0_4arch9wavefront6targetE0EEEvSK_,@function
_ZN7rocprim17ROCPRIM_400000_NS6detail17trampoline_kernelINS0_14default_configENS1_37merge_sort_block_sort_config_selectorIsNS0_10empty_typeEEEZNS1_21merge_sort_block_sortIS3_N6thrust23THRUST_200600_302600_NS6detail15normal_iteratorINS9_10device_ptrIsEEEESE_PS5_SF_11less_div_10IsEEE10hipError_tT0_T1_T2_T3_mRjT4_P12ihipStream_tbNS1_7vsmem_tEEUlT_E_NS1_11comp_targetILNS1_3genE3ELNS1_11target_archE908ELNS1_3gpuE7ELNS1_3repE0EEENS1_30default_config_static_selectorELNS0_4arch9wavefront6targetE0EEEvSK_: ; @_ZN7rocprim17ROCPRIM_400000_NS6detail17trampoline_kernelINS0_14default_configENS1_37merge_sort_block_sort_config_selectorIsNS0_10empty_typeEEEZNS1_21merge_sort_block_sortIS3_N6thrust23THRUST_200600_302600_NS6detail15normal_iteratorINS9_10device_ptrIsEEEESE_PS5_SF_11less_div_10IsEEE10hipError_tT0_T1_T2_T3_mRjT4_P12ihipStream_tbNS1_7vsmem_tEEUlT_E_NS1_11comp_targetILNS1_3genE3ELNS1_11target_archE908ELNS1_3gpuE7ELNS1_3repE0EEENS1_30default_config_static_selectorELNS0_4arch9wavefront6targetE0EEEvSK_
; %bb.0:
	.section	.rodata,"a",@progbits
	.p2align	6, 0x0
	.amdhsa_kernel _ZN7rocprim17ROCPRIM_400000_NS6detail17trampoline_kernelINS0_14default_configENS1_37merge_sort_block_sort_config_selectorIsNS0_10empty_typeEEEZNS1_21merge_sort_block_sortIS3_N6thrust23THRUST_200600_302600_NS6detail15normal_iteratorINS9_10device_ptrIsEEEESE_PS5_SF_11less_div_10IsEEE10hipError_tT0_T1_T2_T3_mRjT4_P12ihipStream_tbNS1_7vsmem_tEEUlT_E_NS1_11comp_targetILNS1_3genE3ELNS1_11target_archE908ELNS1_3gpuE7ELNS1_3repE0EEENS1_30default_config_static_selectorELNS0_4arch9wavefront6targetE0EEEvSK_
		.amdhsa_group_segment_fixed_size 0
		.amdhsa_private_segment_fixed_size 0
		.amdhsa_kernarg_size 64
		.amdhsa_user_sgpr_count 6
		.amdhsa_user_sgpr_private_segment_buffer 1
		.amdhsa_user_sgpr_dispatch_ptr 0
		.amdhsa_user_sgpr_queue_ptr 0
		.amdhsa_user_sgpr_kernarg_segment_ptr 1
		.amdhsa_user_sgpr_dispatch_id 0
		.amdhsa_user_sgpr_flat_scratch_init 0
		.amdhsa_user_sgpr_private_segment_size 0
		.amdhsa_wavefront_size32 1
		.amdhsa_uses_dynamic_stack 0
		.amdhsa_system_sgpr_private_segment_wavefront_offset 0
		.amdhsa_system_sgpr_workgroup_id_x 1
		.amdhsa_system_sgpr_workgroup_id_y 0
		.amdhsa_system_sgpr_workgroup_id_z 0
		.amdhsa_system_sgpr_workgroup_info 0
		.amdhsa_system_vgpr_workitem_id 0
		.amdhsa_next_free_vgpr 1
		.amdhsa_next_free_sgpr 1
		.amdhsa_reserve_vcc 0
		.amdhsa_reserve_flat_scratch 0
		.amdhsa_float_round_mode_32 0
		.amdhsa_float_round_mode_16_64 0
		.amdhsa_float_denorm_mode_32 3
		.amdhsa_float_denorm_mode_16_64 3
		.amdhsa_dx10_clamp 1
		.amdhsa_ieee_mode 1
		.amdhsa_fp16_overflow 0
		.amdhsa_workgroup_processor_mode 1
		.amdhsa_memory_ordered 1
		.amdhsa_forward_progress 1
		.amdhsa_shared_vgpr_count 0
		.amdhsa_exception_fp_ieee_invalid_op 0
		.amdhsa_exception_fp_denorm_src 0
		.amdhsa_exception_fp_ieee_div_zero 0
		.amdhsa_exception_fp_ieee_overflow 0
		.amdhsa_exception_fp_ieee_underflow 0
		.amdhsa_exception_fp_ieee_inexact 0
		.amdhsa_exception_int_div_zero 0
	.end_amdhsa_kernel
	.section	.text._ZN7rocprim17ROCPRIM_400000_NS6detail17trampoline_kernelINS0_14default_configENS1_37merge_sort_block_sort_config_selectorIsNS0_10empty_typeEEEZNS1_21merge_sort_block_sortIS3_N6thrust23THRUST_200600_302600_NS6detail15normal_iteratorINS9_10device_ptrIsEEEESE_PS5_SF_11less_div_10IsEEE10hipError_tT0_T1_T2_T3_mRjT4_P12ihipStream_tbNS1_7vsmem_tEEUlT_E_NS1_11comp_targetILNS1_3genE3ELNS1_11target_archE908ELNS1_3gpuE7ELNS1_3repE0EEENS1_30default_config_static_selectorELNS0_4arch9wavefront6targetE0EEEvSK_,"axG",@progbits,_ZN7rocprim17ROCPRIM_400000_NS6detail17trampoline_kernelINS0_14default_configENS1_37merge_sort_block_sort_config_selectorIsNS0_10empty_typeEEEZNS1_21merge_sort_block_sortIS3_N6thrust23THRUST_200600_302600_NS6detail15normal_iteratorINS9_10device_ptrIsEEEESE_PS5_SF_11less_div_10IsEEE10hipError_tT0_T1_T2_T3_mRjT4_P12ihipStream_tbNS1_7vsmem_tEEUlT_E_NS1_11comp_targetILNS1_3genE3ELNS1_11target_archE908ELNS1_3gpuE7ELNS1_3repE0EEENS1_30default_config_static_selectorELNS0_4arch9wavefront6targetE0EEEvSK_,comdat
.Lfunc_end517:
	.size	_ZN7rocprim17ROCPRIM_400000_NS6detail17trampoline_kernelINS0_14default_configENS1_37merge_sort_block_sort_config_selectorIsNS0_10empty_typeEEEZNS1_21merge_sort_block_sortIS3_N6thrust23THRUST_200600_302600_NS6detail15normal_iteratorINS9_10device_ptrIsEEEESE_PS5_SF_11less_div_10IsEEE10hipError_tT0_T1_T2_T3_mRjT4_P12ihipStream_tbNS1_7vsmem_tEEUlT_E_NS1_11comp_targetILNS1_3genE3ELNS1_11target_archE908ELNS1_3gpuE7ELNS1_3repE0EEENS1_30default_config_static_selectorELNS0_4arch9wavefront6targetE0EEEvSK_, .Lfunc_end517-_ZN7rocprim17ROCPRIM_400000_NS6detail17trampoline_kernelINS0_14default_configENS1_37merge_sort_block_sort_config_selectorIsNS0_10empty_typeEEEZNS1_21merge_sort_block_sortIS3_N6thrust23THRUST_200600_302600_NS6detail15normal_iteratorINS9_10device_ptrIsEEEESE_PS5_SF_11less_div_10IsEEE10hipError_tT0_T1_T2_T3_mRjT4_P12ihipStream_tbNS1_7vsmem_tEEUlT_E_NS1_11comp_targetILNS1_3genE3ELNS1_11target_archE908ELNS1_3gpuE7ELNS1_3repE0EEENS1_30default_config_static_selectorELNS0_4arch9wavefront6targetE0EEEvSK_
                                        ; -- End function
	.set _ZN7rocprim17ROCPRIM_400000_NS6detail17trampoline_kernelINS0_14default_configENS1_37merge_sort_block_sort_config_selectorIsNS0_10empty_typeEEEZNS1_21merge_sort_block_sortIS3_N6thrust23THRUST_200600_302600_NS6detail15normal_iteratorINS9_10device_ptrIsEEEESE_PS5_SF_11less_div_10IsEEE10hipError_tT0_T1_T2_T3_mRjT4_P12ihipStream_tbNS1_7vsmem_tEEUlT_E_NS1_11comp_targetILNS1_3genE3ELNS1_11target_archE908ELNS1_3gpuE7ELNS1_3repE0EEENS1_30default_config_static_selectorELNS0_4arch9wavefront6targetE0EEEvSK_.num_vgpr, 0
	.set _ZN7rocprim17ROCPRIM_400000_NS6detail17trampoline_kernelINS0_14default_configENS1_37merge_sort_block_sort_config_selectorIsNS0_10empty_typeEEEZNS1_21merge_sort_block_sortIS3_N6thrust23THRUST_200600_302600_NS6detail15normal_iteratorINS9_10device_ptrIsEEEESE_PS5_SF_11less_div_10IsEEE10hipError_tT0_T1_T2_T3_mRjT4_P12ihipStream_tbNS1_7vsmem_tEEUlT_E_NS1_11comp_targetILNS1_3genE3ELNS1_11target_archE908ELNS1_3gpuE7ELNS1_3repE0EEENS1_30default_config_static_selectorELNS0_4arch9wavefront6targetE0EEEvSK_.num_agpr, 0
	.set _ZN7rocprim17ROCPRIM_400000_NS6detail17trampoline_kernelINS0_14default_configENS1_37merge_sort_block_sort_config_selectorIsNS0_10empty_typeEEEZNS1_21merge_sort_block_sortIS3_N6thrust23THRUST_200600_302600_NS6detail15normal_iteratorINS9_10device_ptrIsEEEESE_PS5_SF_11less_div_10IsEEE10hipError_tT0_T1_T2_T3_mRjT4_P12ihipStream_tbNS1_7vsmem_tEEUlT_E_NS1_11comp_targetILNS1_3genE3ELNS1_11target_archE908ELNS1_3gpuE7ELNS1_3repE0EEENS1_30default_config_static_selectorELNS0_4arch9wavefront6targetE0EEEvSK_.numbered_sgpr, 0
	.set _ZN7rocprim17ROCPRIM_400000_NS6detail17trampoline_kernelINS0_14default_configENS1_37merge_sort_block_sort_config_selectorIsNS0_10empty_typeEEEZNS1_21merge_sort_block_sortIS3_N6thrust23THRUST_200600_302600_NS6detail15normal_iteratorINS9_10device_ptrIsEEEESE_PS5_SF_11less_div_10IsEEE10hipError_tT0_T1_T2_T3_mRjT4_P12ihipStream_tbNS1_7vsmem_tEEUlT_E_NS1_11comp_targetILNS1_3genE3ELNS1_11target_archE908ELNS1_3gpuE7ELNS1_3repE0EEENS1_30default_config_static_selectorELNS0_4arch9wavefront6targetE0EEEvSK_.num_named_barrier, 0
	.set _ZN7rocprim17ROCPRIM_400000_NS6detail17trampoline_kernelINS0_14default_configENS1_37merge_sort_block_sort_config_selectorIsNS0_10empty_typeEEEZNS1_21merge_sort_block_sortIS3_N6thrust23THRUST_200600_302600_NS6detail15normal_iteratorINS9_10device_ptrIsEEEESE_PS5_SF_11less_div_10IsEEE10hipError_tT0_T1_T2_T3_mRjT4_P12ihipStream_tbNS1_7vsmem_tEEUlT_E_NS1_11comp_targetILNS1_3genE3ELNS1_11target_archE908ELNS1_3gpuE7ELNS1_3repE0EEENS1_30default_config_static_selectorELNS0_4arch9wavefront6targetE0EEEvSK_.private_seg_size, 0
	.set _ZN7rocprim17ROCPRIM_400000_NS6detail17trampoline_kernelINS0_14default_configENS1_37merge_sort_block_sort_config_selectorIsNS0_10empty_typeEEEZNS1_21merge_sort_block_sortIS3_N6thrust23THRUST_200600_302600_NS6detail15normal_iteratorINS9_10device_ptrIsEEEESE_PS5_SF_11less_div_10IsEEE10hipError_tT0_T1_T2_T3_mRjT4_P12ihipStream_tbNS1_7vsmem_tEEUlT_E_NS1_11comp_targetILNS1_3genE3ELNS1_11target_archE908ELNS1_3gpuE7ELNS1_3repE0EEENS1_30default_config_static_selectorELNS0_4arch9wavefront6targetE0EEEvSK_.uses_vcc, 0
	.set _ZN7rocprim17ROCPRIM_400000_NS6detail17trampoline_kernelINS0_14default_configENS1_37merge_sort_block_sort_config_selectorIsNS0_10empty_typeEEEZNS1_21merge_sort_block_sortIS3_N6thrust23THRUST_200600_302600_NS6detail15normal_iteratorINS9_10device_ptrIsEEEESE_PS5_SF_11less_div_10IsEEE10hipError_tT0_T1_T2_T3_mRjT4_P12ihipStream_tbNS1_7vsmem_tEEUlT_E_NS1_11comp_targetILNS1_3genE3ELNS1_11target_archE908ELNS1_3gpuE7ELNS1_3repE0EEENS1_30default_config_static_selectorELNS0_4arch9wavefront6targetE0EEEvSK_.uses_flat_scratch, 0
	.set _ZN7rocprim17ROCPRIM_400000_NS6detail17trampoline_kernelINS0_14default_configENS1_37merge_sort_block_sort_config_selectorIsNS0_10empty_typeEEEZNS1_21merge_sort_block_sortIS3_N6thrust23THRUST_200600_302600_NS6detail15normal_iteratorINS9_10device_ptrIsEEEESE_PS5_SF_11less_div_10IsEEE10hipError_tT0_T1_T2_T3_mRjT4_P12ihipStream_tbNS1_7vsmem_tEEUlT_E_NS1_11comp_targetILNS1_3genE3ELNS1_11target_archE908ELNS1_3gpuE7ELNS1_3repE0EEENS1_30default_config_static_selectorELNS0_4arch9wavefront6targetE0EEEvSK_.has_dyn_sized_stack, 0
	.set _ZN7rocprim17ROCPRIM_400000_NS6detail17trampoline_kernelINS0_14default_configENS1_37merge_sort_block_sort_config_selectorIsNS0_10empty_typeEEEZNS1_21merge_sort_block_sortIS3_N6thrust23THRUST_200600_302600_NS6detail15normal_iteratorINS9_10device_ptrIsEEEESE_PS5_SF_11less_div_10IsEEE10hipError_tT0_T1_T2_T3_mRjT4_P12ihipStream_tbNS1_7vsmem_tEEUlT_E_NS1_11comp_targetILNS1_3genE3ELNS1_11target_archE908ELNS1_3gpuE7ELNS1_3repE0EEENS1_30default_config_static_selectorELNS0_4arch9wavefront6targetE0EEEvSK_.has_recursion, 0
	.set _ZN7rocprim17ROCPRIM_400000_NS6detail17trampoline_kernelINS0_14default_configENS1_37merge_sort_block_sort_config_selectorIsNS0_10empty_typeEEEZNS1_21merge_sort_block_sortIS3_N6thrust23THRUST_200600_302600_NS6detail15normal_iteratorINS9_10device_ptrIsEEEESE_PS5_SF_11less_div_10IsEEE10hipError_tT0_T1_T2_T3_mRjT4_P12ihipStream_tbNS1_7vsmem_tEEUlT_E_NS1_11comp_targetILNS1_3genE3ELNS1_11target_archE908ELNS1_3gpuE7ELNS1_3repE0EEENS1_30default_config_static_selectorELNS0_4arch9wavefront6targetE0EEEvSK_.has_indirect_call, 0
	.section	.AMDGPU.csdata,"",@progbits
; Kernel info:
; codeLenInByte = 0
; TotalNumSgprs: 0
; NumVgprs: 0
; ScratchSize: 0
; MemoryBound: 0
; FloatMode: 240
; IeeeMode: 1
; LDSByteSize: 0 bytes/workgroup (compile time only)
; SGPRBlocks: 0
; VGPRBlocks: 0
; NumSGPRsForWavesPerEU: 1
; NumVGPRsForWavesPerEU: 1
; Occupancy: 16
; WaveLimiterHint : 0
; COMPUTE_PGM_RSRC2:SCRATCH_EN: 0
; COMPUTE_PGM_RSRC2:USER_SGPR: 6
; COMPUTE_PGM_RSRC2:TRAP_HANDLER: 0
; COMPUTE_PGM_RSRC2:TGID_X_EN: 1
; COMPUTE_PGM_RSRC2:TGID_Y_EN: 0
; COMPUTE_PGM_RSRC2:TGID_Z_EN: 0
; COMPUTE_PGM_RSRC2:TIDIG_COMP_CNT: 0
	.section	.text._ZN7rocprim17ROCPRIM_400000_NS6detail17trampoline_kernelINS0_14default_configENS1_37merge_sort_block_sort_config_selectorIsNS0_10empty_typeEEEZNS1_21merge_sort_block_sortIS3_N6thrust23THRUST_200600_302600_NS6detail15normal_iteratorINS9_10device_ptrIsEEEESE_PS5_SF_11less_div_10IsEEE10hipError_tT0_T1_T2_T3_mRjT4_P12ihipStream_tbNS1_7vsmem_tEEUlT_E_NS1_11comp_targetILNS1_3genE2ELNS1_11target_archE906ELNS1_3gpuE6ELNS1_3repE0EEENS1_30default_config_static_selectorELNS0_4arch9wavefront6targetE0EEEvSK_,"axG",@progbits,_ZN7rocprim17ROCPRIM_400000_NS6detail17trampoline_kernelINS0_14default_configENS1_37merge_sort_block_sort_config_selectorIsNS0_10empty_typeEEEZNS1_21merge_sort_block_sortIS3_N6thrust23THRUST_200600_302600_NS6detail15normal_iteratorINS9_10device_ptrIsEEEESE_PS5_SF_11less_div_10IsEEE10hipError_tT0_T1_T2_T3_mRjT4_P12ihipStream_tbNS1_7vsmem_tEEUlT_E_NS1_11comp_targetILNS1_3genE2ELNS1_11target_archE906ELNS1_3gpuE6ELNS1_3repE0EEENS1_30default_config_static_selectorELNS0_4arch9wavefront6targetE0EEEvSK_,comdat
	.protected	_ZN7rocprim17ROCPRIM_400000_NS6detail17trampoline_kernelINS0_14default_configENS1_37merge_sort_block_sort_config_selectorIsNS0_10empty_typeEEEZNS1_21merge_sort_block_sortIS3_N6thrust23THRUST_200600_302600_NS6detail15normal_iteratorINS9_10device_ptrIsEEEESE_PS5_SF_11less_div_10IsEEE10hipError_tT0_T1_T2_T3_mRjT4_P12ihipStream_tbNS1_7vsmem_tEEUlT_E_NS1_11comp_targetILNS1_3genE2ELNS1_11target_archE906ELNS1_3gpuE6ELNS1_3repE0EEENS1_30default_config_static_selectorELNS0_4arch9wavefront6targetE0EEEvSK_ ; -- Begin function _ZN7rocprim17ROCPRIM_400000_NS6detail17trampoline_kernelINS0_14default_configENS1_37merge_sort_block_sort_config_selectorIsNS0_10empty_typeEEEZNS1_21merge_sort_block_sortIS3_N6thrust23THRUST_200600_302600_NS6detail15normal_iteratorINS9_10device_ptrIsEEEESE_PS5_SF_11less_div_10IsEEE10hipError_tT0_T1_T2_T3_mRjT4_P12ihipStream_tbNS1_7vsmem_tEEUlT_E_NS1_11comp_targetILNS1_3genE2ELNS1_11target_archE906ELNS1_3gpuE6ELNS1_3repE0EEENS1_30default_config_static_selectorELNS0_4arch9wavefront6targetE0EEEvSK_
	.globl	_ZN7rocprim17ROCPRIM_400000_NS6detail17trampoline_kernelINS0_14default_configENS1_37merge_sort_block_sort_config_selectorIsNS0_10empty_typeEEEZNS1_21merge_sort_block_sortIS3_N6thrust23THRUST_200600_302600_NS6detail15normal_iteratorINS9_10device_ptrIsEEEESE_PS5_SF_11less_div_10IsEEE10hipError_tT0_T1_T2_T3_mRjT4_P12ihipStream_tbNS1_7vsmem_tEEUlT_E_NS1_11comp_targetILNS1_3genE2ELNS1_11target_archE906ELNS1_3gpuE6ELNS1_3repE0EEENS1_30default_config_static_selectorELNS0_4arch9wavefront6targetE0EEEvSK_
	.p2align	8
	.type	_ZN7rocprim17ROCPRIM_400000_NS6detail17trampoline_kernelINS0_14default_configENS1_37merge_sort_block_sort_config_selectorIsNS0_10empty_typeEEEZNS1_21merge_sort_block_sortIS3_N6thrust23THRUST_200600_302600_NS6detail15normal_iteratorINS9_10device_ptrIsEEEESE_PS5_SF_11less_div_10IsEEE10hipError_tT0_T1_T2_T3_mRjT4_P12ihipStream_tbNS1_7vsmem_tEEUlT_E_NS1_11comp_targetILNS1_3genE2ELNS1_11target_archE906ELNS1_3gpuE6ELNS1_3repE0EEENS1_30default_config_static_selectorELNS0_4arch9wavefront6targetE0EEEvSK_,@function
_ZN7rocprim17ROCPRIM_400000_NS6detail17trampoline_kernelINS0_14default_configENS1_37merge_sort_block_sort_config_selectorIsNS0_10empty_typeEEEZNS1_21merge_sort_block_sortIS3_N6thrust23THRUST_200600_302600_NS6detail15normal_iteratorINS9_10device_ptrIsEEEESE_PS5_SF_11less_div_10IsEEE10hipError_tT0_T1_T2_T3_mRjT4_P12ihipStream_tbNS1_7vsmem_tEEUlT_E_NS1_11comp_targetILNS1_3genE2ELNS1_11target_archE906ELNS1_3gpuE6ELNS1_3repE0EEENS1_30default_config_static_selectorELNS0_4arch9wavefront6targetE0EEEvSK_: ; @_ZN7rocprim17ROCPRIM_400000_NS6detail17trampoline_kernelINS0_14default_configENS1_37merge_sort_block_sort_config_selectorIsNS0_10empty_typeEEEZNS1_21merge_sort_block_sortIS3_N6thrust23THRUST_200600_302600_NS6detail15normal_iteratorINS9_10device_ptrIsEEEESE_PS5_SF_11less_div_10IsEEE10hipError_tT0_T1_T2_T3_mRjT4_P12ihipStream_tbNS1_7vsmem_tEEUlT_E_NS1_11comp_targetILNS1_3genE2ELNS1_11target_archE906ELNS1_3gpuE6ELNS1_3repE0EEENS1_30default_config_static_selectorELNS0_4arch9wavefront6targetE0EEEvSK_
; %bb.0:
	.section	.rodata,"a",@progbits
	.p2align	6, 0x0
	.amdhsa_kernel _ZN7rocprim17ROCPRIM_400000_NS6detail17trampoline_kernelINS0_14default_configENS1_37merge_sort_block_sort_config_selectorIsNS0_10empty_typeEEEZNS1_21merge_sort_block_sortIS3_N6thrust23THRUST_200600_302600_NS6detail15normal_iteratorINS9_10device_ptrIsEEEESE_PS5_SF_11less_div_10IsEEE10hipError_tT0_T1_T2_T3_mRjT4_P12ihipStream_tbNS1_7vsmem_tEEUlT_E_NS1_11comp_targetILNS1_3genE2ELNS1_11target_archE906ELNS1_3gpuE6ELNS1_3repE0EEENS1_30default_config_static_selectorELNS0_4arch9wavefront6targetE0EEEvSK_
		.amdhsa_group_segment_fixed_size 0
		.amdhsa_private_segment_fixed_size 0
		.amdhsa_kernarg_size 64
		.amdhsa_user_sgpr_count 6
		.amdhsa_user_sgpr_private_segment_buffer 1
		.amdhsa_user_sgpr_dispatch_ptr 0
		.amdhsa_user_sgpr_queue_ptr 0
		.amdhsa_user_sgpr_kernarg_segment_ptr 1
		.amdhsa_user_sgpr_dispatch_id 0
		.amdhsa_user_sgpr_flat_scratch_init 0
		.amdhsa_user_sgpr_private_segment_size 0
		.amdhsa_wavefront_size32 1
		.amdhsa_uses_dynamic_stack 0
		.amdhsa_system_sgpr_private_segment_wavefront_offset 0
		.amdhsa_system_sgpr_workgroup_id_x 1
		.amdhsa_system_sgpr_workgroup_id_y 0
		.amdhsa_system_sgpr_workgroup_id_z 0
		.amdhsa_system_sgpr_workgroup_info 0
		.amdhsa_system_vgpr_workitem_id 0
		.amdhsa_next_free_vgpr 1
		.amdhsa_next_free_sgpr 1
		.amdhsa_reserve_vcc 0
		.amdhsa_reserve_flat_scratch 0
		.amdhsa_float_round_mode_32 0
		.amdhsa_float_round_mode_16_64 0
		.amdhsa_float_denorm_mode_32 3
		.amdhsa_float_denorm_mode_16_64 3
		.amdhsa_dx10_clamp 1
		.amdhsa_ieee_mode 1
		.amdhsa_fp16_overflow 0
		.amdhsa_workgroup_processor_mode 1
		.amdhsa_memory_ordered 1
		.amdhsa_forward_progress 1
		.amdhsa_shared_vgpr_count 0
		.amdhsa_exception_fp_ieee_invalid_op 0
		.amdhsa_exception_fp_denorm_src 0
		.amdhsa_exception_fp_ieee_div_zero 0
		.amdhsa_exception_fp_ieee_overflow 0
		.amdhsa_exception_fp_ieee_underflow 0
		.amdhsa_exception_fp_ieee_inexact 0
		.amdhsa_exception_int_div_zero 0
	.end_amdhsa_kernel
	.section	.text._ZN7rocprim17ROCPRIM_400000_NS6detail17trampoline_kernelINS0_14default_configENS1_37merge_sort_block_sort_config_selectorIsNS0_10empty_typeEEEZNS1_21merge_sort_block_sortIS3_N6thrust23THRUST_200600_302600_NS6detail15normal_iteratorINS9_10device_ptrIsEEEESE_PS5_SF_11less_div_10IsEEE10hipError_tT0_T1_T2_T3_mRjT4_P12ihipStream_tbNS1_7vsmem_tEEUlT_E_NS1_11comp_targetILNS1_3genE2ELNS1_11target_archE906ELNS1_3gpuE6ELNS1_3repE0EEENS1_30default_config_static_selectorELNS0_4arch9wavefront6targetE0EEEvSK_,"axG",@progbits,_ZN7rocprim17ROCPRIM_400000_NS6detail17trampoline_kernelINS0_14default_configENS1_37merge_sort_block_sort_config_selectorIsNS0_10empty_typeEEEZNS1_21merge_sort_block_sortIS3_N6thrust23THRUST_200600_302600_NS6detail15normal_iteratorINS9_10device_ptrIsEEEESE_PS5_SF_11less_div_10IsEEE10hipError_tT0_T1_T2_T3_mRjT4_P12ihipStream_tbNS1_7vsmem_tEEUlT_E_NS1_11comp_targetILNS1_3genE2ELNS1_11target_archE906ELNS1_3gpuE6ELNS1_3repE0EEENS1_30default_config_static_selectorELNS0_4arch9wavefront6targetE0EEEvSK_,comdat
.Lfunc_end518:
	.size	_ZN7rocprim17ROCPRIM_400000_NS6detail17trampoline_kernelINS0_14default_configENS1_37merge_sort_block_sort_config_selectorIsNS0_10empty_typeEEEZNS1_21merge_sort_block_sortIS3_N6thrust23THRUST_200600_302600_NS6detail15normal_iteratorINS9_10device_ptrIsEEEESE_PS5_SF_11less_div_10IsEEE10hipError_tT0_T1_T2_T3_mRjT4_P12ihipStream_tbNS1_7vsmem_tEEUlT_E_NS1_11comp_targetILNS1_3genE2ELNS1_11target_archE906ELNS1_3gpuE6ELNS1_3repE0EEENS1_30default_config_static_selectorELNS0_4arch9wavefront6targetE0EEEvSK_, .Lfunc_end518-_ZN7rocprim17ROCPRIM_400000_NS6detail17trampoline_kernelINS0_14default_configENS1_37merge_sort_block_sort_config_selectorIsNS0_10empty_typeEEEZNS1_21merge_sort_block_sortIS3_N6thrust23THRUST_200600_302600_NS6detail15normal_iteratorINS9_10device_ptrIsEEEESE_PS5_SF_11less_div_10IsEEE10hipError_tT0_T1_T2_T3_mRjT4_P12ihipStream_tbNS1_7vsmem_tEEUlT_E_NS1_11comp_targetILNS1_3genE2ELNS1_11target_archE906ELNS1_3gpuE6ELNS1_3repE0EEENS1_30default_config_static_selectorELNS0_4arch9wavefront6targetE0EEEvSK_
                                        ; -- End function
	.set _ZN7rocprim17ROCPRIM_400000_NS6detail17trampoline_kernelINS0_14default_configENS1_37merge_sort_block_sort_config_selectorIsNS0_10empty_typeEEEZNS1_21merge_sort_block_sortIS3_N6thrust23THRUST_200600_302600_NS6detail15normal_iteratorINS9_10device_ptrIsEEEESE_PS5_SF_11less_div_10IsEEE10hipError_tT0_T1_T2_T3_mRjT4_P12ihipStream_tbNS1_7vsmem_tEEUlT_E_NS1_11comp_targetILNS1_3genE2ELNS1_11target_archE906ELNS1_3gpuE6ELNS1_3repE0EEENS1_30default_config_static_selectorELNS0_4arch9wavefront6targetE0EEEvSK_.num_vgpr, 0
	.set _ZN7rocprim17ROCPRIM_400000_NS6detail17trampoline_kernelINS0_14default_configENS1_37merge_sort_block_sort_config_selectorIsNS0_10empty_typeEEEZNS1_21merge_sort_block_sortIS3_N6thrust23THRUST_200600_302600_NS6detail15normal_iteratorINS9_10device_ptrIsEEEESE_PS5_SF_11less_div_10IsEEE10hipError_tT0_T1_T2_T3_mRjT4_P12ihipStream_tbNS1_7vsmem_tEEUlT_E_NS1_11comp_targetILNS1_3genE2ELNS1_11target_archE906ELNS1_3gpuE6ELNS1_3repE0EEENS1_30default_config_static_selectorELNS0_4arch9wavefront6targetE0EEEvSK_.num_agpr, 0
	.set _ZN7rocprim17ROCPRIM_400000_NS6detail17trampoline_kernelINS0_14default_configENS1_37merge_sort_block_sort_config_selectorIsNS0_10empty_typeEEEZNS1_21merge_sort_block_sortIS3_N6thrust23THRUST_200600_302600_NS6detail15normal_iteratorINS9_10device_ptrIsEEEESE_PS5_SF_11less_div_10IsEEE10hipError_tT0_T1_T2_T3_mRjT4_P12ihipStream_tbNS1_7vsmem_tEEUlT_E_NS1_11comp_targetILNS1_3genE2ELNS1_11target_archE906ELNS1_3gpuE6ELNS1_3repE0EEENS1_30default_config_static_selectorELNS0_4arch9wavefront6targetE0EEEvSK_.numbered_sgpr, 0
	.set _ZN7rocprim17ROCPRIM_400000_NS6detail17trampoline_kernelINS0_14default_configENS1_37merge_sort_block_sort_config_selectorIsNS0_10empty_typeEEEZNS1_21merge_sort_block_sortIS3_N6thrust23THRUST_200600_302600_NS6detail15normal_iteratorINS9_10device_ptrIsEEEESE_PS5_SF_11less_div_10IsEEE10hipError_tT0_T1_T2_T3_mRjT4_P12ihipStream_tbNS1_7vsmem_tEEUlT_E_NS1_11comp_targetILNS1_3genE2ELNS1_11target_archE906ELNS1_3gpuE6ELNS1_3repE0EEENS1_30default_config_static_selectorELNS0_4arch9wavefront6targetE0EEEvSK_.num_named_barrier, 0
	.set _ZN7rocprim17ROCPRIM_400000_NS6detail17trampoline_kernelINS0_14default_configENS1_37merge_sort_block_sort_config_selectorIsNS0_10empty_typeEEEZNS1_21merge_sort_block_sortIS3_N6thrust23THRUST_200600_302600_NS6detail15normal_iteratorINS9_10device_ptrIsEEEESE_PS5_SF_11less_div_10IsEEE10hipError_tT0_T1_T2_T3_mRjT4_P12ihipStream_tbNS1_7vsmem_tEEUlT_E_NS1_11comp_targetILNS1_3genE2ELNS1_11target_archE906ELNS1_3gpuE6ELNS1_3repE0EEENS1_30default_config_static_selectorELNS0_4arch9wavefront6targetE0EEEvSK_.private_seg_size, 0
	.set _ZN7rocprim17ROCPRIM_400000_NS6detail17trampoline_kernelINS0_14default_configENS1_37merge_sort_block_sort_config_selectorIsNS0_10empty_typeEEEZNS1_21merge_sort_block_sortIS3_N6thrust23THRUST_200600_302600_NS6detail15normal_iteratorINS9_10device_ptrIsEEEESE_PS5_SF_11less_div_10IsEEE10hipError_tT0_T1_T2_T3_mRjT4_P12ihipStream_tbNS1_7vsmem_tEEUlT_E_NS1_11comp_targetILNS1_3genE2ELNS1_11target_archE906ELNS1_3gpuE6ELNS1_3repE0EEENS1_30default_config_static_selectorELNS0_4arch9wavefront6targetE0EEEvSK_.uses_vcc, 0
	.set _ZN7rocprim17ROCPRIM_400000_NS6detail17trampoline_kernelINS0_14default_configENS1_37merge_sort_block_sort_config_selectorIsNS0_10empty_typeEEEZNS1_21merge_sort_block_sortIS3_N6thrust23THRUST_200600_302600_NS6detail15normal_iteratorINS9_10device_ptrIsEEEESE_PS5_SF_11less_div_10IsEEE10hipError_tT0_T1_T2_T3_mRjT4_P12ihipStream_tbNS1_7vsmem_tEEUlT_E_NS1_11comp_targetILNS1_3genE2ELNS1_11target_archE906ELNS1_3gpuE6ELNS1_3repE0EEENS1_30default_config_static_selectorELNS0_4arch9wavefront6targetE0EEEvSK_.uses_flat_scratch, 0
	.set _ZN7rocprim17ROCPRIM_400000_NS6detail17trampoline_kernelINS0_14default_configENS1_37merge_sort_block_sort_config_selectorIsNS0_10empty_typeEEEZNS1_21merge_sort_block_sortIS3_N6thrust23THRUST_200600_302600_NS6detail15normal_iteratorINS9_10device_ptrIsEEEESE_PS5_SF_11less_div_10IsEEE10hipError_tT0_T1_T2_T3_mRjT4_P12ihipStream_tbNS1_7vsmem_tEEUlT_E_NS1_11comp_targetILNS1_3genE2ELNS1_11target_archE906ELNS1_3gpuE6ELNS1_3repE0EEENS1_30default_config_static_selectorELNS0_4arch9wavefront6targetE0EEEvSK_.has_dyn_sized_stack, 0
	.set _ZN7rocprim17ROCPRIM_400000_NS6detail17trampoline_kernelINS0_14default_configENS1_37merge_sort_block_sort_config_selectorIsNS0_10empty_typeEEEZNS1_21merge_sort_block_sortIS3_N6thrust23THRUST_200600_302600_NS6detail15normal_iteratorINS9_10device_ptrIsEEEESE_PS5_SF_11less_div_10IsEEE10hipError_tT0_T1_T2_T3_mRjT4_P12ihipStream_tbNS1_7vsmem_tEEUlT_E_NS1_11comp_targetILNS1_3genE2ELNS1_11target_archE906ELNS1_3gpuE6ELNS1_3repE0EEENS1_30default_config_static_selectorELNS0_4arch9wavefront6targetE0EEEvSK_.has_recursion, 0
	.set _ZN7rocprim17ROCPRIM_400000_NS6detail17trampoline_kernelINS0_14default_configENS1_37merge_sort_block_sort_config_selectorIsNS0_10empty_typeEEEZNS1_21merge_sort_block_sortIS3_N6thrust23THRUST_200600_302600_NS6detail15normal_iteratorINS9_10device_ptrIsEEEESE_PS5_SF_11less_div_10IsEEE10hipError_tT0_T1_T2_T3_mRjT4_P12ihipStream_tbNS1_7vsmem_tEEUlT_E_NS1_11comp_targetILNS1_3genE2ELNS1_11target_archE906ELNS1_3gpuE6ELNS1_3repE0EEENS1_30default_config_static_selectorELNS0_4arch9wavefront6targetE0EEEvSK_.has_indirect_call, 0
	.section	.AMDGPU.csdata,"",@progbits
; Kernel info:
; codeLenInByte = 0
; TotalNumSgprs: 0
; NumVgprs: 0
; ScratchSize: 0
; MemoryBound: 0
; FloatMode: 240
; IeeeMode: 1
; LDSByteSize: 0 bytes/workgroup (compile time only)
; SGPRBlocks: 0
; VGPRBlocks: 0
; NumSGPRsForWavesPerEU: 1
; NumVGPRsForWavesPerEU: 1
; Occupancy: 16
; WaveLimiterHint : 0
; COMPUTE_PGM_RSRC2:SCRATCH_EN: 0
; COMPUTE_PGM_RSRC2:USER_SGPR: 6
; COMPUTE_PGM_RSRC2:TRAP_HANDLER: 0
; COMPUTE_PGM_RSRC2:TGID_X_EN: 1
; COMPUTE_PGM_RSRC2:TGID_Y_EN: 0
; COMPUTE_PGM_RSRC2:TGID_Z_EN: 0
; COMPUTE_PGM_RSRC2:TIDIG_COMP_CNT: 0
	.section	.text._ZN7rocprim17ROCPRIM_400000_NS6detail17trampoline_kernelINS0_14default_configENS1_37merge_sort_block_sort_config_selectorIsNS0_10empty_typeEEEZNS1_21merge_sort_block_sortIS3_N6thrust23THRUST_200600_302600_NS6detail15normal_iteratorINS9_10device_ptrIsEEEESE_PS5_SF_11less_div_10IsEEE10hipError_tT0_T1_T2_T3_mRjT4_P12ihipStream_tbNS1_7vsmem_tEEUlT_E_NS1_11comp_targetILNS1_3genE10ELNS1_11target_archE1201ELNS1_3gpuE5ELNS1_3repE0EEENS1_30default_config_static_selectorELNS0_4arch9wavefront6targetE0EEEvSK_,"axG",@progbits,_ZN7rocprim17ROCPRIM_400000_NS6detail17trampoline_kernelINS0_14default_configENS1_37merge_sort_block_sort_config_selectorIsNS0_10empty_typeEEEZNS1_21merge_sort_block_sortIS3_N6thrust23THRUST_200600_302600_NS6detail15normal_iteratorINS9_10device_ptrIsEEEESE_PS5_SF_11less_div_10IsEEE10hipError_tT0_T1_T2_T3_mRjT4_P12ihipStream_tbNS1_7vsmem_tEEUlT_E_NS1_11comp_targetILNS1_3genE10ELNS1_11target_archE1201ELNS1_3gpuE5ELNS1_3repE0EEENS1_30default_config_static_selectorELNS0_4arch9wavefront6targetE0EEEvSK_,comdat
	.protected	_ZN7rocprim17ROCPRIM_400000_NS6detail17trampoline_kernelINS0_14default_configENS1_37merge_sort_block_sort_config_selectorIsNS0_10empty_typeEEEZNS1_21merge_sort_block_sortIS3_N6thrust23THRUST_200600_302600_NS6detail15normal_iteratorINS9_10device_ptrIsEEEESE_PS5_SF_11less_div_10IsEEE10hipError_tT0_T1_T2_T3_mRjT4_P12ihipStream_tbNS1_7vsmem_tEEUlT_E_NS1_11comp_targetILNS1_3genE10ELNS1_11target_archE1201ELNS1_3gpuE5ELNS1_3repE0EEENS1_30default_config_static_selectorELNS0_4arch9wavefront6targetE0EEEvSK_ ; -- Begin function _ZN7rocprim17ROCPRIM_400000_NS6detail17trampoline_kernelINS0_14default_configENS1_37merge_sort_block_sort_config_selectorIsNS0_10empty_typeEEEZNS1_21merge_sort_block_sortIS3_N6thrust23THRUST_200600_302600_NS6detail15normal_iteratorINS9_10device_ptrIsEEEESE_PS5_SF_11less_div_10IsEEE10hipError_tT0_T1_T2_T3_mRjT4_P12ihipStream_tbNS1_7vsmem_tEEUlT_E_NS1_11comp_targetILNS1_3genE10ELNS1_11target_archE1201ELNS1_3gpuE5ELNS1_3repE0EEENS1_30default_config_static_selectorELNS0_4arch9wavefront6targetE0EEEvSK_
	.globl	_ZN7rocprim17ROCPRIM_400000_NS6detail17trampoline_kernelINS0_14default_configENS1_37merge_sort_block_sort_config_selectorIsNS0_10empty_typeEEEZNS1_21merge_sort_block_sortIS3_N6thrust23THRUST_200600_302600_NS6detail15normal_iteratorINS9_10device_ptrIsEEEESE_PS5_SF_11less_div_10IsEEE10hipError_tT0_T1_T2_T3_mRjT4_P12ihipStream_tbNS1_7vsmem_tEEUlT_E_NS1_11comp_targetILNS1_3genE10ELNS1_11target_archE1201ELNS1_3gpuE5ELNS1_3repE0EEENS1_30default_config_static_selectorELNS0_4arch9wavefront6targetE0EEEvSK_
	.p2align	8
	.type	_ZN7rocprim17ROCPRIM_400000_NS6detail17trampoline_kernelINS0_14default_configENS1_37merge_sort_block_sort_config_selectorIsNS0_10empty_typeEEEZNS1_21merge_sort_block_sortIS3_N6thrust23THRUST_200600_302600_NS6detail15normal_iteratorINS9_10device_ptrIsEEEESE_PS5_SF_11less_div_10IsEEE10hipError_tT0_T1_T2_T3_mRjT4_P12ihipStream_tbNS1_7vsmem_tEEUlT_E_NS1_11comp_targetILNS1_3genE10ELNS1_11target_archE1201ELNS1_3gpuE5ELNS1_3repE0EEENS1_30default_config_static_selectorELNS0_4arch9wavefront6targetE0EEEvSK_,@function
_ZN7rocprim17ROCPRIM_400000_NS6detail17trampoline_kernelINS0_14default_configENS1_37merge_sort_block_sort_config_selectorIsNS0_10empty_typeEEEZNS1_21merge_sort_block_sortIS3_N6thrust23THRUST_200600_302600_NS6detail15normal_iteratorINS9_10device_ptrIsEEEESE_PS5_SF_11less_div_10IsEEE10hipError_tT0_T1_T2_T3_mRjT4_P12ihipStream_tbNS1_7vsmem_tEEUlT_E_NS1_11comp_targetILNS1_3genE10ELNS1_11target_archE1201ELNS1_3gpuE5ELNS1_3repE0EEENS1_30default_config_static_selectorELNS0_4arch9wavefront6targetE0EEEvSK_: ; @_ZN7rocprim17ROCPRIM_400000_NS6detail17trampoline_kernelINS0_14default_configENS1_37merge_sort_block_sort_config_selectorIsNS0_10empty_typeEEEZNS1_21merge_sort_block_sortIS3_N6thrust23THRUST_200600_302600_NS6detail15normal_iteratorINS9_10device_ptrIsEEEESE_PS5_SF_11less_div_10IsEEE10hipError_tT0_T1_T2_T3_mRjT4_P12ihipStream_tbNS1_7vsmem_tEEUlT_E_NS1_11comp_targetILNS1_3genE10ELNS1_11target_archE1201ELNS1_3gpuE5ELNS1_3repE0EEENS1_30default_config_static_selectorELNS0_4arch9wavefront6targetE0EEEvSK_
; %bb.0:
	.section	.rodata,"a",@progbits
	.p2align	6, 0x0
	.amdhsa_kernel _ZN7rocprim17ROCPRIM_400000_NS6detail17trampoline_kernelINS0_14default_configENS1_37merge_sort_block_sort_config_selectorIsNS0_10empty_typeEEEZNS1_21merge_sort_block_sortIS3_N6thrust23THRUST_200600_302600_NS6detail15normal_iteratorINS9_10device_ptrIsEEEESE_PS5_SF_11less_div_10IsEEE10hipError_tT0_T1_T2_T3_mRjT4_P12ihipStream_tbNS1_7vsmem_tEEUlT_E_NS1_11comp_targetILNS1_3genE10ELNS1_11target_archE1201ELNS1_3gpuE5ELNS1_3repE0EEENS1_30default_config_static_selectorELNS0_4arch9wavefront6targetE0EEEvSK_
		.amdhsa_group_segment_fixed_size 0
		.amdhsa_private_segment_fixed_size 0
		.amdhsa_kernarg_size 64
		.amdhsa_user_sgpr_count 6
		.amdhsa_user_sgpr_private_segment_buffer 1
		.amdhsa_user_sgpr_dispatch_ptr 0
		.amdhsa_user_sgpr_queue_ptr 0
		.amdhsa_user_sgpr_kernarg_segment_ptr 1
		.amdhsa_user_sgpr_dispatch_id 0
		.amdhsa_user_sgpr_flat_scratch_init 0
		.amdhsa_user_sgpr_private_segment_size 0
		.amdhsa_wavefront_size32 1
		.amdhsa_uses_dynamic_stack 0
		.amdhsa_system_sgpr_private_segment_wavefront_offset 0
		.amdhsa_system_sgpr_workgroup_id_x 1
		.amdhsa_system_sgpr_workgroup_id_y 0
		.amdhsa_system_sgpr_workgroup_id_z 0
		.amdhsa_system_sgpr_workgroup_info 0
		.amdhsa_system_vgpr_workitem_id 0
		.amdhsa_next_free_vgpr 1
		.amdhsa_next_free_sgpr 1
		.amdhsa_reserve_vcc 0
		.amdhsa_reserve_flat_scratch 0
		.amdhsa_float_round_mode_32 0
		.amdhsa_float_round_mode_16_64 0
		.amdhsa_float_denorm_mode_32 3
		.amdhsa_float_denorm_mode_16_64 3
		.amdhsa_dx10_clamp 1
		.amdhsa_ieee_mode 1
		.amdhsa_fp16_overflow 0
		.amdhsa_workgroup_processor_mode 1
		.amdhsa_memory_ordered 1
		.amdhsa_forward_progress 1
		.amdhsa_shared_vgpr_count 0
		.amdhsa_exception_fp_ieee_invalid_op 0
		.amdhsa_exception_fp_denorm_src 0
		.amdhsa_exception_fp_ieee_div_zero 0
		.amdhsa_exception_fp_ieee_overflow 0
		.amdhsa_exception_fp_ieee_underflow 0
		.amdhsa_exception_fp_ieee_inexact 0
		.amdhsa_exception_int_div_zero 0
	.end_amdhsa_kernel
	.section	.text._ZN7rocprim17ROCPRIM_400000_NS6detail17trampoline_kernelINS0_14default_configENS1_37merge_sort_block_sort_config_selectorIsNS0_10empty_typeEEEZNS1_21merge_sort_block_sortIS3_N6thrust23THRUST_200600_302600_NS6detail15normal_iteratorINS9_10device_ptrIsEEEESE_PS5_SF_11less_div_10IsEEE10hipError_tT0_T1_T2_T3_mRjT4_P12ihipStream_tbNS1_7vsmem_tEEUlT_E_NS1_11comp_targetILNS1_3genE10ELNS1_11target_archE1201ELNS1_3gpuE5ELNS1_3repE0EEENS1_30default_config_static_selectorELNS0_4arch9wavefront6targetE0EEEvSK_,"axG",@progbits,_ZN7rocprim17ROCPRIM_400000_NS6detail17trampoline_kernelINS0_14default_configENS1_37merge_sort_block_sort_config_selectorIsNS0_10empty_typeEEEZNS1_21merge_sort_block_sortIS3_N6thrust23THRUST_200600_302600_NS6detail15normal_iteratorINS9_10device_ptrIsEEEESE_PS5_SF_11less_div_10IsEEE10hipError_tT0_T1_T2_T3_mRjT4_P12ihipStream_tbNS1_7vsmem_tEEUlT_E_NS1_11comp_targetILNS1_3genE10ELNS1_11target_archE1201ELNS1_3gpuE5ELNS1_3repE0EEENS1_30default_config_static_selectorELNS0_4arch9wavefront6targetE0EEEvSK_,comdat
.Lfunc_end519:
	.size	_ZN7rocprim17ROCPRIM_400000_NS6detail17trampoline_kernelINS0_14default_configENS1_37merge_sort_block_sort_config_selectorIsNS0_10empty_typeEEEZNS1_21merge_sort_block_sortIS3_N6thrust23THRUST_200600_302600_NS6detail15normal_iteratorINS9_10device_ptrIsEEEESE_PS5_SF_11less_div_10IsEEE10hipError_tT0_T1_T2_T3_mRjT4_P12ihipStream_tbNS1_7vsmem_tEEUlT_E_NS1_11comp_targetILNS1_3genE10ELNS1_11target_archE1201ELNS1_3gpuE5ELNS1_3repE0EEENS1_30default_config_static_selectorELNS0_4arch9wavefront6targetE0EEEvSK_, .Lfunc_end519-_ZN7rocprim17ROCPRIM_400000_NS6detail17trampoline_kernelINS0_14default_configENS1_37merge_sort_block_sort_config_selectorIsNS0_10empty_typeEEEZNS1_21merge_sort_block_sortIS3_N6thrust23THRUST_200600_302600_NS6detail15normal_iteratorINS9_10device_ptrIsEEEESE_PS5_SF_11less_div_10IsEEE10hipError_tT0_T1_T2_T3_mRjT4_P12ihipStream_tbNS1_7vsmem_tEEUlT_E_NS1_11comp_targetILNS1_3genE10ELNS1_11target_archE1201ELNS1_3gpuE5ELNS1_3repE0EEENS1_30default_config_static_selectorELNS0_4arch9wavefront6targetE0EEEvSK_
                                        ; -- End function
	.set _ZN7rocprim17ROCPRIM_400000_NS6detail17trampoline_kernelINS0_14default_configENS1_37merge_sort_block_sort_config_selectorIsNS0_10empty_typeEEEZNS1_21merge_sort_block_sortIS3_N6thrust23THRUST_200600_302600_NS6detail15normal_iteratorINS9_10device_ptrIsEEEESE_PS5_SF_11less_div_10IsEEE10hipError_tT0_T1_T2_T3_mRjT4_P12ihipStream_tbNS1_7vsmem_tEEUlT_E_NS1_11comp_targetILNS1_3genE10ELNS1_11target_archE1201ELNS1_3gpuE5ELNS1_3repE0EEENS1_30default_config_static_selectorELNS0_4arch9wavefront6targetE0EEEvSK_.num_vgpr, 0
	.set _ZN7rocprim17ROCPRIM_400000_NS6detail17trampoline_kernelINS0_14default_configENS1_37merge_sort_block_sort_config_selectorIsNS0_10empty_typeEEEZNS1_21merge_sort_block_sortIS3_N6thrust23THRUST_200600_302600_NS6detail15normal_iteratorINS9_10device_ptrIsEEEESE_PS5_SF_11less_div_10IsEEE10hipError_tT0_T1_T2_T3_mRjT4_P12ihipStream_tbNS1_7vsmem_tEEUlT_E_NS1_11comp_targetILNS1_3genE10ELNS1_11target_archE1201ELNS1_3gpuE5ELNS1_3repE0EEENS1_30default_config_static_selectorELNS0_4arch9wavefront6targetE0EEEvSK_.num_agpr, 0
	.set _ZN7rocprim17ROCPRIM_400000_NS6detail17trampoline_kernelINS0_14default_configENS1_37merge_sort_block_sort_config_selectorIsNS0_10empty_typeEEEZNS1_21merge_sort_block_sortIS3_N6thrust23THRUST_200600_302600_NS6detail15normal_iteratorINS9_10device_ptrIsEEEESE_PS5_SF_11less_div_10IsEEE10hipError_tT0_T1_T2_T3_mRjT4_P12ihipStream_tbNS1_7vsmem_tEEUlT_E_NS1_11comp_targetILNS1_3genE10ELNS1_11target_archE1201ELNS1_3gpuE5ELNS1_3repE0EEENS1_30default_config_static_selectorELNS0_4arch9wavefront6targetE0EEEvSK_.numbered_sgpr, 0
	.set _ZN7rocprim17ROCPRIM_400000_NS6detail17trampoline_kernelINS0_14default_configENS1_37merge_sort_block_sort_config_selectorIsNS0_10empty_typeEEEZNS1_21merge_sort_block_sortIS3_N6thrust23THRUST_200600_302600_NS6detail15normal_iteratorINS9_10device_ptrIsEEEESE_PS5_SF_11less_div_10IsEEE10hipError_tT0_T1_T2_T3_mRjT4_P12ihipStream_tbNS1_7vsmem_tEEUlT_E_NS1_11comp_targetILNS1_3genE10ELNS1_11target_archE1201ELNS1_3gpuE5ELNS1_3repE0EEENS1_30default_config_static_selectorELNS0_4arch9wavefront6targetE0EEEvSK_.num_named_barrier, 0
	.set _ZN7rocprim17ROCPRIM_400000_NS6detail17trampoline_kernelINS0_14default_configENS1_37merge_sort_block_sort_config_selectorIsNS0_10empty_typeEEEZNS1_21merge_sort_block_sortIS3_N6thrust23THRUST_200600_302600_NS6detail15normal_iteratorINS9_10device_ptrIsEEEESE_PS5_SF_11less_div_10IsEEE10hipError_tT0_T1_T2_T3_mRjT4_P12ihipStream_tbNS1_7vsmem_tEEUlT_E_NS1_11comp_targetILNS1_3genE10ELNS1_11target_archE1201ELNS1_3gpuE5ELNS1_3repE0EEENS1_30default_config_static_selectorELNS0_4arch9wavefront6targetE0EEEvSK_.private_seg_size, 0
	.set _ZN7rocprim17ROCPRIM_400000_NS6detail17trampoline_kernelINS0_14default_configENS1_37merge_sort_block_sort_config_selectorIsNS0_10empty_typeEEEZNS1_21merge_sort_block_sortIS3_N6thrust23THRUST_200600_302600_NS6detail15normal_iteratorINS9_10device_ptrIsEEEESE_PS5_SF_11less_div_10IsEEE10hipError_tT0_T1_T2_T3_mRjT4_P12ihipStream_tbNS1_7vsmem_tEEUlT_E_NS1_11comp_targetILNS1_3genE10ELNS1_11target_archE1201ELNS1_3gpuE5ELNS1_3repE0EEENS1_30default_config_static_selectorELNS0_4arch9wavefront6targetE0EEEvSK_.uses_vcc, 0
	.set _ZN7rocprim17ROCPRIM_400000_NS6detail17trampoline_kernelINS0_14default_configENS1_37merge_sort_block_sort_config_selectorIsNS0_10empty_typeEEEZNS1_21merge_sort_block_sortIS3_N6thrust23THRUST_200600_302600_NS6detail15normal_iteratorINS9_10device_ptrIsEEEESE_PS5_SF_11less_div_10IsEEE10hipError_tT0_T1_T2_T3_mRjT4_P12ihipStream_tbNS1_7vsmem_tEEUlT_E_NS1_11comp_targetILNS1_3genE10ELNS1_11target_archE1201ELNS1_3gpuE5ELNS1_3repE0EEENS1_30default_config_static_selectorELNS0_4arch9wavefront6targetE0EEEvSK_.uses_flat_scratch, 0
	.set _ZN7rocprim17ROCPRIM_400000_NS6detail17trampoline_kernelINS0_14default_configENS1_37merge_sort_block_sort_config_selectorIsNS0_10empty_typeEEEZNS1_21merge_sort_block_sortIS3_N6thrust23THRUST_200600_302600_NS6detail15normal_iteratorINS9_10device_ptrIsEEEESE_PS5_SF_11less_div_10IsEEE10hipError_tT0_T1_T2_T3_mRjT4_P12ihipStream_tbNS1_7vsmem_tEEUlT_E_NS1_11comp_targetILNS1_3genE10ELNS1_11target_archE1201ELNS1_3gpuE5ELNS1_3repE0EEENS1_30default_config_static_selectorELNS0_4arch9wavefront6targetE0EEEvSK_.has_dyn_sized_stack, 0
	.set _ZN7rocprim17ROCPRIM_400000_NS6detail17trampoline_kernelINS0_14default_configENS1_37merge_sort_block_sort_config_selectorIsNS0_10empty_typeEEEZNS1_21merge_sort_block_sortIS3_N6thrust23THRUST_200600_302600_NS6detail15normal_iteratorINS9_10device_ptrIsEEEESE_PS5_SF_11less_div_10IsEEE10hipError_tT0_T1_T2_T3_mRjT4_P12ihipStream_tbNS1_7vsmem_tEEUlT_E_NS1_11comp_targetILNS1_3genE10ELNS1_11target_archE1201ELNS1_3gpuE5ELNS1_3repE0EEENS1_30default_config_static_selectorELNS0_4arch9wavefront6targetE0EEEvSK_.has_recursion, 0
	.set _ZN7rocprim17ROCPRIM_400000_NS6detail17trampoline_kernelINS0_14default_configENS1_37merge_sort_block_sort_config_selectorIsNS0_10empty_typeEEEZNS1_21merge_sort_block_sortIS3_N6thrust23THRUST_200600_302600_NS6detail15normal_iteratorINS9_10device_ptrIsEEEESE_PS5_SF_11less_div_10IsEEE10hipError_tT0_T1_T2_T3_mRjT4_P12ihipStream_tbNS1_7vsmem_tEEUlT_E_NS1_11comp_targetILNS1_3genE10ELNS1_11target_archE1201ELNS1_3gpuE5ELNS1_3repE0EEENS1_30default_config_static_selectorELNS0_4arch9wavefront6targetE0EEEvSK_.has_indirect_call, 0
	.section	.AMDGPU.csdata,"",@progbits
; Kernel info:
; codeLenInByte = 0
; TotalNumSgprs: 0
; NumVgprs: 0
; ScratchSize: 0
; MemoryBound: 0
; FloatMode: 240
; IeeeMode: 1
; LDSByteSize: 0 bytes/workgroup (compile time only)
; SGPRBlocks: 0
; VGPRBlocks: 0
; NumSGPRsForWavesPerEU: 1
; NumVGPRsForWavesPerEU: 1
; Occupancy: 16
; WaveLimiterHint : 0
; COMPUTE_PGM_RSRC2:SCRATCH_EN: 0
; COMPUTE_PGM_RSRC2:USER_SGPR: 6
; COMPUTE_PGM_RSRC2:TRAP_HANDLER: 0
; COMPUTE_PGM_RSRC2:TGID_X_EN: 1
; COMPUTE_PGM_RSRC2:TGID_Y_EN: 0
; COMPUTE_PGM_RSRC2:TGID_Z_EN: 0
; COMPUTE_PGM_RSRC2:TIDIG_COMP_CNT: 0
	.section	.text._ZN7rocprim17ROCPRIM_400000_NS6detail17trampoline_kernelINS0_14default_configENS1_37merge_sort_block_sort_config_selectorIsNS0_10empty_typeEEEZNS1_21merge_sort_block_sortIS3_N6thrust23THRUST_200600_302600_NS6detail15normal_iteratorINS9_10device_ptrIsEEEESE_PS5_SF_11less_div_10IsEEE10hipError_tT0_T1_T2_T3_mRjT4_P12ihipStream_tbNS1_7vsmem_tEEUlT_E_NS1_11comp_targetILNS1_3genE10ELNS1_11target_archE1200ELNS1_3gpuE4ELNS1_3repE0EEENS1_30default_config_static_selectorELNS0_4arch9wavefront6targetE0EEEvSK_,"axG",@progbits,_ZN7rocprim17ROCPRIM_400000_NS6detail17trampoline_kernelINS0_14default_configENS1_37merge_sort_block_sort_config_selectorIsNS0_10empty_typeEEEZNS1_21merge_sort_block_sortIS3_N6thrust23THRUST_200600_302600_NS6detail15normal_iteratorINS9_10device_ptrIsEEEESE_PS5_SF_11less_div_10IsEEE10hipError_tT0_T1_T2_T3_mRjT4_P12ihipStream_tbNS1_7vsmem_tEEUlT_E_NS1_11comp_targetILNS1_3genE10ELNS1_11target_archE1200ELNS1_3gpuE4ELNS1_3repE0EEENS1_30default_config_static_selectorELNS0_4arch9wavefront6targetE0EEEvSK_,comdat
	.protected	_ZN7rocprim17ROCPRIM_400000_NS6detail17trampoline_kernelINS0_14default_configENS1_37merge_sort_block_sort_config_selectorIsNS0_10empty_typeEEEZNS1_21merge_sort_block_sortIS3_N6thrust23THRUST_200600_302600_NS6detail15normal_iteratorINS9_10device_ptrIsEEEESE_PS5_SF_11less_div_10IsEEE10hipError_tT0_T1_T2_T3_mRjT4_P12ihipStream_tbNS1_7vsmem_tEEUlT_E_NS1_11comp_targetILNS1_3genE10ELNS1_11target_archE1200ELNS1_3gpuE4ELNS1_3repE0EEENS1_30default_config_static_selectorELNS0_4arch9wavefront6targetE0EEEvSK_ ; -- Begin function _ZN7rocprim17ROCPRIM_400000_NS6detail17trampoline_kernelINS0_14default_configENS1_37merge_sort_block_sort_config_selectorIsNS0_10empty_typeEEEZNS1_21merge_sort_block_sortIS3_N6thrust23THRUST_200600_302600_NS6detail15normal_iteratorINS9_10device_ptrIsEEEESE_PS5_SF_11less_div_10IsEEE10hipError_tT0_T1_T2_T3_mRjT4_P12ihipStream_tbNS1_7vsmem_tEEUlT_E_NS1_11comp_targetILNS1_3genE10ELNS1_11target_archE1200ELNS1_3gpuE4ELNS1_3repE0EEENS1_30default_config_static_selectorELNS0_4arch9wavefront6targetE0EEEvSK_
	.globl	_ZN7rocprim17ROCPRIM_400000_NS6detail17trampoline_kernelINS0_14default_configENS1_37merge_sort_block_sort_config_selectorIsNS0_10empty_typeEEEZNS1_21merge_sort_block_sortIS3_N6thrust23THRUST_200600_302600_NS6detail15normal_iteratorINS9_10device_ptrIsEEEESE_PS5_SF_11less_div_10IsEEE10hipError_tT0_T1_T2_T3_mRjT4_P12ihipStream_tbNS1_7vsmem_tEEUlT_E_NS1_11comp_targetILNS1_3genE10ELNS1_11target_archE1200ELNS1_3gpuE4ELNS1_3repE0EEENS1_30default_config_static_selectorELNS0_4arch9wavefront6targetE0EEEvSK_
	.p2align	8
	.type	_ZN7rocprim17ROCPRIM_400000_NS6detail17trampoline_kernelINS0_14default_configENS1_37merge_sort_block_sort_config_selectorIsNS0_10empty_typeEEEZNS1_21merge_sort_block_sortIS3_N6thrust23THRUST_200600_302600_NS6detail15normal_iteratorINS9_10device_ptrIsEEEESE_PS5_SF_11less_div_10IsEEE10hipError_tT0_T1_T2_T3_mRjT4_P12ihipStream_tbNS1_7vsmem_tEEUlT_E_NS1_11comp_targetILNS1_3genE10ELNS1_11target_archE1200ELNS1_3gpuE4ELNS1_3repE0EEENS1_30default_config_static_selectorELNS0_4arch9wavefront6targetE0EEEvSK_,@function
_ZN7rocprim17ROCPRIM_400000_NS6detail17trampoline_kernelINS0_14default_configENS1_37merge_sort_block_sort_config_selectorIsNS0_10empty_typeEEEZNS1_21merge_sort_block_sortIS3_N6thrust23THRUST_200600_302600_NS6detail15normal_iteratorINS9_10device_ptrIsEEEESE_PS5_SF_11less_div_10IsEEE10hipError_tT0_T1_T2_T3_mRjT4_P12ihipStream_tbNS1_7vsmem_tEEUlT_E_NS1_11comp_targetILNS1_3genE10ELNS1_11target_archE1200ELNS1_3gpuE4ELNS1_3repE0EEENS1_30default_config_static_selectorELNS0_4arch9wavefront6targetE0EEEvSK_: ; @_ZN7rocprim17ROCPRIM_400000_NS6detail17trampoline_kernelINS0_14default_configENS1_37merge_sort_block_sort_config_selectorIsNS0_10empty_typeEEEZNS1_21merge_sort_block_sortIS3_N6thrust23THRUST_200600_302600_NS6detail15normal_iteratorINS9_10device_ptrIsEEEESE_PS5_SF_11less_div_10IsEEE10hipError_tT0_T1_T2_T3_mRjT4_P12ihipStream_tbNS1_7vsmem_tEEUlT_E_NS1_11comp_targetILNS1_3genE10ELNS1_11target_archE1200ELNS1_3gpuE4ELNS1_3repE0EEENS1_30default_config_static_selectorELNS0_4arch9wavefront6targetE0EEEvSK_
; %bb.0:
	.section	.rodata,"a",@progbits
	.p2align	6, 0x0
	.amdhsa_kernel _ZN7rocprim17ROCPRIM_400000_NS6detail17trampoline_kernelINS0_14default_configENS1_37merge_sort_block_sort_config_selectorIsNS0_10empty_typeEEEZNS1_21merge_sort_block_sortIS3_N6thrust23THRUST_200600_302600_NS6detail15normal_iteratorINS9_10device_ptrIsEEEESE_PS5_SF_11less_div_10IsEEE10hipError_tT0_T1_T2_T3_mRjT4_P12ihipStream_tbNS1_7vsmem_tEEUlT_E_NS1_11comp_targetILNS1_3genE10ELNS1_11target_archE1200ELNS1_3gpuE4ELNS1_3repE0EEENS1_30default_config_static_selectorELNS0_4arch9wavefront6targetE0EEEvSK_
		.amdhsa_group_segment_fixed_size 0
		.amdhsa_private_segment_fixed_size 0
		.amdhsa_kernarg_size 64
		.amdhsa_user_sgpr_count 6
		.amdhsa_user_sgpr_private_segment_buffer 1
		.amdhsa_user_sgpr_dispatch_ptr 0
		.amdhsa_user_sgpr_queue_ptr 0
		.amdhsa_user_sgpr_kernarg_segment_ptr 1
		.amdhsa_user_sgpr_dispatch_id 0
		.amdhsa_user_sgpr_flat_scratch_init 0
		.amdhsa_user_sgpr_private_segment_size 0
		.amdhsa_wavefront_size32 1
		.amdhsa_uses_dynamic_stack 0
		.amdhsa_system_sgpr_private_segment_wavefront_offset 0
		.amdhsa_system_sgpr_workgroup_id_x 1
		.amdhsa_system_sgpr_workgroup_id_y 0
		.amdhsa_system_sgpr_workgroup_id_z 0
		.amdhsa_system_sgpr_workgroup_info 0
		.amdhsa_system_vgpr_workitem_id 0
		.amdhsa_next_free_vgpr 1
		.amdhsa_next_free_sgpr 1
		.amdhsa_reserve_vcc 0
		.amdhsa_reserve_flat_scratch 0
		.amdhsa_float_round_mode_32 0
		.amdhsa_float_round_mode_16_64 0
		.amdhsa_float_denorm_mode_32 3
		.amdhsa_float_denorm_mode_16_64 3
		.amdhsa_dx10_clamp 1
		.amdhsa_ieee_mode 1
		.amdhsa_fp16_overflow 0
		.amdhsa_workgroup_processor_mode 1
		.amdhsa_memory_ordered 1
		.amdhsa_forward_progress 1
		.amdhsa_shared_vgpr_count 0
		.amdhsa_exception_fp_ieee_invalid_op 0
		.amdhsa_exception_fp_denorm_src 0
		.amdhsa_exception_fp_ieee_div_zero 0
		.amdhsa_exception_fp_ieee_overflow 0
		.amdhsa_exception_fp_ieee_underflow 0
		.amdhsa_exception_fp_ieee_inexact 0
		.amdhsa_exception_int_div_zero 0
	.end_amdhsa_kernel
	.section	.text._ZN7rocprim17ROCPRIM_400000_NS6detail17trampoline_kernelINS0_14default_configENS1_37merge_sort_block_sort_config_selectorIsNS0_10empty_typeEEEZNS1_21merge_sort_block_sortIS3_N6thrust23THRUST_200600_302600_NS6detail15normal_iteratorINS9_10device_ptrIsEEEESE_PS5_SF_11less_div_10IsEEE10hipError_tT0_T1_T2_T3_mRjT4_P12ihipStream_tbNS1_7vsmem_tEEUlT_E_NS1_11comp_targetILNS1_3genE10ELNS1_11target_archE1200ELNS1_3gpuE4ELNS1_3repE0EEENS1_30default_config_static_selectorELNS0_4arch9wavefront6targetE0EEEvSK_,"axG",@progbits,_ZN7rocprim17ROCPRIM_400000_NS6detail17trampoline_kernelINS0_14default_configENS1_37merge_sort_block_sort_config_selectorIsNS0_10empty_typeEEEZNS1_21merge_sort_block_sortIS3_N6thrust23THRUST_200600_302600_NS6detail15normal_iteratorINS9_10device_ptrIsEEEESE_PS5_SF_11less_div_10IsEEE10hipError_tT0_T1_T2_T3_mRjT4_P12ihipStream_tbNS1_7vsmem_tEEUlT_E_NS1_11comp_targetILNS1_3genE10ELNS1_11target_archE1200ELNS1_3gpuE4ELNS1_3repE0EEENS1_30default_config_static_selectorELNS0_4arch9wavefront6targetE0EEEvSK_,comdat
.Lfunc_end520:
	.size	_ZN7rocprim17ROCPRIM_400000_NS6detail17trampoline_kernelINS0_14default_configENS1_37merge_sort_block_sort_config_selectorIsNS0_10empty_typeEEEZNS1_21merge_sort_block_sortIS3_N6thrust23THRUST_200600_302600_NS6detail15normal_iteratorINS9_10device_ptrIsEEEESE_PS5_SF_11less_div_10IsEEE10hipError_tT0_T1_T2_T3_mRjT4_P12ihipStream_tbNS1_7vsmem_tEEUlT_E_NS1_11comp_targetILNS1_3genE10ELNS1_11target_archE1200ELNS1_3gpuE4ELNS1_3repE0EEENS1_30default_config_static_selectorELNS0_4arch9wavefront6targetE0EEEvSK_, .Lfunc_end520-_ZN7rocprim17ROCPRIM_400000_NS6detail17trampoline_kernelINS0_14default_configENS1_37merge_sort_block_sort_config_selectorIsNS0_10empty_typeEEEZNS1_21merge_sort_block_sortIS3_N6thrust23THRUST_200600_302600_NS6detail15normal_iteratorINS9_10device_ptrIsEEEESE_PS5_SF_11less_div_10IsEEE10hipError_tT0_T1_T2_T3_mRjT4_P12ihipStream_tbNS1_7vsmem_tEEUlT_E_NS1_11comp_targetILNS1_3genE10ELNS1_11target_archE1200ELNS1_3gpuE4ELNS1_3repE0EEENS1_30default_config_static_selectorELNS0_4arch9wavefront6targetE0EEEvSK_
                                        ; -- End function
	.set _ZN7rocprim17ROCPRIM_400000_NS6detail17trampoline_kernelINS0_14default_configENS1_37merge_sort_block_sort_config_selectorIsNS0_10empty_typeEEEZNS1_21merge_sort_block_sortIS3_N6thrust23THRUST_200600_302600_NS6detail15normal_iteratorINS9_10device_ptrIsEEEESE_PS5_SF_11less_div_10IsEEE10hipError_tT0_T1_T2_T3_mRjT4_P12ihipStream_tbNS1_7vsmem_tEEUlT_E_NS1_11comp_targetILNS1_3genE10ELNS1_11target_archE1200ELNS1_3gpuE4ELNS1_3repE0EEENS1_30default_config_static_selectorELNS0_4arch9wavefront6targetE0EEEvSK_.num_vgpr, 0
	.set _ZN7rocprim17ROCPRIM_400000_NS6detail17trampoline_kernelINS0_14default_configENS1_37merge_sort_block_sort_config_selectorIsNS0_10empty_typeEEEZNS1_21merge_sort_block_sortIS3_N6thrust23THRUST_200600_302600_NS6detail15normal_iteratorINS9_10device_ptrIsEEEESE_PS5_SF_11less_div_10IsEEE10hipError_tT0_T1_T2_T3_mRjT4_P12ihipStream_tbNS1_7vsmem_tEEUlT_E_NS1_11comp_targetILNS1_3genE10ELNS1_11target_archE1200ELNS1_3gpuE4ELNS1_3repE0EEENS1_30default_config_static_selectorELNS0_4arch9wavefront6targetE0EEEvSK_.num_agpr, 0
	.set _ZN7rocprim17ROCPRIM_400000_NS6detail17trampoline_kernelINS0_14default_configENS1_37merge_sort_block_sort_config_selectorIsNS0_10empty_typeEEEZNS1_21merge_sort_block_sortIS3_N6thrust23THRUST_200600_302600_NS6detail15normal_iteratorINS9_10device_ptrIsEEEESE_PS5_SF_11less_div_10IsEEE10hipError_tT0_T1_T2_T3_mRjT4_P12ihipStream_tbNS1_7vsmem_tEEUlT_E_NS1_11comp_targetILNS1_3genE10ELNS1_11target_archE1200ELNS1_3gpuE4ELNS1_3repE0EEENS1_30default_config_static_selectorELNS0_4arch9wavefront6targetE0EEEvSK_.numbered_sgpr, 0
	.set _ZN7rocprim17ROCPRIM_400000_NS6detail17trampoline_kernelINS0_14default_configENS1_37merge_sort_block_sort_config_selectorIsNS0_10empty_typeEEEZNS1_21merge_sort_block_sortIS3_N6thrust23THRUST_200600_302600_NS6detail15normal_iteratorINS9_10device_ptrIsEEEESE_PS5_SF_11less_div_10IsEEE10hipError_tT0_T1_T2_T3_mRjT4_P12ihipStream_tbNS1_7vsmem_tEEUlT_E_NS1_11comp_targetILNS1_3genE10ELNS1_11target_archE1200ELNS1_3gpuE4ELNS1_3repE0EEENS1_30default_config_static_selectorELNS0_4arch9wavefront6targetE0EEEvSK_.num_named_barrier, 0
	.set _ZN7rocprim17ROCPRIM_400000_NS6detail17trampoline_kernelINS0_14default_configENS1_37merge_sort_block_sort_config_selectorIsNS0_10empty_typeEEEZNS1_21merge_sort_block_sortIS3_N6thrust23THRUST_200600_302600_NS6detail15normal_iteratorINS9_10device_ptrIsEEEESE_PS5_SF_11less_div_10IsEEE10hipError_tT0_T1_T2_T3_mRjT4_P12ihipStream_tbNS1_7vsmem_tEEUlT_E_NS1_11comp_targetILNS1_3genE10ELNS1_11target_archE1200ELNS1_3gpuE4ELNS1_3repE0EEENS1_30default_config_static_selectorELNS0_4arch9wavefront6targetE0EEEvSK_.private_seg_size, 0
	.set _ZN7rocprim17ROCPRIM_400000_NS6detail17trampoline_kernelINS0_14default_configENS1_37merge_sort_block_sort_config_selectorIsNS0_10empty_typeEEEZNS1_21merge_sort_block_sortIS3_N6thrust23THRUST_200600_302600_NS6detail15normal_iteratorINS9_10device_ptrIsEEEESE_PS5_SF_11less_div_10IsEEE10hipError_tT0_T1_T2_T3_mRjT4_P12ihipStream_tbNS1_7vsmem_tEEUlT_E_NS1_11comp_targetILNS1_3genE10ELNS1_11target_archE1200ELNS1_3gpuE4ELNS1_3repE0EEENS1_30default_config_static_selectorELNS0_4arch9wavefront6targetE0EEEvSK_.uses_vcc, 0
	.set _ZN7rocprim17ROCPRIM_400000_NS6detail17trampoline_kernelINS0_14default_configENS1_37merge_sort_block_sort_config_selectorIsNS0_10empty_typeEEEZNS1_21merge_sort_block_sortIS3_N6thrust23THRUST_200600_302600_NS6detail15normal_iteratorINS9_10device_ptrIsEEEESE_PS5_SF_11less_div_10IsEEE10hipError_tT0_T1_T2_T3_mRjT4_P12ihipStream_tbNS1_7vsmem_tEEUlT_E_NS1_11comp_targetILNS1_3genE10ELNS1_11target_archE1200ELNS1_3gpuE4ELNS1_3repE0EEENS1_30default_config_static_selectorELNS0_4arch9wavefront6targetE0EEEvSK_.uses_flat_scratch, 0
	.set _ZN7rocprim17ROCPRIM_400000_NS6detail17trampoline_kernelINS0_14default_configENS1_37merge_sort_block_sort_config_selectorIsNS0_10empty_typeEEEZNS1_21merge_sort_block_sortIS3_N6thrust23THRUST_200600_302600_NS6detail15normal_iteratorINS9_10device_ptrIsEEEESE_PS5_SF_11less_div_10IsEEE10hipError_tT0_T1_T2_T3_mRjT4_P12ihipStream_tbNS1_7vsmem_tEEUlT_E_NS1_11comp_targetILNS1_3genE10ELNS1_11target_archE1200ELNS1_3gpuE4ELNS1_3repE0EEENS1_30default_config_static_selectorELNS0_4arch9wavefront6targetE0EEEvSK_.has_dyn_sized_stack, 0
	.set _ZN7rocprim17ROCPRIM_400000_NS6detail17trampoline_kernelINS0_14default_configENS1_37merge_sort_block_sort_config_selectorIsNS0_10empty_typeEEEZNS1_21merge_sort_block_sortIS3_N6thrust23THRUST_200600_302600_NS6detail15normal_iteratorINS9_10device_ptrIsEEEESE_PS5_SF_11less_div_10IsEEE10hipError_tT0_T1_T2_T3_mRjT4_P12ihipStream_tbNS1_7vsmem_tEEUlT_E_NS1_11comp_targetILNS1_3genE10ELNS1_11target_archE1200ELNS1_3gpuE4ELNS1_3repE0EEENS1_30default_config_static_selectorELNS0_4arch9wavefront6targetE0EEEvSK_.has_recursion, 0
	.set _ZN7rocprim17ROCPRIM_400000_NS6detail17trampoline_kernelINS0_14default_configENS1_37merge_sort_block_sort_config_selectorIsNS0_10empty_typeEEEZNS1_21merge_sort_block_sortIS3_N6thrust23THRUST_200600_302600_NS6detail15normal_iteratorINS9_10device_ptrIsEEEESE_PS5_SF_11less_div_10IsEEE10hipError_tT0_T1_T2_T3_mRjT4_P12ihipStream_tbNS1_7vsmem_tEEUlT_E_NS1_11comp_targetILNS1_3genE10ELNS1_11target_archE1200ELNS1_3gpuE4ELNS1_3repE0EEENS1_30default_config_static_selectorELNS0_4arch9wavefront6targetE0EEEvSK_.has_indirect_call, 0
	.section	.AMDGPU.csdata,"",@progbits
; Kernel info:
; codeLenInByte = 0
; TotalNumSgprs: 0
; NumVgprs: 0
; ScratchSize: 0
; MemoryBound: 0
; FloatMode: 240
; IeeeMode: 1
; LDSByteSize: 0 bytes/workgroup (compile time only)
; SGPRBlocks: 0
; VGPRBlocks: 0
; NumSGPRsForWavesPerEU: 1
; NumVGPRsForWavesPerEU: 1
; Occupancy: 16
; WaveLimiterHint : 0
; COMPUTE_PGM_RSRC2:SCRATCH_EN: 0
; COMPUTE_PGM_RSRC2:USER_SGPR: 6
; COMPUTE_PGM_RSRC2:TRAP_HANDLER: 0
; COMPUTE_PGM_RSRC2:TGID_X_EN: 1
; COMPUTE_PGM_RSRC2:TGID_Y_EN: 0
; COMPUTE_PGM_RSRC2:TGID_Z_EN: 0
; COMPUTE_PGM_RSRC2:TIDIG_COMP_CNT: 0
	.section	.text._ZN7rocprim17ROCPRIM_400000_NS6detail17trampoline_kernelINS0_14default_configENS1_37merge_sort_block_sort_config_selectorIsNS0_10empty_typeEEEZNS1_21merge_sort_block_sortIS3_N6thrust23THRUST_200600_302600_NS6detail15normal_iteratorINS9_10device_ptrIsEEEESE_PS5_SF_11less_div_10IsEEE10hipError_tT0_T1_T2_T3_mRjT4_P12ihipStream_tbNS1_7vsmem_tEEUlT_E_NS1_11comp_targetILNS1_3genE9ELNS1_11target_archE1100ELNS1_3gpuE3ELNS1_3repE0EEENS1_30default_config_static_selectorELNS0_4arch9wavefront6targetE0EEEvSK_,"axG",@progbits,_ZN7rocprim17ROCPRIM_400000_NS6detail17trampoline_kernelINS0_14default_configENS1_37merge_sort_block_sort_config_selectorIsNS0_10empty_typeEEEZNS1_21merge_sort_block_sortIS3_N6thrust23THRUST_200600_302600_NS6detail15normal_iteratorINS9_10device_ptrIsEEEESE_PS5_SF_11less_div_10IsEEE10hipError_tT0_T1_T2_T3_mRjT4_P12ihipStream_tbNS1_7vsmem_tEEUlT_E_NS1_11comp_targetILNS1_3genE9ELNS1_11target_archE1100ELNS1_3gpuE3ELNS1_3repE0EEENS1_30default_config_static_selectorELNS0_4arch9wavefront6targetE0EEEvSK_,comdat
	.protected	_ZN7rocprim17ROCPRIM_400000_NS6detail17trampoline_kernelINS0_14default_configENS1_37merge_sort_block_sort_config_selectorIsNS0_10empty_typeEEEZNS1_21merge_sort_block_sortIS3_N6thrust23THRUST_200600_302600_NS6detail15normal_iteratorINS9_10device_ptrIsEEEESE_PS5_SF_11less_div_10IsEEE10hipError_tT0_T1_T2_T3_mRjT4_P12ihipStream_tbNS1_7vsmem_tEEUlT_E_NS1_11comp_targetILNS1_3genE9ELNS1_11target_archE1100ELNS1_3gpuE3ELNS1_3repE0EEENS1_30default_config_static_selectorELNS0_4arch9wavefront6targetE0EEEvSK_ ; -- Begin function _ZN7rocprim17ROCPRIM_400000_NS6detail17trampoline_kernelINS0_14default_configENS1_37merge_sort_block_sort_config_selectorIsNS0_10empty_typeEEEZNS1_21merge_sort_block_sortIS3_N6thrust23THRUST_200600_302600_NS6detail15normal_iteratorINS9_10device_ptrIsEEEESE_PS5_SF_11less_div_10IsEEE10hipError_tT0_T1_T2_T3_mRjT4_P12ihipStream_tbNS1_7vsmem_tEEUlT_E_NS1_11comp_targetILNS1_3genE9ELNS1_11target_archE1100ELNS1_3gpuE3ELNS1_3repE0EEENS1_30default_config_static_selectorELNS0_4arch9wavefront6targetE0EEEvSK_
	.globl	_ZN7rocprim17ROCPRIM_400000_NS6detail17trampoline_kernelINS0_14default_configENS1_37merge_sort_block_sort_config_selectorIsNS0_10empty_typeEEEZNS1_21merge_sort_block_sortIS3_N6thrust23THRUST_200600_302600_NS6detail15normal_iteratorINS9_10device_ptrIsEEEESE_PS5_SF_11less_div_10IsEEE10hipError_tT0_T1_T2_T3_mRjT4_P12ihipStream_tbNS1_7vsmem_tEEUlT_E_NS1_11comp_targetILNS1_3genE9ELNS1_11target_archE1100ELNS1_3gpuE3ELNS1_3repE0EEENS1_30default_config_static_selectorELNS0_4arch9wavefront6targetE0EEEvSK_
	.p2align	8
	.type	_ZN7rocprim17ROCPRIM_400000_NS6detail17trampoline_kernelINS0_14default_configENS1_37merge_sort_block_sort_config_selectorIsNS0_10empty_typeEEEZNS1_21merge_sort_block_sortIS3_N6thrust23THRUST_200600_302600_NS6detail15normal_iteratorINS9_10device_ptrIsEEEESE_PS5_SF_11less_div_10IsEEE10hipError_tT0_T1_T2_T3_mRjT4_P12ihipStream_tbNS1_7vsmem_tEEUlT_E_NS1_11comp_targetILNS1_3genE9ELNS1_11target_archE1100ELNS1_3gpuE3ELNS1_3repE0EEENS1_30default_config_static_selectorELNS0_4arch9wavefront6targetE0EEEvSK_,@function
_ZN7rocprim17ROCPRIM_400000_NS6detail17trampoline_kernelINS0_14default_configENS1_37merge_sort_block_sort_config_selectorIsNS0_10empty_typeEEEZNS1_21merge_sort_block_sortIS3_N6thrust23THRUST_200600_302600_NS6detail15normal_iteratorINS9_10device_ptrIsEEEESE_PS5_SF_11less_div_10IsEEE10hipError_tT0_T1_T2_T3_mRjT4_P12ihipStream_tbNS1_7vsmem_tEEUlT_E_NS1_11comp_targetILNS1_3genE9ELNS1_11target_archE1100ELNS1_3gpuE3ELNS1_3repE0EEENS1_30default_config_static_selectorELNS0_4arch9wavefront6targetE0EEEvSK_: ; @_ZN7rocprim17ROCPRIM_400000_NS6detail17trampoline_kernelINS0_14default_configENS1_37merge_sort_block_sort_config_selectorIsNS0_10empty_typeEEEZNS1_21merge_sort_block_sortIS3_N6thrust23THRUST_200600_302600_NS6detail15normal_iteratorINS9_10device_ptrIsEEEESE_PS5_SF_11less_div_10IsEEE10hipError_tT0_T1_T2_T3_mRjT4_P12ihipStream_tbNS1_7vsmem_tEEUlT_E_NS1_11comp_targetILNS1_3genE9ELNS1_11target_archE1100ELNS1_3gpuE3ELNS1_3repE0EEENS1_30default_config_static_selectorELNS0_4arch9wavefront6targetE0EEEvSK_
; %bb.0:
	.section	.rodata,"a",@progbits
	.p2align	6, 0x0
	.amdhsa_kernel _ZN7rocprim17ROCPRIM_400000_NS6detail17trampoline_kernelINS0_14default_configENS1_37merge_sort_block_sort_config_selectorIsNS0_10empty_typeEEEZNS1_21merge_sort_block_sortIS3_N6thrust23THRUST_200600_302600_NS6detail15normal_iteratorINS9_10device_ptrIsEEEESE_PS5_SF_11less_div_10IsEEE10hipError_tT0_T1_T2_T3_mRjT4_P12ihipStream_tbNS1_7vsmem_tEEUlT_E_NS1_11comp_targetILNS1_3genE9ELNS1_11target_archE1100ELNS1_3gpuE3ELNS1_3repE0EEENS1_30default_config_static_selectorELNS0_4arch9wavefront6targetE0EEEvSK_
		.amdhsa_group_segment_fixed_size 0
		.amdhsa_private_segment_fixed_size 0
		.amdhsa_kernarg_size 64
		.amdhsa_user_sgpr_count 6
		.amdhsa_user_sgpr_private_segment_buffer 1
		.amdhsa_user_sgpr_dispatch_ptr 0
		.amdhsa_user_sgpr_queue_ptr 0
		.amdhsa_user_sgpr_kernarg_segment_ptr 1
		.amdhsa_user_sgpr_dispatch_id 0
		.amdhsa_user_sgpr_flat_scratch_init 0
		.amdhsa_user_sgpr_private_segment_size 0
		.amdhsa_wavefront_size32 1
		.amdhsa_uses_dynamic_stack 0
		.amdhsa_system_sgpr_private_segment_wavefront_offset 0
		.amdhsa_system_sgpr_workgroup_id_x 1
		.amdhsa_system_sgpr_workgroup_id_y 0
		.amdhsa_system_sgpr_workgroup_id_z 0
		.amdhsa_system_sgpr_workgroup_info 0
		.amdhsa_system_vgpr_workitem_id 0
		.amdhsa_next_free_vgpr 1
		.amdhsa_next_free_sgpr 1
		.amdhsa_reserve_vcc 0
		.amdhsa_reserve_flat_scratch 0
		.amdhsa_float_round_mode_32 0
		.amdhsa_float_round_mode_16_64 0
		.amdhsa_float_denorm_mode_32 3
		.amdhsa_float_denorm_mode_16_64 3
		.amdhsa_dx10_clamp 1
		.amdhsa_ieee_mode 1
		.amdhsa_fp16_overflow 0
		.amdhsa_workgroup_processor_mode 1
		.amdhsa_memory_ordered 1
		.amdhsa_forward_progress 1
		.amdhsa_shared_vgpr_count 0
		.amdhsa_exception_fp_ieee_invalid_op 0
		.amdhsa_exception_fp_denorm_src 0
		.amdhsa_exception_fp_ieee_div_zero 0
		.amdhsa_exception_fp_ieee_overflow 0
		.amdhsa_exception_fp_ieee_underflow 0
		.amdhsa_exception_fp_ieee_inexact 0
		.amdhsa_exception_int_div_zero 0
	.end_amdhsa_kernel
	.section	.text._ZN7rocprim17ROCPRIM_400000_NS6detail17trampoline_kernelINS0_14default_configENS1_37merge_sort_block_sort_config_selectorIsNS0_10empty_typeEEEZNS1_21merge_sort_block_sortIS3_N6thrust23THRUST_200600_302600_NS6detail15normal_iteratorINS9_10device_ptrIsEEEESE_PS5_SF_11less_div_10IsEEE10hipError_tT0_T1_T2_T3_mRjT4_P12ihipStream_tbNS1_7vsmem_tEEUlT_E_NS1_11comp_targetILNS1_3genE9ELNS1_11target_archE1100ELNS1_3gpuE3ELNS1_3repE0EEENS1_30default_config_static_selectorELNS0_4arch9wavefront6targetE0EEEvSK_,"axG",@progbits,_ZN7rocprim17ROCPRIM_400000_NS6detail17trampoline_kernelINS0_14default_configENS1_37merge_sort_block_sort_config_selectorIsNS0_10empty_typeEEEZNS1_21merge_sort_block_sortIS3_N6thrust23THRUST_200600_302600_NS6detail15normal_iteratorINS9_10device_ptrIsEEEESE_PS5_SF_11less_div_10IsEEE10hipError_tT0_T1_T2_T3_mRjT4_P12ihipStream_tbNS1_7vsmem_tEEUlT_E_NS1_11comp_targetILNS1_3genE9ELNS1_11target_archE1100ELNS1_3gpuE3ELNS1_3repE0EEENS1_30default_config_static_selectorELNS0_4arch9wavefront6targetE0EEEvSK_,comdat
.Lfunc_end521:
	.size	_ZN7rocprim17ROCPRIM_400000_NS6detail17trampoline_kernelINS0_14default_configENS1_37merge_sort_block_sort_config_selectorIsNS0_10empty_typeEEEZNS1_21merge_sort_block_sortIS3_N6thrust23THRUST_200600_302600_NS6detail15normal_iteratorINS9_10device_ptrIsEEEESE_PS5_SF_11less_div_10IsEEE10hipError_tT0_T1_T2_T3_mRjT4_P12ihipStream_tbNS1_7vsmem_tEEUlT_E_NS1_11comp_targetILNS1_3genE9ELNS1_11target_archE1100ELNS1_3gpuE3ELNS1_3repE0EEENS1_30default_config_static_selectorELNS0_4arch9wavefront6targetE0EEEvSK_, .Lfunc_end521-_ZN7rocprim17ROCPRIM_400000_NS6detail17trampoline_kernelINS0_14default_configENS1_37merge_sort_block_sort_config_selectorIsNS0_10empty_typeEEEZNS1_21merge_sort_block_sortIS3_N6thrust23THRUST_200600_302600_NS6detail15normal_iteratorINS9_10device_ptrIsEEEESE_PS5_SF_11less_div_10IsEEE10hipError_tT0_T1_T2_T3_mRjT4_P12ihipStream_tbNS1_7vsmem_tEEUlT_E_NS1_11comp_targetILNS1_3genE9ELNS1_11target_archE1100ELNS1_3gpuE3ELNS1_3repE0EEENS1_30default_config_static_selectorELNS0_4arch9wavefront6targetE0EEEvSK_
                                        ; -- End function
	.set _ZN7rocprim17ROCPRIM_400000_NS6detail17trampoline_kernelINS0_14default_configENS1_37merge_sort_block_sort_config_selectorIsNS0_10empty_typeEEEZNS1_21merge_sort_block_sortIS3_N6thrust23THRUST_200600_302600_NS6detail15normal_iteratorINS9_10device_ptrIsEEEESE_PS5_SF_11less_div_10IsEEE10hipError_tT0_T1_T2_T3_mRjT4_P12ihipStream_tbNS1_7vsmem_tEEUlT_E_NS1_11comp_targetILNS1_3genE9ELNS1_11target_archE1100ELNS1_3gpuE3ELNS1_3repE0EEENS1_30default_config_static_selectorELNS0_4arch9wavefront6targetE0EEEvSK_.num_vgpr, 0
	.set _ZN7rocprim17ROCPRIM_400000_NS6detail17trampoline_kernelINS0_14default_configENS1_37merge_sort_block_sort_config_selectorIsNS0_10empty_typeEEEZNS1_21merge_sort_block_sortIS3_N6thrust23THRUST_200600_302600_NS6detail15normal_iteratorINS9_10device_ptrIsEEEESE_PS5_SF_11less_div_10IsEEE10hipError_tT0_T1_T2_T3_mRjT4_P12ihipStream_tbNS1_7vsmem_tEEUlT_E_NS1_11comp_targetILNS1_3genE9ELNS1_11target_archE1100ELNS1_3gpuE3ELNS1_3repE0EEENS1_30default_config_static_selectorELNS0_4arch9wavefront6targetE0EEEvSK_.num_agpr, 0
	.set _ZN7rocprim17ROCPRIM_400000_NS6detail17trampoline_kernelINS0_14default_configENS1_37merge_sort_block_sort_config_selectorIsNS0_10empty_typeEEEZNS1_21merge_sort_block_sortIS3_N6thrust23THRUST_200600_302600_NS6detail15normal_iteratorINS9_10device_ptrIsEEEESE_PS5_SF_11less_div_10IsEEE10hipError_tT0_T1_T2_T3_mRjT4_P12ihipStream_tbNS1_7vsmem_tEEUlT_E_NS1_11comp_targetILNS1_3genE9ELNS1_11target_archE1100ELNS1_3gpuE3ELNS1_3repE0EEENS1_30default_config_static_selectorELNS0_4arch9wavefront6targetE0EEEvSK_.numbered_sgpr, 0
	.set _ZN7rocprim17ROCPRIM_400000_NS6detail17trampoline_kernelINS0_14default_configENS1_37merge_sort_block_sort_config_selectorIsNS0_10empty_typeEEEZNS1_21merge_sort_block_sortIS3_N6thrust23THRUST_200600_302600_NS6detail15normal_iteratorINS9_10device_ptrIsEEEESE_PS5_SF_11less_div_10IsEEE10hipError_tT0_T1_T2_T3_mRjT4_P12ihipStream_tbNS1_7vsmem_tEEUlT_E_NS1_11comp_targetILNS1_3genE9ELNS1_11target_archE1100ELNS1_3gpuE3ELNS1_3repE0EEENS1_30default_config_static_selectorELNS0_4arch9wavefront6targetE0EEEvSK_.num_named_barrier, 0
	.set _ZN7rocprim17ROCPRIM_400000_NS6detail17trampoline_kernelINS0_14default_configENS1_37merge_sort_block_sort_config_selectorIsNS0_10empty_typeEEEZNS1_21merge_sort_block_sortIS3_N6thrust23THRUST_200600_302600_NS6detail15normal_iteratorINS9_10device_ptrIsEEEESE_PS5_SF_11less_div_10IsEEE10hipError_tT0_T1_T2_T3_mRjT4_P12ihipStream_tbNS1_7vsmem_tEEUlT_E_NS1_11comp_targetILNS1_3genE9ELNS1_11target_archE1100ELNS1_3gpuE3ELNS1_3repE0EEENS1_30default_config_static_selectorELNS0_4arch9wavefront6targetE0EEEvSK_.private_seg_size, 0
	.set _ZN7rocprim17ROCPRIM_400000_NS6detail17trampoline_kernelINS0_14default_configENS1_37merge_sort_block_sort_config_selectorIsNS0_10empty_typeEEEZNS1_21merge_sort_block_sortIS3_N6thrust23THRUST_200600_302600_NS6detail15normal_iteratorINS9_10device_ptrIsEEEESE_PS5_SF_11less_div_10IsEEE10hipError_tT0_T1_T2_T3_mRjT4_P12ihipStream_tbNS1_7vsmem_tEEUlT_E_NS1_11comp_targetILNS1_3genE9ELNS1_11target_archE1100ELNS1_3gpuE3ELNS1_3repE0EEENS1_30default_config_static_selectorELNS0_4arch9wavefront6targetE0EEEvSK_.uses_vcc, 0
	.set _ZN7rocprim17ROCPRIM_400000_NS6detail17trampoline_kernelINS0_14default_configENS1_37merge_sort_block_sort_config_selectorIsNS0_10empty_typeEEEZNS1_21merge_sort_block_sortIS3_N6thrust23THRUST_200600_302600_NS6detail15normal_iteratorINS9_10device_ptrIsEEEESE_PS5_SF_11less_div_10IsEEE10hipError_tT0_T1_T2_T3_mRjT4_P12ihipStream_tbNS1_7vsmem_tEEUlT_E_NS1_11comp_targetILNS1_3genE9ELNS1_11target_archE1100ELNS1_3gpuE3ELNS1_3repE0EEENS1_30default_config_static_selectorELNS0_4arch9wavefront6targetE0EEEvSK_.uses_flat_scratch, 0
	.set _ZN7rocprim17ROCPRIM_400000_NS6detail17trampoline_kernelINS0_14default_configENS1_37merge_sort_block_sort_config_selectorIsNS0_10empty_typeEEEZNS1_21merge_sort_block_sortIS3_N6thrust23THRUST_200600_302600_NS6detail15normal_iteratorINS9_10device_ptrIsEEEESE_PS5_SF_11less_div_10IsEEE10hipError_tT0_T1_T2_T3_mRjT4_P12ihipStream_tbNS1_7vsmem_tEEUlT_E_NS1_11comp_targetILNS1_3genE9ELNS1_11target_archE1100ELNS1_3gpuE3ELNS1_3repE0EEENS1_30default_config_static_selectorELNS0_4arch9wavefront6targetE0EEEvSK_.has_dyn_sized_stack, 0
	.set _ZN7rocprim17ROCPRIM_400000_NS6detail17trampoline_kernelINS0_14default_configENS1_37merge_sort_block_sort_config_selectorIsNS0_10empty_typeEEEZNS1_21merge_sort_block_sortIS3_N6thrust23THRUST_200600_302600_NS6detail15normal_iteratorINS9_10device_ptrIsEEEESE_PS5_SF_11less_div_10IsEEE10hipError_tT0_T1_T2_T3_mRjT4_P12ihipStream_tbNS1_7vsmem_tEEUlT_E_NS1_11comp_targetILNS1_3genE9ELNS1_11target_archE1100ELNS1_3gpuE3ELNS1_3repE0EEENS1_30default_config_static_selectorELNS0_4arch9wavefront6targetE0EEEvSK_.has_recursion, 0
	.set _ZN7rocprim17ROCPRIM_400000_NS6detail17trampoline_kernelINS0_14default_configENS1_37merge_sort_block_sort_config_selectorIsNS0_10empty_typeEEEZNS1_21merge_sort_block_sortIS3_N6thrust23THRUST_200600_302600_NS6detail15normal_iteratorINS9_10device_ptrIsEEEESE_PS5_SF_11less_div_10IsEEE10hipError_tT0_T1_T2_T3_mRjT4_P12ihipStream_tbNS1_7vsmem_tEEUlT_E_NS1_11comp_targetILNS1_3genE9ELNS1_11target_archE1100ELNS1_3gpuE3ELNS1_3repE0EEENS1_30default_config_static_selectorELNS0_4arch9wavefront6targetE0EEEvSK_.has_indirect_call, 0
	.section	.AMDGPU.csdata,"",@progbits
; Kernel info:
; codeLenInByte = 0
; TotalNumSgprs: 0
; NumVgprs: 0
; ScratchSize: 0
; MemoryBound: 0
; FloatMode: 240
; IeeeMode: 1
; LDSByteSize: 0 bytes/workgroup (compile time only)
; SGPRBlocks: 0
; VGPRBlocks: 0
; NumSGPRsForWavesPerEU: 1
; NumVGPRsForWavesPerEU: 1
; Occupancy: 16
; WaveLimiterHint : 0
; COMPUTE_PGM_RSRC2:SCRATCH_EN: 0
; COMPUTE_PGM_RSRC2:USER_SGPR: 6
; COMPUTE_PGM_RSRC2:TRAP_HANDLER: 0
; COMPUTE_PGM_RSRC2:TGID_X_EN: 1
; COMPUTE_PGM_RSRC2:TGID_Y_EN: 0
; COMPUTE_PGM_RSRC2:TGID_Z_EN: 0
; COMPUTE_PGM_RSRC2:TIDIG_COMP_CNT: 0
	.text
	.p2align	2                               ; -- Begin function _ZN7rocprim17ROCPRIM_400000_NS6detail15block_sort_implIsNS0_10empty_typeELj256ELj32ELNS0_4arch9wavefront6targetE0EvE4sortIN6thrust23THRUST_200600_302600_NS6detail15normal_iteratorINSA_10device_ptrIsEEEESF_PS3_SG_11less_div_10IsEEEvjbT_T0_T1_T2_T3_RNS7_12storage_typeE
	.type	_ZN7rocprim17ROCPRIM_400000_NS6detail15block_sort_implIsNS0_10empty_typeELj256ELj32ELNS0_4arch9wavefront6targetE0EvE4sortIN6thrust23THRUST_200600_302600_NS6detail15normal_iteratorINSA_10device_ptrIsEEEESF_PS3_SG_11less_div_10IsEEEvjbT_T0_T1_T2_T3_RNS7_12storage_typeE,@function
_ZN7rocprim17ROCPRIM_400000_NS6detail15block_sort_implIsNS0_10empty_typeELj256ELj32ELNS0_4arch9wavefront6targetE0EvE4sortIN6thrust23THRUST_200600_302600_NS6detail15normal_iteratorINSA_10device_ptrIsEEEESF_PS3_SG_11less_div_10IsEEEvjbT_T0_T1_T2_T3_RNS7_12storage_typeE: ; @_ZN7rocprim17ROCPRIM_400000_NS6detail15block_sort_implIsNS0_10empty_typeELj256ELj32ELNS0_4arch9wavefront6targetE0EvE4sortIN6thrust23THRUST_200600_302600_NS6detail15normal_iteratorINSA_10device_ptrIsEEEESF_PS3_SG_11less_div_10IsEEEvjbT_T0_T1_T2_T3_RNS7_12storage_typeE
; %bb.0:
	s_waitcnt vmcnt(0) expcnt(0) lgkmcnt(0)
	s_or_saveexec_b32 s4, -1
	buffer_store_dword v95, off, s[0:3], s32 offset:124 ; 4-byte Folded Spill
	s_mov_b32 exec_lo, s4
	buffer_store_dword v40, off, s[0:3], s32 offset:120 ; 4-byte Folded Spill
	buffer_store_dword v41, off, s[0:3], s32 offset:116 ; 4-byte Folded Spill
	;; [unrolled: 1-line block ×30, first 2 shown]
	buffer_store_dword v94, off, s[0:3], s32 ; 4-byte Folded Spill
	v_writelane_b32 v95, s34, 0
	v_writelane_b32 v95, s35, 1
	v_writelane_b32 v95, s36, 2
	v_writelane_b32 v95, s37, 3
	v_writelane_b32 v95, s38, 4
	v_writelane_b32 v95, s39, 5
	v_writelane_b32 v95, s48, 6
	v_writelane_b32 v95, s49, 7
	v_writelane_b32 v95, s50, 8
	v_writelane_b32 v95, s51, 9
	v_writelane_b32 v95, s30, 10
	v_writelane_b32 v95, s31, 11
	v_and_b32_e32 v1, 1, v1
	v_and_b32_e32 v6, 0x3ff, v31
	v_bfe_u32 v103, v31, 10, 10
	v_bfe_u32 v112, v31, 20, 10
	s_mov_b32 s36, 0
	v_cmp_ne_u32_e32 vcc_lo, 1, v1
	v_lshlrev_b32_e32 v8, 1, v6
	v_lshrrev_b32_e32 v36, 5, v6
	v_add_nc_u32_e32 v38, 0x100, v6
	v_add_nc_u32_e32 v35, 0x200, v6
	v_add_nc_u32_e32 v1, 0x300, v6
	v_or_b32_e32 v10, 0x400, v6
	v_add_nc_u32_e32 v49, 0x500, v6
	v_add_nc_u32_e32 v11, 0x600, v6
	v_add_nc_u32_e32 v12, 0x700, v6
	v_or_b32_e32 v13, 0x800, v6
	;; [unrolled: 4-line block ×7, first 2 shown]
	v_add_nc_u32_e32 v34, 0x1d00, v6
	v_add_nc_u32_e32 v48, 0x1e00, v6
	;; [unrolled: 1-line block ×3, first 2 shown]
	v_lshlrev_b32_e32 v9, 5, v6
	v_and_b32_e32 v37, 0x3fe, v6
                                        ; implicit-def: $vgpr50
	s_and_saveexec_b32 s4, vcc_lo
	s_xor_b32 s6, exec_lo, s4
	s_cbranch_execz .LBB522_686
; %bb.1:
	v_add_co_u32 v2, vcc_lo, v2, v8
	v_add_co_ci_u32_e64 v3, null, 0, v3, vcc_lo
	v_lshrrev_b32_e32 v1, 5, v1
	v_add_co_u32 v50, vcc_lo, 0x800, v2
	v_add_co_ci_u32_e64 v51, null, 0, v3, vcc_lo
	s_clause 0x7
	flat_load_ushort v7, v[2:3]
	flat_load_ushort v54, v[2:3] offset:512
	flat_load_ushort v55, v[2:3] offset:1024
	flat_load_ushort v64, v[2:3] offset:1536
	flat_load_ushort v65, v[50:51]
	flat_load_ushort v66, v[50:51] offset:512
	flat_load_ushort v67, v[50:51] offset:1024
	flat_load_ushort v68, v[50:51] offset:1536
	v_add_co_u32 v50, vcc_lo, 0x1000, v2
	v_add_co_ci_u32_e64 v51, null, 0, v3, vcc_lo
	v_add_co_u32 v52, vcc_lo, 0x1800, v2
	v_add_co_ci_u32_e64 v53, null, 0, v3, vcc_lo
	s_clause 0x7
	flat_load_ushort v69, v[50:51]
	flat_load_ushort v70, v[50:51] offset:512
	flat_load_ushort v71, v[50:51] offset:1024
	flat_load_ushort v80, v[50:51] offset:1536
	flat_load_ushort v81, v[52:53]
	flat_load_ushort v82, v[52:53] offset:512
	flat_load_ushort v83, v[52:53] offset:1024
	flat_load_ushort v84, v[52:53] offset:1536
	v_add_co_u32 v50, vcc_lo, 0x2000, v2
	v_add_co_ci_u32_e64 v51, null, 0, v3, vcc_lo
	;; [unrolled: 13-line block ×3, first 2 shown]
	v_add_co_u32 v2, vcc_lo, 0x3800, v2
	v_add_co_ci_u32_e64 v3, null, 0, v3, vcc_lo
	s_clause 0x7
	flat_load_ushort v53, v[50:51]
	flat_load_ushort v100, v[50:51] offset:512
	flat_load_ushort v101, v[50:51] offset:1024
	;; [unrolled: 1-line block ×3, first 2 shown]
	flat_load_ushort v51, v[2:3]
	flat_load_ushort v102, v[2:3] offset:512
	flat_load_ushort v113, v[2:3] offset:1024
	;; [unrolled: 1-line block ×3, first 2 shown]
	v_lshrrev_b32_e32 v2, 5, v38
	v_lshrrev_b32_e32 v3, 5, v35
	v_and_b32_e32 v0, 30, v36
	v_lshrrev_b32_e32 v36, 5, v10
	v_lshrrev_b32_e32 v38, 5, v49
	;; [unrolled: 1-line block ×28, first 2 shown]
	v_and_b32_e32 v2, 62, v2
	v_and_b32_e32 v3, 62, v3
	;; [unrolled: 1-line block ×4, first 2 shown]
	v_add_lshl_u32 v35, v37, v9, 1
	v_add_lshl_u32 v0, v0, v6, 1
	v_and_b32_e32 v166, 0x7e, v38
	v_and_b32_e32 v115, 0x7e, v115
	;; [unrolled: 1-line block ×27, first 2 shown]
	v_add_lshl_u32 v36, v2, v6, 1
	v_add_lshl_u32 v37, v3, v6, 1
	;; [unrolled: 1-line block ×31, first 2 shown]
	s_mov_b32 s7, exec_lo
	s_waitcnt vmcnt(31) lgkmcnt(31)
	ds_write_b16 v0, v7
	s_waitcnt vmcnt(30) lgkmcnt(31)
	ds_write_b16 v36, v54 offset:512
	s_waitcnt vmcnt(29) lgkmcnt(31)
	ds_write_b16 v37, v55 offset:1024
	;; [unrolled: 2-line block ×3, first 2 shown]
	s_waitcnt vmcnt(27) lgkmcnt(31)
	ds_write_b16 v2, v65
	s_waitcnt vmcnt(26) lgkmcnt(31)
	ds_write_b16 v3, v66
	s_waitcnt vmcnt(25) lgkmcnt(31)
	ds_write_b16 v10, v67
	s_waitcnt vmcnt(24) lgkmcnt(31)
	ds_write_b16 v11, v68
	s_waitcnt vmcnt(23) lgkmcnt(31)
	ds_write_b16 v12, v69
	s_waitcnt vmcnt(22) lgkmcnt(31)
	ds_write_b16 v13, v70
	s_waitcnt vmcnt(21) lgkmcnt(31)
	ds_write_b16 v14, v71
	s_waitcnt vmcnt(20) lgkmcnt(31)
	ds_write_b16 v15, v80
	s_waitcnt vmcnt(19) lgkmcnt(31)
	ds_write_b16 v16, v81
	s_waitcnt vmcnt(18) lgkmcnt(31)
	ds_write_b16 v17, v82
	s_waitcnt vmcnt(17) lgkmcnt(31)
	ds_write_b16 v18, v83
	s_waitcnt vmcnt(16) lgkmcnt(31)
	ds_write_b16 v19, v84
	s_waitcnt vmcnt(15) lgkmcnt(31)
	ds_write_b16 v20, v85
	s_waitcnt vmcnt(14) lgkmcnt(31)
	ds_write_b16 v21, v86
	s_waitcnt vmcnt(13) lgkmcnt(31)
	ds_write_b16 v22, v87
	s_waitcnt vmcnt(12) lgkmcnt(31)
	ds_write_b16 v23, v96
	s_waitcnt vmcnt(11) lgkmcnt(31)
	ds_write_b16 v24, v97
	s_waitcnt vmcnt(10) lgkmcnt(31)
	ds_write_b16 v25, v98
	s_waitcnt vmcnt(9) lgkmcnt(31)
	ds_write_b16 v26, v99
	s_waitcnt vmcnt(8) lgkmcnt(31)
	ds_write_b16 v27, v52
	s_waitcnt vmcnt(7) lgkmcnt(31)
	ds_write_b16 v28, v53
	s_waitcnt vmcnt(6) lgkmcnt(31)
	ds_write_b16 v29, v100
	s_waitcnt vmcnt(5) lgkmcnt(31)
	ds_write_b16 v30, v101
	s_waitcnt vmcnt(4) lgkmcnt(31)
	ds_write_b16 v31, v50
	s_waitcnt vmcnt(3) lgkmcnt(31)
	ds_write_b16 v32, v51
	s_waitcnt vmcnt(2) lgkmcnt(31)
	ds_write_b16 v33, v102
	s_waitcnt vmcnt(1) lgkmcnt(31)
	ds_write_b16 v34, v113
	s_waitcnt vmcnt(0) lgkmcnt(31)
	ds_write_b16 v1, v114
	s_waitcnt lgkmcnt(0)
	s_waitcnt_vscnt null, 0x0
	s_barrier
	buffer_gl0_inv
	ds_read_u16 v178, v35
	ds_read_u16 v231, v35 offset:2
	ds_read_u16 v226, v35 offset:4
	;; [unrolled: 1-line block ×31, first 2 shown]
	s_waitcnt lgkmcnt(0)
	s_barrier
	buffer_gl0_inv
	s_load_dwordx2 s[4:5], s[8:9], 0x0
	v_mov_b32_e32 v7, 0
	s_waitcnt lgkmcnt(0)
	s_cmp_lt_u32 s13, s5
	s_cselect_b32 s5, 14, 20
	s_add_u32 s10, s8, s5
	s_addc_u32 s11, s9, 0
	s_cmp_lt_u32 s12, s4
	global_load_ushort v39, v7, s[10:11]
	s_cselect_b32 s4, 12, 18
	s_add_u32 s4, s8, s4
	s_addc_u32 s5, s9, 0
	global_load_ushort v48, v7, s[4:5]
	s_waitcnt vmcnt(1)
	v_mad_u32_u24 v39, v112, v39, v103
	s_waitcnt vmcnt(0)
	v_mul_lo_u32 v39, v39, v48
	v_add_lshl_u32 v39, v39, v6, 5
	v_cmpx_gt_u32_e32 0x2000, v39
	s_cbranch_execz .LBB522_3
; %bb.2:
	v_mov_b32_e32 v48, 0x6667
	v_mul_i32_i24_sdwa v49, sext(v231), v48 dst_sel:DWORD dst_unused:UNUSED_PAD src0_sel:WORD_0 src1_sel:DWORD
	v_mul_i32_i24_sdwa v50, sext(v178), v48 dst_sel:DWORD dst_unused:UNUSED_PAD src0_sel:WORD_0 src1_sel:DWORD
	;; [unrolled: 1-line block ×5, first 2 shown]
	v_lshrrev_b32_e32 v54, 31, v49
	v_ashrrev_i32_e32 v49, 18, v49
	v_lshrrev_b32_e32 v55, 31, v50
	v_ashrrev_i32_e32 v50, 18, v50
	v_lshrrev_b32_e32 v64, 31, v51
	v_ashrrev_i32_e32 v51, 18, v51
	v_lshrrev_b32_e32 v65, 31, v52
	v_ashrrev_i32_e32 v52, 18, v52
	v_add_nc_u16 v49, v49, v54
	v_add_nc_u16 v50, v50, v55
	v_mul_i32_i24_sdwa v54, sext(v225), v48 dst_sel:DWORD dst_unused:UNUSED_PAD src0_sel:WORD_0 src1_sel:DWORD
	v_add_nc_u16 v51, v51, v64
	v_add_nc_u16 v52, v52, v65
	v_lshrrev_b32_e32 v55, 31, v53
	v_cmp_lt_i16_e32 vcc_lo, v49, v50
	v_ashrrev_i32_e32 v50, 18, v53
	v_mul_i32_i24_sdwa v64, sext(v227), v48 dst_sel:DWORD dst_unused:UNUSED_PAD src0_sel:WORD_0 src1_sel:DWORD
	v_cmp_lt_i16_e64 s4, v51, v52
	v_lshrrev_b32_e32 v52, 31, v54
	v_ashrrev_i32_e32 v54, 18, v54
	v_mul_i32_i24_sdwa v66, sext(v224), v48 dst_sel:DWORD dst_unused:UNUSED_PAD src0_sel:WORD_0 src1_sel:DWORD
	v_add_nc_u16 v50, v50, v55
	v_cndmask_b32_e32 v53, v231, v178, vcc_lo
	v_cndmask_b32_e32 v49, v178, v231, vcc_lo
	v_add_nc_u16 v52, v54, v52
	v_lshrrev_b32_e32 v54, 31, v64
	v_ashrrev_i32_e32 v55, 18, v64
	v_lshrrev_b32_e32 v64, 31, v66
	v_ashrrev_i32_e32 v66, 18, v66
	v_mul_i32_i24_sdwa v67, sext(v228), v48 dst_sel:DWORD dst_unused:UNUSED_PAD src0_sel:WORD_0 src1_sel:DWORD
	v_cmp_lt_i16_e32 vcc_lo, v50, v52
	v_mul_i32_i24_sdwa v50, sext(v212), v48 dst_sel:DWORD dst_unused:UNUSED_PAD src0_sel:WORD_0 src1_sel:DWORD
	v_add_nc_u16 v52, v55, v54
	v_add_nc_u16 v54, v66, v64
	v_lshrrev_b32_e32 v55, 31, v67
	v_ashrrev_i32_e32 v64, 18, v67
	v_lshrrev_b32_e32 v66, 31, v50
	v_ashrrev_i32_e32 v50, 18, v50
	v_cndmask_b32_e32 v67, v229, v225, vcc_lo
	v_cndmask_b32_e32 v68, v225, v229, vcc_lo
	v_cmp_lt_i16_e32 vcc_lo, v52, v54
	v_add_nc_u16 v52, v64, v55
	v_add_nc_u16 v50, v50, v66
	v_mul_i32_i24_sdwa v55, sext(v215), v48 dst_sel:DWORD dst_unused:UNUSED_PAD src0_sel:WORD_0 src1_sel:DWORD
	v_mul_i32_i24_sdwa v66, sext(v211), v48 dst_sel:DWORD dst_unused:UNUSED_PAD src0_sel:WORD_0 src1_sel:DWORD
	v_cndmask_b32_e32 v54, v227, v224, vcc_lo
	v_cndmask_b32_e32 v64, v224, v227, vcc_lo
	v_cmp_lt_i16_e32 vcc_lo, v52, v50
	v_lshrrev_b32_e32 v50, 31, v55
	v_ashrrev_i32_e32 v55, 18, v55
	v_lshrrev_b32_e32 v69, 31, v66
	v_ashrrev_i32_e32 v66, 18, v66
	v_mul_i32_i24_sdwa v70, sext(v213), v48 dst_sel:DWORD dst_unused:UNUSED_PAD src0_sel:WORD_0 src1_sel:DWORD
	v_mul_i32_i24_sdwa v80, sext(v210), v48 dst_sel:DWORD dst_unused:UNUSED_PAD src0_sel:WORD_0 src1_sel:DWORD
	v_add_nc_u16 v50, v55, v50
	v_cndmask_b32_e32 v52, v228, v212, vcc_lo
	v_add_nc_u16 v55, v66, v69
	v_cndmask_b32_e32 v71, v212, v228, vcc_lo
	v_lshrrev_b32_e32 v66, 31, v70
	v_ashrrev_i32_e32 v69, 18, v70
	v_lshrrev_b32_e32 v70, 31, v80
	v_ashrrev_i32_e32 v80, 18, v80
	v_mul_i32_i24_sdwa v81, sext(v214), v48 dst_sel:DWORD dst_unused:UNUSED_PAD src0_sel:WORD_0 src1_sel:DWORD
	v_cmp_lt_i16_e32 vcc_lo, v50, v55
	v_mul_i32_i24_sdwa v50, sext(v198), v48 dst_sel:DWORD dst_unused:UNUSED_PAD src0_sel:WORD_0 src1_sel:DWORD
	v_add_nc_u16 v55, v69, v66
	v_add_nc_u16 v66, v80, v70
	v_lshrrev_b32_e32 v69, 31, v81
	v_ashrrev_i32_e32 v70, 18, v81
	v_lshrrev_b32_e32 v80, 31, v50
	v_ashrrev_i32_e32 v50, 18, v50
	v_cndmask_b32_e32 v81, v215, v211, vcc_lo
	v_cndmask_b32_e32 v82, v211, v215, vcc_lo
	v_cmp_lt_i16_e32 vcc_lo, v55, v66
	v_add_nc_u16 v55, v70, v69
	v_add_nc_u16 v50, v50, v80
	v_mul_i32_i24_sdwa v69, sext(v209), v48 dst_sel:DWORD dst_unused:UNUSED_PAD src0_sel:WORD_0 src1_sel:DWORD
	v_mul_i32_i24_sdwa v80, sext(v197), v48 dst_sel:DWORD dst_unused:UNUSED_PAD src0_sel:WORD_0 src1_sel:DWORD
	v_cndmask_b32_e32 v66, v213, v210, vcc_lo
	v_cndmask_b32_e32 v70, v210, v213, vcc_lo
	v_cmp_lt_i16_e32 vcc_lo, v55, v50
	v_lshrrev_b32_e32 v50, 31, v69
	v_ashrrev_i32_e32 v69, 18, v69
	v_lshrrev_b32_e32 v83, 31, v80
	v_ashrrev_i32_e32 v80, 18, v80
	v_mul_i32_i24_sdwa v84, sext(v199), v48 dst_sel:DWORD dst_unused:UNUSED_PAD src0_sel:WORD_0 src1_sel:DWORD
	v_mul_i32_i24_sdwa v86, sext(v194), v48 dst_sel:DWORD dst_unused:UNUSED_PAD src0_sel:WORD_0 src1_sel:DWORD
	v_add_nc_u16 v50, v69, v50
	v_cndmask_b32_e32 v55, v214, v198, vcc_lo
	v_add_nc_u16 v69, v80, v83
	v_cndmask_b32_e32 v85, v198, v214, vcc_lo
	;; [unrolled: 33-line block ×3, first 2 shown]
	v_lshrrev_b32_e32 v86, 31, v98
	v_ashrrev_i32_e32 v97, 18, v98
	v_lshrrev_b32_e32 v98, 31, v100
	v_ashrrev_i32_e32 v100, 18, v100
	v_mul_i32_i24_sdwa v101, sext(v183), v48 dst_sel:DWORD dst_unused:UNUSED_PAD src0_sel:WORD_0 src1_sel:DWORD
	v_cmp_lt_i16_e32 vcc_lo, v50, v83
	v_mul_i32_i24_sdwa v50, sext(v192), v48 dst_sel:DWORD dst_unused:UNUSED_PAD src0_sel:WORD_0 src1_sel:DWORD
	v_add_nc_u16 v83, v97, v86
	v_add_nc_u16 v86, v100, v98
	v_lshrrev_b32_e32 v97, 31, v101
	v_ashrrev_i32_e32 v98, 18, v101
	v_lshrrev_b32_e32 v100, 31, v50
	v_ashrrev_i32_e32 v50, 18, v50
	v_cndmask_b32_e32 v101, v208, v182, vcc_lo
	v_cndmask_b32_e32 v102, v182, v208, vcc_lo
	v_cmp_lt_i16_e32 vcc_lo, v83, v86
	v_add_nc_u16 v83, v98, v97
	v_add_nc_u16 v50, v50, v100
	v_mul_i32_i24_sdwa v97, sext(v179), v48 dst_sel:DWORD dst_unused:UNUSED_PAD src0_sel:WORD_0 src1_sel:DWORD
	v_mul_i32_i24_sdwa v100, sext(v180), v48 dst_sel:DWORD dst_unused:UNUSED_PAD src0_sel:WORD_0 src1_sel:DWORD
	v_cndmask_b32_e32 v86, v195, v181, vcc_lo
	v_cndmask_b32_e32 v98, v181, v195, vcc_lo
	v_cmp_lt_i16_e32 vcc_lo, v83, v50
	v_lshrrev_b32_e32 v50, 31, v97
	v_ashrrev_i32_e32 v97, 18, v97
	v_lshrrev_b32_e32 v103, 31, v100
	v_ashrrev_i32_e32 v100, 18, v100
	v_cndmask_b32_e64 v65, v226, v240, s4
	v_mul_i32_i24_sdwa v112, sext(v177), v48 dst_sel:DWORD dst_unused:UNUSED_PAD src0_sel:WORD_0 src1_sel:DWORD
	v_mul_i32_i24_sdwa v114, sext(v230), v48 dst_sel:DWORD dst_unused:UNUSED_PAD src0_sel:WORD_0 src1_sel:DWORD
	v_add_nc_u16 v50, v97, v50
	v_add_nc_u16 v97, v100, v103
	v_cndmask_b32_e32 v83, v192, v183, vcc_lo
	v_cndmask_b32_e32 v113, v183, v192, vcc_lo
	v_lshrrev_b32_e32 v100, 31, v112
	v_ashrrev_i32_e32 v103, 18, v112
	v_lshrrev_b32_e32 v112, 31, v114
	v_ashrrev_i32_e32 v114, 18, v114
	v_mul_i32_i24_sdwa v115, sext(v65), v48 dst_sel:DWORD dst_unused:UNUSED_PAD src0_sel:WORD_0 src1_sel:DWORD
	v_cmp_lt_i16_e32 vcc_lo, v50, v97
	v_mul_i32_i24_sdwa v50, sext(v53), v48 dst_sel:DWORD dst_unused:UNUSED_PAD src0_sel:WORD_0 src1_sel:DWORD
	v_add_nc_u16 v97, v103, v100
	v_add_nc_u16 v100, v114, v112
	v_lshrrev_b32_e32 v103, 31, v115
	v_ashrrev_i32_e32 v112, 18, v115
	v_lshrrev_b32_e32 v114, 31, v50
	v_ashrrev_i32_e32 v50, 18, v50
	v_cndmask_b32_e64 v51, v240, v226, s4
	v_cndmask_b32_e32 v115, v180, v179, vcc_lo
	v_cndmask_b32_e32 v116, v179, v180, vcc_lo
	v_cmp_lt_i16_e32 vcc_lo, v97, v100
	v_add_nc_u16 v97, v112, v103
	v_add_nc_u16 v100, v50, v114
	v_mul_i32_i24_sdwa v112, sext(v68), v48 dst_sel:DWORD dst_unused:UNUSED_PAD src0_sel:WORD_0 src1_sel:DWORD
	v_mul_i32_i24_sdwa v114, sext(v51), v48 dst_sel:DWORD dst_unused:UNUSED_PAD src0_sel:WORD_0 src1_sel:DWORD
	v_cndmask_b32_e32 v103, v230, v177, vcc_lo
	v_cndmask_b32_e32 v50, v177, v230, vcc_lo
	v_cmp_lt_i16_e32 vcc_lo, v97, v100
	v_lshrrev_b32_e32 v100, 31, v112
	v_ashrrev_i32_e32 v112, 18, v112
	v_lshrrev_b32_e32 v117, 31, v114
	v_ashrrev_i32_e32 v114, 18, v114
	v_cndmask_b32_e32 v97, v65, v53, vcc_lo
	v_mul_i32_i24_sdwa v118, sext(v64), v48 dst_sel:DWORD dst_unused:UNUSED_PAD src0_sel:WORD_0 src1_sel:DWORD
	v_cndmask_b32_e32 v53, v53, v65, vcc_lo
	v_mul_i32_i24_sdwa v65, sext(v67), v48 dst_sel:DWORD dst_unused:UNUSED_PAD src0_sel:WORD_0 src1_sel:DWORD
	v_add_nc_u16 v100, v112, v100
	v_add_nc_u16 v112, v114, v117
	v_lshrrev_b32_e32 v114, 31, v118
	v_ashrrev_i32_e32 v117, 18, v118
	v_lshrrev_b32_e32 v118, 31, v65
	v_ashrrev_i32_e32 v65, 18, v65
	v_mul_i32_i24_sdwa v119, sext(v71), v48 dst_sel:DWORD dst_unused:UNUSED_PAD src0_sel:WORD_0 src1_sel:DWORD
	v_cmp_lt_i16_e32 vcc_lo, v100, v112
	v_mul_i32_i24_sdwa v100, sext(v54), v48 dst_sel:DWORD dst_unused:UNUSED_PAD src0_sel:WORD_0 src1_sel:DWORD
	v_add_nc_u16 v112, v117, v114
	v_add_nc_u16 v65, v65, v118
	v_lshrrev_b32_e32 v114, 31, v119
	v_ashrrev_i32_e32 v117, 18, v119
	v_lshrrev_b32_e32 v118, 31, v100
	v_ashrrev_i32_e32 v100, 18, v100
	v_cndmask_b32_e32 v119, v68, v51, vcc_lo
	v_cndmask_b32_e32 v51, v51, v68, vcc_lo
	v_cmp_lt_i16_e32 vcc_lo, v112, v65
	v_add_nc_u16 v65, v117, v114
	v_add_nc_u16 v68, v100, v118
	v_mul_i32_i24_sdwa v112, sext(v82), v48 dst_sel:DWORD dst_unused:UNUSED_PAD src0_sel:WORD_0 src1_sel:DWORD
	v_mul_i32_i24_sdwa v117, sext(v70), v48 dst_sel:DWORD dst_unused:UNUSED_PAD src0_sel:WORD_0 src1_sel:DWORD
	v_cndmask_b32_e32 v100, v64, v67, vcc_lo
	v_cndmask_b32_e32 v64, v67, v64, vcc_lo
	v_mul_i32_i24_sdwa v67, sext(v52), v48 dst_sel:DWORD dst_unused:UNUSED_PAD src0_sel:WORD_0 src1_sel:DWORD
	v_cmp_lt_i16_e32 vcc_lo, v65, v68
	v_lshrrev_b32_e32 v68, 31, v112
	v_ashrrev_i32_e32 v112, 18, v112
	v_mul_i32_i24_sdwa v118, sext(v85), v48 dst_sel:DWORD dst_unused:UNUSED_PAD src0_sel:WORD_0 src1_sel:DWORD
	v_lshrrev_b32_e32 v114, 31, v67
	v_ashrrev_i32_e32 v67, 18, v67
	v_cndmask_b32_e32 v65, v71, v54, vcc_lo
	v_cndmask_b32_e32 v54, v54, v71, vcc_lo
	v_mul_i32_i24_sdwa v71, sext(v81), v48 dst_sel:DWORD dst_unused:UNUSED_PAD src0_sel:WORD_0 src1_sel:DWORD
	v_add_nc_u16 v68, v112, v68
	v_add_nc_u16 v67, v67, v114
	v_lshrrev_b32_e32 v112, 31, v117
	v_ashrrev_i32_e32 v114, 18, v117
	v_lshrrev_b32_e32 v117, 31, v71
	v_ashrrev_i32_e32 v71, 18, v71
	v_cmp_lt_i16_e32 vcc_lo, v68, v67
	v_mul_i32_i24_sdwa v67, sext(v66), v48 dst_sel:DWORD dst_unused:UNUSED_PAD src0_sel:WORD_0 src1_sel:DWORD
	v_add_nc_u16 v68, v114, v112
	v_lshrrev_b32_e32 v112, 31, v118
	v_add_nc_u16 v71, v71, v117
	v_ashrrev_i32_e32 v114, 18, v118
	v_lshrrev_b32_e32 v117, 31, v67
	v_ashrrev_i32_e32 v67, 18, v67
	v_cndmask_b32_e32 v118, v82, v52, vcc_lo
	v_cndmask_b32_e32 v52, v52, v82, vcc_lo
	v_cmp_lt_i16_e32 vcc_lo, v68, v71
	v_add_nc_u16 v68, v114, v112
	v_add_nc_u16 v67, v67, v117
	v_mul_i32_i24_sdwa v82, sext(v96), v48 dst_sel:DWORD dst_unused:UNUSED_PAD src0_sel:WORD_0 src1_sel:DWORD
	v_mul_i32_i24_sdwa v114, sext(v84), v48 dst_sel:DWORD dst_unused:UNUSED_PAD src0_sel:WORD_0 src1_sel:DWORD
	v_cndmask_b32_e32 v71, v70, v81, vcc_lo
	v_cndmask_b32_e32 v70, v81, v70, vcc_lo
	v_mul_i32_i24_sdwa v81, sext(v55), v48 dst_sel:DWORD dst_unused:UNUSED_PAD src0_sel:WORD_0 src1_sel:DWORD
	v_cmp_lt_i16_e32 vcc_lo, v68, v67
	v_lshrrev_b32_e32 v68, 31, v82
	v_ashrrev_i32_e32 v82, 18, v82
	v_mul_i32_i24_sdwa v117, sext(v99), v48 dst_sel:DWORD dst_unused:UNUSED_PAD src0_sel:WORD_0 src1_sel:DWORD
	v_lshrrev_b32_e32 v112, 31, v81
	v_cndmask_b32_e32 v67, v85, v66, vcc_lo
	v_ashrrev_i32_e32 v81, 18, v81
	v_cndmask_b32_e32 v66, v66, v85, vcc_lo
	v_mul_i32_i24_sdwa v85, sext(v87), v48 dst_sel:DWORD dst_unused:UNUSED_PAD src0_sel:WORD_0 src1_sel:DWORD
	v_add_nc_u16 v68, v82, v68
	v_lshrrev_b32_e32 v82, 31, v114
	v_add_nc_u16 v81, v81, v112
	v_ashrrev_i32_e32 v112, 18, v114
	v_lshrrev_b32_e32 v114, 31, v85
	v_ashrrev_i32_e32 v85, 18, v85
	v_cmp_lt_i16_e32 vcc_lo, v68, v81
	v_mul_i32_i24_sdwa v68, sext(v80), v48 dst_sel:DWORD dst_unused:UNUSED_PAD src0_sel:WORD_0 src1_sel:DWORD
	v_add_nc_u16 v81, v112, v82
	v_add_nc_u16 v82, v85, v114
	v_lshrrev_b32_e32 v85, 31, v117
	v_ashrrev_i32_e32 v112, 18, v117
	v_lshrrev_b32_e32 v114, 31, v68
	v_ashrrev_i32_e32 v68, 18, v68
	v_cndmask_b32_e32 v117, v96, v55, vcc_lo
	v_cndmask_b32_e32 v55, v55, v96, vcc_lo
	v_cmp_lt_i16_e32 vcc_lo, v81, v82
	v_add_nc_u16 v81, v112, v85
	v_add_nc_u16 v68, v68, v114
	v_mul_i32_i24_sdwa v85, sext(v102), v48 dst_sel:DWORD dst_unused:UNUSED_PAD src0_sel:WORD_0 src1_sel:DWORD
	v_mul_i32_i24_sdwa v112, sext(v98), v48 dst_sel:DWORD dst_unused:UNUSED_PAD src0_sel:WORD_0 src1_sel:DWORD
	v_cndmask_b32_e32 v82, v84, v87, vcc_lo
	v_cndmask_b32_e32 v84, v87, v84, vcc_lo
	v_mul_i32_i24_sdwa v87, sext(v69), v48 dst_sel:DWORD dst_unused:UNUSED_PAD src0_sel:WORD_0 src1_sel:DWORD
	v_cmp_lt_i16_e32 vcc_lo, v81, v68
	v_lshrrev_b32_e32 v81, 31, v85
	v_ashrrev_i32_e32 v85, 18, v85
	v_mul_i32_i24_sdwa v114, sext(v83), v48 dst_sel:DWORD dst_unused:UNUSED_PAD src0_sel:WORD_0 src1_sel:DWORD
	v_lshrrev_b32_e32 v96, 31, v87
	v_ashrrev_i32_e32 v87, 18, v87
	v_cndmask_b32_e32 v68, v99, v80, vcc_lo
	v_cndmask_b32_e32 v80, v80, v99, vcc_lo
	v_mul_i32_i24_sdwa v99, sext(v101), v48 dst_sel:DWORD dst_unused:UNUSED_PAD src0_sel:WORD_0 src1_sel:DWORD
	v_add_nc_u16 v81, v85, v81
	v_add_nc_u16 v85, v87, v96
	v_lshrrev_b32_e32 v87, 31, v112
	v_ashrrev_i32_e32 v96, 18, v112
	v_lshrrev_b32_e32 v112, 31, v99
	v_ashrrev_i32_e32 v99, 18, v99
	v_cmp_lt_i16_e32 vcc_lo, v81, v85
	v_mul_i32_i24_sdwa v81, sext(v86), v48 dst_sel:DWORD dst_unused:UNUSED_PAD src0_sel:WORD_0 src1_sel:DWORD
	v_add_nc_u16 v85, v96, v87
	v_lshrrev_b32_e32 v96, 31, v114
	v_add_nc_u16 v87, v99, v112
	v_ashrrev_i32_e32 v99, 18, v114
	v_lshrrev_b32_e32 v112, 31, v81
	v_ashrrev_i32_e32 v81, 18, v81
	v_cndmask_b32_e32 v114, v102, v69, vcc_lo
	v_cndmask_b32_e32 v69, v69, v102, vcc_lo
	v_cmp_lt_i16_e32 vcc_lo, v85, v87
	v_add_nc_u16 v85, v99, v96
	v_add_nc_u16 v81, v81, v112
	v_mul_i32_i24_sdwa v96, sext(v115), v48 dst_sel:DWORD dst_unused:UNUSED_PAD src0_sel:WORD_0 src1_sel:DWORD
	v_mul_i32_i24_sdwa v99, sext(v113), v48 dst_sel:DWORD dst_unused:UNUSED_PAD src0_sel:WORD_0 src1_sel:DWORD
	v_cndmask_b32_e32 v87, v98, v101, vcc_lo
	v_cndmask_b32_e32 v98, v101, v98, vcc_lo
	v_cmp_lt_i16_e32 vcc_lo, v85, v81
	v_lshrrev_b32_e32 v85, 31, v96
	v_ashrrev_i32_e32 v96, 18, v96
	v_lshrrev_b32_e32 v101, 31, v99
	v_ashrrev_i32_e32 v99, 18, v99
	v_cndmask_b32_e32 v81, v86, v83, vcc_lo
	v_mul_i32_i24_sdwa v102, sext(v103), v48 dst_sel:DWORD dst_unused:UNUSED_PAD src0_sel:WORD_0 src1_sel:DWORD
	v_cndmask_b32_e32 v83, v83, v86, vcc_lo
	v_mul_i32_i24_sdwa v86, sext(v116), v48 dst_sel:DWORD dst_unused:UNUSED_PAD src0_sel:WORD_0 src1_sel:DWORD
	v_add_nc_u16 v85, v96, v85
	v_add_nc_u16 v96, v99, v101
	v_lshrrev_b32_e32 v99, 31, v102
	v_ashrrev_i32_e32 v101, 18, v102
	v_lshrrev_b32_e32 v102, 31, v86
	v_ashrrev_i32_e32 v86, 18, v86
	v_mul_i32_i24_sdwa v112, sext(v53), v48 dst_sel:DWORD dst_unused:UNUSED_PAD src0_sel:WORD_0 src1_sel:DWORD
	v_cmp_lt_i16_e32 vcc_lo, v85, v96
	v_mul_i32_i24_sdwa v85, sext(v49), v48 dst_sel:DWORD dst_unused:UNUSED_PAD src0_sel:WORD_0 src1_sel:DWORD
	v_add_nc_u16 v96, v101, v99
	v_add_nc_u16 v86, v86, v102
	v_lshrrev_b32_e32 v99, 31, v112
	v_ashrrev_i32_e32 v101, 18, v112
	v_lshrrev_b32_e32 v102, 31, v85
	v_ashrrev_i32_e32 v85, 18, v85
	v_cndmask_b32_e32 v112, v113, v115, vcc_lo
	v_cndmask_b32_e32 v113, v115, v113, vcc_lo
	v_cmp_lt_i16_e32 vcc_lo, v96, v86
	v_add_nc_u16 v86, v101, v99
	v_add_nc_u16 v85, v85, v102
	v_mul_i32_i24_sdwa v99, sext(v51), v48 dst_sel:DWORD dst_unused:UNUSED_PAD src0_sel:WORD_0 src1_sel:DWORD
	v_mul_i32_i24_sdwa v102, sext(v97), v48 dst_sel:DWORD dst_unused:UNUSED_PAD src0_sel:WORD_0 src1_sel:DWORD
	v_cndmask_b32_e32 v96, v116, v103, vcc_lo
	v_cndmask_b32_e32 v101, v103, v116, vcc_lo
	v_cmp_lt_i16_e32 vcc_lo, v86, v85
	v_lshrrev_b32_e32 v86, 31, v99
	v_ashrrev_i32_e32 v99, 18, v99
	v_lshrrev_b32_e32 v103, 31, v102
	v_ashrrev_i32_e32 v102, 18, v102
	v_cndmask_b32_e32 v85, v53, v49, vcc_lo
	v_mul_i32_i24_sdwa v115, sext(v64), v48 dst_sel:DWORD dst_unused:UNUSED_PAD src0_sel:WORD_0 src1_sel:DWORD
	v_cndmask_b32_e32 v49, v49, v53, vcc_lo
	v_mul_i32_i24_sdwa v53, sext(v119), v48 dst_sel:DWORD dst_unused:UNUSED_PAD src0_sel:WORD_0 src1_sel:DWORD
	v_add_nc_u16 v86, v99, v86
	v_add_nc_u16 v99, v102, v103
	v_lshrrev_b32_e32 v102, 31, v115
	v_ashrrev_i32_e32 v103, 18, v115
	v_lshrrev_b32_e32 v115, 31, v53
	v_ashrrev_i32_e32 v53, 18, v53
	v_mul_i32_i24_sdwa v116, sext(v54), v48 dst_sel:DWORD dst_unused:UNUSED_PAD src0_sel:WORD_0 src1_sel:DWORD
	v_cmp_lt_i16_e32 vcc_lo, v86, v99
	v_mul_i32_i24_sdwa v86, sext(v100), v48 dst_sel:DWORD dst_unused:UNUSED_PAD src0_sel:WORD_0 src1_sel:DWORD
	v_add_nc_u16 v99, v103, v102
	v_add_nc_u16 v53, v53, v115
	v_lshrrev_b32_e32 v102, 31, v116
	;; [unrolled: 33-line block ×11, first 2 shown]
	v_ashrrev_i32_e32 v112, 18, v117
	v_lshrrev_b32_e32 v113, 31, v86
	v_ashrrev_i32_e32 v86, 18, v86
	v_cndmask_b32_e32 v117, v69, v115, vcc_lo
	v_cndmask_b32_e32 v69, v115, v69, vcc_lo
	v_cmp_lt_i16_e32 vcc_lo, v102, v82
	v_add_nc_u16 v82, v112, v103
	v_add_nc_u16 v86, v86, v113
	v_mul_i32_i24_sdwa v103, sext(v51), v48 dst_sel:DWORD dst_unused:UNUSED_PAD src0_sel:WORD_0 src1_sel:DWORD
	v_mul_i32_i24_sdwa v113, sext(v64), v48 dst_sel:DWORD dst_unused:UNUSED_PAD src0_sel:WORD_0 src1_sel:DWORD
	v_cndmask_b32_e32 v102, v83, v100, vcc_lo
	v_cndmask_b32_e32 v83, v100, v83, vcc_lo
	v_mul_i32_i24_sdwa v100, sext(v49), v48 dst_sel:DWORD dst_unused:UNUSED_PAD src0_sel:WORD_0 src1_sel:DWORD
	v_cmp_lt_i16_e32 vcc_lo, v82, v86
	v_lshrrev_b32_e32 v86, 31, v103
	v_ashrrev_i32_e32 v103, 18, v103
	v_mul_i32_i24_sdwa v115, sext(v54), v48 dst_sel:DWORD dst_unused:UNUSED_PAD src0_sel:WORD_0 src1_sel:DWORD
	v_lshrrev_b32_e32 v112, 31, v100
	v_ashrrev_i32_e32 v100, 18, v100
	v_cndmask_b32_e32 v82, v96, v71, vcc_lo
	v_cndmask_b32_e32 v71, v71, v96, vcc_lo
	v_mul_i32_i24_sdwa v96, sext(v114), v48 dst_sel:DWORD dst_unused:UNUSED_PAD src0_sel:WORD_0 src1_sel:DWORD
	v_add_nc_u16 v86, v103, v86
	v_add_nc_u16 v100, v100, v112
	v_lshrrev_b32_e32 v103, 31, v113
	v_ashrrev_i32_e32 v112, 18, v113
	v_lshrrev_b32_e32 v113, 31, v96
	v_ashrrev_i32_e32 v96, 18, v96
	v_cmp_lt_i16_e32 vcc_lo, v86, v100
	v_mul_i32_i24_sdwa v86, sext(v101), v48 dst_sel:DWORD dst_unused:UNUSED_PAD src0_sel:WORD_0 src1_sel:DWORD
	v_add_nc_u16 v100, v112, v103
	v_lshrrev_b32_e32 v103, 31, v115
	v_add_nc_u16 v96, v96, v113
	v_ashrrev_i32_e32 v112, 18, v115
	v_lshrrev_b32_e32 v113, 31, v86
	v_ashrrev_i32_e32 v86, 18, v86
	v_cndmask_b32_e32 v115, v51, v49, vcc_lo
	v_cndmask_b32_e32 v49, v49, v51, vcc_lo
	v_cmp_lt_i16_e32 vcc_lo, v100, v96
	v_add_nc_u16 v51, v112, v103
	v_add_nc_u16 v86, v86, v113
	v_mul_i32_i24_sdwa v100, sext(v52), v48 dst_sel:DWORD dst_unused:UNUSED_PAD src0_sel:WORD_0 src1_sel:DWORD
	v_mul_i32_i24_sdwa v103, sext(v85), v48 dst_sel:DWORD dst_unused:UNUSED_PAD src0_sel:WORD_0 src1_sel:DWORD
	v_cndmask_b32_e32 v96, v64, v114, vcc_lo
	v_cndmask_b32_e32 v64, v114, v64, vcc_lo
	v_cmp_lt_i16_e32 vcc_lo, v51, v86
	v_lshrrev_b32_e32 v86, 31, v100
	v_ashrrev_i32_e32 v100, 18, v100
	v_lshrrev_b32_e32 v112, 31, v103
	v_ashrrev_i32_e32 v103, 18, v103
	v_cndmask_b32_e32 v51, v54, v101, vcc_lo
	v_mul_i32_i24_sdwa v113, sext(v70), v48 dst_sel:DWORD dst_unused:UNUSED_PAD src0_sel:WORD_0 src1_sel:DWORD
	v_cndmask_b32_e32 v54, v101, v54, vcc_lo
	v_mul_i32_i24_sdwa v101, sext(v116), v48 dst_sel:DWORD dst_unused:UNUSED_PAD src0_sel:WORD_0 src1_sel:DWORD
	v_add_nc_u16 v86, v100, v86
	v_add_nc_u16 v100, v103, v112
	v_lshrrev_b32_e32 v103, 31, v113
	v_ashrrev_i32_e32 v112, 18, v113
	v_lshrrev_b32_e32 v113, 31, v101
	v_ashrrev_i32_e32 v101, 18, v101
	v_mul_i32_i24_sdwa v114, sext(v66), v48 dst_sel:DWORD dst_unused:UNUSED_PAD src0_sel:WORD_0 src1_sel:DWORD
	v_cmp_lt_i16_e32 vcc_lo, v86, v100
	v_mul_i32_i24_sdwa v86, sext(v97), v48 dst_sel:DWORD dst_unused:UNUSED_PAD src0_sel:WORD_0 src1_sel:DWORD
	v_add_nc_u16 v100, v112, v103
	v_add_nc_u16 v101, v101, v113
	v_lshrrev_b32_e32 v103, 31, v114
	v_ashrrev_i32_e32 v112, 18, v114
	v_lshrrev_b32_e32 v113, 31, v86
	v_ashrrev_i32_e32 v86, 18, v86
	v_cndmask_b32_e32 v114, v52, v85, vcc_lo
	v_cndmask_b32_e32 v52, v85, v52, vcc_lo
	v_cmp_lt_i16_e32 vcc_lo, v100, v101
	v_add_nc_u16 v85, v112, v103
	v_add_nc_u16 v86, v86, v113
	v_mul_i32_i24_sdwa v101, sext(v55), v48 dst_sel:DWORD dst_unused:UNUSED_PAD src0_sel:WORD_0 src1_sel:DWORD
	v_mul_i32_i24_sdwa v103, sext(v53), v48 dst_sel:DWORD dst_unused:UNUSED_PAD src0_sel:WORD_0 src1_sel:DWORD
	v_cndmask_b32_e32 v100, v70, v116, vcc_lo
	v_cndmask_b32_e32 v70, v116, v70, vcc_lo
	v_cmp_lt_i16_e32 vcc_lo, v85, v86
	v_lshrrev_b32_e32 v86, 31, v101
	v_ashrrev_i32_e32 v101, 18, v101
	v_lshrrev_b32_e32 v112, 31, v103
	v_ashrrev_i32_e32 v103, 18, v103
	v_cndmask_b32_e32 v85, v66, v97, vcc_lo
	v_mul_i32_i24_sdwa v113, sext(v84), v48 dst_sel:DWORD dst_unused:UNUSED_PAD src0_sel:WORD_0 src1_sel:DWORD
	v_cndmask_b32_e32 v66, v97, v66, vcc_lo
	v_mul_i32_i24_sdwa v97, sext(v119), v48 dst_sel:DWORD dst_unused:UNUSED_PAD src0_sel:WORD_0 src1_sel:DWORD
	v_add_nc_u16 v86, v101, v86
	v_add_nc_u16 v101, v103, v112
	v_lshrrev_b32_e32 v103, 31, v113
	v_ashrrev_i32_e32 v112, 18, v113
	v_lshrrev_b32_e32 v113, 31, v97
	v_ashrrev_i32_e32 v97, 18, v97
	v_mul_i32_i24_sdwa v116, sext(v80), v48 dst_sel:DWORD dst_unused:UNUSED_PAD src0_sel:WORD_0 src1_sel:DWORD
	v_cmp_lt_i16_e32 vcc_lo, v86, v101
	v_mul_i32_i24_sdwa v86, sext(v99), v48 dst_sel:DWORD dst_unused:UNUSED_PAD src0_sel:WORD_0 src1_sel:DWORD
	v_add_nc_u16 v101, v112, v103
	v_add_nc_u16 v97, v97, v113
	v_lshrrev_b32_e32 v103, 31, v116
	;; [unrolled: 33-line block ×4, first 2 shown]
	v_ashrrev_i32_e32 v112, 18, v118
	v_lshrrev_b32_e32 v113, 31, v86
	v_ashrrev_i32_e32 v86, 18, v86
	v_cndmask_b32_e32 v118, v117, v68, vcc_lo
	v_cndmask_b32_e32 v68, v68, v117, vcc_lo
	v_cmp_lt_i16_e32 vcc_lo, v101, v87
	v_add_nc_u16 v87, v112, v103
	v_add_nc_u16 v86, v86, v113
	v_mul_i32_i24_sdwa v103, sext(v50), v48 dst_sel:DWORD dst_unused:UNUSED_PAD src0_sel:WORD_0 src1_sel:DWORD
	v_mul_i32_i24_sdwa v113, sext(v64), v48 dst_sel:DWORD dst_unused:UNUSED_PAD src0_sel:WORD_0 src1_sel:DWORD
	v_cndmask_b32_e32 v101, v69, v102, vcc_lo
	v_cndmask_b32_e32 v69, v102, v69, vcc_lo
	v_mul_i32_i24_sdwa v102, sext(v71), v48 dst_sel:DWORD dst_unused:UNUSED_PAD src0_sel:WORD_0 src1_sel:DWORD
	v_cmp_lt_i16_e32 vcc_lo, v87, v86
	v_lshrrev_b32_e32 v87, 31, v103
	v_ashrrev_i32_e32 v103, 18, v103
	v_mul_i32_i24_sdwa v117, sext(v54), v48 dst_sel:DWORD dst_unused:UNUSED_PAD src0_sel:WORD_0 src1_sel:DWORD
	v_lshrrev_b32_e32 v112, 31, v102
	v_ashrrev_i32_e32 v102, 18, v102
	v_cndmask_b32_e32 v86, v83, v82, vcc_lo
	v_cndmask_b32_e32 v82, v82, v83, vcc_lo
	v_mul_i32_i24_sdwa v83, sext(v115), v48 dst_sel:DWORD dst_unused:UNUSED_PAD src0_sel:WORD_0 src1_sel:DWORD
	v_add_nc_u16 v87, v103, v87
	v_add_nc_u16 v102, v102, v112
	v_lshrrev_b32_e32 v103, 31, v113
	v_ashrrev_i32_e32 v112, 18, v113
	v_lshrrev_b32_e32 v113, 31, v83
	v_ashrrev_i32_e32 v83, 18, v83
	v_cmp_lt_i16_e32 vcc_lo, v87, v102
	v_mul_i32_i24_sdwa v87, sext(v96), v48 dst_sel:DWORD dst_unused:UNUSED_PAD src0_sel:WORD_0 src1_sel:DWORD
	v_add_nc_u16 v102, v112, v103
	v_lshrrev_b32_e32 v103, 31, v117
	v_add_nc_u16 v83, v83, v113
	v_ashrrev_i32_e32 v112, 18, v117
	v_lshrrev_b32_e32 v113, 31, v87
	v_ashrrev_i32_e32 v87, 18, v87
	v_cndmask_b32_e32 v117, v71, v50, vcc_lo
	v_cndmask_b32_e32 v50, v50, v71, vcc_lo
	v_cmp_lt_i16_e32 vcc_lo, v102, v83
	v_add_nc_u16 v71, v112, v103
	v_add_nc_u16 v83, v87, v113
	v_mul_i32_i24_sdwa v102, sext(v52), v48 dst_sel:DWORD dst_unused:UNUSED_PAD src0_sel:WORD_0 src1_sel:DWORD
	v_mul_i32_i24_sdwa v103, sext(v51), v48 dst_sel:DWORD dst_unused:UNUSED_PAD src0_sel:WORD_0 src1_sel:DWORD
	v_cndmask_b32_e32 v87, v64, v115, vcc_lo
	v_cndmask_b32_e32 v64, v115, v64, vcc_lo
	v_cmp_lt_i16_e32 vcc_lo, v71, v83
	v_lshrrev_b32_e32 v83, 31, v102
	v_ashrrev_i32_e32 v102, 18, v102
	v_lshrrev_b32_e32 v112, 31, v103
	v_ashrrev_i32_e32 v103, 18, v103
	v_cndmask_b32_e32 v71, v54, v96, vcc_lo
	v_mul_i32_i24_sdwa v113, sext(v70), v48 dst_sel:DWORD dst_unused:UNUSED_PAD src0_sel:WORD_0 src1_sel:DWORD
	v_cndmask_b32_e32 v54, v96, v54, vcc_lo
	v_mul_i32_i24_sdwa v96, sext(v114), v48 dst_sel:DWORD dst_unused:UNUSED_PAD src0_sel:WORD_0 src1_sel:DWORD
	v_add_nc_u16 v83, v102, v83
	v_add_nc_u16 v102, v103, v112
	v_lshrrev_b32_e32 v103, 31, v113
	v_ashrrev_i32_e32 v112, 18, v113
	v_lshrrev_b32_e32 v113, 31, v96
	v_ashrrev_i32_e32 v96, 18, v96
	v_mul_i32_i24_sdwa v115, sext(v66), v48 dst_sel:DWORD dst_unused:UNUSED_PAD src0_sel:WORD_0 src1_sel:DWORD
	v_cmp_lt_i16_e32 vcc_lo, v83, v102
	v_mul_i32_i24_sdwa v83, sext(v100), v48 dst_sel:DWORD dst_unused:UNUSED_PAD src0_sel:WORD_0 src1_sel:DWORD
	v_add_nc_u16 v102, v112, v103
	v_add_nc_u16 v96, v96, v113
	v_lshrrev_b32_e32 v103, 31, v115
	v_ashrrev_i32_e32 v112, 18, v115
	v_lshrrev_b32_e32 v113, 31, v83
	v_ashrrev_i32_e32 v83, 18, v83
	v_cndmask_b32_e32 v115, v52, v51, vcc_lo
	v_cndmask_b32_e32 v51, v51, v52, vcc_lo
	v_cmp_lt_i16_e32 vcc_lo, v102, v96
	v_add_nc_u16 v52, v112, v103
	v_add_nc_u16 v83, v83, v113
	v_mul_i32_i24_sdwa v102, sext(v53), v48 dst_sel:DWORD dst_unused:UNUSED_PAD src0_sel:WORD_0 src1_sel:DWORD
	v_mul_i32_i24_sdwa v103, sext(v85), v48 dst_sel:DWORD dst_unused:UNUSED_PAD src0_sel:WORD_0 src1_sel:DWORD
	v_cndmask_b32_e32 v96, v70, v114, vcc_lo
	v_cndmask_b32_e32 v70, v114, v70, vcc_lo
	v_cmp_lt_i16_e32 vcc_lo, v52, v83
	v_lshrrev_b32_e32 v83, 31, v102
	v_ashrrev_i32_e32 v102, 18, v102
	v_lshrrev_b32_e32 v112, 31, v103
	v_ashrrev_i32_e32 v103, 18, v103
	v_cndmask_b32_e32 v52, v66, v100, vcc_lo
	v_mul_i32_i24_sdwa v113, sext(v84), v48 dst_sel:DWORD dst_unused:UNUSED_PAD src0_sel:WORD_0 src1_sel:DWORD
	v_cndmask_b32_e32 v66, v100, v66, vcc_lo
	v_mul_i32_i24_sdwa v100, sext(v116), v48 dst_sel:DWORD dst_unused:UNUSED_PAD src0_sel:WORD_0 src1_sel:DWORD
	v_add_nc_u16 v83, v102, v83
	v_add_nc_u16 v102, v103, v112
	v_lshrrev_b32_e32 v103, 31, v113
	v_ashrrev_i32_e32 v112, 18, v113
	v_lshrrev_b32_e32 v113, 31, v100
	v_ashrrev_i32_e32 v100, 18, v100
	v_mul_i32_i24_sdwa v114, sext(v80), v48 dst_sel:DWORD dst_unused:UNUSED_PAD src0_sel:WORD_0 src1_sel:DWORD
	v_cmp_lt_i16_e32 vcc_lo, v83, v102
	v_mul_i32_i24_sdwa v83, sext(v97), v48 dst_sel:DWORD dst_unused:UNUSED_PAD src0_sel:WORD_0 src1_sel:DWORD
	v_add_nc_u16 v102, v112, v103
	v_add_nc_u16 v100, v100, v113
	v_lshrrev_b32_e32 v103, 31, v114
	;; [unrolled: 33-line block ×5, first 2 shown]
	v_ashrrev_i32_e32 v112, 18, v118
	v_lshrrev_b32_e32 v113, 31, v85
	v_ashrrev_i32_e32 v85, 18, v85
	v_cndmask_b32_e32 v118, v82, v117, vcc_lo
	v_cndmask_b32_e32 v82, v117, v82, vcc_lo
	v_cmp_lt_i16_e32 vcc_lo, v102, v86
	v_add_nc_u16 v86, v112, v103
	v_add_nc_u16 v85, v85, v113
	v_mul_i32_i24_sdwa v103, sext(v51), v48 dst_sel:DWORD dst_unused:UNUSED_PAD src0_sel:WORD_0 src1_sel:DWORD
	v_mul_i32_i24_sdwa v113, sext(v70), v48 dst_sel:DWORD dst_unused:UNUSED_PAD src0_sel:WORD_0 src1_sel:DWORD
	v_cndmask_b32_e32 v102, v64, v49, vcc_lo
	v_cndmask_b32_e32 v49, v49, v64, vcc_lo
	v_mul_i32_i24_sdwa v64, sext(v71), v48 dst_sel:DWORD dst_unused:UNUSED_PAD src0_sel:WORD_0 src1_sel:DWORD
	v_cmp_lt_i16_e32 vcc_lo, v86, v85
	v_lshrrev_b32_e32 v86, 31, v103
	v_ashrrev_i32_e32 v103, 18, v103
	v_mul_i32_i24_sdwa v117, sext(v66), v48 dst_sel:DWORD dst_unused:UNUSED_PAD src0_sel:WORD_0 src1_sel:DWORD
	v_lshrrev_b32_e32 v112, 31, v64
	v_ashrrev_i32_e32 v64, 18, v64
	v_cndmask_b32_e32 v85, v54, v87, vcc_lo
	v_cndmask_b32_e32 v54, v87, v54, vcc_lo
	v_mul_i32_i24_sdwa v87, sext(v115), v48 dst_sel:DWORD dst_unused:UNUSED_PAD src0_sel:WORD_0 src1_sel:DWORD
	v_add_nc_u16 v86, v103, v86
	v_add_nc_u16 v64, v64, v112
	v_lshrrev_b32_e32 v103, 31, v113
	v_ashrrev_i32_e32 v112, 18, v113
	v_lshrrev_b32_e32 v113, 31, v87
	v_ashrrev_i32_e32 v87, 18, v87
	v_cmp_lt_i16_e32 vcc_lo, v86, v64
	v_mul_i32_i24_sdwa v64, sext(v96), v48 dst_sel:DWORD dst_unused:UNUSED_PAD src0_sel:WORD_0 src1_sel:DWORD
	v_add_nc_u16 v86, v112, v103
	v_lshrrev_b32_e32 v103, 31, v117
	v_add_nc_u16 v87, v87, v113
	v_ashrrev_i32_e32 v112, 18, v117
	v_lshrrev_b32_e32 v113, 31, v64
	v_ashrrev_i32_e32 v64, 18, v64
	v_cndmask_b32_e32 v117, v51, v71, vcc_lo
	v_cndmask_b32_e32 v51, v71, v51, vcc_lo
	v_cmp_lt_i16_e32 vcc_lo, v86, v87
	v_add_nc_u16 v71, v112, v103
	v_add_nc_u16 v64, v64, v113
	v_mul_i32_i24_sdwa v87, sext(v53), v48 dst_sel:DWORD dst_unused:UNUSED_PAD src0_sel:WORD_0 src1_sel:DWORD
	v_mul_i32_i24_sdwa v103, sext(v52), v48 dst_sel:DWORD dst_unused:UNUSED_PAD src0_sel:WORD_0 src1_sel:DWORD
	v_cndmask_b32_e32 v86, v70, v115, vcc_lo
	v_cndmask_b32_e32 v70, v115, v70, vcc_lo
	v_cmp_lt_i16_e32 vcc_lo, v71, v64
	v_lshrrev_b32_e32 v71, 31, v87
	v_ashrrev_i32_e32 v87, 18, v87
	v_lshrrev_b32_e32 v112, 31, v103
	v_ashrrev_i32_e32 v103, 18, v103
	v_cndmask_b32_e32 v64, v66, v96, vcc_lo
	v_mul_i32_i24_sdwa v113, sext(v84), v48 dst_sel:DWORD dst_unused:UNUSED_PAD src0_sel:WORD_0 src1_sel:DWORD
	v_cndmask_b32_e32 v66, v96, v66, vcc_lo
	v_mul_i32_i24_sdwa v96, sext(v114), v48 dst_sel:DWORD dst_unused:UNUSED_PAD src0_sel:WORD_0 src1_sel:DWORD
	v_add_nc_u16 v71, v87, v71
	v_add_nc_u16 v87, v103, v112
	v_lshrrev_b32_e32 v103, 31, v113
	v_ashrrev_i32_e32 v112, 18, v113
	v_lshrrev_b32_e32 v113, 31, v96
	v_ashrrev_i32_e32 v96, 18, v96
	v_mul_i32_i24_sdwa v115, sext(v80), v48 dst_sel:DWORD dst_unused:UNUSED_PAD src0_sel:WORD_0 src1_sel:DWORD
	v_cmp_lt_i16_e32 vcc_lo, v71, v87
	v_mul_i32_i24_sdwa v71, sext(v100), v48 dst_sel:DWORD dst_unused:UNUSED_PAD src0_sel:WORD_0 src1_sel:DWORD
	v_add_nc_u16 v87, v112, v103
	v_add_nc_u16 v96, v96, v113
	v_lshrrev_b32_e32 v103, 31, v115
	v_ashrrev_i32_e32 v112, 18, v115
	v_lshrrev_b32_e32 v113, 31, v71
	v_ashrrev_i32_e32 v71, 18, v71
	v_cndmask_b32_e32 v115, v53, v52, vcc_lo
	v_cndmask_b32_e32 v52, v52, v53, vcc_lo
	v_cmp_lt_i16_e32 vcc_lo, v87, v96
	v_add_nc_u16 v53, v112, v103
	v_add_nc_u16 v71, v71, v113
	v_mul_i32_i24_sdwa v96, sext(v55), v48 dst_sel:DWORD dst_unused:UNUSED_PAD src0_sel:WORD_0 src1_sel:DWORD
	v_mul_i32_i24_sdwa v103, sext(v83), v48 dst_sel:DWORD dst_unused:UNUSED_PAD src0_sel:WORD_0 src1_sel:DWORD
	v_cndmask_b32_e32 v87, v84, v114, vcc_lo
	v_cndmask_b32_e32 v84, v114, v84, vcc_lo
	v_cmp_lt_i16_e32 vcc_lo, v53, v71
	v_lshrrev_b32_e32 v71, 31, v96
	v_ashrrev_i32_e32 v96, 18, v96
	v_lshrrev_b32_e32 v112, 31, v103
	v_ashrrev_i32_e32 v103, 18, v103
	v_cndmask_b32_e32 v53, v80, v100, vcc_lo
	v_mul_i32_i24_sdwa v113, sext(v98), v48 dst_sel:DWORD dst_unused:UNUSED_PAD src0_sel:WORD_0 src1_sel:DWORD
	v_cndmask_b32_e32 v80, v100, v80, vcc_lo
	v_mul_i32_i24_sdwa v100, sext(v116), v48 dst_sel:DWORD dst_unused:UNUSED_PAD src0_sel:WORD_0 src1_sel:DWORD
	v_add_nc_u16 v71, v96, v71
	v_add_nc_u16 v96, v103, v112
	v_lshrrev_b32_e32 v103, 31, v113
	v_ashrrev_i32_e32 v112, 18, v113
	v_lshrrev_b32_e32 v113, 31, v100
	v_ashrrev_i32_e32 v100, 18, v100
	v_mul_i32_i24_sdwa v114, sext(v81), v48 dst_sel:DWORD dst_unused:UNUSED_PAD src0_sel:WORD_0 src1_sel:DWORD
	v_cmp_lt_i16_e32 vcc_lo, v71, v96
	v_mul_i32_i24_sdwa v71, sext(v97), v48 dst_sel:DWORD dst_unused:UNUSED_PAD src0_sel:WORD_0 src1_sel:DWORD
	v_add_nc_u16 v96, v112, v103
	v_add_nc_u16 v100, v100, v113
	v_lshrrev_b32_e32 v103, 31, v114
	;; [unrolled: 33-line block ×4, first 2 shown]
	v_ashrrev_i32_e32 v112, 18, v119
	v_lshrrev_b32_e32 v113, 31, v83
	v_ashrrev_i32_e32 v83, 18, v83
	v_cndmask_b32_e32 v119, v69, v118, vcc_lo
	v_cndmask_b32_e32 v69, v118, v69, vcc_lo
	v_cmp_lt_i16_e32 vcc_lo, v100, v101
	v_add_nc_u16 v100, v112, v103
	v_add_nc_u16 v83, v83, v113
	v_mul_i32_i24_sdwa v103, sext(v51), v48 dst_sel:DWORD dst_unused:UNUSED_PAD src0_sel:WORD_0 src1_sel:DWORD
	v_mul_i32_i24_sdwa v113, sext(v70), v48 dst_sel:DWORD dst_unused:UNUSED_PAD src0_sel:WORD_0 src1_sel:DWORD
	v_cndmask_b32_e32 v101, v82, v50, vcc_lo
	v_cndmask_b32_e32 v50, v50, v82, vcc_lo
	v_mul_i32_i24_sdwa v82, sext(v85), v48 dst_sel:DWORD dst_unused:UNUSED_PAD src0_sel:WORD_0 src1_sel:DWORD
	v_cmp_lt_i16_e32 vcc_lo, v100, v83
	v_lshrrev_b32_e32 v100, 31, v103
	v_ashrrev_i32_e32 v103, 18, v103
	v_mul_i32_i24_sdwa v118, sext(v66), v48 dst_sel:DWORD dst_unused:UNUSED_PAD src0_sel:WORD_0 src1_sel:DWORD
	v_lshrrev_b32_e32 v112, 31, v82
	v_ashrrev_i32_e32 v82, 18, v82
	v_cndmask_b32_e32 v83, v54, v102, vcc_lo
	v_cndmask_b32_e32 v54, v102, v54, vcc_lo
	v_mul_i32_i24_sdwa v102, sext(v117), v48 dst_sel:DWORD dst_unused:UNUSED_PAD src0_sel:WORD_0 src1_sel:DWORD
	v_add_nc_u16 v100, v103, v100
	v_add_nc_u16 v82, v82, v112
	v_lshrrev_b32_e32 v103, 31, v113
	v_ashrrev_i32_e32 v112, 18, v113
	v_lshrrev_b32_e32 v113, 31, v102
	v_ashrrev_i32_e32 v102, 18, v102
	v_cmp_lt_i16_e32 vcc_lo, v100, v82
	v_mul_i32_i24_sdwa v82, sext(v86), v48 dst_sel:DWORD dst_unused:UNUSED_PAD src0_sel:WORD_0 src1_sel:DWORD
	v_add_nc_u16 v100, v112, v103
	v_lshrrev_b32_e32 v103, 31, v118
	v_add_nc_u16 v102, v102, v113
	v_ashrrev_i32_e32 v112, 18, v118
	v_lshrrev_b32_e32 v113, 31, v82
	v_ashrrev_i32_e32 v82, 18, v82
	v_cndmask_b32_e32 v118, v51, v85, vcc_lo
	v_cndmask_b32_e32 v51, v85, v51, vcc_lo
	v_cmp_lt_i16_e32 vcc_lo, v100, v102
	v_add_nc_u16 v85, v112, v103
	v_add_nc_u16 v82, v82, v113
	v_mul_i32_i24_sdwa v102, sext(v52), v48 dst_sel:DWORD dst_unused:UNUSED_PAD src0_sel:WORD_0 src1_sel:DWORD
	v_mul_i32_i24_sdwa v103, sext(v64), v48 dst_sel:DWORD dst_unused:UNUSED_PAD src0_sel:WORD_0 src1_sel:DWORD
	v_cndmask_b32_e32 v100, v70, v117, vcc_lo
	v_cndmask_b32_e32 v70, v117, v70, vcc_lo
	v_cmp_lt_i16_e32 vcc_lo, v85, v82
	v_lshrrev_b32_e32 v85, 31, v102
	v_ashrrev_i32_e32 v102, 18, v102
	v_lshrrev_b32_e32 v112, 31, v103
	v_ashrrev_i32_e32 v103, 18, v103
	v_cndmask_b32_e32 v82, v66, v86, vcc_lo
	v_mul_i32_i24_sdwa v113, sext(v84), v48 dst_sel:DWORD dst_unused:UNUSED_PAD src0_sel:WORD_0 src1_sel:DWORD
	v_cndmask_b32_e32 v66, v86, v66, vcc_lo
	v_mul_i32_i24_sdwa v86, sext(v115), v48 dst_sel:DWORD dst_unused:UNUSED_PAD src0_sel:WORD_0 src1_sel:DWORD
	v_add_nc_u16 v85, v102, v85
	v_add_nc_u16 v102, v103, v112
	v_lshrrev_b32_e32 v103, 31, v113
	v_ashrrev_i32_e32 v112, 18, v113
	v_lshrrev_b32_e32 v113, 31, v86
	v_ashrrev_i32_e32 v86, 18, v86
	v_mul_i32_i24_sdwa v117, sext(v80), v48 dst_sel:DWORD dst_unused:UNUSED_PAD src0_sel:WORD_0 src1_sel:DWORD
	v_cmp_lt_i16_e32 vcc_lo, v85, v102
	v_mul_i32_i24_sdwa v85, sext(v87), v48 dst_sel:DWORD dst_unused:UNUSED_PAD src0_sel:WORD_0 src1_sel:DWORD
	v_add_nc_u16 v102, v112, v103
	v_add_nc_u16 v86, v86, v113
	v_lshrrev_b32_e32 v103, 31, v117
	v_ashrrev_i32_e32 v112, 18, v117
	v_lshrrev_b32_e32 v113, 31, v85
	v_ashrrev_i32_e32 v85, 18, v85
	v_cndmask_b32_e32 v117, v52, v64, vcc_lo
	v_cndmask_b32_e32 v52, v64, v52, vcc_lo
	v_cmp_lt_i16_e32 vcc_lo, v102, v86
	v_add_nc_u16 v64, v112, v103
	v_add_nc_u16 v85, v85, v113
	v_mul_i32_i24_sdwa v102, sext(v55), v48 dst_sel:DWORD dst_unused:UNUSED_PAD src0_sel:WORD_0 src1_sel:DWORD
	v_mul_i32_i24_sdwa v103, sext(v53), v48 dst_sel:DWORD dst_unused:UNUSED_PAD src0_sel:WORD_0 src1_sel:DWORD
	v_cndmask_b32_e32 v86, v84, v115, vcc_lo
	v_cndmask_b32_e32 v84, v115, v84, vcc_lo
	v_cmp_lt_i16_e32 vcc_lo, v64, v85
	v_lshrrev_b32_e32 v85, 31, v102
	v_ashrrev_i32_e32 v102, 18, v102
	v_lshrrev_b32_e32 v112, 31, v103
	v_ashrrev_i32_e32 v103, 18, v103
	v_cndmask_b32_e32 v64, v80, v87, vcc_lo
	v_mul_i32_i24_sdwa v113, sext(v98), v48 dst_sel:DWORD dst_unused:UNUSED_PAD src0_sel:WORD_0 src1_sel:DWORD
	v_cndmask_b32_e32 v80, v87, v80, vcc_lo
	v_mul_i32_i24_sdwa v87, sext(v114), v48 dst_sel:DWORD dst_unused:UNUSED_PAD src0_sel:WORD_0 src1_sel:DWORD
	v_add_nc_u16 v85, v102, v85
	v_add_nc_u16 v102, v103, v112
	v_lshrrev_b32_e32 v103, 31, v113
	v_ashrrev_i32_e32 v112, 18, v113
	v_lshrrev_b32_e32 v113, 31, v87
	v_ashrrev_i32_e32 v87, 18, v87
	v_mul_i32_i24_sdwa v115, sext(v81), v48 dst_sel:DWORD dst_unused:UNUSED_PAD src0_sel:WORD_0 src1_sel:DWORD
	v_cmp_lt_i16_e32 vcc_lo, v85, v102
	v_mul_i32_i24_sdwa v85, sext(v96), v48 dst_sel:DWORD dst_unused:UNUSED_PAD src0_sel:WORD_0 src1_sel:DWORD
	v_add_nc_u16 v102, v112, v103
	v_add_nc_u16 v87, v87, v113
	v_lshrrev_b32_e32 v103, 31, v115
	;; [unrolled: 33-line block ×4, first 2 shown]
	v_ashrrev_i32_e32 v112, 18, v116
	v_lshrrev_b32_e32 v113, 31, v85
	v_ashrrev_i32_e32 v85, 18, v85
	v_cndmask_b32_e32 v116, v68, v119, vcc_lo
	v_cndmask_b32_e32 v68, v119, v68, vcc_lo
	v_cmp_lt_i16_e32 vcc_lo, v102, v97
	v_add_nc_u16 v97, v112, v103
	v_add_nc_u16 v85, v85, v113
	v_mul_i32_i24_sdwa v103, sext(v51), v48 dst_sel:DWORD dst_unused:UNUSED_PAD src0_sel:WORD_0 src1_sel:DWORD
	v_mul_i32_i24_sdwa v113, sext(v70), v48 dst_sel:DWORD dst_unused:UNUSED_PAD src0_sel:WORD_0 src1_sel:DWORD
	v_cndmask_b32_e32 v102, v69, v101, vcc_lo
	v_cndmask_b32_e32 v69, v101, v69, vcc_lo
	v_mul_i32_i24_sdwa v101, sext(v83), v48 dst_sel:DWORD dst_unused:UNUSED_PAD src0_sel:WORD_0 src1_sel:DWORD
	v_cmp_lt_i16_e32 vcc_lo, v97, v85
	v_lshrrev_b32_e32 v97, 31, v103
	v_ashrrev_i32_e32 v103, 18, v103
	v_mul_i32_i24_sdwa v119, sext(v66), v48 dst_sel:DWORD dst_unused:UNUSED_PAD src0_sel:WORD_0 src1_sel:DWORD
	v_lshrrev_b32_e32 v112, 31, v101
	v_ashrrev_i32_e32 v101, 18, v101
	v_cndmask_b32_e32 v85, v54, v49, vcc_lo
	v_cndmask_b32_e32 v49, v49, v54, vcc_lo
	v_mul_i32_i24_sdwa v54, sext(v118), v48 dst_sel:DWORD dst_unused:UNUSED_PAD src0_sel:WORD_0 src1_sel:DWORD
	v_add_nc_u16 v97, v103, v97
	v_add_nc_u16 v101, v101, v112
	v_lshrrev_b32_e32 v103, 31, v113
	v_ashrrev_i32_e32 v112, 18, v113
	v_lshrrev_b32_e32 v113, 31, v54
	v_ashrrev_i32_e32 v54, 18, v54
	v_cmp_lt_i16_e32 vcc_lo, v97, v101
	v_mul_i32_i24_sdwa v97, sext(v100), v48 dst_sel:DWORD dst_unused:UNUSED_PAD src0_sel:WORD_0 src1_sel:DWORD
	v_add_nc_u16 v101, v112, v103
	v_lshrrev_b32_e32 v103, 31, v119
	v_add_nc_u16 v54, v54, v113
	v_ashrrev_i32_e32 v112, 18, v119
	v_lshrrev_b32_e32 v113, 31, v97
	v_ashrrev_i32_e32 v97, 18, v97
	v_cndmask_b32_e32 v119, v51, v83, vcc_lo
	v_cndmask_b32_e32 v51, v83, v51, vcc_lo
	v_cmp_lt_i16_e32 vcc_lo, v101, v54
	v_add_nc_u16 v54, v112, v103
	v_add_nc_u16 v83, v97, v113
	v_mul_i32_i24_sdwa v101, sext(v52), v48 dst_sel:DWORD dst_unused:UNUSED_PAD src0_sel:WORD_0 src1_sel:DWORD
	v_mul_i32_i24_sdwa v103, sext(v82), v48 dst_sel:DWORD dst_unused:UNUSED_PAD src0_sel:WORD_0 src1_sel:DWORD
	v_cndmask_b32_e32 v97, v70, v118, vcc_lo
	v_cndmask_b32_e32 v70, v118, v70, vcc_lo
	v_cmp_lt_i16_e32 vcc_lo, v54, v83
	v_lshrrev_b32_e32 v83, 31, v101
	v_ashrrev_i32_e32 v101, 18, v101
	v_lshrrev_b32_e32 v112, 31, v103
	v_ashrrev_i32_e32 v103, 18, v103
	v_cndmask_b32_e32 v54, v66, v100, vcc_lo
	v_mul_i32_i24_sdwa v113, sext(v84), v48 dst_sel:DWORD dst_unused:UNUSED_PAD src0_sel:WORD_0 src1_sel:DWORD
	v_cndmask_b32_e32 v66, v100, v66, vcc_lo
	v_mul_i32_i24_sdwa v100, sext(v117), v48 dst_sel:DWORD dst_unused:UNUSED_PAD src0_sel:WORD_0 src1_sel:DWORD
	v_add_nc_u16 v83, v101, v83
	v_add_nc_u16 v101, v103, v112
	v_lshrrev_b32_e32 v103, 31, v113
	v_ashrrev_i32_e32 v112, 18, v113
	v_lshrrev_b32_e32 v113, 31, v100
	v_ashrrev_i32_e32 v100, 18, v100
	v_mul_i32_i24_sdwa v118, sext(v80), v48 dst_sel:DWORD dst_unused:UNUSED_PAD src0_sel:WORD_0 src1_sel:DWORD
	v_cmp_lt_i16_e32 vcc_lo, v83, v101
	v_mul_i32_i24_sdwa v83, sext(v86), v48 dst_sel:DWORD dst_unused:UNUSED_PAD src0_sel:WORD_0 src1_sel:DWORD
	v_add_nc_u16 v101, v112, v103
	v_add_nc_u16 v100, v100, v113
	v_lshrrev_b32_e32 v103, 31, v118
	v_ashrrev_i32_e32 v112, 18, v118
	v_lshrrev_b32_e32 v113, 31, v83
	v_ashrrev_i32_e32 v83, 18, v83
	v_cndmask_b32_e32 v118, v52, v82, vcc_lo
	v_cndmask_b32_e32 v52, v82, v52, vcc_lo
	v_cmp_lt_i16_e32 vcc_lo, v101, v100
	v_add_nc_u16 v82, v112, v103
	v_add_nc_u16 v83, v83, v113
	v_mul_i32_i24_sdwa v101, sext(v53), v48 dst_sel:DWORD dst_unused:UNUSED_PAD src0_sel:WORD_0 src1_sel:DWORD
	v_mul_i32_i24_sdwa v103, sext(v64), v48 dst_sel:DWORD dst_unused:UNUSED_PAD src0_sel:WORD_0 src1_sel:DWORD
	v_cndmask_b32_e32 v100, v84, v117, vcc_lo
	v_cndmask_b32_e32 v84, v117, v84, vcc_lo
	v_cmp_lt_i16_e32 vcc_lo, v82, v83
	v_lshrrev_b32_e32 v83, 31, v101
	v_ashrrev_i32_e32 v101, 18, v101
	v_lshrrev_b32_e32 v112, 31, v103
	v_ashrrev_i32_e32 v103, 18, v103
	v_cndmask_b32_e32 v82, v80, v86, vcc_lo
	v_mul_i32_i24_sdwa v113, sext(v98), v48 dst_sel:DWORD dst_unused:UNUSED_PAD src0_sel:WORD_0 src1_sel:DWORD
	v_cndmask_b32_e32 v80, v86, v80, vcc_lo
	v_mul_i32_i24_sdwa v86, sext(v115), v48 dst_sel:DWORD dst_unused:UNUSED_PAD src0_sel:WORD_0 src1_sel:DWORD
	v_add_nc_u16 v83, v101, v83
	v_add_nc_u16 v101, v103, v112
	v_lshrrev_b32_e32 v103, 31, v113
	v_ashrrev_i32_e32 v112, 18, v113
	v_lshrrev_b32_e32 v113, 31, v86
	v_ashrrev_i32_e32 v86, 18, v86
	v_mul_i32_i24_sdwa v117, sext(v81), v48 dst_sel:DWORD dst_unused:UNUSED_PAD src0_sel:WORD_0 src1_sel:DWORD
	v_cmp_lt_i16_e32 vcc_lo, v83, v101
	v_mul_i32_i24_sdwa v83, sext(v87), v48 dst_sel:DWORD dst_unused:UNUSED_PAD src0_sel:WORD_0 src1_sel:DWORD
	v_add_nc_u16 v101, v112, v103
	v_add_nc_u16 v86, v86, v113
	v_lshrrev_b32_e32 v103, 31, v117
	;; [unrolled: 33-line block ×4, first 2 shown]
	v_ashrrev_i32_e32 v112, 18, v114
	v_lshrrev_b32_e32 v113, 31, v83
	v_ashrrev_i32_e32 v83, 18, v83
	v_cndmask_b32_e32 v114, v67, v116, vcc_lo
	v_cndmask_b32_e32 v67, v116, v67, vcc_lo
	v_cmp_lt_i16_e32 vcc_lo, v101, v96
	v_add_nc_u16 v96, v112, v103
	v_add_nc_u16 v83, v83, v113
	v_mul_i32_i24_sdwa v103, sext(v51), v48 dst_sel:DWORD dst_unused:UNUSED_PAD src0_sel:WORD_0 src1_sel:DWORD
	v_mul_i32_i24_sdwa v113, sext(v70), v48 dst_sel:DWORD dst_unused:UNUSED_PAD src0_sel:WORD_0 src1_sel:DWORD
	v_cndmask_b32_e32 v101, v68, v102, vcc_lo
	v_cndmask_b32_e32 v68, v102, v68, vcc_lo
	v_mul_i32_i24_sdwa v102, sext(v85), v48 dst_sel:DWORD dst_unused:UNUSED_PAD src0_sel:WORD_0 src1_sel:DWORD
	v_cmp_lt_i16_e32 vcc_lo, v96, v83
	v_lshrrev_b32_e32 v96, 31, v103
	v_ashrrev_i32_e32 v103, 18, v103
	v_mul_i32_i24_sdwa v116, sext(v66), v48 dst_sel:DWORD dst_unused:UNUSED_PAD src0_sel:WORD_0 src1_sel:DWORD
	v_lshrrev_b32_e32 v112, 31, v102
	v_ashrrev_i32_e32 v102, 18, v102
	v_cndmask_b32_e32 v83, v69, v50, vcc_lo
	v_cndmask_b32_e32 v50, v50, v69, vcc_lo
	v_mul_i32_i24_sdwa v69, sext(v119), v48 dst_sel:DWORD dst_unused:UNUSED_PAD src0_sel:WORD_0 src1_sel:DWORD
	v_add_nc_u16 v96, v103, v96
	v_add_nc_u16 v102, v102, v112
	v_lshrrev_b32_e32 v103, 31, v113
	v_ashrrev_i32_e32 v112, 18, v113
	v_lshrrev_b32_e32 v113, 31, v69
	v_ashrrev_i32_e32 v69, 18, v69
	v_cmp_lt_i16_e32 vcc_lo, v96, v102
	v_mul_i32_i24_sdwa v96, sext(v97), v48 dst_sel:DWORD dst_unused:UNUSED_PAD src0_sel:WORD_0 src1_sel:DWORD
	v_add_nc_u16 v102, v112, v103
	v_lshrrev_b32_e32 v103, 31, v116
	v_add_nc_u16 v69, v69, v113
	v_ashrrev_i32_e32 v112, 18, v116
	v_lshrrev_b32_e32 v113, 31, v96
	v_ashrrev_i32_e32 v96, 18, v96
	v_cndmask_b32_e32 v116, v51, v85, vcc_lo
	v_cndmask_b32_e32 v51, v85, v51, vcc_lo
	v_cmp_lt_i16_e32 vcc_lo, v102, v69
	v_add_nc_u16 v69, v112, v103
	v_add_nc_u16 v85, v96, v113
	v_mul_i32_i24_sdwa v102, sext(v52), v48 dst_sel:DWORD dst_unused:UNUSED_PAD src0_sel:WORD_0 src1_sel:DWORD
	v_mul_i32_i24_sdwa v103, sext(v54), v48 dst_sel:DWORD dst_unused:UNUSED_PAD src0_sel:WORD_0 src1_sel:DWORD
	v_cndmask_b32_e32 v96, v70, v119, vcc_lo
	v_cndmask_b32_e32 v70, v119, v70, vcc_lo
	v_cmp_lt_i16_e32 vcc_lo, v69, v85
	v_lshrrev_b32_e32 v85, 31, v102
	v_ashrrev_i32_e32 v102, 18, v102
	v_lshrrev_b32_e32 v112, 31, v103
	v_ashrrev_i32_e32 v103, 18, v103
	v_cndmask_b32_e32 v69, v66, v97, vcc_lo
	v_mul_i32_i24_sdwa v113, sext(v84), v48 dst_sel:DWORD dst_unused:UNUSED_PAD src0_sel:WORD_0 src1_sel:DWORD
	v_cndmask_b32_e32 v66, v97, v66, vcc_lo
	v_mul_i32_i24_sdwa v97, sext(v118), v48 dst_sel:DWORD dst_unused:UNUSED_PAD src0_sel:WORD_0 src1_sel:DWORD
	v_add_nc_u16 v85, v102, v85
	v_add_nc_u16 v102, v103, v112
	v_lshrrev_b32_e32 v103, 31, v113
	v_ashrrev_i32_e32 v112, 18, v113
	v_lshrrev_b32_e32 v113, 31, v97
	v_ashrrev_i32_e32 v97, 18, v97
	v_mul_i32_i24_sdwa v119, sext(v80), v48 dst_sel:DWORD dst_unused:UNUSED_PAD src0_sel:WORD_0 src1_sel:DWORD
	v_cmp_lt_i16_e32 vcc_lo, v85, v102
	v_mul_i32_i24_sdwa v85, sext(v100), v48 dst_sel:DWORD dst_unused:UNUSED_PAD src0_sel:WORD_0 src1_sel:DWORD
	v_add_nc_u16 v102, v112, v103
	v_add_nc_u16 v97, v97, v113
	v_lshrrev_b32_e32 v103, 31, v119
	v_ashrrev_i32_e32 v112, 18, v119
	v_lshrrev_b32_e32 v113, 31, v85
	v_ashrrev_i32_e32 v85, 18, v85
	v_cndmask_b32_e32 v119, v52, v54, vcc_lo
	v_cndmask_b32_e32 v52, v54, v52, vcc_lo
	v_cmp_lt_i16_e32 vcc_lo, v102, v97
	v_add_nc_u16 v54, v112, v103
	v_add_nc_u16 v85, v85, v113
	v_mul_i32_i24_sdwa v102, sext(v53), v48 dst_sel:DWORD dst_unused:UNUSED_PAD src0_sel:WORD_0 src1_sel:DWORD
	v_mul_i32_i24_sdwa v103, sext(v82), v48 dst_sel:DWORD dst_unused:UNUSED_PAD src0_sel:WORD_0 src1_sel:DWORD
	v_cndmask_b32_e32 v97, v84, v118, vcc_lo
	v_cndmask_b32_e32 v84, v118, v84, vcc_lo
	v_cmp_lt_i16_e32 vcc_lo, v54, v85
	v_lshrrev_b32_e32 v85, 31, v102
	v_ashrrev_i32_e32 v102, 18, v102
	v_lshrrev_b32_e32 v112, 31, v103
	v_ashrrev_i32_e32 v103, 18, v103
	v_cndmask_b32_e32 v54, v80, v100, vcc_lo
	v_mul_i32_i24_sdwa v113, sext(v98), v48 dst_sel:DWORD dst_unused:UNUSED_PAD src0_sel:WORD_0 src1_sel:DWORD
	v_cndmask_b32_e32 v80, v100, v80, vcc_lo
	v_mul_i32_i24_sdwa v100, sext(v117), v48 dst_sel:DWORD dst_unused:UNUSED_PAD src0_sel:WORD_0 src1_sel:DWORD
	v_add_nc_u16 v85, v102, v85
	v_add_nc_u16 v102, v103, v112
	v_lshrrev_b32_e32 v103, 31, v113
	v_ashrrev_i32_e32 v112, 18, v113
	v_lshrrev_b32_e32 v113, 31, v100
	v_ashrrev_i32_e32 v100, 18, v100
	v_mul_i32_i24_sdwa v118, sext(v81), v48 dst_sel:DWORD dst_unused:UNUSED_PAD src0_sel:WORD_0 src1_sel:DWORD
	v_cmp_lt_i16_e32 vcc_lo, v85, v102
	v_mul_i32_i24_sdwa v85, sext(v86), v48 dst_sel:DWORD dst_unused:UNUSED_PAD src0_sel:WORD_0 src1_sel:DWORD
	v_add_nc_u16 v102, v112, v103
	v_add_nc_u16 v100, v100, v113
	v_lshrrev_b32_e32 v103, 31, v118
	;; [unrolled: 33-line block ×4, first 2 shown]
	v_ashrrev_i32_e32 v112, 18, v115
	v_lshrrev_b32_e32 v113, 31, v85
	v_ashrrev_i32_e32 v85, 18, v85
	v_cndmask_b32_e32 v115, v65, v114, vcc_lo
	v_cndmask_b32_e32 v65, v114, v65, vcc_lo
	v_cmp_lt_i16_e32 vcc_lo, v102, v87
	v_add_nc_u16 v87, v112, v103
	v_add_nc_u16 v85, v85, v113
	v_mul_i32_i24_sdwa v103, sext(v51), v48 dst_sel:DWORD dst_unused:UNUSED_PAD src0_sel:WORD_0 src1_sel:DWORD
	v_mul_i32_i24_sdwa v113, sext(v70), v48 dst_sel:DWORD dst_unused:UNUSED_PAD src0_sel:WORD_0 src1_sel:DWORD
	v_cndmask_b32_e32 v102, v67, v101, vcc_lo
	v_cndmask_b32_e32 v67, v101, v67, vcc_lo
	v_mul_i32_i24_sdwa v101, sext(v49), v48 dst_sel:DWORD dst_unused:UNUSED_PAD src0_sel:WORD_0 src1_sel:DWORD
	v_cmp_lt_i16_e32 vcc_lo, v87, v85
	v_lshrrev_b32_e32 v87, 31, v103
	v_ashrrev_i32_e32 v103, 18, v103
	v_mul_i32_i24_sdwa v114, sext(v66), v48 dst_sel:DWORD dst_unused:UNUSED_PAD src0_sel:WORD_0 src1_sel:DWORD
	v_lshrrev_b32_e32 v112, 31, v101
	v_ashrrev_i32_e32 v101, 18, v101
	v_cndmask_b32_e32 v85, v68, v83, vcc_lo
	v_cndmask_b32_e32 v68, v83, v68, vcc_lo
	v_mul_i32_i24_sdwa v83, sext(v116), v48 dst_sel:DWORD dst_unused:UNUSED_PAD src0_sel:WORD_0 src1_sel:DWORD
	v_add_nc_u16 v87, v103, v87
	v_add_nc_u16 v101, v101, v112
	v_lshrrev_b32_e32 v103, 31, v113
	v_ashrrev_i32_e32 v112, 18, v113
	v_lshrrev_b32_e32 v113, 31, v83
	v_ashrrev_i32_e32 v83, 18, v83
	v_cmp_lt_i16_e32 vcc_lo, v87, v101
	v_mul_i32_i24_sdwa v87, sext(v96), v48 dst_sel:DWORD dst_unused:UNUSED_PAD src0_sel:WORD_0 src1_sel:DWORD
	v_add_nc_u16 v101, v112, v103
	v_lshrrev_b32_e32 v103, 31, v114
	v_add_nc_u16 v83, v83, v113
	v_ashrrev_i32_e32 v112, 18, v114
	v_lshrrev_b32_e32 v113, 31, v87
	v_ashrrev_i32_e32 v87, 18, v87
	v_cndmask_b32_e32 v114, v51, v49, vcc_lo
	v_cndmask_b32_e32 v49, v49, v51, vcc_lo
	v_cmp_lt_i16_e32 vcc_lo, v101, v83
	v_add_nc_u16 v51, v112, v103
	v_add_nc_u16 v83, v87, v113
	v_mul_i32_i24_sdwa v101, sext(v52), v48 dst_sel:DWORD dst_unused:UNUSED_PAD src0_sel:WORD_0 src1_sel:DWORD
	v_mul_i32_i24_sdwa v103, sext(v69), v48 dst_sel:DWORD dst_unused:UNUSED_PAD src0_sel:WORD_0 src1_sel:DWORD
	v_cndmask_b32_e32 v87, v70, v116, vcc_lo
	v_cndmask_b32_e32 v70, v116, v70, vcc_lo
	v_cmp_lt_i16_e32 vcc_lo, v51, v83
	v_lshrrev_b32_e32 v83, 31, v101
	v_ashrrev_i32_e32 v101, 18, v101
	v_lshrrev_b32_e32 v112, 31, v103
	v_ashrrev_i32_e32 v103, 18, v103
	v_cndmask_b32_e32 v51, v66, v96, vcc_lo
	v_mul_i32_i24_sdwa v113, sext(v84), v48 dst_sel:DWORD dst_unused:UNUSED_PAD src0_sel:WORD_0 src1_sel:DWORD
	v_cndmask_b32_e32 v66, v96, v66, vcc_lo
	v_mul_i32_i24_sdwa v96, sext(v119), v48 dst_sel:DWORD dst_unused:UNUSED_PAD src0_sel:WORD_0 src1_sel:DWORD
	v_add_nc_u16 v83, v101, v83
	v_add_nc_u16 v101, v103, v112
	v_lshrrev_b32_e32 v103, 31, v113
	v_ashrrev_i32_e32 v112, 18, v113
	v_lshrrev_b32_e32 v113, 31, v96
	v_ashrrev_i32_e32 v96, 18, v96
	v_mul_i32_i24_sdwa v116, sext(v80), v48 dst_sel:DWORD dst_unused:UNUSED_PAD src0_sel:WORD_0 src1_sel:DWORD
	v_cmp_lt_i16_e32 vcc_lo, v83, v101
	v_mul_i32_i24_sdwa v83, sext(v97), v48 dst_sel:DWORD dst_unused:UNUSED_PAD src0_sel:WORD_0 src1_sel:DWORD
	v_add_nc_u16 v101, v112, v103
	v_add_nc_u16 v96, v96, v113
	v_lshrrev_b32_e32 v103, 31, v116
	v_ashrrev_i32_e32 v112, 18, v116
	v_lshrrev_b32_e32 v113, 31, v83
	v_ashrrev_i32_e32 v83, 18, v83
	v_cndmask_b32_e32 v116, v52, v69, vcc_lo
	v_cndmask_b32_e32 v52, v69, v52, vcc_lo
	v_cmp_lt_i16_e32 vcc_lo, v101, v96
	v_add_nc_u16 v69, v112, v103
	v_add_nc_u16 v83, v83, v113
	v_mul_i32_i24_sdwa v101, sext(v53), v48 dst_sel:DWORD dst_unused:UNUSED_PAD src0_sel:WORD_0 src1_sel:DWORD
	v_mul_i32_i24_sdwa v103, sext(v54), v48 dst_sel:DWORD dst_unused:UNUSED_PAD src0_sel:WORD_0 src1_sel:DWORD
	v_cndmask_b32_e32 v96, v84, v119, vcc_lo
	v_cndmask_b32_e32 v84, v119, v84, vcc_lo
	v_cmp_lt_i16_e32 vcc_lo, v69, v83
	v_lshrrev_b32_e32 v83, 31, v101
	v_ashrrev_i32_e32 v101, 18, v101
	v_lshrrev_b32_e32 v112, 31, v103
	v_ashrrev_i32_e32 v103, 18, v103
	v_cndmask_b32_e32 v69, v80, v97, vcc_lo
	v_mul_i32_i24_sdwa v113, sext(v98), v48 dst_sel:DWORD dst_unused:UNUSED_PAD src0_sel:WORD_0 src1_sel:DWORD
	v_cndmask_b32_e32 v80, v97, v80, vcc_lo
	v_mul_i32_i24_sdwa v97, sext(v118), v48 dst_sel:DWORD dst_unused:UNUSED_PAD src0_sel:WORD_0 src1_sel:DWORD
	v_add_nc_u16 v83, v101, v83
	v_add_nc_u16 v101, v103, v112
	v_lshrrev_b32_e32 v103, 31, v113
	v_ashrrev_i32_e32 v112, 18, v113
	v_lshrrev_b32_e32 v113, 31, v97
	v_ashrrev_i32_e32 v97, 18, v97
	v_mul_i32_i24_sdwa v119, sext(v81), v48 dst_sel:DWORD dst_unused:UNUSED_PAD src0_sel:WORD_0 src1_sel:DWORD
	v_cmp_lt_i16_e32 vcc_lo, v83, v101
	v_mul_i32_i24_sdwa v83, sext(v100), v48 dst_sel:DWORD dst_unused:UNUSED_PAD src0_sel:WORD_0 src1_sel:DWORD
	v_add_nc_u16 v101, v112, v103
	v_add_nc_u16 v97, v97, v113
	v_lshrrev_b32_e32 v103, 31, v119
	;; [unrolled: 33-line block ×4, first 2 shown]
	v_ashrrev_i32_e32 v112, 18, v117
	v_lshrrev_b32_e32 v113, 31, v83
	v_ashrrev_i32_e32 v83, 18, v83
	v_cndmask_b32_e32 v117, v115, v64, vcc_lo
	v_cndmask_b32_e32 v64, v64, v115, vcc_lo
	v_cmp_lt_i16_e32 vcc_lo, v101, v86
	v_add_nc_u16 v86, v112, v103
	v_add_nc_u16 v83, v83, v113
	v_mul_i32_i24_sdwa v103, sext(v50), v48 dst_sel:DWORD dst_unused:UNUSED_PAD src0_sel:WORD_0 src1_sel:DWORD
	v_mul_i32_i24_sdwa v113, sext(v70), v48 dst_sel:DWORD dst_unused:UNUSED_PAD src0_sel:WORD_0 src1_sel:DWORD
	v_cndmask_b32_e32 v101, v65, v102, vcc_lo
	v_cndmask_b32_e32 v65, v102, v65, vcc_lo
	v_mul_i32_i24_sdwa v102, sext(v68), v48 dst_sel:DWORD dst_unused:UNUSED_PAD src0_sel:WORD_0 src1_sel:DWORD
	v_cmp_lt_i16_e32 vcc_lo, v86, v83
	v_lshrrev_b32_e32 v86, 31, v103
	v_ashrrev_i32_e32 v103, 18, v103
	v_mul_i32_i24_sdwa v115, sext(v66), v48 dst_sel:DWORD dst_unused:UNUSED_PAD src0_sel:WORD_0 src1_sel:DWORD
	v_lshrrev_b32_e32 v112, 31, v102
	v_ashrrev_i32_e32 v102, 18, v102
	v_cndmask_b32_e32 v83, v67, v85, vcc_lo
	v_cndmask_b32_e32 v67, v85, v67, vcc_lo
	v_mul_i32_i24_sdwa v85, sext(v114), v48 dst_sel:DWORD dst_unused:UNUSED_PAD src0_sel:WORD_0 src1_sel:DWORD
	v_add_nc_u16 v86, v103, v86
	v_add_nc_u16 v102, v102, v112
	v_lshrrev_b32_e32 v103, 31, v113
	v_ashrrev_i32_e32 v112, 18, v113
	v_lshrrev_b32_e32 v113, 31, v85
	v_ashrrev_i32_e32 v85, 18, v85
	v_cmp_lt_i16_e32 vcc_lo, v86, v102
	v_mul_i32_i24_sdwa v86, sext(v87), v48 dst_sel:DWORD dst_unused:UNUSED_PAD src0_sel:WORD_0 src1_sel:DWORD
	v_add_nc_u16 v102, v112, v103
	v_lshrrev_b32_e32 v103, 31, v115
	v_add_nc_u16 v85, v85, v113
	v_ashrrev_i32_e32 v112, 18, v115
	v_lshrrev_b32_e32 v113, 31, v86
	v_ashrrev_i32_e32 v86, 18, v86
	v_cndmask_b32_e32 v115, v68, v50, vcc_lo
	v_cndmask_b32_e32 v50, v50, v68, vcc_lo
	v_cmp_lt_i16_e32 vcc_lo, v102, v85
	v_add_nc_u16 v68, v112, v103
	v_add_nc_u16 v85, v86, v113
	v_mul_i32_i24_sdwa v102, sext(v52), v48 dst_sel:DWORD dst_unused:UNUSED_PAD src0_sel:WORD_0 src1_sel:DWORD
	v_mul_i32_i24_sdwa v103, sext(v51), v48 dst_sel:DWORD dst_unused:UNUSED_PAD src0_sel:WORD_0 src1_sel:DWORD
	v_cndmask_b32_e32 v86, v70, v114, vcc_lo
	v_cndmask_b32_e32 v70, v114, v70, vcc_lo
	v_cmp_lt_i16_e32 vcc_lo, v68, v85
	v_lshrrev_b32_e32 v85, 31, v102
	v_ashrrev_i32_e32 v102, 18, v102
	v_lshrrev_b32_e32 v112, 31, v103
	v_ashrrev_i32_e32 v103, 18, v103
	v_cndmask_b32_e32 v68, v66, v87, vcc_lo
	v_mul_i32_i24_sdwa v113, sext(v84), v48 dst_sel:DWORD dst_unused:UNUSED_PAD src0_sel:WORD_0 src1_sel:DWORD
	v_cndmask_b32_e32 v66, v87, v66, vcc_lo
	v_mul_i32_i24_sdwa v87, sext(v116), v48 dst_sel:DWORD dst_unused:UNUSED_PAD src0_sel:WORD_0 src1_sel:DWORD
	v_add_nc_u16 v85, v102, v85
	v_add_nc_u16 v102, v103, v112
	v_lshrrev_b32_e32 v103, 31, v113
	v_ashrrev_i32_e32 v112, 18, v113
	v_lshrrev_b32_e32 v113, 31, v87
	v_ashrrev_i32_e32 v87, 18, v87
	v_mul_i32_i24_sdwa v114, sext(v80), v48 dst_sel:DWORD dst_unused:UNUSED_PAD src0_sel:WORD_0 src1_sel:DWORD
	v_cmp_lt_i16_e32 vcc_lo, v85, v102
	v_mul_i32_i24_sdwa v85, sext(v96), v48 dst_sel:DWORD dst_unused:UNUSED_PAD src0_sel:WORD_0 src1_sel:DWORD
	v_add_nc_u16 v102, v112, v103
	v_add_nc_u16 v87, v87, v113
	v_lshrrev_b32_e32 v103, 31, v114
	v_ashrrev_i32_e32 v112, 18, v114
	v_lshrrev_b32_e32 v113, 31, v85
	v_ashrrev_i32_e32 v85, 18, v85
	v_cndmask_b32_e32 v114, v52, v51, vcc_lo
	v_cndmask_b32_e32 v51, v51, v52, vcc_lo
	v_cmp_lt_i16_e32 vcc_lo, v102, v87
	v_add_nc_u16 v52, v112, v103
	v_add_nc_u16 v85, v85, v113
	v_mul_i32_i24_sdwa v102, sext(v53), v48 dst_sel:DWORD dst_unused:UNUSED_PAD src0_sel:WORD_0 src1_sel:DWORD
	v_mul_i32_i24_sdwa v103, sext(v69), v48 dst_sel:DWORD dst_unused:UNUSED_PAD src0_sel:WORD_0 src1_sel:DWORD
	v_cndmask_b32_e32 v87, v84, v116, vcc_lo
	v_cndmask_b32_e32 v84, v116, v84, vcc_lo
	v_cmp_lt_i16_e32 vcc_lo, v52, v85
	v_lshrrev_b32_e32 v85, 31, v102
	v_ashrrev_i32_e32 v102, 18, v102
	v_lshrrev_b32_e32 v112, 31, v103
	v_ashrrev_i32_e32 v103, 18, v103
	v_cndmask_b32_e32 v52, v80, v96, vcc_lo
	v_mul_i32_i24_sdwa v113, sext(v98), v48 dst_sel:DWORD dst_unused:UNUSED_PAD src0_sel:WORD_0 src1_sel:DWORD
	v_cndmask_b32_e32 v80, v96, v80, vcc_lo
	v_mul_i32_i24_sdwa v96, sext(v119), v48 dst_sel:DWORD dst_unused:UNUSED_PAD src0_sel:WORD_0 src1_sel:DWORD
	v_add_nc_u16 v85, v102, v85
	v_add_nc_u16 v102, v103, v112
	v_lshrrev_b32_e32 v103, 31, v113
	v_ashrrev_i32_e32 v112, 18, v113
	v_lshrrev_b32_e32 v113, 31, v96
	v_ashrrev_i32_e32 v96, 18, v96
	v_mul_i32_i24_sdwa v116, sext(v81), v48 dst_sel:DWORD dst_unused:UNUSED_PAD src0_sel:WORD_0 src1_sel:DWORD
	v_cmp_lt_i16_e32 vcc_lo, v85, v102
	v_mul_i32_i24_sdwa v85, sext(v97), v48 dst_sel:DWORD dst_unused:UNUSED_PAD src0_sel:WORD_0 src1_sel:DWORD
	v_add_nc_u16 v102, v112, v103
	v_add_nc_u16 v96, v96, v113
	v_lshrrev_b32_e32 v103, 31, v116
	;; [unrolled: 33-line block ×5, first 2 shown]
	v_ashrrev_i32_e32 v112, 18, v117
	v_lshrrev_b32_e32 v113, 31, v85
	v_ashrrev_i32_e32 v85, 18, v85
	v_cndmask_b32_e32 v117, v67, v115, vcc_lo
	v_cndmask_b32_e32 v67, v115, v67, vcc_lo
	v_cmp_lt_i16_e32 vcc_lo, v102, v83
	v_add_nc_u16 v83, v112, v103
	v_add_nc_u16 v85, v85, v113
	v_mul_i32_i24_sdwa v103, sext(v51), v48 dst_sel:DWORD dst_unused:UNUSED_PAD src0_sel:WORD_0 src1_sel:DWORD
	v_mul_i32_i24_sdwa v113, sext(v84), v48 dst_sel:DWORD dst_unused:UNUSED_PAD src0_sel:WORD_0 src1_sel:DWORD
	v_cndmask_b32_e32 v102, v70, v49, vcc_lo
	v_cndmask_b32_e32 v49, v49, v70, vcc_lo
	v_mul_i32_i24_sdwa v70, sext(v68), v48 dst_sel:DWORD dst_unused:UNUSED_PAD src0_sel:WORD_0 src1_sel:DWORD
	v_cmp_lt_i16_e32 vcc_lo, v83, v85
	v_lshrrev_b32_e32 v85, 31, v103
	v_ashrrev_i32_e32 v103, 18, v103
	v_mul_i32_i24_sdwa v115, sext(v80), v48 dst_sel:DWORD dst_unused:UNUSED_PAD src0_sel:WORD_0 src1_sel:DWORD
	v_lshrrev_b32_e32 v112, 31, v70
	v_ashrrev_i32_e32 v70, 18, v70
	v_cndmask_b32_e32 v83, v66, v86, vcc_lo
	v_cndmask_b32_e32 v66, v86, v66, vcc_lo
	v_mul_i32_i24_sdwa v86, sext(v114), v48 dst_sel:DWORD dst_unused:UNUSED_PAD src0_sel:WORD_0 src1_sel:DWORD
	v_add_nc_u16 v85, v103, v85
	v_add_nc_u16 v70, v70, v112
	v_lshrrev_b32_e32 v103, 31, v113
	v_ashrrev_i32_e32 v112, 18, v113
	v_lshrrev_b32_e32 v113, 31, v86
	v_ashrrev_i32_e32 v86, 18, v86
	v_cmp_lt_i16_e32 vcc_lo, v85, v70
	v_mul_i32_i24_sdwa v70, sext(v87), v48 dst_sel:DWORD dst_unused:UNUSED_PAD src0_sel:WORD_0 src1_sel:DWORD
	v_add_nc_u16 v85, v112, v103
	v_lshrrev_b32_e32 v103, 31, v115
	v_add_nc_u16 v86, v86, v113
	v_ashrrev_i32_e32 v112, 18, v115
	v_lshrrev_b32_e32 v113, 31, v70
	v_ashrrev_i32_e32 v70, 18, v70
	v_cndmask_b32_e32 v115, v51, v68, vcc_lo
	v_cndmask_b32_e32 v51, v68, v51, vcc_lo
	v_cmp_lt_i16_e32 vcc_lo, v85, v86
	v_add_nc_u16 v68, v112, v103
	v_add_nc_u16 v70, v70, v113
	v_mul_i32_i24_sdwa v86, sext(v53), v48 dst_sel:DWORD dst_unused:UNUSED_PAD src0_sel:WORD_0 src1_sel:DWORD
	v_mul_i32_i24_sdwa v103, sext(v52), v48 dst_sel:DWORD dst_unused:UNUSED_PAD src0_sel:WORD_0 src1_sel:DWORD
	v_cndmask_b32_e32 v85, v84, v114, vcc_lo
	v_cndmask_b32_e32 v84, v114, v84, vcc_lo
	v_cmp_lt_i16_e32 vcc_lo, v68, v70
	v_lshrrev_b32_e32 v70, 31, v86
	v_ashrrev_i32_e32 v86, 18, v86
	v_lshrrev_b32_e32 v112, 31, v103
	v_ashrrev_i32_e32 v103, 18, v103
	v_cndmask_b32_e32 v68, v80, v87, vcc_lo
	v_mul_i32_i24_sdwa v113, sext(v98), v48 dst_sel:DWORD dst_unused:UNUSED_PAD src0_sel:WORD_0 src1_sel:DWORD
	v_cndmask_b32_e32 v80, v87, v80, vcc_lo
	v_mul_i32_i24_sdwa v87, sext(v116), v48 dst_sel:DWORD dst_unused:UNUSED_PAD src0_sel:WORD_0 src1_sel:DWORD
	v_add_nc_u16 v70, v86, v70
	v_add_nc_u16 v86, v103, v112
	v_lshrrev_b32_e32 v103, 31, v113
	v_ashrrev_i32_e32 v112, 18, v113
	v_lshrrev_b32_e32 v113, 31, v87
	v_ashrrev_i32_e32 v87, 18, v87
	v_mul_i32_i24_sdwa v114, sext(v81), v48 dst_sel:DWORD dst_unused:UNUSED_PAD src0_sel:WORD_0 src1_sel:DWORD
	v_cmp_lt_i16_e32 vcc_lo, v70, v86
	v_mul_i32_i24_sdwa v70, sext(v96), v48 dst_sel:DWORD dst_unused:UNUSED_PAD src0_sel:WORD_0 src1_sel:DWORD
	v_add_nc_u16 v86, v112, v103
	v_add_nc_u16 v87, v87, v113
	v_lshrrev_b32_e32 v103, 31, v114
	v_ashrrev_i32_e32 v112, 18, v114
	v_lshrrev_b32_e32 v113, 31, v70
	v_ashrrev_i32_e32 v70, 18, v70
	v_cndmask_b32_e32 v114, v53, v52, vcc_lo
	v_cndmask_b32_e32 v52, v52, v53, vcc_lo
	v_cmp_lt_i16_e32 vcc_lo, v86, v87
	v_add_nc_u16 v53, v112, v103
	v_add_nc_u16 v70, v70, v113
	v_mul_i32_i24_sdwa v87, sext(v54), v48 dst_sel:DWORD dst_unused:UNUSED_PAD src0_sel:WORD_0 src1_sel:DWORD
	v_mul_i32_i24_sdwa v103, sext(v69), v48 dst_sel:DWORD dst_unused:UNUSED_PAD src0_sel:WORD_0 src1_sel:DWORD
	v_cndmask_b32_e32 v86, v98, v116, vcc_lo
	v_cndmask_b32_e32 v98, v116, v98, vcc_lo
	v_cmp_lt_i16_e32 vcc_lo, v53, v70
	v_lshrrev_b32_e32 v70, 31, v87
	v_ashrrev_i32_e32 v87, 18, v87
	v_lshrrev_b32_e32 v112, 31, v103
	v_ashrrev_i32_e32 v103, 18, v103
	v_cndmask_b32_e32 v53, v81, v96, vcc_lo
	v_mul_i32_i24_sdwa v113, sext(v99), v48 dst_sel:DWORD dst_unused:UNUSED_PAD src0_sel:WORD_0 src1_sel:DWORD
	v_cndmask_b32_e32 v81, v96, v81, vcc_lo
	v_mul_i32_i24_sdwa v96, sext(v119), v48 dst_sel:DWORD dst_unused:UNUSED_PAD src0_sel:WORD_0 src1_sel:DWORD
	v_add_nc_u16 v70, v87, v70
	v_add_nc_u16 v87, v103, v112
	v_lshrrev_b32_e32 v103, 31, v113
	v_ashrrev_i32_e32 v112, 18, v113
	v_lshrrev_b32_e32 v113, 31, v96
	v_ashrrev_i32_e32 v96, 18, v96
	v_mul_i32_i24_sdwa v116, sext(v71), v48 dst_sel:DWORD dst_unused:UNUSED_PAD src0_sel:WORD_0 src1_sel:DWORD
	v_cmp_lt_i16_e32 vcc_lo, v70, v87
	v_mul_i32_i24_sdwa v70, sext(v97), v48 dst_sel:DWORD dst_unused:UNUSED_PAD src0_sel:WORD_0 src1_sel:DWORD
	v_add_nc_u16 v87, v112, v103
	v_add_nc_u16 v96, v96, v113
	v_lshrrev_b32_e32 v103, 31, v116
	;; [unrolled: 33-line block ×4, first 2 shown]
	v_ashrrev_i32_e32 v112, 18, v118
	v_lshrrev_b32_e32 v113, 31, v70
	v_ashrrev_i32_e32 v70, 18, v70
	v_cndmask_b32_e32 v118, v65, v117, vcc_lo
	v_cndmask_b32_e32 v65, v117, v65, vcc_lo
	v_cmp_lt_i16_e32 vcc_lo, v97, v101
	v_add_nc_u16 v97, v112, v103
	v_add_nc_u16 v70, v70, v113
	v_mul_i32_i24_sdwa v103, sext(v51), v48 dst_sel:DWORD dst_unused:UNUSED_PAD src0_sel:WORD_0 src1_sel:DWORD
	v_mul_i32_i24_sdwa v113, sext(v84), v48 dst_sel:DWORD dst_unused:UNUSED_PAD src0_sel:WORD_0 src1_sel:DWORD
	v_cndmask_b32_e32 v101, v67, v50, vcc_lo
	v_cndmask_b32_e32 v50, v50, v67, vcc_lo
	v_mul_i32_i24_sdwa v67, sext(v83), v48 dst_sel:DWORD dst_unused:UNUSED_PAD src0_sel:WORD_0 src1_sel:DWORD
	v_cmp_lt_i16_e32 vcc_lo, v97, v70
	v_lshrrev_b32_e32 v97, 31, v103
	v_ashrrev_i32_e32 v103, 18, v103
	v_mul_i32_i24_sdwa v117, sext(v80), v48 dst_sel:DWORD dst_unused:UNUSED_PAD src0_sel:WORD_0 src1_sel:DWORD
	v_lshrrev_b32_e32 v112, 31, v67
	v_ashrrev_i32_e32 v67, 18, v67
	v_cndmask_b32_e32 v70, v66, v102, vcc_lo
	v_cndmask_b32_e32 v66, v102, v66, vcc_lo
	v_mul_i32_i24_sdwa v102, sext(v115), v48 dst_sel:DWORD dst_unused:UNUSED_PAD src0_sel:WORD_0 src1_sel:DWORD
	v_add_nc_u16 v97, v103, v97
	v_add_nc_u16 v67, v67, v112
	v_lshrrev_b32_e32 v103, 31, v113
	v_ashrrev_i32_e32 v112, 18, v113
	v_lshrrev_b32_e32 v113, 31, v102
	v_ashrrev_i32_e32 v102, 18, v102
	v_cmp_lt_i16_e32 vcc_lo, v97, v67
	v_mul_i32_i24_sdwa v67, sext(v85), v48 dst_sel:DWORD dst_unused:UNUSED_PAD src0_sel:WORD_0 src1_sel:DWORD
	v_add_nc_u16 v97, v112, v103
	v_lshrrev_b32_e32 v103, 31, v117
	v_add_nc_u16 v102, v102, v113
	v_ashrrev_i32_e32 v112, 18, v117
	v_lshrrev_b32_e32 v113, 31, v67
	v_ashrrev_i32_e32 v67, 18, v67
	v_cndmask_b32_e32 v117, v51, v83, vcc_lo
	v_cndmask_b32_e32 v51, v83, v51, vcc_lo
	v_cmp_lt_i16_e32 vcc_lo, v97, v102
	v_add_nc_u16 v83, v112, v103
	v_add_nc_u16 v67, v67, v113
	v_mul_i32_i24_sdwa v102, sext(v52), v48 dst_sel:DWORD dst_unused:UNUSED_PAD src0_sel:WORD_0 src1_sel:DWORD
	v_mul_i32_i24_sdwa v103, sext(v68), v48 dst_sel:DWORD dst_unused:UNUSED_PAD src0_sel:WORD_0 src1_sel:DWORD
	v_cndmask_b32_e32 v97, v84, v115, vcc_lo
	v_cndmask_b32_e32 v84, v115, v84, vcc_lo
	v_cmp_lt_i16_e32 vcc_lo, v83, v67
	v_lshrrev_b32_e32 v83, 31, v102
	v_ashrrev_i32_e32 v102, 18, v102
	v_lshrrev_b32_e32 v112, 31, v103
	v_ashrrev_i32_e32 v103, 18, v103
	v_cndmask_b32_e32 v67, v80, v85, vcc_lo
	v_mul_i32_i24_sdwa v113, sext(v98), v48 dst_sel:DWORD dst_unused:UNUSED_PAD src0_sel:WORD_0 src1_sel:DWORD
	v_cndmask_b32_e32 v80, v85, v80, vcc_lo
	v_mul_i32_i24_sdwa v85, sext(v114), v48 dst_sel:DWORD dst_unused:UNUSED_PAD src0_sel:WORD_0 src1_sel:DWORD
	v_add_nc_u16 v83, v102, v83
	v_add_nc_u16 v102, v103, v112
	v_lshrrev_b32_e32 v103, 31, v113
	v_ashrrev_i32_e32 v112, 18, v113
	v_lshrrev_b32_e32 v113, 31, v85
	v_ashrrev_i32_e32 v85, 18, v85
	v_mul_i32_i24_sdwa v115, sext(v81), v48 dst_sel:DWORD dst_unused:UNUSED_PAD src0_sel:WORD_0 src1_sel:DWORD
	v_cmp_lt_i16_e32 vcc_lo, v83, v102
	v_mul_i32_i24_sdwa v83, sext(v86), v48 dst_sel:DWORD dst_unused:UNUSED_PAD src0_sel:WORD_0 src1_sel:DWORD
	v_add_nc_u16 v102, v112, v103
	v_add_nc_u16 v85, v85, v113
	v_lshrrev_b32_e32 v103, 31, v115
	v_ashrrev_i32_e32 v112, 18, v115
	v_lshrrev_b32_e32 v113, 31, v83
	v_ashrrev_i32_e32 v83, 18, v83
	v_cndmask_b32_e32 v115, v52, v68, vcc_lo
	v_cndmask_b32_e32 v52, v68, v52, vcc_lo
	v_cmp_lt_i16_e32 vcc_lo, v102, v85
	v_add_nc_u16 v68, v112, v103
	v_add_nc_u16 v83, v83, v113
	v_mul_i32_i24_sdwa v102, sext(v54), v48 dst_sel:DWORD dst_unused:UNUSED_PAD src0_sel:WORD_0 src1_sel:DWORD
	v_mul_i32_i24_sdwa v103, sext(v53), v48 dst_sel:DWORD dst_unused:UNUSED_PAD src0_sel:WORD_0 src1_sel:DWORD
	v_cndmask_b32_e32 v85, v98, v114, vcc_lo
	v_cndmask_b32_e32 v98, v114, v98, vcc_lo
	v_cmp_lt_i16_e32 vcc_lo, v68, v83
	v_lshrrev_b32_e32 v83, 31, v102
	v_ashrrev_i32_e32 v102, 18, v102
	v_lshrrev_b32_e32 v112, 31, v103
	v_ashrrev_i32_e32 v103, 18, v103
	v_cndmask_b32_e32 v68, v81, v86, vcc_lo
	v_mul_i32_i24_sdwa v113, sext(v99), v48 dst_sel:DWORD dst_unused:UNUSED_PAD src0_sel:WORD_0 src1_sel:DWORD
	v_cndmask_b32_e32 v81, v86, v81, vcc_lo
	v_mul_i32_i24_sdwa v86, sext(v116), v48 dst_sel:DWORD dst_unused:UNUSED_PAD src0_sel:WORD_0 src1_sel:DWORD
	v_add_nc_u16 v83, v102, v83
	v_add_nc_u16 v102, v103, v112
	v_lshrrev_b32_e32 v103, 31, v113
	v_ashrrev_i32_e32 v112, 18, v113
	v_lshrrev_b32_e32 v113, 31, v86
	v_ashrrev_i32_e32 v86, 18, v86
	v_mul_i32_i24_sdwa v114, sext(v71), v48 dst_sel:DWORD dst_unused:UNUSED_PAD src0_sel:WORD_0 src1_sel:DWORD
	v_cmp_lt_i16_e32 vcc_lo, v83, v102
	v_mul_i32_i24_sdwa v83, sext(v87), v48 dst_sel:DWORD dst_unused:UNUSED_PAD src0_sel:WORD_0 src1_sel:DWORD
	v_add_nc_u16 v102, v112, v103
	v_add_nc_u16 v86, v86, v113
	v_lshrrev_b32_e32 v103, 31, v114
	;; [unrolled: 33-line block ×4, first 2 shown]
	v_ashrrev_i32_e32 v112, 18, v119
	v_lshrrev_b32_e32 v113, 31, v83
	v_ashrrev_i32_e32 v83, 18, v83
	v_cndmask_b32_e32 v119, v82, v118, vcc_lo
	v_cndmask_b32_e32 v82, v118, v82, vcc_lo
	v_cmp_lt_i16_e32 vcc_lo, v102, v96
	v_add_nc_u16 v96, v112, v103
	v_add_nc_u16 v83, v83, v113
	v_mul_i32_i24_sdwa v103, sext(v51), v48 dst_sel:DWORD dst_unused:UNUSED_PAD src0_sel:WORD_0 src1_sel:DWORD
	v_mul_i32_i24_sdwa v113, sext(v84), v48 dst_sel:DWORD dst_unused:UNUSED_PAD src0_sel:WORD_0 src1_sel:DWORD
	v_cndmask_b32_e32 v102, v65, v101, vcc_lo
	v_cndmask_b32_e32 v65, v101, v65, vcc_lo
	v_mul_i32_i24_sdwa v101, sext(v70), v48 dst_sel:DWORD dst_unused:UNUSED_PAD src0_sel:WORD_0 src1_sel:DWORD
	v_cmp_lt_i16_e32 vcc_lo, v96, v83
	v_lshrrev_b32_e32 v96, 31, v103
	v_ashrrev_i32_e32 v103, 18, v103
	v_mul_i32_i24_sdwa v118, sext(v80), v48 dst_sel:DWORD dst_unused:UNUSED_PAD src0_sel:WORD_0 src1_sel:DWORD
	v_lshrrev_b32_e32 v112, 31, v101
	v_ashrrev_i32_e32 v101, 18, v101
	v_cndmask_b32_e32 v83, v66, v49, vcc_lo
	v_cndmask_b32_e32 v49, v49, v66, vcc_lo
	v_mul_i32_i24_sdwa v66, sext(v117), v48 dst_sel:DWORD dst_unused:UNUSED_PAD src0_sel:WORD_0 src1_sel:DWORD
	v_add_nc_u16 v96, v103, v96
	v_add_nc_u16 v101, v101, v112
	v_lshrrev_b32_e32 v103, 31, v113
	v_ashrrev_i32_e32 v112, 18, v113
	v_lshrrev_b32_e32 v113, 31, v66
	v_ashrrev_i32_e32 v66, 18, v66
	v_cmp_lt_i16_e32 vcc_lo, v96, v101
	v_mul_i32_i24_sdwa v96, sext(v97), v48 dst_sel:DWORD dst_unused:UNUSED_PAD src0_sel:WORD_0 src1_sel:DWORD
	v_add_nc_u16 v101, v112, v103
	v_lshrrev_b32_e32 v103, 31, v118
	v_add_nc_u16 v66, v66, v113
	v_ashrrev_i32_e32 v112, 18, v118
	v_lshrrev_b32_e32 v113, 31, v96
	v_ashrrev_i32_e32 v96, 18, v96
	v_cndmask_b32_e32 v118, v51, v70, vcc_lo
	v_cndmask_b32_e32 v51, v70, v51, vcc_lo
	v_cmp_lt_i16_e32 vcc_lo, v101, v66
	v_add_nc_u16 v66, v112, v103
	v_add_nc_u16 v70, v96, v113
	v_mul_i32_i24_sdwa v101, sext(v52), v48 dst_sel:DWORD dst_unused:UNUSED_PAD src0_sel:WORD_0 src1_sel:DWORD
	v_mul_i32_i24_sdwa v103, sext(v67), v48 dst_sel:DWORD dst_unused:UNUSED_PAD src0_sel:WORD_0 src1_sel:DWORD
	v_cndmask_b32_e32 v96, v84, v117, vcc_lo
	v_cndmask_b32_e32 v84, v117, v84, vcc_lo
	v_cmp_lt_i16_e32 vcc_lo, v66, v70
	v_lshrrev_b32_e32 v70, 31, v101
	v_ashrrev_i32_e32 v101, 18, v101
	v_lshrrev_b32_e32 v112, 31, v103
	v_ashrrev_i32_e32 v103, 18, v103
	v_cndmask_b32_e32 v66, v80, v97, vcc_lo
	v_mul_i32_i24_sdwa v113, sext(v98), v48 dst_sel:DWORD dst_unused:UNUSED_PAD src0_sel:WORD_0 src1_sel:DWORD
	v_cndmask_b32_e32 v80, v97, v80, vcc_lo
	v_mul_i32_i24_sdwa v97, sext(v115), v48 dst_sel:DWORD dst_unused:UNUSED_PAD src0_sel:WORD_0 src1_sel:DWORD
	v_add_nc_u16 v70, v101, v70
	v_add_nc_u16 v101, v103, v112
	v_lshrrev_b32_e32 v103, 31, v113
	v_ashrrev_i32_e32 v112, 18, v113
	v_lshrrev_b32_e32 v113, 31, v97
	v_ashrrev_i32_e32 v97, 18, v97
	v_mul_i32_i24_sdwa v117, sext(v81), v48 dst_sel:DWORD dst_unused:UNUSED_PAD src0_sel:WORD_0 src1_sel:DWORD
	v_cmp_lt_i16_e32 vcc_lo, v70, v101
	v_mul_i32_i24_sdwa v70, sext(v85), v48 dst_sel:DWORD dst_unused:UNUSED_PAD src0_sel:WORD_0 src1_sel:DWORD
	v_add_nc_u16 v101, v112, v103
	v_add_nc_u16 v97, v97, v113
	v_lshrrev_b32_e32 v103, 31, v117
	v_ashrrev_i32_e32 v112, 18, v117
	v_lshrrev_b32_e32 v113, 31, v70
	v_ashrrev_i32_e32 v70, 18, v70
	v_cndmask_b32_e32 v117, v52, v67, vcc_lo
	v_cndmask_b32_e32 v52, v67, v52, vcc_lo
	v_cmp_lt_i16_e32 vcc_lo, v101, v97
	v_add_nc_u16 v67, v112, v103
	v_add_nc_u16 v70, v70, v113
	v_mul_i32_i24_sdwa v101, sext(v53), v48 dst_sel:DWORD dst_unused:UNUSED_PAD src0_sel:WORD_0 src1_sel:DWORD
	v_mul_i32_i24_sdwa v103, sext(v68), v48 dst_sel:DWORD dst_unused:UNUSED_PAD src0_sel:WORD_0 src1_sel:DWORD
	v_cndmask_b32_e32 v97, v98, v115, vcc_lo
	v_cndmask_b32_e32 v98, v115, v98, vcc_lo
	v_cmp_lt_i16_e32 vcc_lo, v67, v70
	v_lshrrev_b32_e32 v70, 31, v101
	v_ashrrev_i32_e32 v101, 18, v101
	v_lshrrev_b32_e32 v112, 31, v103
	v_ashrrev_i32_e32 v103, 18, v103
	v_cndmask_b32_e32 v67, v81, v85, vcc_lo
	v_mul_i32_i24_sdwa v113, sext(v99), v48 dst_sel:DWORD dst_unused:UNUSED_PAD src0_sel:WORD_0 src1_sel:DWORD
	v_cndmask_b32_e32 v81, v85, v81, vcc_lo
	v_mul_i32_i24_sdwa v85, sext(v114), v48 dst_sel:DWORD dst_unused:UNUSED_PAD src0_sel:WORD_0 src1_sel:DWORD
	v_add_nc_u16 v70, v101, v70
	v_add_nc_u16 v101, v103, v112
	v_lshrrev_b32_e32 v103, 31, v113
	v_ashrrev_i32_e32 v112, 18, v113
	v_lshrrev_b32_e32 v113, 31, v85
	v_ashrrev_i32_e32 v85, 18, v85
	v_mul_i32_i24_sdwa v115, sext(v71), v48 dst_sel:DWORD dst_unused:UNUSED_PAD src0_sel:WORD_0 src1_sel:DWORD
	v_cmp_lt_i16_e32 vcc_lo, v70, v101
	v_mul_i32_i24_sdwa v70, sext(v86), v48 dst_sel:DWORD dst_unused:UNUSED_PAD src0_sel:WORD_0 src1_sel:DWORD
	v_add_nc_u16 v101, v112, v103
	v_add_nc_u16 v85, v85, v113
	v_lshrrev_b32_e32 v103, 31, v115
	;; [unrolled: 33-line block ×4, first 2 shown]
	v_ashrrev_i32_e32 v112, 18, v116
	v_lshrrev_b32_e32 v113, 31, v70
	v_ashrrev_i32_e32 v70, 18, v70
	v_cndmask_b32_e32 v116, v64, v119, vcc_lo
	v_cndmask_b32_e32 v64, v119, v64, vcc_lo
	v_cmp_lt_i16_e32 vcc_lo, v101, v87
	v_add_nc_u16 v87, v112, v103
	v_add_nc_u16 v70, v70, v113
	v_mul_i32_i24_sdwa v103, sext(v51), v48 dst_sel:DWORD dst_unused:UNUSED_PAD src0_sel:WORD_0 src1_sel:DWORD
	v_mul_i32_i24_sdwa v113, sext(v84), v48 dst_sel:DWORD dst_unused:UNUSED_PAD src0_sel:WORD_0 src1_sel:DWORD
	v_cndmask_b32_e32 v101, v82, v102, vcc_lo
	v_cndmask_b32_e32 v82, v102, v82, vcc_lo
	v_mul_i32_i24_sdwa v102, sext(v83), v48 dst_sel:DWORD dst_unused:UNUSED_PAD src0_sel:WORD_0 src1_sel:DWORD
	v_cmp_lt_i16_e32 vcc_lo, v87, v70
	v_lshrrev_b32_e32 v87, 31, v103
	v_ashrrev_i32_e32 v103, 18, v103
	v_mul_i32_i24_sdwa v119, sext(v80), v48 dst_sel:DWORD dst_unused:UNUSED_PAD src0_sel:WORD_0 src1_sel:DWORD
	v_lshrrev_b32_e32 v112, 31, v102
	v_ashrrev_i32_e32 v102, 18, v102
	v_cndmask_b32_e32 v70, v65, v50, vcc_lo
	v_cndmask_b32_e32 v50, v50, v65, vcc_lo
	v_mul_i32_i24_sdwa v65, sext(v118), v48 dst_sel:DWORD dst_unused:UNUSED_PAD src0_sel:WORD_0 src1_sel:DWORD
	v_add_nc_u16 v87, v103, v87
	v_add_nc_u16 v102, v102, v112
	v_lshrrev_b32_e32 v103, 31, v113
	v_ashrrev_i32_e32 v112, 18, v113
	v_lshrrev_b32_e32 v113, 31, v65
	v_ashrrev_i32_e32 v65, 18, v65
	v_cmp_lt_i16_e32 vcc_lo, v87, v102
	v_mul_i32_i24_sdwa v87, sext(v96), v48 dst_sel:DWORD dst_unused:UNUSED_PAD src0_sel:WORD_0 src1_sel:DWORD
	v_add_nc_u16 v102, v112, v103
	v_lshrrev_b32_e32 v103, 31, v119
	v_add_nc_u16 v65, v65, v113
	v_ashrrev_i32_e32 v112, 18, v119
	v_lshrrev_b32_e32 v113, 31, v87
	v_ashrrev_i32_e32 v87, 18, v87
	v_cndmask_b32_e32 v119, v51, v83, vcc_lo
	v_cndmask_b32_e32 v51, v83, v51, vcc_lo
	v_cmp_lt_i16_e32 vcc_lo, v102, v65
	v_add_nc_u16 v65, v112, v103
	v_add_nc_u16 v83, v87, v113
	v_mul_i32_i24_sdwa v102, sext(v52), v48 dst_sel:DWORD dst_unused:UNUSED_PAD src0_sel:WORD_0 src1_sel:DWORD
	v_mul_i32_i24_sdwa v103, sext(v66), v48 dst_sel:DWORD dst_unused:UNUSED_PAD src0_sel:WORD_0 src1_sel:DWORD
	v_cndmask_b32_e32 v87, v84, v118, vcc_lo
	v_cndmask_b32_e32 v84, v118, v84, vcc_lo
	v_cmp_lt_i16_e32 vcc_lo, v65, v83
	v_lshrrev_b32_e32 v83, 31, v102
	v_ashrrev_i32_e32 v102, 18, v102
	v_lshrrev_b32_e32 v112, 31, v103
	v_ashrrev_i32_e32 v103, 18, v103
	v_cndmask_b32_e32 v65, v80, v96, vcc_lo
	v_mul_i32_i24_sdwa v113, sext(v98), v48 dst_sel:DWORD dst_unused:UNUSED_PAD src0_sel:WORD_0 src1_sel:DWORD
	v_cndmask_b32_e32 v80, v96, v80, vcc_lo
	v_mul_i32_i24_sdwa v96, sext(v117), v48 dst_sel:DWORD dst_unused:UNUSED_PAD src0_sel:WORD_0 src1_sel:DWORD
	v_add_nc_u16 v83, v102, v83
	v_add_nc_u16 v102, v103, v112
	v_lshrrev_b32_e32 v103, 31, v113
	v_ashrrev_i32_e32 v112, 18, v113
	v_lshrrev_b32_e32 v113, 31, v96
	v_ashrrev_i32_e32 v96, 18, v96
	v_mul_i32_i24_sdwa v118, sext(v81), v48 dst_sel:DWORD dst_unused:UNUSED_PAD src0_sel:WORD_0 src1_sel:DWORD
	v_cmp_lt_i16_e32 vcc_lo, v83, v102
	v_mul_i32_i24_sdwa v83, sext(v97), v48 dst_sel:DWORD dst_unused:UNUSED_PAD src0_sel:WORD_0 src1_sel:DWORD
	v_add_nc_u16 v102, v112, v103
	v_add_nc_u16 v96, v96, v113
	v_lshrrev_b32_e32 v103, 31, v118
	v_ashrrev_i32_e32 v112, 18, v118
	v_lshrrev_b32_e32 v113, 31, v83
	v_ashrrev_i32_e32 v83, 18, v83
	v_cndmask_b32_e32 v118, v52, v66, vcc_lo
	v_cndmask_b32_e32 v52, v66, v52, vcc_lo
	v_cmp_lt_i16_e32 vcc_lo, v102, v96
	v_add_nc_u16 v66, v112, v103
	v_add_nc_u16 v83, v83, v113
	v_mul_i32_i24_sdwa v102, sext(v53), v48 dst_sel:DWORD dst_unused:UNUSED_PAD src0_sel:WORD_0 src1_sel:DWORD
	v_mul_i32_i24_sdwa v103, sext(v67), v48 dst_sel:DWORD dst_unused:UNUSED_PAD src0_sel:WORD_0 src1_sel:DWORD
	v_cndmask_b32_e32 v96, v98, v117, vcc_lo
	v_cndmask_b32_e32 v98, v117, v98, vcc_lo
	v_cmp_lt_i16_e32 vcc_lo, v66, v83
	v_lshrrev_b32_e32 v83, 31, v102
	v_ashrrev_i32_e32 v102, 18, v102
	v_lshrrev_b32_e32 v112, 31, v103
	v_ashrrev_i32_e32 v103, 18, v103
	v_cndmask_b32_e32 v66, v81, v97, vcc_lo
	v_mul_i32_i24_sdwa v113, sext(v99), v48 dst_sel:DWORD dst_unused:UNUSED_PAD src0_sel:WORD_0 src1_sel:DWORD
	v_cndmask_b32_e32 v81, v97, v81, vcc_lo
	v_mul_i32_i24_sdwa v97, sext(v115), v48 dst_sel:DWORD dst_unused:UNUSED_PAD src0_sel:WORD_0 src1_sel:DWORD
	v_add_nc_u16 v83, v102, v83
	v_add_nc_u16 v102, v103, v112
	v_lshrrev_b32_e32 v103, 31, v113
	v_ashrrev_i32_e32 v112, 18, v113
	v_lshrrev_b32_e32 v113, 31, v97
	v_ashrrev_i32_e32 v97, 18, v97
	v_mul_i32_i24_sdwa v117, sext(v71), v48 dst_sel:DWORD dst_unused:UNUSED_PAD src0_sel:WORD_0 src1_sel:DWORD
	v_cmp_lt_i16_e32 vcc_lo, v83, v102
	v_mul_i32_i24_sdwa v83, sext(v85), v48 dst_sel:DWORD dst_unused:UNUSED_PAD src0_sel:WORD_0 src1_sel:DWORD
	v_add_nc_u16 v102, v112, v103
	v_add_nc_u16 v97, v97, v113
	v_lshrrev_b32_e32 v103, 31, v117
	;; [unrolled: 33-line block ×4, first 2 shown]
	v_ashrrev_i32_e32 v112, 18, v114
	v_lshrrev_b32_e32 v113, 31, v83
	v_ashrrev_i32_e32 v83, 18, v83
	v_cndmask_b32_e32 v114, v55, v116, vcc_lo
	v_cndmask_b32_e32 v55, v116, v55, vcc_lo
	v_cmp_lt_i16_e32 vcc_lo, v102, v86
	v_add_nc_u16 v86, v112, v103
	v_add_nc_u16 v83, v83, v113
	v_mul_i32_i24_sdwa v103, sext(v51), v48 dst_sel:DWORD dst_unused:UNUSED_PAD src0_sel:WORD_0 src1_sel:DWORD
	v_mul_i32_i24_sdwa v113, sext(v84), v48 dst_sel:DWORD dst_unused:UNUSED_PAD src0_sel:WORD_0 src1_sel:DWORD
	v_cndmask_b32_e32 v102, v64, v101, vcc_lo
	v_cndmask_b32_e32 v64, v101, v64, vcc_lo
	v_mul_i32_i24_sdwa v101, sext(v49), v48 dst_sel:DWORD dst_unused:UNUSED_PAD src0_sel:WORD_0 src1_sel:DWORD
	v_cmp_lt_i16_e32 vcc_lo, v86, v83
	v_lshrrev_b32_e32 v86, 31, v103
	v_ashrrev_i32_e32 v103, 18, v103
	v_mul_i32_i24_sdwa v116, sext(v80), v48 dst_sel:DWORD dst_unused:UNUSED_PAD src0_sel:WORD_0 src1_sel:DWORD
	v_lshrrev_b32_e32 v112, 31, v101
	v_ashrrev_i32_e32 v101, 18, v101
	v_cndmask_b32_e32 v83, v82, v70, vcc_lo
	v_cndmask_b32_e32 v70, v70, v82, vcc_lo
	v_mul_i32_i24_sdwa v82, sext(v119), v48 dst_sel:DWORD dst_unused:UNUSED_PAD src0_sel:WORD_0 src1_sel:DWORD
	v_add_nc_u16 v86, v103, v86
	v_add_nc_u16 v101, v101, v112
	v_lshrrev_b32_e32 v103, 31, v113
	v_ashrrev_i32_e32 v112, 18, v113
	v_lshrrev_b32_e32 v113, 31, v82
	v_ashrrev_i32_e32 v82, 18, v82
	v_cmp_lt_i16_e32 vcc_lo, v86, v101
	v_mul_i32_i24_sdwa v86, sext(v87), v48 dst_sel:DWORD dst_unused:UNUSED_PAD src0_sel:WORD_0 src1_sel:DWORD
	v_add_nc_u16 v101, v112, v103
	v_lshrrev_b32_e32 v103, 31, v116
	v_add_nc_u16 v82, v82, v113
	v_ashrrev_i32_e32 v112, 18, v116
	v_lshrrev_b32_e32 v113, 31, v86
	v_ashrrev_i32_e32 v86, 18, v86
	v_cndmask_b32_e32 v116, v51, v49, vcc_lo
	v_cndmask_b32_e32 v49, v49, v51, vcc_lo
	v_cmp_lt_i16_e32 vcc_lo, v101, v82
	v_add_nc_u16 v51, v112, v103
	v_add_nc_u16 v82, v86, v113
	v_mul_i32_i24_sdwa v101, sext(v52), v48 dst_sel:DWORD dst_unused:UNUSED_PAD src0_sel:WORD_0 src1_sel:DWORD
	v_mul_i32_i24_sdwa v103, sext(v65), v48 dst_sel:DWORD dst_unused:UNUSED_PAD src0_sel:WORD_0 src1_sel:DWORD
	v_cndmask_b32_e32 v86, v84, v119, vcc_lo
	v_cndmask_b32_e32 v84, v119, v84, vcc_lo
	v_cmp_lt_i16_e32 vcc_lo, v51, v82
	v_lshrrev_b32_e32 v82, 31, v101
	v_ashrrev_i32_e32 v101, 18, v101
	v_lshrrev_b32_e32 v112, 31, v103
	v_ashrrev_i32_e32 v103, 18, v103
	v_cndmask_b32_e32 v51, v80, v87, vcc_lo
	v_mul_i32_i24_sdwa v113, sext(v98), v48 dst_sel:DWORD dst_unused:UNUSED_PAD src0_sel:WORD_0 src1_sel:DWORD
	v_cndmask_b32_e32 v80, v87, v80, vcc_lo
	v_mul_i32_i24_sdwa v87, sext(v118), v48 dst_sel:DWORD dst_unused:UNUSED_PAD src0_sel:WORD_0 src1_sel:DWORD
	v_add_nc_u16 v82, v101, v82
	v_add_nc_u16 v101, v103, v112
	v_lshrrev_b32_e32 v103, 31, v113
	v_ashrrev_i32_e32 v112, 18, v113
	v_lshrrev_b32_e32 v113, 31, v87
	v_ashrrev_i32_e32 v87, 18, v87
	v_mul_i32_i24_sdwa v119, sext(v81), v48 dst_sel:DWORD dst_unused:UNUSED_PAD src0_sel:WORD_0 src1_sel:DWORD
	v_cmp_lt_i16_e32 vcc_lo, v82, v101
	v_mul_i32_i24_sdwa v82, sext(v96), v48 dst_sel:DWORD dst_unused:UNUSED_PAD src0_sel:WORD_0 src1_sel:DWORD
	v_add_nc_u16 v101, v112, v103
	v_add_nc_u16 v87, v87, v113
	v_lshrrev_b32_e32 v103, 31, v119
	v_ashrrev_i32_e32 v112, 18, v119
	v_lshrrev_b32_e32 v113, 31, v82
	v_ashrrev_i32_e32 v82, 18, v82
	v_cndmask_b32_e32 v119, v52, v65, vcc_lo
	v_cndmask_b32_e32 v52, v65, v52, vcc_lo
	v_cmp_lt_i16_e32 vcc_lo, v101, v87
	v_add_nc_u16 v65, v112, v103
	v_add_nc_u16 v82, v82, v113
	v_mul_i32_i24_sdwa v101, sext(v53), v48 dst_sel:DWORD dst_unused:UNUSED_PAD src0_sel:WORD_0 src1_sel:DWORD
	v_mul_i32_i24_sdwa v103, sext(v66), v48 dst_sel:DWORD dst_unused:UNUSED_PAD src0_sel:WORD_0 src1_sel:DWORD
	v_cndmask_b32_e32 v87, v98, v118, vcc_lo
	v_cndmask_b32_e32 v98, v118, v98, vcc_lo
	v_cmp_lt_i16_e32 vcc_lo, v65, v82
	v_lshrrev_b32_e32 v82, 31, v101
	v_ashrrev_i32_e32 v101, 18, v101
	v_lshrrev_b32_e32 v112, 31, v103
	v_ashrrev_i32_e32 v103, 18, v103
	v_cndmask_b32_e32 v65, v81, v96, vcc_lo
	v_mul_i32_i24_sdwa v113, sext(v99), v48 dst_sel:DWORD dst_unused:UNUSED_PAD src0_sel:WORD_0 src1_sel:DWORD
	v_cndmask_b32_e32 v81, v96, v81, vcc_lo
	v_mul_i32_i24_sdwa v96, sext(v117), v48 dst_sel:DWORD dst_unused:UNUSED_PAD src0_sel:WORD_0 src1_sel:DWORD
	v_add_nc_u16 v82, v101, v82
	v_add_nc_u16 v101, v103, v112
	v_lshrrev_b32_e32 v103, 31, v113
	v_ashrrev_i32_e32 v112, 18, v113
	v_lshrrev_b32_e32 v113, 31, v96
	v_ashrrev_i32_e32 v96, 18, v96
	v_mul_i32_i24_sdwa v118, sext(v71), v48 dst_sel:DWORD dst_unused:UNUSED_PAD src0_sel:WORD_0 src1_sel:DWORD
	v_cmp_lt_i16_e32 vcc_lo, v82, v101
	v_mul_i32_i24_sdwa v82, sext(v97), v48 dst_sel:DWORD dst_unused:UNUSED_PAD src0_sel:WORD_0 src1_sel:DWORD
	v_add_nc_u16 v101, v112, v103
	v_add_nc_u16 v96, v96, v113
	v_lshrrev_b32_e32 v103, 31, v118
	;; [unrolled: 33-line block ×4, first 2 shown]
	v_ashrrev_i32_e32 v112, 18, v115
	v_lshrrev_b32_e32 v113, 31, v82
	v_ashrrev_i32_e32 v82, 18, v82
	v_cndmask_b32_e32 v115, v114, v68, vcc_lo
	v_cndmask_b32_e32 v68, v68, v114, vcc_lo
	v_cmp_lt_i16_e32 vcc_lo, v101, v85
	v_add_nc_u16 v85, v112, v103
	v_add_nc_u16 v82, v82, v113
	v_mul_i32_i24_sdwa v103, sext(v50), v48 dst_sel:DWORD dst_unused:UNUSED_PAD src0_sel:WORD_0 src1_sel:DWORD
	v_mul_i32_i24_sdwa v113, sext(v84), v48 dst_sel:DWORD dst_unused:UNUSED_PAD src0_sel:WORD_0 src1_sel:DWORD
	v_cndmask_b32_e32 v101, v55, v102, vcc_lo
	v_cndmask_b32_e32 v55, v102, v55, vcc_lo
	v_mul_i32_i24_sdwa v102, sext(v70), v48 dst_sel:DWORD dst_unused:UNUSED_PAD src0_sel:WORD_0 src1_sel:DWORD
	v_cmp_lt_i16_e32 vcc_lo, v85, v82
	v_lshrrev_b32_e32 v85, 31, v103
	v_ashrrev_i32_e32 v103, 18, v103
	v_mul_i32_i24_sdwa v114, sext(v80), v48 dst_sel:DWORD dst_unused:UNUSED_PAD src0_sel:WORD_0 src1_sel:DWORD
	v_lshrrev_b32_e32 v112, 31, v102
	v_ashrrev_i32_e32 v102, 18, v102
	v_cndmask_b32_e32 v82, v64, v83, vcc_lo
	v_cndmask_b32_e32 v64, v83, v64, vcc_lo
	v_mul_i32_i24_sdwa v83, sext(v116), v48 dst_sel:DWORD dst_unused:UNUSED_PAD src0_sel:WORD_0 src1_sel:DWORD
	v_add_nc_u16 v85, v103, v85
	v_add_nc_u16 v102, v102, v112
	v_lshrrev_b32_e32 v103, 31, v113
	v_ashrrev_i32_e32 v112, 18, v113
	v_lshrrev_b32_e32 v113, 31, v83
	v_ashrrev_i32_e32 v83, 18, v83
	v_cmp_lt_i16_e32 vcc_lo, v85, v102
	v_mul_i32_i24_sdwa v85, sext(v86), v48 dst_sel:DWORD dst_unused:UNUSED_PAD src0_sel:WORD_0 src1_sel:DWORD
	v_add_nc_u16 v102, v112, v103
	v_lshrrev_b32_e32 v103, 31, v114
	v_add_nc_u16 v83, v83, v113
	v_ashrrev_i32_e32 v112, 18, v114
	v_lshrrev_b32_e32 v113, 31, v85
	v_ashrrev_i32_e32 v85, 18, v85
	v_cndmask_b32_e32 v114, v70, v50, vcc_lo
	v_cndmask_b32_e32 v50, v50, v70, vcc_lo
	v_cmp_lt_i16_e32 vcc_lo, v102, v83
	v_add_nc_u16 v70, v112, v103
	v_add_nc_u16 v83, v85, v113
	v_mul_i32_i24_sdwa v102, sext(v52), v48 dst_sel:DWORD dst_unused:UNUSED_PAD src0_sel:WORD_0 src1_sel:DWORD
	v_mul_i32_i24_sdwa v103, sext(v51), v48 dst_sel:DWORD dst_unused:UNUSED_PAD src0_sel:WORD_0 src1_sel:DWORD
	v_cndmask_b32_e32 v85, v84, v116, vcc_lo
	v_cndmask_b32_e32 v84, v116, v84, vcc_lo
	v_cmp_lt_i16_e32 vcc_lo, v70, v83
	v_lshrrev_b32_e32 v83, 31, v102
	v_ashrrev_i32_e32 v102, 18, v102
	v_lshrrev_b32_e32 v112, 31, v103
	v_ashrrev_i32_e32 v103, 18, v103
	v_cndmask_b32_e32 v70, v80, v86, vcc_lo
	v_mul_i32_i24_sdwa v113, sext(v98), v48 dst_sel:DWORD dst_unused:UNUSED_PAD src0_sel:WORD_0 src1_sel:DWORD
	v_cndmask_b32_e32 v80, v86, v80, vcc_lo
	v_mul_i32_i24_sdwa v86, sext(v119), v48 dst_sel:DWORD dst_unused:UNUSED_PAD src0_sel:WORD_0 src1_sel:DWORD
	v_add_nc_u16 v83, v102, v83
	v_add_nc_u16 v102, v103, v112
	v_lshrrev_b32_e32 v103, 31, v113
	v_ashrrev_i32_e32 v112, 18, v113
	v_lshrrev_b32_e32 v113, 31, v86
	v_ashrrev_i32_e32 v86, 18, v86
	v_mul_i32_i24_sdwa v116, sext(v81), v48 dst_sel:DWORD dst_unused:UNUSED_PAD src0_sel:WORD_0 src1_sel:DWORD
	v_cmp_lt_i16_e32 vcc_lo, v83, v102
	v_mul_i32_i24_sdwa v83, sext(v87), v48 dst_sel:DWORD dst_unused:UNUSED_PAD src0_sel:WORD_0 src1_sel:DWORD
	v_add_nc_u16 v102, v112, v103
	v_add_nc_u16 v86, v86, v113
	v_lshrrev_b32_e32 v103, 31, v116
	v_ashrrev_i32_e32 v112, 18, v116
	v_lshrrev_b32_e32 v113, 31, v83
	v_ashrrev_i32_e32 v83, 18, v83
	v_cndmask_b32_e32 v116, v52, v51, vcc_lo
	v_cndmask_b32_e32 v51, v51, v52, vcc_lo
	v_cmp_lt_i16_e32 vcc_lo, v102, v86
	v_add_nc_u16 v52, v112, v103
	v_add_nc_u16 v83, v83, v113
	v_mul_i32_i24_sdwa v102, sext(v53), v48 dst_sel:DWORD dst_unused:UNUSED_PAD src0_sel:WORD_0 src1_sel:DWORD
	v_mul_i32_i24_sdwa v103, sext(v65), v48 dst_sel:DWORD dst_unused:UNUSED_PAD src0_sel:WORD_0 src1_sel:DWORD
	v_cndmask_b32_e32 v86, v98, v119, vcc_lo
	v_cndmask_b32_e32 v98, v119, v98, vcc_lo
	v_cmp_lt_i16_e32 vcc_lo, v52, v83
	v_lshrrev_b32_e32 v83, 31, v102
	v_ashrrev_i32_e32 v102, 18, v102
	v_lshrrev_b32_e32 v112, 31, v103
	v_ashrrev_i32_e32 v103, 18, v103
	v_cndmask_b32_e32 v52, v81, v87, vcc_lo
	v_mul_i32_i24_sdwa v113, sext(v99), v48 dst_sel:DWORD dst_unused:UNUSED_PAD src0_sel:WORD_0 src1_sel:DWORD
	v_cndmask_b32_e32 v81, v87, v81, vcc_lo
	v_mul_i32_i24_sdwa v87, sext(v118), v48 dst_sel:DWORD dst_unused:UNUSED_PAD src0_sel:WORD_0 src1_sel:DWORD
	v_add_nc_u16 v83, v102, v83
	v_add_nc_u16 v102, v103, v112
	v_lshrrev_b32_e32 v103, 31, v113
	v_ashrrev_i32_e32 v112, 18, v113
	v_lshrrev_b32_e32 v113, 31, v87
	v_ashrrev_i32_e32 v87, 18, v87
	v_mul_i32_i24_sdwa v119, sext(v71), v48 dst_sel:DWORD dst_unused:UNUSED_PAD src0_sel:WORD_0 src1_sel:DWORD
	v_cmp_lt_i16_e32 vcc_lo, v83, v102
	v_mul_i32_i24_sdwa v83, sext(v96), v48 dst_sel:DWORD dst_unused:UNUSED_PAD src0_sel:WORD_0 src1_sel:DWORD
	v_add_nc_u16 v102, v112, v103
	v_add_nc_u16 v87, v87, v113
	v_lshrrev_b32_e32 v103, 31, v119
	v_ashrrev_i32_e32 v112, 18, v119
	v_lshrrev_b32_e32 v113, 31, v83
	v_ashrrev_i32_e32 v83, 18, v83
	v_cndmask_b32_e32 v119, v53, v65, vcc_lo
	v_cndmask_b32_e32 v53, v65, v53, vcc_lo
	v_cmp_lt_i16_e32 vcc_lo, v102, v87
	v_add_nc_u16 v65, v112, v103
	v_add_nc_u16 v83, v83, v113
	v_mul_i32_i24_sdwa v102, sext(v54), v48 dst_sel:DWORD dst_unused:UNUSED_PAD src0_sel:WORD_0 src1_sel:DWORD
	v_mul_i32_i24_sdwa v103, sext(v66), v48 dst_sel:DWORD dst_unused:UNUSED_PAD src0_sel:WORD_0 src1_sel:DWORD
	v_cndmask_b32_e32 v87, v99, v118, vcc_lo
	v_cndmask_b32_e32 v99, v118, v99, vcc_lo
	v_cmp_lt_i16_e32 vcc_lo, v65, v83
	v_lshrrev_b32_e32 v83, 31, v102
	v_ashrrev_i32_e32 v102, 18, v102
	v_lshrrev_b32_e32 v112, 31, v103
	v_ashrrev_i32_e32 v103, 18, v103
	v_cndmask_b32_e32 v65, v71, v96, vcc_lo
	v_mul_i32_i24_sdwa v113, sext(v100), v48 dst_sel:DWORD dst_unused:UNUSED_PAD src0_sel:WORD_0 src1_sel:DWORD
	v_cndmask_b32_e32 v71, v96, v71, vcc_lo
	v_mul_i32_i24_sdwa v96, sext(v117), v48 dst_sel:DWORD dst_unused:UNUSED_PAD src0_sel:WORD_0 src1_sel:DWORD
	v_add_nc_u16 v83, v102, v83
	v_add_nc_u16 v102, v103, v112
	v_lshrrev_b32_e32 v103, 31, v113
	v_ashrrev_i32_e32 v112, 18, v113
	v_lshrrev_b32_e32 v113, 31, v96
	v_ashrrev_i32_e32 v96, 18, v96
	v_mul_i32_i24_sdwa v118, sext(v69), v48 dst_sel:DWORD dst_unused:UNUSED_PAD src0_sel:WORD_0 src1_sel:DWORD
	v_cmp_lt_i16_e32 vcc_lo, v83, v102
	v_mul_i32_i24_sdwa v83, sext(v97), v48 dst_sel:DWORD dst_unused:UNUSED_PAD src0_sel:WORD_0 src1_sel:DWORD
	v_add_nc_u16 v102, v112, v103
	v_add_nc_u16 v96, v96, v113
	v_lshrrev_b32_e32 v103, 31, v118
	v_ashrrev_i32_e32 v112, 18, v118
	v_lshrrev_b32_e32 v113, 31, v83
	v_ashrrev_i32_e32 v83, 18, v83
	v_cndmask_b32_e32 v118, v54, v66, vcc_lo
	v_cndmask_b32_e32 v54, v66, v54, vcc_lo
	v_cmp_lt_i16_e32 vcc_lo, v102, v96
	v_add_nc_u16 v66, v112, v103
	v_add_nc_u16 v83, v83, v113
	v_mul_i32_i24_sdwa v102, sext(v68), v48 dst_sel:DWORD dst_unused:UNUSED_PAD src0_sel:WORD_0 src1_sel:DWORD
	v_mul_i32_i24_sdwa v103, sext(v67), v48 dst_sel:DWORD dst_unused:UNUSED_PAD src0_sel:WORD_0 src1_sel:DWORD
	v_cndmask_b32_e32 v96, v100, v117, vcc_lo
	v_cndmask_b32_e32 v100, v117, v100, vcc_lo
	v_cmp_lt_i16_e32 vcc_lo, v66, v83
	v_lshrrev_b32_e32 v83, 31, v102
	v_ashrrev_i32_e32 v102, 18, v102
	v_lshrrev_b32_e32 v112, 31, v103
	v_ashrrev_i32_e32 v103, 18, v103
	v_cndmask_b32_e32 v66, v69, v97, vcc_lo
	v_mul_i32_i24_sdwa v113, sext(v101), v48 dst_sel:DWORD dst_unused:UNUSED_PAD src0_sel:WORD_0 src1_sel:DWORD
	v_cndmask_b32_e32 v69, v97, v69, vcc_lo
	v_mul_i32_i24_sdwa v97, sext(v115), v48 dst_sel:DWORD dst_unused:UNUSED_PAD src0_sel:WORD_0 src1_sel:DWORD
	v_add_nc_u16 v83, v102, v83
	v_add_nc_u16 v102, v103, v112
	v_lshrrev_b32_e32 v103, 31, v113
	v_ashrrev_i32_e32 v112, 18, v113
	v_lshrrev_b32_e32 v113, 31, v97
	v_ashrrev_i32_e32 v97, 18, v97
	v_mul_i32_i24_sdwa v117, sext(v82), v48 dst_sel:DWORD dst_unused:UNUSED_PAD src0_sel:WORD_0 src1_sel:DWORD
	v_cmp_lt_i16_e32 vcc_lo, v83, v102
	v_mul_i32_i24_sdwa v83, sext(v55), v48 dst_sel:DWORD dst_unused:UNUSED_PAD src0_sel:WORD_0 src1_sel:DWORD
	v_add_nc_u16 v102, v112, v103
	v_add_nc_u16 v97, v97, v113
	v_lshrrev_b32_e32 v103, 31, v117
	v_ashrrev_i32_e32 v112, 18, v117
	v_lshrrev_b32_e32 v113, 31, v83
	v_ashrrev_i32_e32 v83, 18, v83
	v_cndmask_b32_e32 v117, v68, v67, vcc_lo
	v_cndmask_b32_e32 v67, v67, v68, vcc_lo
	v_cmp_lt_i16_e32 vcc_lo, v102, v97
	v_add_nc_u16 v68, v112, v103
	v_add_nc_u16 v83, v83, v113
	v_mul_i32_i24_sdwa v102, sext(v114), v48 dst_sel:DWORD dst_unused:UNUSED_PAD src0_sel:WORD_0 src1_sel:DWORD
	v_mul_i32_i24_sdwa v103, sext(v64), v48 dst_sel:DWORD dst_unused:UNUSED_PAD src0_sel:WORD_0 src1_sel:DWORD
	v_cndmask_b32_e32 v97, v115, v101, vcc_lo
	v_cndmask_b32_e32 v101, v101, v115, vcc_lo
	v_cmp_lt_i16_e32 vcc_lo, v68, v83
	v_lshrrev_b32_e32 v83, 31, v102
	v_ashrrev_i32_e32 v102, 18, v102
	v_lshrrev_b32_e32 v112, 31, v103
	v_ashrrev_i32_e32 v103, 18, v103
	v_cndmask_b32_e32 v68, v55, v82, vcc_lo
	v_mul_i32_i24_sdwa v113, sext(v84), v48 dst_sel:DWORD dst_unused:UNUSED_PAD src0_sel:WORD_0 src1_sel:DWORD
	v_cndmask_b32_e32 v55, v82, v55, vcc_lo
	v_mul_i32_i24_sdwa v82, sext(v49), v48 dst_sel:DWORD dst_unused:UNUSED_PAD src0_sel:WORD_0 src1_sel:DWORD
	v_add_nc_u16 v83, v102, v83
	v_add_nc_u16 v102, v103, v112
	v_lshrrev_b32_e32 v103, 31, v113
	v_ashrrev_i32_e32 v112, 18, v113
	v_lshrrev_b32_e32 v113, 31, v82
	v_ashrrev_i32_e32 v82, 18, v82
	v_mul_i32_i24_sdwa v115, sext(v80), v48 dst_sel:DWORD dst_unused:UNUSED_PAD src0_sel:WORD_0 src1_sel:DWORD
	v_cmp_lt_i16_e32 vcc_lo, v83, v102
	v_mul_i32_i24_sdwa v83, sext(v85), v48 dst_sel:DWORD dst_unused:UNUSED_PAD src0_sel:WORD_0 src1_sel:DWORD
	v_add_nc_u16 v102, v112, v103
	v_add_nc_u16 v82, v82, v113
	v_lshrrev_b32_e32 v103, 31, v115
	v_ashrrev_i32_e32 v112, 18, v115
	v_lshrrev_b32_e32 v113, 31, v83
	v_ashrrev_i32_e32 v83, 18, v83
	v_cndmask_b32_e32 v115, v64, v114, vcc_lo
	v_cndmask_b32_e32 v64, v114, v64, vcc_lo
	v_cmp_lt_i16_e32 vcc_lo, v102, v82
	v_add_nc_u16 v82, v112, v103
	v_add_nc_u16 v83, v83, v113
	v_mul_i32_i24_sdwa v103, sext(v51), v48 dst_sel:DWORD dst_unused:UNUSED_PAD src0_sel:WORD_0 src1_sel:DWORD
	v_mul_i32_i24_sdwa v113, sext(v98), v48 dst_sel:DWORD dst_unused:UNUSED_PAD src0_sel:WORD_0 src1_sel:DWORD
	v_cndmask_b32_e32 v102, v84, v49, vcc_lo
	v_cndmask_b32_e32 v49, v49, v84, vcc_lo
	v_mul_i32_i24_sdwa v84, sext(v70), v48 dst_sel:DWORD dst_unused:UNUSED_PAD src0_sel:WORD_0 src1_sel:DWORD
	v_cmp_lt_i16_e32 vcc_lo, v82, v83
	v_lshrrev_b32_e32 v83, 31, v103
	v_ashrrev_i32_e32 v103, 18, v103
	v_mul_i32_i24_sdwa v114, sext(v81), v48 dst_sel:DWORD dst_unused:UNUSED_PAD src0_sel:WORD_0 src1_sel:DWORD
	v_lshrrev_b32_e32 v112, 31, v84
	v_ashrrev_i32_e32 v84, 18, v84
	v_cndmask_b32_e32 v82, v80, v85, vcc_lo
	v_cndmask_b32_e32 v80, v85, v80, vcc_lo
	v_mul_i32_i24_sdwa v85, sext(v116), v48 dst_sel:DWORD dst_unused:UNUSED_PAD src0_sel:WORD_0 src1_sel:DWORD
	v_add_nc_u16 v83, v103, v83
	v_add_nc_u16 v84, v84, v112
	v_lshrrev_b32_e32 v103, 31, v113
	v_ashrrev_i32_e32 v112, 18, v113
	v_lshrrev_b32_e32 v113, 31, v85
	v_ashrrev_i32_e32 v85, 18, v85
	v_cmp_lt_i16_e32 vcc_lo, v83, v84
	v_mul_i32_i24_sdwa v83, sext(v86), v48 dst_sel:DWORD dst_unused:UNUSED_PAD src0_sel:WORD_0 src1_sel:DWORD
	v_add_nc_u16 v84, v112, v103
	v_lshrrev_b32_e32 v103, 31, v114
	v_add_nc_u16 v85, v85, v113
	v_ashrrev_i32_e32 v112, 18, v114
	v_lshrrev_b32_e32 v113, 31, v83
	v_ashrrev_i32_e32 v83, 18, v83
	v_cndmask_b32_e32 v114, v51, v70, vcc_lo
	v_cndmask_b32_e32 v51, v70, v51, vcc_lo
	v_cmp_lt_i16_e32 vcc_lo, v84, v85
	v_add_nc_u16 v70, v112, v103
	v_add_nc_u16 v83, v83, v113
	v_mul_i32_i24_sdwa v85, sext(v53), v48 dst_sel:DWORD dst_unused:UNUSED_PAD src0_sel:WORD_0 src1_sel:DWORD
	v_mul_i32_i24_sdwa v103, sext(v52), v48 dst_sel:DWORD dst_unused:UNUSED_PAD src0_sel:WORD_0 src1_sel:DWORD
	v_cndmask_b32_e32 v84, v98, v116, vcc_lo
	v_cndmask_b32_e32 v98, v116, v98, vcc_lo
	v_cmp_lt_i16_e32 vcc_lo, v70, v83
	v_lshrrev_b32_e32 v83, 31, v85
	v_ashrrev_i32_e32 v85, 18, v85
	v_lshrrev_b32_e32 v112, 31, v103
	v_ashrrev_i32_e32 v103, 18, v103
	v_cndmask_b32_e32 v70, v81, v86, vcc_lo
	v_mul_i32_i24_sdwa v113, sext(v99), v48 dst_sel:DWORD dst_unused:UNUSED_PAD src0_sel:WORD_0 src1_sel:DWORD
	v_cndmask_b32_e32 v81, v86, v81, vcc_lo
	v_mul_i32_i24_sdwa v86, sext(v119), v48 dst_sel:DWORD dst_unused:UNUSED_PAD src0_sel:WORD_0 src1_sel:DWORD
	v_add_nc_u16 v83, v85, v83
	v_add_nc_u16 v85, v103, v112
	v_lshrrev_b32_e32 v103, 31, v113
	v_ashrrev_i32_e32 v112, 18, v113
	v_lshrrev_b32_e32 v113, 31, v86
	v_ashrrev_i32_e32 v86, 18, v86
	v_mul_i32_i24_sdwa v116, sext(v71), v48 dst_sel:DWORD dst_unused:UNUSED_PAD src0_sel:WORD_0 src1_sel:DWORD
	v_cmp_lt_i16_e32 vcc_lo, v83, v85
	v_mul_i32_i24_sdwa v83, sext(v87), v48 dst_sel:DWORD dst_unused:UNUSED_PAD src0_sel:WORD_0 src1_sel:DWORD
	v_add_nc_u16 v85, v112, v103
	v_add_nc_u16 v86, v86, v113
	v_lshrrev_b32_e32 v103, 31, v116
	v_ashrrev_i32_e32 v112, 18, v116
	v_lshrrev_b32_e32 v113, 31, v83
	v_ashrrev_i32_e32 v83, 18, v83
	v_cndmask_b32_e32 v116, v53, v52, vcc_lo
	v_cndmask_b32_e32 v52, v52, v53, vcc_lo
	v_cmp_lt_i16_e32 vcc_lo, v85, v86
	v_add_nc_u16 v53, v112, v103
	v_add_nc_u16 v83, v83, v113
	v_mul_i32_i24_sdwa v86, sext(v54), v48 dst_sel:DWORD dst_unused:UNUSED_PAD src0_sel:WORD_0 src1_sel:DWORD
	v_mul_i32_i24_sdwa v103, sext(v65), v48 dst_sel:DWORD dst_unused:UNUSED_PAD src0_sel:WORD_0 src1_sel:DWORD
	v_cndmask_b32_e32 v85, v99, v119, vcc_lo
	v_cndmask_b32_e32 v99, v119, v99, vcc_lo
	v_cmp_lt_i16_e32 vcc_lo, v53, v83
	v_lshrrev_b32_e32 v83, 31, v86
	v_ashrrev_i32_e32 v86, 18, v86
	v_lshrrev_b32_e32 v112, 31, v103
	v_ashrrev_i32_e32 v103, 18, v103
	v_cndmask_b32_e32 v53, v71, v87, vcc_lo
	v_mul_i32_i24_sdwa v113, sext(v100), v48 dst_sel:DWORD dst_unused:UNUSED_PAD src0_sel:WORD_0 src1_sel:DWORD
	v_cndmask_b32_e32 v71, v87, v71, vcc_lo
	v_mul_i32_i24_sdwa v87, sext(v118), v48 dst_sel:DWORD dst_unused:UNUSED_PAD src0_sel:WORD_0 src1_sel:DWORD
	v_add_nc_u16 v83, v86, v83
	v_add_nc_u16 v86, v103, v112
	v_lshrrev_b32_e32 v103, 31, v113
	v_ashrrev_i32_e32 v112, 18, v113
	v_lshrrev_b32_e32 v113, 31, v87
	v_ashrrev_i32_e32 v87, 18, v87
	v_mul_i32_i24_sdwa v119, sext(v69), v48 dst_sel:DWORD dst_unused:UNUSED_PAD src0_sel:WORD_0 src1_sel:DWORD
	v_cmp_lt_i16_e32 vcc_lo, v83, v86
	v_mul_i32_i24_sdwa v83, sext(v96), v48 dst_sel:DWORD dst_unused:UNUSED_PAD src0_sel:WORD_0 src1_sel:DWORD
	v_add_nc_u16 v86, v112, v103
	v_add_nc_u16 v87, v87, v113
	v_lshrrev_b32_e32 v103, 31, v119
	;; [unrolled: 33-line block ×4, first 2 shown]
	v_ashrrev_i32_e32 v112, 18, v117
	v_lshrrev_b32_e32 v113, 31, v83
	v_ashrrev_i32_e32 v83, 18, v83
	v_cndmask_b32_e32 v117, v55, v115, vcc_lo
	v_cndmask_b32_e32 v55, v115, v55, vcc_lo
	v_cmp_lt_i16_e32 vcc_lo, v96, v101
	v_add_nc_u16 v96, v112, v103
	v_add_nc_u16 v83, v83, v113
	v_mul_i32_i24_sdwa v103, sext(v51), v48 dst_sel:DWORD dst_unused:UNUSED_PAD src0_sel:WORD_0 src1_sel:DWORD
	v_mul_i32_i24_sdwa v113, sext(v98), v48 dst_sel:DWORD dst_unused:UNUSED_PAD src0_sel:WORD_0 src1_sel:DWORD
	v_cndmask_b32_e32 v101, v64, v50, vcc_lo
	v_cndmask_b32_e32 v50, v50, v64, vcc_lo
	v_mul_i32_i24_sdwa v64, sext(v82), v48 dst_sel:DWORD dst_unused:UNUSED_PAD src0_sel:WORD_0 src1_sel:DWORD
	v_cmp_lt_i16_e32 vcc_lo, v96, v83
	v_lshrrev_b32_e32 v96, 31, v103
	v_ashrrev_i32_e32 v103, 18, v103
	v_mul_i32_i24_sdwa v115, sext(v81), v48 dst_sel:DWORD dst_unused:UNUSED_PAD src0_sel:WORD_0 src1_sel:DWORD
	v_lshrrev_b32_e32 v112, 31, v64
	v_ashrrev_i32_e32 v64, 18, v64
	v_cndmask_b32_e32 v83, v80, v102, vcc_lo
	v_cndmask_b32_e32 v80, v102, v80, vcc_lo
	v_mul_i32_i24_sdwa v102, sext(v114), v48 dst_sel:DWORD dst_unused:UNUSED_PAD src0_sel:WORD_0 src1_sel:DWORD
	v_add_nc_u16 v96, v103, v96
	v_add_nc_u16 v64, v64, v112
	v_lshrrev_b32_e32 v103, 31, v113
	v_ashrrev_i32_e32 v112, 18, v113
	v_lshrrev_b32_e32 v113, 31, v102
	v_ashrrev_i32_e32 v102, 18, v102
	v_cmp_lt_i16_e32 vcc_lo, v96, v64
	v_mul_i32_i24_sdwa v64, sext(v84), v48 dst_sel:DWORD dst_unused:UNUSED_PAD src0_sel:WORD_0 src1_sel:DWORD
	v_add_nc_u16 v96, v112, v103
	v_lshrrev_b32_e32 v103, 31, v115
	v_add_nc_u16 v102, v102, v113
	v_ashrrev_i32_e32 v112, 18, v115
	v_lshrrev_b32_e32 v113, 31, v64
	v_ashrrev_i32_e32 v64, 18, v64
	v_cndmask_b32_e32 v115, v51, v82, vcc_lo
	v_cndmask_b32_e32 v51, v82, v51, vcc_lo
	v_cmp_lt_i16_e32 vcc_lo, v96, v102
	v_add_nc_u16 v82, v112, v103
	v_add_nc_u16 v64, v64, v113
	v_mul_i32_i24_sdwa v102, sext(v52), v48 dst_sel:DWORD dst_unused:UNUSED_PAD src0_sel:WORD_0 src1_sel:DWORD
	v_mul_i32_i24_sdwa v103, sext(v70), v48 dst_sel:DWORD dst_unused:UNUSED_PAD src0_sel:WORD_0 src1_sel:DWORD
	v_cndmask_b32_e32 v96, v98, v114, vcc_lo
	v_cndmask_b32_e32 v98, v114, v98, vcc_lo
	v_cmp_lt_i16_e32 vcc_lo, v82, v64
	v_lshrrev_b32_e32 v82, 31, v102
	v_ashrrev_i32_e32 v102, 18, v102
	v_lshrrev_b32_e32 v112, 31, v103
	v_ashrrev_i32_e32 v103, 18, v103
	v_cndmask_b32_e32 v64, v81, v84, vcc_lo
	v_mul_i32_i24_sdwa v113, sext(v99), v48 dst_sel:DWORD dst_unused:UNUSED_PAD src0_sel:WORD_0 src1_sel:DWORD
	v_cndmask_b32_e32 v81, v84, v81, vcc_lo
	v_mul_i32_i24_sdwa v84, sext(v116), v48 dst_sel:DWORD dst_unused:UNUSED_PAD src0_sel:WORD_0 src1_sel:DWORD
	v_add_nc_u16 v82, v102, v82
	v_add_nc_u16 v102, v103, v112
	v_lshrrev_b32_e32 v103, 31, v113
	v_ashrrev_i32_e32 v112, 18, v113
	v_lshrrev_b32_e32 v113, 31, v84
	v_ashrrev_i32_e32 v84, 18, v84
	v_mul_i32_i24_sdwa v114, sext(v71), v48 dst_sel:DWORD dst_unused:UNUSED_PAD src0_sel:WORD_0 src1_sel:DWORD
	v_cmp_lt_i16_e32 vcc_lo, v82, v102
	v_mul_i32_i24_sdwa v82, sext(v85), v48 dst_sel:DWORD dst_unused:UNUSED_PAD src0_sel:WORD_0 src1_sel:DWORD
	v_add_nc_u16 v102, v112, v103
	v_add_nc_u16 v84, v84, v113
	v_lshrrev_b32_e32 v103, 31, v114
	v_ashrrev_i32_e32 v112, 18, v114
	v_lshrrev_b32_e32 v113, 31, v82
	v_ashrrev_i32_e32 v82, 18, v82
	v_cndmask_b32_e32 v114, v52, v70, vcc_lo
	v_cndmask_b32_e32 v52, v70, v52, vcc_lo
	v_cmp_lt_i16_e32 vcc_lo, v102, v84
	v_add_nc_u16 v70, v112, v103
	v_add_nc_u16 v82, v82, v113
	v_mul_i32_i24_sdwa v102, sext(v54), v48 dst_sel:DWORD dst_unused:UNUSED_PAD src0_sel:WORD_0 src1_sel:DWORD
	v_mul_i32_i24_sdwa v103, sext(v53), v48 dst_sel:DWORD dst_unused:UNUSED_PAD src0_sel:WORD_0 src1_sel:DWORD
	v_cndmask_b32_e32 v84, v99, v116, vcc_lo
	v_cndmask_b32_e32 v99, v116, v99, vcc_lo
	v_cmp_lt_i16_e32 vcc_lo, v70, v82
	v_lshrrev_b32_e32 v82, 31, v102
	v_ashrrev_i32_e32 v102, 18, v102
	v_lshrrev_b32_e32 v112, 31, v103
	v_ashrrev_i32_e32 v103, 18, v103
	v_cndmask_b32_e32 v70, v71, v85, vcc_lo
	v_mul_i32_i24_sdwa v113, sext(v100), v48 dst_sel:DWORD dst_unused:UNUSED_PAD src0_sel:WORD_0 src1_sel:DWORD
	v_cndmask_b32_e32 v71, v85, v71, vcc_lo
	v_mul_i32_i24_sdwa v85, sext(v119), v48 dst_sel:DWORD dst_unused:UNUSED_PAD src0_sel:WORD_0 src1_sel:DWORD
	v_add_nc_u16 v82, v102, v82
	v_add_nc_u16 v102, v103, v112
	v_lshrrev_b32_e32 v103, 31, v113
	v_ashrrev_i32_e32 v112, 18, v113
	v_lshrrev_b32_e32 v113, 31, v85
	v_ashrrev_i32_e32 v85, 18, v85
	v_mul_i32_i24_sdwa v116, sext(v69), v48 dst_sel:DWORD dst_unused:UNUSED_PAD src0_sel:WORD_0 src1_sel:DWORD
	v_cmp_lt_i16_e32 vcc_lo, v82, v102
	v_mul_i32_i24_sdwa v82, sext(v86), v48 dst_sel:DWORD dst_unused:UNUSED_PAD src0_sel:WORD_0 src1_sel:DWORD
	v_add_nc_u16 v102, v112, v103
	v_add_nc_u16 v85, v85, v113
	v_lshrrev_b32_e32 v103, 31, v116
	;; [unrolled: 33-line block ×4, first 2 shown]
	v_ashrrev_i32_e32 v112, 18, v118
	v_lshrrev_b32_e32 v113, 31, v82
	v_ashrrev_i32_e32 v82, 18, v82
	v_cndmask_b32_e32 v118, v68, v117, vcc_lo
	v_cndmask_b32_e32 v68, v117, v68, vcc_lo
	v_cmp_lt_i16_e32 vcc_lo, v102, v87
	v_add_nc_u16 v87, v112, v103
	v_add_nc_u16 v82, v82, v113
	v_mul_i32_i24_sdwa v103, sext(v51), v48 dst_sel:DWORD dst_unused:UNUSED_PAD src0_sel:WORD_0 src1_sel:DWORD
	v_mul_i32_i24_sdwa v113, sext(v98), v48 dst_sel:DWORD dst_unused:UNUSED_PAD src0_sel:WORD_0 src1_sel:DWORD
	v_cndmask_b32_e32 v102, v55, v101, vcc_lo
	v_cndmask_b32_e32 v55, v101, v55, vcc_lo
	v_mul_i32_i24_sdwa v101, sext(v83), v48 dst_sel:DWORD dst_unused:UNUSED_PAD src0_sel:WORD_0 src1_sel:DWORD
	v_cmp_lt_i16_e32 vcc_lo, v87, v82
	v_lshrrev_b32_e32 v87, 31, v103
	v_ashrrev_i32_e32 v103, 18, v103
	v_mul_i32_i24_sdwa v117, sext(v81), v48 dst_sel:DWORD dst_unused:UNUSED_PAD src0_sel:WORD_0 src1_sel:DWORD
	v_lshrrev_b32_e32 v112, 31, v101
	v_ashrrev_i32_e32 v101, 18, v101
	v_cndmask_b32_e32 v82, v80, v49, vcc_lo
	v_cndmask_b32_e32 v49, v49, v80, vcc_lo
	v_mul_i32_i24_sdwa v80, sext(v115), v48 dst_sel:DWORD dst_unused:UNUSED_PAD src0_sel:WORD_0 src1_sel:DWORD
	v_add_nc_u16 v87, v103, v87
	v_add_nc_u16 v101, v101, v112
	v_lshrrev_b32_e32 v103, 31, v113
	v_ashrrev_i32_e32 v112, 18, v113
	v_lshrrev_b32_e32 v113, 31, v80
	v_ashrrev_i32_e32 v80, 18, v80
	v_cmp_lt_i16_e32 vcc_lo, v87, v101
	v_mul_i32_i24_sdwa v87, sext(v96), v48 dst_sel:DWORD dst_unused:UNUSED_PAD src0_sel:WORD_0 src1_sel:DWORD
	v_add_nc_u16 v101, v112, v103
	v_lshrrev_b32_e32 v103, 31, v117
	v_add_nc_u16 v80, v80, v113
	v_ashrrev_i32_e32 v112, 18, v117
	v_lshrrev_b32_e32 v113, 31, v87
	v_ashrrev_i32_e32 v87, 18, v87
	v_cndmask_b32_e32 v117, v51, v83, vcc_lo
	v_cndmask_b32_e32 v51, v83, v51, vcc_lo
	v_cmp_lt_i16_e32 vcc_lo, v101, v80
	v_add_nc_u16 v80, v112, v103
	v_add_nc_u16 v83, v87, v113
	v_mul_i32_i24_sdwa v101, sext(v52), v48 dst_sel:DWORD dst_unused:UNUSED_PAD src0_sel:WORD_0 src1_sel:DWORD
	v_mul_i32_i24_sdwa v103, sext(v64), v48 dst_sel:DWORD dst_unused:UNUSED_PAD src0_sel:WORD_0 src1_sel:DWORD
	v_cndmask_b32_e32 v87, v98, v115, vcc_lo
	v_cndmask_b32_e32 v98, v115, v98, vcc_lo
	v_cmp_lt_i16_e32 vcc_lo, v80, v83
	v_lshrrev_b32_e32 v83, 31, v101
	v_ashrrev_i32_e32 v101, 18, v101
	v_lshrrev_b32_e32 v112, 31, v103
	v_ashrrev_i32_e32 v103, 18, v103
	v_cndmask_b32_e32 v80, v81, v96, vcc_lo
	v_mul_i32_i24_sdwa v113, sext(v99), v48 dst_sel:DWORD dst_unused:UNUSED_PAD src0_sel:WORD_0 src1_sel:DWORD
	v_cndmask_b32_e32 v81, v96, v81, vcc_lo
	v_mul_i32_i24_sdwa v96, sext(v114), v48 dst_sel:DWORD dst_unused:UNUSED_PAD src0_sel:WORD_0 src1_sel:DWORD
	v_add_nc_u16 v83, v101, v83
	v_add_nc_u16 v101, v103, v112
	v_lshrrev_b32_e32 v103, 31, v113
	v_ashrrev_i32_e32 v112, 18, v113
	v_lshrrev_b32_e32 v113, 31, v96
	v_ashrrev_i32_e32 v96, 18, v96
	v_mul_i32_i24_sdwa v115, sext(v71), v48 dst_sel:DWORD dst_unused:UNUSED_PAD src0_sel:WORD_0 src1_sel:DWORD
	v_cmp_lt_i16_e32 vcc_lo, v83, v101
	v_mul_i32_i24_sdwa v83, sext(v84), v48 dst_sel:DWORD dst_unused:UNUSED_PAD src0_sel:WORD_0 src1_sel:DWORD
	v_add_nc_u16 v101, v112, v103
	v_add_nc_u16 v96, v96, v113
	v_lshrrev_b32_e32 v103, 31, v115
	v_ashrrev_i32_e32 v112, 18, v115
	v_lshrrev_b32_e32 v113, 31, v83
	v_ashrrev_i32_e32 v83, 18, v83
	v_cndmask_b32_e32 v115, v52, v64, vcc_lo
	v_cndmask_b32_e32 v52, v64, v52, vcc_lo
	v_cmp_lt_i16_e32 vcc_lo, v101, v96
	v_add_nc_u16 v64, v112, v103
	v_add_nc_u16 v83, v83, v113
	v_mul_i32_i24_sdwa v101, sext(v53), v48 dst_sel:DWORD dst_unused:UNUSED_PAD src0_sel:WORD_0 src1_sel:DWORD
	v_mul_i32_i24_sdwa v103, sext(v70), v48 dst_sel:DWORD dst_unused:UNUSED_PAD src0_sel:WORD_0 src1_sel:DWORD
	v_cndmask_b32_e32 v96, v99, v114, vcc_lo
	v_cndmask_b32_e32 v99, v114, v99, vcc_lo
	v_cmp_lt_i16_e32 vcc_lo, v64, v83
	v_lshrrev_b32_e32 v83, 31, v101
	v_ashrrev_i32_e32 v101, 18, v101
	v_lshrrev_b32_e32 v112, 31, v103
	v_ashrrev_i32_e32 v103, 18, v103
	v_cndmask_b32_e32 v64, v71, v84, vcc_lo
	v_mul_i32_i24_sdwa v113, sext(v100), v48 dst_sel:DWORD dst_unused:UNUSED_PAD src0_sel:WORD_0 src1_sel:DWORD
	v_cndmask_b32_e32 v71, v84, v71, vcc_lo
	v_mul_i32_i24_sdwa v84, sext(v116), v48 dst_sel:DWORD dst_unused:UNUSED_PAD src0_sel:WORD_0 src1_sel:DWORD
	v_add_nc_u16 v83, v101, v83
	v_add_nc_u16 v101, v103, v112
	v_lshrrev_b32_e32 v103, 31, v113
	v_ashrrev_i32_e32 v112, 18, v113
	v_lshrrev_b32_e32 v113, 31, v84
	v_ashrrev_i32_e32 v84, 18, v84
	v_mul_i32_i24_sdwa v114, sext(v69), v48 dst_sel:DWORD dst_unused:UNUSED_PAD src0_sel:WORD_0 src1_sel:DWORD
	v_cmp_lt_i16_e32 vcc_lo, v83, v101
	v_mul_i32_i24_sdwa v83, sext(v85), v48 dst_sel:DWORD dst_unused:UNUSED_PAD src0_sel:WORD_0 src1_sel:DWORD
	v_add_nc_u16 v101, v112, v103
	v_add_nc_u16 v84, v84, v113
	v_lshrrev_b32_e32 v103, 31, v114
	;; [unrolled: 33-line block ×4, first 2 shown]
	v_ashrrev_i32_e32 v112, 18, v119
	v_lshrrev_b32_e32 v113, 31, v83
	v_ashrrev_i32_e32 v83, 18, v83
	v_cndmask_b32_e32 v119, v67, v118, vcc_lo
	v_cndmask_b32_e32 v67, v118, v67, vcc_lo
	v_cmp_lt_i16_e32 vcc_lo, v101, v86
	v_add_nc_u16 v86, v112, v103
	v_add_nc_u16 v83, v83, v113
	v_mul_i32_i24_sdwa v103, sext(v51), v48 dst_sel:DWORD dst_unused:UNUSED_PAD src0_sel:WORD_0 src1_sel:DWORD
	v_mul_i32_i24_sdwa v113, sext(v98), v48 dst_sel:DWORD dst_unused:UNUSED_PAD src0_sel:WORD_0 src1_sel:DWORD
	v_cndmask_b32_e32 v101, v68, v102, vcc_lo
	v_cndmask_b32_e32 v68, v102, v68, vcc_lo
	v_mul_i32_i24_sdwa v102, sext(v82), v48 dst_sel:DWORD dst_unused:UNUSED_PAD src0_sel:WORD_0 src1_sel:DWORD
	v_cmp_lt_i16_e32 vcc_lo, v86, v83
	v_lshrrev_b32_e32 v86, 31, v103
	v_ashrrev_i32_e32 v103, 18, v103
	v_mul_i32_i24_sdwa v118, sext(v81), v48 dst_sel:DWORD dst_unused:UNUSED_PAD src0_sel:WORD_0 src1_sel:DWORD
	v_lshrrev_b32_e32 v112, 31, v102
	v_ashrrev_i32_e32 v102, 18, v102
	v_cndmask_b32_e32 v83, v55, v50, vcc_lo
	v_cndmask_b32_e32 v50, v50, v55, vcc_lo
	v_mul_i32_i24_sdwa v55, sext(v117), v48 dst_sel:DWORD dst_unused:UNUSED_PAD src0_sel:WORD_0 src1_sel:DWORD
	v_add_nc_u16 v86, v103, v86
	v_add_nc_u16 v102, v102, v112
	v_lshrrev_b32_e32 v103, 31, v113
	v_ashrrev_i32_e32 v112, 18, v113
	v_lshrrev_b32_e32 v113, 31, v55
	v_ashrrev_i32_e32 v55, 18, v55
	v_cmp_lt_i16_e32 vcc_lo, v86, v102
	v_mul_i32_i24_sdwa v86, sext(v87), v48 dst_sel:DWORD dst_unused:UNUSED_PAD src0_sel:WORD_0 src1_sel:DWORD
	v_add_nc_u16 v102, v112, v103
	v_lshrrev_b32_e32 v103, 31, v118
	v_add_nc_u16 v55, v55, v113
	v_ashrrev_i32_e32 v112, 18, v118
	v_lshrrev_b32_e32 v113, 31, v86
	v_ashrrev_i32_e32 v86, 18, v86
	v_cndmask_b32_e32 v118, v51, v82, vcc_lo
	v_cndmask_b32_e32 v51, v82, v51, vcc_lo
	v_cmp_lt_i16_e32 vcc_lo, v102, v55
	v_add_nc_u16 v55, v112, v103
	v_add_nc_u16 v82, v86, v113
	v_mul_i32_i24_sdwa v102, sext(v52), v48 dst_sel:DWORD dst_unused:UNUSED_PAD src0_sel:WORD_0 src1_sel:DWORD
	v_mul_i32_i24_sdwa v103, sext(v80), v48 dst_sel:DWORD dst_unused:UNUSED_PAD src0_sel:WORD_0 src1_sel:DWORD
	v_cndmask_b32_e32 v86, v98, v117, vcc_lo
	v_cndmask_b32_e32 v98, v117, v98, vcc_lo
	v_cmp_lt_i16_e32 vcc_lo, v55, v82
	v_lshrrev_b32_e32 v82, 31, v102
	v_ashrrev_i32_e32 v102, 18, v102
	v_lshrrev_b32_e32 v112, 31, v103
	v_ashrrev_i32_e32 v103, 18, v103
	v_cndmask_b32_e32 v55, v81, v87, vcc_lo
	v_mul_i32_i24_sdwa v113, sext(v99), v48 dst_sel:DWORD dst_unused:UNUSED_PAD src0_sel:WORD_0 src1_sel:DWORD
	v_cndmask_b32_e32 v81, v87, v81, vcc_lo
	v_mul_i32_i24_sdwa v87, sext(v115), v48 dst_sel:DWORD dst_unused:UNUSED_PAD src0_sel:WORD_0 src1_sel:DWORD
	v_add_nc_u16 v82, v102, v82
	v_add_nc_u16 v102, v103, v112
	v_lshrrev_b32_e32 v103, 31, v113
	v_ashrrev_i32_e32 v112, 18, v113
	v_lshrrev_b32_e32 v113, 31, v87
	v_ashrrev_i32_e32 v87, 18, v87
	v_mul_i32_i24_sdwa v117, sext(v71), v48 dst_sel:DWORD dst_unused:UNUSED_PAD src0_sel:WORD_0 src1_sel:DWORD
	v_cmp_lt_i16_e32 vcc_lo, v82, v102
	v_mul_i32_i24_sdwa v82, sext(v96), v48 dst_sel:DWORD dst_unused:UNUSED_PAD src0_sel:WORD_0 src1_sel:DWORD
	v_add_nc_u16 v102, v112, v103
	v_add_nc_u16 v87, v87, v113
	v_lshrrev_b32_e32 v103, 31, v117
	v_ashrrev_i32_e32 v112, 18, v117
	v_lshrrev_b32_e32 v113, 31, v82
	v_ashrrev_i32_e32 v82, 18, v82
	v_cndmask_b32_e32 v117, v52, v80, vcc_lo
	v_cndmask_b32_e32 v52, v80, v52, vcc_lo
	v_cmp_lt_i16_e32 vcc_lo, v102, v87
	v_add_nc_u16 v80, v112, v103
	v_add_nc_u16 v82, v82, v113
	v_mul_i32_i24_sdwa v102, sext(v53), v48 dst_sel:DWORD dst_unused:UNUSED_PAD src0_sel:WORD_0 src1_sel:DWORD
	v_mul_i32_i24_sdwa v103, sext(v64), v48 dst_sel:DWORD dst_unused:UNUSED_PAD src0_sel:WORD_0 src1_sel:DWORD
	v_cndmask_b32_e32 v87, v99, v115, vcc_lo
	v_cndmask_b32_e32 v99, v115, v99, vcc_lo
	v_cmp_lt_i16_e32 vcc_lo, v80, v82
	v_lshrrev_b32_e32 v82, 31, v102
	v_ashrrev_i32_e32 v102, 18, v102
	v_lshrrev_b32_e32 v112, 31, v103
	v_ashrrev_i32_e32 v103, 18, v103
	v_cndmask_b32_e32 v80, v71, v96, vcc_lo
	v_mul_i32_i24_sdwa v113, sext(v100), v48 dst_sel:DWORD dst_unused:UNUSED_PAD src0_sel:WORD_0 src1_sel:DWORD
	v_cndmask_b32_e32 v71, v96, v71, vcc_lo
	v_mul_i32_i24_sdwa v96, sext(v114), v48 dst_sel:DWORD dst_unused:UNUSED_PAD src0_sel:WORD_0 src1_sel:DWORD
	v_add_nc_u16 v82, v102, v82
	v_add_nc_u16 v102, v103, v112
	v_lshrrev_b32_e32 v103, 31, v113
	v_ashrrev_i32_e32 v112, 18, v113
	v_lshrrev_b32_e32 v113, 31, v96
	v_ashrrev_i32_e32 v96, 18, v96
	v_mul_i32_i24_sdwa v115, sext(v69), v48 dst_sel:DWORD dst_unused:UNUSED_PAD src0_sel:WORD_0 src1_sel:DWORD
	v_cmp_lt_i16_e32 vcc_lo, v82, v102
	v_mul_i32_i24_sdwa v82, sext(v84), v48 dst_sel:DWORD dst_unused:UNUSED_PAD src0_sel:WORD_0 src1_sel:DWORD
	v_add_nc_u16 v102, v112, v103
	v_add_nc_u16 v96, v96, v113
	v_lshrrev_b32_e32 v103, 31, v115
	v_ashrrev_i32_e32 v112, 18, v115
	v_lshrrev_b32_e32 v113, 31, v82
	v_ashrrev_i32_e32 v82, 18, v82
	v_cndmask_b32_e32 v115, v53, v64, vcc_lo
	v_cndmask_b32_e32 v53, v64, v53, vcc_lo
	v_cmp_lt_i16_e32 vcc_lo, v102, v96
	v_add_nc_u16 v64, v112, v103
	v_add_nc_u16 v82, v82, v113
	v_mul_i32_i24_sdwa v102, sext(v54), v48 dst_sel:DWORD dst_unused:UNUSED_PAD src0_sel:WORD_0 src1_sel:DWORD
	v_mul_i32_i24_sdwa v103, sext(v70), v48 dst_sel:DWORD dst_unused:UNUSED_PAD src0_sel:WORD_0 src1_sel:DWORD
	v_cndmask_b32_e32 v96, v100, v114, vcc_lo
	v_cndmask_b32_e32 v100, v114, v100, vcc_lo
	v_cmp_lt_i16_e32 vcc_lo, v64, v82
	v_lshrrev_b32_e32 v82, 31, v102
	v_ashrrev_i32_e32 v102, 18, v102
	v_lshrrev_b32_e32 v112, 31, v103
	v_ashrrev_i32_e32 v103, 18, v103
	v_cndmask_b32_e32 v64, v69, v84, vcc_lo
	v_mul_i32_i24_sdwa v113, sext(v97), v48 dst_sel:DWORD dst_unused:UNUSED_PAD src0_sel:WORD_0 src1_sel:DWORD
	v_cndmask_b32_e32 v69, v84, v69, vcc_lo
	v_mul_i32_i24_sdwa v84, sext(v116), v48 dst_sel:DWORD dst_unused:UNUSED_PAD src0_sel:WORD_0 src1_sel:DWORD
	v_add_nc_u16 v82, v102, v82
	v_add_nc_u16 v102, v103, v112
	v_lshrrev_b32_e32 v103, 31, v113
	v_ashrrev_i32_e32 v112, 18, v113
	v_lshrrev_b32_e32 v113, 31, v84
	v_ashrrev_i32_e32 v84, 18, v84
	v_mul_i32_i24_sdwa v114, sext(v66), v48 dst_sel:DWORD dst_unused:UNUSED_PAD src0_sel:WORD_0 src1_sel:DWORD
	v_cmp_lt_i16_e32 vcc_lo, v82, v102
	v_mul_i32_i24_sdwa v82, sext(v85), v48 dst_sel:DWORD dst_unused:UNUSED_PAD src0_sel:WORD_0 src1_sel:DWORD
	v_add_nc_u16 v102, v112, v103
	v_add_nc_u16 v84, v84, v113
	v_lshrrev_b32_e32 v103, 31, v114
	v_ashrrev_i32_e32 v112, 18, v114
	v_lshrrev_b32_e32 v113, 31, v82
	v_ashrrev_i32_e32 v82, 18, v82
	v_cndmask_b32_e32 v114, v54, v70, vcc_lo
	v_cndmask_b32_e32 v54, v70, v54, vcc_lo
	v_cmp_lt_i16_e32 vcc_lo, v102, v84
	v_add_nc_u16 v70, v112, v103
	v_add_nc_u16 v82, v82, v113
	v_mul_i32_i24_sdwa v102, sext(v119), v48 dst_sel:DWORD dst_unused:UNUSED_PAD src0_sel:WORD_0 src1_sel:DWORD
	v_mul_i32_i24_sdwa v103, sext(v65), v48 dst_sel:DWORD dst_unused:UNUSED_PAD src0_sel:WORD_0 src1_sel:DWORD
	v_cndmask_b32_e32 v84, v97, v116, vcc_lo
	v_cndmask_b32_e32 v97, v116, v97, vcc_lo
	v_cmp_lt_i16_e32 vcc_lo, v70, v82
	v_lshrrev_b32_e32 v82, 31, v102
	v_ashrrev_i32_e32 v102, 18, v102
	v_lshrrev_b32_e32 v112, 31, v103
	v_ashrrev_i32_e32 v103, 18, v103
	v_cndmask_b32_e32 v70, v66, v85, vcc_lo
	v_mul_i32_i24_sdwa v113, sext(v101), v48 dst_sel:DWORD dst_unused:UNUSED_PAD src0_sel:WORD_0 src1_sel:DWORD
	v_cndmask_b32_e32 v66, v85, v66, vcc_lo
	v_mul_i32_i24_sdwa v85, sext(v67), v48 dst_sel:DWORD dst_unused:UNUSED_PAD src0_sel:WORD_0 src1_sel:DWORD
	v_add_nc_u16 v82, v102, v82
	v_add_nc_u16 v102, v103, v112
	v_lshrrev_b32_e32 v103, 31, v113
	v_ashrrev_i32_e32 v112, 18, v113
	v_lshrrev_b32_e32 v113, 31, v85
	v_ashrrev_i32_e32 v85, 18, v85
	v_mul_i32_i24_sdwa v116, sext(v83), v48 dst_sel:DWORD dst_unused:UNUSED_PAD src0_sel:WORD_0 src1_sel:DWORD
	v_cmp_lt_i16_e32 vcc_lo, v82, v102
	v_mul_i32_i24_sdwa v82, sext(v68), v48 dst_sel:DWORD dst_unused:UNUSED_PAD src0_sel:WORD_0 src1_sel:DWORD
	v_add_nc_u16 v102, v112, v103
	v_add_nc_u16 v85, v85, v113
	v_lshrrev_b32_e32 v103, 31, v116
	v_ashrrev_i32_e32 v112, 18, v116
	v_lshrrev_b32_e32 v113, 31, v82
	v_ashrrev_i32_e32 v82, 18, v82
	v_cndmask_b32_e32 v116, v65, v119, vcc_lo
	v_cndmask_b32_e32 v65, v119, v65, vcc_lo
	v_cmp_lt_i16_e32 vcc_lo, v102, v85
	v_add_nc_u16 v85, v112, v103
	v_add_nc_u16 v82, v82, v113
	v_mul_i32_i24_sdwa v103, sext(v51), v48 dst_sel:DWORD dst_unused:UNUSED_PAD src0_sel:WORD_0 src1_sel:DWORD
	v_mul_i32_i24_sdwa v113, sext(v98), v48 dst_sel:DWORD dst_unused:UNUSED_PAD src0_sel:WORD_0 src1_sel:DWORD
	v_cndmask_b32_e32 v102, v67, v101, vcc_lo
	v_cndmask_b32_e32 v67, v101, v67, vcc_lo
	v_mul_i32_i24_sdwa v101, sext(v49), v48 dst_sel:DWORD dst_unused:UNUSED_PAD src0_sel:WORD_0 src1_sel:DWORD
	v_cmp_lt_i16_e32 vcc_lo, v85, v82
	v_lshrrev_b32_e32 v85, 31, v103
	v_ashrrev_i32_e32 v103, 18, v103
	v_mul_i32_i24_sdwa v119, sext(v81), v48 dst_sel:DWORD dst_unused:UNUSED_PAD src0_sel:WORD_0 src1_sel:DWORD
	v_lshrrev_b32_e32 v112, 31, v101
	v_ashrrev_i32_e32 v101, 18, v101
	v_cndmask_b32_e32 v82, v68, v83, vcc_lo
	v_cndmask_b32_e32 v68, v83, v68, vcc_lo
	v_mul_i32_i24_sdwa v83, sext(v118), v48 dst_sel:DWORD dst_unused:UNUSED_PAD src0_sel:WORD_0 src1_sel:DWORD
	v_add_nc_u16 v85, v103, v85
	v_add_nc_u16 v101, v101, v112
	v_lshrrev_b32_e32 v103, 31, v113
	v_ashrrev_i32_e32 v112, 18, v113
	v_lshrrev_b32_e32 v113, 31, v83
	v_ashrrev_i32_e32 v83, 18, v83
	v_cmp_lt_i16_e32 vcc_lo, v85, v101
	v_mul_i32_i24_sdwa v85, sext(v86), v48 dst_sel:DWORD dst_unused:UNUSED_PAD src0_sel:WORD_0 src1_sel:DWORD
	v_add_nc_u16 v101, v112, v103
	v_lshrrev_b32_e32 v103, 31, v119
	v_add_nc_u16 v83, v83, v113
	v_ashrrev_i32_e32 v112, 18, v119
	v_lshrrev_b32_e32 v113, 31, v85
	v_ashrrev_i32_e32 v85, 18, v85
	v_cndmask_b32_e32 v119, v51, v49, vcc_lo
	v_cndmask_b32_e32 v49, v49, v51, vcc_lo
	v_cmp_lt_i16_e32 vcc_lo, v101, v83
	v_add_nc_u16 v51, v112, v103
	v_add_nc_u16 v83, v85, v113
	v_mul_i32_i24_sdwa v101, sext(v52), v48 dst_sel:DWORD dst_unused:UNUSED_PAD src0_sel:WORD_0 src1_sel:DWORD
	v_mul_i32_i24_sdwa v103, sext(v55), v48 dst_sel:DWORD dst_unused:UNUSED_PAD src0_sel:WORD_0 src1_sel:DWORD
	v_cndmask_b32_e32 v85, v98, v118, vcc_lo
	v_cndmask_b32_e32 v98, v118, v98, vcc_lo
	v_cmp_lt_i16_e32 vcc_lo, v51, v83
	v_lshrrev_b32_e32 v83, 31, v101
	v_ashrrev_i32_e32 v101, 18, v101
	v_lshrrev_b32_e32 v112, 31, v103
	v_ashrrev_i32_e32 v103, 18, v103
	v_cndmask_b32_e32 v51, v81, v86, vcc_lo
	v_mul_i32_i24_sdwa v113, sext(v99), v48 dst_sel:DWORD dst_unused:UNUSED_PAD src0_sel:WORD_0 src1_sel:DWORD
	v_cndmask_b32_e32 v81, v86, v81, vcc_lo
	v_mul_i32_i24_sdwa v86, sext(v117), v48 dst_sel:DWORD dst_unused:UNUSED_PAD src0_sel:WORD_0 src1_sel:DWORD
	v_add_nc_u16 v83, v101, v83
	v_add_nc_u16 v101, v103, v112
	v_lshrrev_b32_e32 v103, 31, v113
	v_ashrrev_i32_e32 v112, 18, v113
	v_lshrrev_b32_e32 v113, 31, v86
	v_ashrrev_i32_e32 v86, 18, v86
	v_mul_i32_i24_sdwa v118, sext(v71), v48 dst_sel:DWORD dst_unused:UNUSED_PAD src0_sel:WORD_0 src1_sel:DWORD
	v_cmp_lt_i16_e32 vcc_lo, v83, v101
	v_mul_i32_i24_sdwa v83, sext(v87), v48 dst_sel:DWORD dst_unused:UNUSED_PAD src0_sel:WORD_0 src1_sel:DWORD
	v_add_nc_u16 v101, v112, v103
	v_add_nc_u16 v86, v86, v113
	v_lshrrev_b32_e32 v103, 31, v118
	v_ashrrev_i32_e32 v112, 18, v118
	v_lshrrev_b32_e32 v113, 31, v83
	v_ashrrev_i32_e32 v83, 18, v83
	v_cndmask_b32_e32 v118, v52, v55, vcc_lo
	v_cndmask_b32_e32 v52, v55, v52, vcc_lo
	v_cmp_lt_i16_e32 vcc_lo, v101, v86
	v_add_nc_u16 v55, v112, v103
	v_add_nc_u16 v83, v83, v113
	v_mul_i32_i24_sdwa v101, sext(v53), v48 dst_sel:DWORD dst_unused:UNUSED_PAD src0_sel:WORD_0 src1_sel:DWORD
	v_mul_i32_i24_sdwa v103, sext(v80), v48 dst_sel:DWORD dst_unused:UNUSED_PAD src0_sel:WORD_0 src1_sel:DWORD
	v_cndmask_b32_e32 v86, v99, v117, vcc_lo
	v_cndmask_b32_e32 v99, v117, v99, vcc_lo
	v_cmp_lt_i16_e32 vcc_lo, v55, v83
	v_lshrrev_b32_e32 v83, 31, v101
	v_ashrrev_i32_e32 v101, 18, v101
	v_lshrrev_b32_e32 v112, 31, v103
	v_ashrrev_i32_e32 v103, 18, v103
	v_cndmask_b32_e32 v55, v71, v87, vcc_lo
	v_mul_i32_i24_sdwa v113, sext(v100), v48 dst_sel:DWORD dst_unused:UNUSED_PAD src0_sel:WORD_0 src1_sel:DWORD
	v_cndmask_b32_e32 v71, v87, v71, vcc_lo
	v_mul_i32_i24_sdwa v87, sext(v115), v48 dst_sel:DWORD dst_unused:UNUSED_PAD src0_sel:WORD_0 src1_sel:DWORD
	v_add_nc_u16 v83, v101, v83
	v_add_nc_u16 v101, v103, v112
	v_lshrrev_b32_e32 v103, 31, v113
	v_ashrrev_i32_e32 v112, 18, v113
	v_lshrrev_b32_e32 v113, 31, v87
	v_ashrrev_i32_e32 v87, 18, v87
	v_mul_i32_i24_sdwa v117, sext(v69), v48 dst_sel:DWORD dst_unused:UNUSED_PAD src0_sel:WORD_0 src1_sel:DWORD
	v_cmp_lt_i16_e32 vcc_lo, v83, v101
	v_mul_i32_i24_sdwa v83, sext(v96), v48 dst_sel:DWORD dst_unused:UNUSED_PAD src0_sel:WORD_0 src1_sel:DWORD
	v_add_nc_u16 v101, v112, v103
	v_add_nc_u16 v87, v87, v113
	v_lshrrev_b32_e32 v103, 31, v117
	;; [unrolled: 33-line block ×4, first 2 shown]
	v_ashrrev_i32_e32 v112, 18, v114
	v_lshrrev_b32_e32 v113, 31, v83
	v_ashrrev_i32_e32 v83, 18, v83
	v_cndmask_b32_e32 v114, v116, v70, vcc_lo
	v_cndmask_b32_e32 v70, v70, v116, vcc_lo
	v_cmp_lt_i16_e32 vcc_lo, v101, v84
	v_add_nc_u16 v84, v112, v103
	v_add_nc_u16 v83, v83, v113
	v_mul_i32_i24_sdwa v103, sext(v50), v48 dst_sel:DWORD dst_unused:UNUSED_PAD src0_sel:WORD_0 src1_sel:DWORD
	v_mul_i32_i24_sdwa v113, sext(v98), v48 dst_sel:DWORD dst_unused:UNUSED_PAD src0_sel:WORD_0 src1_sel:DWORD
	v_cndmask_b32_e32 v101, v65, v102, vcc_lo
	v_cndmask_b32_e32 v65, v102, v65, vcc_lo
	v_mul_i32_i24_sdwa v102, sext(v68), v48 dst_sel:DWORD dst_unused:UNUSED_PAD src0_sel:WORD_0 src1_sel:DWORD
	v_cmp_lt_i16_e32 vcc_lo, v84, v83
	v_lshrrev_b32_e32 v84, 31, v103
	v_ashrrev_i32_e32 v103, 18, v103
	v_mul_i32_i24_sdwa v116, sext(v81), v48 dst_sel:DWORD dst_unused:UNUSED_PAD src0_sel:WORD_0 src1_sel:DWORD
	v_lshrrev_b32_e32 v112, 31, v102
	v_ashrrev_i32_e32 v102, 18, v102
	v_cndmask_b32_e32 v83, v67, v82, vcc_lo
	v_cndmask_b32_e32 v67, v82, v67, vcc_lo
	v_mul_i32_i24_sdwa v82, sext(v119), v48 dst_sel:DWORD dst_unused:UNUSED_PAD src0_sel:WORD_0 src1_sel:DWORD
	v_add_nc_u16 v84, v103, v84
	v_add_nc_u16 v102, v102, v112
	v_lshrrev_b32_e32 v103, 31, v113
	v_ashrrev_i32_e32 v112, 18, v113
	v_lshrrev_b32_e32 v113, 31, v82
	v_ashrrev_i32_e32 v82, 18, v82
	v_cmp_lt_i16_e32 vcc_lo, v84, v102
	v_mul_i32_i24_sdwa v84, sext(v85), v48 dst_sel:DWORD dst_unused:UNUSED_PAD src0_sel:WORD_0 src1_sel:DWORD
	v_add_nc_u16 v102, v112, v103
	v_lshrrev_b32_e32 v103, 31, v116
	v_add_nc_u16 v82, v82, v113
	v_ashrrev_i32_e32 v112, 18, v116
	v_lshrrev_b32_e32 v113, 31, v84
	v_ashrrev_i32_e32 v84, 18, v84
	v_cndmask_b32_e32 v116, v68, v50, vcc_lo
	v_cndmask_b32_e32 v50, v50, v68, vcc_lo
	v_cmp_lt_i16_e32 vcc_lo, v102, v82
	v_add_nc_u16 v68, v112, v103
	v_add_nc_u16 v82, v84, v113
	v_mul_i32_i24_sdwa v102, sext(v52), v48 dst_sel:DWORD dst_unused:UNUSED_PAD src0_sel:WORD_0 src1_sel:DWORD
	v_mul_i32_i24_sdwa v103, sext(v51), v48 dst_sel:DWORD dst_unused:UNUSED_PAD src0_sel:WORD_0 src1_sel:DWORD
	v_cndmask_b32_e32 v84, v98, v119, vcc_lo
	v_cndmask_b32_e32 v98, v119, v98, vcc_lo
	v_cmp_lt_i16_e32 vcc_lo, v68, v82
	v_lshrrev_b32_e32 v82, 31, v102
	v_ashrrev_i32_e32 v102, 18, v102
	v_lshrrev_b32_e32 v112, 31, v103
	v_ashrrev_i32_e32 v103, 18, v103
	v_cndmask_b32_e32 v68, v81, v85, vcc_lo
	v_mul_i32_i24_sdwa v113, sext(v99), v48 dst_sel:DWORD dst_unused:UNUSED_PAD src0_sel:WORD_0 src1_sel:DWORD
	v_cndmask_b32_e32 v81, v85, v81, vcc_lo
	v_mul_i32_i24_sdwa v85, sext(v118), v48 dst_sel:DWORD dst_unused:UNUSED_PAD src0_sel:WORD_0 src1_sel:DWORD
	v_add_nc_u16 v82, v102, v82
	v_add_nc_u16 v102, v103, v112
	v_lshrrev_b32_e32 v103, 31, v113
	v_ashrrev_i32_e32 v112, 18, v113
	v_lshrrev_b32_e32 v113, 31, v85
	v_ashrrev_i32_e32 v85, 18, v85
	v_mul_i32_i24_sdwa v119, sext(v71), v48 dst_sel:DWORD dst_unused:UNUSED_PAD src0_sel:WORD_0 src1_sel:DWORD
	v_cmp_lt_i16_e32 vcc_lo, v82, v102
	v_mul_i32_i24_sdwa v82, sext(v86), v48 dst_sel:DWORD dst_unused:UNUSED_PAD src0_sel:WORD_0 src1_sel:DWORD
	v_add_nc_u16 v102, v112, v103
	v_add_nc_u16 v85, v85, v113
	v_lshrrev_b32_e32 v103, 31, v119
	v_ashrrev_i32_e32 v112, 18, v119
	v_lshrrev_b32_e32 v113, 31, v82
	v_ashrrev_i32_e32 v82, 18, v82
	v_cndmask_b32_e32 v119, v52, v51, vcc_lo
	v_cndmask_b32_e32 v51, v51, v52, vcc_lo
	v_cmp_lt_i16_e32 vcc_lo, v102, v85
	v_add_nc_u16 v52, v112, v103
	v_add_nc_u16 v82, v82, v113
	v_mul_i32_i24_sdwa v102, sext(v53), v48 dst_sel:DWORD dst_unused:UNUSED_PAD src0_sel:WORD_0 src1_sel:DWORD
	v_mul_i32_i24_sdwa v103, sext(v55), v48 dst_sel:DWORD dst_unused:UNUSED_PAD src0_sel:WORD_0 src1_sel:DWORD
	v_cndmask_b32_e32 v85, v99, v118, vcc_lo
	v_cndmask_b32_e32 v99, v118, v99, vcc_lo
	v_cmp_lt_i16_e32 vcc_lo, v52, v82
	v_lshrrev_b32_e32 v82, 31, v102
	v_ashrrev_i32_e32 v102, 18, v102
	v_lshrrev_b32_e32 v112, 31, v103
	v_ashrrev_i32_e32 v103, 18, v103
	v_cndmask_b32_e32 v52, v71, v86, vcc_lo
	v_mul_i32_i24_sdwa v113, sext(v100), v48 dst_sel:DWORD dst_unused:UNUSED_PAD src0_sel:WORD_0 src1_sel:DWORD
	v_cndmask_b32_e32 v71, v86, v71, vcc_lo
	v_mul_i32_i24_sdwa v86, sext(v117), v48 dst_sel:DWORD dst_unused:UNUSED_PAD src0_sel:WORD_0 src1_sel:DWORD
	v_add_nc_u16 v82, v102, v82
	v_add_nc_u16 v102, v103, v112
	v_lshrrev_b32_e32 v103, 31, v113
	v_ashrrev_i32_e32 v112, 18, v113
	v_lshrrev_b32_e32 v113, 31, v86
	v_ashrrev_i32_e32 v86, 18, v86
	v_mul_i32_i24_sdwa v118, sext(v69), v48 dst_sel:DWORD dst_unused:UNUSED_PAD src0_sel:WORD_0 src1_sel:DWORD
	v_cmp_lt_i16_e32 vcc_lo, v82, v102
	v_mul_i32_i24_sdwa v82, sext(v87), v48 dst_sel:DWORD dst_unused:UNUSED_PAD src0_sel:WORD_0 src1_sel:DWORD
	v_add_nc_u16 v102, v112, v103
	v_add_nc_u16 v86, v86, v113
	v_lshrrev_b32_e32 v103, 31, v118
	;; [unrolled: 33-line block ×5, first 2 shown]
	v_ashrrev_i32_e32 v112, 18, v114
	v_lshrrev_b32_e32 v113, 31, v82
	v_ashrrev_i32_e32 v82, 18, v82
	v_cndmask_b32_e32 v114, v67, v116, vcc_lo
	v_cndmask_b32_e32 v67, v116, v67, vcc_lo
	v_cmp_lt_i16_e32 vcc_lo, v102, v83
	v_add_nc_u16 v83, v112, v103
	v_add_nc_u16 v82, v82, v113
	v_mul_i32_i24_sdwa v103, sext(v51), v48 dst_sel:DWORD dst_unused:UNUSED_PAD src0_sel:WORD_0 src1_sel:DWORD
	v_mul_i32_i24_sdwa v113, sext(v99), v48 dst_sel:DWORD dst_unused:UNUSED_PAD src0_sel:WORD_0 src1_sel:DWORD
	v_cndmask_b32_e32 v102, v98, v49, vcc_lo
	v_cndmask_b32_e32 v49, v49, v98, vcc_lo
	v_mul_i32_i24_sdwa v98, sext(v68), v48 dst_sel:DWORD dst_unused:UNUSED_PAD src0_sel:WORD_0 src1_sel:DWORD
	v_cmp_lt_i16_e32 vcc_lo, v83, v82
	v_lshrrev_b32_e32 v83, 31, v103
	v_ashrrev_i32_e32 v103, 18, v103
	v_mul_i32_i24_sdwa v116, sext(v71), v48 dst_sel:DWORD dst_unused:UNUSED_PAD src0_sel:WORD_0 src1_sel:DWORD
	v_lshrrev_b32_e32 v112, 31, v98
	v_ashrrev_i32_e32 v98, 18, v98
	v_cndmask_b32_e32 v82, v81, v84, vcc_lo
	v_cndmask_b32_e32 v81, v84, v81, vcc_lo
	v_mul_i32_i24_sdwa v84, sext(v119), v48 dst_sel:DWORD dst_unused:UNUSED_PAD src0_sel:WORD_0 src1_sel:DWORD
	v_add_nc_u16 v83, v103, v83
	v_add_nc_u16 v98, v98, v112
	v_lshrrev_b32_e32 v103, 31, v113
	v_ashrrev_i32_e32 v112, 18, v113
	v_lshrrev_b32_e32 v113, 31, v84
	v_ashrrev_i32_e32 v84, 18, v84
	v_cmp_lt_i16_e32 vcc_lo, v83, v98
	v_mul_i32_i24_sdwa v83, sext(v85), v48 dst_sel:DWORD dst_unused:UNUSED_PAD src0_sel:WORD_0 src1_sel:DWORD
	v_add_nc_u16 v98, v112, v103
	v_lshrrev_b32_e32 v103, 31, v116
	v_add_nc_u16 v84, v84, v113
	v_ashrrev_i32_e32 v112, 18, v116
	v_lshrrev_b32_e32 v113, 31, v83
	v_ashrrev_i32_e32 v83, 18, v83
	v_cndmask_b32_e32 v116, v51, v68, vcc_lo
	v_cndmask_b32_e32 v51, v68, v51, vcc_lo
	v_cmp_lt_i16_e32 vcc_lo, v98, v84
	v_add_nc_u16 v68, v112, v103
	v_add_nc_u16 v83, v83, v113
	v_mul_i32_i24_sdwa v98, sext(v53), v48 dst_sel:DWORD dst_unused:UNUSED_PAD src0_sel:WORD_0 src1_sel:DWORD
	v_mul_i32_i24_sdwa v103, sext(v52), v48 dst_sel:DWORD dst_unused:UNUSED_PAD src0_sel:WORD_0 src1_sel:DWORD
	v_cndmask_b32_e32 v84, v99, v119, vcc_lo
	v_cndmask_b32_e32 v99, v119, v99, vcc_lo
	v_cmp_lt_i16_e32 vcc_lo, v68, v83
	v_lshrrev_b32_e32 v83, 31, v98
	v_ashrrev_i32_e32 v98, 18, v98
	v_lshrrev_b32_e32 v112, 31, v103
	v_ashrrev_i32_e32 v103, 18, v103
	v_cndmask_b32_e32 v68, v71, v85, vcc_lo
	v_mul_i32_i24_sdwa v113, sext(v100), v48 dst_sel:DWORD dst_unused:UNUSED_PAD src0_sel:WORD_0 src1_sel:DWORD
	v_cndmask_b32_e32 v71, v85, v71, vcc_lo
	v_mul_i32_i24_sdwa v85, sext(v118), v48 dst_sel:DWORD dst_unused:UNUSED_PAD src0_sel:WORD_0 src1_sel:DWORD
	v_add_nc_u16 v83, v98, v83
	v_add_nc_u16 v98, v103, v112
	v_lshrrev_b32_e32 v103, 31, v113
	v_ashrrev_i32_e32 v112, 18, v113
	v_lshrrev_b32_e32 v113, 31, v85
	v_ashrrev_i32_e32 v85, 18, v85
	v_mul_i32_i24_sdwa v119, sext(v69), v48 dst_sel:DWORD dst_unused:UNUSED_PAD src0_sel:WORD_0 src1_sel:DWORD
	v_cmp_lt_i16_e32 vcc_lo, v83, v98
	v_mul_i32_i24_sdwa v83, sext(v86), v48 dst_sel:DWORD dst_unused:UNUSED_PAD src0_sel:WORD_0 src1_sel:DWORD
	v_add_nc_u16 v98, v112, v103
	v_add_nc_u16 v85, v85, v113
	v_lshrrev_b32_e32 v103, 31, v119
	v_ashrrev_i32_e32 v112, 18, v119
	v_lshrrev_b32_e32 v113, 31, v83
	v_ashrrev_i32_e32 v83, 18, v83
	v_cndmask_b32_e32 v119, v53, v52, vcc_lo
	v_cndmask_b32_e32 v52, v52, v53, vcc_lo
	v_cmp_lt_i16_e32 vcc_lo, v98, v85
	v_add_nc_u16 v53, v112, v103
	v_add_nc_u16 v83, v83, v113
	v_mul_i32_i24_sdwa v98, sext(v54), v48 dst_sel:DWORD dst_unused:UNUSED_PAD src0_sel:WORD_0 src1_sel:DWORD
	v_mul_i32_i24_sdwa v103, sext(v55), v48 dst_sel:DWORD dst_unused:UNUSED_PAD src0_sel:WORD_0 src1_sel:DWORD
	v_cndmask_b32_e32 v85, v100, v118, vcc_lo
	v_cndmask_b32_e32 v100, v118, v100, vcc_lo
	v_cmp_lt_i16_e32 vcc_lo, v53, v83
	v_lshrrev_b32_e32 v83, 31, v98
	v_ashrrev_i32_e32 v98, 18, v98
	v_lshrrev_b32_e32 v112, 31, v103
	v_ashrrev_i32_e32 v103, 18, v103
	v_cndmask_b32_e32 v53, v69, v86, vcc_lo
	v_mul_i32_i24_sdwa v113, sext(v97), v48 dst_sel:DWORD dst_unused:UNUSED_PAD src0_sel:WORD_0 src1_sel:DWORD
	v_cndmask_b32_e32 v69, v86, v69, vcc_lo
	v_mul_i32_i24_sdwa v86, sext(v117), v48 dst_sel:DWORD dst_unused:UNUSED_PAD src0_sel:WORD_0 src1_sel:DWORD
	v_add_nc_u16 v83, v98, v83
	v_add_nc_u16 v98, v103, v112
	v_lshrrev_b32_e32 v103, 31, v113
	v_ashrrev_i32_e32 v112, 18, v113
	v_lshrrev_b32_e32 v113, 31, v86
	v_ashrrev_i32_e32 v86, 18, v86
	v_mul_i32_i24_sdwa v118, sext(v66), v48 dst_sel:DWORD dst_unused:UNUSED_PAD src0_sel:WORD_0 src1_sel:DWORD
	v_cmp_lt_i16_e32 vcc_lo, v83, v98
	v_mul_i32_i24_sdwa v83, sext(v87), v48 dst_sel:DWORD dst_unused:UNUSED_PAD src0_sel:WORD_0 src1_sel:DWORD
	v_add_nc_u16 v98, v112, v103
	v_add_nc_u16 v86, v86, v113
	v_lshrrev_b32_e32 v103, 31, v118
	;; [unrolled: 33-line block ×4, first 2 shown]
	v_ashrrev_i32_e32 v112, 18, v115
	v_lshrrev_b32_e32 v113, 31, v83
	v_ashrrev_i32_e32 v83, 18, v83
	v_cndmask_b32_e32 v115, v65, v114, vcc_lo
	v_cndmask_b32_e32 v65, v114, v65, vcc_lo
	v_cmp_lt_i16_e32 vcc_lo, v98, v101
	v_add_nc_u16 v98, v112, v103
	v_add_nc_u16 v83, v83, v113
	v_mul_i32_i24_sdwa v103, sext(v51), v48 dst_sel:DWORD dst_unused:UNUSED_PAD src0_sel:WORD_0 src1_sel:DWORD
	v_mul_i32_i24_sdwa v113, sext(v99), v48 dst_sel:DWORD dst_unused:UNUSED_PAD src0_sel:WORD_0 src1_sel:DWORD
	v_cndmask_b32_e32 v101, v67, v50, vcc_lo
	v_cndmask_b32_e32 v50, v50, v67, vcc_lo
	v_mul_i32_i24_sdwa v67, sext(v82), v48 dst_sel:DWORD dst_unused:UNUSED_PAD src0_sel:WORD_0 src1_sel:DWORD
	v_cmp_lt_i16_e32 vcc_lo, v98, v83
	v_lshrrev_b32_e32 v98, 31, v103
	v_ashrrev_i32_e32 v103, 18, v103
	v_mul_i32_i24_sdwa v114, sext(v71), v48 dst_sel:DWORD dst_unused:UNUSED_PAD src0_sel:WORD_0 src1_sel:DWORD
	v_lshrrev_b32_e32 v112, 31, v67
	v_ashrrev_i32_e32 v67, 18, v67
	v_cndmask_b32_e32 v83, v81, v102, vcc_lo
	v_cndmask_b32_e32 v81, v102, v81, vcc_lo
	v_mul_i32_i24_sdwa v102, sext(v116), v48 dst_sel:DWORD dst_unused:UNUSED_PAD src0_sel:WORD_0 src1_sel:DWORD
	v_add_nc_u16 v98, v103, v98
	v_add_nc_u16 v67, v67, v112
	v_lshrrev_b32_e32 v103, 31, v113
	v_ashrrev_i32_e32 v112, 18, v113
	v_lshrrev_b32_e32 v113, 31, v102
	v_ashrrev_i32_e32 v102, 18, v102
	v_cmp_lt_i16_e32 vcc_lo, v98, v67
	v_mul_i32_i24_sdwa v67, sext(v84), v48 dst_sel:DWORD dst_unused:UNUSED_PAD src0_sel:WORD_0 src1_sel:DWORD
	v_add_nc_u16 v98, v112, v103
	v_lshrrev_b32_e32 v103, 31, v114
	v_add_nc_u16 v102, v102, v113
	v_ashrrev_i32_e32 v112, 18, v114
	v_lshrrev_b32_e32 v113, 31, v67
	v_ashrrev_i32_e32 v67, 18, v67
	v_cndmask_b32_e32 v114, v51, v82, vcc_lo
	v_cndmask_b32_e32 v51, v82, v51, vcc_lo
	v_cmp_lt_i16_e32 vcc_lo, v98, v102
	v_add_nc_u16 v82, v112, v103
	v_add_nc_u16 v67, v67, v113
	v_mul_i32_i24_sdwa v102, sext(v52), v48 dst_sel:DWORD dst_unused:UNUSED_PAD src0_sel:WORD_0 src1_sel:DWORD
	v_mul_i32_i24_sdwa v103, sext(v68), v48 dst_sel:DWORD dst_unused:UNUSED_PAD src0_sel:WORD_0 src1_sel:DWORD
	v_cndmask_b32_e32 v98, v99, v116, vcc_lo
	v_cndmask_b32_e32 v99, v116, v99, vcc_lo
	v_cmp_lt_i16_e32 vcc_lo, v82, v67
	v_lshrrev_b32_e32 v82, 31, v102
	v_ashrrev_i32_e32 v102, 18, v102
	v_lshrrev_b32_e32 v112, 31, v103
	v_ashrrev_i32_e32 v103, 18, v103
	v_cndmask_b32_e32 v67, v71, v84, vcc_lo
	v_mul_i32_i24_sdwa v113, sext(v100), v48 dst_sel:DWORD dst_unused:UNUSED_PAD src0_sel:WORD_0 src1_sel:DWORD
	v_cndmask_b32_e32 v71, v84, v71, vcc_lo
	v_mul_i32_i24_sdwa v84, sext(v119), v48 dst_sel:DWORD dst_unused:UNUSED_PAD src0_sel:WORD_0 src1_sel:DWORD
	v_add_nc_u16 v82, v102, v82
	v_add_nc_u16 v102, v103, v112
	v_lshrrev_b32_e32 v103, 31, v113
	v_ashrrev_i32_e32 v112, 18, v113
	v_lshrrev_b32_e32 v113, 31, v84
	v_ashrrev_i32_e32 v84, 18, v84
	v_mul_i32_i24_sdwa v116, sext(v69), v48 dst_sel:DWORD dst_unused:UNUSED_PAD src0_sel:WORD_0 src1_sel:DWORD
	v_cmp_lt_i16_e32 vcc_lo, v82, v102
	v_mul_i32_i24_sdwa v82, sext(v85), v48 dst_sel:DWORD dst_unused:UNUSED_PAD src0_sel:WORD_0 src1_sel:DWORD
	v_add_nc_u16 v102, v112, v103
	v_add_nc_u16 v84, v84, v113
	v_lshrrev_b32_e32 v103, 31, v116
	v_ashrrev_i32_e32 v112, 18, v116
	v_lshrrev_b32_e32 v113, 31, v82
	v_ashrrev_i32_e32 v82, 18, v82
	v_cndmask_b32_e32 v116, v52, v68, vcc_lo
	v_cndmask_b32_e32 v52, v68, v52, vcc_lo
	v_cmp_lt_i16_e32 vcc_lo, v102, v84
	v_add_nc_u16 v68, v112, v103
	v_add_nc_u16 v82, v82, v113
	v_mul_i32_i24_sdwa v102, sext(v54), v48 dst_sel:DWORD dst_unused:UNUSED_PAD src0_sel:WORD_0 src1_sel:DWORD
	v_mul_i32_i24_sdwa v103, sext(v53), v48 dst_sel:DWORD dst_unused:UNUSED_PAD src0_sel:WORD_0 src1_sel:DWORD
	v_cndmask_b32_e32 v84, v100, v119, vcc_lo
	v_cndmask_b32_e32 v100, v119, v100, vcc_lo
	v_cmp_lt_i16_e32 vcc_lo, v68, v82
	v_lshrrev_b32_e32 v82, 31, v102
	v_ashrrev_i32_e32 v102, 18, v102
	v_lshrrev_b32_e32 v112, 31, v103
	v_ashrrev_i32_e32 v103, 18, v103
	v_cndmask_b32_e32 v68, v69, v85, vcc_lo
	v_mul_i32_i24_sdwa v113, sext(v97), v48 dst_sel:DWORD dst_unused:UNUSED_PAD src0_sel:WORD_0 src1_sel:DWORD
	v_cndmask_b32_e32 v69, v85, v69, vcc_lo
	v_mul_i32_i24_sdwa v85, sext(v118), v48 dst_sel:DWORD dst_unused:UNUSED_PAD src0_sel:WORD_0 src1_sel:DWORD
	v_add_nc_u16 v82, v102, v82
	v_add_nc_u16 v102, v103, v112
	v_lshrrev_b32_e32 v103, 31, v113
	v_ashrrev_i32_e32 v112, 18, v113
	v_lshrrev_b32_e32 v113, 31, v85
	v_ashrrev_i32_e32 v85, 18, v85
	v_mul_i32_i24_sdwa v119, sext(v66), v48 dst_sel:DWORD dst_unused:UNUSED_PAD src0_sel:WORD_0 src1_sel:DWORD
	v_cmp_lt_i16_e32 vcc_lo, v82, v102
	v_mul_i32_i24_sdwa v82, sext(v86), v48 dst_sel:DWORD dst_unused:UNUSED_PAD src0_sel:WORD_0 src1_sel:DWORD
	v_add_nc_u16 v102, v112, v103
	v_add_nc_u16 v85, v85, v113
	v_lshrrev_b32_e32 v103, 31, v119
	;; [unrolled: 33-line block ×4, first 2 shown]
	v_ashrrev_i32_e32 v112, 18, v117
	v_lshrrev_b32_e32 v113, 31, v82
	v_ashrrev_i32_e32 v82, 18, v82
	v_cndmask_b32_e32 v117, v70, v115, vcc_lo
	v_cndmask_b32_e32 v70, v115, v70, vcc_lo
	v_cmp_lt_i16_e32 vcc_lo, v102, v87
	v_add_nc_u16 v87, v112, v103
	v_add_nc_u16 v82, v82, v113
	v_mul_i32_i24_sdwa v103, sext(v51), v48 dst_sel:DWORD dst_unused:UNUSED_PAD src0_sel:WORD_0 src1_sel:DWORD
	v_mul_i32_i24_sdwa v113, sext(v99), v48 dst_sel:DWORD dst_unused:UNUSED_PAD src0_sel:WORD_0 src1_sel:DWORD
	v_cndmask_b32_e32 v102, v65, v101, vcc_lo
	v_cndmask_b32_e32 v65, v101, v65, vcc_lo
	v_mul_i32_i24_sdwa v101, sext(v83), v48 dst_sel:DWORD dst_unused:UNUSED_PAD src0_sel:WORD_0 src1_sel:DWORD
	v_cmp_lt_i16_e32 vcc_lo, v87, v82
	v_lshrrev_b32_e32 v87, 31, v103
	v_ashrrev_i32_e32 v103, 18, v103
	v_mul_i32_i24_sdwa v115, sext(v71), v48 dst_sel:DWORD dst_unused:UNUSED_PAD src0_sel:WORD_0 src1_sel:DWORD
	v_lshrrev_b32_e32 v112, 31, v101
	v_ashrrev_i32_e32 v101, 18, v101
	v_cndmask_b32_e32 v82, v81, v49, vcc_lo
	v_cndmask_b32_e32 v49, v49, v81, vcc_lo
	v_mul_i32_i24_sdwa v81, sext(v114), v48 dst_sel:DWORD dst_unused:UNUSED_PAD src0_sel:WORD_0 src1_sel:DWORD
	v_add_nc_u16 v87, v103, v87
	v_add_nc_u16 v101, v101, v112
	v_lshrrev_b32_e32 v103, 31, v113
	v_ashrrev_i32_e32 v112, 18, v113
	v_lshrrev_b32_e32 v113, 31, v81
	v_ashrrev_i32_e32 v81, 18, v81
	v_cmp_lt_i16_e32 vcc_lo, v87, v101
	v_mul_i32_i24_sdwa v87, sext(v98), v48 dst_sel:DWORD dst_unused:UNUSED_PAD src0_sel:WORD_0 src1_sel:DWORD
	v_add_nc_u16 v101, v112, v103
	v_lshrrev_b32_e32 v103, 31, v115
	v_add_nc_u16 v81, v81, v113
	v_ashrrev_i32_e32 v112, 18, v115
	v_lshrrev_b32_e32 v113, 31, v87
	v_ashrrev_i32_e32 v87, 18, v87
	v_cndmask_b32_e32 v115, v51, v83, vcc_lo
	v_cndmask_b32_e32 v51, v83, v51, vcc_lo
	v_cmp_lt_i16_e32 vcc_lo, v101, v81
	v_add_nc_u16 v81, v112, v103
	v_add_nc_u16 v83, v87, v113
	v_mul_i32_i24_sdwa v101, sext(v52), v48 dst_sel:DWORD dst_unused:UNUSED_PAD src0_sel:WORD_0 src1_sel:DWORD
	v_mul_i32_i24_sdwa v103, sext(v67), v48 dst_sel:DWORD dst_unused:UNUSED_PAD src0_sel:WORD_0 src1_sel:DWORD
	v_cndmask_b32_e32 v87, v99, v114, vcc_lo
	v_cndmask_b32_e32 v99, v114, v99, vcc_lo
	v_cmp_lt_i16_e32 vcc_lo, v81, v83
	v_lshrrev_b32_e32 v83, 31, v101
	v_ashrrev_i32_e32 v101, 18, v101
	v_lshrrev_b32_e32 v112, 31, v103
	v_ashrrev_i32_e32 v103, 18, v103
	v_cndmask_b32_e32 v81, v71, v98, vcc_lo
	v_mul_i32_i24_sdwa v113, sext(v100), v48 dst_sel:DWORD dst_unused:UNUSED_PAD src0_sel:WORD_0 src1_sel:DWORD
	v_cndmask_b32_e32 v71, v98, v71, vcc_lo
	v_mul_i32_i24_sdwa v98, sext(v116), v48 dst_sel:DWORD dst_unused:UNUSED_PAD src0_sel:WORD_0 src1_sel:DWORD
	v_add_nc_u16 v83, v101, v83
	v_add_nc_u16 v101, v103, v112
	v_lshrrev_b32_e32 v103, 31, v113
	v_ashrrev_i32_e32 v112, 18, v113
	v_lshrrev_b32_e32 v113, 31, v98
	v_ashrrev_i32_e32 v98, 18, v98
	v_mul_i32_i24_sdwa v114, sext(v69), v48 dst_sel:DWORD dst_unused:UNUSED_PAD src0_sel:WORD_0 src1_sel:DWORD
	v_cmp_lt_i16_e32 vcc_lo, v83, v101
	v_mul_i32_i24_sdwa v83, sext(v84), v48 dst_sel:DWORD dst_unused:UNUSED_PAD src0_sel:WORD_0 src1_sel:DWORD
	v_add_nc_u16 v101, v112, v103
	v_add_nc_u16 v98, v98, v113
	v_lshrrev_b32_e32 v103, 31, v114
	v_ashrrev_i32_e32 v112, 18, v114
	v_lshrrev_b32_e32 v113, 31, v83
	v_ashrrev_i32_e32 v83, 18, v83
	v_cndmask_b32_e32 v114, v52, v67, vcc_lo
	v_cndmask_b32_e32 v52, v67, v52, vcc_lo
	v_cmp_lt_i16_e32 vcc_lo, v101, v98
	v_add_nc_u16 v67, v112, v103
	v_add_nc_u16 v83, v83, v113
	v_mul_i32_i24_sdwa v101, sext(v53), v48 dst_sel:DWORD dst_unused:UNUSED_PAD src0_sel:WORD_0 src1_sel:DWORD
	v_mul_i32_i24_sdwa v103, sext(v68), v48 dst_sel:DWORD dst_unused:UNUSED_PAD src0_sel:WORD_0 src1_sel:DWORD
	v_cndmask_b32_e32 v98, v100, v116, vcc_lo
	v_cndmask_b32_e32 v100, v116, v100, vcc_lo
	v_cmp_lt_i16_e32 vcc_lo, v67, v83
	v_lshrrev_b32_e32 v83, 31, v101
	v_ashrrev_i32_e32 v101, 18, v101
	v_lshrrev_b32_e32 v112, 31, v103
	v_ashrrev_i32_e32 v103, 18, v103
	v_cndmask_b32_e32 v67, v69, v84, vcc_lo
	v_mul_i32_i24_sdwa v113, sext(v97), v48 dst_sel:DWORD dst_unused:UNUSED_PAD src0_sel:WORD_0 src1_sel:DWORD
	v_cndmask_b32_e32 v69, v84, v69, vcc_lo
	v_mul_i32_i24_sdwa v84, sext(v119), v48 dst_sel:DWORD dst_unused:UNUSED_PAD src0_sel:WORD_0 src1_sel:DWORD
	v_add_nc_u16 v83, v101, v83
	v_add_nc_u16 v101, v103, v112
	v_lshrrev_b32_e32 v103, 31, v113
	v_ashrrev_i32_e32 v112, 18, v113
	v_lshrrev_b32_e32 v113, 31, v84
	v_ashrrev_i32_e32 v84, 18, v84
	v_mul_i32_i24_sdwa v116, sext(v66), v48 dst_sel:DWORD dst_unused:UNUSED_PAD src0_sel:WORD_0 src1_sel:DWORD
	v_cmp_lt_i16_e32 vcc_lo, v83, v101
	v_mul_i32_i24_sdwa v83, sext(v85), v48 dst_sel:DWORD dst_unused:UNUSED_PAD src0_sel:WORD_0 src1_sel:DWORD
	v_add_nc_u16 v101, v112, v103
	v_add_nc_u16 v84, v84, v113
	v_lshrrev_b32_e32 v103, 31, v116
	;; [unrolled: 33-line block ×4, first 2 shown]
	v_ashrrev_i32_e32 v112, 18, v118
	v_lshrrev_b32_e32 v113, 31, v83
	v_ashrrev_i32_e32 v83, 18, v83
	v_cndmask_b32_e32 v118, v80, v117, vcc_lo
	v_cndmask_b32_e32 v80, v117, v80, vcc_lo
	v_cmp_lt_i16_e32 vcc_lo, v101, v86
	v_add_nc_u16 v86, v112, v103
	v_add_nc_u16 v83, v83, v113
	v_mul_i32_i24_sdwa v103, sext(v51), v48 dst_sel:DWORD dst_unused:UNUSED_PAD src0_sel:WORD_0 src1_sel:DWORD
	v_mul_i32_i24_sdwa v113, sext(v99), v48 dst_sel:DWORD dst_unused:UNUSED_PAD src0_sel:WORD_0 src1_sel:DWORD
	v_cndmask_b32_e32 v101, v70, v102, vcc_lo
	v_cndmask_b32_e32 v70, v102, v70, vcc_lo
	v_mul_i32_i24_sdwa v102, sext(v82), v48 dst_sel:DWORD dst_unused:UNUSED_PAD src0_sel:WORD_0 src1_sel:DWORD
	v_cmp_lt_i16_e32 vcc_lo, v86, v83
	v_lshrrev_b32_e32 v86, 31, v103
	v_ashrrev_i32_e32 v103, 18, v103
	v_mul_i32_i24_sdwa v117, sext(v71), v48 dst_sel:DWORD dst_unused:UNUSED_PAD src0_sel:WORD_0 src1_sel:DWORD
	v_lshrrev_b32_e32 v112, 31, v102
	v_ashrrev_i32_e32 v102, 18, v102
	v_cndmask_b32_e32 v83, v65, v50, vcc_lo
	v_cndmask_b32_e32 v50, v50, v65, vcc_lo
	v_mul_i32_i24_sdwa v65, sext(v115), v48 dst_sel:DWORD dst_unused:UNUSED_PAD src0_sel:WORD_0 src1_sel:DWORD
	v_add_nc_u16 v86, v103, v86
	v_add_nc_u16 v102, v102, v112
	v_lshrrev_b32_e32 v103, 31, v113
	v_ashrrev_i32_e32 v112, 18, v113
	v_lshrrev_b32_e32 v113, 31, v65
	v_ashrrev_i32_e32 v65, 18, v65
	v_cmp_lt_i16_e32 vcc_lo, v86, v102
	v_mul_i32_i24_sdwa v86, sext(v87), v48 dst_sel:DWORD dst_unused:UNUSED_PAD src0_sel:WORD_0 src1_sel:DWORD
	v_add_nc_u16 v102, v112, v103
	v_lshrrev_b32_e32 v103, 31, v117
	v_add_nc_u16 v65, v65, v113
	v_ashrrev_i32_e32 v112, 18, v117
	v_lshrrev_b32_e32 v113, 31, v86
	v_ashrrev_i32_e32 v86, 18, v86
	v_cndmask_b32_e32 v117, v51, v82, vcc_lo
	v_cndmask_b32_e32 v51, v82, v51, vcc_lo
	v_cmp_lt_i16_e32 vcc_lo, v102, v65
	v_add_nc_u16 v65, v112, v103
	v_add_nc_u16 v82, v86, v113
	v_mul_i32_i24_sdwa v102, sext(v52), v48 dst_sel:DWORD dst_unused:UNUSED_PAD src0_sel:WORD_0 src1_sel:DWORD
	v_mul_i32_i24_sdwa v103, sext(v81), v48 dst_sel:DWORD dst_unused:UNUSED_PAD src0_sel:WORD_0 src1_sel:DWORD
	v_cndmask_b32_e32 v86, v99, v115, vcc_lo
	v_cndmask_b32_e32 v99, v115, v99, vcc_lo
	v_cmp_lt_i16_e32 vcc_lo, v65, v82
	v_lshrrev_b32_e32 v82, 31, v102
	v_ashrrev_i32_e32 v102, 18, v102
	v_lshrrev_b32_e32 v112, 31, v103
	v_ashrrev_i32_e32 v103, 18, v103
	v_cndmask_b32_e32 v65, v71, v87, vcc_lo
	v_mul_i32_i24_sdwa v113, sext(v100), v48 dst_sel:DWORD dst_unused:UNUSED_PAD src0_sel:WORD_0 src1_sel:DWORD
	v_cndmask_b32_e32 v71, v87, v71, vcc_lo
	v_mul_i32_i24_sdwa v87, sext(v114), v48 dst_sel:DWORD dst_unused:UNUSED_PAD src0_sel:WORD_0 src1_sel:DWORD
	v_add_nc_u16 v82, v102, v82
	v_add_nc_u16 v102, v103, v112
	v_lshrrev_b32_e32 v103, 31, v113
	v_ashrrev_i32_e32 v112, 18, v113
	v_lshrrev_b32_e32 v113, 31, v87
	v_ashrrev_i32_e32 v87, 18, v87
	v_mul_i32_i24_sdwa v115, sext(v69), v48 dst_sel:DWORD dst_unused:UNUSED_PAD src0_sel:WORD_0 src1_sel:DWORD
	v_cmp_lt_i16_e32 vcc_lo, v82, v102
	v_mul_i32_i24_sdwa v82, sext(v98), v48 dst_sel:DWORD dst_unused:UNUSED_PAD src0_sel:WORD_0 src1_sel:DWORD
	v_add_nc_u16 v102, v112, v103
	v_add_nc_u16 v87, v87, v113
	v_lshrrev_b32_e32 v103, 31, v115
	v_ashrrev_i32_e32 v112, 18, v115
	v_lshrrev_b32_e32 v113, 31, v82
	v_ashrrev_i32_e32 v82, 18, v82
	v_cndmask_b32_e32 v115, v52, v81, vcc_lo
	v_cndmask_b32_e32 v52, v81, v52, vcc_lo
	v_cmp_lt_i16_e32 vcc_lo, v102, v87
	v_add_nc_u16 v81, v112, v103
	v_add_nc_u16 v82, v82, v113
	v_mul_i32_i24_sdwa v102, sext(v53), v48 dst_sel:DWORD dst_unused:UNUSED_PAD src0_sel:WORD_0 src1_sel:DWORD
	v_mul_i32_i24_sdwa v103, sext(v67), v48 dst_sel:DWORD dst_unused:UNUSED_PAD src0_sel:WORD_0 src1_sel:DWORD
	v_cndmask_b32_e32 v87, v100, v114, vcc_lo
	v_cndmask_b32_e32 v100, v114, v100, vcc_lo
	v_cmp_lt_i16_e32 vcc_lo, v81, v82
	v_lshrrev_b32_e32 v82, 31, v102
	v_ashrrev_i32_e32 v102, 18, v102
	v_lshrrev_b32_e32 v112, 31, v103
	v_ashrrev_i32_e32 v103, 18, v103
	v_cndmask_b32_e32 v81, v69, v98, vcc_lo
	v_mul_i32_i24_sdwa v113, sext(v97), v48 dst_sel:DWORD dst_unused:UNUSED_PAD src0_sel:WORD_0 src1_sel:DWORD
	v_cndmask_b32_e32 v69, v98, v69, vcc_lo
	v_mul_i32_i24_sdwa v98, sext(v116), v48 dst_sel:DWORD dst_unused:UNUSED_PAD src0_sel:WORD_0 src1_sel:DWORD
	v_add_nc_u16 v82, v102, v82
	v_add_nc_u16 v102, v103, v112
	v_lshrrev_b32_e32 v103, 31, v113
	v_ashrrev_i32_e32 v112, 18, v113
	v_lshrrev_b32_e32 v113, 31, v98
	v_ashrrev_i32_e32 v98, 18, v98
	v_mul_i32_i24_sdwa v114, sext(v66), v48 dst_sel:DWORD dst_unused:UNUSED_PAD src0_sel:WORD_0 src1_sel:DWORD
	v_cmp_lt_i16_e32 vcc_lo, v82, v102
	v_mul_i32_i24_sdwa v82, sext(v84), v48 dst_sel:DWORD dst_unused:UNUSED_PAD src0_sel:WORD_0 src1_sel:DWORD
	v_add_nc_u16 v102, v112, v103
	v_add_nc_u16 v98, v98, v113
	v_lshrrev_b32_e32 v103, 31, v114
	;; [unrolled: 33-line block ×4, first 2 shown]
	v_ashrrev_i32_e32 v112, 18, v119
	v_lshrrev_b32_e32 v113, 31, v82
	v_ashrrev_i32_e32 v82, 18, v82
	v_cndmask_b32_e32 v119, v55, v118, vcc_lo
	v_cndmask_b32_e32 v55, v118, v55, vcc_lo
	v_cmp_lt_i16_e32 vcc_lo, v102, v85
	v_add_nc_u16 v85, v112, v103
	v_add_nc_u16 v82, v82, v113
	v_mul_i32_i24_sdwa v103, sext(v51), v48 dst_sel:DWORD dst_unused:UNUSED_PAD src0_sel:WORD_0 src1_sel:DWORD
	v_mul_i32_i24_sdwa v113, sext(v99), v48 dst_sel:DWORD dst_unused:UNUSED_PAD src0_sel:WORD_0 src1_sel:DWORD
	v_cndmask_b32_e32 v102, v80, v101, vcc_lo
	v_cndmask_b32_e32 v80, v101, v80, vcc_lo
	v_mul_i32_i24_sdwa v101, sext(v49), v48 dst_sel:DWORD dst_unused:UNUSED_PAD src0_sel:WORD_0 src1_sel:DWORD
	v_cmp_lt_i16_e32 vcc_lo, v85, v82
	v_lshrrev_b32_e32 v85, 31, v103
	v_ashrrev_i32_e32 v103, 18, v103
	v_mul_i32_i24_sdwa v118, sext(v71), v48 dst_sel:DWORD dst_unused:UNUSED_PAD src0_sel:WORD_0 src1_sel:DWORD
	v_lshrrev_b32_e32 v112, 31, v101
	v_ashrrev_i32_e32 v101, 18, v101
	v_cndmask_b32_e32 v82, v70, v83, vcc_lo
	v_cndmask_b32_e32 v70, v83, v70, vcc_lo
	v_mul_i32_i24_sdwa v83, sext(v117), v48 dst_sel:DWORD dst_unused:UNUSED_PAD src0_sel:WORD_0 src1_sel:DWORD
	v_add_nc_u16 v85, v103, v85
	v_add_nc_u16 v101, v101, v112
	v_lshrrev_b32_e32 v103, 31, v113
	v_ashrrev_i32_e32 v112, 18, v113
	v_lshrrev_b32_e32 v113, 31, v83
	v_ashrrev_i32_e32 v83, 18, v83
	v_cmp_lt_i16_e32 vcc_lo, v85, v101
	v_mul_i32_i24_sdwa v85, sext(v86), v48 dst_sel:DWORD dst_unused:UNUSED_PAD src0_sel:WORD_0 src1_sel:DWORD
	v_add_nc_u16 v101, v112, v103
	v_lshrrev_b32_e32 v103, 31, v118
	v_add_nc_u16 v83, v83, v113
	v_ashrrev_i32_e32 v112, 18, v118
	v_lshrrev_b32_e32 v113, 31, v85
	v_ashrrev_i32_e32 v85, 18, v85
	v_cndmask_b32_e32 v118, v51, v49, vcc_lo
	v_cndmask_b32_e32 v49, v49, v51, vcc_lo
	v_cmp_lt_i16_e32 vcc_lo, v101, v83
	v_add_nc_u16 v51, v112, v103
	v_add_nc_u16 v83, v85, v113
	v_mul_i32_i24_sdwa v101, sext(v52), v48 dst_sel:DWORD dst_unused:UNUSED_PAD src0_sel:WORD_0 src1_sel:DWORD
	v_mul_i32_i24_sdwa v103, sext(v65), v48 dst_sel:DWORD dst_unused:UNUSED_PAD src0_sel:WORD_0 src1_sel:DWORD
	v_cndmask_b32_e32 v85, v99, v117, vcc_lo
	v_cndmask_b32_e32 v99, v117, v99, vcc_lo
	v_cmp_lt_i16_e32 vcc_lo, v51, v83
	v_lshrrev_b32_e32 v83, 31, v101
	v_ashrrev_i32_e32 v101, 18, v101
	v_lshrrev_b32_e32 v112, 31, v103
	v_ashrrev_i32_e32 v103, 18, v103
	v_cndmask_b32_e32 v51, v71, v86, vcc_lo
	v_mul_i32_i24_sdwa v113, sext(v100), v48 dst_sel:DWORD dst_unused:UNUSED_PAD src0_sel:WORD_0 src1_sel:DWORD
	v_cndmask_b32_e32 v71, v86, v71, vcc_lo
	v_mul_i32_i24_sdwa v86, sext(v115), v48 dst_sel:DWORD dst_unused:UNUSED_PAD src0_sel:WORD_0 src1_sel:DWORD
	v_add_nc_u16 v83, v101, v83
	v_add_nc_u16 v101, v103, v112
	v_lshrrev_b32_e32 v103, 31, v113
	v_ashrrev_i32_e32 v112, 18, v113
	v_lshrrev_b32_e32 v113, 31, v86
	v_ashrrev_i32_e32 v86, 18, v86
	v_mul_i32_i24_sdwa v117, sext(v69), v48 dst_sel:DWORD dst_unused:UNUSED_PAD src0_sel:WORD_0 src1_sel:DWORD
	v_cmp_lt_i16_e32 vcc_lo, v83, v101
	v_mul_i32_i24_sdwa v83, sext(v87), v48 dst_sel:DWORD dst_unused:UNUSED_PAD src0_sel:WORD_0 src1_sel:DWORD
	v_add_nc_u16 v101, v112, v103
	v_add_nc_u16 v86, v86, v113
	v_lshrrev_b32_e32 v103, 31, v117
	v_ashrrev_i32_e32 v112, 18, v117
	v_lshrrev_b32_e32 v113, 31, v83
	v_ashrrev_i32_e32 v83, 18, v83
	v_cndmask_b32_e32 v117, v52, v65, vcc_lo
	v_cndmask_b32_e32 v52, v65, v52, vcc_lo
	v_cmp_lt_i16_e32 vcc_lo, v101, v86
	v_add_nc_u16 v65, v112, v103
	v_add_nc_u16 v83, v83, v113
	v_mul_i32_i24_sdwa v101, sext(v53), v48 dst_sel:DWORD dst_unused:UNUSED_PAD src0_sel:WORD_0 src1_sel:DWORD
	v_mul_i32_i24_sdwa v103, sext(v81), v48 dst_sel:DWORD dst_unused:UNUSED_PAD src0_sel:WORD_0 src1_sel:DWORD
	v_cndmask_b32_e32 v86, v100, v115, vcc_lo
	v_cndmask_b32_e32 v100, v115, v100, vcc_lo
	v_cmp_lt_i16_e32 vcc_lo, v65, v83
	v_lshrrev_b32_e32 v83, 31, v101
	v_ashrrev_i32_e32 v101, 18, v101
	v_lshrrev_b32_e32 v112, 31, v103
	v_ashrrev_i32_e32 v103, 18, v103
	v_cndmask_b32_e32 v65, v69, v87, vcc_lo
	v_mul_i32_i24_sdwa v113, sext(v97), v48 dst_sel:DWORD dst_unused:UNUSED_PAD src0_sel:WORD_0 src1_sel:DWORD
	v_cndmask_b32_e32 v69, v87, v69, vcc_lo
	v_mul_i32_i24_sdwa v87, sext(v114), v48 dst_sel:DWORD dst_unused:UNUSED_PAD src0_sel:WORD_0 src1_sel:DWORD
	v_add_nc_u16 v83, v101, v83
	v_add_nc_u16 v101, v103, v112
	v_lshrrev_b32_e32 v103, 31, v113
	v_ashrrev_i32_e32 v112, 18, v113
	v_lshrrev_b32_e32 v113, 31, v87
	v_ashrrev_i32_e32 v87, 18, v87
	v_mul_i32_i24_sdwa v115, sext(v66), v48 dst_sel:DWORD dst_unused:UNUSED_PAD src0_sel:WORD_0 src1_sel:DWORD
	v_cmp_lt_i16_e32 vcc_lo, v83, v101
	v_mul_i32_i24_sdwa v83, sext(v98), v48 dst_sel:DWORD dst_unused:UNUSED_PAD src0_sel:WORD_0 src1_sel:DWORD
	v_add_nc_u16 v101, v112, v103
	v_add_nc_u16 v87, v87, v113
	v_lshrrev_b32_e32 v103, 31, v115
	;; [unrolled: 33-line block ×4, first 2 shown]
	v_ashrrev_i32_e32 v112, 18, v116
	v_lshrrev_b32_e32 v113, 31, v83
	v_ashrrev_i32_e32 v83, 18, v83
	v_cndmask_b32_e32 v116, v119, v68, vcc_lo
	v_cndmask_b32_e32 v68, v68, v119, vcc_lo
	v_cmp_lt_i16_e32 vcc_lo, v101, v84
	v_add_nc_u16 v84, v112, v103
	v_add_nc_u16 v83, v83, v113
	v_mul_i32_i24_sdwa v103, sext(v50), v48 dst_sel:DWORD dst_unused:UNUSED_PAD src0_sel:WORD_0 src1_sel:DWORD
	v_mul_i32_i24_sdwa v113, sext(v99), v48 dst_sel:DWORD dst_unused:UNUSED_PAD src0_sel:WORD_0 src1_sel:DWORD
	v_cndmask_b32_e32 v101, v55, v102, vcc_lo
	v_cndmask_b32_e32 v55, v102, v55, vcc_lo
	v_mul_i32_i24_sdwa v102, sext(v70), v48 dst_sel:DWORD dst_unused:UNUSED_PAD src0_sel:WORD_0 src1_sel:DWORD
	v_cmp_lt_i16_e32 vcc_lo, v84, v83
	v_lshrrev_b32_e32 v84, 31, v103
	v_ashrrev_i32_e32 v103, 18, v103
	v_mul_i32_i24_sdwa v119, sext(v71), v48 dst_sel:DWORD dst_unused:UNUSED_PAD src0_sel:WORD_0 src1_sel:DWORD
	v_lshrrev_b32_e32 v112, 31, v102
	v_ashrrev_i32_e32 v102, 18, v102
	v_cndmask_b32_e32 v83, v80, v82, vcc_lo
	v_cndmask_b32_e32 v80, v82, v80, vcc_lo
	v_mul_i32_i24_sdwa v82, sext(v118), v48 dst_sel:DWORD dst_unused:UNUSED_PAD src0_sel:WORD_0 src1_sel:DWORD
	v_add_nc_u16 v84, v103, v84
	v_add_nc_u16 v102, v102, v112
	v_lshrrev_b32_e32 v103, 31, v113
	v_ashrrev_i32_e32 v112, 18, v113
	v_lshrrev_b32_e32 v113, 31, v82
	v_ashrrev_i32_e32 v82, 18, v82
	v_cmp_lt_i16_e32 vcc_lo, v84, v102
	v_mul_i32_i24_sdwa v84, sext(v85), v48 dst_sel:DWORD dst_unused:UNUSED_PAD src0_sel:WORD_0 src1_sel:DWORD
	v_add_nc_u16 v102, v112, v103
	v_lshrrev_b32_e32 v103, 31, v119
	v_add_nc_u16 v82, v82, v113
	v_ashrrev_i32_e32 v112, 18, v119
	v_lshrrev_b32_e32 v113, 31, v84
	v_ashrrev_i32_e32 v84, 18, v84
	v_cndmask_b32_e32 v119, v70, v50, vcc_lo
	v_cndmask_b32_e32 v50, v50, v70, vcc_lo
	v_cmp_lt_i16_e32 vcc_lo, v102, v82
	v_add_nc_u16 v70, v112, v103
	v_add_nc_u16 v82, v84, v113
	v_mul_i32_i24_sdwa v102, sext(v52), v48 dst_sel:DWORD dst_unused:UNUSED_PAD src0_sel:WORD_0 src1_sel:DWORD
	v_mul_i32_i24_sdwa v103, sext(v51), v48 dst_sel:DWORD dst_unused:UNUSED_PAD src0_sel:WORD_0 src1_sel:DWORD
	v_cndmask_b32_e32 v84, v99, v118, vcc_lo
	v_cndmask_b32_e32 v99, v118, v99, vcc_lo
	v_cmp_lt_i16_e32 vcc_lo, v70, v82
	v_lshrrev_b32_e32 v82, 31, v102
	v_ashrrev_i32_e32 v102, 18, v102
	v_lshrrev_b32_e32 v112, 31, v103
	v_ashrrev_i32_e32 v103, 18, v103
	v_cndmask_b32_e32 v70, v71, v85, vcc_lo
	v_mul_i32_i24_sdwa v113, sext(v100), v48 dst_sel:DWORD dst_unused:UNUSED_PAD src0_sel:WORD_0 src1_sel:DWORD
	v_cndmask_b32_e32 v71, v85, v71, vcc_lo
	v_mul_i32_i24_sdwa v85, sext(v117), v48 dst_sel:DWORD dst_unused:UNUSED_PAD src0_sel:WORD_0 src1_sel:DWORD
	v_add_nc_u16 v82, v102, v82
	v_add_nc_u16 v102, v103, v112
	v_lshrrev_b32_e32 v103, 31, v113
	v_ashrrev_i32_e32 v112, 18, v113
	v_lshrrev_b32_e32 v113, 31, v85
	v_ashrrev_i32_e32 v85, 18, v85
	v_mul_i32_i24_sdwa v118, sext(v69), v48 dst_sel:DWORD dst_unused:UNUSED_PAD src0_sel:WORD_0 src1_sel:DWORD
	v_cmp_lt_i16_e32 vcc_lo, v82, v102
	v_mul_i32_i24_sdwa v82, sext(v86), v48 dst_sel:DWORD dst_unused:UNUSED_PAD src0_sel:WORD_0 src1_sel:DWORD
	v_add_nc_u16 v102, v112, v103
	v_add_nc_u16 v85, v85, v113
	v_lshrrev_b32_e32 v103, 31, v118
	v_ashrrev_i32_e32 v112, 18, v118
	v_lshrrev_b32_e32 v113, 31, v82
	v_ashrrev_i32_e32 v82, 18, v82
	v_cndmask_b32_e32 v118, v52, v51, vcc_lo
	v_cndmask_b32_e32 v51, v51, v52, vcc_lo
	v_cmp_lt_i16_e32 vcc_lo, v102, v85
	v_add_nc_u16 v52, v112, v103
	v_add_nc_u16 v82, v82, v113
	v_mul_i32_i24_sdwa v102, sext(v53), v48 dst_sel:DWORD dst_unused:UNUSED_PAD src0_sel:WORD_0 src1_sel:DWORD
	v_mul_i32_i24_sdwa v103, sext(v65), v48 dst_sel:DWORD dst_unused:UNUSED_PAD src0_sel:WORD_0 src1_sel:DWORD
	v_cndmask_b32_e32 v85, v100, v117, vcc_lo
	v_cndmask_b32_e32 v100, v117, v100, vcc_lo
	v_cmp_lt_i16_e32 vcc_lo, v52, v82
	v_lshrrev_b32_e32 v82, 31, v102
	v_ashrrev_i32_e32 v102, 18, v102
	v_lshrrev_b32_e32 v112, 31, v103
	v_ashrrev_i32_e32 v103, 18, v103
	v_cndmask_b32_e32 v52, v69, v86, vcc_lo
	v_mul_i32_i24_sdwa v113, sext(v97), v48 dst_sel:DWORD dst_unused:UNUSED_PAD src0_sel:WORD_0 src1_sel:DWORD
	v_cndmask_b32_e32 v69, v86, v69, vcc_lo
	v_mul_i32_i24_sdwa v86, sext(v115), v48 dst_sel:DWORD dst_unused:UNUSED_PAD src0_sel:WORD_0 src1_sel:DWORD
	v_add_nc_u16 v82, v102, v82
	v_add_nc_u16 v102, v103, v112
	v_lshrrev_b32_e32 v103, 31, v113
	v_ashrrev_i32_e32 v112, 18, v113
	v_lshrrev_b32_e32 v113, 31, v86
	v_ashrrev_i32_e32 v86, 18, v86
	v_mul_i32_i24_sdwa v117, sext(v66), v48 dst_sel:DWORD dst_unused:UNUSED_PAD src0_sel:WORD_0 src1_sel:DWORD
	v_cmp_lt_i16_e32 vcc_lo, v82, v102
	v_mul_i32_i24_sdwa v82, sext(v87), v48 dst_sel:DWORD dst_unused:UNUSED_PAD src0_sel:WORD_0 src1_sel:DWORD
	v_add_nc_u16 v102, v112, v103
	v_add_nc_u16 v86, v86, v113
	v_lshrrev_b32_e32 v103, 31, v117
	v_ashrrev_i32_e32 v112, 18, v117
	v_lshrrev_b32_e32 v113, 31, v82
	v_ashrrev_i32_e32 v82, 18, v82
	v_cndmask_b32_e32 v117, v53, v65, vcc_lo
	v_cndmask_b32_e32 v53, v65, v53, vcc_lo
	v_cmp_lt_i16_e32 vcc_lo, v102, v86
	v_add_nc_u16 v65, v112, v103
	v_add_nc_u16 v82, v82, v113
	v_mul_i32_i24_sdwa v102, sext(v54), v48 dst_sel:DWORD dst_unused:UNUSED_PAD src0_sel:WORD_0 src1_sel:DWORD
	v_mul_i32_i24_sdwa v103, sext(v81), v48 dst_sel:DWORD dst_unused:UNUSED_PAD src0_sel:WORD_0 src1_sel:DWORD
	v_cndmask_b32_e32 v86, v97, v115, vcc_lo
	v_cndmask_b32_e32 v97, v115, v97, vcc_lo
	v_cmp_lt_i16_e32 vcc_lo, v65, v82
	v_lshrrev_b32_e32 v82, 31, v102
	v_ashrrev_i32_e32 v102, 18, v102
	v_lshrrev_b32_e32 v112, 31, v103
	v_ashrrev_i32_e32 v103, 18, v103
	v_cndmask_b32_e32 v65, v66, v87, vcc_lo
	v_mul_i32_i24_sdwa v113, sext(v96), v48 dst_sel:DWORD dst_unused:UNUSED_PAD src0_sel:WORD_0 src1_sel:DWORD
	v_cndmask_b32_e32 v66, v87, v66, vcc_lo
	v_mul_i32_i24_sdwa v87, sext(v114), v48 dst_sel:DWORD dst_unused:UNUSED_PAD src0_sel:WORD_0 src1_sel:DWORD
	v_add_nc_u16 v82, v102, v82
	v_add_nc_u16 v102, v103, v112
	v_lshrrev_b32_e32 v103, 31, v113
	v_ashrrev_i32_e32 v112, 18, v113
	v_lshrrev_b32_e32 v113, 31, v87
	v_ashrrev_i32_e32 v87, 18, v87
	v_mul_i32_i24_sdwa v115, sext(v64), v48 dst_sel:DWORD dst_unused:UNUSED_PAD src0_sel:WORD_0 src1_sel:DWORD
	v_cmp_lt_i16_e32 vcc_lo, v82, v102
	v_mul_i32_i24_sdwa v82, sext(v98), v48 dst_sel:DWORD dst_unused:UNUSED_PAD src0_sel:WORD_0 src1_sel:DWORD
	v_add_nc_u16 v102, v112, v103
	v_add_nc_u16 v87, v87, v113
	v_lshrrev_b32_e32 v103, 31, v115
	v_ashrrev_i32_e32 v112, 18, v115
	v_lshrrev_b32_e32 v113, 31, v82
	v_ashrrev_i32_e32 v82, 18, v82
	v_cndmask_b32_e32 v115, v54, v81, vcc_lo
	v_cndmask_b32_e32 v54, v81, v54, vcc_lo
	v_cmp_lt_i16_e32 vcc_lo, v102, v87
	v_add_nc_u16 v81, v112, v103
	v_add_nc_u16 v82, v82, v113
	v_mul_i32_i24_sdwa v102, sext(v68), v48 dst_sel:DWORD dst_unused:UNUSED_PAD src0_sel:WORD_0 src1_sel:DWORD
	v_mul_i32_i24_sdwa v103, sext(v67), v48 dst_sel:DWORD dst_unused:UNUSED_PAD src0_sel:WORD_0 src1_sel:DWORD
	v_cndmask_b32_e32 v87, v96, v114, vcc_lo
	v_cndmask_b32_e32 v96, v114, v96, vcc_lo
	v_cmp_lt_i16_e32 vcc_lo, v81, v82
	v_lshrrev_b32_e32 v82, 31, v102
	v_ashrrev_i32_e32 v102, 18, v102
	v_lshrrev_b32_e32 v112, 31, v103
	v_ashrrev_i32_e32 v103, 18, v103
	v_cndmask_b32_e32 v81, v64, v98, vcc_lo
	v_mul_i32_i24_sdwa v113, sext(v101), v48 dst_sel:DWORD dst_unused:UNUSED_PAD src0_sel:WORD_0 src1_sel:DWORD
	v_cndmask_b32_e32 v64, v98, v64, vcc_lo
	v_mul_i32_i24_sdwa v98, sext(v116), v48 dst_sel:DWORD dst_unused:UNUSED_PAD src0_sel:WORD_0 src1_sel:DWORD
	v_add_nc_u16 v82, v102, v82
	v_add_nc_u16 v102, v103, v112
	v_lshrrev_b32_e32 v103, 31, v113
	v_ashrrev_i32_e32 v112, 18, v113
	v_lshrrev_b32_e32 v113, 31, v98
	v_ashrrev_i32_e32 v98, 18, v98
	v_mul_i32_i24_sdwa v114, sext(v83), v48 dst_sel:DWORD dst_unused:UNUSED_PAD src0_sel:WORD_0 src1_sel:DWORD
	v_cmp_lt_i16_e32 vcc_lo, v82, v102
	v_mul_i32_i24_sdwa v82, sext(v55), v48 dst_sel:DWORD dst_unused:UNUSED_PAD src0_sel:WORD_0 src1_sel:DWORD
	v_add_nc_u16 v102, v112, v103
	v_add_nc_u16 v98, v98, v113
	v_lshrrev_b32_e32 v103, 31, v114
	v_ashrrev_i32_e32 v112, 18, v114
	v_lshrrev_b32_e32 v113, 31, v82
	v_ashrrev_i32_e32 v82, 18, v82
	v_cndmask_b32_e32 v114, v68, v67, vcc_lo
	v_cndmask_b32_e32 v67, v67, v68, vcc_lo
	v_cmp_lt_i16_e32 vcc_lo, v102, v98
	v_add_nc_u16 v68, v112, v103
	v_add_nc_u16 v82, v82, v113
	v_mul_i32_i24_sdwa v102, sext(v119), v48 dst_sel:DWORD dst_unused:UNUSED_PAD src0_sel:WORD_0 src1_sel:DWORD
	v_mul_i32_i24_sdwa v103, sext(v80), v48 dst_sel:DWORD dst_unused:UNUSED_PAD src0_sel:WORD_0 src1_sel:DWORD
	v_cndmask_b32_e32 v98, v116, v101, vcc_lo
	v_cndmask_b32_e32 v101, v101, v116, vcc_lo
	v_cmp_lt_i16_e32 vcc_lo, v68, v82
	v_lshrrev_b32_e32 v82, 31, v102
	v_ashrrev_i32_e32 v102, 18, v102
	v_lshrrev_b32_e32 v112, 31, v103
	v_ashrrev_i32_e32 v103, 18, v103
	v_cndmask_b32_e32 v68, v55, v83, vcc_lo
	v_mul_i32_i24_sdwa v113, sext(v99), v48 dst_sel:DWORD dst_unused:UNUSED_PAD src0_sel:WORD_0 src1_sel:DWORD
	v_cndmask_b32_e32 v55, v83, v55, vcc_lo
	v_mul_i32_i24_sdwa v83, sext(v49), v48 dst_sel:DWORD dst_unused:UNUSED_PAD src0_sel:WORD_0 src1_sel:DWORD
	v_add_nc_u16 v82, v102, v82
	v_add_nc_u16 v102, v103, v112
	v_lshrrev_b32_e32 v103, 31, v113
	v_ashrrev_i32_e32 v112, 18, v113
	v_lshrrev_b32_e32 v113, 31, v83
	v_ashrrev_i32_e32 v83, 18, v83
	v_mul_i32_i24_sdwa v116, sext(v71), v48 dst_sel:DWORD dst_unused:UNUSED_PAD src0_sel:WORD_0 src1_sel:DWORD
	v_cmp_lt_i16_e32 vcc_lo, v82, v102
	v_mul_i32_i24_sdwa v82, sext(v84), v48 dst_sel:DWORD dst_unused:UNUSED_PAD src0_sel:WORD_0 src1_sel:DWORD
	v_add_nc_u16 v102, v112, v103
	v_add_nc_u16 v83, v83, v113
	v_lshrrev_b32_e32 v103, 31, v116
	v_ashrrev_i32_e32 v112, 18, v116
	v_lshrrev_b32_e32 v113, 31, v82
	v_ashrrev_i32_e32 v82, 18, v82
	v_cndmask_b32_e32 v116, v80, v119, vcc_lo
	v_cndmask_b32_e32 v80, v119, v80, vcc_lo
	v_cmp_lt_i16_e32 vcc_lo, v102, v83
	v_add_nc_u16 v83, v112, v103
	v_add_nc_u16 v82, v82, v113
	v_mul_i32_i24_sdwa v103, sext(v51), v48 dst_sel:DWORD dst_unused:UNUSED_PAD src0_sel:WORD_0 src1_sel:DWORD
	v_mul_i32_i24_sdwa v112, sext(v100), v48 dst_sel:DWORD dst_unused:UNUSED_PAD src0_sel:WORD_0 src1_sel:DWORD
	v_cndmask_b32_e32 v102, v99, v49, vcc_lo
	v_cndmask_b32_e32 v178, v49, v99, vcc_lo
	v_mul_i32_i24_sdwa v49, sext(v70), v48 dst_sel:DWORD dst_unused:UNUSED_PAD src0_sel:WORD_0 src1_sel:DWORD
	v_cmp_lt_i16_e32 vcc_lo, v83, v82
	v_lshrrev_b32_e32 v83, 31, v103
	v_ashrrev_i32_e32 v99, 18, v103
	v_mul_i32_i24_sdwa v113, sext(v69), v48 dst_sel:DWORD dst_unused:UNUSED_PAD src0_sel:WORD_0 src1_sel:DWORD
	v_lshrrev_b32_e32 v103, 31, v49
	v_cndmask_b32_e32 v82, v71, v84, vcc_lo
	v_ashrrev_i32_e32 v49, 18, v49
	v_cndmask_b32_e32 v71, v84, v71, vcc_lo
	v_mul_i32_i24_sdwa v84, sext(v118), v48 dst_sel:DWORD dst_unused:UNUSED_PAD src0_sel:WORD_0 src1_sel:DWORD
	v_add_nc_u16 v83, v99, v83
	v_lshrrev_b32_e32 v99, 31, v112
	v_add_nc_u16 v49, v49, v103
	v_ashrrev_i32_e32 v103, 18, v112
	v_lshrrev_b32_e32 v112, 31, v84
	v_ashrrev_i32_e32 v84, 18, v84
	v_cmp_lt_i16_e32 vcc_lo, v83, v49
	v_mul_i32_i24_sdwa v49, sext(v85), v48 dst_sel:DWORD dst_unused:UNUSED_PAD src0_sel:WORD_0 src1_sel:DWORD
	v_add_nc_u16 v83, v103, v99
	v_add_nc_u16 v84, v84, v112
	v_lshrrev_b32_e32 v99, 31, v113
	v_ashrrev_i32_e32 v103, 18, v113
	v_lshrrev_b32_e32 v112, 31, v49
	v_ashrrev_i32_e32 v49, 18, v49
	v_cndmask_b32_e32 v113, v51, v70, vcc_lo
	v_cndmask_b32_e32 v51, v70, v51, vcc_lo
	v_cmp_lt_i16_e32 vcc_lo, v83, v84
	v_add_nc_u16 v70, v103, v99
	v_add_nc_u16 v49, v49, v112
	v_mul_i32_i24_sdwa v84, sext(v53), v48 dst_sel:DWORD dst_unused:UNUSED_PAD src0_sel:WORD_0 src1_sel:DWORD
	v_mul_i32_i24_sdwa v112, sext(v97), v48 dst_sel:DWORD dst_unused:UNUSED_PAD src0_sel:WORD_0 src1_sel:DWORD
	v_cndmask_b32_e32 v83, v100, v118, vcc_lo
	v_cndmask_b32_e32 v99, v118, v100, vcc_lo
	v_mul_i32_i24_sdwa v100, sext(v52), v48 dst_sel:DWORD dst_unused:UNUSED_PAD src0_sel:WORD_0 src1_sel:DWORD
	v_cmp_lt_i16_e32 vcc_lo, v70, v49
	v_lshrrev_b32_e32 v70, 31, v84
	v_ashrrev_i32_e32 v84, 18, v84
	v_mul_i32_i24_sdwa v118, sext(v66), v48 dst_sel:DWORD dst_unused:UNUSED_PAD src0_sel:WORD_0 src1_sel:DWORD
	v_lshrrev_b32_e32 v103, 31, v100
	v_ashrrev_i32_e32 v100, 18, v100
	v_cndmask_b32_e32 v49, v69, v85, vcc_lo
	v_cndmask_b32_e32 v69, v85, v69, vcc_lo
	v_mul_i32_i24_sdwa v85, sext(v117), v48 dst_sel:DWORD dst_unused:UNUSED_PAD src0_sel:WORD_0 src1_sel:DWORD
	v_add_nc_u16 v70, v84, v70
	v_add_nc_u16 v84, v100, v103
	v_lshrrev_b32_e32 v100, 31, v112
	v_ashrrev_i32_e32 v103, 18, v112
	v_lshrrev_b32_e32 v112, 31, v85
	v_ashrrev_i32_e32 v85, 18, v85
	v_cmp_lt_i16_e32 vcc_lo, v70, v84
	v_mul_i32_i24_sdwa v70, sext(v86), v48 dst_sel:DWORD dst_unused:UNUSED_PAD src0_sel:WORD_0 src1_sel:DWORD
	v_add_nc_u16 v84, v103, v100
	v_lshrrev_b32_e32 v100, 31, v118
	v_add_nc_u16 v85, v85, v112
	v_ashrrev_i32_e32 v103, 18, v118
	v_lshrrev_b32_e32 v112, 31, v70
	v_ashrrev_i32_e32 v70, 18, v70
	v_cndmask_b32_e32 v118, v53, v52, vcc_lo
	v_cndmask_b32_e32 v52, v52, v53, vcc_lo
	v_cmp_lt_i16_e32 vcc_lo, v84, v85
	v_add_nc_u16 v53, v103, v100
	v_add_nc_u16 v70, v70, v112
	v_mul_i32_i24_sdwa v85, sext(v54), v48 dst_sel:DWORD dst_unused:UNUSED_PAD src0_sel:WORD_0 src1_sel:DWORD
	v_mul_i32_i24_sdwa v100, sext(v65), v48 dst_sel:DWORD dst_unused:UNUSED_PAD src0_sel:WORD_0 src1_sel:DWORD
	v_cndmask_b32_e32 v84, v97, v117, vcc_lo
	v_cndmask_b32_e32 v97, v117, v97, vcc_lo
	v_cmp_lt_i16_e32 vcc_lo, v53, v70
	v_lshrrev_b32_e32 v70, 31, v85
	v_ashrrev_i32_e32 v85, 18, v85
	v_lshrrev_b32_e32 v103, 31, v100
	v_ashrrev_i32_e32 v100, 18, v100
	v_cndmask_b32_e32 v53, v66, v86, vcc_lo
	v_mul_i32_i24_sdwa v112, sext(v96), v48 dst_sel:DWORD dst_unused:UNUSED_PAD src0_sel:WORD_0 src1_sel:DWORD
	v_cndmask_b32_e32 v66, v86, v66, vcc_lo
	v_mul_i32_i24_sdwa v86, sext(v115), v48 dst_sel:DWORD dst_unused:UNUSED_PAD src0_sel:WORD_0 src1_sel:DWORD
	v_add_nc_u16 v70, v85, v70
	v_add_nc_u16 v85, v100, v103
	v_lshrrev_b32_e32 v100, 31, v112
	v_ashrrev_i32_e32 v103, 18, v112
	v_lshrrev_b32_e32 v112, 31, v86
	v_ashrrev_i32_e32 v86, 18, v86
	v_mul_i32_i24_sdwa v117, sext(v64), v48 dst_sel:DWORD dst_unused:UNUSED_PAD src0_sel:WORD_0 src1_sel:DWORD
	v_cmp_lt_i16_e32 vcc_lo, v70, v85
	v_mul_i32_i24_sdwa v70, sext(v87), v48 dst_sel:DWORD dst_unused:UNUSED_PAD src0_sel:WORD_0 src1_sel:DWORD
	v_add_nc_u16 v85, v103, v100
	v_add_nc_u16 v86, v86, v112
	v_lshrrev_b32_e32 v100, 31, v117
	v_ashrrev_i32_e32 v103, 18, v117
	v_lshrrev_b32_e32 v112, 31, v70
	v_ashrrev_i32_e32 v70, 18, v70
	v_cndmask_b32_e32 v117, v54, v65, vcc_lo
	v_cndmask_b32_e32 v54, v65, v54, vcc_lo
	v_cmp_lt_i16_e32 vcc_lo, v85, v86
	v_add_nc_u16 v65, v103, v100
	v_add_nc_u16 v70, v70, v112
	v_mul_i32_i24_sdwa v86, sext(v67), v48 dst_sel:DWORD dst_unused:UNUSED_PAD src0_sel:WORD_0 src1_sel:DWORD
	v_mul_i32_i24_sdwa v100, sext(v81), v48 dst_sel:DWORD dst_unused:UNUSED_PAD src0_sel:WORD_0 src1_sel:DWORD
	v_cndmask_b32_e32 v85, v96, v115, vcc_lo
	v_cndmask_b32_e32 v96, v115, v96, vcc_lo
	v_cmp_lt_i16_e32 vcc_lo, v65, v70
	v_lshrrev_b32_e32 v70, 31, v86
	v_ashrrev_i32_e32 v86, 18, v86
	v_lshrrev_b32_e32 v103, 31, v100
	v_ashrrev_i32_e32 v100, 18, v100
	v_cndmask_b32_e32 v65, v64, v87, vcc_lo
	v_mul_i32_i24_sdwa v112, sext(v98), v48 dst_sel:DWORD dst_unused:UNUSED_PAD src0_sel:WORD_0 src1_sel:DWORD
	v_cndmask_b32_e32 v64, v87, v64, vcc_lo
	v_mul_i32_i24_sdwa v87, sext(v114), v48 dst_sel:DWORD dst_unused:UNUSED_PAD src0_sel:WORD_0 src1_sel:DWORD
	v_add_nc_u16 v70, v86, v70
	v_add_nc_u16 v86, v100, v103
	v_lshrrev_b32_e32 v100, 31, v112
	v_ashrrev_i32_e32 v103, 18, v112
	v_lshrrev_b32_e32 v112, 31, v87
	v_ashrrev_i32_e32 v87, 18, v87
	v_mul_i32_i24_sdwa v115, sext(v68), v48 dst_sel:DWORD dst_unused:UNUSED_PAD src0_sel:WORD_0 src1_sel:DWORD
	v_cmp_lt_i16_e32 vcc_lo, v70, v86
	v_mul_i32_i24_sdwa v70, sext(v101), v48 dst_sel:DWORD dst_unused:UNUSED_PAD src0_sel:WORD_0 src1_sel:DWORD
	v_add_nc_u16 v86, v103, v100
	v_add_nc_u16 v87, v87, v112
	v_lshrrev_b32_e32 v100, 31, v115
	;; [unrolled: 33-line block ×3, first 2 shown]
	v_ashrrev_i32_e32 v103, 18, v114
	v_lshrrev_b32_e32 v112, 31, v81
	v_ashrrev_i32_e32 v81, 18, v81
	v_cndmask_b32_e32 v114, v55, v116, vcc_lo
	v_cndmask_b32_e32 v55, v116, v55, vcc_lo
	v_cmp_lt_i16_e32 vcc_lo, v87, v100
	v_add_nc_u16 v87, v103, v101
	v_add_nc_u16 v81, v81, v112
	v_mul_i32_i24_sdwa v101, sext(v51), v48 dst_sel:DWORD dst_unused:UNUSED_PAD src0_sel:WORD_0 src1_sel:DWORD
	v_cndmask_b32_e32 v100, v80, v50, vcc_lo
	v_cndmask_b32_e32 v177, v50, v80, vcc_lo
	v_mul_i32_i24_sdwa v50, sext(v82), v48 dst_sel:DWORD dst_unused:UNUSED_PAD src0_sel:WORD_0 src1_sel:DWORD
	v_cmp_lt_i16_e32 vcc_lo, v87, v81
	v_lshrrev_b32_e32 v80, 31, v101
	v_ashrrev_i32_e32 v81, 18, v101
	v_mul_i32_i24_sdwa v101, sext(v99), v48 dst_sel:DWORD dst_unused:UNUSED_PAD src0_sel:WORD_0 src1_sel:DWORD
	v_lshrrev_b32_e32 v87, 31, v50
	v_ashrrev_i32_e32 v50, 18, v50
	v_cndmask_b32_e32 v226, v71, v102, vcc_lo
	v_cndmask_b32_e32 v231, v102, v71, vcc_lo
	v_mul_i32_i24_sdwa v71, sext(v113), v48 dst_sel:DWORD dst_unused:UNUSED_PAD src0_sel:WORD_0 src1_sel:DWORD
	v_add_nc_u16 v80, v81, v80
	v_add_nc_u16 v50, v50, v87
	v_lshrrev_b32_e32 v81, 31, v101
	v_ashrrev_i32_e32 v87, 18, v101
	v_lshrrev_b32_e32 v101, 31, v71
	v_ashrrev_i32_e32 v71, 18, v71
	v_mul_i32_i24_sdwa v102, sext(v69), v48 dst_sel:DWORD dst_unused:UNUSED_PAD src0_sel:WORD_0 src1_sel:DWORD
	v_cmp_lt_i16_e32 vcc_lo, v80, v50
	v_mul_i32_i24_sdwa v50, sext(v83), v48 dst_sel:DWORD dst_unused:UNUSED_PAD src0_sel:WORD_0 src1_sel:DWORD
	v_add_nc_u16 v80, v87, v81
	v_add_nc_u16 v71, v71, v101
	v_lshrrev_b32_e32 v81, 31, v102
	v_ashrrev_i32_e32 v87, 18, v102
	v_lshrrev_b32_e32 v101, 31, v50
	v_ashrrev_i32_e32 v50, 18, v50
	v_cndmask_b32_e32 v225, v51, v82, vcc_lo
	v_cndmask_b32_e32 v240, v82, v51, vcc_lo
	v_cmp_lt_i16_e32 vcc_lo, v80, v71
	v_add_nc_u16 v51, v87, v81
	v_add_nc_u16 v50, v50, v101
	v_mul_i32_i24_sdwa v71, sext(v52), v48 dst_sel:DWORD dst_unused:UNUSED_PAD src0_sel:WORD_0 src1_sel:DWORD
	v_mul_i32_i24_sdwa v80, sext(v49), v48 dst_sel:DWORD dst_unused:UNUSED_PAD src0_sel:WORD_0 src1_sel:DWORD
	v_cndmask_b32_e32 v224, v99, v113, vcc_lo
	v_cndmask_b32_e32 v229, v113, v99, vcc_lo
	v_cmp_lt_i16_e32 vcc_lo, v51, v50
	v_lshrrev_b32_e32 v50, 31, v71
	v_ashrrev_i32_e32 v51, 18, v71
	v_lshrrev_b32_e32 v71, 31, v80
	v_ashrrev_i32_e32 v80, 18, v80
	v_cndmask_b32_e32 v212, v69, v83, vcc_lo
	v_mul_i32_i24_sdwa v81, sext(v97), v48 dst_sel:DWORD dst_unused:UNUSED_PAD src0_sel:WORD_0 src1_sel:DWORD
	v_cndmask_b32_e32 v227, v83, v69, vcc_lo
	v_mul_i32_i24_sdwa v69, sext(v118), v48 dst_sel:DWORD dst_unused:UNUSED_PAD src0_sel:WORD_0 src1_sel:DWORD
	v_add_nc_u16 v50, v51, v50
	v_add_nc_u16 v51, v80, v71
	v_lshrrev_b32_e32 v71, 31, v81
	v_ashrrev_i32_e32 v80, 18, v81
	v_lshrrev_b32_e32 v81, 31, v69
	v_ashrrev_i32_e32 v69, 18, v69
	v_mul_i32_i24_sdwa v82, sext(v66), v48 dst_sel:DWORD dst_unused:UNUSED_PAD src0_sel:WORD_0 src1_sel:DWORD
	v_cmp_lt_i16_e32 vcc_lo, v50, v51
	v_mul_i32_i24_sdwa v50, sext(v84), v48 dst_sel:DWORD dst_unused:UNUSED_PAD src0_sel:WORD_0 src1_sel:DWORD
	v_add_nc_u16 v51, v80, v71
	v_add_nc_u16 v69, v69, v81
	v_lshrrev_b32_e32 v71, 31, v82
	v_ashrrev_i32_e32 v80, 18, v82
	v_lshrrev_b32_e32 v81, 31, v50
	v_ashrrev_i32_e32 v50, 18, v50
	v_cndmask_b32_e32 v211, v52, v49, vcc_lo
	v_cndmask_b32_e32 v228, v49, v52, vcc_lo
	v_cmp_lt_i16_e32 vcc_lo, v51, v69
	v_add_nc_u16 v49, v80, v71
	v_add_nc_u16 v50, v50, v81
	v_mul_i32_i24_sdwa v51, sext(v54), v48 dst_sel:DWORD dst_unused:UNUSED_PAD src0_sel:WORD_0 src1_sel:DWORD
	v_mul_i32_i24_sdwa v52, sext(v53), v48 dst_sel:DWORD dst_unused:UNUSED_PAD src0_sel:WORD_0 src1_sel:DWORD
	v_cndmask_b32_e32 v210, v97, v118, vcc_lo
	v_cndmask_b32_e32 v215, v118, v97, vcc_lo
	v_cmp_lt_i16_e32 vcc_lo, v49, v50
	v_lshrrev_b32_e32 v49, 31, v51
	v_ashrrev_i32_e32 v50, 18, v51
	v_lshrrev_b32_e32 v51, 31, v52
	v_ashrrev_i32_e32 v52, 18, v52
	v_cndmask_b32_e32 v198, v66, v84, vcc_lo
	v_mul_i32_i24_sdwa v69, sext(v96), v48 dst_sel:DWORD dst_unused:UNUSED_PAD src0_sel:WORD_0 src1_sel:DWORD
	v_cndmask_b32_e32 v213, v84, v66, vcc_lo
	v_mul_i32_i24_sdwa v66, sext(v117), v48 dst_sel:DWORD dst_unused:UNUSED_PAD src0_sel:WORD_0 src1_sel:DWORD
	v_add_nc_u16 v49, v50, v49
	v_add_nc_u16 v50, v52, v51
	v_lshrrev_b32_e32 v51, 31, v69
	v_ashrrev_i32_e32 v52, 18, v69
	v_lshrrev_b32_e32 v69, 31, v66
	v_ashrrev_i32_e32 v66, 18, v66
	v_mul_i32_i24_sdwa v71, sext(v64), v48 dst_sel:DWORD dst_unused:UNUSED_PAD src0_sel:WORD_0 src1_sel:DWORD
	v_cmp_lt_i16_e32 vcc_lo, v49, v50
	v_mul_i32_i24_sdwa v49, sext(v85), v48 dst_sel:DWORD dst_unused:UNUSED_PAD src0_sel:WORD_0 src1_sel:DWORD
	v_add_nc_u16 v50, v52, v51
	v_add_nc_u16 v51, v66, v69
	v_lshrrev_b32_e32 v52, 31, v71
	v_ashrrev_i32_e32 v66, 18, v71
	v_lshrrev_b32_e32 v69, 31, v49
	v_ashrrev_i32_e32 v49, 18, v49
	v_cndmask_b32_e32 v197, v54, v53, vcc_lo
	v_cndmask_b32_e32 v214, v53, v54, vcc_lo
	v_cmp_lt_i16_e32 vcc_lo, v50, v51
	v_add_nc_u16 v50, v66, v52
	v_add_nc_u16 v49, v49, v69
	v_mul_i32_i24_sdwa v51, sext(v67), v48 dst_sel:DWORD dst_unused:UNUSED_PAD src0_sel:WORD_0 src1_sel:DWORD
	v_mul_i32_i24_sdwa v52, sext(v65), v48 dst_sel:DWORD dst_unused:UNUSED_PAD src0_sel:WORD_0 src1_sel:DWORD
	v_cndmask_b32_e32 v194, v96, v117, vcc_lo
	v_cndmask_b32_e32 v209, v117, v96, vcc_lo
	v_cmp_lt_i16_e32 vcc_lo, v50, v49
	v_lshrrev_b32_e32 v49, 31, v51
	v_ashrrev_i32_e32 v50, 18, v51
	v_lshrrev_b32_e32 v51, 31, v52
	v_ashrrev_i32_e32 v52, 18, v52
	v_mul_i32_i24_sdwa v53, sext(v98), v48 dst_sel:DWORD dst_unused:UNUSED_PAD src0_sel:WORD_0 src1_sel:DWORD
	v_mul_i32_i24_sdwa v54, sext(v115), v48 dst_sel:DWORD dst_unused:UNUSED_PAD src0_sel:WORD_0 src1_sel:DWORD
	v_add_nc_u16 v49, v50, v49
	v_cndmask_b32_e32 v193, v64, v85, vcc_lo
	v_add_nc_u16 v50, v52, v51
	v_cndmask_b32_e32 v199, v85, v64, vcc_lo
	v_lshrrev_b32_e32 v51, 31, v53
	v_ashrrev_i32_e32 v52, 18, v53
	v_lshrrev_b32_e32 v53, 31, v54
	v_ashrrev_i32_e32 v54, 18, v54
	v_cmp_lt_i16_e32 vcc_lo, v49, v50
	v_mul_i32_i24_sdwa v49, sext(v70), v48 dst_sel:DWORD dst_unused:UNUSED_PAD src0_sel:WORD_0 src1_sel:DWORD
	v_add_nc_u16 v50, v52, v51
	v_mul_i32_i24_sdwa v64, sext(v100), v48 dst_sel:DWORD dst_unused:UNUSED_PAD src0_sel:WORD_0 src1_sel:DWORD
	v_add_nc_u16 v51, v54, v53
	v_mul_i32_i24_sdwa v53, sext(v86), v48 dst_sel:DWORD dst_unused:UNUSED_PAD src0_sel:WORD_0 src1_sel:DWORD
	v_lshrrev_b32_e32 v52, 31, v49
	v_ashrrev_i32_e32 v49, 18, v49
	v_cndmask_b32_e32 v182, v67, v65, vcc_lo
	v_cndmask_b32_e32 v196, v65, v67, vcc_lo
	v_cmp_lt_i16_e32 vcc_lo, v50, v51
	v_mul_i32_i24_sdwa v50, sext(v114), v48 dst_sel:DWORD dst_unused:UNUSED_PAD src0_sel:WORD_0 src1_sel:DWORD
	v_add_nc_u16 v49, v49, v52
	v_lshrrev_b32_e32 v51, 31, v53
	v_ashrrev_i32_e32 v52, 18, v53
	v_mul_i32_i24_sdwa v53, sext(v68), v48 dst_sel:DWORD dst_unused:UNUSED_PAD src0_sel:WORD_0 src1_sel:DWORD
	v_mul_i32_i24_sdwa v48, sext(v55), v48 dst_sel:DWORD dst_unused:UNUSED_PAD src0_sel:WORD_0 src1_sel:DWORD
	v_lshrrev_b32_e32 v54, 31, v50
	v_ashrrev_i32_e32 v50, 18, v50
	v_lshrrev_b32_e32 v66, 31, v64
	v_lshrrev_b32_e32 v65, 31, v53
	v_ashrrev_i32_e32 v53, 18, v53
	v_ashrrev_i32_e32 v64, 18, v64
	v_lshrrev_b32_e32 v67, 31, v48
	v_ashrrev_i32_e32 v48, 18, v48
	v_add_nc_u16 v51, v52, v51
	v_add_nc_u16 v50, v50, v54
	;; [unrolled: 1-line block ×5, first 2 shown]
	v_cndmask_b32_e32 v181, v98, v115, vcc_lo
	v_cmp_lt_i16_e64 s4, v49, v51
	v_cndmask_b32_e32 v208, v115, v98, vcc_lo
	v_cmp_lt_i16_e32 vcc_lo, v50, v52
	v_cmp_lt_i16_e64 s5, v53, v48
	v_cndmask_b32_e64 v195, v86, v70, s4
	v_cndmask_b32_e64 v192, v70, v86, s4
	v_cndmask_b32_e32 v183, v68, v114, vcc_lo
	v_cndmask_b32_e32 v180, v114, v68, vcc_lo
	v_cndmask_b32_e64 v179, v55, v100, s5
	v_cndmask_b32_e64 v230, v100, v55, s5
.LBB522_3:
	s_or_b32 exec_lo, exec_lo, s7
	v_and_b32_e32 v48, 0xfffffc00, v39
	v_mov_b32_e32 v49, v7
	v_mbcnt_lo_u32_b32 v39, -1, 0
	s_mov_b32 s4, exec_lo
	v_sub_nc_u32_e64 v103, 0x2000, v48 clamp
	v_lshlrev_b64 v[49:50], 1, v[48:49]
	v_lshlrev_b32_e32 v112, 5, v39
	v_and_b32_e32 v48, 32, v112
	v_add_co_u32 v102, null, 0, v49
	v_and_b32_e32 v243, 0x3c0, v112
	v_min_u32_e32 v244, v103, v48
	v_lshl_add_u32 v113, v39, 6, v102
	v_or_b32_e32 v39, 32, v112
	ds_write_b16 v113, v178
	ds_write_b16 v113, v231 offset:2
	ds_write_b16 v113, v226 offset:4
	;; [unrolled: 1-line block ×13, first 2 shown]
	v_min_u32_e32 v241, v103, v39
	ds_write_b16 v113, v198 offset:28
	ds_write_b16 v113, v214 offset:30
	;; [unrolled: 1-line block ×12, first 2 shown]
	v_add_nc_u32_e32 v39, 32, v241
	v_sub_nc_u32_e32 v48, v241, v243
	ds_write_b16 v113, v192 offset:52
	ds_write_b16 v113, v183 offset:54
	;; [unrolled: 1-line block ×6, first 2 shown]
	; wave barrier
	v_min_u32_e32 v242, v103, v39
	v_sub_nc_u32_e32 v39, v242, v241
	v_sub_nc_u32_e64 v245, v244, v39 clamp
	v_min_u32_e32 v39, v244, v48
	v_cmpx_lt_u32_e64 v245, v39
	s_cbranch_execz .LBB522_7
; %bb.4:
	v_lshlrev_b32_e32 v48, 1, v243
	v_lshlrev_b32_e32 v49, 1, v241
	s_mov_b32 s5, 0
	v_add_co_u32 v48, null, v102, v48
	v_add_co_u32 v49, null, v102, v49
	.p2align	6
.LBB522_5:                              ; =>This Inner Loop Header: Depth=1
	v_add_nc_u32_e32 v50, v39, v245
	v_lshrrev_b32_e32 v51, 1, v50
	v_and_b32_e32 v50, -2, v50
	v_xad_u32 v52, v51, -1, v244
	v_add_nc_u32_e32 v50, v48, v50
	v_lshl_add_u32 v52, v52, 1, v49
	ds_read_i16 v50, v50
	ds_read_i16 v52, v52
	s_waitcnt lgkmcnt(1)
	v_mul_i32_i24_e32 v50, 0x6667, v50
	s_waitcnt lgkmcnt(0)
	v_mul_i32_i24_e32 v52, 0x6667, v52
	v_lshrrev_b32_e32 v53, 31, v50
	v_ashrrev_i32_e32 v50, 18, v50
	v_lshrrev_b32_e32 v54, 31, v52
	v_ashrrev_i32_e32 v52, 18, v52
	v_add_nc_u16 v50, v50, v53
	v_add_nc_u32_e32 v53, 1, v51
	v_add_nc_u16 v52, v52, v54
	v_cmp_lt_i16_e32 vcc_lo, v52, v50
	v_cndmask_b32_e32 v39, v39, v51, vcc_lo
	v_cndmask_b32_e32 v245, v53, v245, vcc_lo
	v_cmp_ge_u32_e32 vcc_lo, v245, v39
	s_or_b32 s5, vcc_lo, s5
	s_andn2_b32 exec_lo, exec_lo, s5
	s_cbranch_execnz .LBB522_5
; %bb.6:
	s_or_b32 exec_lo, exec_lo, s5
.LBB522_7:
	s_or_b32 exec_lo, exec_lo, s4
	v_add_nc_u32_e32 v244, v241, v244
	v_add_nc_u32_e32 v243, v245, v243
	;; [unrolled: 1-line block ×5, first 2 shown]
	v_sub_nc_u32_e32 v244, v244, v245
	v_cmp_le_u32_e32 vcc_lo, v243, v241
	v_or_b32_e32 v39, 2, v35
	v_add_nc_u32_e32 v48, 4, v35
	v_add_nc_u32_e32 v49, 6, v35
	v_cmp_le_u32_e64 s4, v244, v242
	v_add_nc_u32_e32 v50, 8, v35
	v_add_nc_u32_e32 v51, 10, v35
	;; [unrolled: 1-line block ×59, first 2 shown]
	s_or_b32 s4, vcc_lo, s4
	s_and_saveexec_b32 s5, s4
	s_cbranch_execz .LBB522_139
; %bb.8:
	s_mov_b32 s7, exec_lo
	v_cmp_ge_u32_e32 vcc_lo, v243, v241
                                        ; implicit-def: $vgpr178
	v_cmpx_lt_u32_e64 v243, v241
; %bb.9:
	v_lshl_add_u32 v177, v243, 1, v102
	ds_read_u16 v178, v177
; %bb.10:
	s_or_b32 exec_lo, exec_lo, s7
	v_cmp_ge_u32_e64 s7, v244, v242
	s_mov_b32 s10, exec_lo
                                        ; implicit-def: $vgpr230
	v_cmpx_lt_u32_e64 v244, v242
; %bb.11:
	v_lshl_add_u32 v177, v244, 1, v102
	ds_read_u16 v230, v177
; %bb.12:
	s_or_b32 exec_lo, exec_lo, s10
	s_nor_b32 s10, vcc_lo, s7
	s_and_saveexec_b32 s4, s10
	s_cbranch_execz .LBB522_14
; %bb.13:
	v_mov_b32_e32 v177, 0x6667
	s_andn2_b32 s7, s7, exec_lo
	s_waitcnt lgkmcnt(0)
	v_mul_i32_i24_sdwa v179, sext(v230), v177 dst_sel:DWORD dst_unused:UNUSED_PAD src0_sel:WORD_0 src1_sel:DWORD
	v_mul_i32_i24_sdwa v177, sext(v178), v177 dst_sel:DWORD dst_unused:UNUSED_PAD src0_sel:WORD_0 src1_sel:DWORD
	v_lshrrev_b32_e32 v180, 31, v179
	v_ashrrev_i32_e32 v179, 18, v179
	v_lshrrev_b32_e32 v181, 31, v177
	v_ashrrev_i32_e32 v177, 18, v177
	v_add_nc_u16 v179, v179, v180
	v_add_nc_u16 v177, v177, v181
	v_cmp_ge_i16_e32 vcc_lo, v179, v177
	s_and_b32 s10, vcc_lo, exec_lo
	s_or_b32 s7, s7, s10
.LBB522_14:
	s_or_b32 exec_lo, exec_lo, s4
	v_cndmask_b32_e64 v177, v244, v243, s7
	v_cndmask_b32_e64 v179, v242, v241, s7
	s_mov_b32 s10, -1
	s_mov_b32 s4, -1
	s_mov_b32 s11, exec_lo
	v_add_nc_u32_e32 v180, 1, v177
	v_add_nc_u32_e32 v177, -1, v179
	v_cndmask_b32_e64 v179, v243, v180, s7
	v_min_u32_e32 v177, v180, v177
	v_lshl_add_u32 v177, v177, 1, v102
	ds_read_u16 v181, v177
	v_cndmask_b32_e64 v177, v180, v244, s7
	s_waitcnt lgkmcnt(0)
	v_cndmask_b32_e64 v231, v181, v230, s7
	v_cndmask_b32_e64 v243, v178, v181, s7
	v_cmpx_lt_u32_e64 v177, v242
	s_cbranch_execz .LBB522_18
; %bb.15:
	s_mov_b32 s14, 0
	s_mov_b32 s4, exec_lo
	v_cmpx_lt_u32_e64 v179, v241
	s_cbranch_execz .LBB522_17
; %bb.16:
	v_mov_b32_e32 v180, 0x6667
	v_mul_i32_i24_sdwa v181, sext(v231), v180 dst_sel:DWORD dst_unused:UNUSED_PAD src0_sel:WORD_0 src1_sel:DWORD
	v_mul_i32_i24_sdwa v180, sext(v243), v180 dst_sel:DWORD dst_unused:UNUSED_PAD src0_sel:WORD_0 src1_sel:DWORD
	v_lshrrev_b32_e32 v182, 31, v181
	v_ashrrev_i32_e32 v181, 18, v181
	v_lshrrev_b32_e32 v183, 31, v180
	v_ashrrev_i32_e32 v180, 18, v180
	v_add_nc_u16 v181, v181, v182
	v_add_nc_u16 v180, v180, v183
	v_cmp_ge_i16_e32 vcc_lo, v181, v180
	s_and_b32 s14, vcc_lo, exec_lo
.LBB522_17:
	s_or_b32 exec_lo, exec_lo, s4
	s_orn2_b32 s4, s14, exec_lo
.LBB522_18:
	s_or_b32 exec_lo, exec_lo, s11
	v_cndmask_b32_e64 v180, v177, v179, s4
	v_cndmask_b32_e64 v181, v242, v241, s4
	s_mov_b32 s11, exec_lo
	v_add_nc_u32_e32 v180, 1, v180
	v_add_nc_u32_e32 v181, -1, v181
	v_cndmask_b32_e64 v177, v180, v177, s4
	v_min_u32_e32 v181, v180, v181
	v_cndmask_b32_e64 v179, v179, v180, s4
	v_lshl_add_u32 v181, v181, 1, v102
	ds_read_u16 v181, v181
	s_waitcnt lgkmcnt(0)
	v_cndmask_b32_e64 v226, v181, v231, s4
	v_cndmask_b32_e64 v244, v243, v181, s4
	v_cmpx_lt_u32_e64 v177, v242
	s_cbranch_execz .LBB522_22
; %bb.19:
	s_mov_b32 s14, 0
	s_mov_b32 s10, exec_lo
	v_cmpx_lt_u32_e64 v179, v241
	s_cbranch_execz .LBB522_21
; %bb.20:
	v_mov_b32_e32 v180, 0x6667
	v_mul_i32_i24_sdwa v181, sext(v226), v180 dst_sel:DWORD dst_unused:UNUSED_PAD src0_sel:WORD_0 src1_sel:DWORD
	v_mul_i32_i24_sdwa v180, sext(v244), v180 dst_sel:DWORD dst_unused:UNUSED_PAD src0_sel:WORD_0 src1_sel:DWORD
	v_lshrrev_b32_e32 v182, 31, v181
	v_ashrrev_i32_e32 v181, 18, v181
	v_lshrrev_b32_e32 v183, 31, v180
	v_ashrrev_i32_e32 v180, 18, v180
	v_add_nc_u16 v181, v181, v182
	v_add_nc_u16 v180, v180, v183
	v_cmp_ge_i16_e32 vcc_lo, v181, v180
	s_and_b32 s14, vcc_lo, exec_lo
.LBB522_21:
	s_or_b32 exec_lo, exec_lo, s10
	s_orn2_b32 s10, s14, exec_lo
.LBB522_22:
	s_or_b32 exec_lo, exec_lo, s11
	v_cndmask_b32_e64 v180, v177, v179, s10
	v_cndmask_b32_e64 v181, v242, v241, s10
	s_mov_b32 s14, -1
	s_mov_b32 s11, -1
	s_mov_b32 s15, exec_lo
	v_add_nc_u32_e32 v180, 1, v180
	v_add_nc_u32_e32 v181, -1, v181
	v_cndmask_b32_e64 v177, v180, v177, s10
	v_min_u32_e32 v181, v180, v181
	v_cndmask_b32_e64 v179, v179, v180, s10
	v_lshl_add_u32 v181, v181, 1, v102
	ds_read_u16 v181, v181
	s_waitcnt lgkmcnt(0)
	v_cndmask_b32_e64 v240, v181, v226, s10
	v_cndmask_b32_e64 v245, v244, v181, s10
	v_cmpx_lt_u32_e64 v177, v242
	s_cbranch_execz .LBB522_26
; %bb.23:
	s_mov_b32 s16, 0
	s_mov_b32 s11, exec_lo
	v_cmpx_lt_u32_e64 v179, v241
	s_cbranch_execz .LBB522_25
; %bb.24:
	v_mov_b32_e32 v180, 0x6667
	v_mul_i32_i24_sdwa v181, sext(v240), v180 dst_sel:DWORD dst_unused:UNUSED_PAD src0_sel:WORD_0 src1_sel:DWORD
	v_mul_i32_i24_sdwa v180, sext(v245), v180 dst_sel:DWORD dst_unused:UNUSED_PAD src0_sel:WORD_0 src1_sel:DWORD
	v_lshrrev_b32_e32 v182, 31, v181
	v_ashrrev_i32_e32 v181, 18, v181
	v_lshrrev_b32_e32 v183, 31, v180
	v_ashrrev_i32_e32 v180, 18, v180
	v_add_nc_u16 v181, v181, v182
	v_add_nc_u16 v180, v180, v183
	v_cmp_ge_i16_e32 vcc_lo, v181, v180
	s_and_b32 s16, vcc_lo, exec_lo
.LBB522_25:
	s_or_b32 exec_lo, exec_lo, s11
	s_orn2_b32 s11, s16, exec_lo
.LBB522_26:
	s_or_b32 exec_lo, exec_lo, s15
	v_cndmask_b32_e64 v180, v177, v179, s11
	v_cndmask_b32_e64 v181, v242, v241, s11
	s_mov_b32 s15, exec_lo
	v_add_nc_u32_e32 v180, 1, v180
	v_add_nc_u32_e32 v181, -1, v181
	v_cndmask_b32_e64 v177, v180, v177, s11
	v_min_u32_e32 v181, v180, v181
	v_cndmask_b32_e64 v179, v179, v180, s11
	v_lshl_add_u32 v181, v181, 1, v102
	ds_read_u16 v181, v181
	s_waitcnt lgkmcnt(0)
	v_cndmask_b32_e64 v225, v181, v240, s11
	v_cndmask_b32_e64 v246, v245, v181, s11
	v_cmpx_lt_u32_e64 v177, v242
	s_cbranch_execz .LBB522_30
; %bb.27:
	s_mov_b32 s16, 0
	s_mov_b32 s14, exec_lo
	v_cmpx_lt_u32_e64 v179, v241
	s_cbranch_execz .LBB522_29
; %bb.28:
	v_mov_b32_e32 v180, 0x6667
	v_mul_i32_i24_sdwa v181, sext(v225), v180 dst_sel:DWORD dst_unused:UNUSED_PAD src0_sel:WORD_0 src1_sel:DWORD
	v_mul_i32_i24_sdwa v180, sext(v246), v180 dst_sel:DWORD dst_unused:UNUSED_PAD src0_sel:WORD_0 src1_sel:DWORD
	v_lshrrev_b32_e32 v182, 31, v181
	v_ashrrev_i32_e32 v181, 18, v181
	v_lshrrev_b32_e32 v183, 31, v180
	v_ashrrev_i32_e32 v180, 18, v180
	v_add_nc_u16 v181, v181, v182
	v_add_nc_u16 v180, v180, v183
	v_cmp_ge_i16_e32 vcc_lo, v181, v180
	s_and_b32 s16, vcc_lo, exec_lo
.LBB522_29:
	s_or_b32 exec_lo, exec_lo, s14
	s_orn2_b32 s14, s16, exec_lo
.LBB522_30:
	s_or_b32 exec_lo, exec_lo, s15
	v_cndmask_b32_e64 v180, v177, v179, s14
	v_cndmask_b32_e64 v181, v242, v241, s14
	s_mov_b32 s16, -1
	s_mov_b32 s15, -1
	s_mov_b32 s17, exec_lo
	v_add_nc_u32_e32 v180, 1, v180
	v_add_nc_u32_e32 v181, -1, v181
	v_cndmask_b32_e64 v177, v180, v177, s14
	v_min_u32_e32 v181, v180, v181
	v_cndmask_b32_e64 v179, v179, v180, s14
	v_lshl_add_u32 v181, v181, 1, v102
	ds_read_u16 v181, v181
	s_waitcnt lgkmcnt(0)
	v_cndmask_b32_e64 v229, v181, v225, s14
	v_cndmask_b32_e64 v247, v246, v181, s14
	v_cmpx_lt_u32_e64 v177, v242
	s_cbranch_execz .LBB522_34
; %bb.31:
	s_mov_b32 s18, 0
	s_mov_b32 s15, exec_lo
	v_cmpx_lt_u32_e64 v179, v241
	s_cbranch_execz .LBB522_33
; %bb.32:
	v_mov_b32_e32 v180, 0x6667
	v_mul_i32_i24_sdwa v181, sext(v229), v180 dst_sel:DWORD dst_unused:UNUSED_PAD src0_sel:WORD_0 src1_sel:DWORD
	v_mul_i32_i24_sdwa v180, sext(v247), v180 dst_sel:DWORD dst_unused:UNUSED_PAD src0_sel:WORD_0 src1_sel:DWORD
	v_lshrrev_b32_e32 v182, 31, v181
	v_ashrrev_i32_e32 v181, 18, v181
	v_lshrrev_b32_e32 v183, 31, v180
	v_ashrrev_i32_e32 v180, 18, v180
	v_add_nc_u16 v181, v181, v182
	v_add_nc_u16 v180, v180, v183
	v_cmp_ge_i16_e32 vcc_lo, v181, v180
	s_and_b32 s18, vcc_lo, exec_lo
.LBB522_33:
	s_or_b32 exec_lo, exec_lo, s15
	s_orn2_b32 s15, s18, exec_lo
.LBB522_34:
	s_or_b32 exec_lo, exec_lo, s17
	v_cndmask_b32_e64 v180, v177, v179, s15
	v_cndmask_b32_e64 v181, v242, v241, s15
	s_mov_b32 s17, exec_lo
	v_add_nc_u32_e32 v180, 1, v180
	v_add_nc_u32_e32 v181, -1, v181
	v_cndmask_b32_e64 v177, v180, v177, s15
	v_min_u32_e32 v181, v180, v181
	v_cndmask_b32_e64 v179, v179, v180, s15
	v_lshl_add_u32 v181, v181, 1, v102
	ds_read_u16 v181, v181
	s_waitcnt lgkmcnt(0)
	v_cndmask_b32_e64 v224, v181, v229, s15
	v_cndmask_b32_e64 v40, v247, v181, s15
	v_cmpx_lt_u32_e64 v177, v242
	s_cbranch_execz .LBB522_38
; %bb.35:
	s_mov_b32 s18, 0
	s_mov_b32 s16, exec_lo
	v_cmpx_lt_u32_e64 v179, v241
	s_cbranch_execz .LBB522_37
; %bb.36:
	v_mov_b32_e32 v180, 0x6667
	v_mul_i32_i24_sdwa v181, sext(v224), v180 dst_sel:DWORD dst_unused:UNUSED_PAD src0_sel:WORD_0 src1_sel:DWORD
	v_mul_i32_i24_sdwa v180, sext(v40), v180 dst_sel:DWORD dst_unused:UNUSED_PAD src0_sel:WORD_0 src1_sel:DWORD
	v_lshrrev_b32_e32 v182, 31, v181
	v_ashrrev_i32_e32 v181, 18, v181
	v_lshrrev_b32_e32 v183, 31, v180
	v_ashrrev_i32_e32 v180, 18, v180
	v_add_nc_u16 v181, v181, v182
	v_add_nc_u16 v180, v180, v183
	v_cmp_ge_i16_e32 vcc_lo, v181, v180
	s_and_b32 s18, vcc_lo, exec_lo
.LBB522_37:
	s_or_b32 exec_lo, exec_lo, s16
	s_orn2_b32 s16, s18, exec_lo
.LBB522_38:
	s_or_b32 exec_lo, exec_lo, s17
	v_cndmask_b32_e64 v180, v177, v179, s16
	v_cndmask_b32_e64 v181, v242, v241, s16
	s_mov_b32 s18, -1
	s_mov_b32 s17, -1
	s_mov_b32 s19, exec_lo
	v_add_nc_u32_e32 v180, 1, v180
	v_add_nc_u32_e32 v181, -1, v181
	v_cndmask_b32_e64 v177, v180, v177, s16
	v_min_u32_e32 v181, v180, v181
	v_cndmask_b32_e64 v179, v179, v180, s16
	v_lshl_add_u32 v181, v181, 1, v102
	ds_read_u16 v181, v181
	s_waitcnt lgkmcnt(0)
	v_cndmask_b32_e64 v227, v181, v224, s16
	v_cndmask_b32_e64 v41, v40, v181, s16
	v_cmpx_lt_u32_e64 v177, v242
	s_cbranch_execz .LBB522_42
; %bb.39:
	s_mov_b32 s20, 0
	s_mov_b32 s17, exec_lo
	v_cmpx_lt_u32_e64 v179, v241
	s_cbranch_execz .LBB522_41
; %bb.40:
	v_mov_b32_e32 v180, 0x6667
	v_mul_i32_i24_sdwa v181, sext(v227), v180 dst_sel:DWORD dst_unused:UNUSED_PAD src0_sel:WORD_0 src1_sel:DWORD
	v_mul_i32_i24_sdwa v180, sext(v41), v180 dst_sel:DWORD dst_unused:UNUSED_PAD src0_sel:WORD_0 src1_sel:DWORD
	v_lshrrev_b32_e32 v182, 31, v181
	v_ashrrev_i32_e32 v181, 18, v181
	v_lshrrev_b32_e32 v183, 31, v180
	v_ashrrev_i32_e32 v180, 18, v180
	v_add_nc_u16 v181, v181, v182
	v_add_nc_u16 v180, v180, v183
	v_cmp_ge_i16_e32 vcc_lo, v181, v180
	s_and_b32 s20, vcc_lo, exec_lo
.LBB522_41:
	s_or_b32 exec_lo, exec_lo, s17
	s_orn2_b32 s17, s20, exec_lo
.LBB522_42:
	s_or_b32 exec_lo, exec_lo, s19
	v_cndmask_b32_e64 v180, v177, v179, s17
	v_cndmask_b32_e64 v181, v242, v241, s17
	s_mov_b32 s19, exec_lo
	v_add_nc_u32_e32 v180, 1, v180
	v_add_nc_u32_e32 v181, -1, v181
	v_cndmask_b32_e64 v177, v180, v177, s17
	v_min_u32_e32 v181, v180, v181
	v_cndmask_b32_e64 v179, v179, v180, s17
	v_lshl_add_u32 v181, v181, 1, v102
	ds_read_u16 v181, v181
	s_waitcnt lgkmcnt(0)
	v_cndmask_b32_e64 v212, v181, v227, s17
	v_cndmask_b32_e64 v42, v41, v181, s17
	v_cmpx_lt_u32_e64 v177, v242
	s_cbranch_execz .LBB522_46
; %bb.43:
	s_mov_b32 s20, 0
	s_mov_b32 s18, exec_lo
	v_cmpx_lt_u32_e64 v179, v241
	s_cbranch_execz .LBB522_45
; %bb.44:
	v_mov_b32_e32 v180, 0x6667
	v_mul_i32_i24_sdwa v181, sext(v212), v180 dst_sel:DWORD dst_unused:UNUSED_PAD src0_sel:WORD_0 src1_sel:DWORD
	v_mul_i32_i24_sdwa v180, sext(v42), v180 dst_sel:DWORD dst_unused:UNUSED_PAD src0_sel:WORD_0 src1_sel:DWORD
	v_lshrrev_b32_e32 v182, 31, v181
	v_ashrrev_i32_e32 v181, 18, v181
	v_lshrrev_b32_e32 v183, 31, v180
	v_ashrrev_i32_e32 v180, 18, v180
	v_add_nc_u16 v181, v181, v182
	v_add_nc_u16 v180, v180, v183
	v_cmp_ge_i16_e32 vcc_lo, v181, v180
	s_and_b32 s20, vcc_lo, exec_lo
.LBB522_45:
	s_or_b32 exec_lo, exec_lo, s18
	s_orn2_b32 s18, s20, exec_lo
.LBB522_46:
	s_or_b32 exec_lo, exec_lo, s19
	v_cndmask_b32_e64 v180, v177, v179, s18
	v_cndmask_b32_e64 v181, v242, v241, s18
	s_mov_b32 s20, -1
	s_mov_b32 s19, -1
	s_mov_b32 s21, exec_lo
	v_add_nc_u32_e32 v180, 1, v180
	v_add_nc_u32_e32 v181, -1, v181
	v_cndmask_b32_e64 v177, v180, v177, s18
	v_min_u32_e32 v181, v180, v181
	v_cndmask_b32_e64 v179, v179, v180, s18
	v_lshl_add_u32 v181, v181, 1, v102
	ds_read_u16 v181, v181
	s_waitcnt lgkmcnt(0)
	v_cndmask_b32_e64 v228, v181, v212, s18
	v_cndmask_b32_e64 v43, v42, v181, s18
	v_cmpx_lt_u32_e64 v177, v242
	s_cbranch_execz .LBB522_50
; %bb.47:
	s_mov_b32 s22, 0
	s_mov_b32 s19, exec_lo
	v_cmpx_lt_u32_e64 v179, v241
	s_cbranch_execz .LBB522_49
; %bb.48:
	v_mov_b32_e32 v180, 0x6667
	v_mul_i32_i24_sdwa v181, sext(v228), v180 dst_sel:DWORD dst_unused:UNUSED_PAD src0_sel:WORD_0 src1_sel:DWORD
	v_mul_i32_i24_sdwa v180, sext(v43), v180 dst_sel:DWORD dst_unused:UNUSED_PAD src0_sel:WORD_0 src1_sel:DWORD
	v_lshrrev_b32_e32 v182, 31, v181
	v_ashrrev_i32_e32 v181, 18, v181
	v_lshrrev_b32_e32 v183, 31, v180
	v_ashrrev_i32_e32 v180, 18, v180
	v_add_nc_u16 v181, v181, v182
	v_add_nc_u16 v180, v180, v183
	v_cmp_ge_i16_e32 vcc_lo, v181, v180
	s_and_b32 s22, vcc_lo, exec_lo
.LBB522_49:
	s_or_b32 exec_lo, exec_lo, s19
	s_orn2_b32 s19, s22, exec_lo
.LBB522_50:
	s_or_b32 exec_lo, exec_lo, s21
	v_cndmask_b32_e64 v180, v177, v179, s19
	v_cndmask_b32_e64 v181, v242, v241, s19
	s_mov_b32 s21, exec_lo
	v_add_nc_u32_e32 v180, 1, v180
	v_add_nc_u32_e32 v181, -1, v181
	v_cndmask_b32_e64 v177, v180, v177, s19
	v_min_u32_e32 v181, v180, v181
	v_cndmask_b32_e64 v179, v179, v180, s19
	v_lshl_add_u32 v181, v181, 1, v102
	ds_read_u16 v181, v181
	s_waitcnt lgkmcnt(0)
	v_cndmask_b32_e64 v211, v181, v228, s19
	v_cndmask_b32_e64 v44, v43, v181, s19
	v_cmpx_lt_u32_e64 v177, v242
	s_cbranch_execz .LBB522_54
; %bb.51:
	s_mov_b32 s22, 0
	s_mov_b32 s20, exec_lo
	v_cmpx_lt_u32_e64 v179, v241
	s_cbranch_execz .LBB522_53
; %bb.52:
	v_mov_b32_e32 v180, 0x6667
	v_mul_i32_i24_sdwa v181, sext(v211), v180 dst_sel:DWORD dst_unused:UNUSED_PAD src0_sel:WORD_0 src1_sel:DWORD
	v_mul_i32_i24_sdwa v180, sext(v44), v180 dst_sel:DWORD dst_unused:UNUSED_PAD src0_sel:WORD_0 src1_sel:DWORD
	v_lshrrev_b32_e32 v182, 31, v181
	v_ashrrev_i32_e32 v181, 18, v181
	v_lshrrev_b32_e32 v183, 31, v180
	v_ashrrev_i32_e32 v180, 18, v180
	v_add_nc_u16 v181, v181, v182
	v_add_nc_u16 v180, v180, v183
	v_cmp_ge_i16_e32 vcc_lo, v181, v180
	s_and_b32 s22, vcc_lo, exec_lo
.LBB522_53:
	s_or_b32 exec_lo, exec_lo, s20
	s_orn2_b32 s20, s22, exec_lo
.LBB522_54:
	s_or_b32 exec_lo, exec_lo, s21
	v_cndmask_b32_e64 v180, v177, v179, s20
	v_cndmask_b32_e64 v181, v242, v241, s20
	s_mov_b32 s22, -1
	s_mov_b32 s21, -1
	s_mov_b32 s23, exec_lo
	v_add_nc_u32_e32 v180, 1, v180
	v_add_nc_u32_e32 v181, -1, v181
	v_cndmask_b32_e64 v177, v180, v177, s20
	v_min_u32_e32 v181, v180, v181
	v_cndmask_b32_e64 v179, v179, v180, s20
	v_lshl_add_u32 v181, v181, 1, v102
	ds_read_u16 v181, v181
	s_waitcnt lgkmcnt(0)
	v_cndmask_b32_e64 v215, v181, v211, s20
	v_cndmask_b32_e64 v45, v44, v181, s20
	v_cmpx_lt_u32_e64 v177, v242
	s_cbranch_execz .LBB522_58
; %bb.55:
	s_mov_b32 s24, 0
	s_mov_b32 s21, exec_lo
	v_cmpx_lt_u32_e64 v179, v241
	s_cbranch_execz .LBB522_57
; %bb.56:
	v_mov_b32_e32 v180, 0x6667
	v_mul_i32_i24_sdwa v181, sext(v215), v180 dst_sel:DWORD dst_unused:UNUSED_PAD src0_sel:WORD_0 src1_sel:DWORD
	v_mul_i32_i24_sdwa v180, sext(v45), v180 dst_sel:DWORD dst_unused:UNUSED_PAD src0_sel:WORD_0 src1_sel:DWORD
	v_lshrrev_b32_e32 v182, 31, v181
	v_ashrrev_i32_e32 v181, 18, v181
	v_lshrrev_b32_e32 v183, 31, v180
	v_ashrrev_i32_e32 v180, 18, v180
	v_add_nc_u16 v181, v181, v182
	v_add_nc_u16 v180, v180, v183
	v_cmp_ge_i16_e32 vcc_lo, v181, v180
	s_and_b32 s24, vcc_lo, exec_lo
.LBB522_57:
	s_or_b32 exec_lo, exec_lo, s21
	s_orn2_b32 s21, s24, exec_lo
.LBB522_58:
	s_or_b32 exec_lo, exec_lo, s23
	v_cndmask_b32_e64 v180, v177, v179, s21
	v_cndmask_b32_e64 v181, v242, v241, s21
	s_mov_b32 s23, exec_lo
	v_add_nc_u32_e32 v180, 1, v180
	v_add_nc_u32_e32 v181, -1, v181
	v_cndmask_b32_e64 v177, v180, v177, s21
	v_min_u32_e32 v181, v180, v181
	v_cndmask_b32_e64 v179, v179, v180, s21
	v_lshl_add_u32 v181, v181, 1, v102
	ds_read_u16 v181, v181
	s_waitcnt lgkmcnt(0)
	v_cndmask_b32_e64 v210, v181, v215, s21
	v_cndmask_b32_e64 v46, v45, v181, s21
	v_cmpx_lt_u32_e64 v177, v242
	s_cbranch_execz .LBB522_62
; %bb.59:
	s_mov_b32 s24, 0
	s_mov_b32 s22, exec_lo
	v_cmpx_lt_u32_e64 v179, v241
	s_cbranch_execz .LBB522_61
; %bb.60:
	v_mov_b32_e32 v180, 0x6667
	v_mul_i32_i24_sdwa v181, sext(v210), v180 dst_sel:DWORD dst_unused:UNUSED_PAD src0_sel:WORD_0 src1_sel:DWORD
	v_mul_i32_i24_sdwa v180, sext(v46), v180 dst_sel:DWORD dst_unused:UNUSED_PAD src0_sel:WORD_0 src1_sel:DWORD
	v_lshrrev_b32_e32 v182, 31, v181
	v_ashrrev_i32_e32 v181, 18, v181
	v_lshrrev_b32_e32 v183, 31, v180
	v_ashrrev_i32_e32 v180, 18, v180
	v_add_nc_u16 v181, v181, v182
	v_add_nc_u16 v180, v180, v183
	v_cmp_ge_i16_e32 vcc_lo, v181, v180
	s_and_b32 s24, vcc_lo, exec_lo
.LBB522_61:
	s_or_b32 exec_lo, exec_lo, s22
	s_orn2_b32 s22, s24, exec_lo
.LBB522_62:
	s_or_b32 exec_lo, exec_lo, s23
	v_cndmask_b32_e64 v180, v177, v179, s22
	v_cndmask_b32_e64 v181, v242, v241, s22
	s_mov_b32 s24, -1
	s_mov_b32 s23, -1
	s_mov_b32 s25, exec_lo
	v_add_nc_u32_e32 v180, 1, v180
	v_add_nc_u32_e32 v181, -1, v181
	v_cndmask_b32_e64 v177, v180, v177, s22
	v_min_u32_e32 v181, v180, v181
	v_cndmask_b32_e64 v179, v179, v180, s22
	v_lshl_add_u32 v181, v181, 1, v102
	ds_read_u16 v181, v181
	s_waitcnt lgkmcnt(0)
	v_cndmask_b32_e64 v213, v181, v210, s22
	v_cndmask_b32_e64 v47, v46, v181, s22
	v_cmpx_lt_u32_e64 v177, v242
	s_cbranch_execz .LBB522_66
; %bb.63:
	s_mov_b32 s26, 0
	s_mov_b32 s23, exec_lo
	v_cmpx_lt_u32_e64 v179, v241
	s_cbranch_execz .LBB522_65
; %bb.64:
	v_mov_b32_e32 v180, 0x6667
	v_mul_i32_i24_sdwa v181, sext(v213), v180 dst_sel:DWORD dst_unused:UNUSED_PAD src0_sel:WORD_0 src1_sel:DWORD
	v_mul_i32_i24_sdwa v180, sext(v47), v180 dst_sel:DWORD dst_unused:UNUSED_PAD src0_sel:WORD_0 src1_sel:DWORD
	v_lshrrev_b32_e32 v182, 31, v181
	v_ashrrev_i32_e32 v181, 18, v181
	v_lshrrev_b32_e32 v183, 31, v180
	v_ashrrev_i32_e32 v180, 18, v180
	v_add_nc_u16 v181, v181, v182
	v_add_nc_u16 v180, v180, v183
	v_cmp_ge_i16_e32 vcc_lo, v181, v180
	s_and_b32 s26, vcc_lo, exec_lo
.LBB522_65:
	s_or_b32 exec_lo, exec_lo, s23
	s_orn2_b32 s23, s26, exec_lo
.LBB522_66:
	s_or_b32 exec_lo, exec_lo, s25
	v_cndmask_b32_e64 v180, v177, v179, s23
	v_cndmask_b32_e64 v181, v242, v241, s23
	s_mov_b32 s25, exec_lo
	v_add_nc_u32_e32 v180, 1, v180
	v_add_nc_u32_e32 v181, -1, v181
	v_cndmask_b32_e64 v177, v180, v177, s23
	v_min_u32_e32 v181, v180, v181
	v_cndmask_b32_e64 v179, v179, v180, s23
	v_lshl_add_u32 v181, v181, 1, v102
	ds_read_u16 v181, v181
	s_waitcnt lgkmcnt(0)
	v_cndmask_b32_e64 v198, v181, v213, s23
	v_cndmask_b32_e64 v56, v47, v181, s23
	v_cmpx_lt_u32_e64 v177, v242
	s_cbranch_execz .LBB522_70
; %bb.67:
	s_mov_b32 s26, 0
	s_mov_b32 s24, exec_lo
	v_cmpx_lt_u32_e64 v179, v241
	s_cbranch_execz .LBB522_69
; %bb.68:
	v_mov_b32_e32 v180, 0x6667
	v_mul_i32_i24_sdwa v181, sext(v198), v180 dst_sel:DWORD dst_unused:UNUSED_PAD src0_sel:WORD_0 src1_sel:DWORD
	v_mul_i32_i24_sdwa v180, sext(v56), v180 dst_sel:DWORD dst_unused:UNUSED_PAD src0_sel:WORD_0 src1_sel:DWORD
	v_lshrrev_b32_e32 v182, 31, v181
	v_ashrrev_i32_e32 v181, 18, v181
	v_lshrrev_b32_e32 v183, 31, v180
	v_ashrrev_i32_e32 v180, 18, v180
	v_add_nc_u16 v181, v181, v182
	v_add_nc_u16 v180, v180, v183
	v_cmp_ge_i16_e32 vcc_lo, v181, v180
	s_and_b32 s26, vcc_lo, exec_lo
.LBB522_69:
	s_or_b32 exec_lo, exec_lo, s24
	s_orn2_b32 s24, s26, exec_lo
.LBB522_70:
	s_or_b32 exec_lo, exec_lo, s25
	v_cndmask_b32_e64 v180, v177, v179, s24
	v_cndmask_b32_e64 v181, v242, v241, s24
	s_mov_b32 s26, -1
	s_mov_b32 s25, -1
	s_mov_b32 s27, exec_lo
	v_add_nc_u32_e32 v180, 1, v180
	v_add_nc_u32_e32 v181, -1, v181
	v_cndmask_b32_e64 v177, v180, v177, s24
	v_min_u32_e32 v181, v180, v181
	v_cndmask_b32_e64 v179, v179, v180, s24
	v_lshl_add_u32 v181, v181, 1, v102
	ds_read_u16 v181, v181
	s_waitcnt lgkmcnt(0)
	v_cndmask_b32_e64 v214, v181, v198, s24
	v_cndmask_b32_e64 v57, v56, v181, s24
	v_cmpx_lt_u32_e64 v177, v242
	s_cbranch_execz .LBB522_74
; %bb.71:
	s_mov_b32 s28, 0
	s_mov_b32 s25, exec_lo
	v_cmpx_lt_u32_e64 v179, v241
	s_cbranch_execz .LBB522_73
; %bb.72:
	v_mov_b32_e32 v180, 0x6667
	v_mul_i32_i24_sdwa v181, sext(v214), v180 dst_sel:DWORD dst_unused:UNUSED_PAD src0_sel:WORD_0 src1_sel:DWORD
	v_mul_i32_i24_sdwa v180, sext(v57), v180 dst_sel:DWORD dst_unused:UNUSED_PAD src0_sel:WORD_0 src1_sel:DWORD
	v_lshrrev_b32_e32 v182, 31, v181
	v_ashrrev_i32_e32 v181, 18, v181
	v_lshrrev_b32_e32 v183, 31, v180
	v_ashrrev_i32_e32 v180, 18, v180
	v_add_nc_u16 v181, v181, v182
	v_add_nc_u16 v180, v180, v183
	v_cmp_ge_i16_e32 vcc_lo, v181, v180
	s_and_b32 s28, vcc_lo, exec_lo
.LBB522_73:
	s_or_b32 exec_lo, exec_lo, s25
	s_orn2_b32 s25, s28, exec_lo
.LBB522_74:
	s_or_b32 exec_lo, exec_lo, s27
	v_cndmask_b32_e64 v180, v177, v179, s25
	v_cndmask_b32_e64 v181, v242, v241, s25
	s_mov_b32 s27, exec_lo
	v_add_nc_u32_e32 v180, 1, v180
	v_add_nc_u32_e32 v181, -1, v181
	v_cndmask_b32_e64 v177, v180, v177, s25
	v_min_u32_e32 v181, v180, v181
	v_cndmask_b32_e64 v179, v179, v180, s25
	v_lshl_add_u32 v181, v181, 1, v102
	ds_read_u16 v181, v181
	s_waitcnt lgkmcnt(0)
	v_cndmask_b32_e64 v197, v181, v214, s25
	v_cndmask_b32_e64 v58, v57, v181, s25
	v_cmpx_lt_u32_e64 v177, v242
	s_cbranch_execz .LBB522_78
; %bb.75:
	s_mov_b32 s28, 0
	s_mov_b32 s26, exec_lo
	v_cmpx_lt_u32_e64 v179, v241
	s_cbranch_execz .LBB522_77
; %bb.76:
	v_mov_b32_e32 v180, 0x6667
	v_mul_i32_i24_sdwa v181, sext(v197), v180 dst_sel:DWORD dst_unused:UNUSED_PAD src0_sel:WORD_0 src1_sel:DWORD
	v_mul_i32_i24_sdwa v180, sext(v58), v180 dst_sel:DWORD dst_unused:UNUSED_PAD src0_sel:WORD_0 src1_sel:DWORD
	v_lshrrev_b32_e32 v182, 31, v181
	v_ashrrev_i32_e32 v181, 18, v181
	v_lshrrev_b32_e32 v183, 31, v180
	v_ashrrev_i32_e32 v180, 18, v180
	v_add_nc_u16 v181, v181, v182
	v_add_nc_u16 v180, v180, v183
	v_cmp_ge_i16_e32 vcc_lo, v181, v180
	s_and_b32 s28, vcc_lo, exec_lo
.LBB522_77:
	s_or_b32 exec_lo, exec_lo, s26
	s_orn2_b32 s26, s28, exec_lo
.LBB522_78:
	s_or_b32 exec_lo, exec_lo, s27
	v_cndmask_b32_e64 v180, v177, v179, s26
	v_cndmask_b32_e64 v181, v242, v241, s26
	s_mov_b32 s28, -1
	s_mov_b32 s27, -1
	s_mov_b32 s29, exec_lo
	v_add_nc_u32_e32 v180, 1, v180
	v_add_nc_u32_e32 v181, -1, v181
	v_cndmask_b32_e64 v177, v180, v177, s26
	v_min_u32_e32 v181, v180, v181
	v_cndmask_b32_e64 v179, v179, v180, s26
	v_lshl_add_u32 v181, v181, 1, v102
	ds_read_u16 v181, v181
	s_waitcnt lgkmcnt(0)
	v_cndmask_b32_e64 v209, v181, v197, s26
	v_cndmask_b32_e64 v59, v58, v181, s26
	v_cmpx_lt_u32_e64 v177, v242
	s_cbranch_execz .LBB522_82
; %bb.79:
	s_mov_b32 s40, 0
	s_mov_b32 s27, exec_lo
	v_cmpx_lt_u32_e64 v179, v241
	s_cbranch_execz .LBB522_81
; %bb.80:
	v_mov_b32_e32 v180, 0x6667
	v_mul_i32_i24_sdwa v181, sext(v209), v180 dst_sel:DWORD dst_unused:UNUSED_PAD src0_sel:WORD_0 src1_sel:DWORD
	v_mul_i32_i24_sdwa v180, sext(v59), v180 dst_sel:DWORD dst_unused:UNUSED_PAD src0_sel:WORD_0 src1_sel:DWORD
	v_lshrrev_b32_e32 v182, 31, v181
	v_ashrrev_i32_e32 v181, 18, v181
	v_lshrrev_b32_e32 v183, 31, v180
	v_ashrrev_i32_e32 v180, 18, v180
	v_add_nc_u16 v181, v181, v182
	v_add_nc_u16 v180, v180, v183
	v_cmp_ge_i16_e32 vcc_lo, v181, v180
	s_and_b32 s40, vcc_lo, exec_lo
.LBB522_81:
	s_or_b32 exec_lo, exec_lo, s27
	s_orn2_b32 s27, s40, exec_lo
.LBB522_82:
	s_or_b32 exec_lo, exec_lo, s29
	v_cndmask_b32_e64 v180, v177, v179, s27
	v_cndmask_b32_e64 v181, v242, v241, s27
	s_mov_b32 s29, exec_lo
	v_add_nc_u32_e32 v180, 1, v180
	v_add_nc_u32_e32 v181, -1, v181
	v_cndmask_b32_e64 v177, v180, v177, s27
	v_min_u32_e32 v181, v180, v181
	v_cndmask_b32_e64 v179, v179, v180, s27
	v_lshl_add_u32 v181, v181, 1, v102
	ds_read_u16 v181, v181
	s_waitcnt lgkmcnt(0)
	v_cndmask_b32_e64 v194, v181, v209, s27
	v_cndmask_b32_e64 v60, v59, v181, s27
	v_cmpx_lt_u32_e64 v177, v242
	s_cbranch_execz .LBB522_86
; %bb.83:
	s_mov_b32 s40, 0
	s_mov_b32 s28, exec_lo
	v_cmpx_lt_u32_e64 v179, v241
	s_cbranch_execz .LBB522_85
; %bb.84:
	v_mov_b32_e32 v180, 0x6667
	v_mul_i32_i24_sdwa v181, sext(v194), v180 dst_sel:DWORD dst_unused:UNUSED_PAD src0_sel:WORD_0 src1_sel:DWORD
	v_mul_i32_i24_sdwa v180, sext(v60), v180 dst_sel:DWORD dst_unused:UNUSED_PAD src0_sel:WORD_0 src1_sel:DWORD
	v_lshrrev_b32_e32 v182, 31, v181
	v_ashrrev_i32_e32 v181, 18, v181
	v_lshrrev_b32_e32 v183, 31, v180
	v_ashrrev_i32_e32 v180, 18, v180
	v_add_nc_u16 v181, v181, v182
	v_add_nc_u16 v180, v180, v183
	v_cmp_ge_i16_e32 vcc_lo, v181, v180
	s_and_b32 s40, vcc_lo, exec_lo
.LBB522_85:
	s_or_b32 exec_lo, exec_lo, s28
	s_orn2_b32 s28, s40, exec_lo
.LBB522_86:
	s_or_b32 exec_lo, exec_lo, s29
	v_cndmask_b32_e64 v180, v177, v179, s28
	v_cndmask_b32_e64 v181, v242, v241, s28
	s_mov_b32 s40, -1
	s_mov_b32 s29, -1
	s_mov_b32 s41, exec_lo
	v_add_nc_u32_e32 v180, 1, v180
	v_add_nc_u32_e32 v181, -1, v181
	v_cndmask_b32_e64 v177, v180, v177, s28
	v_min_u32_e32 v181, v180, v181
	v_cndmask_b32_e64 v179, v179, v180, s28
	v_lshl_add_u32 v181, v181, 1, v102
	ds_read_u16 v181, v181
	s_waitcnt lgkmcnt(0)
	v_cndmask_b32_e64 v199, v181, v194, s28
	v_cndmask_b32_e64 v61, v60, v181, s28
	v_cmpx_lt_u32_e64 v177, v242
	s_cbranch_execz .LBB522_90
; %bb.87:
	s_mov_b32 s42, 0
	s_mov_b32 s29, exec_lo
	v_cmpx_lt_u32_e64 v179, v241
	s_cbranch_execz .LBB522_89
; %bb.88:
	v_mov_b32_e32 v180, 0x6667
	v_mul_i32_i24_sdwa v181, sext(v199), v180 dst_sel:DWORD dst_unused:UNUSED_PAD src0_sel:WORD_0 src1_sel:DWORD
	v_mul_i32_i24_sdwa v180, sext(v61), v180 dst_sel:DWORD dst_unused:UNUSED_PAD src0_sel:WORD_0 src1_sel:DWORD
	v_lshrrev_b32_e32 v182, 31, v181
	v_ashrrev_i32_e32 v181, 18, v181
	v_lshrrev_b32_e32 v183, 31, v180
	v_ashrrev_i32_e32 v180, 18, v180
	v_add_nc_u16 v181, v181, v182
	v_add_nc_u16 v180, v180, v183
	v_cmp_ge_i16_e32 vcc_lo, v181, v180
	s_and_b32 s42, vcc_lo, exec_lo
.LBB522_89:
	s_or_b32 exec_lo, exec_lo, s29
	s_orn2_b32 s29, s42, exec_lo
.LBB522_90:
	s_or_b32 exec_lo, exec_lo, s41
	v_cndmask_b32_e64 v180, v177, v179, s29
	v_cndmask_b32_e64 v181, v242, v241, s29
	s_mov_b32 s41, exec_lo
	v_add_nc_u32_e32 v180, 1, v180
	v_add_nc_u32_e32 v181, -1, v181
	v_cndmask_b32_e64 v177, v180, v177, s29
	v_min_u32_e32 v181, v180, v181
	v_cndmask_b32_e64 v179, v179, v180, s29
	v_lshl_add_u32 v181, v181, 1, v102
	ds_read_u16 v181, v181
	s_waitcnt lgkmcnt(0)
	v_cndmask_b32_e64 v193, v181, v199, s29
	v_cndmask_b32_e64 v62, v61, v181, s29
	v_cmpx_lt_u32_e64 v177, v242
	s_cbranch_execz .LBB522_94
; %bb.91:
	s_mov_b32 s42, 0
	s_mov_b32 s40, exec_lo
	v_cmpx_lt_u32_e64 v179, v241
	s_cbranch_execz .LBB522_93
; %bb.92:
	v_mov_b32_e32 v180, 0x6667
	v_mul_i32_i24_sdwa v181, sext(v193), v180 dst_sel:DWORD dst_unused:UNUSED_PAD src0_sel:WORD_0 src1_sel:DWORD
	v_mul_i32_i24_sdwa v180, sext(v62), v180 dst_sel:DWORD dst_unused:UNUSED_PAD src0_sel:WORD_0 src1_sel:DWORD
	v_lshrrev_b32_e32 v182, 31, v181
	v_ashrrev_i32_e32 v181, 18, v181
	v_lshrrev_b32_e32 v183, 31, v180
	v_ashrrev_i32_e32 v180, 18, v180
	v_add_nc_u16 v181, v181, v182
	v_add_nc_u16 v180, v180, v183
	v_cmp_ge_i16_e32 vcc_lo, v181, v180
	s_and_b32 s42, vcc_lo, exec_lo
.LBB522_93:
	s_or_b32 exec_lo, exec_lo, s40
	s_orn2_b32 s40, s42, exec_lo
.LBB522_94:
	s_or_b32 exec_lo, exec_lo, s41
	v_cndmask_b32_e64 v180, v177, v179, s40
	v_cndmask_b32_e64 v181, v242, v241, s40
	s_mov_b32 s42, -1
	s_mov_b32 s41, -1
	s_mov_b32 s43, exec_lo
	v_add_nc_u32_e32 v180, 1, v180
	v_add_nc_u32_e32 v181, -1, v181
	v_cndmask_b32_e64 v177, v180, v177, s40
	v_min_u32_e32 v181, v180, v181
	v_cndmask_b32_e64 v179, v179, v180, s40
	v_lshl_add_u32 v181, v181, 1, v102
	ds_read_u16 v181, v181
	s_waitcnt lgkmcnt(0)
	v_cndmask_b32_e64 v196, v181, v193, s40
	v_cndmask_b32_e64 v63, v62, v181, s40
	v_cmpx_lt_u32_e64 v177, v242
	s_cbranch_execz .LBB522_98
; %bb.95:
	s_mov_b32 s44, 0
	s_mov_b32 s41, exec_lo
	v_cmpx_lt_u32_e64 v179, v241
	s_cbranch_execz .LBB522_97
; %bb.96:
	v_mov_b32_e32 v180, 0x6667
	v_mul_i32_i24_sdwa v181, sext(v196), v180 dst_sel:DWORD dst_unused:UNUSED_PAD src0_sel:WORD_0 src1_sel:DWORD
	v_mul_i32_i24_sdwa v180, sext(v63), v180 dst_sel:DWORD dst_unused:UNUSED_PAD src0_sel:WORD_0 src1_sel:DWORD
	v_lshrrev_b32_e32 v182, 31, v181
	v_ashrrev_i32_e32 v181, 18, v181
	v_lshrrev_b32_e32 v183, 31, v180
	v_ashrrev_i32_e32 v180, 18, v180
	v_add_nc_u16 v181, v181, v182
	v_add_nc_u16 v180, v180, v183
	v_cmp_ge_i16_e32 vcc_lo, v181, v180
	s_and_b32 s44, vcc_lo, exec_lo
.LBB522_97:
	s_or_b32 exec_lo, exec_lo, s41
	s_orn2_b32 s41, s44, exec_lo
.LBB522_98:
	s_or_b32 exec_lo, exec_lo, s43
	v_cndmask_b32_e64 v180, v177, v179, s41
	v_cndmask_b32_e64 v181, v242, v241, s41
	s_mov_b32 s43, exec_lo
	v_add_nc_u32_e32 v180, 1, v180
	v_add_nc_u32_e32 v181, -1, v181
	v_cndmask_b32_e64 v177, v180, v177, s41
	v_min_u32_e32 v181, v180, v181
	v_cndmask_b32_e64 v179, v179, v180, s41
	v_lshl_add_u32 v181, v181, 1, v102
	ds_read_u16 v181, v181
	s_waitcnt lgkmcnt(0)
	v_cndmask_b32_e64 v182, v181, v196, s41
	v_cndmask_b32_e64 v72, v63, v181, s41
	v_cmpx_lt_u32_e64 v177, v242
	s_cbranch_execz .LBB522_102
; %bb.99:
	s_mov_b32 s44, 0
	s_mov_b32 s42, exec_lo
	v_cmpx_lt_u32_e64 v179, v241
	s_cbranch_execz .LBB522_101
; %bb.100:
	v_mov_b32_e32 v180, 0x6667
	v_mul_i32_i24_sdwa v181, sext(v182), v180 dst_sel:DWORD dst_unused:UNUSED_PAD src0_sel:WORD_0 src1_sel:DWORD
	v_mul_i32_i24_sdwa v180, sext(v72), v180 dst_sel:DWORD dst_unused:UNUSED_PAD src0_sel:WORD_0 src1_sel:DWORD
	v_lshrrev_b32_e32 v183, 31, v181
	v_ashrrev_i32_e32 v181, 18, v181
	v_lshrrev_b32_e32 v192, 31, v180
	v_ashrrev_i32_e32 v180, 18, v180
	v_add_nc_u16 v181, v181, v183
	v_add_nc_u16 v180, v180, v192
	v_cmp_ge_i16_e32 vcc_lo, v181, v180
	s_and_b32 s44, vcc_lo, exec_lo
.LBB522_101:
	s_or_b32 exec_lo, exec_lo, s42
	s_orn2_b32 s42, s44, exec_lo
.LBB522_102:
	s_or_b32 exec_lo, exec_lo, s43
	v_cndmask_b32_e64 v180, v177, v179, s42
	v_cndmask_b32_e64 v181, v242, v241, s42
	s_mov_b32 s44, -1
	s_mov_b32 s43, -1
	s_mov_b32 s45, exec_lo
	v_add_nc_u32_e32 v180, 1, v180
	v_add_nc_u32_e32 v181, -1, v181
	v_cndmask_b32_e64 v177, v180, v177, s42
	v_min_u32_e32 v181, v180, v181
	v_cndmask_b32_e64 v179, v179, v180, s42
	v_lshl_add_u32 v181, v181, 1, v102
	ds_read_u16 v181, v181
	s_waitcnt lgkmcnt(0)
	v_cndmask_b32_e64 v208, v181, v182, s42
	v_cndmask_b32_e64 v73, v72, v181, s42
	v_cmpx_lt_u32_e64 v177, v242
	s_cbranch_execz .LBB522_106
; %bb.103:
	s_mov_b32 s46, 0
	s_mov_b32 s43, exec_lo
	v_cmpx_lt_u32_e64 v179, v241
	s_cbranch_execz .LBB522_105
; %bb.104:
	v_mov_b32_e32 v180, 0x6667
	v_mul_i32_i24_sdwa v181, sext(v208), v180 dst_sel:DWORD dst_unused:UNUSED_PAD src0_sel:WORD_0 src1_sel:DWORD
	v_mul_i32_i24_sdwa v180, sext(v73), v180 dst_sel:DWORD dst_unused:UNUSED_PAD src0_sel:WORD_0 src1_sel:DWORD
	v_lshrrev_b32_e32 v183, 31, v181
	v_ashrrev_i32_e32 v181, 18, v181
	v_lshrrev_b32_e32 v192, 31, v180
	v_ashrrev_i32_e32 v180, 18, v180
	v_add_nc_u16 v181, v181, v183
	v_add_nc_u16 v180, v180, v192
	v_cmp_ge_i16_e32 vcc_lo, v181, v180
	s_and_b32 s46, vcc_lo, exec_lo
.LBB522_105:
	s_or_b32 exec_lo, exec_lo, s43
	s_orn2_b32 s43, s46, exec_lo
.LBB522_106:
	s_or_b32 exec_lo, exec_lo, s45
	v_cndmask_b32_e64 v180, v177, v179, s43
	v_cndmask_b32_e64 v181, v242, v241, s43
	s_mov_b32 s45, exec_lo
	v_add_nc_u32_e32 v180, 1, v180
	v_add_nc_u32_e32 v181, -1, v181
	v_cndmask_b32_e64 v177, v180, v177, s43
	v_min_u32_e32 v181, v180, v181
	v_cndmask_b32_e64 v179, v179, v180, s43
	v_lshl_add_u32 v181, v181, 1, v102
	ds_read_u16 v183, v181
	s_waitcnt lgkmcnt(0)
	v_cndmask_b32_e64 v181, v183, v208, s43
	v_cndmask_b32_e64 v74, v73, v183, s43
	v_cmpx_lt_u32_e64 v177, v242
	s_cbranch_execz .LBB522_110
; %bb.107:
	s_mov_b32 s46, 0
	s_mov_b32 s44, exec_lo
	v_cmpx_lt_u32_e64 v179, v241
	s_cbranch_execz .LBB522_109
; %bb.108:
	v_mov_b32_e32 v180, 0x6667
	v_mul_i32_i24_sdwa v183, sext(v181), v180 dst_sel:DWORD dst_unused:UNUSED_PAD src0_sel:WORD_0 src1_sel:DWORD
	v_mul_i32_i24_sdwa v180, sext(v74), v180 dst_sel:DWORD dst_unused:UNUSED_PAD src0_sel:WORD_0 src1_sel:DWORD
	v_lshrrev_b32_e32 v192, 31, v183
	v_ashrrev_i32_e32 v183, 18, v183
	v_lshrrev_b32_e32 v195, 31, v180
	v_ashrrev_i32_e32 v180, 18, v180
	v_add_nc_u16 v183, v183, v192
	v_add_nc_u16 v180, v180, v195
	v_cmp_ge_i16_e32 vcc_lo, v183, v180
	s_and_b32 s46, vcc_lo, exec_lo
.LBB522_109:
	s_or_b32 exec_lo, exec_lo, s44
	s_orn2_b32 s44, s46, exec_lo
.LBB522_110:
	s_or_b32 exec_lo, exec_lo, s45
	v_cndmask_b32_e64 v180, v177, v179, s44
	v_cndmask_b32_e64 v183, v242, v241, s44
	s_mov_b32 s46, -1
	s_mov_b32 s45, -1
	s_mov_b32 s47, exec_lo
	v_add_nc_u32_e32 v180, 1, v180
	v_add_nc_u32_e32 v183, -1, v183
	v_cndmask_b32_e64 v177, v180, v177, s44
	v_min_u32_e32 v183, v180, v183
	v_cndmask_b32_e64 v179, v179, v180, s44
	v_lshl_add_u32 v183, v183, 1, v102
	ds_read_u16 v183, v183
	s_waitcnt lgkmcnt(0)
	v_cndmask_b32_e64 v195, v183, v181, s44
	v_cndmask_b32_e64 v75, v74, v183, s44
	v_cmpx_lt_u32_e64 v177, v242
	s_cbranch_execz .LBB522_114
; %bb.111:
	s_mov_b32 s56, 0
	s_mov_b32 s45, exec_lo
	v_cmpx_lt_u32_e64 v179, v241
	s_cbranch_execz .LBB522_113
; %bb.112:
	v_mov_b32_e32 v180, 0x6667
	v_mul_i32_i24_sdwa v183, sext(v195), v180 dst_sel:DWORD dst_unused:UNUSED_PAD src0_sel:WORD_0 src1_sel:DWORD
	v_mul_i32_i24_sdwa v180, sext(v75), v180 dst_sel:DWORD dst_unused:UNUSED_PAD src0_sel:WORD_0 src1_sel:DWORD
	v_lshrrev_b32_e32 v192, 31, v183
	v_ashrrev_i32_e32 v183, 18, v183
	v_lshrrev_b32_e32 v76, 31, v180
	v_ashrrev_i32_e32 v180, 18, v180
	v_add_nc_u16 v183, v183, v192
	v_add_nc_u16 v180, v180, v76
	v_cmp_ge_i16_e32 vcc_lo, v183, v180
	s_and_b32 s56, vcc_lo, exec_lo
.LBB522_113:
	s_or_b32 exec_lo, exec_lo, s45
	s_orn2_b32 s45, s56, exec_lo
.LBB522_114:
	s_or_b32 exec_lo, exec_lo, s47
	v_cndmask_b32_e64 v180, v177, v179, s45
	v_cndmask_b32_e64 v183, v242, v241, s45
	s_mov_b32 s47, exec_lo
	v_add_nc_u32_e32 v180, 1, v180
	v_add_nc_u32_e32 v183, -1, v183
	v_cndmask_b32_e64 v177, v180, v177, s45
	v_min_u32_e32 v183, v180, v183
	v_cndmask_b32_e64 v179, v179, v180, s45
	v_lshl_add_u32 v183, v183, 1, v102
	ds_read_u16 v183, v183
	s_waitcnt lgkmcnt(0)
	v_cndmask_b32_e64 v192, v183, v195, s45
	v_cndmask_b32_e64 v76, v75, v183, s45
	v_cmpx_lt_u32_e64 v177, v242
	s_cbranch_execz .LBB522_118
; %bb.115:
	s_mov_b32 s56, 0
	s_mov_b32 s46, exec_lo
	v_cmpx_lt_u32_e64 v179, v241
	s_cbranch_execz .LBB522_117
; %bb.116:
	v_mov_b32_e32 v180, 0x6667
	v_mul_i32_i24_sdwa v183, sext(v192), v180 dst_sel:DWORD dst_unused:UNUSED_PAD src0_sel:WORD_0 src1_sel:DWORD
	v_mul_i32_i24_sdwa v180, sext(v76), v180 dst_sel:DWORD dst_unused:UNUSED_PAD src0_sel:WORD_0 src1_sel:DWORD
	v_lshrrev_b32_e32 v77, 31, v183
	v_ashrrev_i32_e32 v183, 18, v183
	v_lshrrev_b32_e32 v78, 31, v180
	v_ashrrev_i32_e32 v180, 18, v180
	v_add_nc_u16 v183, v183, v77
	v_add_nc_u16 v180, v180, v78
	v_cmp_ge_i16_e32 vcc_lo, v183, v180
	s_and_b32 s56, vcc_lo, exec_lo
.LBB522_117:
	s_or_b32 exec_lo, exec_lo, s46
	s_orn2_b32 s46, s56, exec_lo
.LBB522_118:
	s_or_b32 exec_lo, exec_lo, s47
	v_cndmask_b32_e64 v180, v177, v179, s46
	v_cndmask_b32_e64 v183, v242, v241, s46
	s_mov_b32 s56, -1
	s_mov_b32 s47, -1
	s_mov_b32 s57, exec_lo
	v_add_nc_u32_e32 v180, 1, v180
	v_add_nc_u32_e32 v183, -1, v183
	v_cndmask_b32_e64 v177, v180, v177, s46
	v_min_u32_e32 v183, v180, v183
	v_cndmask_b32_e64 v179, v179, v180, s46
	v_lshl_add_u32 v183, v183, 1, v102
	ds_read_u16 v77, v183
	s_waitcnt lgkmcnt(0)
	v_cndmask_b32_e64 v183, v77, v192, s46
	v_cndmask_b32_e64 v77, v76, v77, s46
	v_cmpx_lt_u32_e64 v177, v242
	s_cbranch_execz .LBB522_122
; %bb.119:
	s_mov_b32 s58, 0
	s_mov_b32 s47, exec_lo
	v_cmpx_lt_u32_e64 v179, v241
	s_cbranch_execz .LBB522_121
; %bb.120:
	v_mov_b32_e32 v180, 0x6667
	v_mul_i32_i24_sdwa v78, sext(v183), v180 dst_sel:DWORD dst_unused:UNUSED_PAD src0_sel:WORD_0 src1_sel:DWORD
	v_mul_i32_i24_sdwa v180, sext(v77), v180 dst_sel:DWORD dst_unused:UNUSED_PAD src0_sel:WORD_0 src1_sel:DWORD
	v_lshrrev_b32_e32 v79, 31, v78
	v_ashrrev_i32_e32 v78, 18, v78
	v_lshrrev_b32_e32 v88, 31, v180
	v_ashrrev_i32_e32 v180, 18, v180
	v_add_nc_u16 v78, v78, v79
	v_add_nc_u16 v180, v180, v88
	v_cmp_ge_i16_e32 vcc_lo, v78, v180
	s_and_b32 s58, vcc_lo, exec_lo
.LBB522_121:
	s_or_b32 exec_lo, exec_lo, s47
	s_orn2_b32 s47, s58, exec_lo
.LBB522_122:
	s_or_b32 exec_lo, exec_lo, s57
	v_cndmask_b32_e64 v180, v177, v179, s47
	v_cndmask_b32_e64 v78, v242, v241, s47
	s_mov_b32 s57, exec_lo
	v_add_nc_u32_e32 v180, 1, v180
	v_add_nc_u32_e32 v78, -1, v78
	v_cndmask_b32_e64 v177, v180, v177, s47
	v_min_u32_e32 v78, v180, v78
	v_cndmask_b32_e64 v179, v179, v180, s47
	v_lshl_add_u32 v78, v78, 1, v102
	ds_read_u16 v78, v78
	s_waitcnt lgkmcnt(0)
	v_cndmask_b32_e64 v180, v78, v183, s47
	v_cndmask_b32_e64 v78, v77, v78, s47
	v_cmpx_lt_u32_e64 v177, v242
	s_cbranch_execz .LBB522_126
; %bb.123:
	s_mov_b32 s58, 0
	s_mov_b32 s56, exec_lo
	v_cmpx_lt_u32_e64 v179, v241
	s_cbranch_execz .LBB522_125
; %bb.124:
	v_mov_b32_e32 v79, 0x6667
	v_mul_i32_i24_sdwa v88, sext(v180), v79 dst_sel:DWORD dst_unused:UNUSED_PAD src0_sel:WORD_0 src1_sel:DWORD
	v_mul_i32_i24_sdwa v79, sext(v78), v79 dst_sel:DWORD dst_unused:UNUSED_PAD src0_sel:WORD_0 src1_sel:DWORD
	v_lshrrev_b32_e32 v89, 31, v88
	v_ashrrev_i32_e32 v88, 18, v88
	v_lshrrev_b32_e32 v90, 31, v79
	v_ashrrev_i32_e32 v79, 18, v79
	v_add_nc_u16 v88, v88, v89
	v_add_nc_u16 v79, v79, v90
	v_cmp_ge_i16_e32 vcc_lo, v88, v79
	s_and_b32 s58, vcc_lo, exec_lo
.LBB522_125:
	s_or_b32 exec_lo, exec_lo, s56
	s_orn2_b32 s56, s58, exec_lo
.LBB522_126:
	s_or_b32 exec_lo, exec_lo, s57
	v_cndmask_b32_e64 v79, v177, v179, s56
	v_cndmask_b32_e64 v88, v242, v241, s56
	s_mov_b32 s57, -1
	s_mov_b32 s58, -1
	s_mov_b32 s59, exec_lo
	v_add_nc_u32_e32 v79, 1, v79
	v_add_nc_u32_e32 v88, -1, v88
	v_cndmask_b32_e64 v177, v79, v177, s56
	v_min_u32_e32 v88, v79, v88
	v_lshl_add_u32 v88, v88, 1, v102
	ds_read_u16 v89, v88
	v_cndmask_b32_e64 v88, v179, v79, s56
	s_waitcnt lgkmcnt(0)
	v_cndmask_b32_e64 v179, v89, v180, s56
	v_cndmask_b32_e64 v79, v78, v89, s56
	v_cmpx_lt_u32_e64 v177, v242
	s_cbranch_execz .LBB522_130
; %bb.127:
	s_mov_b32 s60, 0
	s_mov_b32 s58, exec_lo
	v_cmpx_lt_u32_e64 v88, v241
	s_cbranch_execz .LBB522_129
; %bb.128:
	v_mov_b32_e32 v89, 0x6667
	v_mul_i32_i24_sdwa v90, sext(v179), v89 dst_sel:DWORD dst_unused:UNUSED_PAD src0_sel:WORD_0 src1_sel:DWORD
	v_mul_i32_i24_sdwa v89, sext(v79), v89 dst_sel:DWORD dst_unused:UNUSED_PAD src0_sel:WORD_0 src1_sel:DWORD
	v_lshrrev_b32_e32 v91, 31, v90
	v_ashrrev_i32_e32 v90, 18, v90
	v_lshrrev_b32_e32 v92, 31, v89
	v_ashrrev_i32_e32 v89, 18, v89
	v_add_nc_u16 v90, v90, v91
	v_add_nc_u16 v89, v89, v92
	v_cmp_ge_i16_e32 vcc_lo, v90, v89
	s_and_b32 s60, vcc_lo, exec_lo
.LBB522_129:
	s_or_b32 exec_lo, exec_lo, s58
	s_orn2_b32 s58, s60, exec_lo
.LBB522_130:
	s_or_b32 exec_lo, exec_lo, s59
	v_cndmask_b32_e64 v89, v177, v88, s58
	v_cndmask_b32_e64 v90, v242, v241, s58
	s_mov_b32 s59, exec_lo
	v_add_nc_u32_e32 v89, 1, v89
	v_add_nc_u32_e32 v90, -1, v90
	v_cndmask_b32_e64 v177, v89, v177, s58
	v_min_u32_e32 v90, v89, v90
	v_lshl_add_u32 v90, v90, 1, v102
	ds_read_u16 v91, v90
	v_cndmask_b32_e64 v90, v88, v89, s58
	s_waitcnt lgkmcnt(0)
	v_cndmask_b32_e64 v88, v91, v179, s58
	v_cndmask_b32_e64 v89, v79, v91, s58
	v_cmpx_lt_u32_e64 v177, v242
	s_cbranch_execz .LBB522_134
; %bb.131:
	s_mov_b32 s60, 0
	s_mov_b32 s57, exec_lo
	v_cmpx_lt_u32_e64 v90, v241
	s_cbranch_execz .LBB522_133
; %bb.132:
	v_mov_b32_e32 v91, 0x6667
	v_mul_i32_i24_sdwa v92, sext(v88), v91 dst_sel:DWORD dst_unused:UNUSED_PAD src0_sel:WORD_0 src1_sel:DWORD
	v_mul_i32_i24_sdwa v91, sext(v89), v91 dst_sel:DWORD dst_unused:UNUSED_PAD src0_sel:WORD_0 src1_sel:DWORD
	v_lshrrev_b32_e32 v93, 31, v92
	v_ashrrev_i32_e32 v92, 18, v92
	v_lshrrev_b32_e32 v94, 31, v91
	v_ashrrev_i32_e32 v91, 18, v91
	v_add_nc_u16 v92, v92, v93
	v_add_nc_u16 v91, v91, v94
	v_cmp_ge_i16_e32 vcc_lo, v92, v91
	s_and_b32 s60, vcc_lo, exec_lo
.LBB522_133:
	s_or_b32 exec_lo, exec_lo, s57
	s_orn2_b32 s57, s60, exec_lo
.LBB522_134:
	s_or_b32 exec_lo, exec_lo, s59
	v_cndmask_b32_e64 v91, v177, v90, s57
	v_cndmask_b32_e64 v92, v242, v241, s57
	s_mov_b32 s59, exec_lo
	v_add_nc_u32_e32 v91, 1, v91
	v_add_nc_u32_e32 v92, -1, v92
	v_cndmask_b32_e64 v93, v91, v177, s57
	v_min_u32_e32 v92, v91, v92
	v_lshl_add_u32 v92, v92, 1, v102
	ds_read_u16 v92, v92
	s_waitcnt lgkmcnt(0)
	v_cndmask_b32_e64 v177, v89, v92, s57
	v_cmpx_lt_u32_e64 v93, v242
	s_cbranch_execz .LBB522_138
; %bb.135:
	v_cndmask_b32_e64 v90, v90, v91, s57
	v_cndmask_b32_e64 v242, v92, v88, s57
	s_mov_b32 s60, exec_lo
	v_cmpx_lt_u32_e64 v90, v241
	s_cbranch_execz .LBB522_137
; %bb.136:
	v_mov_b32_e32 v241, 0x6667
	v_mul_i32_i24_sdwa v90, sext(v242), v241 dst_sel:DWORD dst_unused:UNUSED_PAD src0_sel:WORD_0 src1_sel:DWORD
	v_mul_i32_i24_sdwa v241, sext(v177), v241 dst_sel:DWORD dst_unused:UNUSED_PAD src0_sel:WORD_0 src1_sel:DWORD
	v_lshrrev_b32_e32 v91, 31, v90
	v_ashrrev_i32_e32 v90, 18, v90
	v_lshrrev_b32_e32 v92, 31, v241
	v_ashrrev_i32_e32 v241, 18, v241
	v_add_nc_u16 v90, v90, v91
	v_add_nc_u16 v241, v241, v92
	v_cmp_lt_i16_e32 vcc_lo, v90, v241
	v_cndmask_b32_e32 v242, v177, v242, vcc_lo
.LBB522_137:
	s_or_b32 exec_lo, exec_lo, s60
	v_mov_b32_e32 v177, v242
.LBB522_138:
	s_or_b32 exec_lo, exec_lo, s59
	v_cndmask_b32_e64 v179, v179, v79, s58
	v_cndmask_b32_e64 v180, v180, v78, s56
	;; [unrolled: 1-line block ×31, first 2 shown]
.LBB522_139:
	s_or_b32 exec_lo, exec_lo, s5
	v_and_b32_e32 v243, 0x380, v112
	v_and_b32_e32 v244, 0x60, v112
	s_mov_b32 s4, exec_lo
	; wave barrier
	v_or_b32_e32 v241, 64, v243
	v_min_u32_e32 v244, v103, v244
	ds_write_b16 v113, v178
	ds_write_b16 v165, v231
	;; [unrolled: 1-line block ×13, first 2 shown]
	v_min_u32_e32 v241, v103, v241
	ds_write_b16 v145, v213
	ds_write_b16 v146, v198
	ds_write_b16 v147, v214
	ds_write_b16 v148, v197
	ds_write_b16 v134, v209
	ds_write_b16 v135, v194
	ds_write_b16 v144, v199
	ds_write_b16 v131, v193
	ds_write_b16 v132, v196
	ds_write_b16 v133, v182
	ds_write_b16 v128, v208
	ds_write_b16 v129, v181
	ds_write_b16 v130, v195
	v_add_nc_u32_e32 v242, 64, v241
	v_sub_nc_u32_e32 v246, v241, v243
	ds_write_b16 v116, v192
	ds_write_b16 v117, v183
	;; [unrolled: 1-line block ×6, first 2 shown]
	; wave barrier
	v_min_u32_e32 v242, v103, v242
	v_min_u32_e32 v246, v244, v246
	v_sub_nc_u32_e32 v245, v242, v241
	v_sub_nc_u32_e64 v245, v244, v245 clamp
	v_cmpx_lt_u32_e64 v245, v246
	s_cbranch_execz .LBB522_143
; %bb.140:
	v_lshlrev_b32_e32 v247, 1, v243
	v_lshlrev_b32_e32 v40, 1, v241
	s_mov_b32 s5, 0
	v_add_co_u32 v247, null, v102, v247
	v_add_co_u32 v40, null, v102, v40
	.p2align	6
.LBB522_141:                            ; =>This Inner Loop Header: Depth=1
	v_add_nc_u32_e32 v41, v246, v245
	v_lshrrev_b32_e32 v42, 1, v41
	v_and_b32_e32 v41, -2, v41
	v_xad_u32 v43, v42, -1, v244
	v_add_nc_u32_e32 v41, v247, v41
	v_lshl_add_u32 v43, v43, 1, v40
	ds_read_i16 v41, v41
	ds_read_i16 v43, v43
	s_waitcnt lgkmcnt(1)
	v_mul_i32_i24_e32 v41, 0x6667, v41
	s_waitcnt lgkmcnt(0)
	v_mul_i32_i24_e32 v43, 0x6667, v43
	v_lshrrev_b32_e32 v44, 31, v41
	v_ashrrev_i32_e32 v41, 18, v41
	v_lshrrev_b32_e32 v45, 31, v43
	v_ashrrev_i32_e32 v43, 18, v43
	v_add_nc_u16 v41, v41, v44
	v_add_nc_u32_e32 v44, 1, v42
	v_add_nc_u16 v43, v43, v45
	v_cmp_lt_i16_e32 vcc_lo, v43, v41
	v_cndmask_b32_e32 v246, v246, v42, vcc_lo
	v_cndmask_b32_e32 v245, v44, v245, vcc_lo
	v_cmp_ge_u32_e32 vcc_lo, v245, v246
	s_or_b32 s5, vcc_lo, s5
	s_andn2_b32 exec_lo, exec_lo, s5
	s_cbranch_execnz .LBB522_141
; %bb.142:
	s_or_b32 exec_lo, exec_lo, s5
.LBB522_143:
	s_or_b32 exec_lo, exec_lo, s4
	v_add_nc_u32_e32 v244, v241, v244
	v_add_nc_u32_e32 v243, v245, v243
	v_sub_nc_u32_e32 v244, v244, v245
	v_cmp_le_u32_e32 vcc_lo, v243, v241
	v_cmp_le_u32_e64 s4, v244, v242
	s_or_b32 s4, vcc_lo, s4
	s_and_saveexec_b32 s5, s4
	s_cbranch_execz .LBB522_275
; %bb.144:
	s_mov_b32 s7, exec_lo
	v_cmp_ge_u32_e32 vcc_lo, v243, v241
                                        ; implicit-def: $vgpr178
	v_cmpx_lt_u32_e64 v243, v241
; %bb.145:
	v_lshl_add_u32 v177, v243, 1, v102
	ds_read_u16 v178, v177
; %bb.146:
	s_or_b32 exec_lo, exec_lo, s7
	v_cmp_ge_u32_e64 s7, v244, v242
	s_mov_b32 s10, exec_lo
                                        ; implicit-def: $vgpr230
	v_cmpx_lt_u32_e64 v244, v242
; %bb.147:
	v_lshl_add_u32 v177, v244, 1, v102
	ds_read_u16 v230, v177
; %bb.148:
	s_or_b32 exec_lo, exec_lo, s10
	s_nor_b32 s10, vcc_lo, s7
	s_and_saveexec_b32 s4, s10
	s_cbranch_execz .LBB522_150
; %bb.149:
	v_mov_b32_e32 v177, 0x6667
	s_andn2_b32 s7, s7, exec_lo
	s_waitcnt lgkmcnt(0)
	v_mul_i32_i24_sdwa v179, sext(v230), v177 dst_sel:DWORD dst_unused:UNUSED_PAD src0_sel:WORD_0 src1_sel:DWORD
	v_mul_i32_i24_sdwa v177, sext(v178), v177 dst_sel:DWORD dst_unused:UNUSED_PAD src0_sel:WORD_0 src1_sel:DWORD
	v_lshrrev_b32_e32 v180, 31, v179
	v_ashrrev_i32_e32 v179, 18, v179
	v_lshrrev_b32_e32 v181, 31, v177
	v_ashrrev_i32_e32 v177, 18, v177
	v_add_nc_u16 v179, v179, v180
	v_add_nc_u16 v177, v177, v181
	v_cmp_ge_i16_e32 vcc_lo, v179, v177
	s_and_b32 s10, vcc_lo, exec_lo
	s_or_b32 s7, s7, s10
.LBB522_150:
	s_or_b32 exec_lo, exec_lo, s4
	v_cndmask_b32_e64 v177, v244, v243, s7
	v_cndmask_b32_e64 v179, v242, v241, s7
	s_mov_b32 s10, -1
	s_mov_b32 s4, -1
	s_mov_b32 s11, exec_lo
	v_add_nc_u32_e32 v180, 1, v177
	v_add_nc_u32_e32 v177, -1, v179
	v_cndmask_b32_e64 v179, v243, v180, s7
	v_min_u32_e32 v177, v180, v177
	v_lshl_add_u32 v177, v177, 1, v102
	ds_read_u16 v181, v177
	v_cndmask_b32_e64 v177, v180, v244, s7
	s_waitcnt lgkmcnt(0)
	v_cndmask_b32_e64 v231, v181, v230, s7
	v_cndmask_b32_e64 v243, v178, v181, s7
	v_cmpx_lt_u32_e64 v177, v242
	s_cbranch_execz .LBB522_154
; %bb.151:
	s_mov_b32 s14, 0
	s_mov_b32 s4, exec_lo
	v_cmpx_lt_u32_e64 v179, v241
	s_cbranch_execz .LBB522_153
; %bb.152:
	v_mov_b32_e32 v180, 0x6667
	v_mul_i32_i24_sdwa v181, sext(v231), v180 dst_sel:DWORD dst_unused:UNUSED_PAD src0_sel:WORD_0 src1_sel:DWORD
	v_mul_i32_i24_sdwa v180, sext(v243), v180 dst_sel:DWORD dst_unused:UNUSED_PAD src0_sel:WORD_0 src1_sel:DWORD
	v_lshrrev_b32_e32 v182, 31, v181
	v_ashrrev_i32_e32 v181, 18, v181
	v_lshrrev_b32_e32 v183, 31, v180
	v_ashrrev_i32_e32 v180, 18, v180
	v_add_nc_u16 v181, v181, v182
	v_add_nc_u16 v180, v180, v183
	v_cmp_ge_i16_e32 vcc_lo, v181, v180
	s_and_b32 s14, vcc_lo, exec_lo
.LBB522_153:
	s_or_b32 exec_lo, exec_lo, s4
	s_orn2_b32 s4, s14, exec_lo
.LBB522_154:
	s_or_b32 exec_lo, exec_lo, s11
	v_cndmask_b32_e64 v180, v177, v179, s4
	v_cndmask_b32_e64 v181, v242, v241, s4
	s_mov_b32 s11, exec_lo
	v_add_nc_u32_e32 v180, 1, v180
	v_add_nc_u32_e32 v181, -1, v181
	v_cndmask_b32_e64 v177, v180, v177, s4
	v_min_u32_e32 v181, v180, v181
	v_cndmask_b32_e64 v179, v179, v180, s4
	v_lshl_add_u32 v181, v181, 1, v102
	ds_read_u16 v181, v181
	s_waitcnt lgkmcnt(0)
	v_cndmask_b32_e64 v226, v181, v231, s4
	v_cndmask_b32_e64 v244, v243, v181, s4
	v_cmpx_lt_u32_e64 v177, v242
	s_cbranch_execz .LBB522_158
; %bb.155:
	s_mov_b32 s14, 0
	s_mov_b32 s10, exec_lo
	v_cmpx_lt_u32_e64 v179, v241
	s_cbranch_execz .LBB522_157
; %bb.156:
	v_mov_b32_e32 v180, 0x6667
	v_mul_i32_i24_sdwa v181, sext(v226), v180 dst_sel:DWORD dst_unused:UNUSED_PAD src0_sel:WORD_0 src1_sel:DWORD
	v_mul_i32_i24_sdwa v180, sext(v244), v180 dst_sel:DWORD dst_unused:UNUSED_PAD src0_sel:WORD_0 src1_sel:DWORD
	v_lshrrev_b32_e32 v182, 31, v181
	v_ashrrev_i32_e32 v181, 18, v181
	v_lshrrev_b32_e32 v183, 31, v180
	v_ashrrev_i32_e32 v180, 18, v180
	v_add_nc_u16 v181, v181, v182
	v_add_nc_u16 v180, v180, v183
	v_cmp_ge_i16_e32 vcc_lo, v181, v180
	s_and_b32 s14, vcc_lo, exec_lo
.LBB522_157:
	s_or_b32 exec_lo, exec_lo, s10
	s_orn2_b32 s10, s14, exec_lo
.LBB522_158:
	s_or_b32 exec_lo, exec_lo, s11
	v_cndmask_b32_e64 v180, v177, v179, s10
	v_cndmask_b32_e64 v181, v242, v241, s10
	s_mov_b32 s14, -1
	s_mov_b32 s11, -1
	s_mov_b32 s15, exec_lo
	v_add_nc_u32_e32 v180, 1, v180
	v_add_nc_u32_e32 v181, -1, v181
	v_cndmask_b32_e64 v177, v180, v177, s10
	v_min_u32_e32 v181, v180, v181
	v_cndmask_b32_e64 v179, v179, v180, s10
	v_lshl_add_u32 v181, v181, 1, v102
	ds_read_u16 v181, v181
	s_waitcnt lgkmcnt(0)
	v_cndmask_b32_e64 v240, v181, v226, s10
	v_cndmask_b32_e64 v245, v244, v181, s10
	v_cmpx_lt_u32_e64 v177, v242
	s_cbranch_execz .LBB522_162
; %bb.159:
	s_mov_b32 s16, 0
	s_mov_b32 s11, exec_lo
	v_cmpx_lt_u32_e64 v179, v241
	s_cbranch_execz .LBB522_161
; %bb.160:
	v_mov_b32_e32 v180, 0x6667
	v_mul_i32_i24_sdwa v181, sext(v240), v180 dst_sel:DWORD dst_unused:UNUSED_PAD src0_sel:WORD_0 src1_sel:DWORD
	v_mul_i32_i24_sdwa v180, sext(v245), v180 dst_sel:DWORD dst_unused:UNUSED_PAD src0_sel:WORD_0 src1_sel:DWORD
	v_lshrrev_b32_e32 v182, 31, v181
	v_ashrrev_i32_e32 v181, 18, v181
	v_lshrrev_b32_e32 v183, 31, v180
	v_ashrrev_i32_e32 v180, 18, v180
	v_add_nc_u16 v181, v181, v182
	v_add_nc_u16 v180, v180, v183
	v_cmp_ge_i16_e32 vcc_lo, v181, v180
	s_and_b32 s16, vcc_lo, exec_lo
.LBB522_161:
	s_or_b32 exec_lo, exec_lo, s11
	s_orn2_b32 s11, s16, exec_lo
.LBB522_162:
	s_or_b32 exec_lo, exec_lo, s15
	v_cndmask_b32_e64 v180, v177, v179, s11
	v_cndmask_b32_e64 v181, v242, v241, s11
	s_mov_b32 s15, exec_lo
	v_add_nc_u32_e32 v180, 1, v180
	v_add_nc_u32_e32 v181, -1, v181
	v_cndmask_b32_e64 v177, v180, v177, s11
	v_min_u32_e32 v181, v180, v181
	v_cndmask_b32_e64 v179, v179, v180, s11
	v_lshl_add_u32 v181, v181, 1, v102
	ds_read_u16 v181, v181
	s_waitcnt lgkmcnt(0)
	v_cndmask_b32_e64 v225, v181, v240, s11
	v_cndmask_b32_e64 v246, v245, v181, s11
	v_cmpx_lt_u32_e64 v177, v242
	s_cbranch_execz .LBB522_166
; %bb.163:
	s_mov_b32 s16, 0
	s_mov_b32 s14, exec_lo
	v_cmpx_lt_u32_e64 v179, v241
	s_cbranch_execz .LBB522_165
; %bb.164:
	v_mov_b32_e32 v180, 0x6667
	v_mul_i32_i24_sdwa v181, sext(v225), v180 dst_sel:DWORD dst_unused:UNUSED_PAD src0_sel:WORD_0 src1_sel:DWORD
	v_mul_i32_i24_sdwa v180, sext(v246), v180 dst_sel:DWORD dst_unused:UNUSED_PAD src0_sel:WORD_0 src1_sel:DWORD
	v_lshrrev_b32_e32 v182, 31, v181
	v_ashrrev_i32_e32 v181, 18, v181
	v_lshrrev_b32_e32 v183, 31, v180
	v_ashrrev_i32_e32 v180, 18, v180
	v_add_nc_u16 v181, v181, v182
	v_add_nc_u16 v180, v180, v183
	v_cmp_ge_i16_e32 vcc_lo, v181, v180
	s_and_b32 s16, vcc_lo, exec_lo
.LBB522_165:
	s_or_b32 exec_lo, exec_lo, s14
	s_orn2_b32 s14, s16, exec_lo
.LBB522_166:
	s_or_b32 exec_lo, exec_lo, s15
	v_cndmask_b32_e64 v180, v177, v179, s14
	v_cndmask_b32_e64 v181, v242, v241, s14
	s_mov_b32 s16, -1
	s_mov_b32 s15, -1
	s_mov_b32 s17, exec_lo
	v_add_nc_u32_e32 v180, 1, v180
	v_add_nc_u32_e32 v181, -1, v181
	v_cndmask_b32_e64 v177, v180, v177, s14
	v_min_u32_e32 v181, v180, v181
	v_cndmask_b32_e64 v179, v179, v180, s14
	v_lshl_add_u32 v181, v181, 1, v102
	ds_read_u16 v181, v181
	s_waitcnt lgkmcnt(0)
	v_cndmask_b32_e64 v229, v181, v225, s14
	v_cndmask_b32_e64 v247, v246, v181, s14
	v_cmpx_lt_u32_e64 v177, v242
	s_cbranch_execz .LBB522_170
; %bb.167:
	s_mov_b32 s18, 0
	s_mov_b32 s15, exec_lo
	v_cmpx_lt_u32_e64 v179, v241
	s_cbranch_execz .LBB522_169
; %bb.168:
	v_mov_b32_e32 v180, 0x6667
	v_mul_i32_i24_sdwa v181, sext(v229), v180 dst_sel:DWORD dst_unused:UNUSED_PAD src0_sel:WORD_0 src1_sel:DWORD
	v_mul_i32_i24_sdwa v180, sext(v247), v180 dst_sel:DWORD dst_unused:UNUSED_PAD src0_sel:WORD_0 src1_sel:DWORD
	v_lshrrev_b32_e32 v182, 31, v181
	v_ashrrev_i32_e32 v181, 18, v181
	v_lshrrev_b32_e32 v183, 31, v180
	v_ashrrev_i32_e32 v180, 18, v180
	v_add_nc_u16 v181, v181, v182
	v_add_nc_u16 v180, v180, v183
	v_cmp_ge_i16_e32 vcc_lo, v181, v180
	s_and_b32 s18, vcc_lo, exec_lo
.LBB522_169:
	s_or_b32 exec_lo, exec_lo, s15
	s_orn2_b32 s15, s18, exec_lo
.LBB522_170:
	s_or_b32 exec_lo, exec_lo, s17
	v_cndmask_b32_e64 v180, v177, v179, s15
	v_cndmask_b32_e64 v181, v242, v241, s15
	s_mov_b32 s17, exec_lo
	v_add_nc_u32_e32 v180, 1, v180
	v_add_nc_u32_e32 v181, -1, v181
	v_cndmask_b32_e64 v177, v180, v177, s15
	v_min_u32_e32 v181, v180, v181
	v_cndmask_b32_e64 v179, v179, v180, s15
	v_lshl_add_u32 v181, v181, 1, v102
	ds_read_u16 v181, v181
	s_waitcnt lgkmcnt(0)
	v_cndmask_b32_e64 v224, v181, v229, s15
	v_cndmask_b32_e64 v40, v247, v181, s15
	v_cmpx_lt_u32_e64 v177, v242
	s_cbranch_execz .LBB522_174
; %bb.171:
	s_mov_b32 s18, 0
	s_mov_b32 s16, exec_lo
	v_cmpx_lt_u32_e64 v179, v241
	s_cbranch_execz .LBB522_173
; %bb.172:
	v_mov_b32_e32 v180, 0x6667
	v_mul_i32_i24_sdwa v181, sext(v224), v180 dst_sel:DWORD dst_unused:UNUSED_PAD src0_sel:WORD_0 src1_sel:DWORD
	v_mul_i32_i24_sdwa v180, sext(v40), v180 dst_sel:DWORD dst_unused:UNUSED_PAD src0_sel:WORD_0 src1_sel:DWORD
	v_lshrrev_b32_e32 v182, 31, v181
	v_ashrrev_i32_e32 v181, 18, v181
	v_lshrrev_b32_e32 v183, 31, v180
	v_ashrrev_i32_e32 v180, 18, v180
	v_add_nc_u16 v181, v181, v182
	v_add_nc_u16 v180, v180, v183
	v_cmp_ge_i16_e32 vcc_lo, v181, v180
	s_and_b32 s18, vcc_lo, exec_lo
.LBB522_173:
	s_or_b32 exec_lo, exec_lo, s16
	s_orn2_b32 s16, s18, exec_lo
.LBB522_174:
	s_or_b32 exec_lo, exec_lo, s17
	v_cndmask_b32_e64 v180, v177, v179, s16
	v_cndmask_b32_e64 v181, v242, v241, s16
	s_mov_b32 s18, -1
	s_mov_b32 s17, -1
	s_mov_b32 s19, exec_lo
	v_add_nc_u32_e32 v180, 1, v180
	v_add_nc_u32_e32 v181, -1, v181
	v_cndmask_b32_e64 v177, v180, v177, s16
	v_min_u32_e32 v181, v180, v181
	v_cndmask_b32_e64 v179, v179, v180, s16
	v_lshl_add_u32 v181, v181, 1, v102
	ds_read_u16 v181, v181
	s_waitcnt lgkmcnt(0)
	v_cndmask_b32_e64 v227, v181, v224, s16
	v_cndmask_b32_e64 v41, v40, v181, s16
	v_cmpx_lt_u32_e64 v177, v242
	s_cbranch_execz .LBB522_178
; %bb.175:
	s_mov_b32 s20, 0
	s_mov_b32 s17, exec_lo
	v_cmpx_lt_u32_e64 v179, v241
	s_cbranch_execz .LBB522_177
; %bb.176:
	v_mov_b32_e32 v180, 0x6667
	v_mul_i32_i24_sdwa v181, sext(v227), v180 dst_sel:DWORD dst_unused:UNUSED_PAD src0_sel:WORD_0 src1_sel:DWORD
	v_mul_i32_i24_sdwa v180, sext(v41), v180 dst_sel:DWORD dst_unused:UNUSED_PAD src0_sel:WORD_0 src1_sel:DWORD
	v_lshrrev_b32_e32 v182, 31, v181
	v_ashrrev_i32_e32 v181, 18, v181
	v_lshrrev_b32_e32 v183, 31, v180
	v_ashrrev_i32_e32 v180, 18, v180
	v_add_nc_u16 v181, v181, v182
	v_add_nc_u16 v180, v180, v183
	v_cmp_ge_i16_e32 vcc_lo, v181, v180
	s_and_b32 s20, vcc_lo, exec_lo
.LBB522_177:
	s_or_b32 exec_lo, exec_lo, s17
	s_orn2_b32 s17, s20, exec_lo
.LBB522_178:
	s_or_b32 exec_lo, exec_lo, s19
	v_cndmask_b32_e64 v180, v177, v179, s17
	v_cndmask_b32_e64 v181, v242, v241, s17
	s_mov_b32 s19, exec_lo
	v_add_nc_u32_e32 v180, 1, v180
	v_add_nc_u32_e32 v181, -1, v181
	v_cndmask_b32_e64 v177, v180, v177, s17
	v_min_u32_e32 v181, v180, v181
	v_cndmask_b32_e64 v179, v179, v180, s17
	v_lshl_add_u32 v181, v181, 1, v102
	ds_read_u16 v181, v181
	s_waitcnt lgkmcnt(0)
	v_cndmask_b32_e64 v212, v181, v227, s17
	v_cndmask_b32_e64 v42, v41, v181, s17
	v_cmpx_lt_u32_e64 v177, v242
	s_cbranch_execz .LBB522_182
; %bb.179:
	s_mov_b32 s20, 0
	s_mov_b32 s18, exec_lo
	v_cmpx_lt_u32_e64 v179, v241
	s_cbranch_execz .LBB522_181
; %bb.180:
	v_mov_b32_e32 v180, 0x6667
	v_mul_i32_i24_sdwa v181, sext(v212), v180 dst_sel:DWORD dst_unused:UNUSED_PAD src0_sel:WORD_0 src1_sel:DWORD
	v_mul_i32_i24_sdwa v180, sext(v42), v180 dst_sel:DWORD dst_unused:UNUSED_PAD src0_sel:WORD_0 src1_sel:DWORD
	v_lshrrev_b32_e32 v182, 31, v181
	v_ashrrev_i32_e32 v181, 18, v181
	v_lshrrev_b32_e32 v183, 31, v180
	v_ashrrev_i32_e32 v180, 18, v180
	v_add_nc_u16 v181, v181, v182
	v_add_nc_u16 v180, v180, v183
	v_cmp_ge_i16_e32 vcc_lo, v181, v180
	s_and_b32 s20, vcc_lo, exec_lo
.LBB522_181:
	s_or_b32 exec_lo, exec_lo, s18
	s_orn2_b32 s18, s20, exec_lo
.LBB522_182:
	s_or_b32 exec_lo, exec_lo, s19
	v_cndmask_b32_e64 v180, v177, v179, s18
	v_cndmask_b32_e64 v181, v242, v241, s18
	s_mov_b32 s20, -1
	s_mov_b32 s19, -1
	s_mov_b32 s21, exec_lo
	v_add_nc_u32_e32 v180, 1, v180
	v_add_nc_u32_e32 v181, -1, v181
	v_cndmask_b32_e64 v177, v180, v177, s18
	v_min_u32_e32 v181, v180, v181
	v_cndmask_b32_e64 v179, v179, v180, s18
	v_lshl_add_u32 v181, v181, 1, v102
	ds_read_u16 v181, v181
	s_waitcnt lgkmcnt(0)
	v_cndmask_b32_e64 v228, v181, v212, s18
	v_cndmask_b32_e64 v43, v42, v181, s18
	v_cmpx_lt_u32_e64 v177, v242
	s_cbranch_execz .LBB522_186
; %bb.183:
	s_mov_b32 s22, 0
	s_mov_b32 s19, exec_lo
	v_cmpx_lt_u32_e64 v179, v241
	s_cbranch_execz .LBB522_185
; %bb.184:
	v_mov_b32_e32 v180, 0x6667
	v_mul_i32_i24_sdwa v181, sext(v228), v180 dst_sel:DWORD dst_unused:UNUSED_PAD src0_sel:WORD_0 src1_sel:DWORD
	v_mul_i32_i24_sdwa v180, sext(v43), v180 dst_sel:DWORD dst_unused:UNUSED_PAD src0_sel:WORD_0 src1_sel:DWORD
	v_lshrrev_b32_e32 v182, 31, v181
	v_ashrrev_i32_e32 v181, 18, v181
	v_lshrrev_b32_e32 v183, 31, v180
	v_ashrrev_i32_e32 v180, 18, v180
	v_add_nc_u16 v181, v181, v182
	v_add_nc_u16 v180, v180, v183
	v_cmp_ge_i16_e32 vcc_lo, v181, v180
	s_and_b32 s22, vcc_lo, exec_lo
.LBB522_185:
	s_or_b32 exec_lo, exec_lo, s19
	s_orn2_b32 s19, s22, exec_lo
.LBB522_186:
	s_or_b32 exec_lo, exec_lo, s21
	v_cndmask_b32_e64 v180, v177, v179, s19
	v_cndmask_b32_e64 v181, v242, v241, s19
	s_mov_b32 s21, exec_lo
	v_add_nc_u32_e32 v180, 1, v180
	v_add_nc_u32_e32 v181, -1, v181
	v_cndmask_b32_e64 v177, v180, v177, s19
	v_min_u32_e32 v181, v180, v181
	v_cndmask_b32_e64 v179, v179, v180, s19
	v_lshl_add_u32 v181, v181, 1, v102
	ds_read_u16 v181, v181
	s_waitcnt lgkmcnt(0)
	v_cndmask_b32_e64 v211, v181, v228, s19
	v_cndmask_b32_e64 v44, v43, v181, s19
	v_cmpx_lt_u32_e64 v177, v242
	s_cbranch_execz .LBB522_190
; %bb.187:
	s_mov_b32 s22, 0
	s_mov_b32 s20, exec_lo
	v_cmpx_lt_u32_e64 v179, v241
	s_cbranch_execz .LBB522_189
; %bb.188:
	v_mov_b32_e32 v180, 0x6667
	v_mul_i32_i24_sdwa v181, sext(v211), v180 dst_sel:DWORD dst_unused:UNUSED_PAD src0_sel:WORD_0 src1_sel:DWORD
	v_mul_i32_i24_sdwa v180, sext(v44), v180 dst_sel:DWORD dst_unused:UNUSED_PAD src0_sel:WORD_0 src1_sel:DWORD
	v_lshrrev_b32_e32 v182, 31, v181
	v_ashrrev_i32_e32 v181, 18, v181
	v_lshrrev_b32_e32 v183, 31, v180
	v_ashrrev_i32_e32 v180, 18, v180
	v_add_nc_u16 v181, v181, v182
	v_add_nc_u16 v180, v180, v183
	v_cmp_ge_i16_e32 vcc_lo, v181, v180
	s_and_b32 s22, vcc_lo, exec_lo
.LBB522_189:
	s_or_b32 exec_lo, exec_lo, s20
	s_orn2_b32 s20, s22, exec_lo
.LBB522_190:
	s_or_b32 exec_lo, exec_lo, s21
	v_cndmask_b32_e64 v180, v177, v179, s20
	v_cndmask_b32_e64 v181, v242, v241, s20
	s_mov_b32 s22, -1
	s_mov_b32 s21, -1
	s_mov_b32 s23, exec_lo
	v_add_nc_u32_e32 v180, 1, v180
	v_add_nc_u32_e32 v181, -1, v181
	v_cndmask_b32_e64 v177, v180, v177, s20
	v_min_u32_e32 v181, v180, v181
	v_cndmask_b32_e64 v179, v179, v180, s20
	v_lshl_add_u32 v181, v181, 1, v102
	ds_read_u16 v181, v181
	s_waitcnt lgkmcnt(0)
	v_cndmask_b32_e64 v215, v181, v211, s20
	v_cndmask_b32_e64 v45, v44, v181, s20
	v_cmpx_lt_u32_e64 v177, v242
	s_cbranch_execz .LBB522_194
; %bb.191:
	s_mov_b32 s24, 0
	s_mov_b32 s21, exec_lo
	v_cmpx_lt_u32_e64 v179, v241
	s_cbranch_execz .LBB522_193
; %bb.192:
	v_mov_b32_e32 v180, 0x6667
	v_mul_i32_i24_sdwa v181, sext(v215), v180 dst_sel:DWORD dst_unused:UNUSED_PAD src0_sel:WORD_0 src1_sel:DWORD
	v_mul_i32_i24_sdwa v180, sext(v45), v180 dst_sel:DWORD dst_unused:UNUSED_PAD src0_sel:WORD_0 src1_sel:DWORD
	v_lshrrev_b32_e32 v182, 31, v181
	v_ashrrev_i32_e32 v181, 18, v181
	v_lshrrev_b32_e32 v183, 31, v180
	v_ashrrev_i32_e32 v180, 18, v180
	v_add_nc_u16 v181, v181, v182
	v_add_nc_u16 v180, v180, v183
	v_cmp_ge_i16_e32 vcc_lo, v181, v180
	s_and_b32 s24, vcc_lo, exec_lo
.LBB522_193:
	s_or_b32 exec_lo, exec_lo, s21
	s_orn2_b32 s21, s24, exec_lo
.LBB522_194:
	s_or_b32 exec_lo, exec_lo, s23
	v_cndmask_b32_e64 v180, v177, v179, s21
	v_cndmask_b32_e64 v181, v242, v241, s21
	s_mov_b32 s23, exec_lo
	v_add_nc_u32_e32 v180, 1, v180
	v_add_nc_u32_e32 v181, -1, v181
	v_cndmask_b32_e64 v177, v180, v177, s21
	v_min_u32_e32 v181, v180, v181
	v_cndmask_b32_e64 v179, v179, v180, s21
	v_lshl_add_u32 v181, v181, 1, v102
	ds_read_u16 v181, v181
	s_waitcnt lgkmcnt(0)
	v_cndmask_b32_e64 v210, v181, v215, s21
	v_cndmask_b32_e64 v46, v45, v181, s21
	v_cmpx_lt_u32_e64 v177, v242
	s_cbranch_execz .LBB522_198
; %bb.195:
	s_mov_b32 s24, 0
	s_mov_b32 s22, exec_lo
	v_cmpx_lt_u32_e64 v179, v241
	s_cbranch_execz .LBB522_197
; %bb.196:
	v_mov_b32_e32 v180, 0x6667
	v_mul_i32_i24_sdwa v181, sext(v210), v180 dst_sel:DWORD dst_unused:UNUSED_PAD src0_sel:WORD_0 src1_sel:DWORD
	v_mul_i32_i24_sdwa v180, sext(v46), v180 dst_sel:DWORD dst_unused:UNUSED_PAD src0_sel:WORD_0 src1_sel:DWORD
	v_lshrrev_b32_e32 v182, 31, v181
	v_ashrrev_i32_e32 v181, 18, v181
	v_lshrrev_b32_e32 v183, 31, v180
	v_ashrrev_i32_e32 v180, 18, v180
	v_add_nc_u16 v181, v181, v182
	v_add_nc_u16 v180, v180, v183
	v_cmp_ge_i16_e32 vcc_lo, v181, v180
	s_and_b32 s24, vcc_lo, exec_lo
.LBB522_197:
	s_or_b32 exec_lo, exec_lo, s22
	s_orn2_b32 s22, s24, exec_lo
.LBB522_198:
	s_or_b32 exec_lo, exec_lo, s23
	v_cndmask_b32_e64 v180, v177, v179, s22
	v_cndmask_b32_e64 v181, v242, v241, s22
	s_mov_b32 s24, -1
	s_mov_b32 s23, -1
	s_mov_b32 s25, exec_lo
	v_add_nc_u32_e32 v180, 1, v180
	v_add_nc_u32_e32 v181, -1, v181
	v_cndmask_b32_e64 v177, v180, v177, s22
	v_min_u32_e32 v181, v180, v181
	v_cndmask_b32_e64 v179, v179, v180, s22
	v_lshl_add_u32 v181, v181, 1, v102
	ds_read_u16 v181, v181
	s_waitcnt lgkmcnt(0)
	v_cndmask_b32_e64 v213, v181, v210, s22
	v_cndmask_b32_e64 v47, v46, v181, s22
	v_cmpx_lt_u32_e64 v177, v242
	s_cbranch_execz .LBB522_202
; %bb.199:
	s_mov_b32 s26, 0
	s_mov_b32 s23, exec_lo
	v_cmpx_lt_u32_e64 v179, v241
	s_cbranch_execz .LBB522_201
; %bb.200:
	v_mov_b32_e32 v180, 0x6667
	v_mul_i32_i24_sdwa v181, sext(v213), v180 dst_sel:DWORD dst_unused:UNUSED_PAD src0_sel:WORD_0 src1_sel:DWORD
	v_mul_i32_i24_sdwa v180, sext(v47), v180 dst_sel:DWORD dst_unused:UNUSED_PAD src0_sel:WORD_0 src1_sel:DWORD
	v_lshrrev_b32_e32 v182, 31, v181
	v_ashrrev_i32_e32 v181, 18, v181
	v_lshrrev_b32_e32 v183, 31, v180
	v_ashrrev_i32_e32 v180, 18, v180
	v_add_nc_u16 v181, v181, v182
	v_add_nc_u16 v180, v180, v183
	v_cmp_ge_i16_e32 vcc_lo, v181, v180
	s_and_b32 s26, vcc_lo, exec_lo
.LBB522_201:
	s_or_b32 exec_lo, exec_lo, s23
	s_orn2_b32 s23, s26, exec_lo
.LBB522_202:
	s_or_b32 exec_lo, exec_lo, s25
	v_cndmask_b32_e64 v180, v177, v179, s23
	v_cndmask_b32_e64 v181, v242, v241, s23
	s_mov_b32 s25, exec_lo
	v_add_nc_u32_e32 v180, 1, v180
	v_add_nc_u32_e32 v181, -1, v181
	v_cndmask_b32_e64 v177, v180, v177, s23
	v_min_u32_e32 v181, v180, v181
	v_cndmask_b32_e64 v179, v179, v180, s23
	v_lshl_add_u32 v181, v181, 1, v102
	ds_read_u16 v181, v181
	s_waitcnt lgkmcnt(0)
	v_cndmask_b32_e64 v198, v181, v213, s23
	v_cndmask_b32_e64 v56, v47, v181, s23
	v_cmpx_lt_u32_e64 v177, v242
	s_cbranch_execz .LBB522_206
; %bb.203:
	s_mov_b32 s26, 0
	s_mov_b32 s24, exec_lo
	v_cmpx_lt_u32_e64 v179, v241
	s_cbranch_execz .LBB522_205
; %bb.204:
	v_mov_b32_e32 v180, 0x6667
	v_mul_i32_i24_sdwa v181, sext(v198), v180 dst_sel:DWORD dst_unused:UNUSED_PAD src0_sel:WORD_0 src1_sel:DWORD
	v_mul_i32_i24_sdwa v180, sext(v56), v180 dst_sel:DWORD dst_unused:UNUSED_PAD src0_sel:WORD_0 src1_sel:DWORD
	v_lshrrev_b32_e32 v182, 31, v181
	v_ashrrev_i32_e32 v181, 18, v181
	v_lshrrev_b32_e32 v183, 31, v180
	v_ashrrev_i32_e32 v180, 18, v180
	v_add_nc_u16 v181, v181, v182
	v_add_nc_u16 v180, v180, v183
	v_cmp_ge_i16_e32 vcc_lo, v181, v180
	s_and_b32 s26, vcc_lo, exec_lo
.LBB522_205:
	s_or_b32 exec_lo, exec_lo, s24
	s_orn2_b32 s24, s26, exec_lo
.LBB522_206:
	s_or_b32 exec_lo, exec_lo, s25
	v_cndmask_b32_e64 v180, v177, v179, s24
	v_cndmask_b32_e64 v181, v242, v241, s24
	s_mov_b32 s26, -1
	s_mov_b32 s25, -1
	s_mov_b32 s27, exec_lo
	v_add_nc_u32_e32 v180, 1, v180
	v_add_nc_u32_e32 v181, -1, v181
	v_cndmask_b32_e64 v177, v180, v177, s24
	v_min_u32_e32 v181, v180, v181
	v_cndmask_b32_e64 v179, v179, v180, s24
	v_lshl_add_u32 v181, v181, 1, v102
	ds_read_u16 v181, v181
	s_waitcnt lgkmcnt(0)
	v_cndmask_b32_e64 v214, v181, v198, s24
	v_cndmask_b32_e64 v57, v56, v181, s24
	v_cmpx_lt_u32_e64 v177, v242
	s_cbranch_execz .LBB522_210
; %bb.207:
	s_mov_b32 s28, 0
	s_mov_b32 s25, exec_lo
	v_cmpx_lt_u32_e64 v179, v241
	s_cbranch_execz .LBB522_209
; %bb.208:
	v_mov_b32_e32 v180, 0x6667
	v_mul_i32_i24_sdwa v181, sext(v214), v180 dst_sel:DWORD dst_unused:UNUSED_PAD src0_sel:WORD_0 src1_sel:DWORD
	v_mul_i32_i24_sdwa v180, sext(v57), v180 dst_sel:DWORD dst_unused:UNUSED_PAD src0_sel:WORD_0 src1_sel:DWORD
	v_lshrrev_b32_e32 v182, 31, v181
	v_ashrrev_i32_e32 v181, 18, v181
	v_lshrrev_b32_e32 v183, 31, v180
	v_ashrrev_i32_e32 v180, 18, v180
	v_add_nc_u16 v181, v181, v182
	v_add_nc_u16 v180, v180, v183
	v_cmp_ge_i16_e32 vcc_lo, v181, v180
	s_and_b32 s28, vcc_lo, exec_lo
.LBB522_209:
	s_or_b32 exec_lo, exec_lo, s25
	s_orn2_b32 s25, s28, exec_lo
.LBB522_210:
	s_or_b32 exec_lo, exec_lo, s27
	v_cndmask_b32_e64 v180, v177, v179, s25
	v_cndmask_b32_e64 v181, v242, v241, s25
	s_mov_b32 s27, exec_lo
	v_add_nc_u32_e32 v180, 1, v180
	v_add_nc_u32_e32 v181, -1, v181
	v_cndmask_b32_e64 v177, v180, v177, s25
	v_min_u32_e32 v181, v180, v181
	v_cndmask_b32_e64 v179, v179, v180, s25
	v_lshl_add_u32 v181, v181, 1, v102
	ds_read_u16 v181, v181
	s_waitcnt lgkmcnt(0)
	v_cndmask_b32_e64 v197, v181, v214, s25
	v_cndmask_b32_e64 v58, v57, v181, s25
	v_cmpx_lt_u32_e64 v177, v242
	s_cbranch_execz .LBB522_214
; %bb.211:
	s_mov_b32 s28, 0
	s_mov_b32 s26, exec_lo
	v_cmpx_lt_u32_e64 v179, v241
	s_cbranch_execz .LBB522_213
; %bb.212:
	v_mov_b32_e32 v180, 0x6667
	v_mul_i32_i24_sdwa v181, sext(v197), v180 dst_sel:DWORD dst_unused:UNUSED_PAD src0_sel:WORD_0 src1_sel:DWORD
	v_mul_i32_i24_sdwa v180, sext(v58), v180 dst_sel:DWORD dst_unused:UNUSED_PAD src0_sel:WORD_0 src1_sel:DWORD
	v_lshrrev_b32_e32 v182, 31, v181
	v_ashrrev_i32_e32 v181, 18, v181
	v_lshrrev_b32_e32 v183, 31, v180
	v_ashrrev_i32_e32 v180, 18, v180
	v_add_nc_u16 v181, v181, v182
	v_add_nc_u16 v180, v180, v183
	v_cmp_ge_i16_e32 vcc_lo, v181, v180
	s_and_b32 s28, vcc_lo, exec_lo
.LBB522_213:
	s_or_b32 exec_lo, exec_lo, s26
	s_orn2_b32 s26, s28, exec_lo
.LBB522_214:
	s_or_b32 exec_lo, exec_lo, s27
	v_cndmask_b32_e64 v180, v177, v179, s26
	v_cndmask_b32_e64 v181, v242, v241, s26
	s_mov_b32 s28, -1
	s_mov_b32 s27, -1
	s_mov_b32 s29, exec_lo
	v_add_nc_u32_e32 v180, 1, v180
	v_add_nc_u32_e32 v181, -1, v181
	v_cndmask_b32_e64 v177, v180, v177, s26
	v_min_u32_e32 v181, v180, v181
	v_cndmask_b32_e64 v179, v179, v180, s26
	v_lshl_add_u32 v181, v181, 1, v102
	ds_read_u16 v181, v181
	s_waitcnt lgkmcnt(0)
	v_cndmask_b32_e64 v209, v181, v197, s26
	v_cndmask_b32_e64 v59, v58, v181, s26
	v_cmpx_lt_u32_e64 v177, v242
	s_cbranch_execz .LBB522_218
; %bb.215:
	s_mov_b32 s40, 0
	s_mov_b32 s27, exec_lo
	v_cmpx_lt_u32_e64 v179, v241
	s_cbranch_execz .LBB522_217
; %bb.216:
	v_mov_b32_e32 v180, 0x6667
	v_mul_i32_i24_sdwa v181, sext(v209), v180 dst_sel:DWORD dst_unused:UNUSED_PAD src0_sel:WORD_0 src1_sel:DWORD
	v_mul_i32_i24_sdwa v180, sext(v59), v180 dst_sel:DWORD dst_unused:UNUSED_PAD src0_sel:WORD_0 src1_sel:DWORD
	v_lshrrev_b32_e32 v182, 31, v181
	v_ashrrev_i32_e32 v181, 18, v181
	v_lshrrev_b32_e32 v183, 31, v180
	v_ashrrev_i32_e32 v180, 18, v180
	v_add_nc_u16 v181, v181, v182
	v_add_nc_u16 v180, v180, v183
	v_cmp_ge_i16_e32 vcc_lo, v181, v180
	s_and_b32 s40, vcc_lo, exec_lo
.LBB522_217:
	s_or_b32 exec_lo, exec_lo, s27
	s_orn2_b32 s27, s40, exec_lo
.LBB522_218:
	s_or_b32 exec_lo, exec_lo, s29
	v_cndmask_b32_e64 v180, v177, v179, s27
	v_cndmask_b32_e64 v181, v242, v241, s27
	s_mov_b32 s29, exec_lo
	v_add_nc_u32_e32 v180, 1, v180
	v_add_nc_u32_e32 v181, -1, v181
	v_cndmask_b32_e64 v177, v180, v177, s27
	v_min_u32_e32 v181, v180, v181
	v_cndmask_b32_e64 v179, v179, v180, s27
	v_lshl_add_u32 v181, v181, 1, v102
	ds_read_u16 v181, v181
	s_waitcnt lgkmcnt(0)
	v_cndmask_b32_e64 v194, v181, v209, s27
	v_cndmask_b32_e64 v60, v59, v181, s27
	v_cmpx_lt_u32_e64 v177, v242
	s_cbranch_execz .LBB522_222
; %bb.219:
	s_mov_b32 s40, 0
	s_mov_b32 s28, exec_lo
	v_cmpx_lt_u32_e64 v179, v241
	s_cbranch_execz .LBB522_221
; %bb.220:
	v_mov_b32_e32 v180, 0x6667
	v_mul_i32_i24_sdwa v181, sext(v194), v180 dst_sel:DWORD dst_unused:UNUSED_PAD src0_sel:WORD_0 src1_sel:DWORD
	v_mul_i32_i24_sdwa v180, sext(v60), v180 dst_sel:DWORD dst_unused:UNUSED_PAD src0_sel:WORD_0 src1_sel:DWORD
	v_lshrrev_b32_e32 v182, 31, v181
	v_ashrrev_i32_e32 v181, 18, v181
	v_lshrrev_b32_e32 v183, 31, v180
	v_ashrrev_i32_e32 v180, 18, v180
	v_add_nc_u16 v181, v181, v182
	v_add_nc_u16 v180, v180, v183
	v_cmp_ge_i16_e32 vcc_lo, v181, v180
	s_and_b32 s40, vcc_lo, exec_lo
.LBB522_221:
	s_or_b32 exec_lo, exec_lo, s28
	s_orn2_b32 s28, s40, exec_lo
.LBB522_222:
	s_or_b32 exec_lo, exec_lo, s29
	v_cndmask_b32_e64 v180, v177, v179, s28
	v_cndmask_b32_e64 v181, v242, v241, s28
	s_mov_b32 s40, -1
	s_mov_b32 s29, -1
	s_mov_b32 s41, exec_lo
	v_add_nc_u32_e32 v180, 1, v180
	v_add_nc_u32_e32 v181, -1, v181
	v_cndmask_b32_e64 v177, v180, v177, s28
	v_min_u32_e32 v181, v180, v181
	v_cndmask_b32_e64 v179, v179, v180, s28
	v_lshl_add_u32 v181, v181, 1, v102
	ds_read_u16 v181, v181
	s_waitcnt lgkmcnt(0)
	v_cndmask_b32_e64 v199, v181, v194, s28
	v_cndmask_b32_e64 v61, v60, v181, s28
	v_cmpx_lt_u32_e64 v177, v242
	s_cbranch_execz .LBB522_226
; %bb.223:
	s_mov_b32 s42, 0
	s_mov_b32 s29, exec_lo
	v_cmpx_lt_u32_e64 v179, v241
	s_cbranch_execz .LBB522_225
; %bb.224:
	v_mov_b32_e32 v180, 0x6667
	v_mul_i32_i24_sdwa v181, sext(v199), v180 dst_sel:DWORD dst_unused:UNUSED_PAD src0_sel:WORD_0 src1_sel:DWORD
	v_mul_i32_i24_sdwa v180, sext(v61), v180 dst_sel:DWORD dst_unused:UNUSED_PAD src0_sel:WORD_0 src1_sel:DWORD
	v_lshrrev_b32_e32 v182, 31, v181
	v_ashrrev_i32_e32 v181, 18, v181
	v_lshrrev_b32_e32 v183, 31, v180
	v_ashrrev_i32_e32 v180, 18, v180
	v_add_nc_u16 v181, v181, v182
	v_add_nc_u16 v180, v180, v183
	v_cmp_ge_i16_e32 vcc_lo, v181, v180
	s_and_b32 s42, vcc_lo, exec_lo
.LBB522_225:
	s_or_b32 exec_lo, exec_lo, s29
	s_orn2_b32 s29, s42, exec_lo
.LBB522_226:
	s_or_b32 exec_lo, exec_lo, s41
	v_cndmask_b32_e64 v180, v177, v179, s29
	v_cndmask_b32_e64 v181, v242, v241, s29
	s_mov_b32 s41, exec_lo
	v_add_nc_u32_e32 v180, 1, v180
	v_add_nc_u32_e32 v181, -1, v181
	v_cndmask_b32_e64 v177, v180, v177, s29
	v_min_u32_e32 v181, v180, v181
	v_cndmask_b32_e64 v179, v179, v180, s29
	v_lshl_add_u32 v181, v181, 1, v102
	ds_read_u16 v181, v181
	s_waitcnt lgkmcnt(0)
	v_cndmask_b32_e64 v193, v181, v199, s29
	v_cndmask_b32_e64 v62, v61, v181, s29
	v_cmpx_lt_u32_e64 v177, v242
	s_cbranch_execz .LBB522_230
; %bb.227:
	s_mov_b32 s42, 0
	s_mov_b32 s40, exec_lo
	v_cmpx_lt_u32_e64 v179, v241
	s_cbranch_execz .LBB522_229
; %bb.228:
	v_mov_b32_e32 v180, 0x6667
	v_mul_i32_i24_sdwa v181, sext(v193), v180 dst_sel:DWORD dst_unused:UNUSED_PAD src0_sel:WORD_0 src1_sel:DWORD
	v_mul_i32_i24_sdwa v180, sext(v62), v180 dst_sel:DWORD dst_unused:UNUSED_PAD src0_sel:WORD_0 src1_sel:DWORD
	v_lshrrev_b32_e32 v182, 31, v181
	v_ashrrev_i32_e32 v181, 18, v181
	v_lshrrev_b32_e32 v183, 31, v180
	v_ashrrev_i32_e32 v180, 18, v180
	v_add_nc_u16 v181, v181, v182
	v_add_nc_u16 v180, v180, v183
	v_cmp_ge_i16_e32 vcc_lo, v181, v180
	s_and_b32 s42, vcc_lo, exec_lo
.LBB522_229:
	s_or_b32 exec_lo, exec_lo, s40
	s_orn2_b32 s40, s42, exec_lo
.LBB522_230:
	s_or_b32 exec_lo, exec_lo, s41
	v_cndmask_b32_e64 v180, v177, v179, s40
	v_cndmask_b32_e64 v181, v242, v241, s40
	s_mov_b32 s42, -1
	s_mov_b32 s41, -1
	s_mov_b32 s43, exec_lo
	v_add_nc_u32_e32 v180, 1, v180
	v_add_nc_u32_e32 v181, -1, v181
	v_cndmask_b32_e64 v177, v180, v177, s40
	v_min_u32_e32 v181, v180, v181
	v_cndmask_b32_e64 v179, v179, v180, s40
	v_lshl_add_u32 v181, v181, 1, v102
	ds_read_u16 v181, v181
	s_waitcnt lgkmcnt(0)
	v_cndmask_b32_e64 v196, v181, v193, s40
	v_cndmask_b32_e64 v63, v62, v181, s40
	v_cmpx_lt_u32_e64 v177, v242
	s_cbranch_execz .LBB522_234
; %bb.231:
	s_mov_b32 s44, 0
	s_mov_b32 s41, exec_lo
	v_cmpx_lt_u32_e64 v179, v241
	s_cbranch_execz .LBB522_233
; %bb.232:
	v_mov_b32_e32 v180, 0x6667
	v_mul_i32_i24_sdwa v181, sext(v196), v180 dst_sel:DWORD dst_unused:UNUSED_PAD src0_sel:WORD_0 src1_sel:DWORD
	v_mul_i32_i24_sdwa v180, sext(v63), v180 dst_sel:DWORD dst_unused:UNUSED_PAD src0_sel:WORD_0 src1_sel:DWORD
	v_lshrrev_b32_e32 v182, 31, v181
	v_ashrrev_i32_e32 v181, 18, v181
	v_lshrrev_b32_e32 v183, 31, v180
	v_ashrrev_i32_e32 v180, 18, v180
	v_add_nc_u16 v181, v181, v182
	v_add_nc_u16 v180, v180, v183
	v_cmp_ge_i16_e32 vcc_lo, v181, v180
	s_and_b32 s44, vcc_lo, exec_lo
.LBB522_233:
	s_or_b32 exec_lo, exec_lo, s41
	s_orn2_b32 s41, s44, exec_lo
.LBB522_234:
	s_or_b32 exec_lo, exec_lo, s43
	v_cndmask_b32_e64 v180, v177, v179, s41
	v_cndmask_b32_e64 v181, v242, v241, s41
	s_mov_b32 s43, exec_lo
	v_add_nc_u32_e32 v180, 1, v180
	v_add_nc_u32_e32 v181, -1, v181
	v_cndmask_b32_e64 v177, v180, v177, s41
	v_min_u32_e32 v181, v180, v181
	v_cndmask_b32_e64 v179, v179, v180, s41
	v_lshl_add_u32 v181, v181, 1, v102
	ds_read_u16 v181, v181
	s_waitcnt lgkmcnt(0)
	v_cndmask_b32_e64 v182, v181, v196, s41
	v_cndmask_b32_e64 v72, v63, v181, s41
	v_cmpx_lt_u32_e64 v177, v242
	s_cbranch_execz .LBB522_238
; %bb.235:
	s_mov_b32 s44, 0
	s_mov_b32 s42, exec_lo
	v_cmpx_lt_u32_e64 v179, v241
	s_cbranch_execz .LBB522_237
; %bb.236:
	v_mov_b32_e32 v180, 0x6667
	v_mul_i32_i24_sdwa v181, sext(v182), v180 dst_sel:DWORD dst_unused:UNUSED_PAD src0_sel:WORD_0 src1_sel:DWORD
	v_mul_i32_i24_sdwa v180, sext(v72), v180 dst_sel:DWORD dst_unused:UNUSED_PAD src0_sel:WORD_0 src1_sel:DWORD
	v_lshrrev_b32_e32 v183, 31, v181
	v_ashrrev_i32_e32 v181, 18, v181
	v_lshrrev_b32_e32 v192, 31, v180
	v_ashrrev_i32_e32 v180, 18, v180
	v_add_nc_u16 v181, v181, v183
	v_add_nc_u16 v180, v180, v192
	v_cmp_ge_i16_e32 vcc_lo, v181, v180
	s_and_b32 s44, vcc_lo, exec_lo
.LBB522_237:
	s_or_b32 exec_lo, exec_lo, s42
	s_orn2_b32 s42, s44, exec_lo
.LBB522_238:
	s_or_b32 exec_lo, exec_lo, s43
	v_cndmask_b32_e64 v180, v177, v179, s42
	v_cndmask_b32_e64 v181, v242, v241, s42
	s_mov_b32 s44, -1
	s_mov_b32 s43, -1
	s_mov_b32 s45, exec_lo
	v_add_nc_u32_e32 v180, 1, v180
	v_add_nc_u32_e32 v181, -1, v181
	v_cndmask_b32_e64 v177, v180, v177, s42
	v_min_u32_e32 v181, v180, v181
	v_cndmask_b32_e64 v179, v179, v180, s42
	v_lshl_add_u32 v181, v181, 1, v102
	ds_read_u16 v181, v181
	s_waitcnt lgkmcnt(0)
	v_cndmask_b32_e64 v208, v181, v182, s42
	v_cndmask_b32_e64 v73, v72, v181, s42
	v_cmpx_lt_u32_e64 v177, v242
	s_cbranch_execz .LBB522_242
; %bb.239:
	s_mov_b32 s46, 0
	s_mov_b32 s43, exec_lo
	v_cmpx_lt_u32_e64 v179, v241
	s_cbranch_execz .LBB522_241
; %bb.240:
	v_mov_b32_e32 v180, 0x6667
	v_mul_i32_i24_sdwa v181, sext(v208), v180 dst_sel:DWORD dst_unused:UNUSED_PAD src0_sel:WORD_0 src1_sel:DWORD
	v_mul_i32_i24_sdwa v180, sext(v73), v180 dst_sel:DWORD dst_unused:UNUSED_PAD src0_sel:WORD_0 src1_sel:DWORD
	v_lshrrev_b32_e32 v183, 31, v181
	v_ashrrev_i32_e32 v181, 18, v181
	v_lshrrev_b32_e32 v192, 31, v180
	v_ashrrev_i32_e32 v180, 18, v180
	v_add_nc_u16 v181, v181, v183
	v_add_nc_u16 v180, v180, v192
	v_cmp_ge_i16_e32 vcc_lo, v181, v180
	s_and_b32 s46, vcc_lo, exec_lo
.LBB522_241:
	s_or_b32 exec_lo, exec_lo, s43
	s_orn2_b32 s43, s46, exec_lo
.LBB522_242:
	s_or_b32 exec_lo, exec_lo, s45
	v_cndmask_b32_e64 v180, v177, v179, s43
	v_cndmask_b32_e64 v181, v242, v241, s43
	s_mov_b32 s45, exec_lo
	v_add_nc_u32_e32 v180, 1, v180
	v_add_nc_u32_e32 v181, -1, v181
	v_cndmask_b32_e64 v177, v180, v177, s43
	v_min_u32_e32 v181, v180, v181
	v_cndmask_b32_e64 v179, v179, v180, s43
	v_lshl_add_u32 v181, v181, 1, v102
	ds_read_u16 v183, v181
	s_waitcnt lgkmcnt(0)
	v_cndmask_b32_e64 v181, v183, v208, s43
	v_cndmask_b32_e64 v74, v73, v183, s43
	v_cmpx_lt_u32_e64 v177, v242
	s_cbranch_execz .LBB522_246
; %bb.243:
	s_mov_b32 s46, 0
	s_mov_b32 s44, exec_lo
	v_cmpx_lt_u32_e64 v179, v241
	s_cbranch_execz .LBB522_245
; %bb.244:
	v_mov_b32_e32 v180, 0x6667
	v_mul_i32_i24_sdwa v183, sext(v181), v180 dst_sel:DWORD dst_unused:UNUSED_PAD src0_sel:WORD_0 src1_sel:DWORD
	v_mul_i32_i24_sdwa v180, sext(v74), v180 dst_sel:DWORD dst_unused:UNUSED_PAD src0_sel:WORD_0 src1_sel:DWORD
	v_lshrrev_b32_e32 v192, 31, v183
	v_ashrrev_i32_e32 v183, 18, v183
	v_lshrrev_b32_e32 v195, 31, v180
	v_ashrrev_i32_e32 v180, 18, v180
	v_add_nc_u16 v183, v183, v192
	v_add_nc_u16 v180, v180, v195
	v_cmp_ge_i16_e32 vcc_lo, v183, v180
	s_and_b32 s46, vcc_lo, exec_lo
.LBB522_245:
	s_or_b32 exec_lo, exec_lo, s44
	s_orn2_b32 s44, s46, exec_lo
.LBB522_246:
	s_or_b32 exec_lo, exec_lo, s45
	v_cndmask_b32_e64 v180, v177, v179, s44
	v_cndmask_b32_e64 v183, v242, v241, s44
	s_mov_b32 s46, -1
	s_mov_b32 s45, -1
	s_mov_b32 s47, exec_lo
	v_add_nc_u32_e32 v180, 1, v180
	v_add_nc_u32_e32 v183, -1, v183
	v_cndmask_b32_e64 v177, v180, v177, s44
	v_min_u32_e32 v183, v180, v183
	v_cndmask_b32_e64 v179, v179, v180, s44
	v_lshl_add_u32 v183, v183, 1, v102
	ds_read_u16 v183, v183
	s_waitcnt lgkmcnt(0)
	v_cndmask_b32_e64 v195, v183, v181, s44
	v_cndmask_b32_e64 v75, v74, v183, s44
	v_cmpx_lt_u32_e64 v177, v242
	s_cbranch_execz .LBB522_250
; %bb.247:
	s_mov_b32 s56, 0
	s_mov_b32 s45, exec_lo
	v_cmpx_lt_u32_e64 v179, v241
	s_cbranch_execz .LBB522_249
; %bb.248:
	v_mov_b32_e32 v180, 0x6667
	v_mul_i32_i24_sdwa v183, sext(v195), v180 dst_sel:DWORD dst_unused:UNUSED_PAD src0_sel:WORD_0 src1_sel:DWORD
	v_mul_i32_i24_sdwa v180, sext(v75), v180 dst_sel:DWORD dst_unused:UNUSED_PAD src0_sel:WORD_0 src1_sel:DWORD
	v_lshrrev_b32_e32 v192, 31, v183
	v_ashrrev_i32_e32 v183, 18, v183
	v_lshrrev_b32_e32 v76, 31, v180
	v_ashrrev_i32_e32 v180, 18, v180
	v_add_nc_u16 v183, v183, v192
	v_add_nc_u16 v180, v180, v76
	v_cmp_ge_i16_e32 vcc_lo, v183, v180
	s_and_b32 s56, vcc_lo, exec_lo
.LBB522_249:
	s_or_b32 exec_lo, exec_lo, s45
	s_orn2_b32 s45, s56, exec_lo
.LBB522_250:
	s_or_b32 exec_lo, exec_lo, s47
	v_cndmask_b32_e64 v180, v177, v179, s45
	v_cndmask_b32_e64 v183, v242, v241, s45
	s_mov_b32 s47, exec_lo
	v_add_nc_u32_e32 v180, 1, v180
	v_add_nc_u32_e32 v183, -1, v183
	v_cndmask_b32_e64 v177, v180, v177, s45
	v_min_u32_e32 v183, v180, v183
	v_cndmask_b32_e64 v179, v179, v180, s45
	v_lshl_add_u32 v183, v183, 1, v102
	ds_read_u16 v183, v183
	s_waitcnt lgkmcnt(0)
	v_cndmask_b32_e64 v192, v183, v195, s45
	v_cndmask_b32_e64 v76, v75, v183, s45
	v_cmpx_lt_u32_e64 v177, v242
	s_cbranch_execz .LBB522_254
; %bb.251:
	s_mov_b32 s56, 0
	s_mov_b32 s46, exec_lo
	v_cmpx_lt_u32_e64 v179, v241
	s_cbranch_execz .LBB522_253
; %bb.252:
	v_mov_b32_e32 v180, 0x6667
	v_mul_i32_i24_sdwa v183, sext(v192), v180 dst_sel:DWORD dst_unused:UNUSED_PAD src0_sel:WORD_0 src1_sel:DWORD
	v_mul_i32_i24_sdwa v180, sext(v76), v180 dst_sel:DWORD dst_unused:UNUSED_PAD src0_sel:WORD_0 src1_sel:DWORD
	v_lshrrev_b32_e32 v77, 31, v183
	v_ashrrev_i32_e32 v183, 18, v183
	v_lshrrev_b32_e32 v78, 31, v180
	v_ashrrev_i32_e32 v180, 18, v180
	v_add_nc_u16 v183, v183, v77
	v_add_nc_u16 v180, v180, v78
	v_cmp_ge_i16_e32 vcc_lo, v183, v180
	s_and_b32 s56, vcc_lo, exec_lo
.LBB522_253:
	s_or_b32 exec_lo, exec_lo, s46
	s_orn2_b32 s46, s56, exec_lo
.LBB522_254:
	s_or_b32 exec_lo, exec_lo, s47
	v_cndmask_b32_e64 v180, v177, v179, s46
	v_cndmask_b32_e64 v183, v242, v241, s46
	s_mov_b32 s56, -1
	s_mov_b32 s47, -1
	s_mov_b32 s57, exec_lo
	v_add_nc_u32_e32 v180, 1, v180
	v_add_nc_u32_e32 v183, -1, v183
	v_cndmask_b32_e64 v177, v180, v177, s46
	v_min_u32_e32 v183, v180, v183
	v_cndmask_b32_e64 v179, v179, v180, s46
	v_lshl_add_u32 v183, v183, 1, v102
	ds_read_u16 v77, v183
	s_waitcnt lgkmcnt(0)
	v_cndmask_b32_e64 v183, v77, v192, s46
	v_cndmask_b32_e64 v77, v76, v77, s46
	v_cmpx_lt_u32_e64 v177, v242
	s_cbranch_execz .LBB522_258
; %bb.255:
	s_mov_b32 s58, 0
	s_mov_b32 s47, exec_lo
	v_cmpx_lt_u32_e64 v179, v241
	s_cbranch_execz .LBB522_257
; %bb.256:
	v_mov_b32_e32 v180, 0x6667
	v_mul_i32_i24_sdwa v78, sext(v183), v180 dst_sel:DWORD dst_unused:UNUSED_PAD src0_sel:WORD_0 src1_sel:DWORD
	v_mul_i32_i24_sdwa v180, sext(v77), v180 dst_sel:DWORD dst_unused:UNUSED_PAD src0_sel:WORD_0 src1_sel:DWORD
	v_lshrrev_b32_e32 v79, 31, v78
	v_ashrrev_i32_e32 v78, 18, v78
	v_lshrrev_b32_e32 v88, 31, v180
	v_ashrrev_i32_e32 v180, 18, v180
	v_add_nc_u16 v78, v78, v79
	v_add_nc_u16 v180, v180, v88
	v_cmp_ge_i16_e32 vcc_lo, v78, v180
	s_and_b32 s58, vcc_lo, exec_lo
.LBB522_257:
	s_or_b32 exec_lo, exec_lo, s47
	s_orn2_b32 s47, s58, exec_lo
.LBB522_258:
	s_or_b32 exec_lo, exec_lo, s57
	v_cndmask_b32_e64 v180, v177, v179, s47
	v_cndmask_b32_e64 v78, v242, v241, s47
	s_mov_b32 s57, exec_lo
	v_add_nc_u32_e32 v180, 1, v180
	v_add_nc_u32_e32 v78, -1, v78
	v_cndmask_b32_e64 v177, v180, v177, s47
	v_min_u32_e32 v78, v180, v78
	v_cndmask_b32_e64 v179, v179, v180, s47
	v_lshl_add_u32 v78, v78, 1, v102
	ds_read_u16 v78, v78
	s_waitcnt lgkmcnt(0)
	v_cndmask_b32_e64 v180, v78, v183, s47
	v_cndmask_b32_e64 v78, v77, v78, s47
	v_cmpx_lt_u32_e64 v177, v242
	s_cbranch_execz .LBB522_262
; %bb.259:
	s_mov_b32 s58, 0
	s_mov_b32 s56, exec_lo
	v_cmpx_lt_u32_e64 v179, v241
	s_cbranch_execz .LBB522_261
; %bb.260:
	v_mov_b32_e32 v79, 0x6667
	v_mul_i32_i24_sdwa v88, sext(v180), v79 dst_sel:DWORD dst_unused:UNUSED_PAD src0_sel:WORD_0 src1_sel:DWORD
	v_mul_i32_i24_sdwa v79, sext(v78), v79 dst_sel:DWORD dst_unused:UNUSED_PAD src0_sel:WORD_0 src1_sel:DWORD
	v_lshrrev_b32_e32 v89, 31, v88
	v_ashrrev_i32_e32 v88, 18, v88
	v_lshrrev_b32_e32 v90, 31, v79
	v_ashrrev_i32_e32 v79, 18, v79
	v_add_nc_u16 v88, v88, v89
	v_add_nc_u16 v79, v79, v90
	v_cmp_ge_i16_e32 vcc_lo, v88, v79
	s_and_b32 s58, vcc_lo, exec_lo
.LBB522_261:
	s_or_b32 exec_lo, exec_lo, s56
	s_orn2_b32 s56, s58, exec_lo
.LBB522_262:
	s_or_b32 exec_lo, exec_lo, s57
	v_cndmask_b32_e64 v79, v177, v179, s56
	v_cndmask_b32_e64 v88, v242, v241, s56
	s_mov_b32 s57, -1
	s_mov_b32 s58, -1
	s_mov_b32 s59, exec_lo
	v_add_nc_u32_e32 v79, 1, v79
	v_add_nc_u32_e32 v88, -1, v88
	v_cndmask_b32_e64 v177, v79, v177, s56
	v_min_u32_e32 v88, v79, v88
	v_lshl_add_u32 v88, v88, 1, v102
	ds_read_u16 v89, v88
	v_cndmask_b32_e64 v88, v179, v79, s56
	s_waitcnt lgkmcnt(0)
	v_cndmask_b32_e64 v179, v89, v180, s56
	v_cndmask_b32_e64 v79, v78, v89, s56
	v_cmpx_lt_u32_e64 v177, v242
	s_cbranch_execz .LBB522_266
; %bb.263:
	s_mov_b32 s60, 0
	s_mov_b32 s58, exec_lo
	v_cmpx_lt_u32_e64 v88, v241
	s_cbranch_execz .LBB522_265
; %bb.264:
	v_mov_b32_e32 v89, 0x6667
	v_mul_i32_i24_sdwa v90, sext(v179), v89 dst_sel:DWORD dst_unused:UNUSED_PAD src0_sel:WORD_0 src1_sel:DWORD
	v_mul_i32_i24_sdwa v89, sext(v79), v89 dst_sel:DWORD dst_unused:UNUSED_PAD src0_sel:WORD_0 src1_sel:DWORD
	v_lshrrev_b32_e32 v91, 31, v90
	v_ashrrev_i32_e32 v90, 18, v90
	v_lshrrev_b32_e32 v92, 31, v89
	v_ashrrev_i32_e32 v89, 18, v89
	v_add_nc_u16 v90, v90, v91
	v_add_nc_u16 v89, v89, v92
	v_cmp_ge_i16_e32 vcc_lo, v90, v89
	s_and_b32 s60, vcc_lo, exec_lo
.LBB522_265:
	s_or_b32 exec_lo, exec_lo, s58
	s_orn2_b32 s58, s60, exec_lo
.LBB522_266:
	s_or_b32 exec_lo, exec_lo, s59
	v_cndmask_b32_e64 v89, v177, v88, s58
	v_cndmask_b32_e64 v90, v242, v241, s58
	s_mov_b32 s59, exec_lo
	v_add_nc_u32_e32 v89, 1, v89
	v_add_nc_u32_e32 v90, -1, v90
	v_cndmask_b32_e64 v177, v89, v177, s58
	v_min_u32_e32 v90, v89, v90
	v_lshl_add_u32 v90, v90, 1, v102
	ds_read_u16 v91, v90
	v_cndmask_b32_e64 v90, v88, v89, s58
	s_waitcnt lgkmcnt(0)
	v_cndmask_b32_e64 v88, v91, v179, s58
	v_cndmask_b32_e64 v89, v79, v91, s58
	v_cmpx_lt_u32_e64 v177, v242
	s_cbranch_execz .LBB522_270
; %bb.267:
	s_mov_b32 s60, 0
	s_mov_b32 s57, exec_lo
	v_cmpx_lt_u32_e64 v90, v241
	s_cbranch_execz .LBB522_269
; %bb.268:
	v_mov_b32_e32 v91, 0x6667
	v_mul_i32_i24_sdwa v92, sext(v88), v91 dst_sel:DWORD dst_unused:UNUSED_PAD src0_sel:WORD_0 src1_sel:DWORD
	v_mul_i32_i24_sdwa v91, sext(v89), v91 dst_sel:DWORD dst_unused:UNUSED_PAD src0_sel:WORD_0 src1_sel:DWORD
	v_lshrrev_b32_e32 v93, 31, v92
	v_ashrrev_i32_e32 v92, 18, v92
	v_lshrrev_b32_e32 v94, 31, v91
	v_ashrrev_i32_e32 v91, 18, v91
	v_add_nc_u16 v92, v92, v93
	v_add_nc_u16 v91, v91, v94
	v_cmp_ge_i16_e32 vcc_lo, v92, v91
	s_and_b32 s60, vcc_lo, exec_lo
.LBB522_269:
	s_or_b32 exec_lo, exec_lo, s57
	s_orn2_b32 s57, s60, exec_lo
.LBB522_270:
	s_or_b32 exec_lo, exec_lo, s59
	v_cndmask_b32_e64 v91, v177, v90, s57
	v_cndmask_b32_e64 v92, v242, v241, s57
	s_mov_b32 s59, exec_lo
	v_add_nc_u32_e32 v91, 1, v91
	v_add_nc_u32_e32 v92, -1, v92
	v_cndmask_b32_e64 v93, v91, v177, s57
	v_min_u32_e32 v92, v91, v92
	v_lshl_add_u32 v92, v92, 1, v102
	ds_read_u16 v92, v92
	s_waitcnt lgkmcnt(0)
	v_cndmask_b32_e64 v177, v89, v92, s57
	v_cmpx_lt_u32_e64 v93, v242
	s_cbranch_execz .LBB522_274
; %bb.271:
	v_cndmask_b32_e64 v90, v90, v91, s57
	v_cndmask_b32_e64 v242, v92, v88, s57
	s_mov_b32 s60, exec_lo
	v_cmpx_lt_u32_e64 v90, v241
	s_cbranch_execz .LBB522_273
; %bb.272:
	v_mov_b32_e32 v241, 0x6667
	v_mul_i32_i24_sdwa v90, sext(v242), v241 dst_sel:DWORD dst_unused:UNUSED_PAD src0_sel:WORD_0 src1_sel:DWORD
	v_mul_i32_i24_sdwa v241, sext(v177), v241 dst_sel:DWORD dst_unused:UNUSED_PAD src0_sel:WORD_0 src1_sel:DWORD
	v_lshrrev_b32_e32 v91, 31, v90
	v_ashrrev_i32_e32 v90, 18, v90
	v_lshrrev_b32_e32 v92, 31, v241
	v_ashrrev_i32_e32 v241, 18, v241
	v_add_nc_u16 v90, v90, v91
	v_add_nc_u16 v241, v241, v92
	v_cmp_lt_i16_e32 vcc_lo, v90, v241
	v_cndmask_b32_e32 v242, v177, v242, vcc_lo
.LBB522_273:
	s_or_b32 exec_lo, exec_lo, s60
	v_mov_b32_e32 v177, v242
.LBB522_274:
	s_or_b32 exec_lo, exec_lo, s59
	v_cndmask_b32_e64 v179, v179, v79, s58
	v_cndmask_b32_e64 v180, v180, v78, s56
	;; [unrolled: 1-line block ×31, first 2 shown]
.LBB522_275:
	s_or_b32 exec_lo, exec_lo, s5
	v_and_b32_e32 v243, 0x300, v112
	v_and_b32_e32 v244, 0xe0, v112
	s_mov_b32 s4, exec_lo
	; wave barrier
	v_or_b32_e32 v241, 0x80, v243
	v_min_u32_e32 v244, v103, v244
	ds_write_b16 v113, v178
	ds_write_b16 v165, v231
	;; [unrolled: 1-line block ×13, first 2 shown]
	v_min_u32_e32 v241, v103, v241
	ds_write_b16 v145, v213
	ds_write_b16 v146, v198
	;; [unrolled: 1-line block ×13, first 2 shown]
	v_add_nc_u32_e32 v242, 0x80, v241
	v_sub_nc_u32_e32 v246, v241, v243
	ds_write_b16 v116, v192
	ds_write_b16 v117, v183
	;; [unrolled: 1-line block ×6, first 2 shown]
	; wave barrier
	v_min_u32_e32 v242, v103, v242
	v_min_u32_e32 v246, v244, v246
	v_sub_nc_u32_e32 v245, v242, v241
	v_sub_nc_u32_e64 v245, v244, v245 clamp
	v_cmpx_lt_u32_e64 v245, v246
	s_cbranch_execz .LBB522_279
; %bb.276:
	v_lshlrev_b32_e32 v247, 1, v243
	v_lshlrev_b32_e32 v40, 1, v241
	s_mov_b32 s5, 0
	v_add_co_u32 v247, null, v102, v247
	v_add_co_u32 v40, null, v102, v40
	.p2align	6
.LBB522_277:                            ; =>This Inner Loop Header: Depth=1
	v_add_nc_u32_e32 v41, v246, v245
	v_lshrrev_b32_e32 v42, 1, v41
	v_and_b32_e32 v41, -2, v41
	v_xad_u32 v43, v42, -1, v244
	v_add_nc_u32_e32 v41, v247, v41
	v_lshl_add_u32 v43, v43, 1, v40
	ds_read_i16 v41, v41
	ds_read_i16 v43, v43
	s_waitcnt lgkmcnt(1)
	v_mul_i32_i24_e32 v41, 0x6667, v41
	s_waitcnt lgkmcnt(0)
	v_mul_i32_i24_e32 v43, 0x6667, v43
	v_lshrrev_b32_e32 v44, 31, v41
	v_ashrrev_i32_e32 v41, 18, v41
	v_lshrrev_b32_e32 v45, 31, v43
	v_ashrrev_i32_e32 v43, 18, v43
	v_add_nc_u16 v41, v41, v44
	v_add_nc_u32_e32 v44, 1, v42
	v_add_nc_u16 v43, v43, v45
	v_cmp_lt_i16_e32 vcc_lo, v43, v41
	v_cndmask_b32_e32 v246, v246, v42, vcc_lo
	v_cndmask_b32_e32 v245, v44, v245, vcc_lo
	v_cmp_ge_u32_e32 vcc_lo, v245, v246
	s_or_b32 s5, vcc_lo, s5
	s_andn2_b32 exec_lo, exec_lo, s5
	s_cbranch_execnz .LBB522_277
; %bb.278:
	s_or_b32 exec_lo, exec_lo, s5
.LBB522_279:
	s_or_b32 exec_lo, exec_lo, s4
	v_add_nc_u32_e32 v244, v241, v244
	v_add_nc_u32_e32 v243, v245, v243
	v_sub_nc_u32_e32 v244, v244, v245
	v_cmp_le_u32_e32 vcc_lo, v243, v241
	v_cmp_le_u32_e64 s4, v244, v242
	s_or_b32 s4, vcc_lo, s4
	s_and_saveexec_b32 s5, s4
	s_cbranch_execz .LBB522_411
; %bb.280:
	s_mov_b32 s7, exec_lo
	v_cmp_ge_u32_e32 vcc_lo, v243, v241
                                        ; implicit-def: $vgpr178
	v_cmpx_lt_u32_e64 v243, v241
; %bb.281:
	v_lshl_add_u32 v177, v243, 1, v102
	ds_read_u16 v178, v177
; %bb.282:
	s_or_b32 exec_lo, exec_lo, s7
	v_cmp_ge_u32_e64 s7, v244, v242
	s_mov_b32 s10, exec_lo
                                        ; implicit-def: $vgpr230
	v_cmpx_lt_u32_e64 v244, v242
; %bb.283:
	v_lshl_add_u32 v177, v244, 1, v102
	ds_read_u16 v230, v177
; %bb.284:
	s_or_b32 exec_lo, exec_lo, s10
	s_nor_b32 s10, vcc_lo, s7
	s_and_saveexec_b32 s4, s10
	s_cbranch_execz .LBB522_286
; %bb.285:
	v_mov_b32_e32 v177, 0x6667
	s_andn2_b32 s7, s7, exec_lo
	s_waitcnt lgkmcnt(0)
	v_mul_i32_i24_sdwa v179, sext(v230), v177 dst_sel:DWORD dst_unused:UNUSED_PAD src0_sel:WORD_0 src1_sel:DWORD
	v_mul_i32_i24_sdwa v177, sext(v178), v177 dst_sel:DWORD dst_unused:UNUSED_PAD src0_sel:WORD_0 src1_sel:DWORD
	v_lshrrev_b32_e32 v180, 31, v179
	v_ashrrev_i32_e32 v179, 18, v179
	v_lshrrev_b32_e32 v181, 31, v177
	v_ashrrev_i32_e32 v177, 18, v177
	v_add_nc_u16 v179, v179, v180
	v_add_nc_u16 v177, v177, v181
	v_cmp_ge_i16_e32 vcc_lo, v179, v177
	s_and_b32 s10, vcc_lo, exec_lo
	s_or_b32 s7, s7, s10
.LBB522_286:
	s_or_b32 exec_lo, exec_lo, s4
	v_cndmask_b32_e64 v177, v244, v243, s7
	v_cndmask_b32_e64 v179, v242, v241, s7
	s_mov_b32 s10, -1
	s_mov_b32 s4, -1
	s_mov_b32 s11, exec_lo
	v_add_nc_u32_e32 v180, 1, v177
	v_add_nc_u32_e32 v177, -1, v179
	v_cndmask_b32_e64 v179, v243, v180, s7
	v_min_u32_e32 v177, v180, v177
	v_lshl_add_u32 v177, v177, 1, v102
	ds_read_u16 v181, v177
	v_cndmask_b32_e64 v177, v180, v244, s7
	s_waitcnt lgkmcnt(0)
	v_cndmask_b32_e64 v231, v181, v230, s7
	v_cndmask_b32_e64 v243, v178, v181, s7
	v_cmpx_lt_u32_e64 v177, v242
	s_cbranch_execz .LBB522_290
; %bb.287:
	s_mov_b32 s14, 0
	s_mov_b32 s4, exec_lo
	v_cmpx_lt_u32_e64 v179, v241
	s_cbranch_execz .LBB522_289
; %bb.288:
	v_mov_b32_e32 v180, 0x6667
	v_mul_i32_i24_sdwa v181, sext(v231), v180 dst_sel:DWORD dst_unused:UNUSED_PAD src0_sel:WORD_0 src1_sel:DWORD
	v_mul_i32_i24_sdwa v180, sext(v243), v180 dst_sel:DWORD dst_unused:UNUSED_PAD src0_sel:WORD_0 src1_sel:DWORD
	v_lshrrev_b32_e32 v182, 31, v181
	v_ashrrev_i32_e32 v181, 18, v181
	v_lshrrev_b32_e32 v183, 31, v180
	v_ashrrev_i32_e32 v180, 18, v180
	v_add_nc_u16 v181, v181, v182
	v_add_nc_u16 v180, v180, v183
	v_cmp_ge_i16_e32 vcc_lo, v181, v180
	s_and_b32 s14, vcc_lo, exec_lo
.LBB522_289:
	s_or_b32 exec_lo, exec_lo, s4
	s_orn2_b32 s4, s14, exec_lo
.LBB522_290:
	s_or_b32 exec_lo, exec_lo, s11
	v_cndmask_b32_e64 v180, v177, v179, s4
	v_cndmask_b32_e64 v181, v242, v241, s4
	s_mov_b32 s11, exec_lo
	v_add_nc_u32_e32 v180, 1, v180
	v_add_nc_u32_e32 v181, -1, v181
	v_cndmask_b32_e64 v177, v180, v177, s4
	v_min_u32_e32 v181, v180, v181
	v_cndmask_b32_e64 v179, v179, v180, s4
	v_lshl_add_u32 v181, v181, 1, v102
	ds_read_u16 v181, v181
	s_waitcnt lgkmcnt(0)
	v_cndmask_b32_e64 v226, v181, v231, s4
	v_cndmask_b32_e64 v244, v243, v181, s4
	v_cmpx_lt_u32_e64 v177, v242
	s_cbranch_execz .LBB522_294
; %bb.291:
	s_mov_b32 s14, 0
	s_mov_b32 s10, exec_lo
	v_cmpx_lt_u32_e64 v179, v241
	s_cbranch_execz .LBB522_293
; %bb.292:
	v_mov_b32_e32 v180, 0x6667
	v_mul_i32_i24_sdwa v181, sext(v226), v180 dst_sel:DWORD dst_unused:UNUSED_PAD src0_sel:WORD_0 src1_sel:DWORD
	v_mul_i32_i24_sdwa v180, sext(v244), v180 dst_sel:DWORD dst_unused:UNUSED_PAD src0_sel:WORD_0 src1_sel:DWORD
	v_lshrrev_b32_e32 v182, 31, v181
	v_ashrrev_i32_e32 v181, 18, v181
	v_lshrrev_b32_e32 v183, 31, v180
	v_ashrrev_i32_e32 v180, 18, v180
	v_add_nc_u16 v181, v181, v182
	v_add_nc_u16 v180, v180, v183
	v_cmp_ge_i16_e32 vcc_lo, v181, v180
	s_and_b32 s14, vcc_lo, exec_lo
.LBB522_293:
	s_or_b32 exec_lo, exec_lo, s10
	s_orn2_b32 s10, s14, exec_lo
.LBB522_294:
	s_or_b32 exec_lo, exec_lo, s11
	v_cndmask_b32_e64 v180, v177, v179, s10
	v_cndmask_b32_e64 v181, v242, v241, s10
	s_mov_b32 s14, -1
	s_mov_b32 s11, -1
	s_mov_b32 s15, exec_lo
	v_add_nc_u32_e32 v180, 1, v180
	v_add_nc_u32_e32 v181, -1, v181
	v_cndmask_b32_e64 v177, v180, v177, s10
	v_min_u32_e32 v181, v180, v181
	v_cndmask_b32_e64 v179, v179, v180, s10
	v_lshl_add_u32 v181, v181, 1, v102
	ds_read_u16 v181, v181
	s_waitcnt lgkmcnt(0)
	v_cndmask_b32_e64 v240, v181, v226, s10
	v_cndmask_b32_e64 v245, v244, v181, s10
	v_cmpx_lt_u32_e64 v177, v242
	s_cbranch_execz .LBB522_298
; %bb.295:
	s_mov_b32 s16, 0
	s_mov_b32 s11, exec_lo
	v_cmpx_lt_u32_e64 v179, v241
	s_cbranch_execz .LBB522_297
; %bb.296:
	v_mov_b32_e32 v180, 0x6667
	v_mul_i32_i24_sdwa v181, sext(v240), v180 dst_sel:DWORD dst_unused:UNUSED_PAD src0_sel:WORD_0 src1_sel:DWORD
	v_mul_i32_i24_sdwa v180, sext(v245), v180 dst_sel:DWORD dst_unused:UNUSED_PAD src0_sel:WORD_0 src1_sel:DWORD
	v_lshrrev_b32_e32 v182, 31, v181
	v_ashrrev_i32_e32 v181, 18, v181
	v_lshrrev_b32_e32 v183, 31, v180
	v_ashrrev_i32_e32 v180, 18, v180
	v_add_nc_u16 v181, v181, v182
	v_add_nc_u16 v180, v180, v183
	v_cmp_ge_i16_e32 vcc_lo, v181, v180
	s_and_b32 s16, vcc_lo, exec_lo
.LBB522_297:
	s_or_b32 exec_lo, exec_lo, s11
	s_orn2_b32 s11, s16, exec_lo
.LBB522_298:
	s_or_b32 exec_lo, exec_lo, s15
	v_cndmask_b32_e64 v180, v177, v179, s11
	v_cndmask_b32_e64 v181, v242, v241, s11
	s_mov_b32 s15, exec_lo
	v_add_nc_u32_e32 v180, 1, v180
	v_add_nc_u32_e32 v181, -1, v181
	v_cndmask_b32_e64 v177, v180, v177, s11
	v_min_u32_e32 v181, v180, v181
	v_cndmask_b32_e64 v179, v179, v180, s11
	v_lshl_add_u32 v181, v181, 1, v102
	ds_read_u16 v181, v181
	s_waitcnt lgkmcnt(0)
	v_cndmask_b32_e64 v225, v181, v240, s11
	v_cndmask_b32_e64 v246, v245, v181, s11
	v_cmpx_lt_u32_e64 v177, v242
	s_cbranch_execz .LBB522_302
; %bb.299:
	s_mov_b32 s16, 0
	s_mov_b32 s14, exec_lo
	v_cmpx_lt_u32_e64 v179, v241
	s_cbranch_execz .LBB522_301
; %bb.300:
	v_mov_b32_e32 v180, 0x6667
	v_mul_i32_i24_sdwa v181, sext(v225), v180 dst_sel:DWORD dst_unused:UNUSED_PAD src0_sel:WORD_0 src1_sel:DWORD
	v_mul_i32_i24_sdwa v180, sext(v246), v180 dst_sel:DWORD dst_unused:UNUSED_PAD src0_sel:WORD_0 src1_sel:DWORD
	v_lshrrev_b32_e32 v182, 31, v181
	v_ashrrev_i32_e32 v181, 18, v181
	v_lshrrev_b32_e32 v183, 31, v180
	v_ashrrev_i32_e32 v180, 18, v180
	v_add_nc_u16 v181, v181, v182
	v_add_nc_u16 v180, v180, v183
	v_cmp_ge_i16_e32 vcc_lo, v181, v180
	s_and_b32 s16, vcc_lo, exec_lo
.LBB522_301:
	s_or_b32 exec_lo, exec_lo, s14
	s_orn2_b32 s14, s16, exec_lo
.LBB522_302:
	s_or_b32 exec_lo, exec_lo, s15
	v_cndmask_b32_e64 v180, v177, v179, s14
	v_cndmask_b32_e64 v181, v242, v241, s14
	s_mov_b32 s16, -1
	s_mov_b32 s15, -1
	s_mov_b32 s17, exec_lo
	v_add_nc_u32_e32 v180, 1, v180
	v_add_nc_u32_e32 v181, -1, v181
	v_cndmask_b32_e64 v177, v180, v177, s14
	v_min_u32_e32 v181, v180, v181
	v_cndmask_b32_e64 v179, v179, v180, s14
	v_lshl_add_u32 v181, v181, 1, v102
	ds_read_u16 v181, v181
	s_waitcnt lgkmcnt(0)
	v_cndmask_b32_e64 v229, v181, v225, s14
	v_cndmask_b32_e64 v247, v246, v181, s14
	v_cmpx_lt_u32_e64 v177, v242
	s_cbranch_execz .LBB522_306
; %bb.303:
	s_mov_b32 s18, 0
	s_mov_b32 s15, exec_lo
	v_cmpx_lt_u32_e64 v179, v241
	s_cbranch_execz .LBB522_305
; %bb.304:
	v_mov_b32_e32 v180, 0x6667
	v_mul_i32_i24_sdwa v181, sext(v229), v180 dst_sel:DWORD dst_unused:UNUSED_PAD src0_sel:WORD_0 src1_sel:DWORD
	v_mul_i32_i24_sdwa v180, sext(v247), v180 dst_sel:DWORD dst_unused:UNUSED_PAD src0_sel:WORD_0 src1_sel:DWORD
	v_lshrrev_b32_e32 v182, 31, v181
	v_ashrrev_i32_e32 v181, 18, v181
	v_lshrrev_b32_e32 v183, 31, v180
	v_ashrrev_i32_e32 v180, 18, v180
	v_add_nc_u16 v181, v181, v182
	v_add_nc_u16 v180, v180, v183
	v_cmp_ge_i16_e32 vcc_lo, v181, v180
	s_and_b32 s18, vcc_lo, exec_lo
.LBB522_305:
	s_or_b32 exec_lo, exec_lo, s15
	s_orn2_b32 s15, s18, exec_lo
.LBB522_306:
	s_or_b32 exec_lo, exec_lo, s17
	v_cndmask_b32_e64 v180, v177, v179, s15
	v_cndmask_b32_e64 v181, v242, v241, s15
	s_mov_b32 s17, exec_lo
	v_add_nc_u32_e32 v180, 1, v180
	v_add_nc_u32_e32 v181, -1, v181
	v_cndmask_b32_e64 v177, v180, v177, s15
	v_min_u32_e32 v181, v180, v181
	v_cndmask_b32_e64 v179, v179, v180, s15
	v_lshl_add_u32 v181, v181, 1, v102
	ds_read_u16 v181, v181
	s_waitcnt lgkmcnt(0)
	v_cndmask_b32_e64 v224, v181, v229, s15
	v_cndmask_b32_e64 v40, v247, v181, s15
	v_cmpx_lt_u32_e64 v177, v242
	s_cbranch_execz .LBB522_310
; %bb.307:
	s_mov_b32 s18, 0
	s_mov_b32 s16, exec_lo
	v_cmpx_lt_u32_e64 v179, v241
	s_cbranch_execz .LBB522_309
; %bb.308:
	v_mov_b32_e32 v180, 0x6667
	v_mul_i32_i24_sdwa v181, sext(v224), v180 dst_sel:DWORD dst_unused:UNUSED_PAD src0_sel:WORD_0 src1_sel:DWORD
	v_mul_i32_i24_sdwa v180, sext(v40), v180 dst_sel:DWORD dst_unused:UNUSED_PAD src0_sel:WORD_0 src1_sel:DWORD
	v_lshrrev_b32_e32 v182, 31, v181
	v_ashrrev_i32_e32 v181, 18, v181
	v_lshrrev_b32_e32 v183, 31, v180
	v_ashrrev_i32_e32 v180, 18, v180
	v_add_nc_u16 v181, v181, v182
	v_add_nc_u16 v180, v180, v183
	v_cmp_ge_i16_e32 vcc_lo, v181, v180
	s_and_b32 s18, vcc_lo, exec_lo
.LBB522_309:
	s_or_b32 exec_lo, exec_lo, s16
	s_orn2_b32 s16, s18, exec_lo
.LBB522_310:
	s_or_b32 exec_lo, exec_lo, s17
	v_cndmask_b32_e64 v180, v177, v179, s16
	v_cndmask_b32_e64 v181, v242, v241, s16
	s_mov_b32 s18, -1
	s_mov_b32 s17, -1
	s_mov_b32 s19, exec_lo
	v_add_nc_u32_e32 v180, 1, v180
	v_add_nc_u32_e32 v181, -1, v181
	v_cndmask_b32_e64 v177, v180, v177, s16
	v_min_u32_e32 v181, v180, v181
	v_cndmask_b32_e64 v179, v179, v180, s16
	v_lshl_add_u32 v181, v181, 1, v102
	ds_read_u16 v181, v181
	s_waitcnt lgkmcnt(0)
	v_cndmask_b32_e64 v227, v181, v224, s16
	v_cndmask_b32_e64 v41, v40, v181, s16
	v_cmpx_lt_u32_e64 v177, v242
	s_cbranch_execz .LBB522_314
; %bb.311:
	s_mov_b32 s20, 0
	s_mov_b32 s17, exec_lo
	v_cmpx_lt_u32_e64 v179, v241
	s_cbranch_execz .LBB522_313
; %bb.312:
	v_mov_b32_e32 v180, 0x6667
	v_mul_i32_i24_sdwa v181, sext(v227), v180 dst_sel:DWORD dst_unused:UNUSED_PAD src0_sel:WORD_0 src1_sel:DWORD
	v_mul_i32_i24_sdwa v180, sext(v41), v180 dst_sel:DWORD dst_unused:UNUSED_PAD src0_sel:WORD_0 src1_sel:DWORD
	v_lshrrev_b32_e32 v182, 31, v181
	v_ashrrev_i32_e32 v181, 18, v181
	v_lshrrev_b32_e32 v183, 31, v180
	v_ashrrev_i32_e32 v180, 18, v180
	v_add_nc_u16 v181, v181, v182
	v_add_nc_u16 v180, v180, v183
	v_cmp_ge_i16_e32 vcc_lo, v181, v180
	s_and_b32 s20, vcc_lo, exec_lo
.LBB522_313:
	s_or_b32 exec_lo, exec_lo, s17
	s_orn2_b32 s17, s20, exec_lo
.LBB522_314:
	s_or_b32 exec_lo, exec_lo, s19
	v_cndmask_b32_e64 v180, v177, v179, s17
	v_cndmask_b32_e64 v181, v242, v241, s17
	s_mov_b32 s19, exec_lo
	v_add_nc_u32_e32 v180, 1, v180
	v_add_nc_u32_e32 v181, -1, v181
	v_cndmask_b32_e64 v177, v180, v177, s17
	v_min_u32_e32 v181, v180, v181
	v_cndmask_b32_e64 v179, v179, v180, s17
	v_lshl_add_u32 v181, v181, 1, v102
	ds_read_u16 v181, v181
	s_waitcnt lgkmcnt(0)
	v_cndmask_b32_e64 v212, v181, v227, s17
	v_cndmask_b32_e64 v42, v41, v181, s17
	v_cmpx_lt_u32_e64 v177, v242
	s_cbranch_execz .LBB522_318
; %bb.315:
	s_mov_b32 s20, 0
	s_mov_b32 s18, exec_lo
	v_cmpx_lt_u32_e64 v179, v241
	s_cbranch_execz .LBB522_317
; %bb.316:
	v_mov_b32_e32 v180, 0x6667
	v_mul_i32_i24_sdwa v181, sext(v212), v180 dst_sel:DWORD dst_unused:UNUSED_PAD src0_sel:WORD_0 src1_sel:DWORD
	v_mul_i32_i24_sdwa v180, sext(v42), v180 dst_sel:DWORD dst_unused:UNUSED_PAD src0_sel:WORD_0 src1_sel:DWORD
	v_lshrrev_b32_e32 v182, 31, v181
	v_ashrrev_i32_e32 v181, 18, v181
	v_lshrrev_b32_e32 v183, 31, v180
	v_ashrrev_i32_e32 v180, 18, v180
	v_add_nc_u16 v181, v181, v182
	v_add_nc_u16 v180, v180, v183
	v_cmp_ge_i16_e32 vcc_lo, v181, v180
	s_and_b32 s20, vcc_lo, exec_lo
.LBB522_317:
	s_or_b32 exec_lo, exec_lo, s18
	s_orn2_b32 s18, s20, exec_lo
.LBB522_318:
	s_or_b32 exec_lo, exec_lo, s19
	v_cndmask_b32_e64 v180, v177, v179, s18
	v_cndmask_b32_e64 v181, v242, v241, s18
	s_mov_b32 s20, -1
	s_mov_b32 s19, -1
	s_mov_b32 s21, exec_lo
	v_add_nc_u32_e32 v180, 1, v180
	v_add_nc_u32_e32 v181, -1, v181
	v_cndmask_b32_e64 v177, v180, v177, s18
	v_min_u32_e32 v181, v180, v181
	v_cndmask_b32_e64 v179, v179, v180, s18
	v_lshl_add_u32 v181, v181, 1, v102
	ds_read_u16 v181, v181
	s_waitcnt lgkmcnt(0)
	v_cndmask_b32_e64 v228, v181, v212, s18
	v_cndmask_b32_e64 v43, v42, v181, s18
	v_cmpx_lt_u32_e64 v177, v242
	s_cbranch_execz .LBB522_322
; %bb.319:
	s_mov_b32 s22, 0
	s_mov_b32 s19, exec_lo
	v_cmpx_lt_u32_e64 v179, v241
	s_cbranch_execz .LBB522_321
; %bb.320:
	v_mov_b32_e32 v180, 0x6667
	v_mul_i32_i24_sdwa v181, sext(v228), v180 dst_sel:DWORD dst_unused:UNUSED_PAD src0_sel:WORD_0 src1_sel:DWORD
	v_mul_i32_i24_sdwa v180, sext(v43), v180 dst_sel:DWORD dst_unused:UNUSED_PAD src0_sel:WORD_0 src1_sel:DWORD
	v_lshrrev_b32_e32 v182, 31, v181
	v_ashrrev_i32_e32 v181, 18, v181
	v_lshrrev_b32_e32 v183, 31, v180
	v_ashrrev_i32_e32 v180, 18, v180
	v_add_nc_u16 v181, v181, v182
	v_add_nc_u16 v180, v180, v183
	v_cmp_ge_i16_e32 vcc_lo, v181, v180
	s_and_b32 s22, vcc_lo, exec_lo
.LBB522_321:
	s_or_b32 exec_lo, exec_lo, s19
	s_orn2_b32 s19, s22, exec_lo
.LBB522_322:
	s_or_b32 exec_lo, exec_lo, s21
	v_cndmask_b32_e64 v180, v177, v179, s19
	v_cndmask_b32_e64 v181, v242, v241, s19
	s_mov_b32 s21, exec_lo
	v_add_nc_u32_e32 v180, 1, v180
	v_add_nc_u32_e32 v181, -1, v181
	v_cndmask_b32_e64 v177, v180, v177, s19
	v_min_u32_e32 v181, v180, v181
	v_cndmask_b32_e64 v179, v179, v180, s19
	v_lshl_add_u32 v181, v181, 1, v102
	ds_read_u16 v181, v181
	s_waitcnt lgkmcnt(0)
	v_cndmask_b32_e64 v211, v181, v228, s19
	v_cndmask_b32_e64 v44, v43, v181, s19
	v_cmpx_lt_u32_e64 v177, v242
	s_cbranch_execz .LBB522_326
; %bb.323:
	s_mov_b32 s22, 0
	s_mov_b32 s20, exec_lo
	v_cmpx_lt_u32_e64 v179, v241
	s_cbranch_execz .LBB522_325
; %bb.324:
	v_mov_b32_e32 v180, 0x6667
	v_mul_i32_i24_sdwa v181, sext(v211), v180 dst_sel:DWORD dst_unused:UNUSED_PAD src0_sel:WORD_0 src1_sel:DWORD
	v_mul_i32_i24_sdwa v180, sext(v44), v180 dst_sel:DWORD dst_unused:UNUSED_PAD src0_sel:WORD_0 src1_sel:DWORD
	v_lshrrev_b32_e32 v182, 31, v181
	v_ashrrev_i32_e32 v181, 18, v181
	v_lshrrev_b32_e32 v183, 31, v180
	v_ashrrev_i32_e32 v180, 18, v180
	v_add_nc_u16 v181, v181, v182
	v_add_nc_u16 v180, v180, v183
	v_cmp_ge_i16_e32 vcc_lo, v181, v180
	s_and_b32 s22, vcc_lo, exec_lo
.LBB522_325:
	s_or_b32 exec_lo, exec_lo, s20
	s_orn2_b32 s20, s22, exec_lo
.LBB522_326:
	s_or_b32 exec_lo, exec_lo, s21
	v_cndmask_b32_e64 v180, v177, v179, s20
	v_cndmask_b32_e64 v181, v242, v241, s20
	s_mov_b32 s22, -1
	s_mov_b32 s21, -1
	s_mov_b32 s23, exec_lo
	v_add_nc_u32_e32 v180, 1, v180
	v_add_nc_u32_e32 v181, -1, v181
	v_cndmask_b32_e64 v177, v180, v177, s20
	v_min_u32_e32 v181, v180, v181
	v_cndmask_b32_e64 v179, v179, v180, s20
	v_lshl_add_u32 v181, v181, 1, v102
	ds_read_u16 v181, v181
	s_waitcnt lgkmcnt(0)
	v_cndmask_b32_e64 v215, v181, v211, s20
	v_cndmask_b32_e64 v45, v44, v181, s20
	v_cmpx_lt_u32_e64 v177, v242
	s_cbranch_execz .LBB522_330
; %bb.327:
	s_mov_b32 s24, 0
	s_mov_b32 s21, exec_lo
	v_cmpx_lt_u32_e64 v179, v241
	s_cbranch_execz .LBB522_329
; %bb.328:
	v_mov_b32_e32 v180, 0x6667
	v_mul_i32_i24_sdwa v181, sext(v215), v180 dst_sel:DWORD dst_unused:UNUSED_PAD src0_sel:WORD_0 src1_sel:DWORD
	v_mul_i32_i24_sdwa v180, sext(v45), v180 dst_sel:DWORD dst_unused:UNUSED_PAD src0_sel:WORD_0 src1_sel:DWORD
	v_lshrrev_b32_e32 v182, 31, v181
	v_ashrrev_i32_e32 v181, 18, v181
	v_lshrrev_b32_e32 v183, 31, v180
	v_ashrrev_i32_e32 v180, 18, v180
	v_add_nc_u16 v181, v181, v182
	v_add_nc_u16 v180, v180, v183
	v_cmp_ge_i16_e32 vcc_lo, v181, v180
	s_and_b32 s24, vcc_lo, exec_lo
.LBB522_329:
	s_or_b32 exec_lo, exec_lo, s21
	s_orn2_b32 s21, s24, exec_lo
.LBB522_330:
	s_or_b32 exec_lo, exec_lo, s23
	v_cndmask_b32_e64 v180, v177, v179, s21
	v_cndmask_b32_e64 v181, v242, v241, s21
	s_mov_b32 s23, exec_lo
	v_add_nc_u32_e32 v180, 1, v180
	v_add_nc_u32_e32 v181, -1, v181
	v_cndmask_b32_e64 v177, v180, v177, s21
	v_min_u32_e32 v181, v180, v181
	v_cndmask_b32_e64 v179, v179, v180, s21
	v_lshl_add_u32 v181, v181, 1, v102
	ds_read_u16 v181, v181
	s_waitcnt lgkmcnt(0)
	v_cndmask_b32_e64 v210, v181, v215, s21
	v_cndmask_b32_e64 v46, v45, v181, s21
	v_cmpx_lt_u32_e64 v177, v242
	s_cbranch_execz .LBB522_334
; %bb.331:
	s_mov_b32 s24, 0
	s_mov_b32 s22, exec_lo
	v_cmpx_lt_u32_e64 v179, v241
	s_cbranch_execz .LBB522_333
; %bb.332:
	v_mov_b32_e32 v180, 0x6667
	v_mul_i32_i24_sdwa v181, sext(v210), v180 dst_sel:DWORD dst_unused:UNUSED_PAD src0_sel:WORD_0 src1_sel:DWORD
	v_mul_i32_i24_sdwa v180, sext(v46), v180 dst_sel:DWORD dst_unused:UNUSED_PAD src0_sel:WORD_0 src1_sel:DWORD
	v_lshrrev_b32_e32 v182, 31, v181
	v_ashrrev_i32_e32 v181, 18, v181
	v_lshrrev_b32_e32 v183, 31, v180
	v_ashrrev_i32_e32 v180, 18, v180
	v_add_nc_u16 v181, v181, v182
	v_add_nc_u16 v180, v180, v183
	v_cmp_ge_i16_e32 vcc_lo, v181, v180
	s_and_b32 s24, vcc_lo, exec_lo
.LBB522_333:
	s_or_b32 exec_lo, exec_lo, s22
	s_orn2_b32 s22, s24, exec_lo
.LBB522_334:
	s_or_b32 exec_lo, exec_lo, s23
	v_cndmask_b32_e64 v180, v177, v179, s22
	v_cndmask_b32_e64 v181, v242, v241, s22
	s_mov_b32 s24, -1
	s_mov_b32 s23, -1
	s_mov_b32 s25, exec_lo
	v_add_nc_u32_e32 v180, 1, v180
	v_add_nc_u32_e32 v181, -1, v181
	v_cndmask_b32_e64 v177, v180, v177, s22
	v_min_u32_e32 v181, v180, v181
	v_cndmask_b32_e64 v179, v179, v180, s22
	v_lshl_add_u32 v181, v181, 1, v102
	ds_read_u16 v181, v181
	s_waitcnt lgkmcnt(0)
	v_cndmask_b32_e64 v213, v181, v210, s22
	v_cndmask_b32_e64 v47, v46, v181, s22
	v_cmpx_lt_u32_e64 v177, v242
	s_cbranch_execz .LBB522_338
; %bb.335:
	s_mov_b32 s26, 0
	s_mov_b32 s23, exec_lo
	v_cmpx_lt_u32_e64 v179, v241
	s_cbranch_execz .LBB522_337
; %bb.336:
	v_mov_b32_e32 v180, 0x6667
	v_mul_i32_i24_sdwa v181, sext(v213), v180 dst_sel:DWORD dst_unused:UNUSED_PAD src0_sel:WORD_0 src1_sel:DWORD
	v_mul_i32_i24_sdwa v180, sext(v47), v180 dst_sel:DWORD dst_unused:UNUSED_PAD src0_sel:WORD_0 src1_sel:DWORD
	v_lshrrev_b32_e32 v182, 31, v181
	v_ashrrev_i32_e32 v181, 18, v181
	v_lshrrev_b32_e32 v183, 31, v180
	v_ashrrev_i32_e32 v180, 18, v180
	v_add_nc_u16 v181, v181, v182
	v_add_nc_u16 v180, v180, v183
	v_cmp_ge_i16_e32 vcc_lo, v181, v180
	s_and_b32 s26, vcc_lo, exec_lo
.LBB522_337:
	s_or_b32 exec_lo, exec_lo, s23
	s_orn2_b32 s23, s26, exec_lo
.LBB522_338:
	s_or_b32 exec_lo, exec_lo, s25
	v_cndmask_b32_e64 v180, v177, v179, s23
	v_cndmask_b32_e64 v181, v242, v241, s23
	s_mov_b32 s25, exec_lo
	v_add_nc_u32_e32 v180, 1, v180
	v_add_nc_u32_e32 v181, -1, v181
	v_cndmask_b32_e64 v177, v180, v177, s23
	v_min_u32_e32 v181, v180, v181
	v_cndmask_b32_e64 v179, v179, v180, s23
	v_lshl_add_u32 v181, v181, 1, v102
	ds_read_u16 v181, v181
	s_waitcnt lgkmcnt(0)
	v_cndmask_b32_e64 v198, v181, v213, s23
	v_cndmask_b32_e64 v56, v47, v181, s23
	v_cmpx_lt_u32_e64 v177, v242
	s_cbranch_execz .LBB522_342
; %bb.339:
	s_mov_b32 s26, 0
	s_mov_b32 s24, exec_lo
	v_cmpx_lt_u32_e64 v179, v241
	s_cbranch_execz .LBB522_341
; %bb.340:
	v_mov_b32_e32 v180, 0x6667
	v_mul_i32_i24_sdwa v181, sext(v198), v180 dst_sel:DWORD dst_unused:UNUSED_PAD src0_sel:WORD_0 src1_sel:DWORD
	v_mul_i32_i24_sdwa v180, sext(v56), v180 dst_sel:DWORD dst_unused:UNUSED_PAD src0_sel:WORD_0 src1_sel:DWORD
	v_lshrrev_b32_e32 v182, 31, v181
	v_ashrrev_i32_e32 v181, 18, v181
	v_lshrrev_b32_e32 v183, 31, v180
	v_ashrrev_i32_e32 v180, 18, v180
	v_add_nc_u16 v181, v181, v182
	v_add_nc_u16 v180, v180, v183
	v_cmp_ge_i16_e32 vcc_lo, v181, v180
	s_and_b32 s26, vcc_lo, exec_lo
.LBB522_341:
	s_or_b32 exec_lo, exec_lo, s24
	s_orn2_b32 s24, s26, exec_lo
.LBB522_342:
	s_or_b32 exec_lo, exec_lo, s25
	v_cndmask_b32_e64 v180, v177, v179, s24
	v_cndmask_b32_e64 v181, v242, v241, s24
	s_mov_b32 s26, -1
	s_mov_b32 s25, -1
	s_mov_b32 s27, exec_lo
	v_add_nc_u32_e32 v180, 1, v180
	v_add_nc_u32_e32 v181, -1, v181
	v_cndmask_b32_e64 v177, v180, v177, s24
	v_min_u32_e32 v181, v180, v181
	v_cndmask_b32_e64 v179, v179, v180, s24
	v_lshl_add_u32 v181, v181, 1, v102
	ds_read_u16 v181, v181
	s_waitcnt lgkmcnt(0)
	v_cndmask_b32_e64 v214, v181, v198, s24
	v_cndmask_b32_e64 v57, v56, v181, s24
	v_cmpx_lt_u32_e64 v177, v242
	s_cbranch_execz .LBB522_346
; %bb.343:
	s_mov_b32 s28, 0
	s_mov_b32 s25, exec_lo
	v_cmpx_lt_u32_e64 v179, v241
	s_cbranch_execz .LBB522_345
; %bb.344:
	v_mov_b32_e32 v180, 0x6667
	v_mul_i32_i24_sdwa v181, sext(v214), v180 dst_sel:DWORD dst_unused:UNUSED_PAD src0_sel:WORD_0 src1_sel:DWORD
	v_mul_i32_i24_sdwa v180, sext(v57), v180 dst_sel:DWORD dst_unused:UNUSED_PAD src0_sel:WORD_0 src1_sel:DWORD
	v_lshrrev_b32_e32 v182, 31, v181
	v_ashrrev_i32_e32 v181, 18, v181
	v_lshrrev_b32_e32 v183, 31, v180
	v_ashrrev_i32_e32 v180, 18, v180
	v_add_nc_u16 v181, v181, v182
	v_add_nc_u16 v180, v180, v183
	v_cmp_ge_i16_e32 vcc_lo, v181, v180
	s_and_b32 s28, vcc_lo, exec_lo
.LBB522_345:
	s_or_b32 exec_lo, exec_lo, s25
	s_orn2_b32 s25, s28, exec_lo
.LBB522_346:
	s_or_b32 exec_lo, exec_lo, s27
	v_cndmask_b32_e64 v180, v177, v179, s25
	v_cndmask_b32_e64 v181, v242, v241, s25
	s_mov_b32 s27, exec_lo
	v_add_nc_u32_e32 v180, 1, v180
	v_add_nc_u32_e32 v181, -1, v181
	v_cndmask_b32_e64 v177, v180, v177, s25
	v_min_u32_e32 v181, v180, v181
	v_cndmask_b32_e64 v179, v179, v180, s25
	v_lshl_add_u32 v181, v181, 1, v102
	ds_read_u16 v181, v181
	s_waitcnt lgkmcnt(0)
	v_cndmask_b32_e64 v197, v181, v214, s25
	v_cndmask_b32_e64 v58, v57, v181, s25
	v_cmpx_lt_u32_e64 v177, v242
	s_cbranch_execz .LBB522_350
; %bb.347:
	s_mov_b32 s28, 0
	s_mov_b32 s26, exec_lo
	v_cmpx_lt_u32_e64 v179, v241
	s_cbranch_execz .LBB522_349
; %bb.348:
	v_mov_b32_e32 v180, 0x6667
	v_mul_i32_i24_sdwa v181, sext(v197), v180 dst_sel:DWORD dst_unused:UNUSED_PAD src0_sel:WORD_0 src1_sel:DWORD
	v_mul_i32_i24_sdwa v180, sext(v58), v180 dst_sel:DWORD dst_unused:UNUSED_PAD src0_sel:WORD_0 src1_sel:DWORD
	v_lshrrev_b32_e32 v182, 31, v181
	v_ashrrev_i32_e32 v181, 18, v181
	v_lshrrev_b32_e32 v183, 31, v180
	v_ashrrev_i32_e32 v180, 18, v180
	v_add_nc_u16 v181, v181, v182
	v_add_nc_u16 v180, v180, v183
	v_cmp_ge_i16_e32 vcc_lo, v181, v180
	s_and_b32 s28, vcc_lo, exec_lo
.LBB522_349:
	s_or_b32 exec_lo, exec_lo, s26
	s_orn2_b32 s26, s28, exec_lo
.LBB522_350:
	s_or_b32 exec_lo, exec_lo, s27
	v_cndmask_b32_e64 v180, v177, v179, s26
	v_cndmask_b32_e64 v181, v242, v241, s26
	s_mov_b32 s28, -1
	s_mov_b32 s27, -1
	s_mov_b32 s29, exec_lo
	v_add_nc_u32_e32 v180, 1, v180
	v_add_nc_u32_e32 v181, -1, v181
	v_cndmask_b32_e64 v177, v180, v177, s26
	v_min_u32_e32 v181, v180, v181
	v_cndmask_b32_e64 v179, v179, v180, s26
	v_lshl_add_u32 v181, v181, 1, v102
	ds_read_u16 v181, v181
	s_waitcnt lgkmcnt(0)
	v_cndmask_b32_e64 v209, v181, v197, s26
	v_cndmask_b32_e64 v59, v58, v181, s26
	v_cmpx_lt_u32_e64 v177, v242
	s_cbranch_execz .LBB522_354
; %bb.351:
	s_mov_b32 s40, 0
	s_mov_b32 s27, exec_lo
	v_cmpx_lt_u32_e64 v179, v241
	s_cbranch_execz .LBB522_353
; %bb.352:
	v_mov_b32_e32 v180, 0x6667
	v_mul_i32_i24_sdwa v181, sext(v209), v180 dst_sel:DWORD dst_unused:UNUSED_PAD src0_sel:WORD_0 src1_sel:DWORD
	v_mul_i32_i24_sdwa v180, sext(v59), v180 dst_sel:DWORD dst_unused:UNUSED_PAD src0_sel:WORD_0 src1_sel:DWORD
	v_lshrrev_b32_e32 v182, 31, v181
	v_ashrrev_i32_e32 v181, 18, v181
	v_lshrrev_b32_e32 v183, 31, v180
	v_ashrrev_i32_e32 v180, 18, v180
	v_add_nc_u16 v181, v181, v182
	v_add_nc_u16 v180, v180, v183
	v_cmp_ge_i16_e32 vcc_lo, v181, v180
	s_and_b32 s40, vcc_lo, exec_lo
.LBB522_353:
	s_or_b32 exec_lo, exec_lo, s27
	s_orn2_b32 s27, s40, exec_lo
.LBB522_354:
	s_or_b32 exec_lo, exec_lo, s29
	v_cndmask_b32_e64 v180, v177, v179, s27
	v_cndmask_b32_e64 v181, v242, v241, s27
	s_mov_b32 s29, exec_lo
	v_add_nc_u32_e32 v180, 1, v180
	v_add_nc_u32_e32 v181, -1, v181
	v_cndmask_b32_e64 v177, v180, v177, s27
	v_min_u32_e32 v181, v180, v181
	v_cndmask_b32_e64 v179, v179, v180, s27
	v_lshl_add_u32 v181, v181, 1, v102
	ds_read_u16 v181, v181
	s_waitcnt lgkmcnt(0)
	v_cndmask_b32_e64 v194, v181, v209, s27
	v_cndmask_b32_e64 v60, v59, v181, s27
	v_cmpx_lt_u32_e64 v177, v242
	s_cbranch_execz .LBB522_358
; %bb.355:
	s_mov_b32 s40, 0
	s_mov_b32 s28, exec_lo
	v_cmpx_lt_u32_e64 v179, v241
	s_cbranch_execz .LBB522_357
; %bb.356:
	v_mov_b32_e32 v180, 0x6667
	v_mul_i32_i24_sdwa v181, sext(v194), v180 dst_sel:DWORD dst_unused:UNUSED_PAD src0_sel:WORD_0 src1_sel:DWORD
	v_mul_i32_i24_sdwa v180, sext(v60), v180 dst_sel:DWORD dst_unused:UNUSED_PAD src0_sel:WORD_0 src1_sel:DWORD
	v_lshrrev_b32_e32 v182, 31, v181
	v_ashrrev_i32_e32 v181, 18, v181
	v_lshrrev_b32_e32 v183, 31, v180
	v_ashrrev_i32_e32 v180, 18, v180
	v_add_nc_u16 v181, v181, v182
	v_add_nc_u16 v180, v180, v183
	v_cmp_ge_i16_e32 vcc_lo, v181, v180
	s_and_b32 s40, vcc_lo, exec_lo
.LBB522_357:
	s_or_b32 exec_lo, exec_lo, s28
	s_orn2_b32 s28, s40, exec_lo
.LBB522_358:
	s_or_b32 exec_lo, exec_lo, s29
	v_cndmask_b32_e64 v180, v177, v179, s28
	v_cndmask_b32_e64 v181, v242, v241, s28
	s_mov_b32 s40, -1
	s_mov_b32 s29, -1
	s_mov_b32 s41, exec_lo
	v_add_nc_u32_e32 v180, 1, v180
	v_add_nc_u32_e32 v181, -1, v181
	v_cndmask_b32_e64 v177, v180, v177, s28
	v_min_u32_e32 v181, v180, v181
	v_cndmask_b32_e64 v179, v179, v180, s28
	v_lshl_add_u32 v181, v181, 1, v102
	ds_read_u16 v181, v181
	s_waitcnt lgkmcnt(0)
	v_cndmask_b32_e64 v199, v181, v194, s28
	v_cndmask_b32_e64 v61, v60, v181, s28
	v_cmpx_lt_u32_e64 v177, v242
	s_cbranch_execz .LBB522_362
; %bb.359:
	s_mov_b32 s42, 0
	s_mov_b32 s29, exec_lo
	v_cmpx_lt_u32_e64 v179, v241
	s_cbranch_execz .LBB522_361
; %bb.360:
	v_mov_b32_e32 v180, 0x6667
	v_mul_i32_i24_sdwa v181, sext(v199), v180 dst_sel:DWORD dst_unused:UNUSED_PAD src0_sel:WORD_0 src1_sel:DWORD
	v_mul_i32_i24_sdwa v180, sext(v61), v180 dst_sel:DWORD dst_unused:UNUSED_PAD src0_sel:WORD_0 src1_sel:DWORD
	v_lshrrev_b32_e32 v182, 31, v181
	v_ashrrev_i32_e32 v181, 18, v181
	v_lshrrev_b32_e32 v183, 31, v180
	v_ashrrev_i32_e32 v180, 18, v180
	v_add_nc_u16 v181, v181, v182
	v_add_nc_u16 v180, v180, v183
	v_cmp_ge_i16_e32 vcc_lo, v181, v180
	s_and_b32 s42, vcc_lo, exec_lo
.LBB522_361:
	s_or_b32 exec_lo, exec_lo, s29
	s_orn2_b32 s29, s42, exec_lo
.LBB522_362:
	s_or_b32 exec_lo, exec_lo, s41
	v_cndmask_b32_e64 v180, v177, v179, s29
	v_cndmask_b32_e64 v181, v242, v241, s29
	s_mov_b32 s41, exec_lo
	v_add_nc_u32_e32 v180, 1, v180
	v_add_nc_u32_e32 v181, -1, v181
	v_cndmask_b32_e64 v177, v180, v177, s29
	v_min_u32_e32 v181, v180, v181
	v_cndmask_b32_e64 v179, v179, v180, s29
	v_lshl_add_u32 v181, v181, 1, v102
	ds_read_u16 v181, v181
	s_waitcnt lgkmcnt(0)
	v_cndmask_b32_e64 v193, v181, v199, s29
	v_cndmask_b32_e64 v62, v61, v181, s29
	v_cmpx_lt_u32_e64 v177, v242
	s_cbranch_execz .LBB522_366
; %bb.363:
	s_mov_b32 s42, 0
	s_mov_b32 s40, exec_lo
	v_cmpx_lt_u32_e64 v179, v241
	s_cbranch_execz .LBB522_365
; %bb.364:
	v_mov_b32_e32 v180, 0x6667
	v_mul_i32_i24_sdwa v181, sext(v193), v180 dst_sel:DWORD dst_unused:UNUSED_PAD src0_sel:WORD_0 src1_sel:DWORD
	v_mul_i32_i24_sdwa v180, sext(v62), v180 dst_sel:DWORD dst_unused:UNUSED_PAD src0_sel:WORD_0 src1_sel:DWORD
	v_lshrrev_b32_e32 v182, 31, v181
	v_ashrrev_i32_e32 v181, 18, v181
	v_lshrrev_b32_e32 v183, 31, v180
	v_ashrrev_i32_e32 v180, 18, v180
	v_add_nc_u16 v181, v181, v182
	v_add_nc_u16 v180, v180, v183
	v_cmp_ge_i16_e32 vcc_lo, v181, v180
	s_and_b32 s42, vcc_lo, exec_lo
.LBB522_365:
	s_or_b32 exec_lo, exec_lo, s40
	s_orn2_b32 s40, s42, exec_lo
.LBB522_366:
	s_or_b32 exec_lo, exec_lo, s41
	v_cndmask_b32_e64 v180, v177, v179, s40
	v_cndmask_b32_e64 v181, v242, v241, s40
	s_mov_b32 s42, -1
	s_mov_b32 s41, -1
	s_mov_b32 s43, exec_lo
	v_add_nc_u32_e32 v180, 1, v180
	v_add_nc_u32_e32 v181, -1, v181
	v_cndmask_b32_e64 v177, v180, v177, s40
	v_min_u32_e32 v181, v180, v181
	v_cndmask_b32_e64 v179, v179, v180, s40
	v_lshl_add_u32 v181, v181, 1, v102
	ds_read_u16 v181, v181
	s_waitcnt lgkmcnt(0)
	v_cndmask_b32_e64 v196, v181, v193, s40
	v_cndmask_b32_e64 v63, v62, v181, s40
	v_cmpx_lt_u32_e64 v177, v242
	s_cbranch_execz .LBB522_370
; %bb.367:
	s_mov_b32 s44, 0
	s_mov_b32 s41, exec_lo
	v_cmpx_lt_u32_e64 v179, v241
	s_cbranch_execz .LBB522_369
; %bb.368:
	v_mov_b32_e32 v180, 0x6667
	v_mul_i32_i24_sdwa v181, sext(v196), v180 dst_sel:DWORD dst_unused:UNUSED_PAD src0_sel:WORD_0 src1_sel:DWORD
	v_mul_i32_i24_sdwa v180, sext(v63), v180 dst_sel:DWORD dst_unused:UNUSED_PAD src0_sel:WORD_0 src1_sel:DWORD
	v_lshrrev_b32_e32 v182, 31, v181
	v_ashrrev_i32_e32 v181, 18, v181
	v_lshrrev_b32_e32 v183, 31, v180
	v_ashrrev_i32_e32 v180, 18, v180
	v_add_nc_u16 v181, v181, v182
	v_add_nc_u16 v180, v180, v183
	v_cmp_ge_i16_e32 vcc_lo, v181, v180
	s_and_b32 s44, vcc_lo, exec_lo
.LBB522_369:
	s_or_b32 exec_lo, exec_lo, s41
	s_orn2_b32 s41, s44, exec_lo
.LBB522_370:
	s_or_b32 exec_lo, exec_lo, s43
	v_cndmask_b32_e64 v180, v177, v179, s41
	v_cndmask_b32_e64 v181, v242, v241, s41
	s_mov_b32 s43, exec_lo
	v_add_nc_u32_e32 v180, 1, v180
	v_add_nc_u32_e32 v181, -1, v181
	v_cndmask_b32_e64 v177, v180, v177, s41
	v_min_u32_e32 v181, v180, v181
	v_cndmask_b32_e64 v179, v179, v180, s41
	v_lshl_add_u32 v181, v181, 1, v102
	ds_read_u16 v181, v181
	s_waitcnt lgkmcnt(0)
	v_cndmask_b32_e64 v182, v181, v196, s41
	v_cndmask_b32_e64 v72, v63, v181, s41
	v_cmpx_lt_u32_e64 v177, v242
	s_cbranch_execz .LBB522_374
; %bb.371:
	s_mov_b32 s44, 0
	s_mov_b32 s42, exec_lo
	v_cmpx_lt_u32_e64 v179, v241
	s_cbranch_execz .LBB522_373
; %bb.372:
	v_mov_b32_e32 v180, 0x6667
	v_mul_i32_i24_sdwa v181, sext(v182), v180 dst_sel:DWORD dst_unused:UNUSED_PAD src0_sel:WORD_0 src1_sel:DWORD
	v_mul_i32_i24_sdwa v180, sext(v72), v180 dst_sel:DWORD dst_unused:UNUSED_PAD src0_sel:WORD_0 src1_sel:DWORD
	v_lshrrev_b32_e32 v183, 31, v181
	v_ashrrev_i32_e32 v181, 18, v181
	v_lshrrev_b32_e32 v192, 31, v180
	v_ashrrev_i32_e32 v180, 18, v180
	v_add_nc_u16 v181, v181, v183
	v_add_nc_u16 v180, v180, v192
	v_cmp_ge_i16_e32 vcc_lo, v181, v180
	s_and_b32 s44, vcc_lo, exec_lo
.LBB522_373:
	s_or_b32 exec_lo, exec_lo, s42
	s_orn2_b32 s42, s44, exec_lo
.LBB522_374:
	s_or_b32 exec_lo, exec_lo, s43
	v_cndmask_b32_e64 v180, v177, v179, s42
	v_cndmask_b32_e64 v181, v242, v241, s42
	s_mov_b32 s44, -1
	s_mov_b32 s43, -1
	s_mov_b32 s45, exec_lo
	v_add_nc_u32_e32 v180, 1, v180
	v_add_nc_u32_e32 v181, -1, v181
	v_cndmask_b32_e64 v177, v180, v177, s42
	v_min_u32_e32 v181, v180, v181
	v_cndmask_b32_e64 v179, v179, v180, s42
	v_lshl_add_u32 v181, v181, 1, v102
	ds_read_u16 v181, v181
	s_waitcnt lgkmcnt(0)
	v_cndmask_b32_e64 v208, v181, v182, s42
	v_cndmask_b32_e64 v73, v72, v181, s42
	v_cmpx_lt_u32_e64 v177, v242
	s_cbranch_execz .LBB522_378
; %bb.375:
	s_mov_b32 s46, 0
	s_mov_b32 s43, exec_lo
	v_cmpx_lt_u32_e64 v179, v241
	s_cbranch_execz .LBB522_377
; %bb.376:
	v_mov_b32_e32 v180, 0x6667
	v_mul_i32_i24_sdwa v181, sext(v208), v180 dst_sel:DWORD dst_unused:UNUSED_PAD src0_sel:WORD_0 src1_sel:DWORD
	v_mul_i32_i24_sdwa v180, sext(v73), v180 dst_sel:DWORD dst_unused:UNUSED_PAD src0_sel:WORD_0 src1_sel:DWORD
	v_lshrrev_b32_e32 v183, 31, v181
	v_ashrrev_i32_e32 v181, 18, v181
	v_lshrrev_b32_e32 v192, 31, v180
	v_ashrrev_i32_e32 v180, 18, v180
	v_add_nc_u16 v181, v181, v183
	v_add_nc_u16 v180, v180, v192
	v_cmp_ge_i16_e32 vcc_lo, v181, v180
	s_and_b32 s46, vcc_lo, exec_lo
.LBB522_377:
	s_or_b32 exec_lo, exec_lo, s43
	s_orn2_b32 s43, s46, exec_lo
.LBB522_378:
	s_or_b32 exec_lo, exec_lo, s45
	v_cndmask_b32_e64 v180, v177, v179, s43
	v_cndmask_b32_e64 v181, v242, v241, s43
	s_mov_b32 s45, exec_lo
	v_add_nc_u32_e32 v180, 1, v180
	v_add_nc_u32_e32 v181, -1, v181
	v_cndmask_b32_e64 v177, v180, v177, s43
	v_min_u32_e32 v181, v180, v181
	v_cndmask_b32_e64 v179, v179, v180, s43
	v_lshl_add_u32 v181, v181, 1, v102
	ds_read_u16 v183, v181
	s_waitcnt lgkmcnt(0)
	v_cndmask_b32_e64 v181, v183, v208, s43
	v_cndmask_b32_e64 v74, v73, v183, s43
	v_cmpx_lt_u32_e64 v177, v242
	s_cbranch_execz .LBB522_382
; %bb.379:
	s_mov_b32 s46, 0
	s_mov_b32 s44, exec_lo
	v_cmpx_lt_u32_e64 v179, v241
	s_cbranch_execz .LBB522_381
; %bb.380:
	v_mov_b32_e32 v180, 0x6667
	v_mul_i32_i24_sdwa v183, sext(v181), v180 dst_sel:DWORD dst_unused:UNUSED_PAD src0_sel:WORD_0 src1_sel:DWORD
	v_mul_i32_i24_sdwa v180, sext(v74), v180 dst_sel:DWORD dst_unused:UNUSED_PAD src0_sel:WORD_0 src1_sel:DWORD
	v_lshrrev_b32_e32 v192, 31, v183
	v_ashrrev_i32_e32 v183, 18, v183
	v_lshrrev_b32_e32 v195, 31, v180
	v_ashrrev_i32_e32 v180, 18, v180
	v_add_nc_u16 v183, v183, v192
	v_add_nc_u16 v180, v180, v195
	v_cmp_ge_i16_e32 vcc_lo, v183, v180
	s_and_b32 s46, vcc_lo, exec_lo
.LBB522_381:
	s_or_b32 exec_lo, exec_lo, s44
	s_orn2_b32 s44, s46, exec_lo
.LBB522_382:
	s_or_b32 exec_lo, exec_lo, s45
	v_cndmask_b32_e64 v180, v177, v179, s44
	v_cndmask_b32_e64 v183, v242, v241, s44
	s_mov_b32 s46, -1
	s_mov_b32 s45, -1
	s_mov_b32 s47, exec_lo
	v_add_nc_u32_e32 v180, 1, v180
	v_add_nc_u32_e32 v183, -1, v183
	v_cndmask_b32_e64 v177, v180, v177, s44
	v_min_u32_e32 v183, v180, v183
	v_cndmask_b32_e64 v179, v179, v180, s44
	v_lshl_add_u32 v183, v183, 1, v102
	ds_read_u16 v183, v183
	s_waitcnt lgkmcnt(0)
	v_cndmask_b32_e64 v195, v183, v181, s44
	v_cndmask_b32_e64 v75, v74, v183, s44
	v_cmpx_lt_u32_e64 v177, v242
	s_cbranch_execz .LBB522_386
; %bb.383:
	s_mov_b32 s56, 0
	s_mov_b32 s45, exec_lo
	v_cmpx_lt_u32_e64 v179, v241
	s_cbranch_execz .LBB522_385
; %bb.384:
	v_mov_b32_e32 v180, 0x6667
	v_mul_i32_i24_sdwa v183, sext(v195), v180 dst_sel:DWORD dst_unused:UNUSED_PAD src0_sel:WORD_0 src1_sel:DWORD
	v_mul_i32_i24_sdwa v180, sext(v75), v180 dst_sel:DWORD dst_unused:UNUSED_PAD src0_sel:WORD_0 src1_sel:DWORD
	v_lshrrev_b32_e32 v192, 31, v183
	v_ashrrev_i32_e32 v183, 18, v183
	v_lshrrev_b32_e32 v76, 31, v180
	v_ashrrev_i32_e32 v180, 18, v180
	v_add_nc_u16 v183, v183, v192
	v_add_nc_u16 v180, v180, v76
	v_cmp_ge_i16_e32 vcc_lo, v183, v180
	s_and_b32 s56, vcc_lo, exec_lo
.LBB522_385:
	s_or_b32 exec_lo, exec_lo, s45
	s_orn2_b32 s45, s56, exec_lo
.LBB522_386:
	s_or_b32 exec_lo, exec_lo, s47
	v_cndmask_b32_e64 v180, v177, v179, s45
	v_cndmask_b32_e64 v183, v242, v241, s45
	s_mov_b32 s47, exec_lo
	v_add_nc_u32_e32 v180, 1, v180
	v_add_nc_u32_e32 v183, -1, v183
	v_cndmask_b32_e64 v177, v180, v177, s45
	v_min_u32_e32 v183, v180, v183
	v_cndmask_b32_e64 v179, v179, v180, s45
	v_lshl_add_u32 v183, v183, 1, v102
	ds_read_u16 v183, v183
	s_waitcnt lgkmcnt(0)
	v_cndmask_b32_e64 v192, v183, v195, s45
	v_cndmask_b32_e64 v76, v75, v183, s45
	v_cmpx_lt_u32_e64 v177, v242
	s_cbranch_execz .LBB522_390
; %bb.387:
	s_mov_b32 s56, 0
	s_mov_b32 s46, exec_lo
	v_cmpx_lt_u32_e64 v179, v241
	s_cbranch_execz .LBB522_389
; %bb.388:
	v_mov_b32_e32 v180, 0x6667
	v_mul_i32_i24_sdwa v183, sext(v192), v180 dst_sel:DWORD dst_unused:UNUSED_PAD src0_sel:WORD_0 src1_sel:DWORD
	v_mul_i32_i24_sdwa v180, sext(v76), v180 dst_sel:DWORD dst_unused:UNUSED_PAD src0_sel:WORD_0 src1_sel:DWORD
	v_lshrrev_b32_e32 v77, 31, v183
	v_ashrrev_i32_e32 v183, 18, v183
	v_lshrrev_b32_e32 v78, 31, v180
	v_ashrrev_i32_e32 v180, 18, v180
	v_add_nc_u16 v183, v183, v77
	v_add_nc_u16 v180, v180, v78
	v_cmp_ge_i16_e32 vcc_lo, v183, v180
	s_and_b32 s56, vcc_lo, exec_lo
.LBB522_389:
	s_or_b32 exec_lo, exec_lo, s46
	s_orn2_b32 s46, s56, exec_lo
.LBB522_390:
	s_or_b32 exec_lo, exec_lo, s47
	v_cndmask_b32_e64 v180, v177, v179, s46
	v_cndmask_b32_e64 v183, v242, v241, s46
	s_mov_b32 s56, -1
	s_mov_b32 s47, -1
	s_mov_b32 s57, exec_lo
	v_add_nc_u32_e32 v180, 1, v180
	v_add_nc_u32_e32 v183, -1, v183
	v_cndmask_b32_e64 v177, v180, v177, s46
	v_min_u32_e32 v183, v180, v183
	v_cndmask_b32_e64 v179, v179, v180, s46
	v_lshl_add_u32 v183, v183, 1, v102
	ds_read_u16 v77, v183
	s_waitcnt lgkmcnt(0)
	v_cndmask_b32_e64 v183, v77, v192, s46
	v_cndmask_b32_e64 v77, v76, v77, s46
	v_cmpx_lt_u32_e64 v177, v242
	s_cbranch_execz .LBB522_394
; %bb.391:
	s_mov_b32 s58, 0
	s_mov_b32 s47, exec_lo
	v_cmpx_lt_u32_e64 v179, v241
	s_cbranch_execz .LBB522_393
; %bb.392:
	v_mov_b32_e32 v180, 0x6667
	v_mul_i32_i24_sdwa v78, sext(v183), v180 dst_sel:DWORD dst_unused:UNUSED_PAD src0_sel:WORD_0 src1_sel:DWORD
	v_mul_i32_i24_sdwa v180, sext(v77), v180 dst_sel:DWORD dst_unused:UNUSED_PAD src0_sel:WORD_0 src1_sel:DWORD
	v_lshrrev_b32_e32 v79, 31, v78
	v_ashrrev_i32_e32 v78, 18, v78
	v_lshrrev_b32_e32 v88, 31, v180
	v_ashrrev_i32_e32 v180, 18, v180
	v_add_nc_u16 v78, v78, v79
	v_add_nc_u16 v180, v180, v88
	v_cmp_ge_i16_e32 vcc_lo, v78, v180
	s_and_b32 s58, vcc_lo, exec_lo
.LBB522_393:
	s_or_b32 exec_lo, exec_lo, s47
	s_orn2_b32 s47, s58, exec_lo
.LBB522_394:
	s_or_b32 exec_lo, exec_lo, s57
	v_cndmask_b32_e64 v180, v177, v179, s47
	v_cndmask_b32_e64 v78, v242, v241, s47
	s_mov_b32 s57, exec_lo
	v_add_nc_u32_e32 v180, 1, v180
	v_add_nc_u32_e32 v78, -1, v78
	v_cndmask_b32_e64 v177, v180, v177, s47
	v_min_u32_e32 v78, v180, v78
	v_cndmask_b32_e64 v179, v179, v180, s47
	v_lshl_add_u32 v78, v78, 1, v102
	ds_read_u16 v78, v78
	s_waitcnt lgkmcnt(0)
	v_cndmask_b32_e64 v180, v78, v183, s47
	v_cndmask_b32_e64 v78, v77, v78, s47
	v_cmpx_lt_u32_e64 v177, v242
	s_cbranch_execz .LBB522_398
; %bb.395:
	s_mov_b32 s58, 0
	s_mov_b32 s56, exec_lo
	v_cmpx_lt_u32_e64 v179, v241
	s_cbranch_execz .LBB522_397
; %bb.396:
	v_mov_b32_e32 v79, 0x6667
	v_mul_i32_i24_sdwa v88, sext(v180), v79 dst_sel:DWORD dst_unused:UNUSED_PAD src0_sel:WORD_0 src1_sel:DWORD
	v_mul_i32_i24_sdwa v79, sext(v78), v79 dst_sel:DWORD dst_unused:UNUSED_PAD src0_sel:WORD_0 src1_sel:DWORD
	v_lshrrev_b32_e32 v89, 31, v88
	v_ashrrev_i32_e32 v88, 18, v88
	v_lshrrev_b32_e32 v90, 31, v79
	v_ashrrev_i32_e32 v79, 18, v79
	v_add_nc_u16 v88, v88, v89
	v_add_nc_u16 v79, v79, v90
	v_cmp_ge_i16_e32 vcc_lo, v88, v79
	s_and_b32 s58, vcc_lo, exec_lo
.LBB522_397:
	s_or_b32 exec_lo, exec_lo, s56
	s_orn2_b32 s56, s58, exec_lo
.LBB522_398:
	s_or_b32 exec_lo, exec_lo, s57
	v_cndmask_b32_e64 v79, v177, v179, s56
	v_cndmask_b32_e64 v88, v242, v241, s56
	s_mov_b32 s57, -1
	s_mov_b32 s58, -1
	s_mov_b32 s59, exec_lo
	v_add_nc_u32_e32 v79, 1, v79
	v_add_nc_u32_e32 v88, -1, v88
	v_cndmask_b32_e64 v177, v79, v177, s56
	v_min_u32_e32 v88, v79, v88
	v_lshl_add_u32 v88, v88, 1, v102
	ds_read_u16 v89, v88
	v_cndmask_b32_e64 v88, v179, v79, s56
	s_waitcnt lgkmcnt(0)
	v_cndmask_b32_e64 v179, v89, v180, s56
	v_cndmask_b32_e64 v79, v78, v89, s56
	v_cmpx_lt_u32_e64 v177, v242
	s_cbranch_execz .LBB522_402
; %bb.399:
	s_mov_b32 s60, 0
	s_mov_b32 s58, exec_lo
	v_cmpx_lt_u32_e64 v88, v241
	s_cbranch_execz .LBB522_401
; %bb.400:
	v_mov_b32_e32 v89, 0x6667
	v_mul_i32_i24_sdwa v90, sext(v179), v89 dst_sel:DWORD dst_unused:UNUSED_PAD src0_sel:WORD_0 src1_sel:DWORD
	v_mul_i32_i24_sdwa v89, sext(v79), v89 dst_sel:DWORD dst_unused:UNUSED_PAD src0_sel:WORD_0 src1_sel:DWORD
	v_lshrrev_b32_e32 v91, 31, v90
	v_ashrrev_i32_e32 v90, 18, v90
	v_lshrrev_b32_e32 v92, 31, v89
	v_ashrrev_i32_e32 v89, 18, v89
	v_add_nc_u16 v90, v90, v91
	v_add_nc_u16 v89, v89, v92
	v_cmp_ge_i16_e32 vcc_lo, v90, v89
	s_and_b32 s60, vcc_lo, exec_lo
.LBB522_401:
	s_or_b32 exec_lo, exec_lo, s58
	s_orn2_b32 s58, s60, exec_lo
.LBB522_402:
	s_or_b32 exec_lo, exec_lo, s59
	v_cndmask_b32_e64 v89, v177, v88, s58
	v_cndmask_b32_e64 v90, v242, v241, s58
	s_mov_b32 s59, exec_lo
	v_add_nc_u32_e32 v89, 1, v89
	v_add_nc_u32_e32 v90, -1, v90
	v_cndmask_b32_e64 v177, v89, v177, s58
	v_min_u32_e32 v90, v89, v90
	v_lshl_add_u32 v90, v90, 1, v102
	ds_read_u16 v91, v90
	v_cndmask_b32_e64 v90, v88, v89, s58
	s_waitcnt lgkmcnt(0)
	v_cndmask_b32_e64 v88, v91, v179, s58
	v_cndmask_b32_e64 v89, v79, v91, s58
	v_cmpx_lt_u32_e64 v177, v242
	s_cbranch_execz .LBB522_406
; %bb.403:
	s_mov_b32 s60, 0
	s_mov_b32 s57, exec_lo
	v_cmpx_lt_u32_e64 v90, v241
	s_cbranch_execz .LBB522_405
; %bb.404:
	v_mov_b32_e32 v91, 0x6667
	v_mul_i32_i24_sdwa v92, sext(v88), v91 dst_sel:DWORD dst_unused:UNUSED_PAD src0_sel:WORD_0 src1_sel:DWORD
	v_mul_i32_i24_sdwa v91, sext(v89), v91 dst_sel:DWORD dst_unused:UNUSED_PAD src0_sel:WORD_0 src1_sel:DWORD
	v_lshrrev_b32_e32 v93, 31, v92
	v_ashrrev_i32_e32 v92, 18, v92
	v_lshrrev_b32_e32 v94, 31, v91
	v_ashrrev_i32_e32 v91, 18, v91
	v_add_nc_u16 v92, v92, v93
	v_add_nc_u16 v91, v91, v94
	v_cmp_ge_i16_e32 vcc_lo, v92, v91
	s_and_b32 s60, vcc_lo, exec_lo
.LBB522_405:
	s_or_b32 exec_lo, exec_lo, s57
	s_orn2_b32 s57, s60, exec_lo
.LBB522_406:
	s_or_b32 exec_lo, exec_lo, s59
	v_cndmask_b32_e64 v91, v177, v90, s57
	v_cndmask_b32_e64 v92, v242, v241, s57
	s_mov_b32 s59, exec_lo
	v_add_nc_u32_e32 v91, 1, v91
	v_add_nc_u32_e32 v92, -1, v92
	v_cndmask_b32_e64 v93, v91, v177, s57
	v_min_u32_e32 v92, v91, v92
	v_lshl_add_u32 v92, v92, 1, v102
	ds_read_u16 v92, v92
	s_waitcnt lgkmcnt(0)
	v_cndmask_b32_e64 v177, v89, v92, s57
	v_cmpx_lt_u32_e64 v93, v242
	s_cbranch_execz .LBB522_410
; %bb.407:
	v_cndmask_b32_e64 v90, v90, v91, s57
	v_cndmask_b32_e64 v242, v92, v88, s57
	s_mov_b32 s60, exec_lo
	v_cmpx_lt_u32_e64 v90, v241
	s_cbranch_execz .LBB522_409
; %bb.408:
	v_mov_b32_e32 v241, 0x6667
	v_mul_i32_i24_sdwa v90, sext(v242), v241 dst_sel:DWORD dst_unused:UNUSED_PAD src0_sel:WORD_0 src1_sel:DWORD
	v_mul_i32_i24_sdwa v241, sext(v177), v241 dst_sel:DWORD dst_unused:UNUSED_PAD src0_sel:WORD_0 src1_sel:DWORD
	v_lshrrev_b32_e32 v91, 31, v90
	v_ashrrev_i32_e32 v90, 18, v90
	v_lshrrev_b32_e32 v92, 31, v241
	v_ashrrev_i32_e32 v241, 18, v241
	v_add_nc_u16 v90, v90, v91
	v_add_nc_u16 v241, v241, v92
	v_cmp_lt_i16_e32 vcc_lo, v90, v241
	v_cndmask_b32_e32 v242, v177, v242, vcc_lo
.LBB522_409:
	s_or_b32 exec_lo, exec_lo, s60
	v_mov_b32_e32 v177, v242
.LBB522_410:
	s_or_b32 exec_lo, exec_lo, s59
	v_cndmask_b32_e64 v179, v179, v79, s58
	v_cndmask_b32_e64 v180, v180, v78, s56
	;; [unrolled: 1-line block ×31, first 2 shown]
.LBB522_411:
	s_or_b32 exec_lo, exec_lo, s5
	; wave barrier
	ds_write_b16 v113, v178
	ds_write_b16 v165, v231
	;; [unrolled: 1-line block ×5, first 2 shown]
	v_and_b32_e32 v165, 0x200, v112
	ds_write_b16 v161, v229
	ds_write_b16 v162, v224
	;; [unrolled: 1-line block ×15, first 2 shown]
	v_or_b32_e32 v113, 0x100, v165
	v_and_b32_e32 v134, 0x1e0, v112
	ds_write_b16 v131, v193
	ds_write_b16 v132, v196
	;; [unrolled: 1-line block ×6, first 2 shown]
	s_mov_b32 s4, exec_lo
	v_min_u32_e32 v113, v103, v113
	ds_write_b16 v116, v192
	ds_write_b16 v117, v183
	;; [unrolled: 1-line block ×6, first 2 shown]
	; wave barrier
	v_add_nc_u32_e32 v145, 0x100, v113
	v_sub_nc_u32_e32 v132, v113, v165
	v_min_u32_e32 v112, v103, v145
	v_min_u32_e32 v103, v103, v134
	v_sub_nc_u32_e32 v131, v112, v113
	v_min_u32_e32 v129, v103, v132
	v_sub_nc_u32_e64 v128, v103, v131 clamp
	v_cmpx_lt_u32_e64 v128, v129
	s_cbranch_execz .LBB522_415
; %bb.412:
	v_lshlrev_b32_e32 v114, 1, v165
	v_lshlrev_b32_e32 v115, 1, v113
	s_mov_b32 s5, 0
	v_add_co_u32 v114, null, v102, v114
	v_add_co_u32 v115, null, v102, v115
	.p2align	6
.LBB522_413:                            ; =>This Inner Loop Header: Depth=1
	v_add_nc_u32_e32 v116, v129, v128
	v_lshrrev_b32_e32 v117, 1, v116
	v_and_b32_e32 v116, -2, v116
	v_xad_u32 v118, v117, -1, v103
	v_add_nc_u32_e32 v116, v114, v116
	v_lshl_add_u32 v118, v118, 1, v115
	ds_read_i16 v116, v116
	ds_read_i16 v118, v118
	s_waitcnt lgkmcnt(1)
	v_mul_i32_i24_e32 v116, 0x6667, v116
	s_waitcnt lgkmcnt(0)
	v_mul_i32_i24_e32 v118, 0x6667, v118
	v_lshrrev_b32_e32 v119, 31, v116
	v_ashrrev_i32_e32 v116, 18, v116
	v_lshrrev_b32_e32 v130, 31, v118
	v_ashrrev_i32_e32 v118, 18, v118
	v_add_nc_u16 v116, v116, v119
	v_add_nc_u32_e32 v119, 1, v117
	v_add_nc_u16 v118, v118, v130
	v_cmp_lt_i16_e32 vcc_lo, v118, v116
	v_cndmask_b32_e32 v129, v129, v117, vcc_lo
	v_cndmask_b32_e32 v128, v119, v128, vcc_lo
	v_cmp_ge_u32_e32 vcc_lo, v128, v129
	s_or_b32 s5, vcc_lo, s5
	s_andn2_b32 exec_lo, exec_lo, s5
	s_cbranch_execnz .LBB522_413
; %bb.414:
	s_or_b32 exec_lo, exec_lo, s5
.LBB522_415:
	s_or_b32 exec_lo, exec_lo, s4
	v_add_nc_u32_e32 v103, v113, v103
	v_add_nc_u32_e32 v115, v128, v165
	v_sub_nc_u32_e32 v116, v103, v128
	v_cmp_le_u32_e32 vcc_lo, v115, v113
	v_cmp_le_u32_e64 s4, v116, v112
	s_or_b32 s4, vcc_lo, s4
	s_and_saveexec_b32 s5, s4
	s_cbranch_execz .LBB522_547
; %bb.416:
	s_mov_b32 s7, exec_lo
	v_cmp_ge_u32_e32 vcc_lo, v115, v113
                                        ; implicit-def: $vgpr103
	v_cmpx_lt_u32_e64 v115, v113
; %bb.417:
	v_lshl_add_u32 v103, v115, 1, v102
	ds_read_u16 v103, v103
; %bb.418:
	s_or_b32 exec_lo, exec_lo, s7
	v_cmp_ge_u32_e64 s7, v116, v112
	s_mov_b32 s10, exec_lo
                                        ; implicit-def: $vgpr114
	v_cmpx_lt_u32_e64 v116, v112
; %bb.419:
	v_lshl_add_u32 v114, v116, 1, v102
	ds_read_u16 v114, v114
; %bb.420:
	s_or_b32 exec_lo, exec_lo, s10
	s_nor_b32 s10, vcc_lo, s7
	s_and_saveexec_b32 s4, s10
	s_cbranch_execz .LBB522_422
; %bb.421:
	v_mov_b32_e32 v117, 0x6667
	s_andn2_b32 s7, s7, exec_lo
	s_waitcnt lgkmcnt(0)
	v_mul_i32_i24_sdwa v118, sext(v114), v117 dst_sel:DWORD dst_unused:UNUSED_PAD src0_sel:WORD_0 src1_sel:DWORD
	v_mul_i32_i24_sdwa v117, sext(v103), v117 dst_sel:DWORD dst_unused:UNUSED_PAD src0_sel:WORD_0 src1_sel:DWORD
	v_lshrrev_b32_e32 v119, 31, v118
	v_ashrrev_i32_e32 v118, 18, v118
	v_lshrrev_b32_e32 v128, 31, v117
	v_ashrrev_i32_e32 v117, 18, v117
	v_add_nc_u16 v118, v118, v119
	v_add_nc_u16 v117, v117, v128
	v_cmp_ge_i16_e32 vcc_lo, v118, v117
	s_and_b32 s10, vcc_lo, exec_lo
	s_or_b32 s7, s7, s10
.LBB522_422:
	s_or_b32 exec_lo, exec_lo, s4
	v_cndmask_b32_e64 v117, v116, v115, s7
	v_cndmask_b32_e64 v118, v112, v113, s7
	s_mov_b32 s10, -1
	s_mov_b32 s4, -1
	s_mov_b32 s11, exec_lo
	v_add_nc_u32_e32 v119, 1, v117
	v_add_nc_u32_e32 v117, -1, v118
	v_cndmask_b32_e64 v118, v115, v119, s7
	v_min_u32_e32 v117, v119, v117
	v_lshl_add_u32 v117, v117, 1, v102
	ds_read_u16 v128, v117
	v_cndmask_b32_e64 v117, v119, v116, s7
	s_waitcnt lgkmcnt(0)
	v_cndmask_b32_e64 v115, v128, v114, s7
	v_cndmask_b32_e64 v116, v103, v128, s7
	v_cmpx_lt_u32_e64 v117, v112
	s_cbranch_execz .LBB522_426
; %bb.423:
	s_mov_b32 s14, 0
	s_mov_b32 s4, exec_lo
	v_cmpx_lt_u32_e64 v118, v113
	s_cbranch_execz .LBB522_425
; %bb.424:
	v_mov_b32_e32 v119, 0x6667
	v_mul_i32_i24_sdwa v128, sext(v115), v119 dst_sel:DWORD dst_unused:UNUSED_PAD src0_sel:WORD_0 src1_sel:DWORD
	v_mul_i32_i24_sdwa v119, sext(v116), v119 dst_sel:DWORD dst_unused:UNUSED_PAD src0_sel:WORD_0 src1_sel:DWORD
	v_lshrrev_b32_e32 v129, 31, v128
	v_ashrrev_i32_e32 v128, 18, v128
	v_lshrrev_b32_e32 v130, 31, v119
	v_ashrrev_i32_e32 v119, 18, v119
	v_add_nc_u16 v128, v128, v129
	v_add_nc_u16 v119, v119, v130
	v_cmp_ge_i16_e32 vcc_lo, v128, v119
	s_and_b32 s14, vcc_lo, exec_lo
.LBB522_425:
	s_or_b32 exec_lo, exec_lo, s4
	s_orn2_b32 s4, s14, exec_lo
.LBB522_426:
	s_or_b32 exec_lo, exec_lo, s11
	v_cndmask_b32_e64 v119, v117, v118, s4
	v_cndmask_b32_e64 v128, v112, v113, s4
	s_mov_b32 s11, exec_lo
	v_add_nc_u32_e32 v129, 1, v119
	v_add_nc_u32_e32 v119, -1, v128
	v_cndmask_b32_e64 v128, v118, v129, s4
	v_min_u32_e32 v119, v129, v119
	v_lshl_add_u32 v119, v119, 1, v102
	ds_read_u16 v130, v119
	v_cndmask_b32_e64 v119, v129, v117, s4
	s_waitcnt lgkmcnt(0)
	v_cndmask_b32_e64 v117, v130, v115, s4
	v_cndmask_b32_e64 v118, v116, v130, s4
	v_cmpx_lt_u32_e64 v119, v112
	s_cbranch_execz .LBB522_430
; %bb.427:
	s_mov_b32 s14, 0
	s_mov_b32 s10, exec_lo
	v_cmpx_lt_u32_e64 v128, v113
	s_cbranch_execz .LBB522_429
; %bb.428:
	v_mov_b32_e32 v129, 0x6667
	v_mul_i32_i24_sdwa v130, sext(v117), v129 dst_sel:DWORD dst_unused:UNUSED_PAD src0_sel:WORD_0 src1_sel:DWORD
	v_mul_i32_i24_sdwa v129, sext(v118), v129 dst_sel:DWORD dst_unused:UNUSED_PAD src0_sel:WORD_0 src1_sel:DWORD
	v_lshrrev_b32_e32 v131, 31, v130
	v_ashrrev_i32_e32 v130, 18, v130
	v_lshrrev_b32_e32 v132, 31, v129
	v_ashrrev_i32_e32 v129, 18, v129
	v_add_nc_u16 v130, v130, v131
	v_add_nc_u16 v129, v129, v132
	v_cmp_ge_i16_e32 vcc_lo, v130, v129
	s_and_b32 s14, vcc_lo, exec_lo
.LBB522_429:
	s_or_b32 exec_lo, exec_lo, s10
	s_orn2_b32 s10, s14, exec_lo
.LBB522_430:
	s_or_b32 exec_lo, exec_lo, s11
	v_cndmask_b32_e64 v129, v119, v128, s10
	v_cndmask_b32_e64 v130, v112, v113, s10
	s_mov_b32 s14, -1
	s_mov_b32 s11, -1
	s_mov_b32 s15, exec_lo
	v_add_nc_u32_e32 v131, 1, v129
	v_add_nc_u32_e32 v129, -1, v130
	v_cndmask_b32_e64 v130, v128, v131, s10
	v_min_u32_e32 v129, v131, v129
	v_lshl_add_u32 v129, v129, 1, v102
	ds_read_u16 v132, v129
	v_cndmask_b32_e64 v129, v131, v119, s10
	s_waitcnt lgkmcnt(0)
	v_cndmask_b32_e64 v119, v132, v117, s10
	v_cndmask_b32_e64 v128, v118, v132, s10
	v_cmpx_lt_u32_e64 v129, v112
	s_cbranch_execz .LBB522_434
; %bb.431:
	s_mov_b32 s16, 0
	s_mov_b32 s11, exec_lo
	v_cmpx_lt_u32_e64 v130, v113
	s_cbranch_execz .LBB522_433
; %bb.432:
	v_mov_b32_e32 v131, 0x6667
	v_mul_i32_i24_sdwa v132, sext(v119), v131 dst_sel:DWORD dst_unused:UNUSED_PAD src0_sel:WORD_0 src1_sel:DWORD
	v_mul_i32_i24_sdwa v131, sext(v128), v131 dst_sel:DWORD dst_unused:UNUSED_PAD src0_sel:WORD_0 src1_sel:DWORD
	v_lshrrev_b32_e32 v133, 31, v132
	v_ashrrev_i32_e32 v132, 18, v132
	v_lshrrev_b32_e32 v134, 31, v131
	v_ashrrev_i32_e32 v131, 18, v131
	v_add_nc_u16 v132, v132, v133
	v_add_nc_u16 v131, v131, v134
	v_cmp_ge_i16_e32 vcc_lo, v132, v131
	s_and_b32 s16, vcc_lo, exec_lo
.LBB522_433:
	s_or_b32 exec_lo, exec_lo, s11
	s_orn2_b32 s11, s16, exec_lo
.LBB522_434:
	s_or_b32 exec_lo, exec_lo, s15
	v_cndmask_b32_e64 v131, v129, v130, s11
	v_cndmask_b32_e64 v132, v112, v113, s11
	s_mov_b32 s15, exec_lo
	v_add_nc_u32_e32 v133, 1, v131
	v_add_nc_u32_e32 v131, -1, v132
	v_cndmask_b32_e64 v132, v130, v133, s11
	v_min_u32_e32 v131, v133, v131
	v_lshl_add_u32 v131, v131, 1, v102
	ds_read_u16 v134, v131
	v_cndmask_b32_e64 v131, v133, v129, s11
	s_waitcnt lgkmcnt(0)
	v_cndmask_b32_e64 v129, v134, v119, s11
	v_cndmask_b32_e64 v130, v128, v134, s11
	v_cmpx_lt_u32_e64 v131, v112
	s_cbranch_execz .LBB522_438
; %bb.435:
	s_mov_b32 s16, 0
	s_mov_b32 s14, exec_lo
	v_cmpx_lt_u32_e64 v132, v113
	s_cbranch_execz .LBB522_437
; %bb.436:
	v_mov_b32_e32 v133, 0x6667
	v_mul_i32_i24_sdwa v134, sext(v129), v133 dst_sel:DWORD dst_unused:UNUSED_PAD src0_sel:WORD_0 src1_sel:DWORD
	v_mul_i32_i24_sdwa v133, sext(v130), v133 dst_sel:DWORD dst_unused:UNUSED_PAD src0_sel:WORD_0 src1_sel:DWORD
	v_lshrrev_b32_e32 v135, 31, v134
	v_ashrrev_i32_e32 v134, 18, v134
	v_lshrrev_b32_e32 v144, 31, v133
	v_ashrrev_i32_e32 v133, 18, v133
	v_add_nc_u16 v134, v134, v135
	v_add_nc_u16 v133, v133, v144
	v_cmp_ge_i16_e32 vcc_lo, v134, v133
	s_and_b32 s16, vcc_lo, exec_lo
.LBB522_437:
	s_or_b32 exec_lo, exec_lo, s14
	s_orn2_b32 s14, s16, exec_lo
.LBB522_438:
	s_or_b32 exec_lo, exec_lo, s15
	v_cndmask_b32_e64 v133, v131, v132, s14
	v_cndmask_b32_e64 v134, v112, v113, s14
	s_mov_b32 s16, -1
	s_mov_b32 s15, -1
	s_mov_b32 s17, exec_lo
	v_add_nc_u32_e32 v135, 1, v133
	v_add_nc_u32_e32 v133, -1, v134
	v_cndmask_b32_e64 v134, v132, v135, s14
	v_min_u32_e32 v133, v135, v133
	v_lshl_add_u32 v133, v133, 1, v102
	ds_read_u16 v144, v133
	v_cndmask_b32_e64 v133, v135, v131, s14
	s_waitcnt lgkmcnt(0)
	v_cndmask_b32_e64 v131, v144, v129, s14
	v_cndmask_b32_e64 v132, v130, v144, s14
	v_cmpx_lt_u32_e64 v133, v112
	s_cbranch_execz .LBB522_442
; %bb.439:
	s_mov_b32 s18, 0
	s_mov_b32 s15, exec_lo
	v_cmpx_lt_u32_e64 v134, v113
	s_cbranch_execz .LBB522_441
; %bb.440:
	v_mov_b32_e32 v135, 0x6667
	v_mul_i32_i24_sdwa v144, sext(v131), v135 dst_sel:DWORD dst_unused:UNUSED_PAD src0_sel:WORD_0 src1_sel:DWORD
	v_mul_i32_i24_sdwa v135, sext(v132), v135 dst_sel:DWORD dst_unused:UNUSED_PAD src0_sel:WORD_0 src1_sel:DWORD
	v_lshrrev_b32_e32 v145, 31, v144
	v_ashrrev_i32_e32 v144, 18, v144
	v_lshrrev_b32_e32 v146, 31, v135
	v_ashrrev_i32_e32 v135, 18, v135
	v_add_nc_u16 v144, v144, v145
	v_add_nc_u16 v135, v135, v146
	v_cmp_ge_i16_e32 vcc_lo, v144, v135
	s_and_b32 s18, vcc_lo, exec_lo
.LBB522_441:
	s_or_b32 exec_lo, exec_lo, s15
	s_orn2_b32 s15, s18, exec_lo
.LBB522_442:
	s_or_b32 exec_lo, exec_lo, s17
	v_cndmask_b32_e64 v135, v133, v134, s15
	v_cndmask_b32_e64 v144, v112, v113, s15
	s_mov_b32 s17, exec_lo
	v_add_nc_u32_e32 v145, 1, v135
	v_add_nc_u32_e32 v135, -1, v144
	v_cndmask_b32_e64 v144, v134, v145, s15
	v_min_u32_e32 v135, v145, v135
	v_lshl_add_u32 v135, v135, 1, v102
	ds_read_u16 v146, v135
	v_cndmask_b32_e64 v135, v145, v133, s15
	s_waitcnt lgkmcnt(0)
	v_cndmask_b32_e64 v133, v146, v131, s15
	v_cndmask_b32_e64 v134, v132, v146, s15
	v_cmpx_lt_u32_e64 v135, v112
	s_cbranch_execz .LBB522_446
; %bb.443:
	s_mov_b32 s18, 0
	s_mov_b32 s16, exec_lo
	v_cmpx_lt_u32_e64 v144, v113
	s_cbranch_execz .LBB522_445
; %bb.444:
	v_mov_b32_e32 v145, 0x6667
	v_mul_i32_i24_sdwa v146, sext(v133), v145 dst_sel:DWORD dst_unused:UNUSED_PAD src0_sel:WORD_0 src1_sel:DWORD
	v_mul_i32_i24_sdwa v145, sext(v134), v145 dst_sel:DWORD dst_unused:UNUSED_PAD src0_sel:WORD_0 src1_sel:DWORD
	v_lshrrev_b32_e32 v147, 31, v146
	v_ashrrev_i32_e32 v146, 18, v146
	v_lshrrev_b32_e32 v148, 31, v145
	v_ashrrev_i32_e32 v145, 18, v145
	v_add_nc_u16 v146, v146, v147
	v_add_nc_u16 v145, v145, v148
	v_cmp_ge_i16_e32 vcc_lo, v146, v145
	s_and_b32 s18, vcc_lo, exec_lo
.LBB522_445:
	s_or_b32 exec_lo, exec_lo, s16
	s_orn2_b32 s16, s18, exec_lo
.LBB522_446:
	s_or_b32 exec_lo, exec_lo, s17
	v_cndmask_b32_e64 v145, v135, v144, s16
	v_cndmask_b32_e64 v146, v112, v113, s16
	s_mov_b32 s18, -1
	s_mov_b32 s17, -1
	s_mov_b32 s19, exec_lo
	v_add_nc_u32_e32 v147, 1, v145
	v_add_nc_u32_e32 v145, -1, v146
	v_cndmask_b32_e64 v146, v144, v147, s16
	v_min_u32_e32 v145, v147, v145
	v_lshl_add_u32 v145, v145, 1, v102
	ds_read_u16 v148, v145
	v_cndmask_b32_e64 v145, v147, v135, s16
	s_waitcnt lgkmcnt(0)
	v_cndmask_b32_e64 v135, v148, v133, s16
	v_cndmask_b32_e64 v144, v134, v148, s16
	v_cmpx_lt_u32_e64 v145, v112
	s_cbranch_execz .LBB522_450
; %bb.447:
	s_mov_b32 s20, 0
	s_mov_b32 s17, exec_lo
	v_cmpx_lt_u32_e64 v146, v113
	s_cbranch_execz .LBB522_449
; %bb.448:
	v_mov_b32_e32 v147, 0x6667
	v_mul_i32_i24_sdwa v148, sext(v135), v147 dst_sel:DWORD dst_unused:UNUSED_PAD src0_sel:WORD_0 src1_sel:DWORD
	v_mul_i32_i24_sdwa v147, sext(v144), v147 dst_sel:DWORD dst_unused:UNUSED_PAD src0_sel:WORD_0 src1_sel:DWORD
	v_lshrrev_b32_e32 v149, 31, v148
	v_ashrrev_i32_e32 v148, 18, v148
	v_lshrrev_b32_e32 v150, 31, v147
	v_ashrrev_i32_e32 v147, 18, v147
	v_add_nc_u16 v148, v148, v149
	v_add_nc_u16 v147, v147, v150
	v_cmp_ge_i16_e32 vcc_lo, v148, v147
	s_and_b32 s20, vcc_lo, exec_lo
.LBB522_449:
	s_or_b32 exec_lo, exec_lo, s17
	s_orn2_b32 s17, s20, exec_lo
.LBB522_450:
	s_or_b32 exec_lo, exec_lo, s19
	v_cndmask_b32_e64 v147, v145, v146, s17
	v_cndmask_b32_e64 v148, v112, v113, s17
	s_mov_b32 s19, exec_lo
	v_add_nc_u32_e32 v149, 1, v147
	v_add_nc_u32_e32 v147, -1, v148
	v_cndmask_b32_e64 v148, v146, v149, s17
	v_min_u32_e32 v147, v149, v147
	v_lshl_add_u32 v147, v147, 1, v102
	ds_read_u16 v150, v147
	v_cndmask_b32_e64 v147, v149, v145, s17
	s_waitcnt lgkmcnt(0)
	v_cndmask_b32_e64 v145, v150, v135, s17
	v_cndmask_b32_e64 v146, v144, v150, s17
	v_cmpx_lt_u32_e64 v147, v112
	s_cbranch_execz .LBB522_454
; %bb.451:
	s_mov_b32 s20, 0
	s_mov_b32 s18, exec_lo
	v_cmpx_lt_u32_e64 v148, v113
	s_cbranch_execz .LBB522_453
; %bb.452:
	v_mov_b32_e32 v149, 0x6667
	v_mul_i32_i24_sdwa v150, sext(v145), v149 dst_sel:DWORD dst_unused:UNUSED_PAD src0_sel:WORD_0 src1_sel:DWORD
	v_mul_i32_i24_sdwa v149, sext(v146), v149 dst_sel:DWORD dst_unused:UNUSED_PAD src0_sel:WORD_0 src1_sel:DWORD
	v_lshrrev_b32_e32 v151, 31, v150
	v_ashrrev_i32_e32 v150, 18, v150
	v_lshrrev_b32_e32 v160, 31, v149
	v_ashrrev_i32_e32 v149, 18, v149
	v_add_nc_u16 v150, v150, v151
	v_add_nc_u16 v149, v149, v160
	v_cmp_ge_i16_e32 vcc_lo, v150, v149
	s_and_b32 s20, vcc_lo, exec_lo
.LBB522_453:
	s_or_b32 exec_lo, exec_lo, s18
	s_orn2_b32 s18, s20, exec_lo
.LBB522_454:
	s_or_b32 exec_lo, exec_lo, s19
	v_cndmask_b32_e64 v149, v147, v148, s18
	v_cndmask_b32_e64 v150, v112, v113, s18
	s_mov_b32 s20, -1
	s_mov_b32 s19, -1
	s_mov_b32 s21, exec_lo
	v_add_nc_u32_e32 v151, 1, v149
	v_add_nc_u32_e32 v149, -1, v150
	v_cndmask_b32_e64 v150, v148, v151, s18
	v_min_u32_e32 v149, v151, v149
	v_lshl_add_u32 v149, v149, 1, v102
	ds_read_u16 v160, v149
	v_cndmask_b32_e64 v149, v151, v147, s18
	s_waitcnt lgkmcnt(0)
	v_cndmask_b32_e64 v147, v160, v145, s18
	v_cndmask_b32_e64 v148, v146, v160, s18
	v_cmpx_lt_u32_e64 v149, v112
	s_cbranch_execz .LBB522_458
; %bb.455:
	s_mov_b32 s22, 0
	s_mov_b32 s19, exec_lo
	v_cmpx_lt_u32_e64 v150, v113
	s_cbranch_execz .LBB522_457
; %bb.456:
	v_mov_b32_e32 v151, 0x6667
	v_mul_i32_i24_sdwa v160, sext(v147), v151 dst_sel:DWORD dst_unused:UNUSED_PAD src0_sel:WORD_0 src1_sel:DWORD
	v_mul_i32_i24_sdwa v151, sext(v148), v151 dst_sel:DWORD dst_unused:UNUSED_PAD src0_sel:WORD_0 src1_sel:DWORD
	v_lshrrev_b32_e32 v161, 31, v160
	v_ashrrev_i32_e32 v160, 18, v160
	v_lshrrev_b32_e32 v162, 31, v151
	v_ashrrev_i32_e32 v151, 18, v151
	v_add_nc_u16 v160, v160, v161
	v_add_nc_u16 v151, v151, v162
	v_cmp_ge_i16_e32 vcc_lo, v160, v151
	s_and_b32 s22, vcc_lo, exec_lo
.LBB522_457:
	s_or_b32 exec_lo, exec_lo, s19
	s_orn2_b32 s19, s22, exec_lo
.LBB522_458:
	s_or_b32 exec_lo, exec_lo, s21
	v_cndmask_b32_e64 v151, v149, v150, s19
	v_cndmask_b32_e64 v160, v112, v113, s19
	s_mov_b32 s21, exec_lo
	v_add_nc_u32_e32 v161, 1, v151
	v_add_nc_u32_e32 v151, -1, v160
	v_cndmask_b32_e64 v160, v150, v161, s19
	v_min_u32_e32 v151, v161, v151
	v_lshl_add_u32 v151, v151, 1, v102
	ds_read_u16 v162, v151
	v_cndmask_b32_e64 v151, v161, v149, s19
	s_waitcnt lgkmcnt(0)
	v_cndmask_b32_e64 v149, v162, v147, s19
	v_cndmask_b32_e64 v150, v148, v162, s19
	v_cmpx_lt_u32_e64 v151, v112
	s_cbranch_execz .LBB522_462
; %bb.459:
	s_mov_b32 s22, 0
	s_mov_b32 s20, exec_lo
	v_cmpx_lt_u32_e64 v160, v113
	s_cbranch_execz .LBB522_461
; %bb.460:
	v_mov_b32_e32 v161, 0x6667
	v_mul_i32_i24_sdwa v162, sext(v149), v161 dst_sel:DWORD dst_unused:UNUSED_PAD src0_sel:WORD_0 src1_sel:DWORD
	v_mul_i32_i24_sdwa v161, sext(v150), v161 dst_sel:DWORD dst_unused:UNUSED_PAD src0_sel:WORD_0 src1_sel:DWORD
	v_lshrrev_b32_e32 v163, 31, v162
	v_ashrrev_i32_e32 v162, 18, v162
	v_lshrrev_b32_e32 v164, 31, v161
	v_ashrrev_i32_e32 v161, 18, v161
	v_add_nc_u16 v162, v162, v163
	v_add_nc_u16 v161, v161, v164
	v_cmp_ge_i16_e32 vcc_lo, v162, v161
	s_and_b32 s22, vcc_lo, exec_lo
.LBB522_461:
	s_or_b32 exec_lo, exec_lo, s20
	s_orn2_b32 s20, s22, exec_lo
.LBB522_462:
	s_or_b32 exec_lo, exec_lo, s21
	v_cndmask_b32_e64 v161, v151, v160, s20
	v_cndmask_b32_e64 v162, v112, v113, s20
	s_mov_b32 s22, -1
	s_mov_b32 s21, -1
	s_mov_b32 s23, exec_lo
	v_add_nc_u32_e32 v163, 1, v161
	v_add_nc_u32_e32 v161, -1, v162
	v_cndmask_b32_e64 v162, v160, v163, s20
	v_min_u32_e32 v161, v163, v161
	v_lshl_add_u32 v161, v161, 1, v102
	ds_read_u16 v164, v161
	v_cndmask_b32_e64 v161, v163, v151, s20
	s_waitcnt lgkmcnt(0)
	v_cndmask_b32_e64 v151, v164, v149, s20
	v_cndmask_b32_e64 v160, v150, v164, s20
	v_cmpx_lt_u32_e64 v161, v112
	s_cbranch_execz .LBB522_466
; %bb.463:
	s_mov_b32 s24, 0
	s_mov_b32 s21, exec_lo
	v_cmpx_lt_u32_e64 v162, v113
	s_cbranch_execz .LBB522_465
; %bb.464:
	v_mov_b32_e32 v163, 0x6667
	v_mul_i32_i24_sdwa v164, sext(v151), v163 dst_sel:DWORD dst_unused:UNUSED_PAD src0_sel:WORD_0 src1_sel:DWORD
	v_mul_i32_i24_sdwa v163, sext(v160), v163 dst_sel:DWORD dst_unused:UNUSED_PAD src0_sel:WORD_0 src1_sel:DWORD
	v_lshrrev_b32_e32 v165, 31, v164
	v_ashrrev_i32_e32 v164, 18, v164
	v_lshrrev_b32_e32 v166, 31, v163
	v_ashrrev_i32_e32 v163, 18, v163
	v_add_nc_u16 v164, v164, v165
	v_add_nc_u16 v163, v163, v166
	v_cmp_ge_i16_e32 vcc_lo, v164, v163
	s_and_b32 s24, vcc_lo, exec_lo
.LBB522_465:
	s_or_b32 exec_lo, exec_lo, s21
	s_orn2_b32 s21, s24, exec_lo
.LBB522_466:
	s_or_b32 exec_lo, exec_lo, s23
	v_cndmask_b32_e64 v163, v161, v162, s21
	v_cndmask_b32_e64 v164, v112, v113, s21
	s_mov_b32 s23, exec_lo
	v_add_nc_u32_e32 v165, 1, v163
	v_add_nc_u32_e32 v163, -1, v164
	v_cndmask_b32_e64 v164, v162, v165, s21
	v_min_u32_e32 v163, v165, v163
	v_lshl_add_u32 v163, v163, 1, v102
	ds_read_u16 v166, v163
	v_cndmask_b32_e64 v163, v165, v161, s21
	s_waitcnt lgkmcnt(0)
	v_cndmask_b32_e64 v161, v166, v151, s21
	v_cndmask_b32_e64 v162, v160, v166, s21
	v_cmpx_lt_u32_e64 v163, v112
	s_cbranch_execz .LBB522_470
; %bb.467:
	s_mov_b32 s24, 0
	s_mov_b32 s22, exec_lo
	v_cmpx_lt_u32_e64 v164, v113
	s_cbranch_execz .LBB522_469
; %bb.468:
	v_mov_b32_e32 v165, 0x6667
	v_mul_i32_i24_sdwa v166, sext(v161), v165 dst_sel:DWORD dst_unused:UNUSED_PAD src0_sel:WORD_0 src1_sel:DWORD
	v_mul_i32_i24_sdwa v165, sext(v162), v165 dst_sel:DWORD dst_unused:UNUSED_PAD src0_sel:WORD_0 src1_sel:DWORD
	v_lshrrev_b32_e32 v167, 31, v166
	v_ashrrev_i32_e32 v166, 18, v166
	v_lshrrev_b32_e32 v176, 31, v165
	v_ashrrev_i32_e32 v165, 18, v165
	v_add_nc_u16 v166, v166, v167
	v_add_nc_u16 v165, v165, v176
	v_cmp_ge_i16_e32 vcc_lo, v166, v165
	s_and_b32 s24, vcc_lo, exec_lo
.LBB522_469:
	s_or_b32 exec_lo, exec_lo, s22
	s_orn2_b32 s22, s24, exec_lo
.LBB522_470:
	s_or_b32 exec_lo, exec_lo, s23
	v_cndmask_b32_e64 v165, v163, v164, s22
	v_cndmask_b32_e64 v166, v112, v113, s22
	s_mov_b32 s24, -1
	s_mov_b32 s23, -1
	s_mov_b32 s25, exec_lo
	v_add_nc_u32_e32 v167, 1, v165
	v_add_nc_u32_e32 v165, -1, v166
	v_cndmask_b32_e64 v166, v164, v167, s22
	v_min_u32_e32 v165, v167, v165
	v_lshl_add_u32 v165, v165, 1, v102
	ds_read_u16 v176, v165
	v_cndmask_b32_e64 v165, v167, v163, s22
	s_waitcnt lgkmcnt(0)
	v_cndmask_b32_e64 v163, v176, v161, s22
	v_cndmask_b32_e64 v164, v162, v176, s22
	v_cmpx_lt_u32_e64 v165, v112
	s_cbranch_execz .LBB522_474
; %bb.471:
	s_mov_b32 s26, 0
	s_mov_b32 s23, exec_lo
	v_cmpx_lt_u32_e64 v166, v113
	s_cbranch_execz .LBB522_473
; %bb.472:
	v_mov_b32_e32 v167, 0x6667
	v_mul_i32_i24_sdwa v176, sext(v163), v167 dst_sel:DWORD dst_unused:UNUSED_PAD src0_sel:WORD_0 src1_sel:DWORD
	v_mul_i32_i24_sdwa v167, sext(v164), v167 dst_sel:DWORD dst_unused:UNUSED_PAD src0_sel:WORD_0 src1_sel:DWORD
	v_lshrrev_b32_e32 v177, 31, v176
	v_ashrrev_i32_e32 v176, 18, v176
	v_lshrrev_b32_e32 v178, 31, v167
	v_ashrrev_i32_e32 v167, 18, v167
	v_add_nc_u16 v176, v176, v177
	v_add_nc_u16 v167, v167, v178
	v_cmp_ge_i16_e32 vcc_lo, v176, v167
	s_and_b32 s26, vcc_lo, exec_lo
.LBB522_473:
	s_or_b32 exec_lo, exec_lo, s23
	s_orn2_b32 s23, s26, exec_lo
.LBB522_474:
	s_or_b32 exec_lo, exec_lo, s25
	v_cndmask_b32_e64 v167, v165, v166, s23
	v_cndmask_b32_e64 v176, v112, v113, s23
	s_mov_b32 s25, exec_lo
	v_add_nc_u32_e32 v177, 1, v167
	v_add_nc_u32_e32 v167, -1, v176
	v_cndmask_b32_e64 v176, v166, v177, s23
	v_min_u32_e32 v167, v177, v167
	v_lshl_add_u32 v167, v167, 1, v102
	ds_read_u16 v178, v167
	v_cndmask_b32_e64 v167, v177, v165, s23
	s_waitcnt lgkmcnt(0)
	v_cndmask_b32_e64 v165, v178, v163, s23
	v_cndmask_b32_e64 v166, v164, v178, s23
	v_cmpx_lt_u32_e64 v167, v112
	s_cbranch_execz .LBB522_478
; %bb.475:
	s_mov_b32 s26, 0
	s_mov_b32 s24, exec_lo
	v_cmpx_lt_u32_e64 v176, v113
	s_cbranch_execz .LBB522_477
; %bb.476:
	v_mov_b32_e32 v177, 0x6667
	v_mul_i32_i24_sdwa v178, sext(v165), v177 dst_sel:DWORD dst_unused:UNUSED_PAD src0_sel:WORD_0 src1_sel:DWORD
	v_mul_i32_i24_sdwa v177, sext(v166), v177 dst_sel:DWORD dst_unused:UNUSED_PAD src0_sel:WORD_0 src1_sel:DWORD
	v_lshrrev_b32_e32 v179, 31, v178
	v_ashrrev_i32_e32 v178, 18, v178
	v_lshrrev_b32_e32 v180, 31, v177
	v_ashrrev_i32_e32 v177, 18, v177
	v_add_nc_u16 v178, v178, v179
	v_add_nc_u16 v177, v177, v180
	v_cmp_ge_i16_e32 vcc_lo, v178, v177
	s_and_b32 s26, vcc_lo, exec_lo
.LBB522_477:
	s_or_b32 exec_lo, exec_lo, s24
	s_orn2_b32 s24, s26, exec_lo
.LBB522_478:
	s_or_b32 exec_lo, exec_lo, s25
	v_cndmask_b32_e64 v177, v167, v176, s24
	v_cndmask_b32_e64 v178, v112, v113, s24
	s_mov_b32 s26, -1
	s_mov_b32 s25, -1
	s_mov_b32 s27, exec_lo
	v_add_nc_u32_e32 v179, 1, v177
	v_add_nc_u32_e32 v177, -1, v178
	v_cndmask_b32_e64 v178, v176, v179, s24
	v_min_u32_e32 v177, v179, v177
	v_lshl_add_u32 v177, v177, 1, v102
	ds_read_u16 v180, v177
	v_cndmask_b32_e64 v177, v179, v167, s24
	s_waitcnt lgkmcnt(0)
	v_cndmask_b32_e64 v167, v180, v165, s24
	v_cndmask_b32_e64 v176, v166, v180, s24
	v_cmpx_lt_u32_e64 v177, v112
	s_cbranch_execz .LBB522_482
; %bb.479:
	s_mov_b32 s28, 0
	s_mov_b32 s25, exec_lo
	v_cmpx_lt_u32_e64 v178, v113
	s_cbranch_execz .LBB522_481
; %bb.480:
	v_mov_b32_e32 v179, 0x6667
	v_mul_i32_i24_sdwa v180, sext(v167), v179 dst_sel:DWORD dst_unused:UNUSED_PAD src0_sel:WORD_0 src1_sel:DWORD
	v_mul_i32_i24_sdwa v179, sext(v176), v179 dst_sel:DWORD dst_unused:UNUSED_PAD src0_sel:WORD_0 src1_sel:DWORD
	v_lshrrev_b32_e32 v181, 31, v180
	v_ashrrev_i32_e32 v180, 18, v180
	v_lshrrev_b32_e32 v182, 31, v179
	v_ashrrev_i32_e32 v179, 18, v179
	v_add_nc_u16 v180, v180, v181
	v_add_nc_u16 v179, v179, v182
	v_cmp_ge_i16_e32 vcc_lo, v180, v179
	s_and_b32 s28, vcc_lo, exec_lo
.LBB522_481:
	s_or_b32 exec_lo, exec_lo, s25
	s_orn2_b32 s25, s28, exec_lo
.LBB522_482:
	s_or_b32 exec_lo, exec_lo, s27
	v_cndmask_b32_e64 v179, v177, v178, s25
	v_cndmask_b32_e64 v180, v112, v113, s25
	s_mov_b32 s27, exec_lo
	v_add_nc_u32_e32 v179, 1, v179
	v_add_nc_u32_e32 v180, -1, v180
	v_cndmask_b32_e64 v177, v179, v177, s25
	v_min_u32_e32 v180, v179, v180
	v_cndmask_b32_e64 v179, v178, v179, s25
	v_lshl_add_u32 v180, v180, 1, v102
	ds_read_u16 v180, v180
	s_waitcnt lgkmcnt(0)
	v_cndmask_b32_e64 v178, v180, v167, s25
	v_cndmask_b32_e64 v197, v176, v180, s25
	v_cmpx_lt_u32_e64 v177, v112
	s_cbranch_execz .LBB522_486
; %bb.483:
	s_mov_b32 s28, 0
	s_mov_b32 s26, exec_lo
	v_cmpx_lt_u32_e64 v179, v113
	s_cbranch_execz .LBB522_485
; %bb.484:
	v_mov_b32_e32 v180, 0x6667
	v_mul_i32_i24_sdwa v181, sext(v178), v180 dst_sel:DWORD dst_unused:UNUSED_PAD src0_sel:WORD_0 src1_sel:DWORD
	v_mul_i32_i24_sdwa v180, sext(v197), v180 dst_sel:DWORD dst_unused:UNUSED_PAD src0_sel:WORD_0 src1_sel:DWORD
	v_lshrrev_b32_e32 v182, 31, v181
	v_ashrrev_i32_e32 v181, 18, v181
	v_lshrrev_b32_e32 v183, 31, v180
	v_ashrrev_i32_e32 v180, 18, v180
	v_add_nc_u16 v181, v181, v182
	v_add_nc_u16 v180, v180, v183
	v_cmp_ge_i16_e32 vcc_lo, v181, v180
	s_and_b32 s28, vcc_lo, exec_lo
.LBB522_485:
	s_or_b32 exec_lo, exec_lo, s26
	s_orn2_b32 s26, s28, exec_lo
.LBB522_486:
	s_or_b32 exec_lo, exec_lo, s27
	v_cndmask_b32_e64 v180, v177, v179, s26
	v_cndmask_b32_e64 v181, v112, v113, s26
	s_mov_b32 s28, -1
	s_mov_b32 s27, -1
	s_mov_b32 s29, exec_lo
	v_add_nc_u32_e32 v180, 1, v180
	v_add_nc_u32_e32 v181, -1, v181
	v_cndmask_b32_e64 v177, v180, v177, s26
	v_min_u32_e32 v181, v180, v181
	v_cndmask_b32_e64 v179, v179, v180, s26
	v_lshl_add_u32 v181, v181, 1, v102
	ds_read_u16 v181, v181
	s_waitcnt lgkmcnt(0)
	v_cndmask_b32_e64 v198, v181, v178, s26
	v_cndmask_b32_e64 v209, v197, v181, s26
	v_cmpx_lt_u32_e64 v177, v112
	s_cbranch_execz .LBB522_490
; %bb.487:
	s_mov_b32 s40, 0
	s_mov_b32 s27, exec_lo
	v_cmpx_lt_u32_e64 v179, v113
	s_cbranch_execz .LBB522_489
; %bb.488:
	v_mov_b32_e32 v180, 0x6667
	v_mul_i32_i24_sdwa v181, sext(v198), v180 dst_sel:DWORD dst_unused:UNUSED_PAD src0_sel:WORD_0 src1_sel:DWORD
	v_mul_i32_i24_sdwa v180, sext(v209), v180 dst_sel:DWORD dst_unused:UNUSED_PAD src0_sel:WORD_0 src1_sel:DWORD
	v_lshrrev_b32_e32 v182, 31, v181
	v_ashrrev_i32_e32 v181, 18, v181
	v_lshrrev_b32_e32 v183, 31, v180
	v_ashrrev_i32_e32 v180, 18, v180
	v_add_nc_u16 v181, v181, v182
	v_add_nc_u16 v180, v180, v183
	v_cmp_ge_i16_e32 vcc_lo, v181, v180
	s_and_b32 s40, vcc_lo, exec_lo
.LBB522_489:
	s_or_b32 exec_lo, exec_lo, s27
	s_orn2_b32 s27, s40, exec_lo
.LBB522_490:
	s_or_b32 exec_lo, exec_lo, s29
	v_cndmask_b32_e64 v180, v177, v179, s27
	v_cndmask_b32_e64 v181, v112, v113, s27
	s_mov_b32 s29, exec_lo
	v_add_nc_u32_e32 v180, 1, v180
	v_add_nc_u32_e32 v181, -1, v181
	v_cndmask_b32_e64 v177, v180, v177, s27
	v_min_u32_e32 v181, v180, v181
	v_cndmask_b32_e64 v179, v179, v180, s27
	v_lshl_add_u32 v181, v181, 1, v102
	ds_read_u16 v181, v181
	s_waitcnt lgkmcnt(0)
	v_cndmask_b32_e64 v194, v181, v198, s27
	v_cndmask_b32_e64 v210, v209, v181, s27
	v_cmpx_lt_u32_e64 v177, v112
	s_cbranch_execz .LBB522_494
; %bb.491:
	s_mov_b32 s40, 0
	s_mov_b32 s28, exec_lo
	v_cmpx_lt_u32_e64 v179, v113
	s_cbranch_execz .LBB522_493
; %bb.492:
	v_mov_b32_e32 v180, 0x6667
	v_mul_i32_i24_sdwa v181, sext(v194), v180 dst_sel:DWORD dst_unused:UNUSED_PAD src0_sel:WORD_0 src1_sel:DWORD
	v_mul_i32_i24_sdwa v180, sext(v210), v180 dst_sel:DWORD dst_unused:UNUSED_PAD src0_sel:WORD_0 src1_sel:DWORD
	v_lshrrev_b32_e32 v182, 31, v181
	v_ashrrev_i32_e32 v181, 18, v181
	v_lshrrev_b32_e32 v183, 31, v180
	v_ashrrev_i32_e32 v180, 18, v180
	v_add_nc_u16 v181, v181, v182
	v_add_nc_u16 v180, v180, v183
	v_cmp_ge_i16_e32 vcc_lo, v181, v180
	s_and_b32 s40, vcc_lo, exec_lo
.LBB522_493:
	s_or_b32 exec_lo, exec_lo, s28
	s_orn2_b32 s28, s40, exec_lo
.LBB522_494:
	s_or_b32 exec_lo, exec_lo, s29
	v_cndmask_b32_e64 v180, v177, v179, s28
	v_cndmask_b32_e64 v181, v112, v113, s28
	s_mov_b32 s40, -1
	s_mov_b32 s29, -1
	s_mov_b32 s41, exec_lo
	v_add_nc_u32_e32 v180, 1, v180
	v_add_nc_u32_e32 v181, -1, v181
	v_cndmask_b32_e64 v177, v180, v177, s28
	v_min_u32_e32 v181, v180, v181
	v_cndmask_b32_e64 v179, v179, v180, s28
	v_lshl_add_u32 v181, v181, 1, v102
	ds_read_u16 v181, v181
	s_waitcnt lgkmcnt(0)
	v_cndmask_b32_e64 v199, v181, v194, s28
	v_cndmask_b32_e64 v211, v210, v181, s28
	v_cmpx_lt_u32_e64 v177, v112
	s_cbranch_execz .LBB522_498
; %bb.495:
	s_mov_b32 s42, 0
	s_mov_b32 s29, exec_lo
	v_cmpx_lt_u32_e64 v179, v113
	s_cbranch_execz .LBB522_497
; %bb.496:
	v_mov_b32_e32 v180, 0x6667
	v_mul_i32_i24_sdwa v181, sext(v199), v180 dst_sel:DWORD dst_unused:UNUSED_PAD src0_sel:WORD_0 src1_sel:DWORD
	v_mul_i32_i24_sdwa v180, sext(v211), v180 dst_sel:DWORD dst_unused:UNUSED_PAD src0_sel:WORD_0 src1_sel:DWORD
	v_lshrrev_b32_e32 v182, 31, v181
	v_ashrrev_i32_e32 v181, 18, v181
	v_lshrrev_b32_e32 v183, 31, v180
	v_ashrrev_i32_e32 v180, 18, v180
	v_add_nc_u16 v181, v181, v182
	v_add_nc_u16 v180, v180, v183
	v_cmp_ge_i16_e32 vcc_lo, v181, v180
	s_and_b32 s42, vcc_lo, exec_lo
.LBB522_497:
	s_or_b32 exec_lo, exec_lo, s29
	s_orn2_b32 s29, s42, exec_lo
.LBB522_498:
	s_or_b32 exec_lo, exec_lo, s41
	v_cndmask_b32_e64 v180, v177, v179, s29
	v_cndmask_b32_e64 v181, v112, v113, s29
	s_mov_b32 s41, exec_lo
	v_add_nc_u32_e32 v180, 1, v180
	v_add_nc_u32_e32 v181, -1, v181
	v_cndmask_b32_e64 v177, v180, v177, s29
	v_min_u32_e32 v181, v180, v181
	v_cndmask_b32_e64 v179, v179, v180, s29
	v_lshl_add_u32 v181, v181, 1, v102
	ds_read_u16 v181, v181
	s_waitcnt lgkmcnt(0)
	v_cndmask_b32_e64 v193, v181, v199, s29
	v_cndmask_b32_e64 v212, v211, v181, s29
	v_cmpx_lt_u32_e64 v177, v112
	s_cbranch_execz .LBB522_502
; %bb.499:
	s_mov_b32 s42, 0
	s_mov_b32 s40, exec_lo
	v_cmpx_lt_u32_e64 v179, v113
	s_cbranch_execz .LBB522_501
; %bb.500:
	v_mov_b32_e32 v180, 0x6667
	v_mul_i32_i24_sdwa v181, sext(v193), v180 dst_sel:DWORD dst_unused:UNUSED_PAD src0_sel:WORD_0 src1_sel:DWORD
	v_mul_i32_i24_sdwa v180, sext(v212), v180 dst_sel:DWORD dst_unused:UNUSED_PAD src0_sel:WORD_0 src1_sel:DWORD
	v_lshrrev_b32_e32 v182, 31, v181
	v_ashrrev_i32_e32 v181, 18, v181
	v_lshrrev_b32_e32 v183, 31, v180
	v_ashrrev_i32_e32 v180, 18, v180
	v_add_nc_u16 v181, v181, v182
	v_add_nc_u16 v180, v180, v183
	v_cmp_ge_i16_e32 vcc_lo, v181, v180
	s_and_b32 s42, vcc_lo, exec_lo
.LBB522_501:
	s_or_b32 exec_lo, exec_lo, s40
	s_orn2_b32 s40, s42, exec_lo
.LBB522_502:
	s_or_b32 exec_lo, exec_lo, s41
	v_cndmask_b32_e64 v180, v177, v179, s40
	v_cndmask_b32_e64 v181, v112, v113, s40
	s_mov_b32 s42, -1
	s_mov_b32 s41, -1
	s_mov_b32 s43, exec_lo
	v_add_nc_u32_e32 v180, 1, v180
	v_add_nc_u32_e32 v181, -1, v181
	v_cndmask_b32_e64 v177, v180, v177, s40
	v_min_u32_e32 v181, v180, v181
	v_cndmask_b32_e64 v179, v179, v180, s40
	v_lshl_add_u32 v181, v181, 1, v102
	ds_read_u16 v181, v181
	s_waitcnt lgkmcnt(0)
	v_cndmask_b32_e64 v196, v181, v193, s40
	v_cndmask_b32_e64 v213, v212, v181, s40
	v_cmpx_lt_u32_e64 v177, v112
	s_cbranch_execz .LBB522_506
; %bb.503:
	s_mov_b32 s44, 0
	s_mov_b32 s41, exec_lo
	v_cmpx_lt_u32_e64 v179, v113
	s_cbranch_execz .LBB522_505
; %bb.504:
	v_mov_b32_e32 v180, 0x6667
	v_mul_i32_i24_sdwa v181, sext(v196), v180 dst_sel:DWORD dst_unused:UNUSED_PAD src0_sel:WORD_0 src1_sel:DWORD
	v_mul_i32_i24_sdwa v180, sext(v213), v180 dst_sel:DWORD dst_unused:UNUSED_PAD src0_sel:WORD_0 src1_sel:DWORD
	v_lshrrev_b32_e32 v182, 31, v181
	v_ashrrev_i32_e32 v181, 18, v181
	v_lshrrev_b32_e32 v183, 31, v180
	v_ashrrev_i32_e32 v180, 18, v180
	v_add_nc_u16 v181, v181, v182
	v_add_nc_u16 v180, v180, v183
	v_cmp_ge_i16_e32 vcc_lo, v181, v180
	s_and_b32 s44, vcc_lo, exec_lo
.LBB522_505:
	s_or_b32 exec_lo, exec_lo, s41
	s_orn2_b32 s41, s44, exec_lo
.LBB522_506:
	s_or_b32 exec_lo, exec_lo, s43
	v_cndmask_b32_e64 v180, v177, v179, s41
	v_cndmask_b32_e64 v181, v112, v113, s41
	s_mov_b32 s43, exec_lo
	v_add_nc_u32_e32 v180, 1, v180
	v_add_nc_u32_e32 v181, -1, v181
	v_cndmask_b32_e64 v177, v180, v177, s41
	v_min_u32_e32 v181, v180, v181
	v_cndmask_b32_e64 v179, v179, v180, s41
	v_lshl_add_u32 v181, v181, 1, v102
	ds_read_u16 v181, v181
	s_waitcnt lgkmcnt(0)
	v_cndmask_b32_e64 v182, v181, v196, s41
	v_cndmask_b32_e64 v214, v213, v181, s41
	v_cmpx_lt_u32_e64 v177, v112
	s_cbranch_execz .LBB522_510
; %bb.507:
	s_mov_b32 s44, 0
	s_mov_b32 s42, exec_lo
	v_cmpx_lt_u32_e64 v179, v113
	s_cbranch_execz .LBB522_509
; %bb.508:
	v_mov_b32_e32 v180, 0x6667
	v_mul_i32_i24_sdwa v181, sext(v182), v180 dst_sel:DWORD dst_unused:UNUSED_PAD src0_sel:WORD_0 src1_sel:DWORD
	v_mul_i32_i24_sdwa v180, sext(v214), v180 dst_sel:DWORD dst_unused:UNUSED_PAD src0_sel:WORD_0 src1_sel:DWORD
	v_lshrrev_b32_e32 v183, 31, v181
	v_ashrrev_i32_e32 v181, 18, v181
	v_lshrrev_b32_e32 v192, 31, v180
	v_ashrrev_i32_e32 v180, 18, v180
	v_add_nc_u16 v181, v181, v183
	v_add_nc_u16 v180, v180, v192
	v_cmp_ge_i16_e32 vcc_lo, v181, v180
	s_and_b32 s44, vcc_lo, exec_lo
.LBB522_509:
	s_or_b32 exec_lo, exec_lo, s42
	s_orn2_b32 s42, s44, exec_lo
.LBB522_510:
	s_or_b32 exec_lo, exec_lo, s43
	v_cndmask_b32_e64 v180, v177, v179, s42
	v_cndmask_b32_e64 v181, v112, v113, s42
	s_mov_b32 s44, -1
	s_mov_b32 s43, -1
	s_mov_b32 s45, exec_lo
	v_add_nc_u32_e32 v180, 1, v180
	v_add_nc_u32_e32 v181, -1, v181
	v_cndmask_b32_e64 v177, v180, v177, s42
	v_min_u32_e32 v181, v180, v181
	v_cndmask_b32_e64 v179, v179, v180, s42
	v_lshl_add_u32 v181, v181, 1, v102
	ds_read_u16 v181, v181
	s_waitcnt lgkmcnt(0)
	v_cndmask_b32_e64 v208, v181, v182, s42
	v_cndmask_b32_e64 v215, v214, v181, s42
	v_cmpx_lt_u32_e64 v177, v112
	s_cbranch_execz .LBB522_514
; %bb.511:
	s_mov_b32 s46, 0
	s_mov_b32 s43, exec_lo
	v_cmpx_lt_u32_e64 v179, v113
	s_cbranch_execz .LBB522_513
; %bb.512:
	v_mov_b32_e32 v180, 0x6667
	v_mul_i32_i24_sdwa v181, sext(v208), v180 dst_sel:DWORD dst_unused:UNUSED_PAD src0_sel:WORD_0 src1_sel:DWORD
	v_mul_i32_i24_sdwa v180, sext(v215), v180 dst_sel:DWORD dst_unused:UNUSED_PAD src0_sel:WORD_0 src1_sel:DWORD
	v_lshrrev_b32_e32 v183, 31, v181
	v_ashrrev_i32_e32 v181, 18, v181
	v_lshrrev_b32_e32 v192, 31, v180
	v_ashrrev_i32_e32 v180, 18, v180
	v_add_nc_u16 v181, v181, v183
	v_add_nc_u16 v180, v180, v192
	v_cmp_ge_i16_e32 vcc_lo, v181, v180
	s_and_b32 s46, vcc_lo, exec_lo
.LBB522_513:
	s_or_b32 exec_lo, exec_lo, s43
	s_orn2_b32 s43, s46, exec_lo
.LBB522_514:
	s_or_b32 exec_lo, exec_lo, s45
	v_cndmask_b32_e64 v180, v177, v179, s43
	v_cndmask_b32_e64 v181, v112, v113, s43
	s_mov_b32 s45, exec_lo
	v_add_nc_u32_e32 v180, 1, v180
	v_add_nc_u32_e32 v181, -1, v181
	v_cndmask_b32_e64 v177, v180, v177, s43
	v_min_u32_e32 v181, v180, v181
	v_cndmask_b32_e64 v179, v179, v180, s43
	v_lshl_add_u32 v181, v181, 1, v102
	ds_read_u16 v183, v181
	s_waitcnt lgkmcnt(0)
	v_cndmask_b32_e64 v181, v183, v208, s43
	v_cndmask_b32_e64 v224, v215, v183, s43
	v_cmpx_lt_u32_e64 v177, v112
	s_cbranch_execz .LBB522_518
; %bb.515:
	s_mov_b32 s46, 0
	s_mov_b32 s44, exec_lo
	v_cmpx_lt_u32_e64 v179, v113
	s_cbranch_execz .LBB522_517
; %bb.516:
	v_mov_b32_e32 v180, 0x6667
	v_mul_i32_i24_sdwa v183, sext(v181), v180 dst_sel:DWORD dst_unused:UNUSED_PAD src0_sel:WORD_0 src1_sel:DWORD
	v_mul_i32_i24_sdwa v180, sext(v224), v180 dst_sel:DWORD dst_unused:UNUSED_PAD src0_sel:WORD_0 src1_sel:DWORD
	v_lshrrev_b32_e32 v192, 31, v183
	v_ashrrev_i32_e32 v183, 18, v183
	v_lshrrev_b32_e32 v195, 31, v180
	v_ashrrev_i32_e32 v180, 18, v180
	v_add_nc_u16 v183, v183, v192
	v_add_nc_u16 v180, v180, v195
	v_cmp_ge_i16_e32 vcc_lo, v183, v180
	s_and_b32 s46, vcc_lo, exec_lo
.LBB522_517:
	s_or_b32 exec_lo, exec_lo, s44
	s_orn2_b32 s44, s46, exec_lo
.LBB522_518:
	s_or_b32 exec_lo, exec_lo, s45
	v_cndmask_b32_e64 v180, v177, v179, s44
	v_cndmask_b32_e64 v183, v112, v113, s44
	s_mov_b32 s46, -1
	s_mov_b32 s45, -1
	s_mov_b32 s47, exec_lo
	v_add_nc_u32_e32 v180, 1, v180
	v_add_nc_u32_e32 v183, -1, v183
	v_cndmask_b32_e64 v177, v180, v177, s44
	v_min_u32_e32 v183, v180, v183
	v_cndmask_b32_e64 v179, v179, v180, s44
	v_lshl_add_u32 v183, v183, 1, v102
	ds_read_u16 v183, v183
	s_waitcnt lgkmcnt(0)
	v_cndmask_b32_e64 v195, v183, v181, s44
	v_cndmask_b32_e64 v225, v224, v183, s44
	v_cmpx_lt_u32_e64 v177, v112
	s_cbranch_execz .LBB522_522
; %bb.519:
	s_mov_b32 s56, 0
	s_mov_b32 s45, exec_lo
	v_cmpx_lt_u32_e64 v179, v113
	s_cbranch_execz .LBB522_521
; %bb.520:
	v_mov_b32_e32 v180, 0x6667
	v_mul_i32_i24_sdwa v183, sext(v195), v180 dst_sel:DWORD dst_unused:UNUSED_PAD src0_sel:WORD_0 src1_sel:DWORD
	v_mul_i32_i24_sdwa v180, sext(v225), v180 dst_sel:DWORD dst_unused:UNUSED_PAD src0_sel:WORD_0 src1_sel:DWORD
	v_lshrrev_b32_e32 v192, 31, v183
	v_ashrrev_i32_e32 v183, 18, v183
	v_lshrrev_b32_e32 v226, 31, v180
	v_ashrrev_i32_e32 v180, 18, v180
	v_add_nc_u16 v183, v183, v192
	v_add_nc_u16 v180, v180, v226
	v_cmp_ge_i16_e32 vcc_lo, v183, v180
	s_and_b32 s56, vcc_lo, exec_lo
.LBB522_521:
	s_or_b32 exec_lo, exec_lo, s45
	s_orn2_b32 s45, s56, exec_lo
.LBB522_522:
	s_or_b32 exec_lo, exec_lo, s47
	v_cndmask_b32_e64 v180, v177, v179, s45
	v_cndmask_b32_e64 v183, v112, v113, s45
	s_mov_b32 s47, exec_lo
	v_add_nc_u32_e32 v180, 1, v180
	v_add_nc_u32_e32 v183, -1, v183
	v_cndmask_b32_e64 v177, v180, v177, s45
	v_min_u32_e32 v183, v180, v183
	v_cndmask_b32_e64 v179, v179, v180, s45
	v_lshl_add_u32 v183, v183, 1, v102
	ds_read_u16 v183, v183
	s_waitcnt lgkmcnt(0)
	v_cndmask_b32_e64 v192, v183, v195, s45
	v_cndmask_b32_e64 v226, v225, v183, s45
	v_cmpx_lt_u32_e64 v177, v112
	s_cbranch_execz .LBB522_526
; %bb.523:
	s_mov_b32 s56, 0
	s_mov_b32 s46, exec_lo
	v_cmpx_lt_u32_e64 v179, v113
	s_cbranch_execz .LBB522_525
; %bb.524:
	v_mov_b32_e32 v180, 0x6667
	v_mul_i32_i24_sdwa v183, sext(v192), v180 dst_sel:DWORD dst_unused:UNUSED_PAD src0_sel:WORD_0 src1_sel:DWORD
	v_mul_i32_i24_sdwa v180, sext(v226), v180 dst_sel:DWORD dst_unused:UNUSED_PAD src0_sel:WORD_0 src1_sel:DWORD
	v_lshrrev_b32_e32 v227, 31, v183
	v_ashrrev_i32_e32 v183, 18, v183
	v_lshrrev_b32_e32 v228, 31, v180
	v_ashrrev_i32_e32 v180, 18, v180
	v_add_nc_u16 v183, v183, v227
	v_add_nc_u16 v180, v180, v228
	v_cmp_ge_i16_e32 vcc_lo, v183, v180
	s_and_b32 s56, vcc_lo, exec_lo
.LBB522_525:
	s_or_b32 exec_lo, exec_lo, s46
	s_orn2_b32 s46, s56, exec_lo
.LBB522_526:
	s_or_b32 exec_lo, exec_lo, s47
	v_cndmask_b32_e64 v180, v177, v179, s46
	v_cndmask_b32_e64 v183, v112, v113, s46
	s_mov_b32 s56, -1
	s_mov_b32 s47, -1
	s_mov_b32 s57, exec_lo
	v_add_nc_u32_e32 v180, 1, v180
	v_add_nc_u32_e32 v183, -1, v183
	v_cndmask_b32_e64 v177, v180, v177, s46
	v_min_u32_e32 v183, v180, v183
	v_cndmask_b32_e64 v179, v179, v180, s46
	v_lshl_add_u32 v183, v183, 1, v102
	ds_read_u16 v227, v183
	s_waitcnt lgkmcnt(0)
	v_cndmask_b32_e64 v183, v227, v192, s46
	v_cndmask_b32_e64 v227, v226, v227, s46
	v_cmpx_lt_u32_e64 v177, v112
	s_cbranch_execz .LBB522_530
; %bb.527:
	s_mov_b32 s58, 0
	s_mov_b32 s47, exec_lo
	v_cmpx_lt_u32_e64 v179, v113
	s_cbranch_execz .LBB522_529
; %bb.528:
	v_mov_b32_e32 v180, 0x6667
	v_mul_i32_i24_sdwa v228, sext(v183), v180 dst_sel:DWORD dst_unused:UNUSED_PAD src0_sel:WORD_0 src1_sel:DWORD
	v_mul_i32_i24_sdwa v180, sext(v227), v180 dst_sel:DWORD dst_unused:UNUSED_PAD src0_sel:WORD_0 src1_sel:DWORD
	v_lshrrev_b32_e32 v229, 31, v228
	v_ashrrev_i32_e32 v228, 18, v228
	v_lshrrev_b32_e32 v230, 31, v180
	v_ashrrev_i32_e32 v180, 18, v180
	v_add_nc_u16 v228, v228, v229
	v_add_nc_u16 v180, v180, v230
	v_cmp_ge_i16_e32 vcc_lo, v228, v180
	s_and_b32 s58, vcc_lo, exec_lo
.LBB522_529:
	s_or_b32 exec_lo, exec_lo, s47
	s_orn2_b32 s47, s58, exec_lo
.LBB522_530:
	s_or_b32 exec_lo, exec_lo, s57
	v_cndmask_b32_e64 v180, v177, v179, s47
	v_cndmask_b32_e64 v228, v112, v113, s47
	s_mov_b32 s57, exec_lo
	v_add_nc_u32_e32 v180, 1, v180
	v_add_nc_u32_e32 v228, -1, v228
	v_cndmask_b32_e64 v177, v180, v177, s47
	v_min_u32_e32 v228, v180, v228
	v_cndmask_b32_e64 v179, v179, v180, s47
	v_lshl_add_u32 v228, v228, 1, v102
	ds_read_u16 v228, v228
	s_waitcnt lgkmcnt(0)
	v_cndmask_b32_e64 v180, v228, v183, s47
	v_cndmask_b32_e64 v228, v227, v228, s47
	v_cmpx_lt_u32_e64 v177, v112
	s_cbranch_execz .LBB522_534
; %bb.531:
	s_mov_b32 s58, 0
	s_mov_b32 s56, exec_lo
	v_cmpx_lt_u32_e64 v179, v113
	s_cbranch_execz .LBB522_533
; %bb.532:
	v_mov_b32_e32 v229, 0x6667
	v_mul_i32_i24_sdwa v230, sext(v180), v229 dst_sel:DWORD dst_unused:UNUSED_PAD src0_sel:WORD_0 src1_sel:DWORD
	v_mul_i32_i24_sdwa v229, sext(v228), v229 dst_sel:DWORD dst_unused:UNUSED_PAD src0_sel:WORD_0 src1_sel:DWORD
	v_lshrrev_b32_e32 v231, 31, v230
	v_ashrrev_i32_e32 v230, 18, v230
	v_lshrrev_b32_e32 v240, 31, v229
	v_ashrrev_i32_e32 v229, 18, v229
	v_add_nc_u16 v230, v230, v231
	v_add_nc_u16 v229, v229, v240
	v_cmp_ge_i16_e32 vcc_lo, v230, v229
	s_and_b32 s58, vcc_lo, exec_lo
.LBB522_533:
	s_or_b32 exec_lo, exec_lo, s56
	s_orn2_b32 s56, s58, exec_lo
.LBB522_534:
	s_or_b32 exec_lo, exec_lo, s57
	v_cndmask_b32_e64 v229, v177, v179, s56
	v_cndmask_b32_e64 v230, v112, v113, s56
	s_mov_b32 s57, -1
	s_mov_b32 s58, -1
	s_mov_b32 s59, exec_lo
	v_add_nc_u32_e32 v229, 1, v229
	v_add_nc_u32_e32 v230, -1, v230
	v_cndmask_b32_e64 v177, v229, v177, s56
	v_min_u32_e32 v230, v229, v230
	v_lshl_add_u32 v230, v230, 1, v102
	ds_read_u16 v231, v230
	v_cndmask_b32_e64 v230, v179, v229, s56
	s_waitcnt lgkmcnt(0)
	v_cndmask_b32_e64 v179, v231, v180, s56
	v_cndmask_b32_e64 v229, v228, v231, s56
	v_cmpx_lt_u32_e64 v177, v112
	s_cbranch_execz .LBB522_538
; %bb.535:
	s_mov_b32 s60, 0
	s_mov_b32 s58, exec_lo
	v_cmpx_lt_u32_e64 v230, v113
	s_cbranch_execz .LBB522_537
; %bb.536:
	v_mov_b32_e32 v231, 0x6667
	v_mul_i32_i24_sdwa v240, sext(v179), v231 dst_sel:DWORD dst_unused:UNUSED_PAD src0_sel:WORD_0 src1_sel:DWORD
	v_mul_i32_i24_sdwa v231, sext(v229), v231 dst_sel:DWORD dst_unused:UNUSED_PAD src0_sel:WORD_0 src1_sel:DWORD
	v_lshrrev_b32_e32 v241, 31, v240
	v_ashrrev_i32_e32 v240, 18, v240
	v_lshrrev_b32_e32 v242, 31, v231
	v_ashrrev_i32_e32 v231, 18, v231
	v_add_nc_u16 v240, v240, v241
	v_add_nc_u16 v231, v231, v242
	v_cmp_ge_i16_e32 vcc_lo, v240, v231
	s_and_b32 s60, vcc_lo, exec_lo
.LBB522_537:
	s_or_b32 exec_lo, exec_lo, s58
	s_orn2_b32 s58, s60, exec_lo
.LBB522_538:
	s_or_b32 exec_lo, exec_lo, s59
	v_cndmask_b32_e64 v231, v177, v230, s58
	v_cndmask_b32_e64 v240, v112, v113, s58
	s_mov_b32 s59, exec_lo
	v_add_nc_u32_e32 v231, 1, v231
	v_add_nc_u32_e32 v240, -1, v240
	v_cndmask_b32_e64 v177, v231, v177, s58
	v_min_u32_e32 v240, v231, v240
	v_cndmask_b32_e64 v231, v230, v231, s58
	v_lshl_add_u32 v240, v240, 1, v102
	ds_read_u16 v240, v240
	s_waitcnt lgkmcnt(0)
	v_cndmask_b32_e64 v230, v240, v179, s58
	v_cndmask_b32_e64 v241, v229, v240, s58
	v_cmpx_lt_u32_e64 v177, v112
	s_cbranch_execz .LBB522_542
; %bb.539:
	s_mov_b32 s60, 0
	s_mov_b32 s57, exec_lo
	v_cmpx_lt_u32_e64 v231, v113
	s_cbranch_execz .LBB522_541
; %bb.540:
	v_mov_b32_e32 v240, 0x6667
	v_mul_i32_i24_sdwa v242, sext(v230), v240 dst_sel:DWORD dst_unused:UNUSED_PAD src0_sel:WORD_0 src1_sel:DWORD
	v_mul_i32_i24_sdwa v240, sext(v241), v240 dst_sel:DWORD dst_unused:UNUSED_PAD src0_sel:WORD_0 src1_sel:DWORD
	v_lshrrev_b32_e32 v243, 31, v242
	v_ashrrev_i32_e32 v242, 18, v242
	v_lshrrev_b32_e32 v244, 31, v240
	v_ashrrev_i32_e32 v240, 18, v240
	v_add_nc_u16 v242, v242, v243
	v_add_nc_u16 v240, v240, v244
	v_cmp_ge_i16_e32 vcc_lo, v242, v240
	s_and_b32 s60, vcc_lo, exec_lo
.LBB522_541:
	s_or_b32 exec_lo, exec_lo, s57
	s_orn2_b32 s57, s60, exec_lo
.LBB522_542:
	s_or_b32 exec_lo, exec_lo, s59
	v_cndmask_b32_e64 v240, v177, v231, s57
	v_cndmask_b32_e64 v242, v112, v113, s57
	s_mov_b32 s59, exec_lo
	v_add_nc_u32_e32 v240, 1, v240
	v_add_nc_u32_e32 v242, -1, v242
	v_min_u32_e32 v242, v240, v242
	v_lshl_add_u32 v102, v242, 1, v102
	v_cndmask_b32_e64 v242, v240, v177, s57
	ds_read_u16 v102, v102
	s_waitcnt lgkmcnt(0)
	v_cndmask_b32_e64 v177, v241, v102, s57
	v_cmpx_lt_u32_e64 v242, v112
	s_cbranch_execz .LBB522_546
; %bb.543:
	v_cndmask_b32_e64 v112, v231, v240, s57
	v_cndmask_b32_e64 v102, v102, v230, s57
	s_mov_b32 s60, exec_lo
	v_cmpx_lt_u32_e64 v112, v113
	s_cbranch_execz .LBB522_545
; %bb.544:
	v_mov_b32_e32 v112, 0x6667
	v_mul_i32_i24_sdwa v113, sext(v102), v112 dst_sel:DWORD dst_unused:UNUSED_PAD src0_sel:WORD_0 src1_sel:DWORD
	v_mul_i32_i24_sdwa v112, sext(v177), v112 dst_sel:DWORD dst_unused:UNUSED_PAD src0_sel:WORD_0 src1_sel:DWORD
	v_lshrrev_b32_e32 v231, 31, v113
	v_ashrrev_i32_e32 v113, 18, v113
	v_lshrrev_b32_e32 v240, 31, v112
	v_ashrrev_i32_e32 v112, 18, v112
	v_add_nc_u16 v113, v113, v231
	v_add_nc_u16 v112, v112, v240
	v_cmp_lt_i16_e32 vcc_lo, v113, v112
	v_cndmask_b32_e32 v102, v177, v102, vcc_lo
.LBB522_545:
	s_or_b32 exec_lo, exec_lo, s60
	v_mov_b32_e32 v177, v102
.LBB522_546:
	s_or_b32 exec_lo, exec_lo, s59
	v_cndmask_b32_e64 v179, v179, v229, s58
	v_cndmask_b32_e64 v180, v180, v228, s56
	;; [unrolled: 1-line block ×31, first 2 shown]
.LBB522_547:
	s_or_b32 exec_lo, exec_lo, s5
	v_lshlrev_b32_e32 v102, 1, v9
	v_mov_b32_e32 v166, 0x6667
	s_movk_i32 s5, 0x200
	; wave barrier
	v_add_nc_u32_e32 v103, 2, v102
	v_add_nc_u32_e32 v112, 4, v102
	;; [unrolled: 1-line block ×31, first 2 shown]
	s_waitcnt lgkmcnt(0)
	s_barrier
	buffer_gl0_inv
.LBB522_548:                            ; =>This Loop Header: Depth=1
                                        ;     Child Loop BB522_550 Depth 2
	s_lshl_b32 s7, s5, 1
	ds_write_b16 v102, v178
	ds_write_b16 v103, v231
	;; [unrolled: 1-line block ×5, first 2 shown]
	s_sub_i32 s4, 0, s7
	ds_write_b16 v115, v229
	v_and_b32_e32 v241, s4, v9
	s_add_i32 s4, s7, -1
	ds_write_b16 v116, v224
	v_and_b32_e32 v242, s4, v9
	s_mov_b32 s4, exec_lo
	v_add_nc_u32_e32 v167, s5, v241
	ds_write_b16 v117, v227
	ds_write_b16 v118, v212
	;; [unrolled: 1-line block ×8, first 2 shown]
	v_min_u32_e32 v242, 0x2000, v242
	ds_write_b16 v133, v214
	ds_write_b16 v134, v197
	;; [unrolled: 1-line block ×4, first 2 shown]
	v_min_u32_e32 v167, 0x2000, v167
	ds_write_b16 v145, v199
	ds_write_b16 v146, v193
	;; [unrolled: 1-line block ×8, first 2 shown]
	v_add_nc_u32_e32 v176, s5, v167
	v_sub_nc_u32_e32 v244, v167, v241
	ds_write_b16 v161, v183
	ds_write_b16 v162, v180
	;; [unrolled: 1-line block ×5, first 2 shown]
	s_waitcnt lgkmcnt(0)
	s_barrier
	v_min_u32_e32 v176, 0x2000, v176
	v_min_u32_e32 v244, v242, v244
	buffer_gl0_inv
	v_sub_nc_u32_e32 v243, v176, v167
	v_sub_nc_u32_e64 v243, v242, v243 clamp
	v_cmpx_lt_u32_e64 v243, v244
	s_cbranch_execz .LBB522_552
; %bb.549:                              ;   in Loop: Header=BB522_548 Depth=1
	v_lshlrev_b32_e32 v245, 1, v241
	v_lshlrev_b32_e32 v246, 1, v167
	s_mov_b32 s10, 0
	.p2align	6
.LBB522_550:                            ;   Parent Loop BB522_548 Depth=1
                                        ; =>  This Inner Loop Header: Depth=2
	v_add_nc_u32_e32 v247, v244, v243
	v_lshrrev_b32_e32 v40, 1, v247
	v_and_b32_e32 v247, -2, v247
	v_xad_u32 v41, v40, -1, v242
	v_add_nc_u32_e32 v247, v245, v247
	v_lshl_add_u32 v41, v41, 1, v246
	ds_read_i16 v247, v247
	ds_read_i16 v41, v41
	s_waitcnt lgkmcnt(1)
	v_mul_i32_i24_e32 v247, 0x6667, v247
	s_waitcnt lgkmcnt(0)
	v_mul_i32_i24_e32 v41, 0x6667, v41
	v_lshrrev_b32_e32 v42, 31, v247
	v_ashrrev_i32_e32 v247, 18, v247
	v_lshrrev_b32_e32 v43, 31, v41
	v_ashrrev_i32_e32 v41, 18, v41
	v_add_nc_u16 v247, v247, v42
	v_add_nc_u32_e32 v42, 1, v40
	v_add_nc_u16 v41, v41, v43
	v_cmp_lt_i16_e32 vcc_lo, v41, v247
	v_cndmask_b32_e32 v244, v244, v40, vcc_lo
	v_cndmask_b32_e32 v243, v42, v243, vcc_lo
	v_cmp_ge_u32_e32 vcc_lo, v243, v244
	s_or_b32 s10, vcc_lo, s10
	s_andn2_b32 exec_lo, exec_lo, s10
	s_cbranch_execnz .LBB522_550
; %bb.551:                              ;   in Loop: Header=BB522_548 Depth=1
	s_or_b32 exec_lo, exec_lo, s10
.LBB522_552:                            ;   in Loop: Header=BB522_548 Depth=1
	s_or_b32 exec_lo, exec_lo, s4
	v_sub_nc_u32_e32 v242, v242, v243
	v_add_nc_u32_e32 v241, v243, v241
	v_add_nc_u32_e32 v242, v242, v167
	v_cmp_le_u32_e32 vcc_lo, v241, v167
	v_cmp_le_u32_e64 s4, v242, v176
	s_or_b32 s4, vcc_lo, s4
	s_and_saveexec_b32 s10, s4
	s_cbranch_execz .LBB522_684
; %bb.553:                              ;   in Loop: Header=BB522_548 Depth=1
	s_mov_b32 s11, exec_lo
	v_cmp_ge_u32_e32 vcc_lo, v241, v167
                                        ; implicit-def: $vgpr178
	v_cmpx_lt_u32_e64 v241, v167
; %bb.554:                              ;   in Loop: Header=BB522_548 Depth=1
	v_lshlrev_b32_e32 v177, 1, v241
	ds_read_u16 v178, v177
; %bb.555:                              ;   in Loop: Header=BB522_548 Depth=1
	s_or_b32 exec_lo, exec_lo, s11
	v_cmp_ge_u32_e64 s11, v242, v176
	s_mov_b32 s14, exec_lo
                                        ; implicit-def: $vgpr230
	v_cmpx_lt_u32_e64 v242, v176
; %bb.556:                              ;   in Loop: Header=BB522_548 Depth=1
	v_lshlrev_b32_e32 v177, 1, v242
	ds_read_u16 v230, v177
; %bb.557:                              ;   in Loop: Header=BB522_548 Depth=1
	s_or_b32 exec_lo, exec_lo, s14
	s_nor_b32 s14, vcc_lo, s11
	s_and_saveexec_b32 s4, s14
	s_cbranch_execz .LBB522_559
; %bb.558:                              ;   in Loop: Header=BB522_548 Depth=1
	s_waitcnt lgkmcnt(0)
	v_mul_i32_i24_sdwa v177, sext(v230), v166 dst_sel:DWORD dst_unused:UNUSED_PAD src0_sel:WORD_0 src1_sel:DWORD
	v_mul_i32_i24_sdwa v179, sext(v178), v166 dst_sel:DWORD dst_unused:UNUSED_PAD src0_sel:WORD_0 src1_sel:DWORD
	s_andn2_b32 s11, s11, exec_lo
	v_lshrrev_b32_e32 v180, 31, v177
	v_ashrrev_i32_e32 v177, 18, v177
	v_lshrrev_b32_e32 v181, 31, v179
	v_ashrrev_i32_e32 v179, 18, v179
	v_add_nc_u16 v177, v177, v180
	v_add_nc_u16 v179, v179, v181
	v_cmp_ge_i16_e32 vcc_lo, v177, v179
	s_and_b32 s14, vcc_lo, exec_lo
	s_or_b32 s11, s11, s14
.LBB522_559:                            ;   in Loop: Header=BB522_548 Depth=1
	s_or_b32 exec_lo, exec_lo, s4
	v_cndmask_b32_e64 v177, v242, v241, s11
	v_cndmask_b32_e64 v179, v176, v167, s11
	s_mov_b32 s14, -1
	s_mov_b32 s4, -1
	s_mov_b32 s15, exec_lo
	v_add_nc_u32_e32 v180, 1, v177
	v_add_nc_u32_e32 v177, -1, v179
	v_cndmask_b32_e64 v179, v241, v180, s11
	v_min_u32_e32 v177, v180, v177
	v_lshlrev_b32_e32 v177, 1, v177
	ds_read_u16 v181, v177
	v_cndmask_b32_e64 v177, v180, v242, s11
	s_waitcnt lgkmcnt(0)
	v_cndmask_b32_e64 v231, v181, v230, s11
	v_cndmask_b32_e64 v241, v178, v181, s11
	v_cmpx_lt_u32_e64 v177, v176
	s_cbranch_execz .LBB522_563
; %bb.560:                              ;   in Loop: Header=BB522_548 Depth=1
	s_mov_b32 s16, 0
	s_mov_b32 s4, exec_lo
	v_cmpx_lt_u32_e64 v179, v167
	s_cbranch_execz .LBB522_562
; %bb.561:                              ;   in Loop: Header=BB522_548 Depth=1
	v_mul_i32_i24_sdwa v180, sext(v231), v166 dst_sel:DWORD dst_unused:UNUSED_PAD src0_sel:WORD_0 src1_sel:DWORD
	v_mul_i32_i24_sdwa v181, sext(v241), v166 dst_sel:DWORD dst_unused:UNUSED_PAD src0_sel:WORD_0 src1_sel:DWORD
	v_lshrrev_b32_e32 v182, 31, v180
	v_ashrrev_i32_e32 v180, 18, v180
	v_lshrrev_b32_e32 v183, 31, v181
	v_ashrrev_i32_e32 v181, 18, v181
	v_add_nc_u16 v180, v180, v182
	v_add_nc_u16 v181, v181, v183
	v_cmp_ge_i16_e32 vcc_lo, v180, v181
	s_and_b32 s16, vcc_lo, exec_lo
.LBB522_562:                            ;   in Loop: Header=BB522_548 Depth=1
	s_or_b32 exec_lo, exec_lo, s4
	s_orn2_b32 s4, s16, exec_lo
.LBB522_563:                            ;   in Loop: Header=BB522_548 Depth=1
	s_or_b32 exec_lo, exec_lo, s15
	v_cndmask_b32_e64 v180, v177, v179, s4
	v_cndmask_b32_e64 v181, v176, v167, s4
	s_mov_b32 s15, exec_lo
	v_add_nc_u32_e32 v180, 1, v180
	v_add_nc_u32_e32 v181, -1, v181
	v_cndmask_b32_e64 v177, v180, v177, s4
	v_min_u32_e32 v181, v180, v181
	v_cndmask_b32_e64 v179, v179, v180, s4
	v_lshlrev_b32_e32 v181, 1, v181
	ds_read_u16 v181, v181
	s_waitcnt lgkmcnt(0)
	v_cndmask_b32_e64 v226, v181, v231, s4
	v_cndmask_b32_e64 v242, v241, v181, s4
	v_cmpx_lt_u32_e64 v177, v176
	s_cbranch_execz .LBB522_567
; %bb.564:                              ;   in Loop: Header=BB522_548 Depth=1
	s_mov_b32 s16, 0
	s_mov_b32 s14, exec_lo
	v_cmpx_lt_u32_e64 v179, v167
	s_cbranch_execz .LBB522_566
; %bb.565:                              ;   in Loop: Header=BB522_548 Depth=1
	v_mul_i32_i24_sdwa v180, sext(v226), v166 dst_sel:DWORD dst_unused:UNUSED_PAD src0_sel:WORD_0 src1_sel:DWORD
	v_mul_i32_i24_sdwa v181, sext(v242), v166 dst_sel:DWORD dst_unused:UNUSED_PAD src0_sel:WORD_0 src1_sel:DWORD
	v_lshrrev_b32_e32 v182, 31, v180
	v_ashrrev_i32_e32 v180, 18, v180
	v_lshrrev_b32_e32 v183, 31, v181
	v_ashrrev_i32_e32 v181, 18, v181
	v_add_nc_u16 v180, v180, v182
	v_add_nc_u16 v181, v181, v183
	v_cmp_ge_i16_e32 vcc_lo, v180, v181
	s_and_b32 s16, vcc_lo, exec_lo
.LBB522_566:                            ;   in Loop: Header=BB522_548 Depth=1
	s_or_b32 exec_lo, exec_lo, s14
	s_orn2_b32 s14, s16, exec_lo
.LBB522_567:                            ;   in Loop: Header=BB522_548 Depth=1
	s_or_b32 exec_lo, exec_lo, s15
	v_cndmask_b32_e64 v180, v177, v179, s14
	v_cndmask_b32_e64 v181, v176, v167, s14
	s_mov_b32 s16, -1
	s_mov_b32 s15, -1
	s_mov_b32 s17, exec_lo
	v_add_nc_u32_e32 v180, 1, v180
	v_add_nc_u32_e32 v181, -1, v181
	v_cndmask_b32_e64 v177, v180, v177, s14
	v_min_u32_e32 v181, v180, v181
	v_cndmask_b32_e64 v179, v179, v180, s14
	v_lshlrev_b32_e32 v181, 1, v181
	ds_read_u16 v181, v181
	s_waitcnt lgkmcnt(0)
	v_cndmask_b32_e64 v240, v181, v226, s14
	v_cndmask_b32_e64 v243, v242, v181, s14
	v_cmpx_lt_u32_e64 v177, v176
	s_cbranch_execz .LBB522_571
; %bb.568:                              ;   in Loop: Header=BB522_548 Depth=1
	s_mov_b32 s18, 0
	s_mov_b32 s15, exec_lo
	v_cmpx_lt_u32_e64 v179, v167
	s_cbranch_execz .LBB522_570
; %bb.569:                              ;   in Loop: Header=BB522_548 Depth=1
	v_mul_i32_i24_sdwa v180, sext(v240), v166 dst_sel:DWORD dst_unused:UNUSED_PAD src0_sel:WORD_0 src1_sel:DWORD
	v_mul_i32_i24_sdwa v181, sext(v243), v166 dst_sel:DWORD dst_unused:UNUSED_PAD src0_sel:WORD_0 src1_sel:DWORD
	v_lshrrev_b32_e32 v182, 31, v180
	v_ashrrev_i32_e32 v180, 18, v180
	v_lshrrev_b32_e32 v183, 31, v181
	v_ashrrev_i32_e32 v181, 18, v181
	v_add_nc_u16 v180, v180, v182
	v_add_nc_u16 v181, v181, v183
	v_cmp_ge_i16_e32 vcc_lo, v180, v181
	s_and_b32 s18, vcc_lo, exec_lo
.LBB522_570:                            ;   in Loop: Header=BB522_548 Depth=1
	s_or_b32 exec_lo, exec_lo, s15
	s_orn2_b32 s15, s18, exec_lo
.LBB522_571:                            ;   in Loop: Header=BB522_548 Depth=1
	s_or_b32 exec_lo, exec_lo, s17
	v_cndmask_b32_e64 v180, v177, v179, s15
	v_cndmask_b32_e64 v181, v176, v167, s15
	s_mov_b32 s17, exec_lo
	v_add_nc_u32_e32 v180, 1, v180
	v_add_nc_u32_e32 v181, -1, v181
	v_cndmask_b32_e64 v177, v180, v177, s15
	v_min_u32_e32 v181, v180, v181
	v_cndmask_b32_e64 v179, v179, v180, s15
	v_lshlrev_b32_e32 v181, 1, v181
	ds_read_u16 v181, v181
	s_waitcnt lgkmcnt(0)
	v_cndmask_b32_e64 v225, v181, v240, s15
	v_cndmask_b32_e64 v244, v243, v181, s15
	v_cmpx_lt_u32_e64 v177, v176
	s_cbranch_execz .LBB522_575
; %bb.572:                              ;   in Loop: Header=BB522_548 Depth=1
	s_mov_b32 s18, 0
	s_mov_b32 s16, exec_lo
	v_cmpx_lt_u32_e64 v179, v167
	s_cbranch_execz .LBB522_574
; %bb.573:                              ;   in Loop: Header=BB522_548 Depth=1
	v_mul_i32_i24_sdwa v180, sext(v225), v166 dst_sel:DWORD dst_unused:UNUSED_PAD src0_sel:WORD_0 src1_sel:DWORD
	v_mul_i32_i24_sdwa v181, sext(v244), v166 dst_sel:DWORD dst_unused:UNUSED_PAD src0_sel:WORD_0 src1_sel:DWORD
	v_lshrrev_b32_e32 v182, 31, v180
	v_ashrrev_i32_e32 v180, 18, v180
	v_lshrrev_b32_e32 v183, 31, v181
	v_ashrrev_i32_e32 v181, 18, v181
	v_add_nc_u16 v180, v180, v182
	v_add_nc_u16 v181, v181, v183
	v_cmp_ge_i16_e32 vcc_lo, v180, v181
	s_and_b32 s18, vcc_lo, exec_lo
.LBB522_574:                            ;   in Loop: Header=BB522_548 Depth=1
	s_or_b32 exec_lo, exec_lo, s16
	s_orn2_b32 s16, s18, exec_lo
.LBB522_575:                            ;   in Loop: Header=BB522_548 Depth=1
	s_or_b32 exec_lo, exec_lo, s17
	v_cndmask_b32_e64 v180, v177, v179, s16
	v_cndmask_b32_e64 v181, v176, v167, s16
	s_mov_b32 s18, -1
	s_mov_b32 s17, -1
	s_mov_b32 s19, exec_lo
	v_add_nc_u32_e32 v180, 1, v180
	v_add_nc_u32_e32 v181, -1, v181
	v_cndmask_b32_e64 v177, v180, v177, s16
	v_min_u32_e32 v181, v180, v181
	v_cndmask_b32_e64 v179, v179, v180, s16
	v_lshlrev_b32_e32 v181, 1, v181
	ds_read_u16 v181, v181
	s_waitcnt lgkmcnt(0)
	v_cndmask_b32_e64 v229, v181, v225, s16
	v_cndmask_b32_e64 v245, v244, v181, s16
	v_cmpx_lt_u32_e64 v177, v176
	s_cbranch_execz .LBB522_579
; %bb.576:                              ;   in Loop: Header=BB522_548 Depth=1
	s_mov_b32 s20, 0
	s_mov_b32 s17, exec_lo
	v_cmpx_lt_u32_e64 v179, v167
	s_cbranch_execz .LBB522_578
; %bb.577:                              ;   in Loop: Header=BB522_548 Depth=1
	v_mul_i32_i24_sdwa v180, sext(v229), v166 dst_sel:DWORD dst_unused:UNUSED_PAD src0_sel:WORD_0 src1_sel:DWORD
	v_mul_i32_i24_sdwa v181, sext(v245), v166 dst_sel:DWORD dst_unused:UNUSED_PAD src0_sel:WORD_0 src1_sel:DWORD
	v_lshrrev_b32_e32 v182, 31, v180
	v_ashrrev_i32_e32 v180, 18, v180
	v_lshrrev_b32_e32 v183, 31, v181
	v_ashrrev_i32_e32 v181, 18, v181
	v_add_nc_u16 v180, v180, v182
	v_add_nc_u16 v181, v181, v183
	v_cmp_ge_i16_e32 vcc_lo, v180, v181
	s_and_b32 s20, vcc_lo, exec_lo
.LBB522_578:                            ;   in Loop: Header=BB522_548 Depth=1
	s_or_b32 exec_lo, exec_lo, s17
	s_orn2_b32 s17, s20, exec_lo
.LBB522_579:                            ;   in Loop: Header=BB522_548 Depth=1
	s_or_b32 exec_lo, exec_lo, s19
	v_cndmask_b32_e64 v180, v177, v179, s17
	v_cndmask_b32_e64 v181, v176, v167, s17
	s_mov_b32 s19, exec_lo
	v_add_nc_u32_e32 v180, 1, v180
	v_add_nc_u32_e32 v181, -1, v181
	v_cndmask_b32_e64 v177, v180, v177, s17
	v_min_u32_e32 v181, v180, v181
	v_cndmask_b32_e64 v179, v179, v180, s17
	v_lshlrev_b32_e32 v181, 1, v181
	ds_read_u16 v181, v181
	s_waitcnt lgkmcnt(0)
	v_cndmask_b32_e64 v224, v181, v229, s17
	v_cndmask_b32_e64 v246, v245, v181, s17
	v_cmpx_lt_u32_e64 v177, v176
	s_cbranch_execz .LBB522_583
; %bb.580:                              ;   in Loop: Header=BB522_548 Depth=1
	s_mov_b32 s20, 0
	s_mov_b32 s18, exec_lo
	v_cmpx_lt_u32_e64 v179, v167
	s_cbranch_execz .LBB522_582
; %bb.581:                              ;   in Loop: Header=BB522_548 Depth=1
	v_mul_i32_i24_sdwa v180, sext(v224), v166 dst_sel:DWORD dst_unused:UNUSED_PAD src0_sel:WORD_0 src1_sel:DWORD
	v_mul_i32_i24_sdwa v181, sext(v246), v166 dst_sel:DWORD dst_unused:UNUSED_PAD src0_sel:WORD_0 src1_sel:DWORD
	v_lshrrev_b32_e32 v182, 31, v180
	v_ashrrev_i32_e32 v180, 18, v180
	v_lshrrev_b32_e32 v183, 31, v181
	v_ashrrev_i32_e32 v181, 18, v181
	v_add_nc_u16 v180, v180, v182
	v_add_nc_u16 v181, v181, v183
	v_cmp_ge_i16_e32 vcc_lo, v180, v181
	s_and_b32 s20, vcc_lo, exec_lo
.LBB522_582:                            ;   in Loop: Header=BB522_548 Depth=1
	s_or_b32 exec_lo, exec_lo, s18
	s_orn2_b32 s18, s20, exec_lo
.LBB522_583:                            ;   in Loop: Header=BB522_548 Depth=1
	s_or_b32 exec_lo, exec_lo, s19
	v_cndmask_b32_e64 v180, v177, v179, s18
	v_cndmask_b32_e64 v181, v176, v167, s18
	s_mov_b32 s20, -1
	s_mov_b32 s19, -1
	s_mov_b32 s21, exec_lo
	v_add_nc_u32_e32 v180, 1, v180
	v_add_nc_u32_e32 v181, -1, v181
	v_cndmask_b32_e64 v177, v180, v177, s18
	v_min_u32_e32 v181, v180, v181
	v_cndmask_b32_e64 v179, v179, v180, s18
	v_lshlrev_b32_e32 v181, 1, v181
	ds_read_u16 v181, v181
	s_waitcnt lgkmcnt(0)
	v_cndmask_b32_e64 v227, v181, v224, s18
	v_cndmask_b32_e64 v247, v246, v181, s18
	v_cmpx_lt_u32_e64 v177, v176
	s_cbranch_execz .LBB522_587
; %bb.584:                              ;   in Loop: Header=BB522_548 Depth=1
	s_mov_b32 s22, 0
	s_mov_b32 s19, exec_lo
	v_cmpx_lt_u32_e64 v179, v167
	s_cbranch_execz .LBB522_586
; %bb.585:                              ;   in Loop: Header=BB522_548 Depth=1
	v_mul_i32_i24_sdwa v180, sext(v227), v166 dst_sel:DWORD dst_unused:UNUSED_PAD src0_sel:WORD_0 src1_sel:DWORD
	v_mul_i32_i24_sdwa v181, sext(v247), v166 dst_sel:DWORD dst_unused:UNUSED_PAD src0_sel:WORD_0 src1_sel:DWORD
	v_lshrrev_b32_e32 v182, 31, v180
	v_ashrrev_i32_e32 v180, 18, v180
	v_lshrrev_b32_e32 v183, 31, v181
	v_ashrrev_i32_e32 v181, 18, v181
	v_add_nc_u16 v180, v180, v182
	v_add_nc_u16 v181, v181, v183
	v_cmp_ge_i16_e32 vcc_lo, v180, v181
	s_and_b32 s22, vcc_lo, exec_lo
.LBB522_586:                            ;   in Loop: Header=BB522_548 Depth=1
	s_or_b32 exec_lo, exec_lo, s19
	s_orn2_b32 s19, s22, exec_lo
.LBB522_587:                            ;   in Loop: Header=BB522_548 Depth=1
	s_or_b32 exec_lo, exec_lo, s21
	v_cndmask_b32_e64 v180, v177, v179, s19
	v_cndmask_b32_e64 v181, v176, v167, s19
	s_mov_b32 s21, exec_lo
	v_add_nc_u32_e32 v180, 1, v180
	v_add_nc_u32_e32 v181, -1, v181
	v_cndmask_b32_e64 v177, v180, v177, s19
	v_min_u32_e32 v181, v180, v181
	v_cndmask_b32_e64 v179, v179, v180, s19
	v_lshlrev_b32_e32 v181, 1, v181
	ds_read_u16 v181, v181
	s_waitcnt lgkmcnt(0)
	v_cndmask_b32_e64 v212, v181, v227, s19
	v_cndmask_b32_e64 v40, v247, v181, s19
	v_cmpx_lt_u32_e64 v177, v176
	s_cbranch_execz .LBB522_591
; %bb.588:                              ;   in Loop: Header=BB522_548 Depth=1
	s_mov_b32 s22, 0
	s_mov_b32 s20, exec_lo
	v_cmpx_lt_u32_e64 v179, v167
	s_cbranch_execz .LBB522_590
; %bb.589:                              ;   in Loop: Header=BB522_548 Depth=1
	v_mul_i32_i24_sdwa v180, sext(v212), v166 dst_sel:DWORD dst_unused:UNUSED_PAD src0_sel:WORD_0 src1_sel:DWORD
	v_mul_i32_i24_sdwa v181, sext(v40), v166 dst_sel:DWORD dst_unused:UNUSED_PAD src0_sel:WORD_0 src1_sel:DWORD
	v_lshrrev_b32_e32 v182, 31, v180
	v_ashrrev_i32_e32 v180, 18, v180
	v_lshrrev_b32_e32 v183, 31, v181
	v_ashrrev_i32_e32 v181, 18, v181
	v_add_nc_u16 v180, v180, v182
	v_add_nc_u16 v181, v181, v183
	v_cmp_ge_i16_e32 vcc_lo, v180, v181
	s_and_b32 s22, vcc_lo, exec_lo
.LBB522_590:                            ;   in Loop: Header=BB522_548 Depth=1
	s_or_b32 exec_lo, exec_lo, s20
	s_orn2_b32 s20, s22, exec_lo
.LBB522_591:                            ;   in Loop: Header=BB522_548 Depth=1
	s_or_b32 exec_lo, exec_lo, s21
	v_cndmask_b32_e64 v180, v177, v179, s20
	v_cndmask_b32_e64 v181, v176, v167, s20
	s_mov_b32 s22, -1
	s_mov_b32 s21, -1
	s_mov_b32 s23, exec_lo
	v_add_nc_u32_e32 v180, 1, v180
	v_add_nc_u32_e32 v181, -1, v181
	v_cndmask_b32_e64 v177, v180, v177, s20
	v_min_u32_e32 v181, v180, v181
	v_cndmask_b32_e64 v179, v179, v180, s20
	v_lshlrev_b32_e32 v181, 1, v181
	ds_read_u16 v181, v181
	s_waitcnt lgkmcnt(0)
	v_cndmask_b32_e64 v228, v181, v212, s20
	v_cndmask_b32_e64 v41, v40, v181, s20
	v_cmpx_lt_u32_e64 v177, v176
	s_cbranch_execz .LBB522_595
; %bb.592:                              ;   in Loop: Header=BB522_548 Depth=1
	s_mov_b32 s24, 0
	s_mov_b32 s21, exec_lo
	v_cmpx_lt_u32_e64 v179, v167
	s_cbranch_execz .LBB522_594
; %bb.593:                              ;   in Loop: Header=BB522_548 Depth=1
	v_mul_i32_i24_sdwa v180, sext(v228), v166 dst_sel:DWORD dst_unused:UNUSED_PAD src0_sel:WORD_0 src1_sel:DWORD
	v_mul_i32_i24_sdwa v181, sext(v41), v166 dst_sel:DWORD dst_unused:UNUSED_PAD src0_sel:WORD_0 src1_sel:DWORD
	v_lshrrev_b32_e32 v182, 31, v180
	v_ashrrev_i32_e32 v180, 18, v180
	v_lshrrev_b32_e32 v183, 31, v181
	v_ashrrev_i32_e32 v181, 18, v181
	v_add_nc_u16 v180, v180, v182
	v_add_nc_u16 v181, v181, v183
	v_cmp_ge_i16_e32 vcc_lo, v180, v181
	s_and_b32 s24, vcc_lo, exec_lo
.LBB522_594:                            ;   in Loop: Header=BB522_548 Depth=1
	s_or_b32 exec_lo, exec_lo, s21
	s_orn2_b32 s21, s24, exec_lo
.LBB522_595:                            ;   in Loop: Header=BB522_548 Depth=1
	s_or_b32 exec_lo, exec_lo, s23
	v_cndmask_b32_e64 v180, v177, v179, s21
	v_cndmask_b32_e64 v181, v176, v167, s21
	s_mov_b32 s23, exec_lo
	v_add_nc_u32_e32 v180, 1, v180
	v_add_nc_u32_e32 v181, -1, v181
	v_cndmask_b32_e64 v177, v180, v177, s21
	v_min_u32_e32 v181, v180, v181
	v_cndmask_b32_e64 v179, v179, v180, s21
	v_lshlrev_b32_e32 v181, 1, v181
	ds_read_u16 v181, v181
	s_waitcnt lgkmcnt(0)
	v_cndmask_b32_e64 v211, v181, v228, s21
	v_cndmask_b32_e64 v42, v41, v181, s21
	v_cmpx_lt_u32_e64 v177, v176
	s_cbranch_execz .LBB522_599
; %bb.596:                              ;   in Loop: Header=BB522_548 Depth=1
	s_mov_b32 s24, 0
	s_mov_b32 s22, exec_lo
	v_cmpx_lt_u32_e64 v179, v167
	s_cbranch_execz .LBB522_598
; %bb.597:                              ;   in Loop: Header=BB522_548 Depth=1
	v_mul_i32_i24_sdwa v180, sext(v211), v166 dst_sel:DWORD dst_unused:UNUSED_PAD src0_sel:WORD_0 src1_sel:DWORD
	v_mul_i32_i24_sdwa v181, sext(v42), v166 dst_sel:DWORD dst_unused:UNUSED_PAD src0_sel:WORD_0 src1_sel:DWORD
	v_lshrrev_b32_e32 v182, 31, v180
	v_ashrrev_i32_e32 v180, 18, v180
	v_lshrrev_b32_e32 v183, 31, v181
	v_ashrrev_i32_e32 v181, 18, v181
	v_add_nc_u16 v180, v180, v182
	v_add_nc_u16 v181, v181, v183
	v_cmp_ge_i16_e32 vcc_lo, v180, v181
	s_and_b32 s24, vcc_lo, exec_lo
.LBB522_598:                            ;   in Loop: Header=BB522_548 Depth=1
	s_or_b32 exec_lo, exec_lo, s22
	s_orn2_b32 s22, s24, exec_lo
.LBB522_599:                            ;   in Loop: Header=BB522_548 Depth=1
	s_or_b32 exec_lo, exec_lo, s23
	v_cndmask_b32_e64 v180, v177, v179, s22
	v_cndmask_b32_e64 v181, v176, v167, s22
	s_mov_b32 s24, -1
	s_mov_b32 s23, -1
	s_mov_b32 s25, exec_lo
	v_add_nc_u32_e32 v180, 1, v180
	v_add_nc_u32_e32 v181, -1, v181
	v_cndmask_b32_e64 v177, v180, v177, s22
	v_min_u32_e32 v181, v180, v181
	v_cndmask_b32_e64 v179, v179, v180, s22
	v_lshlrev_b32_e32 v181, 1, v181
	ds_read_u16 v181, v181
	s_waitcnt lgkmcnt(0)
	v_cndmask_b32_e64 v215, v181, v211, s22
	v_cndmask_b32_e64 v43, v42, v181, s22
	v_cmpx_lt_u32_e64 v177, v176
	s_cbranch_execz .LBB522_603
; %bb.600:                              ;   in Loop: Header=BB522_548 Depth=1
	s_mov_b32 s26, 0
	s_mov_b32 s23, exec_lo
	v_cmpx_lt_u32_e64 v179, v167
	s_cbranch_execz .LBB522_602
; %bb.601:                              ;   in Loop: Header=BB522_548 Depth=1
	v_mul_i32_i24_sdwa v180, sext(v215), v166 dst_sel:DWORD dst_unused:UNUSED_PAD src0_sel:WORD_0 src1_sel:DWORD
	v_mul_i32_i24_sdwa v181, sext(v43), v166 dst_sel:DWORD dst_unused:UNUSED_PAD src0_sel:WORD_0 src1_sel:DWORD
	v_lshrrev_b32_e32 v182, 31, v180
	v_ashrrev_i32_e32 v180, 18, v180
	v_lshrrev_b32_e32 v183, 31, v181
	v_ashrrev_i32_e32 v181, 18, v181
	v_add_nc_u16 v180, v180, v182
	v_add_nc_u16 v181, v181, v183
	v_cmp_ge_i16_e32 vcc_lo, v180, v181
	s_and_b32 s26, vcc_lo, exec_lo
.LBB522_602:                            ;   in Loop: Header=BB522_548 Depth=1
	s_or_b32 exec_lo, exec_lo, s23
	s_orn2_b32 s23, s26, exec_lo
.LBB522_603:                            ;   in Loop: Header=BB522_548 Depth=1
	s_or_b32 exec_lo, exec_lo, s25
	v_cndmask_b32_e64 v180, v177, v179, s23
	v_cndmask_b32_e64 v181, v176, v167, s23
	s_mov_b32 s25, exec_lo
	v_add_nc_u32_e32 v180, 1, v180
	v_add_nc_u32_e32 v181, -1, v181
	v_cndmask_b32_e64 v177, v180, v177, s23
	v_min_u32_e32 v181, v180, v181
	v_cndmask_b32_e64 v179, v179, v180, s23
	v_lshlrev_b32_e32 v181, 1, v181
	ds_read_u16 v181, v181
	s_waitcnt lgkmcnt(0)
	v_cndmask_b32_e64 v210, v181, v215, s23
	v_cndmask_b32_e64 v44, v43, v181, s23
	v_cmpx_lt_u32_e64 v177, v176
	s_cbranch_execz .LBB522_607
; %bb.604:                              ;   in Loop: Header=BB522_548 Depth=1
	s_mov_b32 s26, 0
	s_mov_b32 s24, exec_lo
	v_cmpx_lt_u32_e64 v179, v167
	s_cbranch_execz .LBB522_606
; %bb.605:                              ;   in Loop: Header=BB522_548 Depth=1
	v_mul_i32_i24_sdwa v180, sext(v210), v166 dst_sel:DWORD dst_unused:UNUSED_PAD src0_sel:WORD_0 src1_sel:DWORD
	v_mul_i32_i24_sdwa v181, sext(v44), v166 dst_sel:DWORD dst_unused:UNUSED_PAD src0_sel:WORD_0 src1_sel:DWORD
	v_lshrrev_b32_e32 v182, 31, v180
	v_ashrrev_i32_e32 v180, 18, v180
	v_lshrrev_b32_e32 v183, 31, v181
	v_ashrrev_i32_e32 v181, 18, v181
	v_add_nc_u16 v180, v180, v182
	v_add_nc_u16 v181, v181, v183
	v_cmp_ge_i16_e32 vcc_lo, v180, v181
	s_and_b32 s26, vcc_lo, exec_lo
.LBB522_606:                            ;   in Loop: Header=BB522_548 Depth=1
	s_or_b32 exec_lo, exec_lo, s24
	s_orn2_b32 s24, s26, exec_lo
.LBB522_607:                            ;   in Loop: Header=BB522_548 Depth=1
	s_or_b32 exec_lo, exec_lo, s25
	v_cndmask_b32_e64 v180, v177, v179, s24
	v_cndmask_b32_e64 v181, v176, v167, s24
	s_mov_b32 s26, -1
	s_mov_b32 s25, -1
	s_mov_b32 s27, exec_lo
	v_add_nc_u32_e32 v180, 1, v180
	v_add_nc_u32_e32 v181, -1, v181
	v_cndmask_b32_e64 v177, v180, v177, s24
	v_min_u32_e32 v181, v180, v181
	v_cndmask_b32_e64 v179, v179, v180, s24
	v_lshlrev_b32_e32 v181, 1, v181
	ds_read_u16 v181, v181
	s_waitcnt lgkmcnt(0)
	v_cndmask_b32_e64 v213, v181, v210, s24
	v_cndmask_b32_e64 v45, v44, v181, s24
	v_cmpx_lt_u32_e64 v177, v176
	s_cbranch_execz .LBB522_611
; %bb.608:                              ;   in Loop: Header=BB522_548 Depth=1
	s_mov_b32 s28, 0
	s_mov_b32 s25, exec_lo
	v_cmpx_lt_u32_e64 v179, v167
	s_cbranch_execz .LBB522_610
; %bb.609:                              ;   in Loop: Header=BB522_548 Depth=1
	v_mul_i32_i24_sdwa v180, sext(v213), v166 dst_sel:DWORD dst_unused:UNUSED_PAD src0_sel:WORD_0 src1_sel:DWORD
	v_mul_i32_i24_sdwa v181, sext(v45), v166 dst_sel:DWORD dst_unused:UNUSED_PAD src0_sel:WORD_0 src1_sel:DWORD
	v_lshrrev_b32_e32 v182, 31, v180
	v_ashrrev_i32_e32 v180, 18, v180
	v_lshrrev_b32_e32 v183, 31, v181
	v_ashrrev_i32_e32 v181, 18, v181
	v_add_nc_u16 v180, v180, v182
	v_add_nc_u16 v181, v181, v183
	v_cmp_ge_i16_e32 vcc_lo, v180, v181
	s_and_b32 s28, vcc_lo, exec_lo
.LBB522_610:                            ;   in Loop: Header=BB522_548 Depth=1
	s_or_b32 exec_lo, exec_lo, s25
	s_orn2_b32 s25, s28, exec_lo
.LBB522_611:                            ;   in Loop: Header=BB522_548 Depth=1
	s_or_b32 exec_lo, exec_lo, s27
	v_cndmask_b32_e64 v180, v177, v179, s25
	v_cndmask_b32_e64 v181, v176, v167, s25
	s_mov_b32 s27, exec_lo
	v_add_nc_u32_e32 v180, 1, v180
	v_add_nc_u32_e32 v181, -1, v181
	v_cndmask_b32_e64 v177, v180, v177, s25
	v_min_u32_e32 v181, v180, v181
	v_cndmask_b32_e64 v179, v179, v180, s25
	v_lshlrev_b32_e32 v181, 1, v181
	ds_read_u16 v181, v181
	s_waitcnt lgkmcnt(0)
	v_cndmask_b32_e64 v198, v181, v213, s25
	v_cndmask_b32_e64 v46, v45, v181, s25
	v_cmpx_lt_u32_e64 v177, v176
	s_cbranch_execz .LBB522_615
; %bb.612:                              ;   in Loop: Header=BB522_548 Depth=1
	s_mov_b32 s28, 0
	s_mov_b32 s26, exec_lo
	v_cmpx_lt_u32_e64 v179, v167
	s_cbranch_execz .LBB522_614
; %bb.613:                              ;   in Loop: Header=BB522_548 Depth=1
	v_mul_i32_i24_sdwa v180, sext(v198), v166 dst_sel:DWORD dst_unused:UNUSED_PAD src0_sel:WORD_0 src1_sel:DWORD
	v_mul_i32_i24_sdwa v181, sext(v46), v166 dst_sel:DWORD dst_unused:UNUSED_PAD src0_sel:WORD_0 src1_sel:DWORD
	v_lshrrev_b32_e32 v182, 31, v180
	v_ashrrev_i32_e32 v180, 18, v180
	v_lshrrev_b32_e32 v183, 31, v181
	v_ashrrev_i32_e32 v181, 18, v181
	v_add_nc_u16 v180, v180, v182
	v_add_nc_u16 v181, v181, v183
	v_cmp_ge_i16_e32 vcc_lo, v180, v181
	s_and_b32 s28, vcc_lo, exec_lo
.LBB522_614:                            ;   in Loop: Header=BB522_548 Depth=1
	s_or_b32 exec_lo, exec_lo, s26
	s_orn2_b32 s26, s28, exec_lo
.LBB522_615:                            ;   in Loop: Header=BB522_548 Depth=1
	s_or_b32 exec_lo, exec_lo, s27
	v_cndmask_b32_e64 v180, v177, v179, s26
	v_cndmask_b32_e64 v181, v176, v167, s26
	s_mov_b32 s28, -1
	s_mov_b32 s27, -1
	s_mov_b32 s29, exec_lo
	v_add_nc_u32_e32 v180, 1, v180
	v_add_nc_u32_e32 v181, -1, v181
	v_cndmask_b32_e64 v177, v180, v177, s26
	v_min_u32_e32 v181, v180, v181
	v_cndmask_b32_e64 v179, v179, v180, s26
	v_lshlrev_b32_e32 v181, 1, v181
	ds_read_u16 v181, v181
	s_waitcnt lgkmcnt(0)
	v_cndmask_b32_e64 v214, v181, v198, s26
	v_cndmask_b32_e64 v47, v46, v181, s26
	v_cmpx_lt_u32_e64 v177, v176
	s_cbranch_execz .LBB522_619
; %bb.616:                              ;   in Loop: Header=BB522_548 Depth=1
	s_mov_b32 s40, 0
	s_mov_b32 s27, exec_lo
	v_cmpx_lt_u32_e64 v179, v167
	s_cbranch_execz .LBB522_618
; %bb.617:                              ;   in Loop: Header=BB522_548 Depth=1
	v_mul_i32_i24_sdwa v180, sext(v214), v166 dst_sel:DWORD dst_unused:UNUSED_PAD src0_sel:WORD_0 src1_sel:DWORD
	v_mul_i32_i24_sdwa v181, sext(v47), v166 dst_sel:DWORD dst_unused:UNUSED_PAD src0_sel:WORD_0 src1_sel:DWORD
	v_lshrrev_b32_e32 v182, 31, v180
	v_ashrrev_i32_e32 v180, 18, v180
	v_lshrrev_b32_e32 v183, 31, v181
	v_ashrrev_i32_e32 v181, 18, v181
	v_add_nc_u16 v180, v180, v182
	v_add_nc_u16 v181, v181, v183
	v_cmp_ge_i16_e32 vcc_lo, v180, v181
	s_and_b32 s40, vcc_lo, exec_lo
.LBB522_618:                            ;   in Loop: Header=BB522_548 Depth=1
	s_or_b32 exec_lo, exec_lo, s27
	s_orn2_b32 s27, s40, exec_lo
.LBB522_619:                            ;   in Loop: Header=BB522_548 Depth=1
	s_or_b32 exec_lo, exec_lo, s29
	v_cndmask_b32_e64 v180, v177, v179, s27
	v_cndmask_b32_e64 v181, v176, v167, s27
	s_mov_b32 s29, exec_lo
	v_add_nc_u32_e32 v180, 1, v180
	v_add_nc_u32_e32 v181, -1, v181
	v_cndmask_b32_e64 v177, v180, v177, s27
	v_min_u32_e32 v181, v180, v181
	v_cndmask_b32_e64 v179, v179, v180, s27
	v_lshlrev_b32_e32 v181, 1, v181
	ds_read_u16 v181, v181
	s_waitcnt lgkmcnt(0)
	v_cndmask_b32_e64 v197, v181, v214, s27
	v_cndmask_b32_e64 v56, v47, v181, s27
	v_cmpx_lt_u32_e64 v177, v176
	s_cbranch_execz .LBB522_623
; %bb.620:                              ;   in Loop: Header=BB522_548 Depth=1
	s_mov_b32 s40, 0
	s_mov_b32 s28, exec_lo
	v_cmpx_lt_u32_e64 v179, v167
	s_cbranch_execz .LBB522_622
; %bb.621:                              ;   in Loop: Header=BB522_548 Depth=1
	v_mul_i32_i24_sdwa v180, sext(v197), v166 dst_sel:DWORD dst_unused:UNUSED_PAD src0_sel:WORD_0 src1_sel:DWORD
	v_mul_i32_i24_sdwa v181, sext(v56), v166 dst_sel:DWORD dst_unused:UNUSED_PAD src0_sel:WORD_0 src1_sel:DWORD
	v_lshrrev_b32_e32 v182, 31, v180
	v_ashrrev_i32_e32 v180, 18, v180
	v_lshrrev_b32_e32 v183, 31, v181
	v_ashrrev_i32_e32 v181, 18, v181
	v_add_nc_u16 v180, v180, v182
	v_add_nc_u16 v181, v181, v183
	v_cmp_ge_i16_e32 vcc_lo, v180, v181
	s_and_b32 s40, vcc_lo, exec_lo
.LBB522_622:                            ;   in Loop: Header=BB522_548 Depth=1
	s_or_b32 exec_lo, exec_lo, s28
	s_orn2_b32 s28, s40, exec_lo
.LBB522_623:                            ;   in Loop: Header=BB522_548 Depth=1
	s_or_b32 exec_lo, exec_lo, s29
	v_cndmask_b32_e64 v180, v177, v179, s28
	v_cndmask_b32_e64 v181, v176, v167, s28
	s_mov_b32 s40, -1
	s_mov_b32 s29, -1
	s_mov_b32 s41, exec_lo
	v_add_nc_u32_e32 v180, 1, v180
	v_add_nc_u32_e32 v181, -1, v181
	v_cndmask_b32_e64 v177, v180, v177, s28
	v_min_u32_e32 v181, v180, v181
	v_cndmask_b32_e64 v179, v179, v180, s28
	v_lshlrev_b32_e32 v181, 1, v181
	ds_read_u16 v181, v181
	s_waitcnt lgkmcnt(0)
	v_cndmask_b32_e64 v209, v181, v197, s28
	v_cndmask_b32_e64 v57, v56, v181, s28
	v_cmpx_lt_u32_e64 v177, v176
	s_cbranch_execz .LBB522_627
; %bb.624:                              ;   in Loop: Header=BB522_548 Depth=1
	s_mov_b32 s42, 0
	s_mov_b32 s29, exec_lo
	v_cmpx_lt_u32_e64 v179, v167
	s_cbranch_execz .LBB522_626
; %bb.625:                              ;   in Loop: Header=BB522_548 Depth=1
	v_mul_i32_i24_sdwa v180, sext(v209), v166 dst_sel:DWORD dst_unused:UNUSED_PAD src0_sel:WORD_0 src1_sel:DWORD
	v_mul_i32_i24_sdwa v181, sext(v57), v166 dst_sel:DWORD dst_unused:UNUSED_PAD src0_sel:WORD_0 src1_sel:DWORD
	v_lshrrev_b32_e32 v182, 31, v180
	v_ashrrev_i32_e32 v180, 18, v180
	v_lshrrev_b32_e32 v183, 31, v181
	v_ashrrev_i32_e32 v181, 18, v181
	v_add_nc_u16 v180, v180, v182
	v_add_nc_u16 v181, v181, v183
	v_cmp_ge_i16_e32 vcc_lo, v180, v181
	s_and_b32 s42, vcc_lo, exec_lo
.LBB522_626:                            ;   in Loop: Header=BB522_548 Depth=1
	s_or_b32 exec_lo, exec_lo, s29
	s_orn2_b32 s29, s42, exec_lo
.LBB522_627:                            ;   in Loop: Header=BB522_548 Depth=1
	s_or_b32 exec_lo, exec_lo, s41
	v_cndmask_b32_e64 v180, v177, v179, s29
	v_cndmask_b32_e64 v181, v176, v167, s29
	s_mov_b32 s41, exec_lo
	v_add_nc_u32_e32 v180, 1, v180
	v_add_nc_u32_e32 v181, -1, v181
	v_cndmask_b32_e64 v177, v180, v177, s29
	v_min_u32_e32 v181, v180, v181
	v_cndmask_b32_e64 v179, v179, v180, s29
	v_lshlrev_b32_e32 v181, 1, v181
	ds_read_u16 v181, v181
	s_waitcnt lgkmcnt(0)
	v_cndmask_b32_e64 v194, v181, v209, s29
	v_cndmask_b32_e64 v58, v57, v181, s29
	v_cmpx_lt_u32_e64 v177, v176
	s_cbranch_execz .LBB522_631
; %bb.628:                              ;   in Loop: Header=BB522_548 Depth=1
	s_mov_b32 s42, 0
	s_mov_b32 s40, exec_lo
	v_cmpx_lt_u32_e64 v179, v167
	s_cbranch_execz .LBB522_630
; %bb.629:                              ;   in Loop: Header=BB522_548 Depth=1
	v_mul_i32_i24_sdwa v180, sext(v194), v166 dst_sel:DWORD dst_unused:UNUSED_PAD src0_sel:WORD_0 src1_sel:DWORD
	v_mul_i32_i24_sdwa v181, sext(v58), v166 dst_sel:DWORD dst_unused:UNUSED_PAD src0_sel:WORD_0 src1_sel:DWORD
	v_lshrrev_b32_e32 v182, 31, v180
	v_ashrrev_i32_e32 v180, 18, v180
	v_lshrrev_b32_e32 v183, 31, v181
	v_ashrrev_i32_e32 v181, 18, v181
	v_add_nc_u16 v180, v180, v182
	v_add_nc_u16 v181, v181, v183
	v_cmp_ge_i16_e32 vcc_lo, v180, v181
	s_and_b32 s42, vcc_lo, exec_lo
.LBB522_630:                            ;   in Loop: Header=BB522_548 Depth=1
	s_or_b32 exec_lo, exec_lo, s40
	s_orn2_b32 s40, s42, exec_lo
.LBB522_631:                            ;   in Loop: Header=BB522_548 Depth=1
	s_or_b32 exec_lo, exec_lo, s41
	v_cndmask_b32_e64 v180, v177, v179, s40
	v_cndmask_b32_e64 v181, v176, v167, s40
	s_mov_b32 s42, -1
	s_mov_b32 s41, -1
	s_mov_b32 s43, exec_lo
	v_add_nc_u32_e32 v180, 1, v180
	v_add_nc_u32_e32 v181, -1, v181
	v_cndmask_b32_e64 v177, v180, v177, s40
	v_min_u32_e32 v181, v180, v181
	v_cndmask_b32_e64 v179, v179, v180, s40
	v_lshlrev_b32_e32 v181, 1, v181
	ds_read_u16 v181, v181
	s_waitcnt lgkmcnt(0)
	v_cndmask_b32_e64 v199, v181, v194, s40
	v_cndmask_b32_e64 v59, v58, v181, s40
	v_cmpx_lt_u32_e64 v177, v176
	s_cbranch_execz .LBB522_635
; %bb.632:                              ;   in Loop: Header=BB522_548 Depth=1
	s_mov_b32 s44, 0
	s_mov_b32 s41, exec_lo
	v_cmpx_lt_u32_e64 v179, v167
	s_cbranch_execz .LBB522_634
; %bb.633:                              ;   in Loop: Header=BB522_548 Depth=1
	v_mul_i32_i24_sdwa v180, sext(v199), v166 dst_sel:DWORD dst_unused:UNUSED_PAD src0_sel:WORD_0 src1_sel:DWORD
	v_mul_i32_i24_sdwa v181, sext(v59), v166 dst_sel:DWORD dst_unused:UNUSED_PAD src0_sel:WORD_0 src1_sel:DWORD
	v_lshrrev_b32_e32 v182, 31, v180
	v_ashrrev_i32_e32 v180, 18, v180
	v_lshrrev_b32_e32 v183, 31, v181
	v_ashrrev_i32_e32 v181, 18, v181
	v_add_nc_u16 v180, v180, v182
	v_add_nc_u16 v181, v181, v183
	v_cmp_ge_i16_e32 vcc_lo, v180, v181
	s_and_b32 s44, vcc_lo, exec_lo
.LBB522_634:                            ;   in Loop: Header=BB522_548 Depth=1
	s_or_b32 exec_lo, exec_lo, s41
	s_orn2_b32 s41, s44, exec_lo
.LBB522_635:                            ;   in Loop: Header=BB522_548 Depth=1
	s_or_b32 exec_lo, exec_lo, s43
	v_cndmask_b32_e64 v180, v177, v179, s41
	v_cndmask_b32_e64 v181, v176, v167, s41
	s_mov_b32 s43, exec_lo
	v_add_nc_u32_e32 v180, 1, v180
	v_add_nc_u32_e32 v181, -1, v181
	v_cndmask_b32_e64 v177, v180, v177, s41
	v_min_u32_e32 v181, v180, v181
	v_cndmask_b32_e64 v179, v179, v180, s41
	v_lshlrev_b32_e32 v181, 1, v181
	ds_read_u16 v181, v181
	s_waitcnt lgkmcnt(0)
	v_cndmask_b32_e64 v193, v181, v199, s41
	v_cndmask_b32_e64 v60, v59, v181, s41
	v_cmpx_lt_u32_e64 v177, v176
	s_cbranch_execz .LBB522_639
; %bb.636:                              ;   in Loop: Header=BB522_548 Depth=1
	s_mov_b32 s44, 0
	s_mov_b32 s42, exec_lo
	v_cmpx_lt_u32_e64 v179, v167
	s_cbranch_execz .LBB522_638
; %bb.637:                              ;   in Loop: Header=BB522_548 Depth=1
	v_mul_i32_i24_sdwa v180, sext(v193), v166 dst_sel:DWORD dst_unused:UNUSED_PAD src0_sel:WORD_0 src1_sel:DWORD
	v_mul_i32_i24_sdwa v181, sext(v60), v166 dst_sel:DWORD dst_unused:UNUSED_PAD src0_sel:WORD_0 src1_sel:DWORD
	v_lshrrev_b32_e32 v182, 31, v180
	v_ashrrev_i32_e32 v180, 18, v180
	v_lshrrev_b32_e32 v183, 31, v181
	v_ashrrev_i32_e32 v181, 18, v181
	v_add_nc_u16 v180, v180, v182
	v_add_nc_u16 v181, v181, v183
	v_cmp_ge_i16_e32 vcc_lo, v180, v181
	s_and_b32 s44, vcc_lo, exec_lo
.LBB522_638:                            ;   in Loop: Header=BB522_548 Depth=1
	s_or_b32 exec_lo, exec_lo, s42
	s_orn2_b32 s42, s44, exec_lo
.LBB522_639:                            ;   in Loop: Header=BB522_548 Depth=1
	s_or_b32 exec_lo, exec_lo, s43
	v_cndmask_b32_e64 v180, v177, v179, s42
	v_cndmask_b32_e64 v181, v176, v167, s42
	s_mov_b32 s44, -1
	s_mov_b32 s43, -1
	s_mov_b32 s45, exec_lo
	v_add_nc_u32_e32 v180, 1, v180
	v_add_nc_u32_e32 v181, -1, v181
	v_cndmask_b32_e64 v177, v180, v177, s42
	v_min_u32_e32 v181, v180, v181
	v_cndmask_b32_e64 v179, v179, v180, s42
	v_lshlrev_b32_e32 v181, 1, v181
	ds_read_u16 v181, v181
	s_waitcnt lgkmcnt(0)
	v_cndmask_b32_e64 v196, v181, v193, s42
	v_cndmask_b32_e64 v61, v60, v181, s42
	v_cmpx_lt_u32_e64 v177, v176
	s_cbranch_execz .LBB522_643
; %bb.640:                              ;   in Loop: Header=BB522_548 Depth=1
	s_mov_b32 s46, 0
	s_mov_b32 s43, exec_lo
	v_cmpx_lt_u32_e64 v179, v167
	s_cbranch_execz .LBB522_642
; %bb.641:                              ;   in Loop: Header=BB522_548 Depth=1
	v_mul_i32_i24_sdwa v180, sext(v196), v166 dst_sel:DWORD dst_unused:UNUSED_PAD src0_sel:WORD_0 src1_sel:DWORD
	v_mul_i32_i24_sdwa v181, sext(v61), v166 dst_sel:DWORD dst_unused:UNUSED_PAD src0_sel:WORD_0 src1_sel:DWORD
	v_lshrrev_b32_e32 v182, 31, v180
	v_ashrrev_i32_e32 v180, 18, v180
	v_lshrrev_b32_e32 v183, 31, v181
	v_ashrrev_i32_e32 v181, 18, v181
	v_add_nc_u16 v180, v180, v182
	v_add_nc_u16 v181, v181, v183
	v_cmp_ge_i16_e32 vcc_lo, v180, v181
	s_and_b32 s46, vcc_lo, exec_lo
.LBB522_642:                            ;   in Loop: Header=BB522_548 Depth=1
	s_or_b32 exec_lo, exec_lo, s43
	s_orn2_b32 s43, s46, exec_lo
.LBB522_643:                            ;   in Loop: Header=BB522_548 Depth=1
	s_or_b32 exec_lo, exec_lo, s45
	v_cndmask_b32_e64 v180, v177, v179, s43
	v_cndmask_b32_e64 v181, v176, v167, s43
	s_mov_b32 s45, exec_lo
	v_add_nc_u32_e32 v180, 1, v180
	v_add_nc_u32_e32 v181, -1, v181
	v_cndmask_b32_e64 v177, v180, v177, s43
	v_min_u32_e32 v181, v180, v181
	v_cndmask_b32_e64 v179, v179, v180, s43
	v_lshlrev_b32_e32 v181, 1, v181
	ds_read_u16 v181, v181
	s_waitcnt lgkmcnt(0)
	v_cndmask_b32_e64 v182, v181, v196, s43
	v_cndmask_b32_e64 v62, v61, v181, s43
	v_cmpx_lt_u32_e64 v177, v176
	s_cbranch_execz .LBB522_647
; %bb.644:                              ;   in Loop: Header=BB522_548 Depth=1
	s_mov_b32 s46, 0
	s_mov_b32 s44, exec_lo
	v_cmpx_lt_u32_e64 v179, v167
	s_cbranch_execz .LBB522_646
; %bb.645:                              ;   in Loop: Header=BB522_548 Depth=1
	v_mul_i32_i24_sdwa v180, sext(v182), v166 dst_sel:DWORD dst_unused:UNUSED_PAD src0_sel:WORD_0 src1_sel:DWORD
	v_mul_i32_i24_sdwa v181, sext(v62), v166 dst_sel:DWORD dst_unused:UNUSED_PAD src0_sel:WORD_0 src1_sel:DWORD
	v_lshrrev_b32_e32 v183, 31, v180
	v_ashrrev_i32_e32 v180, 18, v180
	v_lshrrev_b32_e32 v192, 31, v181
	v_ashrrev_i32_e32 v181, 18, v181
	v_add_nc_u16 v180, v180, v183
	v_add_nc_u16 v181, v181, v192
	v_cmp_ge_i16_e32 vcc_lo, v180, v181
	s_and_b32 s46, vcc_lo, exec_lo
.LBB522_646:                            ;   in Loop: Header=BB522_548 Depth=1
	s_or_b32 exec_lo, exec_lo, s44
	s_orn2_b32 s44, s46, exec_lo
.LBB522_647:                            ;   in Loop: Header=BB522_548 Depth=1
	s_or_b32 exec_lo, exec_lo, s45
	v_cndmask_b32_e64 v180, v177, v179, s44
	v_cndmask_b32_e64 v181, v176, v167, s44
	s_mov_b32 s46, -1
	s_mov_b32 s45, -1
	s_mov_b32 s47, exec_lo
	v_add_nc_u32_e32 v180, 1, v180
	v_add_nc_u32_e32 v181, -1, v181
	v_cndmask_b32_e64 v177, v180, v177, s44
	v_min_u32_e32 v181, v180, v181
	v_cndmask_b32_e64 v179, v179, v180, s44
	v_lshlrev_b32_e32 v181, 1, v181
	ds_read_u16 v181, v181
	s_waitcnt lgkmcnt(0)
	v_cndmask_b32_e64 v208, v181, v182, s44
	v_cndmask_b32_e64 v63, v62, v181, s44
	v_cmpx_lt_u32_e64 v177, v176
	s_cbranch_execz .LBB522_651
; %bb.648:                              ;   in Loop: Header=BB522_548 Depth=1
	s_mov_b32 s56, 0
	s_mov_b32 s45, exec_lo
	v_cmpx_lt_u32_e64 v179, v167
	s_cbranch_execz .LBB522_650
; %bb.649:                              ;   in Loop: Header=BB522_548 Depth=1
	v_mul_i32_i24_sdwa v180, sext(v208), v166 dst_sel:DWORD dst_unused:UNUSED_PAD src0_sel:WORD_0 src1_sel:DWORD
	v_mul_i32_i24_sdwa v181, sext(v63), v166 dst_sel:DWORD dst_unused:UNUSED_PAD src0_sel:WORD_0 src1_sel:DWORD
	v_lshrrev_b32_e32 v183, 31, v180
	v_ashrrev_i32_e32 v180, 18, v180
	v_lshrrev_b32_e32 v192, 31, v181
	v_ashrrev_i32_e32 v181, 18, v181
	v_add_nc_u16 v180, v180, v183
	v_add_nc_u16 v181, v181, v192
	v_cmp_ge_i16_e32 vcc_lo, v180, v181
	s_and_b32 s56, vcc_lo, exec_lo
.LBB522_650:                            ;   in Loop: Header=BB522_548 Depth=1
	s_or_b32 exec_lo, exec_lo, s45
	s_orn2_b32 s45, s56, exec_lo
.LBB522_651:                            ;   in Loop: Header=BB522_548 Depth=1
	s_or_b32 exec_lo, exec_lo, s47
	v_cndmask_b32_e64 v180, v177, v179, s45
	v_cndmask_b32_e64 v181, v176, v167, s45
	s_mov_b32 s47, exec_lo
	v_add_nc_u32_e32 v180, 1, v180
	v_add_nc_u32_e32 v181, -1, v181
	v_cndmask_b32_e64 v177, v180, v177, s45
	v_min_u32_e32 v181, v180, v181
	v_cndmask_b32_e64 v179, v179, v180, s45
	v_lshlrev_b32_e32 v181, 1, v181
	ds_read_u16 v183, v181
	s_waitcnt lgkmcnt(0)
	v_cndmask_b32_e64 v181, v183, v208, s45
	v_cndmask_b32_e64 v72, v63, v183, s45
	v_cmpx_lt_u32_e64 v177, v176
	s_cbranch_execz .LBB522_655
; %bb.652:                              ;   in Loop: Header=BB522_548 Depth=1
	s_mov_b32 s56, 0
	s_mov_b32 s46, exec_lo
	v_cmpx_lt_u32_e64 v179, v167
	s_cbranch_execz .LBB522_654
; %bb.653:                              ;   in Loop: Header=BB522_548 Depth=1
	v_mul_i32_i24_sdwa v180, sext(v181), v166 dst_sel:DWORD dst_unused:UNUSED_PAD src0_sel:WORD_0 src1_sel:DWORD
	v_mul_i32_i24_sdwa v183, sext(v72), v166 dst_sel:DWORD dst_unused:UNUSED_PAD src0_sel:WORD_0 src1_sel:DWORD
	v_lshrrev_b32_e32 v192, 31, v180
	v_ashrrev_i32_e32 v180, 18, v180
	v_lshrrev_b32_e32 v195, 31, v183
	v_ashrrev_i32_e32 v183, 18, v183
	v_add_nc_u16 v180, v180, v192
	v_add_nc_u16 v183, v183, v195
	v_cmp_ge_i16_e32 vcc_lo, v180, v183
	s_and_b32 s56, vcc_lo, exec_lo
.LBB522_654:                            ;   in Loop: Header=BB522_548 Depth=1
	s_or_b32 exec_lo, exec_lo, s46
	s_orn2_b32 s46, s56, exec_lo
.LBB522_655:                            ;   in Loop: Header=BB522_548 Depth=1
	s_or_b32 exec_lo, exec_lo, s47
	v_cndmask_b32_e64 v180, v177, v179, s46
	v_cndmask_b32_e64 v183, v176, v167, s46
	s_mov_b32 s56, -1
	s_mov_b32 s47, -1
	s_mov_b32 s57, exec_lo
	v_add_nc_u32_e32 v180, 1, v180
	v_add_nc_u32_e32 v183, -1, v183
	v_cndmask_b32_e64 v177, v180, v177, s46
	v_min_u32_e32 v183, v180, v183
	v_cndmask_b32_e64 v179, v179, v180, s46
	v_lshlrev_b32_e32 v183, 1, v183
	ds_read_u16 v183, v183
	s_waitcnt lgkmcnt(0)
	v_cndmask_b32_e64 v195, v183, v181, s46
	v_cndmask_b32_e64 v73, v72, v183, s46
	v_cmpx_lt_u32_e64 v177, v176
	s_cbranch_execz .LBB522_659
; %bb.656:                              ;   in Loop: Header=BB522_548 Depth=1
	s_mov_b32 s58, 0
	s_mov_b32 s47, exec_lo
	v_cmpx_lt_u32_e64 v179, v167
	s_cbranch_execz .LBB522_658
; %bb.657:                              ;   in Loop: Header=BB522_548 Depth=1
	v_mul_i32_i24_sdwa v180, sext(v195), v166 dst_sel:DWORD dst_unused:UNUSED_PAD src0_sel:WORD_0 src1_sel:DWORD
	v_mul_i32_i24_sdwa v183, sext(v73), v166 dst_sel:DWORD dst_unused:UNUSED_PAD src0_sel:WORD_0 src1_sel:DWORD
	v_lshrrev_b32_e32 v192, 31, v180
	v_ashrrev_i32_e32 v180, 18, v180
	v_lshrrev_b32_e32 v74, 31, v183
	v_ashrrev_i32_e32 v183, 18, v183
	v_add_nc_u16 v180, v180, v192
	v_add_nc_u16 v183, v183, v74
	v_cmp_ge_i16_e32 vcc_lo, v180, v183
	s_and_b32 s58, vcc_lo, exec_lo
.LBB522_658:                            ;   in Loop: Header=BB522_548 Depth=1
	s_or_b32 exec_lo, exec_lo, s47
	s_orn2_b32 s47, s58, exec_lo
.LBB522_659:                            ;   in Loop: Header=BB522_548 Depth=1
	s_or_b32 exec_lo, exec_lo, s57
	v_cndmask_b32_e64 v180, v177, v179, s47
	v_cndmask_b32_e64 v183, v176, v167, s47
	s_mov_b32 s57, exec_lo
	v_add_nc_u32_e32 v180, 1, v180
	v_add_nc_u32_e32 v183, -1, v183
	v_cndmask_b32_e64 v177, v180, v177, s47
	v_min_u32_e32 v183, v180, v183
	v_cndmask_b32_e64 v179, v179, v180, s47
	v_lshlrev_b32_e32 v183, 1, v183
	ds_read_u16 v183, v183
	s_waitcnt lgkmcnt(0)
	v_cndmask_b32_e64 v192, v183, v195, s47
	v_cndmask_b32_e64 v74, v73, v183, s47
	v_cmpx_lt_u32_e64 v177, v176
	s_cbranch_execz .LBB522_663
; %bb.660:                              ;   in Loop: Header=BB522_548 Depth=1
	s_mov_b32 s58, 0
	s_mov_b32 s56, exec_lo
	v_cmpx_lt_u32_e64 v179, v167
	s_cbranch_execz .LBB522_662
; %bb.661:                              ;   in Loop: Header=BB522_548 Depth=1
	v_mul_i32_i24_sdwa v180, sext(v192), v166 dst_sel:DWORD dst_unused:UNUSED_PAD src0_sel:WORD_0 src1_sel:DWORD
	v_mul_i32_i24_sdwa v183, sext(v74), v166 dst_sel:DWORD dst_unused:UNUSED_PAD src0_sel:WORD_0 src1_sel:DWORD
	v_lshrrev_b32_e32 v75, 31, v180
	v_ashrrev_i32_e32 v180, 18, v180
	v_lshrrev_b32_e32 v76, 31, v183
	v_ashrrev_i32_e32 v183, 18, v183
	v_add_nc_u16 v180, v180, v75
	v_add_nc_u16 v183, v183, v76
	v_cmp_ge_i16_e32 vcc_lo, v180, v183
	s_and_b32 s58, vcc_lo, exec_lo
.LBB522_662:                            ;   in Loop: Header=BB522_548 Depth=1
	s_or_b32 exec_lo, exec_lo, s56
	s_orn2_b32 s56, s58, exec_lo
.LBB522_663:                            ;   in Loop: Header=BB522_548 Depth=1
	s_or_b32 exec_lo, exec_lo, s57
	v_cndmask_b32_e64 v180, v177, v179, s56
	v_cndmask_b32_e64 v183, v176, v167, s56
	s_mov_b32 s58, -1
	s_mov_b32 s57, -1
	s_mov_b32 s59, exec_lo
	v_add_nc_u32_e32 v180, 1, v180
	v_add_nc_u32_e32 v183, -1, v183
	v_cndmask_b32_e64 v177, v180, v177, s56
	v_min_u32_e32 v183, v180, v183
	v_cndmask_b32_e64 v179, v179, v180, s56
	v_lshlrev_b32_e32 v183, 1, v183
	ds_read_u16 v75, v183
	s_waitcnt lgkmcnt(0)
	v_cndmask_b32_e64 v183, v75, v192, s56
	v_cndmask_b32_e64 v75, v74, v75, s56
	v_cmpx_lt_u32_e64 v177, v176
	s_cbranch_execz .LBB522_667
; %bb.664:                              ;   in Loop: Header=BB522_548 Depth=1
	s_mov_b32 s60, 0
	s_mov_b32 s57, exec_lo
	v_cmpx_lt_u32_e64 v179, v167
	s_cbranch_execz .LBB522_666
; %bb.665:                              ;   in Loop: Header=BB522_548 Depth=1
	v_mul_i32_i24_sdwa v180, sext(v183), v166 dst_sel:DWORD dst_unused:UNUSED_PAD src0_sel:WORD_0 src1_sel:DWORD
	v_mul_i32_i24_sdwa v76, sext(v75), v166 dst_sel:DWORD dst_unused:UNUSED_PAD src0_sel:WORD_0 src1_sel:DWORD
	v_lshrrev_b32_e32 v77, 31, v180
	v_ashrrev_i32_e32 v180, 18, v180
	v_lshrrev_b32_e32 v78, 31, v76
	v_ashrrev_i32_e32 v76, 18, v76
	v_add_nc_u16 v180, v180, v77
	v_add_nc_u16 v76, v76, v78
	v_cmp_ge_i16_e32 vcc_lo, v180, v76
	s_and_b32 s60, vcc_lo, exec_lo
.LBB522_666:                            ;   in Loop: Header=BB522_548 Depth=1
	s_or_b32 exec_lo, exec_lo, s57
	s_orn2_b32 s57, s60, exec_lo
.LBB522_667:                            ;   in Loop: Header=BB522_548 Depth=1
	s_or_b32 exec_lo, exec_lo, s59
	v_cndmask_b32_e64 v180, v177, v179, s57
	v_cndmask_b32_e64 v76, v176, v167, s57
	s_mov_b32 s59, exec_lo
	v_add_nc_u32_e32 v180, 1, v180
	v_add_nc_u32_e32 v76, -1, v76
	v_cndmask_b32_e64 v177, v180, v177, s57
	v_min_u32_e32 v76, v180, v76
	v_cndmask_b32_e64 v179, v179, v180, s57
	v_lshlrev_b32_e32 v76, 1, v76
	ds_read_u16 v76, v76
	s_waitcnt lgkmcnt(0)
	v_cndmask_b32_e64 v180, v76, v183, s57
	v_cndmask_b32_e64 v76, v75, v76, s57
	v_cmpx_lt_u32_e64 v177, v176
	s_cbranch_execz .LBB522_671
; %bb.668:                              ;   in Loop: Header=BB522_548 Depth=1
	s_mov_b32 s60, 0
	s_mov_b32 s58, exec_lo
	v_cmpx_lt_u32_e64 v179, v167
	s_cbranch_execz .LBB522_670
; %bb.669:                              ;   in Loop: Header=BB522_548 Depth=1
	v_mul_i32_i24_sdwa v77, sext(v180), v166 dst_sel:DWORD dst_unused:UNUSED_PAD src0_sel:WORD_0 src1_sel:DWORD
	v_mul_i32_i24_sdwa v78, sext(v76), v166 dst_sel:DWORD dst_unused:UNUSED_PAD src0_sel:WORD_0 src1_sel:DWORD
	v_lshrrev_b32_e32 v79, 31, v77
	v_ashrrev_i32_e32 v77, 18, v77
	v_lshrrev_b32_e32 v88, 31, v78
	v_ashrrev_i32_e32 v78, 18, v78
	v_add_nc_u16 v77, v77, v79
	v_add_nc_u16 v78, v78, v88
	v_cmp_ge_i16_e32 vcc_lo, v77, v78
	s_and_b32 s60, vcc_lo, exec_lo
.LBB522_670:                            ;   in Loop: Header=BB522_548 Depth=1
	s_or_b32 exec_lo, exec_lo, s58
	s_orn2_b32 s58, s60, exec_lo
.LBB522_671:                            ;   in Loop: Header=BB522_548 Depth=1
	s_or_b32 exec_lo, exec_lo, s59
	v_cndmask_b32_e64 v77, v177, v179, s58
	v_cndmask_b32_e64 v78, v176, v167, s58
	s_mov_b32 s59, -1
	s_mov_b32 s60, -1
	s_mov_b32 s61, exec_lo
	v_add_nc_u32_e32 v77, 1, v77
	v_add_nc_u32_e32 v78, -1, v78
	v_cndmask_b32_e64 v177, v77, v177, s58
	v_min_u32_e32 v78, v77, v78
	v_lshlrev_b32_e32 v78, 1, v78
	ds_read_u16 v79, v78
	v_cndmask_b32_e64 v78, v179, v77, s58
	s_waitcnt lgkmcnt(0)
	v_cndmask_b32_e64 v179, v79, v180, s58
	v_cndmask_b32_e64 v77, v76, v79, s58
	v_cmpx_lt_u32_e64 v177, v176
	s_cbranch_execz .LBB522_675
; %bb.672:                              ;   in Loop: Header=BB522_548 Depth=1
	s_mov_b32 s62, 0
	s_mov_b32 s60, exec_lo
	v_cmpx_lt_u32_e64 v78, v167
	s_cbranch_execz .LBB522_674
; %bb.673:                              ;   in Loop: Header=BB522_548 Depth=1
	v_mul_i32_i24_sdwa v79, sext(v179), v166 dst_sel:DWORD dst_unused:UNUSED_PAD src0_sel:WORD_0 src1_sel:DWORD
	v_mul_i32_i24_sdwa v88, sext(v77), v166 dst_sel:DWORD dst_unused:UNUSED_PAD src0_sel:WORD_0 src1_sel:DWORD
	v_lshrrev_b32_e32 v89, 31, v79
	v_ashrrev_i32_e32 v79, 18, v79
	v_lshrrev_b32_e32 v90, 31, v88
	v_ashrrev_i32_e32 v88, 18, v88
	v_add_nc_u16 v79, v79, v89
	v_add_nc_u16 v88, v88, v90
	v_cmp_ge_i16_e32 vcc_lo, v79, v88
	s_and_b32 s62, vcc_lo, exec_lo
.LBB522_674:                            ;   in Loop: Header=BB522_548 Depth=1
	s_or_b32 exec_lo, exec_lo, s60
	s_orn2_b32 s60, s62, exec_lo
.LBB522_675:                            ;   in Loop: Header=BB522_548 Depth=1
	s_or_b32 exec_lo, exec_lo, s61
	v_cndmask_b32_e64 v79, v177, v78, s60
	v_cndmask_b32_e64 v88, v176, v167, s60
	s_mov_b32 s61, exec_lo
	v_add_nc_u32_e32 v79, 1, v79
	v_add_nc_u32_e32 v88, -1, v88
	v_cndmask_b32_e64 v177, v79, v177, s60
	v_min_u32_e32 v88, v79, v88
	v_lshlrev_b32_e32 v88, 1, v88
	ds_read_u16 v89, v88
	v_cndmask_b32_e64 v88, v78, v79, s60
	s_waitcnt lgkmcnt(0)
	v_cndmask_b32_e64 v78, v89, v179, s60
	v_cndmask_b32_e64 v79, v77, v89, s60
	v_cmpx_lt_u32_e64 v177, v176
	s_cbranch_execz .LBB522_679
; %bb.676:                              ;   in Loop: Header=BB522_548 Depth=1
	s_mov_b32 s62, 0
	s_mov_b32 s59, exec_lo
	v_cmpx_lt_u32_e64 v88, v167
	s_cbranch_execz .LBB522_678
; %bb.677:                              ;   in Loop: Header=BB522_548 Depth=1
	v_mul_i32_i24_sdwa v89, sext(v78), v166 dst_sel:DWORD dst_unused:UNUSED_PAD src0_sel:WORD_0 src1_sel:DWORD
	v_mul_i32_i24_sdwa v90, sext(v79), v166 dst_sel:DWORD dst_unused:UNUSED_PAD src0_sel:WORD_0 src1_sel:DWORD
	v_lshrrev_b32_e32 v91, 31, v89
	v_ashrrev_i32_e32 v89, 18, v89
	v_lshrrev_b32_e32 v92, 31, v90
	v_ashrrev_i32_e32 v90, 18, v90
	v_add_nc_u16 v89, v89, v91
	v_add_nc_u16 v90, v90, v92
	v_cmp_ge_i16_e32 vcc_lo, v89, v90
	s_and_b32 s62, vcc_lo, exec_lo
.LBB522_678:                            ;   in Loop: Header=BB522_548 Depth=1
	s_or_b32 exec_lo, exec_lo, s59
	s_orn2_b32 s59, s62, exec_lo
.LBB522_679:                            ;   in Loop: Header=BB522_548 Depth=1
	s_or_b32 exec_lo, exec_lo, s61
	v_cndmask_b32_e64 v89, v177, v88, s59
	v_cndmask_b32_e64 v90, v176, v167, s59
	s_mov_b32 s61, exec_lo
	v_add_nc_u32_e32 v89, 1, v89
	v_add_nc_u32_e32 v90, -1, v90
	v_cndmask_b32_e64 v91, v89, v177, s59
	v_min_u32_e32 v90, v89, v90
	v_lshlrev_b32_e32 v90, 1, v90
	ds_read_u16 v90, v90
	s_waitcnt lgkmcnt(0)
	v_cndmask_b32_e64 v177, v79, v90, s59
	v_cmpx_lt_u32_e64 v91, v176
	s_cbranch_execz .LBB522_683
; %bb.680:                              ;   in Loop: Header=BB522_548 Depth=1
	v_cndmask_b32_e64 v88, v88, v89, s59
	v_cndmask_b32_e64 v176, v90, v78, s59
	s_mov_b32 s62, exec_lo
	v_cmpx_lt_u32_e64 v88, v167
	s_cbranch_execz .LBB522_682
; %bb.681:                              ;   in Loop: Header=BB522_548 Depth=1
	v_mul_i32_i24_sdwa v167, sext(v176), v166 dst_sel:DWORD dst_unused:UNUSED_PAD src0_sel:WORD_0 src1_sel:DWORD
	v_mul_i32_i24_sdwa v88, sext(v177), v166 dst_sel:DWORD dst_unused:UNUSED_PAD src0_sel:WORD_0 src1_sel:DWORD
	v_lshrrev_b32_e32 v89, 31, v167
	v_ashrrev_i32_e32 v167, 18, v167
	v_lshrrev_b32_e32 v90, 31, v88
	v_ashrrev_i32_e32 v88, 18, v88
	v_add_nc_u16 v167, v167, v89
	v_add_nc_u16 v88, v88, v90
	v_cmp_lt_i16_e32 vcc_lo, v167, v88
	v_cndmask_b32_e32 v176, v177, v176, vcc_lo
.LBB522_682:                            ;   in Loop: Header=BB522_548 Depth=1
	s_or_b32 exec_lo, exec_lo, s62
	v_mov_b32_e32 v177, v176
.LBB522_683:                            ;   in Loop: Header=BB522_548 Depth=1
	s_or_b32 exec_lo, exec_lo, s61
	v_cndmask_b32_e64 v179, v179, v77, s60
	v_cndmask_b32_e64 v180, v180, v76, s58
	;; [unrolled: 1-line block ×31, first 2 shown]
.LBB522_684:                            ;   in Loop: Header=BB522_548 Depth=1
	s_or_b32 exec_lo, exec_lo, s10
	s_cmpk_lt_u32 s5, 0x1000
	s_barrier
	buffer_gl0_inv
	s_cbranch_scc0 .LBB522_767
; %bb.685:                              ;   in Loop: Header=BB522_548 Depth=1
	s_mov_b32 s5, s7
	s_branch .LBB522_548
.LBB522_686:
	s_andn2_saveexec_b32 s37, s6
	s_cbranch_execz .LBB522_768
.LBB522_687:
	v_cmp_lt_u32_e32 vcc_lo, v6, v0
                                        ; implicit-def: $vgpr7
	s_and_saveexec_b32 s5, vcc_lo
	s_cbranch_execz .LBB522_689
; %bb.688:
	s_waitcnt lgkmcnt(31)
	v_add_co_u32 v50, s4, v2, v8
	v_add_co_ci_u32_e64 v51, null, 0, v3, s4
	flat_load_ushort v7, v[50:51]
.LBB522_689:
	s_or_b32 exec_lo, exec_lo, s5
	v_cmp_lt_u32_e64 s4, v38, v0
                                        ; implicit-def: $vgpr50
	s_and_saveexec_b32 s6, s4
	s_cbranch_execz .LBB522_691
; %bb.690:
	s_waitcnt lgkmcnt(31)
	v_add_co_u32 v50, s5, v2, v8
	v_add_co_ci_u32_e64 v51, null, 0, v3, s5
	flat_load_ushort v50, v[50:51] offset:512
.LBB522_691:
	s_or_b32 exec_lo, exec_lo, s6
	v_cmp_lt_u32_e64 s5, v35, v0
                                        ; implicit-def: $vgpr51
	s_and_saveexec_b32 s7, s5
	s_cbranch_execz .LBB522_693
; %bb.692:
	v_add_co_u32 v51, s6, v2, v8
	v_add_co_ci_u32_e64 v52, null, 0, v3, s6
	flat_load_ushort v51, v[51:52] offset:1024
.LBB522_693:
	s_or_b32 exec_lo, exec_lo, s7
	v_cmp_lt_u32_e64 s6, v1, v0
                                        ; implicit-def: $vgpr52
	s_and_saveexec_b32 s10, s6
	s_cbranch_execz .LBB522_695
; %bb.694:
	v_add_co_u32 v52, s7, v2, v8
	v_add_co_ci_u32_e64 v53, null, 0, v3, s7
	flat_load_ushort v52, v[52:53] offset:1536
.LBB522_695:
	s_or_b32 exec_lo, exec_lo, s10
	v_cmp_lt_u32_e64 s7, v10, v0
                                        ; implicit-def: $vgpr53
	s_and_saveexec_b32 s11, s7
	s_cbranch_execz .LBB522_697
; %bb.696:
	v_lshlrev_b32_e32 v53, 1, v10
	v_add_co_u32 v53, s10, v2, v53
	v_add_co_ci_u32_e64 v54, null, 0, v3, s10
	flat_load_ushort v53, v[53:54]
.LBB522_697:
	s_or_b32 exec_lo, exec_lo, s11
	v_cmp_lt_u32_e64 s10, v49, v0
                                        ; implicit-def: $vgpr54
	s_and_saveexec_b32 s14, s10
	s_cbranch_execz .LBB522_699
; %bb.698:
	v_lshlrev_b32_e32 v54, 1, v49
	v_add_co_u32 v54, s11, v2, v54
	v_add_co_ci_u32_e64 v55, null, 0, v3, s11
	flat_load_ushort v54, v[54:55]
.LBB522_699:
	s_or_b32 exec_lo, exec_lo, s14
	v_cmp_lt_u32_e64 s11, v11, v0
                                        ; implicit-def: $vgpr64
	s_and_saveexec_b32 s15, s11
	s_cbranch_execz .LBB522_701
; %bb.700:
	v_lshlrev_b32_e32 v55, 1, v11
	v_add_co_u32 v64, s14, v2, v55
	v_add_co_ci_u32_e64 v65, null, 0, v3, s14
	flat_load_ushort v64, v[64:65]
.LBB522_701:
	s_or_b32 exec_lo, exec_lo, s15
	v_cmp_lt_u32_e64 s47, v12, v0
                                        ; implicit-def: $vgpr55
	s_and_saveexec_b32 s15, s47
	s_cbranch_execz .LBB522_703
; %bb.702:
	v_lshlrev_b32_e32 v55, 1, v12
	v_add_co_u32 v65, s14, v2, v55
	v_add_co_ci_u32_e64 v66, null, 0, v3, s14
	flat_load_ushort v55, v[65:66]
.LBB522_703:
	s_or_b32 exec_lo, exec_lo, s15
	v_cmp_lt_u32_e64 s56, v13, v0
                                        ; implicit-def: $vgpr65
	s_and_saveexec_b32 s15, s56
	s_cbranch_execz .LBB522_705
; %bb.704:
	v_lshlrev_b32_e32 v65, 1, v13
	v_add_co_u32 v65, s14, v2, v65
	v_add_co_ci_u32_e64 v66, null, 0, v3, s14
	flat_load_ushort v65, v[65:66]
.LBB522_705:
	s_or_b32 exec_lo, exec_lo, s15
	v_cmp_lt_u32_e64 s14, v14, v0
                                        ; implicit-def: $vgpr66
	s_and_saveexec_b32 s16, s14
	s_cbranch_execz .LBB522_707
; %bb.706:
	v_lshlrev_b32_e32 v66, 1, v14
	v_add_co_u32 v66, s15, v2, v66
	v_add_co_ci_u32_e64 v67, null, 0, v3, s15
	flat_load_ushort v66, v[66:67]
.LBB522_707:
	s_or_b32 exec_lo, exec_lo, s16
	v_cmp_lt_u32_e64 s15, v15, v0
                                        ; implicit-def: $vgpr67
	s_and_saveexec_b32 s17, s15
	s_cbranch_execz .LBB522_709
; %bb.708:
	v_lshlrev_b32_e32 v67, 1, v15
	v_add_co_u32 v67, s16, v2, v67
	v_add_co_ci_u32_e64 v68, null, 0, v3, s16
	flat_load_ushort v67, v[67:68]
.LBB522_709:
	s_or_b32 exec_lo, exec_lo, s17
	v_cmp_lt_u32_e64 s16, v16, v0
                                        ; implicit-def: $vgpr69
	s_and_saveexec_b32 s18, s16
	s_cbranch_execz .LBB522_711
; %bb.710:
	v_lshlrev_b32_e32 v68, 1, v16
	v_add_co_u32 v68, s17, v2, v68
	v_add_co_ci_u32_e64 v69, null, 0, v3, s17
	flat_load_ushort v69, v[68:69]
.LBB522_711:
	s_or_b32 exec_lo, exec_lo, s18
	v_cmp_lt_u32_e64 s17, v17, v0
                                        ; implicit-def: $vgpr68
	s_and_saveexec_b32 s19, s17
	s_cbranch_execz .LBB522_713
; %bb.712:
	v_lshlrev_b32_e32 v68, 1, v17
	v_add_co_u32 v70, s18, v2, v68
	v_add_co_ci_u32_e64 v71, null, 0, v3, s18
	flat_load_ushort v68, v[70:71]
.LBB522_713:
	s_or_b32 exec_lo, exec_lo, s19
	v_cmp_lt_u32_e64 s18, v18, v0
                                        ; implicit-def: $vgpr70
	s_and_saveexec_b32 s20, s18
	s_cbranch_execz .LBB522_715
; %bb.714:
	v_lshlrev_b32_e32 v70, 1, v18
	v_add_co_u32 v70, s19, v2, v70
	v_add_co_ci_u32_e64 v71, null, 0, v3, s19
	flat_load_ushort v70, v[70:71]
.LBB522_715:
	s_or_b32 exec_lo, exec_lo, s20
	v_cmp_lt_u32_e64 s19, v19, v0
                                        ; implicit-def: $vgpr71
	s_and_saveexec_b32 s21, s19
	s_cbranch_execz .LBB522_717
; %bb.716:
	v_lshlrev_b32_e32 v71, 1, v19
	v_add_co_u32 v80, s20, v2, v71
	v_add_co_ci_u32_e64 v81, null, 0, v3, s20
	flat_load_ushort v71, v[80:81]
.LBB522_717:
	s_or_b32 exec_lo, exec_lo, s21
	v_cmp_lt_u32_e64 s20, v20, v0
                                        ; implicit-def: $vgpr80
	s_and_saveexec_b32 s22, s20
	s_cbranch_execz .LBB522_719
; %bb.718:
	v_lshlrev_b32_e32 v80, 1, v20
	v_add_co_u32 v80, s21, v2, v80
	v_add_co_ci_u32_e64 v81, null, 0, v3, s21
	flat_load_ushort v80, v[80:81]
.LBB522_719:
	s_or_b32 exec_lo, exec_lo, s22
	v_cmp_lt_u32_e64 s21, v21, v0
                                        ; implicit-def: $vgpr82
	s_and_saveexec_b32 s23, s21
	s_cbranch_execz .LBB522_721
; %bb.720:
	v_lshlrev_b32_e32 v81, 1, v21
	v_add_co_u32 v81, s22, v2, v81
	v_add_co_ci_u32_e64 v82, null, 0, v3, s22
	flat_load_ushort v82, v[81:82]
.LBB522_721:
	s_or_b32 exec_lo, exec_lo, s23
	v_cmp_lt_u32_e64 s22, v22, v0
                                        ; implicit-def: $vgpr81
	s_and_saveexec_b32 s24, s22
	s_cbranch_execz .LBB522_723
; %bb.722:
	v_lshlrev_b32_e32 v81, 1, v22
	v_add_co_u32 v83, s23, v2, v81
	v_add_co_ci_u32_e64 v84, null, 0, v3, s23
	flat_load_ushort v81, v[83:84]
.LBB522_723:
	s_or_b32 exec_lo, exec_lo, s24
	v_cmp_lt_u32_e64 s23, v23, v0
                                        ; implicit-def: $vgpr83
	s_and_saveexec_b32 s25, s23
	s_cbranch_execz .LBB522_725
; %bb.724:
	v_lshlrev_b32_e32 v83, 1, v23
	v_add_co_u32 v83, s24, v2, v83
	v_add_co_ci_u32_e64 v84, null, 0, v3, s24
	flat_load_ushort v83, v[83:84]
.LBB522_725:
	s_or_b32 exec_lo, exec_lo, s25
	v_cmp_lt_u32_e64 s24, v24, v0
                                        ; implicit-def: $vgpr84
	s_and_saveexec_b32 s26, s24
	s_cbranch_execz .LBB522_727
; %bb.726:
	v_lshlrev_b32_e32 v84, 1, v24
	v_add_co_u32 v84, s25, v2, v84
	v_add_co_ci_u32_e64 v85, null, 0, v3, s25
	flat_load_ushort v84, v[84:85]
.LBB522_727:
	s_or_b32 exec_lo, exec_lo, s26
	v_cmp_lt_u32_e64 s25, v25, v0
                                        ; implicit-def: $vgpr85
	s_and_saveexec_b32 s27, s25
	s_cbranch_execz .LBB522_729
; %bb.728:
	v_lshlrev_b32_e32 v85, 1, v25
	v_add_co_u32 v85, s26, v2, v85
	v_add_co_ci_u32_e64 v86, null, 0, v3, s26
	flat_load_ushort v85, v[85:86]
.LBB522_729:
	s_or_b32 exec_lo, exec_lo, s27
	v_cmp_lt_u32_e64 s26, v26, v0
                                        ; implicit-def: $vgpr87
	s_and_saveexec_b32 s28, s26
	s_cbranch_execz .LBB522_731
; %bb.730:
	v_lshlrev_b32_e32 v86, 1, v26
	v_add_co_u32 v86, s27, v2, v86
	v_add_co_ci_u32_e64 v87, null, 0, v3, s27
	flat_load_ushort v87, v[86:87]
.LBB522_731:
	s_or_b32 exec_lo, exec_lo, s28
	v_cmp_lt_u32_e64 s27, v27, v0
                                        ; implicit-def: $vgpr86
	s_and_saveexec_b32 s29, s27
	s_cbranch_execz .LBB522_733
; %bb.732:
	v_lshlrev_b32_e32 v86, 1, v27
	v_add_co_u32 v96, s28, v2, v86
	v_add_co_ci_u32_e64 v97, null, 0, v3, s28
	flat_load_ushort v86, v[96:97]
.LBB522_733:
	s_or_b32 exec_lo, exec_lo, s29
	v_cmp_lt_u32_e64 s28, v28, v0
                                        ; implicit-def: $vgpr96
	s_and_saveexec_b32 s40, s28
	s_cbranch_execz .LBB522_735
; %bb.734:
	v_lshlrev_b32_e32 v96, 1, v28
	v_add_co_u32 v96, s29, v2, v96
	v_add_co_ci_u32_e64 v97, null, 0, v3, s29
	flat_load_ushort v96, v[96:97]
.LBB522_735:
	s_or_b32 exec_lo, exec_lo, s40
	v_cmp_lt_u32_e64 s29, v29, v0
                                        ; implicit-def: $vgpr97
	s_and_saveexec_b32 s41, s29
	s_cbranch_execz .LBB522_737
; %bb.736:
	v_lshlrev_b32_e32 v97, 1, v29
	v_add_co_u32 v97, s40, v2, v97
	v_add_co_ci_u32_e64 v98, null, 0, v3, s40
	flat_load_ushort v97, v[97:98]
.LBB522_737:
	s_or_b32 exec_lo, exec_lo, s41
	v_cmp_lt_u32_e64 s40, v30, v0
                                        ; implicit-def: $vgpr98
	s_and_saveexec_b32 s42, s40
	s_cbranch_execz .LBB522_739
; %bb.738:
	v_lshlrev_b32_e32 v98, 1, v30
	v_add_co_u32 v98, s41, v2, v98
	v_add_co_ci_u32_e64 v99, null, 0, v3, s41
	flat_load_ushort v98, v[98:99]
.LBB522_739:
	s_or_b32 exec_lo, exec_lo, s42
	v_cmp_lt_u32_e64 s41, v31, v0
                                        ; implicit-def: $vgpr100
	s_and_saveexec_b32 s43, s41
	s_cbranch_execz .LBB522_741
; %bb.740:
	v_lshlrev_b32_e32 v99, 1, v31
	v_add_co_u32 v99, s42, v2, v99
	v_add_co_ci_u32_e64 v100, null, 0, v3, s42
	flat_load_ushort v100, v[99:100]
.LBB522_741:
	s_or_b32 exec_lo, exec_lo, s43
	v_cmp_lt_u32_e64 s42, v32, v0
                                        ; implicit-def: $vgpr99
	s_and_saveexec_b32 s44, s42
	s_cbranch_execz .LBB522_743
; %bb.742:
	v_lshlrev_b32_e32 v99, 1, v32
	v_add_co_u32 v101, s43, v2, v99
	v_add_co_ci_u32_e64 v102, null, 0, v3, s43
	flat_load_ushort v99, v[101:102]
.LBB522_743:
	s_or_b32 exec_lo, exec_lo, s44
	v_cmp_lt_u32_e64 s43, v33, v0
                                        ; implicit-def: $vgpr101
	s_and_saveexec_b32 s45, s43
	s_cbranch_execz .LBB522_745
; %bb.744:
	v_lshlrev_b32_e32 v101, 1, v33
	v_add_co_u32 v101, s44, v2, v101
	v_add_co_ci_u32_e64 v102, null, 0, v3, s44
	flat_load_ushort v101, v[101:102]
.LBB522_745:
	s_or_b32 exec_lo, exec_lo, s45
	v_cmp_lt_u32_e64 s44, v34, v0
                                        ; implicit-def: $vgpr113
	s_and_saveexec_b32 s46, s44
	s_cbranch_execz .LBB522_747
; %bb.746:
	v_lshlrev_b32_e32 v102, 1, v34
	v_add_co_u32 v113, s45, v2, v102
	v_add_co_ci_u32_e64 v114, null, 0, v3, s45
	flat_load_ushort v113, v[113:114]
.LBB522_747:
	s_or_b32 exec_lo, exec_lo, s46
	v_cmp_lt_u32_e64 s45, v48, v0
                                        ; implicit-def: $vgpr114
	s_and_saveexec_b32 s57, s45
	s_cbranch_execz .LBB522_749
; %bb.748:
	v_lshlrev_b32_e32 v102, 1, v48
	v_add_co_u32 v114, s46, v2, v102
	v_add_co_ci_u32_e64 v115, null, 0, v3, s46
	flat_load_ushort v114, v[114:115]
.LBB522_749:
	s_or_b32 exec_lo, exec_lo, s57
	v_cmp_lt_u32_e64 s46, v39, v0
                                        ; implicit-def: $vgpr115
	s_and_saveexec_b32 s58, s46
	s_cbranch_execz .LBB522_751
; %bb.750:
	v_lshlrev_b32_e32 v102, 1, v39
	v_add_co_u32 v2, s57, v2, v102
	v_add_co_ci_u32_e64 v3, null, 0, v3, s57
	flat_load_ushort v115, v[2:3]
.LBB522_751:
	s_or_b32 exec_lo, exec_lo, s58
	v_lshrrev_b32_e32 v2, 5, v38
	v_lshrrev_b32_e32 v35, 5, v35
	v_and_b32_e32 v3, 30, v36
	v_lshrrev_b32_e32 v36, 5, v1
	v_lshrrev_b32_e32 v102, 5, v11
	v_and_b32_e32 v1, 62, v2
	v_lshrrev_b32_e32 v2, 5, v49
	v_and_b32_e32 v35, 62, v35
	v_add_lshl_u32 v3, v3, v6, 1
	v_lshrrev_b32_e32 v38, 5, v10
	v_add_lshl_u32 v1, v1, v6, 1
	v_and_b32_e32 v116, 0x7e, v2
	v_add_lshl_u32 v2, v35, v6, 1
	v_and_b32_e32 v35, 0x7e, v102
	s_waitcnt vmcnt(0) lgkmcnt(0)
	ds_write_b16 v3, v7
	ds_write_b16 v1, v50 offset:512
	v_lshrrev_b32_e32 v50, 5, v16
	v_and_b32_e32 v36, 62, v36
	v_and_b32_e32 v38, 62, v38
	v_add_lshl_u32 v11, v35, v11, 1
	v_lshrrev_b32_e32 v35, 5, v12
	v_add_lshl_u32 v37, v37, v9, 1
	v_add_lshl_u32 v102, v36, v6, 1
	v_lshrrev_b32_e32 v36, 5, v13
	v_add_lshl_u32 v7, v38, v10, 1
	v_and_b32_e32 v35, 0x7e, v35
	v_lshrrev_b32_e32 v38, 5, v14
	v_add_lshl_u32 v10, v116, v49, 1
	v_lshrrev_b32_e32 v49, 5, v15
	v_and_b32_e32 v36, 0x5e, v36
	v_add_lshl_u32 v12, v35, v12, 1
	v_and_b32_e32 v35, 0x7e, v50
	v_lshrrev_b32_e32 v50, 5, v21
	v_and_b32_e32 v38, 0x7e, v38
	v_and_b32_e32 v49, 0x7e, v49
	v_add_lshl_u32 v13, v36, v13, 1
	v_add_lshl_u32 v16, v35, v16, 1
	v_lshrrev_b32_e32 v35, 5, v17
	v_lshrrev_b32_e32 v36, 5, v18
	v_add_lshl_u32 v14, v38, v14, 1
	v_lshrrev_b32_e32 v38, 5, v19
	v_add_lshl_u32 v15, v49, v15, 1
	v_and_b32_e32 v35, 0x7e, v35
	v_lshrrev_b32_e32 v49, 5, v20
	v_and_b32_e32 v36, 0xfe, v36
	v_and_b32_e32 v38, 0xfe, v38
	ds_write_b16 v2, v51 offset:1024
	v_add_lshl_u32 v17, v35, v17, 1
	v_and_b32_e32 v35, 0x9e, v50
	v_lshrrev_b32_e32 v50, 5, v26
	v_and_b32_e32 v49, 0xfe, v49
	v_add_lshl_u32 v18, v36, v18, 1
	v_lshrrev_b32_e32 v36, 5, v23
	v_add_lshl_u32 v21, v35, v21, 1
	v_lshrrev_b32_e32 v35, 5, v22
	;; [unrolled: 2-line block ×4, first 2 shown]
	v_and_b32_e32 v35, 0xbe, v35
	v_and_b32_e32 v36, 0xbe, v36
	;; [unrolled: 1-line block ×3, first 2 shown]
	ds_write_b16 v102, v52 offset:1536
	ds_write_b16 v7, v53
	ds_write_b16 v10, v54
	v_and_b32_e32 v49, 0xbe, v49
	v_add_lshl_u32 v22, v35, v22, 1
	v_and_b32_e32 v35, 0xfe, v50
	v_add_lshl_u32 v23, v36, v23, 1
	v_lshrrev_b32_e32 v36, 5, v28
	v_lshrrev_b32_e32 v50, 5, v31
	v_add_lshl_u32 v24, v38, v24, 1
	v_add_lshl_u32 v26, v35, v26, 1
	v_lshrrev_b32_e32 v35, 5, v27
	v_lshrrev_b32_e32 v38, 5, v29
	v_add_lshl_u32 v25, v49, v25, 1
	v_lshrrev_b32_e32 v49, 5, v30
	v_and_b32_e32 v36, 0xfe, v36
	v_and_b32_e32 v35, 0xfe, v35
	;; [unrolled: 1-line block ×3, first 2 shown]
	ds_write_b16 v11, v64
	v_and_b32_e32 v49, 0xfe, v49
	v_add_lshl_u32 v28, v36, v28, 1
	v_add_lshl_u32 v27, v35, v27, 1
	v_and_b32_e32 v35, 0xfe, v50
	v_lshrrev_b32_e32 v36, 5, v33
	v_lshrrev_b32_e32 v50, 5, v39
	v_add_lshl_u32 v29, v38, v29, 1
	v_lshrrev_b32_e32 v38, 5, v34
	v_add_lshl_u32 v31, v35, v31, 1
	;; [unrolled: 2-line block ×3, first 2 shown]
	v_lshrrev_b32_e32 v49, 5, v48
	v_and_b32_e32 v36, 0xfe, v36
	v_and_b32_e32 v50, 0x1fe, v50
	;; [unrolled: 1-line block ×5, first 2 shown]
	v_add_lshl_u32 v33, v36, v33, 1
	v_add_lshl_u32 v36, v50, v39, 1
	;; [unrolled: 1-line block ×5, first 2 shown]
	ds_write_b16 v12, v55
	ds_write_b16 v13, v65
	;; [unrolled: 1-line block ×25, first 2 shown]
	s_waitcnt lgkmcnt(0)
	s_waitcnt_vscnt null, 0x0
	s_barrier
	buffer_gl0_inv
	ds_read_u16 v97, v37
	ds_read_u16 v100, v37 offset:2
	ds_read_u16 v99, v37 offset:4
	;; [unrolled: 1-line block ×31, first 2 shown]
	s_waitcnt lgkmcnt(0)
	s_barrier
	buffer_gl0_inv
	s_load_dwordx2 s[58:59], s[8:9], 0x0
	v_mov_b32_e32 v113, 0
	s_waitcnt lgkmcnt(0)
	s_cmp_lt_u32 s13, s59
	s_cselect_b32 s13, 14, 20
	s_add_u32 s60, s8, s13
	s_addc_u32 s61, s9, 0
	s_cmp_lt_u32 s12, s58
	global_load_ushort v114, v113, s[60:61]
	s_cselect_b32 s12, 12, 18
	s_add_u32 s8, s8, s12
	s_addc_u32 s9, s9, 0
	global_load_ushort v113, v113, s[8:9]
	s_waitcnt vmcnt(1)
	v_mad_u32_u24 v103, v112, v114, v103
	s_waitcnt vmcnt(0)
	v_mul_lo_u32 v103, v103, v113
	v_add_lshl_u32 v103, v103, v6, 5
	v_sub_nc_u32_e64 v112, v0, v103 clamp
	v_cmp_lt_u32_e64 s8, 1, v112
	s_and_saveexec_b32 s12, s8
	s_cbranch_execz .LBB522_771
; %bb.752:
	v_mov_b32_e32 v113, 0x6667
	v_mul_i32_i24_sdwa v114, sext(v100), v113 dst_sel:DWORD dst_unused:UNUSED_PAD src0_sel:WORD_0 src1_sel:DWORD
	v_mul_i32_i24_sdwa v113, sext(v97), v113 dst_sel:DWORD dst_unused:UNUSED_PAD src0_sel:WORD_0 src1_sel:DWORD
	v_lshrrev_b32_e32 v115, 31, v114
	v_ashrrev_i32_e32 v114, 18, v114
	v_lshrrev_b32_e32 v116, 31, v113
	v_ashrrev_i32_e32 v113, 18, v113
	v_add_nc_u16 v114, v114, v115
	v_add_nc_u16 v113, v113, v116
	v_cmp_lt_i16_e64 s9, v114, v113
	v_cndmask_b32_e64 v113, v100, v97, s9
	v_cndmask_b32_e64 v97, v97, v100, s9
	v_mov_b32_e32 v100, v113
	s_or_b32 exec_lo, exec_lo, s12
	v_cmp_lt_u32_e64 s9, 3, v112
	s_and_saveexec_b32 s13, s9
	s_cbranch_execnz .LBB522_772
.LBB522_753:
	s_or_b32 exec_lo, exec_lo, s13
	v_cmp_lt_u32_e64 s12, 5, v112
	s_and_saveexec_b32 s57, s12
	s_cbranch_execz .LBB522_773
.LBB522_754:
	v_mov_b32_e32 v113, 0x6667
	v_mul_i32_i24_sdwa v114, sext(v87), v113 dst_sel:DWORD dst_unused:UNUSED_PAD src0_sel:WORD_0 src1_sel:DWORD
	v_mul_i32_i24_sdwa v113, sext(v96), v113 dst_sel:DWORD dst_unused:UNUSED_PAD src0_sel:WORD_0 src1_sel:DWORD
	v_lshrrev_b32_e32 v115, 31, v114
	v_ashrrev_i32_e32 v114, 18, v114
	v_lshrrev_b32_e32 v116, 31, v113
	v_ashrrev_i32_e32 v113, 18, v113
	v_add_nc_u16 v114, v114, v115
	v_add_nc_u16 v113, v113, v116
	v_cmp_lt_i16_e64 s13, v114, v113
	v_cndmask_b32_e64 v113, v87, v96, s13
	v_cndmask_b32_e64 v96, v96, v87, s13
	v_mov_b32_e32 v87, v113
	s_or_b32 exec_lo, exec_lo, s57
	v_cmp_lt_u32_e64 s13, 7, v112
	s_and_saveexec_b32 s58, s13
	s_cbranch_execnz .LBB522_774
.LBB522_755:
	s_or_b32 exec_lo, exec_lo, s58
	v_cmp_lt_u32_e64 s57, 9, v112
	s_and_saveexec_b32 s59, s57
	s_cbranch_execz .LBB522_775
.LBB522_756:
	v_mov_b32_e32 v113, 0x6667
	v_mul_i32_i24_sdwa v114, sext(v83), v113 dst_sel:DWORD dst_unused:UNUSED_PAD src0_sel:WORD_0 src1_sel:DWORD
	v_mul_i32_i24_sdwa v113, sext(v84), v113 dst_sel:DWORD dst_unused:UNUSED_PAD src0_sel:WORD_0 src1_sel:DWORD
	v_lshrrev_b32_e32 v115, 31, v114
	v_ashrrev_i32_e32 v114, 18, v114
	v_lshrrev_b32_e32 v116, 31, v113
	v_ashrrev_i32_e32 v113, 18, v113
	v_add_nc_u16 v114, v114, v115
	v_add_nc_u16 v113, v113, v116
	v_cmp_lt_i16_e64 s58, v114, v113
	v_cndmask_b32_e64 v113, v83, v84, s58
	v_cndmask_b32_e64 v84, v84, v83, s58
	v_mov_b32_e32 v83, v113
	s_or_b32 exec_lo, exec_lo, s59
	v_cmp_lt_u32_e64 s58, 11, v112
	s_and_saveexec_b32 s60, s58
	s_cbranch_execnz .LBB522_776
.LBB522_757:
	s_or_b32 exec_lo, exec_lo, s60
	v_cmp_lt_u32_e64 s59, 13, v112
	s_and_saveexec_b32 s61, s59
	s_cbranch_execz .LBB522_777
.LBB522_758:
	v_mov_b32_e32 v113, 0x6667
	v_mul_i32_i24_sdwa v114, sext(v71), v113 dst_sel:DWORD dst_unused:UNUSED_PAD src0_sel:WORD_0 src1_sel:DWORD
	v_mul_i32_i24_sdwa v113, sext(v80), v113 dst_sel:DWORD dst_unused:UNUSED_PAD src0_sel:WORD_0 src1_sel:DWORD
	v_lshrrev_b32_e32 v115, 31, v114
	v_ashrrev_i32_e32 v114, 18, v114
	v_lshrrev_b32_e32 v116, 31, v113
	v_ashrrev_i32_e32 v113, 18, v113
	v_add_nc_u16 v114, v114, v115
	v_add_nc_u16 v113, v113, v116
	v_cmp_lt_i16_e64 s60, v114, v113
	v_cndmask_b32_e64 v113, v71, v80, s60
	v_cndmask_b32_e64 v80, v80, v71, s60
	v_mov_b32_e32 v71, v113
	s_or_b32 exec_lo, exec_lo, s61
	v_cmp_lt_u32_e64 s60, 15, v112
	s_and_saveexec_b32 s62, s60
	s_cbranch_execnz .LBB522_778
.LBB522_759:
	s_or_b32 exec_lo, exec_lo, s62
	v_cmp_lt_u32_e64 s61, 17, v112
	s_and_saveexec_b32 s63, s61
	s_cbranch_execz .LBB522_779
.LBB522_760:
	v_mov_b32_e32 v113, 0x6667
	v_mul_i32_i24_sdwa v114, sext(v67), v113 dst_sel:DWORD dst_unused:UNUSED_PAD src0_sel:WORD_0 src1_sel:DWORD
	v_mul_i32_i24_sdwa v113, sext(v68), v113 dst_sel:DWORD dst_unused:UNUSED_PAD src0_sel:WORD_0 src1_sel:DWORD
	v_lshrrev_b32_e32 v115, 31, v114
	v_ashrrev_i32_e32 v114, 18, v114
	v_lshrrev_b32_e32 v116, 31, v113
	v_ashrrev_i32_e32 v113, 18, v113
	v_add_nc_u16 v114, v114, v115
	v_add_nc_u16 v113, v113, v116
	v_cmp_lt_i16_e64 s62, v114, v113
	v_cndmask_b32_e64 v113, v67, v68, s62
	v_cndmask_b32_e64 v68, v68, v67, s62
	v_mov_b32_e32 v67, v113
	s_or_b32 exec_lo, exec_lo, s63
	v_cmp_lt_u32_e64 s62, 19, v112
	s_and_saveexec_b32 s72, s62
	s_cbranch_execnz .LBB522_780
.LBB522_761:
	s_or_b32 exec_lo, exec_lo, s72
	v_cmp_lt_u32_e64 s63, 21, v112
	s_and_saveexec_b32 s73, s63
	s_cbranch_execz .LBB522_781
.LBB522_762:
	v_mov_b32_e32 v113, 0x6667
	v_mul_i32_i24_sdwa v114, sext(v55), v113 dst_sel:DWORD dst_unused:UNUSED_PAD src0_sel:WORD_0 src1_sel:DWORD
	v_mul_i32_i24_sdwa v113, sext(v64), v113 dst_sel:DWORD dst_unused:UNUSED_PAD src0_sel:WORD_0 src1_sel:DWORD
	v_lshrrev_b32_e32 v115, 31, v114
	v_ashrrev_i32_e32 v114, 18, v114
	v_lshrrev_b32_e32 v116, 31, v113
	v_ashrrev_i32_e32 v113, 18, v113
	v_add_nc_u16 v114, v114, v115
	v_add_nc_u16 v113, v113, v116
	v_cmp_lt_i16_e64 s72, v114, v113
	v_cndmask_b32_e64 v113, v55, v64, s72
	v_cndmask_b32_e64 v64, v64, v55, s72
	v_mov_b32_e32 v55, v113
	s_or_b32 exec_lo, exec_lo, s73
	v_cmp_lt_u32_e64 s72, 23, v112
	s_and_saveexec_b32 s74, s72
	s_cbranch_execnz .LBB522_782
.LBB522_763:
	s_or_b32 exec_lo, exec_lo, s74
	v_cmp_lt_u32_e64 s73, 25, v112
	s_and_saveexec_b32 s75, s73
	s_cbranch_execz .LBB522_783
.LBB522_764:
	v_mov_b32_e32 v113, 0x6667
	v_mul_i32_i24_sdwa v114, sext(v54), v113 dst_sel:DWORD dst_unused:UNUSED_PAD src0_sel:WORD_0 src1_sel:DWORD
	v_mul_i32_i24_sdwa v113, sext(v51), v113 dst_sel:DWORD dst_unused:UNUSED_PAD src0_sel:WORD_0 src1_sel:DWORD
	v_lshrrev_b32_e32 v115, 31, v114
	v_ashrrev_i32_e32 v114, 18, v114
	v_lshrrev_b32_e32 v116, 31, v113
	v_ashrrev_i32_e32 v113, 18, v113
	v_add_nc_u16 v114, v114, v115
	v_add_nc_u16 v113, v113, v116
	v_cmp_lt_i16_e64 s74, v114, v113
	v_cndmask_b32_e64 v113, v54, v51, s74
	v_cndmask_b32_e64 v51, v51, v54, s74
	v_mov_b32_e32 v54, v113
	s_or_b32 exec_lo, exec_lo, s75
	v_cmp_lt_u32_e64 s74, 27, v112
	s_and_saveexec_b32 s76, s74
	s_cbranch_execnz .LBB522_784
.LBB522_765:
	s_or_b32 exec_lo, exec_lo, s76
	v_cmp_lt_u32_e64 s75, 29, v112
	s_and_saveexec_b32 s77, s75
	s_cbranch_execz .LBB522_785
.LBB522_766:
	v_mov_b32_e32 v113, 0x6667
	v_mul_i32_i24_sdwa v114, sext(v39), v113 dst_sel:DWORD dst_unused:UNUSED_PAD src0_sel:WORD_0 src1_sel:DWORD
	v_mul_i32_i24_sdwa v113, sext(v48), v113 dst_sel:DWORD dst_unused:UNUSED_PAD src0_sel:WORD_0 src1_sel:DWORD
	v_lshrrev_b32_e32 v115, 31, v114
	v_ashrrev_i32_e32 v114, 18, v114
	v_lshrrev_b32_e32 v116, 31, v113
	v_ashrrev_i32_e32 v113, 18, v113
	v_add_nc_u16 v114, v114, v115
	v_add_nc_u16 v113, v113, v116
	v_cmp_lt_i16_e64 s76, v114, v113
	v_cndmask_b32_e64 v113, v48, v39, s76
	v_cndmask_b32_e64 v39, v39, v48, s76
	v_mov_b32_e32 v48, v113
	s_or_b32 exec_lo, exec_lo, s77
	v_cmp_lt_u32_e64 s76, 31, v112
	s_and_saveexec_b32 s78, s76
	s_cbranch_execnz .LBB522_786
	s_branch .LBB522_787
.LBB522_767:
	s_barrier
	buffer_gl0_inv
	ds_write_b16 v35, v178
	ds_write_b16 v39, v231
	;; [unrolled: 1-line block ×32, first 2 shown]
	s_waitcnt lgkmcnt(0)
	s_barrier
	buffer_gl0_inv
	ds_read_u16 v9, v0
	ds_read_u16 v35, v36
	ds_read_u16 v36, v37
	ds_read_u16 v37, v38
	ds_read_u16 v38, v2
	ds_read_u16 v39, v3
	ds_read_u16 v10, v10
	ds_read_u16 v11, v11
	ds_read_u16 v12, v12
	ds_read_u16 v13, v13
	ds_read_u16 v14, v14
	ds_read_u16 v15, v15
	ds_read_u16 v16, v16
	ds_read_u16 v17, v17
	ds_read_u16 v18, v18
	ds_read_u16 v19, v19
	ds_read_u16 v20, v20
	ds_read_u16 v21, v21
	ds_read_u16 v22, v22
	ds_read_u16 v23, v23
	ds_read_u16 v24, v24
	ds_read_u16 v25, v25
	ds_read_u16 v26, v26
	ds_read_u16 v27, v27
	ds_read_u16 v28, v28
	ds_read_u16 v29, v29
	ds_read_u16 v30, v30
	ds_read_u16 v31, v31
	ds_read_u16 v32, v32
	ds_read_u16 v33, v33
	ds_read_u16 v34, v34
	v_add_co_u32 v2, vcc_lo, v4, v8
	v_add_co_ci_u32_e64 v3, null, 0, v5, vcc_lo
	ds_read_u16 v50, v1
	v_add_co_u32 v0, vcc_lo, 0x800, v2
	v_add_co_ci_u32_e64 v1, null, 0, v3, vcc_lo
	s_waitcnt lgkmcnt(31)
	flat_store_short v[2:3], v9
	s_waitcnt lgkmcnt(31)
	flat_store_short v[2:3], v35 offset:512
	s_waitcnt lgkmcnt(31)
	flat_store_short v[2:3], v36 offset:1024
	s_waitcnt lgkmcnt(31)
	flat_store_short v[2:3], v37 offset:1536
	s_waitcnt lgkmcnt(31)
	flat_store_short v[0:1], v38
	s_waitcnt lgkmcnt(31)
	flat_store_short v[0:1], v39 offset:512
	s_waitcnt lgkmcnt(31)
	flat_store_short v[0:1], v10 offset:1024
	s_waitcnt lgkmcnt(31)
	flat_store_short v[0:1], v11 offset:1536
	v_add_co_u32 v0, vcc_lo, 0x1000, v2
	v_add_co_ci_u32_e64 v1, null, 0, v3, vcc_lo
	v_add_co_u32 v8, vcc_lo, 0x1800, v2
	v_add_co_ci_u32_e64 v9, null, 0, v3, vcc_lo
	s_waitcnt lgkmcnt(31)
	flat_store_short v[0:1], v12
	s_waitcnt lgkmcnt(31)
	flat_store_short v[0:1], v13 offset:512
	s_waitcnt lgkmcnt(31)
	flat_store_short v[0:1], v14 offset:1024
	s_waitcnt lgkmcnt(31)
	flat_store_short v[0:1], v15 offset:1536
	s_waitcnt lgkmcnt(31)
	flat_store_short v[8:9], v16
	s_waitcnt lgkmcnt(31)
	flat_store_short v[8:9], v17 offset:512
	s_waitcnt lgkmcnt(31)
	flat_store_short v[8:9], v18 offset:1024
	s_waitcnt lgkmcnt(31)
	flat_store_short v[8:9], v19 offset:1536
	v_add_co_u32 v0, vcc_lo, 0x2000, v2
	v_add_co_ci_u32_e64 v1, null, 0, v3, vcc_lo
	;; [unrolled: 20-line block ×3, first 2 shown]
	v_add_co_u32 v2, vcc_lo, 0x3800, v2
	s_mov_b32 s36, exec_lo
	v_add_co_ci_u32_e64 v3, null, 0, v3, vcc_lo
	s_waitcnt lgkmcnt(31)
	flat_store_short v[0:1], v28
	s_waitcnt lgkmcnt(31)
	flat_store_short v[0:1], v29 offset:512
	s_waitcnt lgkmcnt(31)
	flat_store_short v[0:1], v30 offset:1024
	;; [unrolled: 2-line block ×3, first 2 shown]
	s_waitcnt lgkmcnt(31)
	flat_store_short v[2:3], v32
	s_waitcnt lgkmcnt(31)
	flat_store_short v[2:3], v33 offset:512
	s_waitcnt lgkmcnt(31)
	flat_store_short v[2:3], v34 offset:1024
                                        ; implicit-def: $vgpr0
                                        ; implicit-def: $vgpr2
                                        ; implicit-def: $vgpr3
                                        ; implicit-def: $vgpr103
                                        ; implicit-def: $vgpr112
                                        ; implicit-def: $vgpr8
                                        ; implicit-def: $vgpr36
                                        ; implicit-def: $vgpr38
                                        ; implicit-def: $vgpr35
                                        ; implicit-def: $vgpr1
                                        ; implicit-def: $vgpr10
                                        ; implicit-def: $vgpr49
                                        ; implicit-def: $vgpr11
                                        ; implicit-def: $vgpr12
                                        ; implicit-def: $vgpr13
                                        ; implicit-def: $vgpr14
                                        ; implicit-def: $vgpr15
                                        ; implicit-def: $vgpr16
                                        ; implicit-def: $vgpr17
                                        ; implicit-def: $vgpr18
                                        ; implicit-def: $vgpr19
                                        ; implicit-def: $vgpr20
                                        ; implicit-def: $vgpr21
                                        ; implicit-def: $vgpr22
                                        ; implicit-def: $vgpr23
                                        ; implicit-def: $vgpr24
                                        ; implicit-def: $vgpr25
                                        ; implicit-def: $vgpr26
                                        ; implicit-def: $vgpr27
                                        ; implicit-def: $vgpr28
                                        ; implicit-def: $vgpr29
                                        ; implicit-def: $vgpr30
                                        ; implicit-def: $vgpr31
                                        ; implicit-def: $vgpr32
                                        ; implicit-def: $vgpr33
                                        ; implicit-def: $vgpr34
                                        ; implicit-def: $vgpr48
                                        ; implicit-def: $vgpr39
                                        ; implicit-def: $vgpr9
                                        ; implicit-def: $vgpr37
	s_andn2_saveexec_b32 s37, s6
	s_cbranch_execnz .LBB522_687
.LBB522_768:
	s_or_b32 exec_lo, exec_lo, s37
	s_and_saveexec_b32 s4, s36
	s_cbranch_execz .LBB522_770
.LBB522_769:
	v_lshlrev_b64 v[0:1], 1, v[6:7]
	v_add_co_u32 v0, vcc_lo, v4, v0
	v_add_co_ci_u32_e64 v1, null, v5, v1, vcc_lo
	v_add_co_u32 v0, vcc_lo, 0x3800, v0
	v_add_co_ci_u32_e64 v1, null, 0, v1, vcc_lo
	s_waitcnt lgkmcnt(0)
	flat_store_short v[0:1], v50 offset:1536
.LBB522_770:
	s_or_b32 exec_lo, exec_lo, s4
	s_clause 0x1e
	buffer_load_dword v94, off, s[0:3], s32
	buffer_load_dword v93, off, s[0:3], s32 offset:4
	buffer_load_dword v92, off, s[0:3], s32 offset:8
	;; [unrolled: 1-line block ×30, first 2 shown]
	v_readlane_b32 s30, v95, 10
	v_readlane_b32 s31, v95, 11
	;; [unrolled: 1-line block ×12, first 2 shown]
	s_or_saveexec_b32 s4, -1
	buffer_load_dword v95, off, s[0:3], s32 offset:124 ; 4-byte Folded Reload
	s_mov_b32 exec_lo, s4
	s_waitcnt vmcnt(0) lgkmcnt(0)
	s_setpc_b64 s[30:31]
.LBB522_771:
	s_or_b32 exec_lo, exec_lo, s12
	v_cmp_lt_u32_e64 s9, 3, v112
	s_and_saveexec_b32 s13, s9
	s_cbranch_execz .LBB522_753
.LBB522_772:
	v_mov_b32_e32 v113, 0x6667
	v_mul_i32_i24_sdwa v114, sext(v98), v113 dst_sel:DWORD dst_unused:UNUSED_PAD src0_sel:WORD_0 src1_sel:DWORD
	v_mul_i32_i24_sdwa v113, sext(v99), v113 dst_sel:DWORD dst_unused:UNUSED_PAD src0_sel:WORD_0 src1_sel:DWORD
	v_lshrrev_b32_e32 v115, 31, v114
	v_ashrrev_i32_e32 v114, 18, v114
	v_lshrrev_b32_e32 v116, 31, v113
	v_ashrrev_i32_e32 v113, 18, v113
	v_add_nc_u16 v114, v114, v115
	v_add_nc_u16 v113, v113, v116
	v_cmp_lt_i16_e64 s12, v114, v113
	v_cndmask_b32_e64 v113, v98, v99, s12
	v_cndmask_b32_e64 v99, v99, v98, s12
	v_mov_b32_e32 v98, v113
	s_or_b32 exec_lo, exec_lo, s13
	v_cmp_lt_u32_e64 s12, 5, v112
	s_and_saveexec_b32 s57, s12
	s_cbranch_execnz .LBB522_754
.LBB522_773:
	s_or_b32 exec_lo, exec_lo, s57
	v_cmp_lt_u32_e64 s13, 7, v112
	s_and_saveexec_b32 s58, s13
	s_cbranch_execz .LBB522_755
.LBB522_774:
	v_mov_b32_e32 v113, 0x6667
	v_mul_i32_i24_sdwa v114, sext(v85), v113 dst_sel:DWORD dst_unused:UNUSED_PAD src0_sel:WORD_0 src1_sel:DWORD
	v_mul_i32_i24_sdwa v113, sext(v86), v113 dst_sel:DWORD dst_unused:UNUSED_PAD src0_sel:WORD_0 src1_sel:DWORD
	v_lshrrev_b32_e32 v115, 31, v114
	v_ashrrev_i32_e32 v114, 18, v114
	v_lshrrev_b32_e32 v116, 31, v113
	v_ashrrev_i32_e32 v113, 18, v113
	v_add_nc_u16 v114, v114, v115
	v_add_nc_u16 v113, v113, v116
	v_cmp_lt_i16_e64 s57, v114, v113
	v_cndmask_b32_e64 v113, v85, v86, s57
	v_cndmask_b32_e64 v86, v86, v85, s57
	v_mov_b32_e32 v85, v113
	s_or_b32 exec_lo, exec_lo, s58
	v_cmp_lt_u32_e64 s57, 9, v112
	s_and_saveexec_b32 s59, s57
	s_cbranch_execnz .LBB522_756
.LBB522_775:
	s_or_b32 exec_lo, exec_lo, s59
	v_cmp_lt_u32_e64 s58, 11, v112
	s_and_saveexec_b32 s60, s58
	s_cbranch_execz .LBB522_757
.LBB522_776:
	v_mov_b32_e32 v113, 0x6667
	v_mul_i32_i24_sdwa v114, sext(v81), v113 dst_sel:DWORD dst_unused:UNUSED_PAD src0_sel:WORD_0 src1_sel:DWORD
	v_mul_i32_i24_sdwa v113, sext(v82), v113 dst_sel:DWORD dst_unused:UNUSED_PAD src0_sel:WORD_0 src1_sel:DWORD
	v_lshrrev_b32_e32 v115, 31, v114
	v_ashrrev_i32_e32 v114, 18, v114
	v_lshrrev_b32_e32 v116, 31, v113
	v_ashrrev_i32_e32 v113, 18, v113
	v_add_nc_u16 v114, v114, v115
	v_add_nc_u16 v113, v113, v116
	v_cmp_lt_i16_e64 s59, v114, v113
	v_cndmask_b32_e64 v113, v81, v82, s59
	v_cndmask_b32_e64 v82, v82, v81, s59
	v_mov_b32_e32 v81, v113
	s_or_b32 exec_lo, exec_lo, s60
	v_cmp_lt_u32_e64 s59, 13, v112
	s_and_saveexec_b32 s61, s59
	s_cbranch_execnz .LBB522_758
.LBB522_777:
	s_or_b32 exec_lo, exec_lo, s61
	v_cmp_lt_u32_e64 s60, 15, v112
	s_and_saveexec_b32 s62, s60
	s_cbranch_execz .LBB522_759
.LBB522_778:
	v_mov_b32_e32 v113, 0x6667
	v_mul_i32_i24_sdwa v114, sext(v69), v113 dst_sel:DWORD dst_unused:UNUSED_PAD src0_sel:WORD_0 src1_sel:DWORD
	v_mul_i32_i24_sdwa v113, sext(v70), v113 dst_sel:DWORD dst_unused:UNUSED_PAD src0_sel:WORD_0 src1_sel:DWORD
	v_lshrrev_b32_e32 v115, 31, v114
	v_ashrrev_i32_e32 v114, 18, v114
	v_lshrrev_b32_e32 v116, 31, v113
	v_ashrrev_i32_e32 v113, 18, v113
	v_add_nc_u16 v114, v114, v115
	v_add_nc_u16 v113, v113, v116
	v_cmp_lt_i16_e64 s61, v114, v113
	v_cndmask_b32_e64 v113, v69, v70, s61
	v_cndmask_b32_e64 v70, v70, v69, s61
	v_mov_b32_e32 v69, v113
	s_or_b32 exec_lo, exec_lo, s62
	v_cmp_lt_u32_e64 s61, 17, v112
	s_and_saveexec_b32 s63, s61
	s_cbranch_execnz .LBB522_760
.LBB522_779:
	s_or_b32 exec_lo, exec_lo, s63
	v_cmp_lt_u32_e64 s62, 19, v112
	s_and_saveexec_b32 s72, s62
	s_cbranch_execz .LBB522_761
.LBB522_780:
	v_mov_b32_e32 v113, 0x6667
	v_mul_i32_i24_sdwa v114, sext(v65), v113 dst_sel:DWORD dst_unused:UNUSED_PAD src0_sel:WORD_0 src1_sel:DWORD
	v_mul_i32_i24_sdwa v113, sext(v66), v113 dst_sel:DWORD dst_unused:UNUSED_PAD src0_sel:WORD_0 src1_sel:DWORD
	v_lshrrev_b32_e32 v115, 31, v114
	v_ashrrev_i32_e32 v114, 18, v114
	v_lshrrev_b32_e32 v116, 31, v113
	v_ashrrev_i32_e32 v113, 18, v113
	v_add_nc_u16 v114, v114, v115
	v_add_nc_u16 v113, v113, v116
	v_cmp_lt_i16_e64 s63, v114, v113
	v_cndmask_b32_e64 v113, v65, v66, s63
	v_cndmask_b32_e64 v66, v66, v65, s63
	v_mov_b32_e32 v65, v113
	s_or_b32 exec_lo, exec_lo, s72
	v_cmp_lt_u32_e64 s63, 21, v112
	s_and_saveexec_b32 s73, s63
	s_cbranch_execnz .LBB522_762
.LBB522_781:
	s_or_b32 exec_lo, exec_lo, s73
	v_cmp_lt_u32_e64 s72, 23, v112
	s_and_saveexec_b32 s74, s72
	s_cbranch_execz .LBB522_763
.LBB522_782:
	v_mov_b32_e32 v113, 0x6667
	v_mul_i32_i24_sdwa v114, sext(v52), v113 dst_sel:DWORD dst_unused:UNUSED_PAD src0_sel:WORD_0 src1_sel:DWORD
	v_mul_i32_i24_sdwa v113, sext(v53), v113 dst_sel:DWORD dst_unused:UNUSED_PAD src0_sel:WORD_0 src1_sel:DWORD
	v_lshrrev_b32_e32 v115, 31, v114
	v_ashrrev_i32_e32 v114, 18, v114
	v_lshrrev_b32_e32 v116, 31, v113
	v_ashrrev_i32_e32 v113, 18, v113
	v_add_nc_u16 v114, v114, v115
	v_add_nc_u16 v113, v113, v116
	v_cmp_lt_i16_e64 s73, v114, v113
	v_cndmask_b32_e64 v113, v52, v53, s73
	v_cndmask_b32_e64 v53, v53, v52, s73
	v_mov_b32_e32 v52, v113
	s_or_b32 exec_lo, exec_lo, s74
	v_cmp_lt_u32_e64 s73, 25, v112
	s_and_saveexec_b32 s75, s73
	s_cbranch_execnz .LBB522_764
.LBB522_783:
	s_or_b32 exec_lo, exec_lo, s75
	v_cmp_lt_u32_e64 s74, 27, v112
	s_and_saveexec_b32 s76, s74
	s_cbranch_execz .LBB522_765
.LBB522_784:
	v_mov_b32_e32 v113, 0x6667
	v_mul_i32_i24_sdwa v114, sext(v49), v113 dst_sel:DWORD dst_unused:UNUSED_PAD src0_sel:WORD_0 src1_sel:DWORD
	v_mul_i32_i24_sdwa v113, sext(v50), v113 dst_sel:DWORD dst_unused:UNUSED_PAD src0_sel:WORD_0 src1_sel:DWORD
	v_lshrrev_b32_e32 v115, 31, v114
	v_ashrrev_i32_e32 v114, 18, v114
	v_lshrrev_b32_e32 v116, 31, v113
	v_ashrrev_i32_e32 v113, 18, v113
	v_add_nc_u16 v114, v114, v115
	v_add_nc_u16 v113, v113, v116
	v_cmp_lt_i16_e64 s75, v114, v113
	v_cndmask_b32_e64 v113, v50, v49, s75
	v_cndmask_b32_e64 v49, v49, v50, s75
	v_mov_b32_e32 v50, v113
	s_or_b32 exec_lo, exec_lo, s76
	v_cmp_lt_u32_e64 s75, 29, v112
	s_and_saveexec_b32 s77, s75
	s_cbranch_execnz .LBB522_766
.LBB522_785:
	s_or_b32 exec_lo, exec_lo, s77
	v_cmp_lt_u32_e64 s76, 31, v112
	s_and_saveexec_b32 s78, s76
	s_cbranch_execz .LBB522_787
.LBB522_786:
	v_mov_b32_e32 v113, 0x6667
	v_mul_i32_i24_sdwa v114, sext(v38), v113 dst_sel:DWORD dst_unused:UNUSED_PAD src0_sel:WORD_0 src1_sel:DWORD
	v_mul_i32_i24_sdwa v113, sext(v101), v113 dst_sel:DWORD dst_unused:UNUSED_PAD src0_sel:WORD_0 src1_sel:DWORD
	v_lshrrev_b32_e32 v115, 31, v114
	v_ashrrev_i32_e32 v114, 18, v114
	v_lshrrev_b32_e32 v116, 31, v113
	v_ashrrev_i32_e32 v113, 18, v113
	v_add_nc_u16 v114, v114, v115
	v_add_nc_u16 v113, v113, v116
	v_cmp_lt_i16_e64 s77, v114, v113
	v_cndmask_b32_e64 v113, v101, v38, s77
	v_cndmask_b32_e64 v38, v38, v101, s77
	v_mov_b32_e32 v101, v113
.LBB522_787:
	s_or_b32 exec_lo, exec_lo, s78
	v_cmp_lt_u32_e64 s77, 2, v112
	s_and_saveexec_b32 s78, s77
	s_xor_b32 s79, exec_lo, s78
	s_cbranch_execz .LBB522_1267
; %bb.788:
	v_mov_b32_e32 v113, 0x6667
	v_mul_i32_i24_sdwa v114, sext(v99), v113 dst_sel:DWORD dst_unused:UNUSED_PAD src0_sel:WORD_0 src1_sel:DWORD
	v_mul_i32_i24_sdwa v113, sext(v100), v113 dst_sel:DWORD dst_unused:UNUSED_PAD src0_sel:WORD_0 src1_sel:DWORD
	v_lshrrev_b32_e32 v115, 31, v114
	v_ashrrev_i32_e32 v114, 18, v114
	v_lshrrev_b32_e32 v116, 31, v113
	v_ashrrev_i32_e32 v113, 18, v113
	v_add_nc_u16 v114, v114, v115
	v_add_nc_u16 v113, v113, v116
	v_cmp_lt_i16_e64 s78, v114, v113
	v_cndmask_b32_e64 v113, v99, v100, s78
	v_cndmask_b32_e64 v100, v100, v99, s78
	v_mov_b32_e32 v99, v113
	s_or_b32 exec_lo, exec_lo, s79
	v_cmp_lt_u32_e64 s78, 4, v112
	s_and_saveexec_b32 s88, s78
	s_cbranch_execnz .LBB522_1268
.LBB522_789:
	s_or_b32 exec_lo, exec_lo, s88
	v_cmp_lt_u32_e64 s79, 6, v112
	s_and_saveexec_b32 s89, s79
	s_cbranch_execz .LBB522_1269
.LBB522_790:
	v_mov_b32_e32 v113, 0x6667
	v_mul_i32_i24_sdwa v114, sext(v86), v113 dst_sel:DWORD dst_unused:UNUSED_PAD src0_sel:WORD_0 src1_sel:DWORD
	v_mul_i32_i24_sdwa v113, sext(v87), v113 dst_sel:DWORD dst_unused:UNUSED_PAD src0_sel:WORD_0 src1_sel:DWORD
	v_lshrrev_b32_e32 v115, 31, v114
	v_ashrrev_i32_e32 v114, 18, v114
	v_lshrrev_b32_e32 v116, 31, v113
	v_ashrrev_i32_e32 v113, 18, v113
	v_add_nc_u16 v114, v114, v115
	v_add_nc_u16 v113, v113, v116
	v_cmp_lt_i16_e64 s88, v114, v113
	v_cndmask_b32_e64 v113, v86, v87, s88
	v_cndmask_b32_e64 v87, v87, v86, s88
	v_mov_b32_e32 v86, v113
	s_or_b32 exec_lo, exec_lo, s89
	v_cmp_lt_u32_e64 s88, 8, v112
	s_and_saveexec_b32 s90, s88
	s_cbranch_execnz .LBB522_1270
.LBB522_791:
	s_or_b32 exec_lo, exec_lo, s90
	v_cmp_lt_u32_e64 s89, 10, v112
	s_and_saveexec_b32 s91, s89
	s_cbranch_execz .LBB522_1271
.LBB522_792:
	v_mov_b32_e32 v113, 0x6667
	v_mul_i32_i24_sdwa v114, sext(v82), v113 dst_sel:DWORD dst_unused:UNUSED_PAD src0_sel:WORD_0 src1_sel:DWORD
	v_mul_i32_i24_sdwa v113, sext(v83), v113 dst_sel:DWORD dst_unused:UNUSED_PAD src0_sel:WORD_0 src1_sel:DWORD
	v_lshrrev_b32_e32 v115, 31, v114
	v_ashrrev_i32_e32 v114, 18, v114
	v_lshrrev_b32_e32 v116, 31, v113
	v_ashrrev_i32_e32 v113, 18, v113
	v_add_nc_u16 v114, v114, v115
	v_add_nc_u16 v113, v113, v116
	v_cmp_lt_i16_e64 s90, v114, v113
	v_cndmask_b32_e64 v113, v82, v83, s90
	v_cndmask_b32_e64 v83, v83, v82, s90
	v_mov_b32_e32 v82, v113
	s_or_b32 exec_lo, exec_lo, s91
	v_cmp_lt_u32_e64 s90, 12, v112
	s_and_saveexec_b32 s92, s90
	s_cbranch_execnz .LBB522_1272
.LBB522_793:
	s_or_b32 exec_lo, exec_lo, s92
	v_cmp_lt_u32_e64 s91, 14, v112
	s_and_saveexec_b32 s93, s91
	s_cbranch_execz .LBB522_1273
.LBB522_794:
	v_mov_b32_e32 v113, 0x6667
	v_mul_i32_i24_sdwa v114, sext(v70), v113 dst_sel:DWORD dst_unused:UNUSED_PAD src0_sel:WORD_0 src1_sel:DWORD
	v_mul_i32_i24_sdwa v113, sext(v71), v113 dst_sel:DWORD dst_unused:UNUSED_PAD src0_sel:WORD_0 src1_sel:DWORD
	v_lshrrev_b32_e32 v115, 31, v114
	v_ashrrev_i32_e32 v114, 18, v114
	v_lshrrev_b32_e32 v116, 31, v113
	v_ashrrev_i32_e32 v113, 18, v113
	v_add_nc_u16 v114, v114, v115
	v_add_nc_u16 v113, v113, v116
	v_cmp_lt_i16_e64 s92, v114, v113
	v_cndmask_b32_e64 v113, v70, v71, s92
	v_cndmask_b32_e64 v71, v71, v70, s92
	v_mov_b32_e32 v70, v113
	s_or_b32 exec_lo, exec_lo, s93
	v_cmp_lt_u32_e64 s92, 16, v112
	s_and_saveexec_b32 s94, s92
	s_cbranch_execnz .LBB522_1274
.LBB522_795:
	s_or_b32 exec_lo, exec_lo, s94
	v_cmp_lt_u32_e64 s93, 18, v112
	s_and_saveexec_b32 s95, s93
	s_cbranch_execz .LBB522_1275
.LBB522_796:
	v_mov_b32_e32 v113, 0x6667
	v_mul_i32_i24_sdwa v114, sext(v66), v113 dst_sel:DWORD dst_unused:UNUSED_PAD src0_sel:WORD_0 src1_sel:DWORD
	v_mul_i32_i24_sdwa v113, sext(v67), v113 dst_sel:DWORD dst_unused:UNUSED_PAD src0_sel:WORD_0 src1_sel:DWORD
	v_lshrrev_b32_e32 v115, 31, v114
	v_ashrrev_i32_e32 v114, 18, v114
	v_lshrrev_b32_e32 v116, 31, v113
	v_ashrrev_i32_e32 v113, 18, v113
	v_add_nc_u16 v114, v114, v115
	v_add_nc_u16 v113, v113, v116
	v_cmp_lt_i16_e64 s94, v114, v113
	v_cndmask_b32_e64 v113, v66, v67, s94
	v_cndmask_b32_e64 v67, v67, v66, s94
	v_mov_b32_e32 v66, v113
	s_or_b32 exec_lo, exec_lo, s95
	v_cmp_lt_u32_e64 s94, 20, v112
	s_and_saveexec_b32 vcc_hi, s94
	s_cbranch_execnz .LBB522_1276
.LBB522_797:
	s_or_b32 exec_lo, exec_lo, vcc_hi
	v_cmp_lt_u32_e64 s95, 22, v112
	s_and_saveexec_b32 s30, s95
	s_cbranch_execz .LBB522_1277
.LBB522_798:
	v_mov_b32_e32 v113, 0x6667
	v_mul_i32_i24_sdwa v114, sext(v53), v113 dst_sel:DWORD dst_unused:UNUSED_PAD src0_sel:WORD_0 src1_sel:DWORD
	v_mul_i32_i24_sdwa v113, sext(v55), v113 dst_sel:DWORD dst_unused:UNUSED_PAD src0_sel:WORD_0 src1_sel:DWORD
	v_lshrrev_b32_e32 v115, 31, v114
	v_ashrrev_i32_e32 v114, 18, v114
	v_lshrrev_b32_e32 v116, 31, v113
	v_ashrrev_i32_e32 v113, 18, v113
	v_add_nc_u16 v114, v114, v115
	v_add_nc_u16 v113, v113, v116
	v_cmp_lt_i16_e64 vcc_hi, v114, v113
	v_cndmask_b32_e64 v113, v53, v55, vcc_hi
	v_cndmask_b32_e64 v55, v55, v53, vcc_hi
	v_mov_b32_e32 v53, v113
	s_or_b32 exec_lo, exec_lo, s30
	v_cmp_lt_u32_e64 vcc_hi, 24, v112
	s_and_saveexec_b32 s31, vcc_hi
	s_cbranch_execnz .LBB522_1278
.LBB522_799:
	s_or_b32 exec_lo, exec_lo, s31
	v_cmp_lt_u32_e64 s30, 26, v112
	s_and_saveexec_b32 s34, s30
	s_cbranch_execz .LBB522_1279
.LBB522_800:
	v_mov_b32_e32 v113, 0x6667
	v_mul_i32_i24_sdwa v114, sext(v50), v113 dst_sel:DWORD dst_unused:UNUSED_PAD src0_sel:WORD_0 src1_sel:DWORD
	v_mul_i32_i24_sdwa v113, sext(v54), v113 dst_sel:DWORD dst_unused:UNUSED_PAD src0_sel:WORD_0 src1_sel:DWORD
	v_lshrrev_b32_e32 v115, 31, v114
	v_ashrrev_i32_e32 v114, 18, v114
	v_lshrrev_b32_e32 v116, 31, v113
	v_ashrrev_i32_e32 v113, 18, v113
	v_add_nc_u16 v114, v114, v115
	v_add_nc_u16 v113, v113, v116
	v_cmp_lt_i16_e64 s31, v114, v113
	v_cndmask_b32_e64 v113, v54, v50, s31
	v_cndmask_b32_e64 v50, v50, v54, s31
	v_mov_b32_e32 v54, v113
	s_or_b32 exec_lo, exec_lo, s34
	v_cmp_lt_u32_e64 s31, 28, v112
	s_and_saveexec_b32 s35, s31
	s_cbranch_execnz .LBB522_1280
.LBB522_801:
	s_or_b32 exec_lo, exec_lo, s35
	v_cmp_lt_u32_e64 s34, 30, v112
	s_and_saveexec_b32 s38, s34
	s_cbranch_execz .LBB522_1281
.LBB522_802:
	v_mov_b32_e32 v112, 0x6667
	v_mul_i32_i24_sdwa v113, sext(v101), v112 dst_sel:DWORD dst_unused:UNUSED_PAD src0_sel:WORD_0 src1_sel:DWORD
	v_mul_i32_i24_sdwa v112, sext(v39), v112 dst_sel:DWORD dst_unused:UNUSED_PAD src0_sel:WORD_0 src1_sel:DWORD
	v_lshrrev_b32_e32 v114, 31, v113
	v_ashrrev_i32_e32 v113, 18, v113
	v_lshrrev_b32_e32 v115, 31, v112
	v_ashrrev_i32_e32 v112, 18, v112
	v_add_nc_u16 v113, v113, v114
	v_add_nc_u16 v112, v112, v115
	v_cmp_lt_i16_e64 s35, v113, v112
	v_cndmask_b32_e64 v112, v39, v101, s35
	v_cndmask_b32_e64 v101, v101, v39, s35
	v_mov_b32_e32 v39, v112
	s_or_b32 exec_lo, exec_lo, s38
	s_and_saveexec_b32 s38, s8
	s_cbranch_execnz .LBB522_1282
.LBB522_803:
	s_or_b32 exec_lo, exec_lo, s38
	s_and_saveexec_b32 s38, s9
	s_cbranch_execz .LBB522_1283
.LBB522_804:
	v_mov_b32_e32 v112, 0x6667
	v_mul_i32_i24_sdwa v113, sext(v98), v112 dst_sel:DWORD dst_unused:UNUSED_PAD src0_sel:WORD_0 src1_sel:DWORD
	v_mul_i32_i24_sdwa v112, sext(v99), v112 dst_sel:DWORD dst_unused:UNUSED_PAD src0_sel:WORD_0 src1_sel:DWORD
	v_lshrrev_b32_e32 v114, 31, v113
	v_ashrrev_i32_e32 v113, 18, v113
	v_lshrrev_b32_e32 v115, 31, v112
	v_ashrrev_i32_e32 v112, 18, v112
	v_add_nc_u16 v113, v113, v114
	v_add_nc_u16 v112, v112, v115
	v_cmp_lt_i16_e64 s35, v113, v112
	v_cndmask_b32_e64 v112, v98, v99, s35
	v_cndmask_b32_e64 v99, v99, v98, s35
	v_mov_b32_e32 v98, v112
	s_or_b32 exec_lo, exec_lo, s38
	s_and_saveexec_b32 s38, s12
	s_cbranch_execnz .LBB522_1284
.LBB522_805:
	s_or_b32 exec_lo, exec_lo, s38
	s_and_saveexec_b32 s38, s13
	s_cbranch_execz .LBB522_1285
.LBB522_806:
	v_mov_b32_e32 v112, 0x6667
	v_mul_i32_i24_sdwa v113, sext(v85), v112 dst_sel:DWORD dst_unused:UNUSED_PAD src0_sel:WORD_0 src1_sel:DWORD
	v_mul_i32_i24_sdwa v112, sext(v86), v112 dst_sel:DWORD dst_unused:UNUSED_PAD src0_sel:WORD_0 src1_sel:DWORD
	v_lshrrev_b32_e32 v114, 31, v113
	v_ashrrev_i32_e32 v113, 18, v113
	v_lshrrev_b32_e32 v115, 31, v112
	v_ashrrev_i32_e32 v112, 18, v112
	v_add_nc_u16 v113, v113, v114
	v_add_nc_u16 v112, v112, v115
	v_cmp_lt_i16_e64 s35, v113, v112
	v_cndmask_b32_e64 v112, v85, v86, s35
	v_cndmask_b32_e64 v86, v86, v85, s35
	v_mov_b32_e32 v85, v112
	s_or_b32 exec_lo, exec_lo, s38
	s_and_saveexec_b32 s38, s57
	s_cbranch_execnz .LBB522_1286
.LBB522_807:
	s_or_b32 exec_lo, exec_lo, s38
	s_and_saveexec_b32 s38, s58
	s_cbranch_execz .LBB522_1287
.LBB522_808:
	v_mov_b32_e32 v112, 0x6667
	v_mul_i32_i24_sdwa v113, sext(v81), v112 dst_sel:DWORD dst_unused:UNUSED_PAD src0_sel:WORD_0 src1_sel:DWORD
	v_mul_i32_i24_sdwa v112, sext(v82), v112 dst_sel:DWORD dst_unused:UNUSED_PAD src0_sel:WORD_0 src1_sel:DWORD
	v_lshrrev_b32_e32 v114, 31, v113
	v_ashrrev_i32_e32 v113, 18, v113
	v_lshrrev_b32_e32 v115, 31, v112
	v_ashrrev_i32_e32 v112, 18, v112
	v_add_nc_u16 v113, v113, v114
	v_add_nc_u16 v112, v112, v115
	v_cmp_lt_i16_e64 s35, v113, v112
	v_cndmask_b32_e64 v112, v81, v82, s35
	v_cndmask_b32_e64 v82, v82, v81, s35
	v_mov_b32_e32 v81, v112
	s_or_b32 exec_lo, exec_lo, s38
	s_and_saveexec_b32 s38, s59
	s_cbranch_execnz .LBB522_1288
.LBB522_809:
	s_or_b32 exec_lo, exec_lo, s38
	s_and_saveexec_b32 s38, s60
	s_cbranch_execz .LBB522_1289
.LBB522_810:
	v_mov_b32_e32 v112, 0x6667
	v_mul_i32_i24_sdwa v113, sext(v69), v112 dst_sel:DWORD dst_unused:UNUSED_PAD src0_sel:WORD_0 src1_sel:DWORD
	v_mul_i32_i24_sdwa v112, sext(v70), v112 dst_sel:DWORD dst_unused:UNUSED_PAD src0_sel:WORD_0 src1_sel:DWORD
	v_lshrrev_b32_e32 v114, 31, v113
	v_ashrrev_i32_e32 v113, 18, v113
	v_lshrrev_b32_e32 v115, 31, v112
	v_ashrrev_i32_e32 v112, 18, v112
	v_add_nc_u16 v113, v113, v114
	v_add_nc_u16 v112, v112, v115
	v_cmp_lt_i16_e64 s35, v113, v112
	v_cndmask_b32_e64 v112, v69, v70, s35
	v_cndmask_b32_e64 v70, v70, v69, s35
	v_mov_b32_e32 v69, v112
	s_or_b32 exec_lo, exec_lo, s38
	s_and_saveexec_b32 s38, s61
	s_cbranch_execnz .LBB522_1290
.LBB522_811:
	s_or_b32 exec_lo, exec_lo, s38
	s_and_saveexec_b32 s38, s62
	s_cbranch_execz .LBB522_1291
.LBB522_812:
	v_mov_b32_e32 v112, 0x6667
	v_mul_i32_i24_sdwa v113, sext(v65), v112 dst_sel:DWORD dst_unused:UNUSED_PAD src0_sel:WORD_0 src1_sel:DWORD
	v_mul_i32_i24_sdwa v112, sext(v66), v112 dst_sel:DWORD dst_unused:UNUSED_PAD src0_sel:WORD_0 src1_sel:DWORD
	v_lshrrev_b32_e32 v114, 31, v113
	v_ashrrev_i32_e32 v113, 18, v113
	v_lshrrev_b32_e32 v115, 31, v112
	v_ashrrev_i32_e32 v112, 18, v112
	v_add_nc_u16 v113, v113, v114
	v_add_nc_u16 v112, v112, v115
	v_cmp_lt_i16_e64 s35, v113, v112
	v_cndmask_b32_e64 v112, v65, v66, s35
	v_cndmask_b32_e64 v66, v66, v65, s35
	v_mov_b32_e32 v65, v112
	s_or_b32 exec_lo, exec_lo, s38
	s_and_saveexec_b32 s38, s63
	s_cbranch_execnz .LBB522_1292
.LBB522_813:
	s_or_b32 exec_lo, exec_lo, s38
	s_and_saveexec_b32 s38, s72
	s_cbranch_execz .LBB522_1293
.LBB522_814:
	v_mov_b32_e32 v112, 0x6667
	v_mul_i32_i24_sdwa v113, sext(v52), v112 dst_sel:DWORD dst_unused:UNUSED_PAD src0_sel:WORD_0 src1_sel:DWORD
	v_mul_i32_i24_sdwa v112, sext(v53), v112 dst_sel:DWORD dst_unused:UNUSED_PAD src0_sel:WORD_0 src1_sel:DWORD
	v_lshrrev_b32_e32 v114, 31, v113
	v_ashrrev_i32_e32 v113, 18, v113
	v_lshrrev_b32_e32 v115, 31, v112
	v_ashrrev_i32_e32 v112, 18, v112
	v_add_nc_u16 v113, v113, v114
	v_add_nc_u16 v112, v112, v115
	v_cmp_lt_i16_e64 s35, v113, v112
	v_cndmask_b32_e64 v112, v52, v53, s35
	v_cndmask_b32_e64 v53, v53, v52, s35
	v_mov_b32_e32 v52, v112
	s_or_b32 exec_lo, exec_lo, s38
	s_and_saveexec_b32 s38, s73
	s_cbranch_execnz .LBB522_1294
.LBB522_815:
	s_or_b32 exec_lo, exec_lo, s38
	s_and_saveexec_b32 s38, s74
	s_cbranch_execz .LBB522_1295
.LBB522_816:
	v_mov_b32_e32 v112, 0x6667
	v_mul_i32_i24_sdwa v113, sext(v49), v112 dst_sel:DWORD dst_unused:UNUSED_PAD src0_sel:WORD_0 src1_sel:DWORD
	v_mul_i32_i24_sdwa v112, sext(v50), v112 dst_sel:DWORD dst_unused:UNUSED_PAD src0_sel:WORD_0 src1_sel:DWORD
	v_lshrrev_b32_e32 v114, 31, v113
	v_ashrrev_i32_e32 v113, 18, v113
	v_lshrrev_b32_e32 v115, 31, v112
	v_ashrrev_i32_e32 v112, 18, v112
	v_add_nc_u16 v113, v113, v114
	v_add_nc_u16 v112, v112, v115
	v_cmp_lt_i16_e64 s35, v113, v112
	v_cndmask_b32_e64 v112, v50, v49, s35
	v_cndmask_b32_e64 v49, v49, v50, s35
	v_mov_b32_e32 v50, v112
	s_or_b32 exec_lo, exec_lo, s38
	s_and_saveexec_b32 s38, s75
	s_cbranch_execnz .LBB522_1296
.LBB522_817:
	s_or_b32 exec_lo, exec_lo, s38
	s_and_saveexec_b32 s38, s76
	s_cbranch_execz .LBB522_1297
.LBB522_818:
	v_mov_b32_e32 v112, 0x6667
	v_mul_i32_i24_sdwa v113, sext(v38), v112 dst_sel:DWORD dst_unused:UNUSED_PAD src0_sel:WORD_0 src1_sel:DWORD
	v_mul_i32_i24_sdwa v112, sext(v101), v112 dst_sel:DWORD dst_unused:UNUSED_PAD src0_sel:WORD_0 src1_sel:DWORD
	v_lshrrev_b32_e32 v114, 31, v113
	v_ashrrev_i32_e32 v113, 18, v113
	v_lshrrev_b32_e32 v115, 31, v112
	v_ashrrev_i32_e32 v112, 18, v112
	v_add_nc_u16 v113, v113, v114
	v_add_nc_u16 v112, v112, v115
	v_cmp_lt_i16_e64 s35, v113, v112
	v_cndmask_b32_e64 v112, v101, v38, s35
	v_cndmask_b32_e64 v38, v38, v101, s35
	v_mov_b32_e32 v101, v112
	s_or_b32 exec_lo, exec_lo, s38
	s_and_saveexec_b32 s38, s77
	s_cbranch_execnz .LBB522_1298
.LBB522_819:
	s_or_b32 exec_lo, exec_lo, s38
	s_and_saveexec_b32 s38, s78
	s_cbranch_execz .LBB522_1299
.LBB522_820:
	v_mov_b32_e32 v112, 0x6667
	v_mul_i32_i24_sdwa v113, sext(v96), v112 dst_sel:DWORD dst_unused:UNUSED_PAD src0_sel:WORD_0 src1_sel:DWORD
	v_mul_i32_i24_sdwa v112, sext(v98), v112 dst_sel:DWORD dst_unused:UNUSED_PAD src0_sel:WORD_0 src1_sel:DWORD
	v_lshrrev_b32_e32 v114, 31, v113
	v_ashrrev_i32_e32 v113, 18, v113
	v_lshrrev_b32_e32 v115, 31, v112
	v_ashrrev_i32_e32 v112, 18, v112
	v_add_nc_u16 v113, v113, v114
	v_add_nc_u16 v112, v112, v115
	v_cmp_lt_i16_e64 s35, v113, v112
	v_cndmask_b32_e64 v112, v96, v98, s35
	v_cndmask_b32_e64 v98, v98, v96, s35
	v_mov_b32_e32 v96, v112
	s_or_b32 exec_lo, exec_lo, s38
	s_and_saveexec_b32 s38, s79
	s_cbranch_execnz .LBB522_1300
.LBB522_821:
	s_or_b32 exec_lo, exec_lo, s38
	s_and_saveexec_b32 s38, s88
	s_cbranch_execz .LBB522_1301
.LBB522_822:
	v_mov_b32_e32 v112, 0x6667
	v_mul_i32_i24_sdwa v113, sext(v84), v112 dst_sel:DWORD dst_unused:UNUSED_PAD src0_sel:WORD_0 src1_sel:DWORD
	v_mul_i32_i24_sdwa v112, sext(v85), v112 dst_sel:DWORD dst_unused:UNUSED_PAD src0_sel:WORD_0 src1_sel:DWORD
	v_lshrrev_b32_e32 v114, 31, v113
	v_ashrrev_i32_e32 v113, 18, v113
	v_lshrrev_b32_e32 v115, 31, v112
	v_ashrrev_i32_e32 v112, 18, v112
	v_add_nc_u16 v113, v113, v114
	v_add_nc_u16 v112, v112, v115
	v_cmp_lt_i16_e64 s35, v113, v112
	v_cndmask_b32_e64 v112, v84, v85, s35
	v_cndmask_b32_e64 v85, v85, v84, s35
	v_mov_b32_e32 v84, v112
	s_or_b32 exec_lo, exec_lo, s38
	s_and_saveexec_b32 s38, s89
	s_cbranch_execnz .LBB522_1302
.LBB522_823:
	s_or_b32 exec_lo, exec_lo, s38
	s_and_saveexec_b32 s38, s90
	s_cbranch_execz .LBB522_1303
.LBB522_824:
	v_mov_b32_e32 v112, 0x6667
	v_mul_i32_i24_sdwa v113, sext(v80), v112 dst_sel:DWORD dst_unused:UNUSED_PAD src0_sel:WORD_0 src1_sel:DWORD
	v_mul_i32_i24_sdwa v112, sext(v81), v112 dst_sel:DWORD dst_unused:UNUSED_PAD src0_sel:WORD_0 src1_sel:DWORD
	v_lshrrev_b32_e32 v114, 31, v113
	v_ashrrev_i32_e32 v113, 18, v113
	v_lshrrev_b32_e32 v115, 31, v112
	v_ashrrev_i32_e32 v112, 18, v112
	v_add_nc_u16 v113, v113, v114
	v_add_nc_u16 v112, v112, v115
	v_cmp_lt_i16_e64 s35, v113, v112
	v_cndmask_b32_e64 v112, v80, v81, s35
	v_cndmask_b32_e64 v81, v81, v80, s35
	v_mov_b32_e32 v80, v112
	s_or_b32 exec_lo, exec_lo, s38
	s_and_saveexec_b32 s38, s91
	s_cbranch_execnz .LBB522_1304
.LBB522_825:
	s_or_b32 exec_lo, exec_lo, s38
	s_and_saveexec_b32 s38, s92
	s_cbranch_execz .LBB522_1305
.LBB522_826:
	v_mov_b32_e32 v112, 0x6667
	v_mul_i32_i24_sdwa v113, sext(v68), v112 dst_sel:DWORD dst_unused:UNUSED_PAD src0_sel:WORD_0 src1_sel:DWORD
	v_mul_i32_i24_sdwa v112, sext(v69), v112 dst_sel:DWORD dst_unused:UNUSED_PAD src0_sel:WORD_0 src1_sel:DWORD
	v_lshrrev_b32_e32 v114, 31, v113
	v_ashrrev_i32_e32 v113, 18, v113
	v_lshrrev_b32_e32 v115, 31, v112
	v_ashrrev_i32_e32 v112, 18, v112
	v_add_nc_u16 v113, v113, v114
	v_add_nc_u16 v112, v112, v115
	v_cmp_lt_i16_e64 s35, v113, v112
	v_cndmask_b32_e64 v112, v68, v69, s35
	v_cndmask_b32_e64 v69, v69, v68, s35
	v_mov_b32_e32 v68, v112
	s_or_b32 exec_lo, exec_lo, s38
	s_and_saveexec_b32 s38, s93
	s_cbranch_execnz .LBB522_1306
.LBB522_827:
	s_or_b32 exec_lo, exec_lo, s38
	s_and_saveexec_b32 s38, s94
	s_cbranch_execz .LBB522_1307
.LBB522_828:
	v_mov_b32_e32 v112, 0x6667
	v_mul_i32_i24_sdwa v113, sext(v64), v112 dst_sel:DWORD dst_unused:UNUSED_PAD src0_sel:WORD_0 src1_sel:DWORD
	v_mul_i32_i24_sdwa v112, sext(v65), v112 dst_sel:DWORD dst_unused:UNUSED_PAD src0_sel:WORD_0 src1_sel:DWORD
	v_lshrrev_b32_e32 v114, 31, v113
	v_ashrrev_i32_e32 v113, 18, v113
	v_lshrrev_b32_e32 v115, 31, v112
	v_ashrrev_i32_e32 v112, 18, v112
	v_add_nc_u16 v113, v113, v114
	v_add_nc_u16 v112, v112, v115
	v_cmp_lt_i16_e64 s35, v113, v112
	v_cndmask_b32_e64 v112, v64, v65, s35
	v_cndmask_b32_e64 v65, v65, v64, s35
	v_mov_b32_e32 v64, v112
	s_or_b32 exec_lo, exec_lo, s38
	s_and_saveexec_b32 s38, s95
	s_cbranch_execnz .LBB522_1308
.LBB522_829:
	s_or_b32 exec_lo, exec_lo, s38
	s_and_saveexec_b32 s38, vcc_hi
	s_cbranch_execz .LBB522_1309
.LBB522_830:
	v_mov_b32_e32 v112, 0x6667
	v_mul_i32_i24_sdwa v113, sext(v51), v112 dst_sel:DWORD dst_unused:UNUSED_PAD src0_sel:WORD_0 src1_sel:DWORD
	v_mul_i32_i24_sdwa v112, sext(v52), v112 dst_sel:DWORD dst_unused:UNUSED_PAD src0_sel:WORD_0 src1_sel:DWORD
	v_lshrrev_b32_e32 v114, 31, v113
	v_ashrrev_i32_e32 v113, 18, v113
	v_lshrrev_b32_e32 v115, 31, v112
	v_ashrrev_i32_e32 v112, 18, v112
	v_add_nc_u16 v113, v113, v114
	v_add_nc_u16 v112, v112, v115
	v_cmp_lt_i16_e64 s35, v113, v112
	v_cndmask_b32_e64 v112, v51, v52, s35
	v_cndmask_b32_e64 v52, v52, v51, s35
	v_mov_b32_e32 v51, v112
	s_or_b32 exec_lo, exec_lo, s38
	s_and_saveexec_b32 s38, s30
	s_cbranch_execnz .LBB522_1310
.LBB522_831:
	s_or_b32 exec_lo, exec_lo, s38
	s_and_saveexec_b32 s38, s31
	s_cbranch_execz .LBB522_1311
.LBB522_832:
	v_mov_b32_e32 v112, 0x6667
	v_mul_i32_i24_sdwa v113, sext(v48), v112 dst_sel:DWORD dst_unused:UNUSED_PAD src0_sel:WORD_0 src1_sel:DWORD
	v_mul_i32_i24_sdwa v112, sext(v49), v112 dst_sel:DWORD dst_unused:UNUSED_PAD src0_sel:WORD_0 src1_sel:DWORD
	v_lshrrev_b32_e32 v114, 31, v113
	v_ashrrev_i32_e32 v113, 18, v113
	v_lshrrev_b32_e32 v115, 31, v112
	v_ashrrev_i32_e32 v112, 18, v112
	v_add_nc_u16 v113, v113, v114
	v_add_nc_u16 v112, v112, v115
	v_cmp_lt_i16_e64 s35, v113, v112
	v_cndmask_b32_e64 v112, v49, v48, s35
	v_cndmask_b32_e64 v48, v48, v49, s35
	v_mov_b32_e32 v49, v112
	s_or_b32 exec_lo, exec_lo, s38
	s_and_saveexec_b32 s38, s34
	s_cbranch_execnz .LBB522_1312
.LBB522_833:
	s_or_b32 exec_lo, exec_lo, s38
	s_and_saveexec_b32 s38, s8
	s_cbranch_execz .LBB522_1313
.LBB522_834:
	v_mov_b32_e32 v112, 0x6667
	v_mul_i32_i24_sdwa v113, sext(v100), v112 dst_sel:DWORD dst_unused:UNUSED_PAD src0_sel:WORD_0 src1_sel:DWORD
	v_mul_i32_i24_sdwa v112, sext(v97), v112 dst_sel:DWORD dst_unused:UNUSED_PAD src0_sel:WORD_0 src1_sel:DWORD
	v_lshrrev_b32_e32 v114, 31, v113
	v_ashrrev_i32_e32 v113, 18, v113
	v_lshrrev_b32_e32 v115, 31, v112
	v_ashrrev_i32_e32 v112, 18, v112
	v_add_nc_u16 v113, v113, v114
	v_add_nc_u16 v112, v112, v115
	v_cmp_lt_i16_e64 s35, v113, v112
	v_cndmask_b32_e64 v112, v100, v97, s35
	v_cndmask_b32_e64 v97, v97, v100, s35
	v_mov_b32_e32 v100, v112
	s_or_b32 exec_lo, exec_lo, s38
	s_and_saveexec_b32 s38, s9
	s_cbranch_execnz .LBB522_1314
.LBB522_835:
	s_or_b32 exec_lo, exec_lo, s38
	s_and_saveexec_b32 s38, s12
	s_cbranch_execz .LBB522_1315
.LBB522_836:
	v_mov_b32_e32 v112, 0x6667
	v_mul_i32_i24_sdwa v113, sext(v87), v112 dst_sel:DWORD dst_unused:UNUSED_PAD src0_sel:WORD_0 src1_sel:DWORD
	v_mul_i32_i24_sdwa v112, sext(v96), v112 dst_sel:DWORD dst_unused:UNUSED_PAD src0_sel:WORD_0 src1_sel:DWORD
	v_lshrrev_b32_e32 v114, 31, v113
	v_ashrrev_i32_e32 v113, 18, v113
	v_lshrrev_b32_e32 v115, 31, v112
	v_ashrrev_i32_e32 v112, 18, v112
	v_add_nc_u16 v113, v113, v114
	v_add_nc_u16 v112, v112, v115
	v_cmp_lt_i16_e64 s35, v113, v112
	v_cndmask_b32_e64 v112, v87, v96, s35
	v_cndmask_b32_e64 v96, v96, v87, s35
	v_mov_b32_e32 v87, v112
	s_or_b32 exec_lo, exec_lo, s38
	s_and_saveexec_b32 s38, s13
	s_cbranch_execnz .LBB522_1316
.LBB522_837:
	s_or_b32 exec_lo, exec_lo, s38
	s_and_saveexec_b32 s38, s57
	s_cbranch_execz .LBB522_1317
.LBB522_838:
	v_mov_b32_e32 v112, 0x6667
	v_mul_i32_i24_sdwa v113, sext(v83), v112 dst_sel:DWORD dst_unused:UNUSED_PAD src0_sel:WORD_0 src1_sel:DWORD
	v_mul_i32_i24_sdwa v112, sext(v84), v112 dst_sel:DWORD dst_unused:UNUSED_PAD src0_sel:WORD_0 src1_sel:DWORD
	v_lshrrev_b32_e32 v114, 31, v113
	v_ashrrev_i32_e32 v113, 18, v113
	v_lshrrev_b32_e32 v115, 31, v112
	v_ashrrev_i32_e32 v112, 18, v112
	v_add_nc_u16 v113, v113, v114
	v_add_nc_u16 v112, v112, v115
	v_cmp_lt_i16_e64 s35, v113, v112
	v_cndmask_b32_e64 v112, v83, v84, s35
	v_cndmask_b32_e64 v84, v84, v83, s35
	v_mov_b32_e32 v83, v112
	s_or_b32 exec_lo, exec_lo, s38
	s_and_saveexec_b32 s38, s58
	s_cbranch_execnz .LBB522_1318
.LBB522_839:
	s_or_b32 exec_lo, exec_lo, s38
	s_and_saveexec_b32 s38, s59
	s_cbranch_execz .LBB522_1319
.LBB522_840:
	v_mov_b32_e32 v112, 0x6667
	v_mul_i32_i24_sdwa v113, sext(v71), v112 dst_sel:DWORD dst_unused:UNUSED_PAD src0_sel:WORD_0 src1_sel:DWORD
	v_mul_i32_i24_sdwa v112, sext(v80), v112 dst_sel:DWORD dst_unused:UNUSED_PAD src0_sel:WORD_0 src1_sel:DWORD
	v_lshrrev_b32_e32 v114, 31, v113
	v_ashrrev_i32_e32 v113, 18, v113
	v_lshrrev_b32_e32 v115, 31, v112
	v_ashrrev_i32_e32 v112, 18, v112
	v_add_nc_u16 v113, v113, v114
	v_add_nc_u16 v112, v112, v115
	v_cmp_lt_i16_e64 s35, v113, v112
	v_cndmask_b32_e64 v112, v71, v80, s35
	v_cndmask_b32_e64 v80, v80, v71, s35
	v_mov_b32_e32 v71, v112
	s_or_b32 exec_lo, exec_lo, s38
	s_and_saveexec_b32 s38, s60
	s_cbranch_execnz .LBB522_1320
.LBB522_841:
	s_or_b32 exec_lo, exec_lo, s38
	s_and_saveexec_b32 s38, s61
	s_cbranch_execz .LBB522_1321
.LBB522_842:
	v_mov_b32_e32 v112, 0x6667
	v_mul_i32_i24_sdwa v113, sext(v67), v112 dst_sel:DWORD dst_unused:UNUSED_PAD src0_sel:WORD_0 src1_sel:DWORD
	v_mul_i32_i24_sdwa v112, sext(v68), v112 dst_sel:DWORD dst_unused:UNUSED_PAD src0_sel:WORD_0 src1_sel:DWORD
	v_lshrrev_b32_e32 v114, 31, v113
	v_ashrrev_i32_e32 v113, 18, v113
	v_lshrrev_b32_e32 v115, 31, v112
	v_ashrrev_i32_e32 v112, 18, v112
	v_add_nc_u16 v113, v113, v114
	v_add_nc_u16 v112, v112, v115
	v_cmp_lt_i16_e64 s35, v113, v112
	v_cndmask_b32_e64 v112, v67, v68, s35
	v_cndmask_b32_e64 v68, v68, v67, s35
	v_mov_b32_e32 v67, v112
	s_or_b32 exec_lo, exec_lo, s38
	s_and_saveexec_b32 s38, s62
	s_cbranch_execnz .LBB522_1322
.LBB522_843:
	s_or_b32 exec_lo, exec_lo, s38
	s_and_saveexec_b32 s38, s63
	s_cbranch_execz .LBB522_1323
.LBB522_844:
	v_mov_b32_e32 v112, 0x6667
	v_mul_i32_i24_sdwa v113, sext(v55), v112 dst_sel:DWORD dst_unused:UNUSED_PAD src0_sel:WORD_0 src1_sel:DWORD
	v_mul_i32_i24_sdwa v112, sext(v64), v112 dst_sel:DWORD dst_unused:UNUSED_PAD src0_sel:WORD_0 src1_sel:DWORD
	v_lshrrev_b32_e32 v114, 31, v113
	v_ashrrev_i32_e32 v113, 18, v113
	v_lshrrev_b32_e32 v115, 31, v112
	v_ashrrev_i32_e32 v112, 18, v112
	v_add_nc_u16 v113, v113, v114
	v_add_nc_u16 v112, v112, v115
	v_cmp_lt_i16_e64 s35, v113, v112
	v_cndmask_b32_e64 v112, v55, v64, s35
	v_cndmask_b32_e64 v64, v64, v55, s35
	v_mov_b32_e32 v55, v112
	s_or_b32 exec_lo, exec_lo, s38
	s_and_saveexec_b32 s38, s72
	s_cbranch_execnz .LBB522_1324
.LBB522_845:
	s_or_b32 exec_lo, exec_lo, s38
	s_and_saveexec_b32 s38, s73
	s_cbranch_execz .LBB522_1325
.LBB522_846:
	v_mov_b32_e32 v112, 0x6667
	v_mul_i32_i24_sdwa v113, sext(v54), v112 dst_sel:DWORD dst_unused:UNUSED_PAD src0_sel:WORD_0 src1_sel:DWORD
	v_mul_i32_i24_sdwa v112, sext(v51), v112 dst_sel:DWORD dst_unused:UNUSED_PAD src0_sel:WORD_0 src1_sel:DWORD
	v_lshrrev_b32_e32 v114, 31, v113
	v_ashrrev_i32_e32 v113, 18, v113
	v_lshrrev_b32_e32 v115, 31, v112
	v_ashrrev_i32_e32 v112, 18, v112
	v_add_nc_u16 v113, v113, v114
	v_add_nc_u16 v112, v112, v115
	v_cmp_lt_i16_e64 s35, v113, v112
	v_cndmask_b32_e64 v112, v54, v51, s35
	v_cndmask_b32_e64 v51, v51, v54, s35
	v_mov_b32_e32 v54, v112
	s_or_b32 exec_lo, exec_lo, s38
	s_and_saveexec_b32 s38, s74
	s_cbranch_execnz .LBB522_1326
.LBB522_847:
	s_or_b32 exec_lo, exec_lo, s38
	s_and_saveexec_b32 s38, s75
	s_cbranch_execz .LBB522_1327
.LBB522_848:
	v_mov_b32_e32 v112, 0x6667
	v_mul_i32_i24_sdwa v113, sext(v39), v112 dst_sel:DWORD dst_unused:UNUSED_PAD src0_sel:WORD_0 src1_sel:DWORD
	v_mul_i32_i24_sdwa v112, sext(v48), v112 dst_sel:DWORD dst_unused:UNUSED_PAD src0_sel:WORD_0 src1_sel:DWORD
	v_lshrrev_b32_e32 v114, 31, v113
	v_ashrrev_i32_e32 v113, 18, v113
	v_lshrrev_b32_e32 v115, 31, v112
	v_ashrrev_i32_e32 v112, 18, v112
	v_add_nc_u16 v113, v113, v114
	v_add_nc_u16 v112, v112, v115
	v_cmp_lt_i16_e64 s35, v113, v112
	v_cndmask_b32_e64 v112, v48, v39, s35
	v_cndmask_b32_e64 v39, v39, v48, s35
	v_mov_b32_e32 v48, v112
	s_or_b32 exec_lo, exec_lo, s38
	s_and_saveexec_b32 s38, s76
	s_cbranch_execnz .LBB522_1328
.LBB522_849:
	s_or_b32 exec_lo, exec_lo, s38
	s_and_saveexec_b32 s38, s77
	s_cbranch_execz .LBB522_1329
.LBB522_850:
	v_mov_b32_e32 v112, 0x6667
	v_mul_i32_i24_sdwa v113, sext(v99), v112 dst_sel:DWORD dst_unused:UNUSED_PAD src0_sel:WORD_0 src1_sel:DWORD
	v_mul_i32_i24_sdwa v112, sext(v100), v112 dst_sel:DWORD dst_unused:UNUSED_PAD src0_sel:WORD_0 src1_sel:DWORD
	v_lshrrev_b32_e32 v114, 31, v113
	v_ashrrev_i32_e32 v113, 18, v113
	v_lshrrev_b32_e32 v115, 31, v112
	v_ashrrev_i32_e32 v112, 18, v112
	v_add_nc_u16 v113, v113, v114
	v_add_nc_u16 v112, v112, v115
	v_cmp_lt_i16_e64 s35, v113, v112
	v_cndmask_b32_e64 v112, v99, v100, s35
	v_cndmask_b32_e64 v100, v100, v99, s35
	v_mov_b32_e32 v99, v112
	s_or_b32 exec_lo, exec_lo, s38
	s_and_saveexec_b32 s38, s78
	s_cbranch_execnz .LBB522_1330
.LBB522_851:
	s_or_b32 exec_lo, exec_lo, s38
	s_and_saveexec_b32 s38, s79
	s_cbranch_execz .LBB522_1331
.LBB522_852:
	v_mov_b32_e32 v112, 0x6667
	v_mul_i32_i24_sdwa v113, sext(v86), v112 dst_sel:DWORD dst_unused:UNUSED_PAD src0_sel:WORD_0 src1_sel:DWORD
	v_mul_i32_i24_sdwa v112, sext(v87), v112 dst_sel:DWORD dst_unused:UNUSED_PAD src0_sel:WORD_0 src1_sel:DWORD
	v_lshrrev_b32_e32 v114, 31, v113
	v_ashrrev_i32_e32 v113, 18, v113
	v_lshrrev_b32_e32 v115, 31, v112
	v_ashrrev_i32_e32 v112, 18, v112
	v_add_nc_u16 v113, v113, v114
	v_add_nc_u16 v112, v112, v115
	v_cmp_lt_i16_e64 s35, v113, v112
	v_cndmask_b32_e64 v112, v86, v87, s35
	v_cndmask_b32_e64 v87, v87, v86, s35
	v_mov_b32_e32 v86, v112
	s_or_b32 exec_lo, exec_lo, s38
	s_and_saveexec_b32 s38, s88
	s_cbranch_execnz .LBB522_1332
.LBB522_853:
	s_or_b32 exec_lo, exec_lo, s38
	s_and_saveexec_b32 s38, s89
	s_cbranch_execz .LBB522_1333
.LBB522_854:
	v_mov_b32_e32 v112, 0x6667
	v_mul_i32_i24_sdwa v113, sext(v82), v112 dst_sel:DWORD dst_unused:UNUSED_PAD src0_sel:WORD_0 src1_sel:DWORD
	v_mul_i32_i24_sdwa v112, sext(v83), v112 dst_sel:DWORD dst_unused:UNUSED_PAD src0_sel:WORD_0 src1_sel:DWORD
	v_lshrrev_b32_e32 v114, 31, v113
	v_ashrrev_i32_e32 v113, 18, v113
	v_lshrrev_b32_e32 v115, 31, v112
	v_ashrrev_i32_e32 v112, 18, v112
	v_add_nc_u16 v113, v113, v114
	v_add_nc_u16 v112, v112, v115
	v_cmp_lt_i16_e64 s35, v113, v112
	v_cndmask_b32_e64 v112, v82, v83, s35
	v_cndmask_b32_e64 v83, v83, v82, s35
	v_mov_b32_e32 v82, v112
	s_or_b32 exec_lo, exec_lo, s38
	s_and_saveexec_b32 s38, s90
	s_cbranch_execnz .LBB522_1334
.LBB522_855:
	s_or_b32 exec_lo, exec_lo, s38
	s_and_saveexec_b32 s38, s91
	s_cbranch_execz .LBB522_1335
.LBB522_856:
	v_mov_b32_e32 v112, 0x6667
	v_mul_i32_i24_sdwa v113, sext(v70), v112 dst_sel:DWORD dst_unused:UNUSED_PAD src0_sel:WORD_0 src1_sel:DWORD
	v_mul_i32_i24_sdwa v112, sext(v71), v112 dst_sel:DWORD dst_unused:UNUSED_PAD src0_sel:WORD_0 src1_sel:DWORD
	v_lshrrev_b32_e32 v114, 31, v113
	v_ashrrev_i32_e32 v113, 18, v113
	v_lshrrev_b32_e32 v115, 31, v112
	v_ashrrev_i32_e32 v112, 18, v112
	v_add_nc_u16 v113, v113, v114
	v_add_nc_u16 v112, v112, v115
	v_cmp_lt_i16_e64 s35, v113, v112
	v_cndmask_b32_e64 v112, v70, v71, s35
	v_cndmask_b32_e64 v71, v71, v70, s35
	v_mov_b32_e32 v70, v112
	s_or_b32 exec_lo, exec_lo, s38
	s_and_saveexec_b32 s38, s92
	s_cbranch_execnz .LBB522_1336
.LBB522_857:
	s_or_b32 exec_lo, exec_lo, s38
	s_and_saveexec_b32 s38, s93
	s_cbranch_execz .LBB522_1337
.LBB522_858:
	v_mov_b32_e32 v112, 0x6667
	v_mul_i32_i24_sdwa v113, sext(v66), v112 dst_sel:DWORD dst_unused:UNUSED_PAD src0_sel:WORD_0 src1_sel:DWORD
	v_mul_i32_i24_sdwa v112, sext(v67), v112 dst_sel:DWORD dst_unused:UNUSED_PAD src0_sel:WORD_0 src1_sel:DWORD
	v_lshrrev_b32_e32 v114, 31, v113
	v_ashrrev_i32_e32 v113, 18, v113
	v_lshrrev_b32_e32 v115, 31, v112
	v_ashrrev_i32_e32 v112, 18, v112
	v_add_nc_u16 v113, v113, v114
	v_add_nc_u16 v112, v112, v115
	v_cmp_lt_i16_e64 s35, v113, v112
	v_cndmask_b32_e64 v112, v66, v67, s35
	v_cndmask_b32_e64 v67, v67, v66, s35
	v_mov_b32_e32 v66, v112
	s_or_b32 exec_lo, exec_lo, s38
	s_and_saveexec_b32 s38, s94
	s_cbranch_execnz .LBB522_1338
.LBB522_859:
	s_or_b32 exec_lo, exec_lo, s38
	s_and_saveexec_b32 s38, s95
	s_cbranch_execz .LBB522_1339
.LBB522_860:
	v_mov_b32_e32 v112, 0x6667
	v_mul_i32_i24_sdwa v113, sext(v53), v112 dst_sel:DWORD dst_unused:UNUSED_PAD src0_sel:WORD_0 src1_sel:DWORD
	v_mul_i32_i24_sdwa v112, sext(v55), v112 dst_sel:DWORD dst_unused:UNUSED_PAD src0_sel:WORD_0 src1_sel:DWORD
	v_lshrrev_b32_e32 v114, 31, v113
	v_ashrrev_i32_e32 v113, 18, v113
	v_lshrrev_b32_e32 v115, 31, v112
	v_ashrrev_i32_e32 v112, 18, v112
	v_add_nc_u16 v113, v113, v114
	v_add_nc_u16 v112, v112, v115
	v_cmp_lt_i16_e64 s35, v113, v112
	v_cndmask_b32_e64 v112, v53, v55, s35
	v_cndmask_b32_e64 v55, v55, v53, s35
	v_mov_b32_e32 v53, v112
	s_or_b32 exec_lo, exec_lo, s38
	s_and_saveexec_b32 s38, vcc_hi
	s_cbranch_execnz .LBB522_1340
.LBB522_861:
	s_or_b32 exec_lo, exec_lo, s38
	s_and_saveexec_b32 s38, s30
	s_cbranch_execz .LBB522_1341
.LBB522_862:
	v_mov_b32_e32 v112, 0x6667
	v_mul_i32_i24_sdwa v113, sext(v50), v112 dst_sel:DWORD dst_unused:UNUSED_PAD src0_sel:WORD_0 src1_sel:DWORD
	v_mul_i32_i24_sdwa v112, sext(v54), v112 dst_sel:DWORD dst_unused:UNUSED_PAD src0_sel:WORD_0 src1_sel:DWORD
	v_lshrrev_b32_e32 v114, 31, v113
	v_ashrrev_i32_e32 v113, 18, v113
	v_lshrrev_b32_e32 v115, 31, v112
	v_ashrrev_i32_e32 v112, 18, v112
	v_add_nc_u16 v113, v113, v114
	v_add_nc_u16 v112, v112, v115
	v_cmp_lt_i16_e64 s35, v113, v112
	v_cndmask_b32_e64 v112, v54, v50, s35
	v_cndmask_b32_e64 v50, v50, v54, s35
	v_mov_b32_e32 v54, v112
	s_or_b32 exec_lo, exec_lo, s38
	s_and_saveexec_b32 s38, s31
	s_cbranch_execnz .LBB522_1342
.LBB522_863:
	s_or_b32 exec_lo, exec_lo, s38
	s_and_saveexec_b32 s38, s34
	s_cbranch_execz .LBB522_1343
.LBB522_864:
	v_mov_b32_e32 v112, 0x6667
	v_mul_i32_i24_sdwa v113, sext(v101), v112 dst_sel:DWORD dst_unused:UNUSED_PAD src0_sel:WORD_0 src1_sel:DWORD
	v_mul_i32_i24_sdwa v112, sext(v39), v112 dst_sel:DWORD dst_unused:UNUSED_PAD src0_sel:WORD_0 src1_sel:DWORD
	v_lshrrev_b32_e32 v114, 31, v113
	v_ashrrev_i32_e32 v113, 18, v113
	v_lshrrev_b32_e32 v115, 31, v112
	v_ashrrev_i32_e32 v112, 18, v112
	v_add_nc_u16 v113, v113, v114
	v_add_nc_u16 v112, v112, v115
	v_cmp_lt_i16_e64 s35, v113, v112
	v_cndmask_b32_e64 v112, v39, v101, s35
	v_cndmask_b32_e64 v101, v101, v39, s35
	v_mov_b32_e32 v39, v112
	s_or_b32 exec_lo, exec_lo, s38
	s_and_saveexec_b32 s38, s8
	s_cbranch_execnz .LBB522_1344
.LBB522_865:
	s_or_b32 exec_lo, exec_lo, s38
	s_and_saveexec_b32 s38, s9
	s_cbranch_execz .LBB522_1345
.LBB522_866:
	v_mov_b32_e32 v112, 0x6667
	v_mul_i32_i24_sdwa v113, sext(v98), v112 dst_sel:DWORD dst_unused:UNUSED_PAD src0_sel:WORD_0 src1_sel:DWORD
	v_mul_i32_i24_sdwa v112, sext(v99), v112 dst_sel:DWORD dst_unused:UNUSED_PAD src0_sel:WORD_0 src1_sel:DWORD
	v_lshrrev_b32_e32 v114, 31, v113
	v_ashrrev_i32_e32 v113, 18, v113
	v_lshrrev_b32_e32 v115, 31, v112
	v_ashrrev_i32_e32 v112, 18, v112
	v_add_nc_u16 v113, v113, v114
	v_add_nc_u16 v112, v112, v115
	v_cmp_lt_i16_e64 s35, v113, v112
	v_cndmask_b32_e64 v112, v98, v99, s35
	v_cndmask_b32_e64 v99, v99, v98, s35
	v_mov_b32_e32 v98, v112
	s_or_b32 exec_lo, exec_lo, s38
	s_and_saveexec_b32 s38, s12
	s_cbranch_execnz .LBB522_1346
.LBB522_867:
	s_or_b32 exec_lo, exec_lo, s38
	s_and_saveexec_b32 s38, s13
	s_cbranch_execz .LBB522_1347
.LBB522_868:
	v_mov_b32_e32 v112, 0x6667
	v_mul_i32_i24_sdwa v113, sext(v85), v112 dst_sel:DWORD dst_unused:UNUSED_PAD src0_sel:WORD_0 src1_sel:DWORD
	v_mul_i32_i24_sdwa v112, sext(v86), v112 dst_sel:DWORD dst_unused:UNUSED_PAD src0_sel:WORD_0 src1_sel:DWORD
	v_lshrrev_b32_e32 v114, 31, v113
	v_ashrrev_i32_e32 v113, 18, v113
	v_lshrrev_b32_e32 v115, 31, v112
	v_ashrrev_i32_e32 v112, 18, v112
	v_add_nc_u16 v113, v113, v114
	v_add_nc_u16 v112, v112, v115
	v_cmp_lt_i16_e64 s35, v113, v112
	v_cndmask_b32_e64 v112, v85, v86, s35
	v_cndmask_b32_e64 v86, v86, v85, s35
	v_mov_b32_e32 v85, v112
	s_or_b32 exec_lo, exec_lo, s38
	s_and_saveexec_b32 s38, s57
	s_cbranch_execnz .LBB522_1348
.LBB522_869:
	s_or_b32 exec_lo, exec_lo, s38
	s_and_saveexec_b32 s38, s58
	s_cbranch_execz .LBB522_1349
.LBB522_870:
	v_mov_b32_e32 v112, 0x6667
	v_mul_i32_i24_sdwa v113, sext(v81), v112 dst_sel:DWORD dst_unused:UNUSED_PAD src0_sel:WORD_0 src1_sel:DWORD
	v_mul_i32_i24_sdwa v112, sext(v82), v112 dst_sel:DWORD dst_unused:UNUSED_PAD src0_sel:WORD_0 src1_sel:DWORD
	v_lshrrev_b32_e32 v114, 31, v113
	v_ashrrev_i32_e32 v113, 18, v113
	v_lshrrev_b32_e32 v115, 31, v112
	v_ashrrev_i32_e32 v112, 18, v112
	v_add_nc_u16 v113, v113, v114
	v_add_nc_u16 v112, v112, v115
	v_cmp_lt_i16_e64 s35, v113, v112
	v_cndmask_b32_e64 v112, v81, v82, s35
	v_cndmask_b32_e64 v82, v82, v81, s35
	v_mov_b32_e32 v81, v112
	s_or_b32 exec_lo, exec_lo, s38
	s_and_saveexec_b32 s38, s59
	s_cbranch_execnz .LBB522_1350
.LBB522_871:
	s_or_b32 exec_lo, exec_lo, s38
	s_and_saveexec_b32 s38, s60
	s_cbranch_execz .LBB522_1351
.LBB522_872:
	v_mov_b32_e32 v112, 0x6667
	v_mul_i32_i24_sdwa v113, sext(v69), v112 dst_sel:DWORD dst_unused:UNUSED_PAD src0_sel:WORD_0 src1_sel:DWORD
	v_mul_i32_i24_sdwa v112, sext(v70), v112 dst_sel:DWORD dst_unused:UNUSED_PAD src0_sel:WORD_0 src1_sel:DWORD
	v_lshrrev_b32_e32 v114, 31, v113
	v_ashrrev_i32_e32 v113, 18, v113
	v_lshrrev_b32_e32 v115, 31, v112
	v_ashrrev_i32_e32 v112, 18, v112
	v_add_nc_u16 v113, v113, v114
	v_add_nc_u16 v112, v112, v115
	v_cmp_lt_i16_e64 s35, v113, v112
	v_cndmask_b32_e64 v112, v69, v70, s35
	v_cndmask_b32_e64 v70, v70, v69, s35
	v_mov_b32_e32 v69, v112
	s_or_b32 exec_lo, exec_lo, s38
	s_and_saveexec_b32 s38, s61
	s_cbranch_execnz .LBB522_1352
.LBB522_873:
	s_or_b32 exec_lo, exec_lo, s38
	s_and_saveexec_b32 s38, s62
	s_cbranch_execz .LBB522_1353
.LBB522_874:
	v_mov_b32_e32 v112, 0x6667
	v_mul_i32_i24_sdwa v113, sext(v65), v112 dst_sel:DWORD dst_unused:UNUSED_PAD src0_sel:WORD_0 src1_sel:DWORD
	v_mul_i32_i24_sdwa v112, sext(v66), v112 dst_sel:DWORD dst_unused:UNUSED_PAD src0_sel:WORD_0 src1_sel:DWORD
	v_lshrrev_b32_e32 v114, 31, v113
	v_ashrrev_i32_e32 v113, 18, v113
	v_lshrrev_b32_e32 v115, 31, v112
	v_ashrrev_i32_e32 v112, 18, v112
	v_add_nc_u16 v113, v113, v114
	v_add_nc_u16 v112, v112, v115
	v_cmp_lt_i16_e64 s35, v113, v112
	v_cndmask_b32_e64 v112, v65, v66, s35
	v_cndmask_b32_e64 v66, v66, v65, s35
	v_mov_b32_e32 v65, v112
	s_or_b32 exec_lo, exec_lo, s38
	s_and_saveexec_b32 s38, s63
	s_cbranch_execnz .LBB522_1354
.LBB522_875:
	s_or_b32 exec_lo, exec_lo, s38
	s_and_saveexec_b32 s38, s72
	s_cbranch_execz .LBB522_1355
.LBB522_876:
	v_mov_b32_e32 v112, 0x6667
	v_mul_i32_i24_sdwa v113, sext(v52), v112 dst_sel:DWORD dst_unused:UNUSED_PAD src0_sel:WORD_0 src1_sel:DWORD
	v_mul_i32_i24_sdwa v112, sext(v53), v112 dst_sel:DWORD dst_unused:UNUSED_PAD src0_sel:WORD_0 src1_sel:DWORD
	v_lshrrev_b32_e32 v114, 31, v113
	v_ashrrev_i32_e32 v113, 18, v113
	v_lshrrev_b32_e32 v115, 31, v112
	v_ashrrev_i32_e32 v112, 18, v112
	v_add_nc_u16 v113, v113, v114
	v_add_nc_u16 v112, v112, v115
	v_cmp_lt_i16_e64 s35, v113, v112
	v_cndmask_b32_e64 v112, v52, v53, s35
	v_cndmask_b32_e64 v53, v53, v52, s35
	v_mov_b32_e32 v52, v112
	s_or_b32 exec_lo, exec_lo, s38
	s_and_saveexec_b32 s38, s73
	s_cbranch_execnz .LBB522_1356
.LBB522_877:
	s_or_b32 exec_lo, exec_lo, s38
	s_and_saveexec_b32 s38, s74
	s_cbranch_execz .LBB522_1357
.LBB522_878:
	v_mov_b32_e32 v112, 0x6667
	v_mul_i32_i24_sdwa v113, sext(v49), v112 dst_sel:DWORD dst_unused:UNUSED_PAD src0_sel:WORD_0 src1_sel:DWORD
	v_mul_i32_i24_sdwa v112, sext(v50), v112 dst_sel:DWORD dst_unused:UNUSED_PAD src0_sel:WORD_0 src1_sel:DWORD
	v_lshrrev_b32_e32 v114, 31, v113
	v_ashrrev_i32_e32 v113, 18, v113
	v_lshrrev_b32_e32 v115, 31, v112
	v_ashrrev_i32_e32 v112, 18, v112
	v_add_nc_u16 v113, v113, v114
	v_add_nc_u16 v112, v112, v115
	v_cmp_lt_i16_e64 s35, v113, v112
	v_cndmask_b32_e64 v112, v50, v49, s35
	v_cndmask_b32_e64 v49, v49, v50, s35
	v_mov_b32_e32 v50, v112
	s_or_b32 exec_lo, exec_lo, s38
	s_and_saveexec_b32 s38, s75
	s_cbranch_execnz .LBB522_1358
.LBB522_879:
	s_or_b32 exec_lo, exec_lo, s38
	s_and_saveexec_b32 s38, s76
	s_cbranch_execz .LBB522_1359
.LBB522_880:
	v_mov_b32_e32 v112, 0x6667
	v_mul_i32_i24_sdwa v113, sext(v38), v112 dst_sel:DWORD dst_unused:UNUSED_PAD src0_sel:WORD_0 src1_sel:DWORD
	v_mul_i32_i24_sdwa v112, sext(v101), v112 dst_sel:DWORD dst_unused:UNUSED_PAD src0_sel:WORD_0 src1_sel:DWORD
	v_lshrrev_b32_e32 v114, 31, v113
	v_ashrrev_i32_e32 v113, 18, v113
	v_lshrrev_b32_e32 v115, 31, v112
	v_ashrrev_i32_e32 v112, 18, v112
	v_add_nc_u16 v113, v113, v114
	v_add_nc_u16 v112, v112, v115
	v_cmp_lt_i16_e64 s35, v113, v112
	v_cndmask_b32_e64 v112, v101, v38, s35
	v_cndmask_b32_e64 v38, v38, v101, s35
	v_mov_b32_e32 v101, v112
	s_or_b32 exec_lo, exec_lo, s38
	s_and_saveexec_b32 s38, s77
	s_cbranch_execnz .LBB522_1360
.LBB522_881:
	s_or_b32 exec_lo, exec_lo, s38
	s_and_saveexec_b32 s38, s78
	s_cbranch_execz .LBB522_1361
.LBB522_882:
	v_mov_b32_e32 v112, 0x6667
	v_mul_i32_i24_sdwa v113, sext(v96), v112 dst_sel:DWORD dst_unused:UNUSED_PAD src0_sel:WORD_0 src1_sel:DWORD
	v_mul_i32_i24_sdwa v112, sext(v98), v112 dst_sel:DWORD dst_unused:UNUSED_PAD src0_sel:WORD_0 src1_sel:DWORD
	v_lshrrev_b32_e32 v114, 31, v113
	v_ashrrev_i32_e32 v113, 18, v113
	v_lshrrev_b32_e32 v115, 31, v112
	v_ashrrev_i32_e32 v112, 18, v112
	v_add_nc_u16 v113, v113, v114
	v_add_nc_u16 v112, v112, v115
	v_cmp_lt_i16_e64 s35, v113, v112
	v_cndmask_b32_e64 v112, v96, v98, s35
	v_cndmask_b32_e64 v98, v98, v96, s35
	v_mov_b32_e32 v96, v112
	s_or_b32 exec_lo, exec_lo, s38
	s_and_saveexec_b32 s38, s79
	s_cbranch_execnz .LBB522_1362
.LBB522_883:
	s_or_b32 exec_lo, exec_lo, s38
	s_and_saveexec_b32 s38, s88
	s_cbranch_execz .LBB522_1363
.LBB522_884:
	v_mov_b32_e32 v112, 0x6667
	v_mul_i32_i24_sdwa v113, sext(v84), v112 dst_sel:DWORD dst_unused:UNUSED_PAD src0_sel:WORD_0 src1_sel:DWORD
	v_mul_i32_i24_sdwa v112, sext(v85), v112 dst_sel:DWORD dst_unused:UNUSED_PAD src0_sel:WORD_0 src1_sel:DWORD
	v_lshrrev_b32_e32 v114, 31, v113
	v_ashrrev_i32_e32 v113, 18, v113
	v_lshrrev_b32_e32 v115, 31, v112
	v_ashrrev_i32_e32 v112, 18, v112
	v_add_nc_u16 v113, v113, v114
	v_add_nc_u16 v112, v112, v115
	v_cmp_lt_i16_e64 s35, v113, v112
	v_cndmask_b32_e64 v112, v84, v85, s35
	v_cndmask_b32_e64 v85, v85, v84, s35
	v_mov_b32_e32 v84, v112
	s_or_b32 exec_lo, exec_lo, s38
	s_and_saveexec_b32 s38, s89
	s_cbranch_execnz .LBB522_1364
.LBB522_885:
	s_or_b32 exec_lo, exec_lo, s38
	s_and_saveexec_b32 s38, s90
	s_cbranch_execz .LBB522_1365
.LBB522_886:
	v_mov_b32_e32 v112, 0x6667
	v_mul_i32_i24_sdwa v113, sext(v80), v112 dst_sel:DWORD dst_unused:UNUSED_PAD src0_sel:WORD_0 src1_sel:DWORD
	v_mul_i32_i24_sdwa v112, sext(v81), v112 dst_sel:DWORD dst_unused:UNUSED_PAD src0_sel:WORD_0 src1_sel:DWORD
	v_lshrrev_b32_e32 v114, 31, v113
	v_ashrrev_i32_e32 v113, 18, v113
	v_lshrrev_b32_e32 v115, 31, v112
	v_ashrrev_i32_e32 v112, 18, v112
	v_add_nc_u16 v113, v113, v114
	v_add_nc_u16 v112, v112, v115
	v_cmp_lt_i16_e64 s35, v113, v112
	v_cndmask_b32_e64 v112, v80, v81, s35
	v_cndmask_b32_e64 v81, v81, v80, s35
	v_mov_b32_e32 v80, v112
	s_or_b32 exec_lo, exec_lo, s38
	s_and_saveexec_b32 s38, s91
	s_cbranch_execnz .LBB522_1366
.LBB522_887:
	s_or_b32 exec_lo, exec_lo, s38
	s_and_saveexec_b32 s38, s92
	s_cbranch_execz .LBB522_1367
.LBB522_888:
	v_mov_b32_e32 v112, 0x6667
	v_mul_i32_i24_sdwa v113, sext(v68), v112 dst_sel:DWORD dst_unused:UNUSED_PAD src0_sel:WORD_0 src1_sel:DWORD
	v_mul_i32_i24_sdwa v112, sext(v69), v112 dst_sel:DWORD dst_unused:UNUSED_PAD src0_sel:WORD_0 src1_sel:DWORD
	v_lshrrev_b32_e32 v114, 31, v113
	v_ashrrev_i32_e32 v113, 18, v113
	v_lshrrev_b32_e32 v115, 31, v112
	v_ashrrev_i32_e32 v112, 18, v112
	v_add_nc_u16 v113, v113, v114
	v_add_nc_u16 v112, v112, v115
	v_cmp_lt_i16_e64 s35, v113, v112
	v_cndmask_b32_e64 v112, v68, v69, s35
	v_cndmask_b32_e64 v69, v69, v68, s35
	v_mov_b32_e32 v68, v112
	s_or_b32 exec_lo, exec_lo, s38
	s_and_saveexec_b32 s38, s93
	s_cbranch_execnz .LBB522_1368
.LBB522_889:
	s_or_b32 exec_lo, exec_lo, s38
	s_and_saveexec_b32 s38, s94
	s_cbranch_execz .LBB522_1369
.LBB522_890:
	v_mov_b32_e32 v112, 0x6667
	v_mul_i32_i24_sdwa v113, sext(v64), v112 dst_sel:DWORD dst_unused:UNUSED_PAD src0_sel:WORD_0 src1_sel:DWORD
	v_mul_i32_i24_sdwa v112, sext(v65), v112 dst_sel:DWORD dst_unused:UNUSED_PAD src0_sel:WORD_0 src1_sel:DWORD
	v_lshrrev_b32_e32 v114, 31, v113
	v_ashrrev_i32_e32 v113, 18, v113
	v_lshrrev_b32_e32 v115, 31, v112
	v_ashrrev_i32_e32 v112, 18, v112
	v_add_nc_u16 v113, v113, v114
	v_add_nc_u16 v112, v112, v115
	v_cmp_lt_i16_e64 s35, v113, v112
	v_cndmask_b32_e64 v112, v64, v65, s35
	v_cndmask_b32_e64 v65, v65, v64, s35
	v_mov_b32_e32 v64, v112
	s_or_b32 exec_lo, exec_lo, s38
	s_and_saveexec_b32 s38, s95
	s_cbranch_execnz .LBB522_1370
.LBB522_891:
	s_or_b32 exec_lo, exec_lo, s38
	s_and_saveexec_b32 s38, vcc_hi
	s_cbranch_execz .LBB522_1371
.LBB522_892:
	v_mov_b32_e32 v112, 0x6667
	v_mul_i32_i24_sdwa v113, sext(v51), v112 dst_sel:DWORD dst_unused:UNUSED_PAD src0_sel:WORD_0 src1_sel:DWORD
	v_mul_i32_i24_sdwa v112, sext(v52), v112 dst_sel:DWORD dst_unused:UNUSED_PAD src0_sel:WORD_0 src1_sel:DWORD
	v_lshrrev_b32_e32 v114, 31, v113
	v_ashrrev_i32_e32 v113, 18, v113
	v_lshrrev_b32_e32 v115, 31, v112
	v_ashrrev_i32_e32 v112, 18, v112
	v_add_nc_u16 v113, v113, v114
	v_add_nc_u16 v112, v112, v115
	v_cmp_lt_i16_e64 s35, v113, v112
	v_cndmask_b32_e64 v112, v51, v52, s35
	v_cndmask_b32_e64 v52, v52, v51, s35
	v_mov_b32_e32 v51, v112
	s_or_b32 exec_lo, exec_lo, s38
	s_and_saveexec_b32 s38, s30
	s_cbranch_execnz .LBB522_1372
.LBB522_893:
	s_or_b32 exec_lo, exec_lo, s38
	s_and_saveexec_b32 s38, s31
	s_cbranch_execz .LBB522_1373
.LBB522_894:
	v_mov_b32_e32 v112, 0x6667
	v_mul_i32_i24_sdwa v113, sext(v48), v112 dst_sel:DWORD dst_unused:UNUSED_PAD src0_sel:WORD_0 src1_sel:DWORD
	v_mul_i32_i24_sdwa v112, sext(v49), v112 dst_sel:DWORD dst_unused:UNUSED_PAD src0_sel:WORD_0 src1_sel:DWORD
	v_lshrrev_b32_e32 v114, 31, v113
	v_ashrrev_i32_e32 v113, 18, v113
	v_lshrrev_b32_e32 v115, 31, v112
	v_ashrrev_i32_e32 v112, 18, v112
	v_add_nc_u16 v113, v113, v114
	v_add_nc_u16 v112, v112, v115
	v_cmp_lt_i16_e64 s35, v113, v112
	v_cndmask_b32_e64 v112, v49, v48, s35
	v_cndmask_b32_e64 v48, v48, v49, s35
	v_mov_b32_e32 v49, v112
	s_or_b32 exec_lo, exec_lo, s38
	s_and_saveexec_b32 s38, s34
	s_cbranch_execnz .LBB522_1374
.LBB522_895:
	s_or_b32 exec_lo, exec_lo, s38
	s_and_saveexec_b32 s38, s8
	s_cbranch_execz .LBB522_1375
.LBB522_896:
	v_mov_b32_e32 v112, 0x6667
	v_mul_i32_i24_sdwa v113, sext(v100), v112 dst_sel:DWORD dst_unused:UNUSED_PAD src0_sel:WORD_0 src1_sel:DWORD
	v_mul_i32_i24_sdwa v112, sext(v97), v112 dst_sel:DWORD dst_unused:UNUSED_PAD src0_sel:WORD_0 src1_sel:DWORD
	v_lshrrev_b32_e32 v114, 31, v113
	v_ashrrev_i32_e32 v113, 18, v113
	v_lshrrev_b32_e32 v115, 31, v112
	v_ashrrev_i32_e32 v112, 18, v112
	v_add_nc_u16 v113, v113, v114
	v_add_nc_u16 v112, v112, v115
	v_cmp_lt_i16_e64 s35, v113, v112
	v_cndmask_b32_e64 v112, v100, v97, s35
	v_cndmask_b32_e64 v97, v97, v100, s35
	v_mov_b32_e32 v100, v112
	s_or_b32 exec_lo, exec_lo, s38
	s_and_saveexec_b32 s38, s9
	s_cbranch_execnz .LBB522_1376
.LBB522_897:
	s_or_b32 exec_lo, exec_lo, s38
	s_and_saveexec_b32 s38, s12
	s_cbranch_execz .LBB522_1377
.LBB522_898:
	v_mov_b32_e32 v112, 0x6667
	v_mul_i32_i24_sdwa v113, sext(v87), v112 dst_sel:DWORD dst_unused:UNUSED_PAD src0_sel:WORD_0 src1_sel:DWORD
	v_mul_i32_i24_sdwa v112, sext(v96), v112 dst_sel:DWORD dst_unused:UNUSED_PAD src0_sel:WORD_0 src1_sel:DWORD
	v_lshrrev_b32_e32 v114, 31, v113
	v_ashrrev_i32_e32 v113, 18, v113
	v_lshrrev_b32_e32 v115, 31, v112
	v_ashrrev_i32_e32 v112, 18, v112
	v_add_nc_u16 v113, v113, v114
	v_add_nc_u16 v112, v112, v115
	v_cmp_lt_i16_e64 s35, v113, v112
	v_cndmask_b32_e64 v112, v87, v96, s35
	v_cndmask_b32_e64 v96, v96, v87, s35
	v_mov_b32_e32 v87, v112
	s_or_b32 exec_lo, exec_lo, s38
	s_and_saveexec_b32 s38, s13
	s_cbranch_execnz .LBB522_1378
.LBB522_899:
	s_or_b32 exec_lo, exec_lo, s38
	s_and_saveexec_b32 s38, s57
	s_cbranch_execz .LBB522_1379
.LBB522_900:
	v_mov_b32_e32 v112, 0x6667
	v_mul_i32_i24_sdwa v113, sext(v83), v112 dst_sel:DWORD dst_unused:UNUSED_PAD src0_sel:WORD_0 src1_sel:DWORD
	v_mul_i32_i24_sdwa v112, sext(v84), v112 dst_sel:DWORD dst_unused:UNUSED_PAD src0_sel:WORD_0 src1_sel:DWORD
	v_lshrrev_b32_e32 v114, 31, v113
	v_ashrrev_i32_e32 v113, 18, v113
	v_lshrrev_b32_e32 v115, 31, v112
	v_ashrrev_i32_e32 v112, 18, v112
	v_add_nc_u16 v113, v113, v114
	v_add_nc_u16 v112, v112, v115
	v_cmp_lt_i16_e64 s35, v113, v112
	v_cndmask_b32_e64 v112, v83, v84, s35
	v_cndmask_b32_e64 v84, v84, v83, s35
	v_mov_b32_e32 v83, v112
	s_or_b32 exec_lo, exec_lo, s38
	s_and_saveexec_b32 s38, s58
	s_cbranch_execnz .LBB522_1380
.LBB522_901:
	s_or_b32 exec_lo, exec_lo, s38
	s_and_saveexec_b32 s38, s59
	s_cbranch_execz .LBB522_1381
.LBB522_902:
	v_mov_b32_e32 v112, 0x6667
	v_mul_i32_i24_sdwa v113, sext(v71), v112 dst_sel:DWORD dst_unused:UNUSED_PAD src0_sel:WORD_0 src1_sel:DWORD
	v_mul_i32_i24_sdwa v112, sext(v80), v112 dst_sel:DWORD dst_unused:UNUSED_PAD src0_sel:WORD_0 src1_sel:DWORD
	v_lshrrev_b32_e32 v114, 31, v113
	v_ashrrev_i32_e32 v113, 18, v113
	v_lshrrev_b32_e32 v115, 31, v112
	v_ashrrev_i32_e32 v112, 18, v112
	v_add_nc_u16 v113, v113, v114
	v_add_nc_u16 v112, v112, v115
	v_cmp_lt_i16_e64 s35, v113, v112
	v_cndmask_b32_e64 v112, v71, v80, s35
	v_cndmask_b32_e64 v80, v80, v71, s35
	v_mov_b32_e32 v71, v112
	s_or_b32 exec_lo, exec_lo, s38
	s_and_saveexec_b32 s38, s60
	s_cbranch_execnz .LBB522_1382
.LBB522_903:
	s_or_b32 exec_lo, exec_lo, s38
	s_and_saveexec_b32 s38, s61
	s_cbranch_execz .LBB522_1383
.LBB522_904:
	v_mov_b32_e32 v112, 0x6667
	v_mul_i32_i24_sdwa v113, sext(v67), v112 dst_sel:DWORD dst_unused:UNUSED_PAD src0_sel:WORD_0 src1_sel:DWORD
	v_mul_i32_i24_sdwa v112, sext(v68), v112 dst_sel:DWORD dst_unused:UNUSED_PAD src0_sel:WORD_0 src1_sel:DWORD
	v_lshrrev_b32_e32 v114, 31, v113
	v_ashrrev_i32_e32 v113, 18, v113
	v_lshrrev_b32_e32 v115, 31, v112
	v_ashrrev_i32_e32 v112, 18, v112
	v_add_nc_u16 v113, v113, v114
	v_add_nc_u16 v112, v112, v115
	v_cmp_lt_i16_e64 s35, v113, v112
	v_cndmask_b32_e64 v112, v67, v68, s35
	v_cndmask_b32_e64 v68, v68, v67, s35
	v_mov_b32_e32 v67, v112
	s_or_b32 exec_lo, exec_lo, s38
	s_and_saveexec_b32 s38, s62
	s_cbranch_execnz .LBB522_1384
.LBB522_905:
	s_or_b32 exec_lo, exec_lo, s38
	s_and_saveexec_b32 s38, s63
	s_cbranch_execz .LBB522_1385
.LBB522_906:
	v_mov_b32_e32 v112, 0x6667
	v_mul_i32_i24_sdwa v113, sext(v55), v112 dst_sel:DWORD dst_unused:UNUSED_PAD src0_sel:WORD_0 src1_sel:DWORD
	v_mul_i32_i24_sdwa v112, sext(v64), v112 dst_sel:DWORD dst_unused:UNUSED_PAD src0_sel:WORD_0 src1_sel:DWORD
	v_lshrrev_b32_e32 v114, 31, v113
	v_ashrrev_i32_e32 v113, 18, v113
	v_lshrrev_b32_e32 v115, 31, v112
	v_ashrrev_i32_e32 v112, 18, v112
	v_add_nc_u16 v113, v113, v114
	v_add_nc_u16 v112, v112, v115
	v_cmp_lt_i16_e64 s35, v113, v112
	v_cndmask_b32_e64 v112, v55, v64, s35
	v_cndmask_b32_e64 v64, v64, v55, s35
	v_mov_b32_e32 v55, v112
	s_or_b32 exec_lo, exec_lo, s38
	s_and_saveexec_b32 s38, s72
	s_cbranch_execnz .LBB522_1386
.LBB522_907:
	s_or_b32 exec_lo, exec_lo, s38
	s_and_saveexec_b32 s38, s73
	s_cbranch_execz .LBB522_1387
.LBB522_908:
	v_mov_b32_e32 v112, 0x6667
	v_mul_i32_i24_sdwa v113, sext(v54), v112 dst_sel:DWORD dst_unused:UNUSED_PAD src0_sel:WORD_0 src1_sel:DWORD
	v_mul_i32_i24_sdwa v112, sext(v51), v112 dst_sel:DWORD dst_unused:UNUSED_PAD src0_sel:WORD_0 src1_sel:DWORD
	v_lshrrev_b32_e32 v114, 31, v113
	v_ashrrev_i32_e32 v113, 18, v113
	v_lshrrev_b32_e32 v115, 31, v112
	v_ashrrev_i32_e32 v112, 18, v112
	v_add_nc_u16 v113, v113, v114
	v_add_nc_u16 v112, v112, v115
	v_cmp_lt_i16_e64 s35, v113, v112
	v_cndmask_b32_e64 v112, v54, v51, s35
	v_cndmask_b32_e64 v51, v51, v54, s35
	v_mov_b32_e32 v54, v112
	s_or_b32 exec_lo, exec_lo, s38
	s_and_saveexec_b32 s38, s74
	s_cbranch_execnz .LBB522_1388
.LBB522_909:
	s_or_b32 exec_lo, exec_lo, s38
	s_and_saveexec_b32 s38, s75
	s_cbranch_execz .LBB522_1389
.LBB522_910:
	v_mov_b32_e32 v112, 0x6667
	v_mul_i32_i24_sdwa v113, sext(v39), v112 dst_sel:DWORD dst_unused:UNUSED_PAD src0_sel:WORD_0 src1_sel:DWORD
	v_mul_i32_i24_sdwa v112, sext(v48), v112 dst_sel:DWORD dst_unused:UNUSED_PAD src0_sel:WORD_0 src1_sel:DWORD
	v_lshrrev_b32_e32 v114, 31, v113
	v_ashrrev_i32_e32 v113, 18, v113
	v_lshrrev_b32_e32 v115, 31, v112
	v_ashrrev_i32_e32 v112, 18, v112
	v_add_nc_u16 v113, v113, v114
	v_add_nc_u16 v112, v112, v115
	v_cmp_lt_i16_e64 s35, v113, v112
	v_cndmask_b32_e64 v112, v48, v39, s35
	v_cndmask_b32_e64 v39, v39, v48, s35
	v_mov_b32_e32 v48, v112
	s_or_b32 exec_lo, exec_lo, s38
	s_and_saveexec_b32 s38, s76
	s_cbranch_execnz .LBB522_1390
.LBB522_911:
	s_or_b32 exec_lo, exec_lo, s38
	s_and_saveexec_b32 s38, s77
	s_cbranch_execz .LBB522_1391
.LBB522_912:
	v_mov_b32_e32 v112, 0x6667
	v_mul_i32_i24_sdwa v113, sext(v99), v112 dst_sel:DWORD dst_unused:UNUSED_PAD src0_sel:WORD_0 src1_sel:DWORD
	v_mul_i32_i24_sdwa v112, sext(v100), v112 dst_sel:DWORD dst_unused:UNUSED_PAD src0_sel:WORD_0 src1_sel:DWORD
	v_lshrrev_b32_e32 v114, 31, v113
	v_ashrrev_i32_e32 v113, 18, v113
	v_lshrrev_b32_e32 v115, 31, v112
	v_ashrrev_i32_e32 v112, 18, v112
	v_add_nc_u16 v113, v113, v114
	v_add_nc_u16 v112, v112, v115
	v_cmp_lt_i16_e64 s35, v113, v112
	v_cndmask_b32_e64 v112, v99, v100, s35
	v_cndmask_b32_e64 v100, v100, v99, s35
	v_mov_b32_e32 v99, v112
	s_or_b32 exec_lo, exec_lo, s38
	s_and_saveexec_b32 s38, s78
	s_cbranch_execnz .LBB522_1392
.LBB522_913:
	s_or_b32 exec_lo, exec_lo, s38
	s_and_saveexec_b32 s38, s79
	s_cbranch_execz .LBB522_1393
.LBB522_914:
	v_mov_b32_e32 v112, 0x6667
	v_mul_i32_i24_sdwa v113, sext(v86), v112 dst_sel:DWORD dst_unused:UNUSED_PAD src0_sel:WORD_0 src1_sel:DWORD
	v_mul_i32_i24_sdwa v112, sext(v87), v112 dst_sel:DWORD dst_unused:UNUSED_PAD src0_sel:WORD_0 src1_sel:DWORD
	v_lshrrev_b32_e32 v114, 31, v113
	v_ashrrev_i32_e32 v113, 18, v113
	v_lshrrev_b32_e32 v115, 31, v112
	v_ashrrev_i32_e32 v112, 18, v112
	v_add_nc_u16 v113, v113, v114
	v_add_nc_u16 v112, v112, v115
	v_cmp_lt_i16_e64 s35, v113, v112
	v_cndmask_b32_e64 v112, v86, v87, s35
	v_cndmask_b32_e64 v87, v87, v86, s35
	v_mov_b32_e32 v86, v112
	s_or_b32 exec_lo, exec_lo, s38
	s_and_saveexec_b32 s38, s88
	s_cbranch_execnz .LBB522_1394
.LBB522_915:
	s_or_b32 exec_lo, exec_lo, s38
	s_and_saveexec_b32 s38, s89
	s_cbranch_execz .LBB522_1395
.LBB522_916:
	v_mov_b32_e32 v112, 0x6667
	v_mul_i32_i24_sdwa v113, sext(v82), v112 dst_sel:DWORD dst_unused:UNUSED_PAD src0_sel:WORD_0 src1_sel:DWORD
	v_mul_i32_i24_sdwa v112, sext(v83), v112 dst_sel:DWORD dst_unused:UNUSED_PAD src0_sel:WORD_0 src1_sel:DWORD
	v_lshrrev_b32_e32 v114, 31, v113
	v_ashrrev_i32_e32 v113, 18, v113
	v_lshrrev_b32_e32 v115, 31, v112
	v_ashrrev_i32_e32 v112, 18, v112
	v_add_nc_u16 v113, v113, v114
	v_add_nc_u16 v112, v112, v115
	v_cmp_lt_i16_e64 s35, v113, v112
	v_cndmask_b32_e64 v112, v82, v83, s35
	v_cndmask_b32_e64 v83, v83, v82, s35
	v_mov_b32_e32 v82, v112
	s_or_b32 exec_lo, exec_lo, s38
	s_and_saveexec_b32 s38, s90
	s_cbranch_execnz .LBB522_1396
.LBB522_917:
	s_or_b32 exec_lo, exec_lo, s38
	s_and_saveexec_b32 s38, s91
	s_cbranch_execz .LBB522_1397
.LBB522_918:
	v_mov_b32_e32 v112, 0x6667
	v_mul_i32_i24_sdwa v113, sext(v70), v112 dst_sel:DWORD dst_unused:UNUSED_PAD src0_sel:WORD_0 src1_sel:DWORD
	v_mul_i32_i24_sdwa v112, sext(v71), v112 dst_sel:DWORD dst_unused:UNUSED_PAD src0_sel:WORD_0 src1_sel:DWORD
	v_lshrrev_b32_e32 v114, 31, v113
	v_ashrrev_i32_e32 v113, 18, v113
	v_lshrrev_b32_e32 v115, 31, v112
	v_ashrrev_i32_e32 v112, 18, v112
	v_add_nc_u16 v113, v113, v114
	v_add_nc_u16 v112, v112, v115
	v_cmp_lt_i16_e64 s35, v113, v112
	v_cndmask_b32_e64 v112, v70, v71, s35
	v_cndmask_b32_e64 v71, v71, v70, s35
	v_mov_b32_e32 v70, v112
	s_or_b32 exec_lo, exec_lo, s38
	s_and_saveexec_b32 s38, s92
	s_cbranch_execnz .LBB522_1398
.LBB522_919:
	s_or_b32 exec_lo, exec_lo, s38
	s_and_saveexec_b32 s38, s93
	s_cbranch_execz .LBB522_1399
.LBB522_920:
	v_mov_b32_e32 v112, 0x6667
	v_mul_i32_i24_sdwa v113, sext(v66), v112 dst_sel:DWORD dst_unused:UNUSED_PAD src0_sel:WORD_0 src1_sel:DWORD
	v_mul_i32_i24_sdwa v112, sext(v67), v112 dst_sel:DWORD dst_unused:UNUSED_PAD src0_sel:WORD_0 src1_sel:DWORD
	v_lshrrev_b32_e32 v114, 31, v113
	v_ashrrev_i32_e32 v113, 18, v113
	v_lshrrev_b32_e32 v115, 31, v112
	v_ashrrev_i32_e32 v112, 18, v112
	v_add_nc_u16 v113, v113, v114
	v_add_nc_u16 v112, v112, v115
	v_cmp_lt_i16_e64 s35, v113, v112
	v_cndmask_b32_e64 v112, v66, v67, s35
	v_cndmask_b32_e64 v67, v67, v66, s35
	v_mov_b32_e32 v66, v112
	s_or_b32 exec_lo, exec_lo, s38
	s_and_saveexec_b32 s38, s94
	s_cbranch_execnz .LBB522_1400
.LBB522_921:
	s_or_b32 exec_lo, exec_lo, s38
	s_and_saveexec_b32 s38, s95
	s_cbranch_execz .LBB522_1401
.LBB522_922:
	v_mov_b32_e32 v112, 0x6667
	v_mul_i32_i24_sdwa v113, sext(v53), v112 dst_sel:DWORD dst_unused:UNUSED_PAD src0_sel:WORD_0 src1_sel:DWORD
	v_mul_i32_i24_sdwa v112, sext(v55), v112 dst_sel:DWORD dst_unused:UNUSED_PAD src0_sel:WORD_0 src1_sel:DWORD
	v_lshrrev_b32_e32 v114, 31, v113
	v_ashrrev_i32_e32 v113, 18, v113
	v_lshrrev_b32_e32 v115, 31, v112
	v_ashrrev_i32_e32 v112, 18, v112
	v_add_nc_u16 v113, v113, v114
	v_add_nc_u16 v112, v112, v115
	v_cmp_lt_i16_e64 s35, v113, v112
	v_cndmask_b32_e64 v112, v53, v55, s35
	v_cndmask_b32_e64 v55, v55, v53, s35
	v_mov_b32_e32 v53, v112
	s_or_b32 exec_lo, exec_lo, s38
	s_and_saveexec_b32 s38, vcc_hi
	s_cbranch_execnz .LBB522_1402
.LBB522_923:
	s_or_b32 exec_lo, exec_lo, s38
	s_and_saveexec_b32 s38, s30
	s_cbranch_execz .LBB522_1403
.LBB522_924:
	v_mov_b32_e32 v112, 0x6667
	v_mul_i32_i24_sdwa v113, sext(v50), v112 dst_sel:DWORD dst_unused:UNUSED_PAD src0_sel:WORD_0 src1_sel:DWORD
	v_mul_i32_i24_sdwa v112, sext(v54), v112 dst_sel:DWORD dst_unused:UNUSED_PAD src0_sel:WORD_0 src1_sel:DWORD
	v_lshrrev_b32_e32 v114, 31, v113
	v_ashrrev_i32_e32 v113, 18, v113
	v_lshrrev_b32_e32 v115, 31, v112
	v_ashrrev_i32_e32 v112, 18, v112
	v_add_nc_u16 v113, v113, v114
	v_add_nc_u16 v112, v112, v115
	v_cmp_lt_i16_e64 s35, v113, v112
	v_cndmask_b32_e64 v112, v54, v50, s35
	v_cndmask_b32_e64 v50, v50, v54, s35
	v_mov_b32_e32 v54, v112
	s_or_b32 exec_lo, exec_lo, s38
	s_and_saveexec_b32 s38, s31
	s_cbranch_execnz .LBB522_1404
.LBB522_925:
	s_or_b32 exec_lo, exec_lo, s38
	s_and_saveexec_b32 s38, s34
	s_cbranch_execz .LBB522_1405
.LBB522_926:
	v_mov_b32_e32 v112, 0x6667
	v_mul_i32_i24_sdwa v113, sext(v101), v112 dst_sel:DWORD dst_unused:UNUSED_PAD src0_sel:WORD_0 src1_sel:DWORD
	v_mul_i32_i24_sdwa v112, sext(v39), v112 dst_sel:DWORD dst_unused:UNUSED_PAD src0_sel:WORD_0 src1_sel:DWORD
	v_lshrrev_b32_e32 v114, 31, v113
	v_ashrrev_i32_e32 v113, 18, v113
	v_lshrrev_b32_e32 v115, 31, v112
	v_ashrrev_i32_e32 v112, 18, v112
	v_add_nc_u16 v113, v113, v114
	v_add_nc_u16 v112, v112, v115
	v_cmp_lt_i16_e64 s35, v113, v112
	v_cndmask_b32_e64 v112, v39, v101, s35
	v_cndmask_b32_e64 v101, v101, v39, s35
	v_mov_b32_e32 v39, v112
	s_or_b32 exec_lo, exec_lo, s38
	s_and_saveexec_b32 s38, s8
	s_cbranch_execnz .LBB522_1406
.LBB522_927:
	s_or_b32 exec_lo, exec_lo, s38
	s_and_saveexec_b32 s38, s9
	s_cbranch_execz .LBB522_1407
.LBB522_928:
	v_mov_b32_e32 v112, 0x6667
	v_mul_i32_i24_sdwa v113, sext(v98), v112 dst_sel:DWORD dst_unused:UNUSED_PAD src0_sel:WORD_0 src1_sel:DWORD
	v_mul_i32_i24_sdwa v112, sext(v99), v112 dst_sel:DWORD dst_unused:UNUSED_PAD src0_sel:WORD_0 src1_sel:DWORD
	v_lshrrev_b32_e32 v114, 31, v113
	v_ashrrev_i32_e32 v113, 18, v113
	v_lshrrev_b32_e32 v115, 31, v112
	v_ashrrev_i32_e32 v112, 18, v112
	v_add_nc_u16 v113, v113, v114
	v_add_nc_u16 v112, v112, v115
	v_cmp_lt_i16_e64 s35, v113, v112
	v_cndmask_b32_e64 v112, v98, v99, s35
	v_cndmask_b32_e64 v99, v99, v98, s35
	v_mov_b32_e32 v98, v112
	s_or_b32 exec_lo, exec_lo, s38
	s_and_saveexec_b32 s38, s12
	s_cbranch_execnz .LBB522_1408
.LBB522_929:
	s_or_b32 exec_lo, exec_lo, s38
	s_and_saveexec_b32 s38, s13
	s_cbranch_execz .LBB522_1409
.LBB522_930:
	v_mov_b32_e32 v112, 0x6667
	v_mul_i32_i24_sdwa v113, sext(v85), v112 dst_sel:DWORD dst_unused:UNUSED_PAD src0_sel:WORD_0 src1_sel:DWORD
	v_mul_i32_i24_sdwa v112, sext(v86), v112 dst_sel:DWORD dst_unused:UNUSED_PAD src0_sel:WORD_0 src1_sel:DWORD
	v_lshrrev_b32_e32 v114, 31, v113
	v_ashrrev_i32_e32 v113, 18, v113
	v_lshrrev_b32_e32 v115, 31, v112
	v_ashrrev_i32_e32 v112, 18, v112
	v_add_nc_u16 v113, v113, v114
	v_add_nc_u16 v112, v112, v115
	v_cmp_lt_i16_e64 s35, v113, v112
	v_cndmask_b32_e64 v112, v85, v86, s35
	v_cndmask_b32_e64 v86, v86, v85, s35
	v_mov_b32_e32 v85, v112
	s_or_b32 exec_lo, exec_lo, s38
	s_and_saveexec_b32 s38, s57
	s_cbranch_execnz .LBB522_1410
.LBB522_931:
	s_or_b32 exec_lo, exec_lo, s38
	s_and_saveexec_b32 s38, s58
	s_cbranch_execz .LBB522_1411
.LBB522_932:
	v_mov_b32_e32 v112, 0x6667
	v_mul_i32_i24_sdwa v113, sext(v81), v112 dst_sel:DWORD dst_unused:UNUSED_PAD src0_sel:WORD_0 src1_sel:DWORD
	v_mul_i32_i24_sdwa v112, sext(v82), v112 dst_sel:DWORD dst_unused:UNUSED_PAD src0_sel:WORD_0 src1_sel:DWORD
	v_lshrrev_b32_e32 v114, 31, v113
	v_ashrrev_i32_e32 v113, 18, v113
	v_lshrrev_b32_e32 v115, 31, v112
	v_ashrrev_i32_e32 v112, 18, v112
	v_add_nc_u16 v113, v113, v114
	v_add_nc_u16 v112, v112, v115
	v_cmp_lt_i16_e64 s35, v113, v112
	v_cndmask_b32_e64 v112, v81, v82, s35
	v_cndmask_b32_e64 v82, v82, v81, s35
	v_mov_b32_e32 v81, v112
	s_or_b32 exec_lo, exec_lo, s38
	s_and_saveexec_b32 s38, s59
	s_cbranch_execnz .LBB522_1412
.LBB522_933:
	s_or_b32 exec_lo, exec_lo, s38
	s_and_saveexec_b32 s38, s60
	s_cbranch_execz .LBB522_1413
.LBB522_934:
	v_mov_b32_e32 v112, 0x6667
	v_mul_i32_i24_sdwa v113, sext(v69), v112 dst_sel:DWORD dst_unused:UNUSED_PAD src0_sel:WORD_0 src1_sel:DWORD
	v_mul_i32_i24_sdwa v112, sext(v70), v112 dst_sel:DWORD dst_unused:UNUSED_PAD src0_sel:WORD_0 src1_sel:DWORD
	v_lshrrev_b32_e32 v114, 31, v113
	v_ashrrev_i32_e32 v113, 18, v113
	v_lshrrev_b32_e32 v115, 31, v112
	v_ashrrev_i32_e32 v112, 18, v112
	v_add_nc_u16 v113, v113, v114
	v_add_nc_u16 v112, v112, v115
	v_cmp_lt_i16_e64 s35, v113, v112
	v_cndmask_b32_e64 v112, v69, v70, s35
	v_cndmask_b32_e64 v70, v70, v69, s35
	v_mov_b32_e32 v69, v112
	s_or_b32 exec_lo, exec_lo, s38
	s_and_saveexec_b32 s38, s61
	s_cbranch_execnz .LBB522_1414
.LBB522_935:
	s_or_b32 exec_lo, exec_lo, s38
	s_and_saveexec_b32 s38, s62
	s_cbranch_execz .LBB522_1415
.LBB522_936:
	v_mov_b32_e32 v112, 0x6667
	v_mul_i32_i24_sdwa v113, sext(v65), v112 dst_sel:DWORD dst_unused:UNUSED_PAD src0_sel:WORD_0 src1_sel:DWORD
	v_mul_i32_i24_sdwa v112, sext(v66), v112 dst_sel:DWORD dst_unused:UNUSED_PAD src0_sel:WORD_0 src1_sel:DWORD
	v_lshrrev_b32_e32 v114, 31, v113
	v_ashrrev_i32_e32 v113, 18, v113
	v_lshrrev_b32_e32 v115, 31, v112
	v_ashrrev_i32_e32 v112, 18, v112
	v_add_nc_u16 v113, v113, v114
	v_add_nc_u16 v112, v112, v115
	v_cmp_lt_i16_e64 s35, v113, v112
	v_cndmask_b32_e64 v112, v65, v66, s35
	v_cndmask_b32_e64 v66, v66, v65, s35
	v_mov_b32_e32 v65, v112
	s_or_b32 exec_lo, exec_lo, s38
	s_and_saveexec_b32 s38, s63
	s_cbranch_execnz .LBB522_1416
.LBB522_937:
	s_or_b32 exec_lo, exec_lo, s38
	s_and_saveexec_b32 s38, s72
	s_cbranch_execz .LBB522_1417
.LBB522_938:
	v_mov_b32_e32 v112, 0x6667
	v_mul_i32_i24_sdwa v113, sext(v52), v112 dst_sel:DWORD dst_unused:UNUSED_PAD src0_sel:WORD_0 src1_sel:DWORD
	v_mul_i32_i24_sdwa v112, sext(v53), v112 dst_sel:DWORD dst_unused:UNUSED_PAD src0_sel:WORD_0 src1_sel:DWORD
	v_lshrrev_b32_e32 v114, 31, v113
	v_ashrrev_i32_e32 v113, 18, v113
	v_lshrrev_b32_e32 v115, 31, v112
	v_ashrrev_i32_e32 v112, 18, v112
	v_add_nc_u16 v113, v113, v114
	v_add_nc_u16 v112, v112, v115
	v_cmp_lt_i16_e64 s35, v113, v112
	v_cndmask_b32_e64 v112, v52, v53, s35
	v_cndmask_b32_e64 v53, v53, v52, s35
	v_mov_b32_e32 v52, v112
	s_or_b32 exec_lo, exec_lo, s38
	s_and_saveexec_b32 s38, s73
	s_cbranch_execnz .LBB522_1418
.LBB522_939:
	s_or_b32 exec_lo, exec_lo, s38
	s_and_saveexec_b32 s38, s74
	s_cbranch_execz .LBB522_1419
.LBB522_940:
	v_mov_b32_e32 v112, 0x6667
	v_mul_i32_i24_sdwa v113, sext(v49), v112 dst_sel:DWORD dst_unused:UNUSED_PAD src0_sel:WORD_0 src1_sel:DWORD
	v_mul_i32_i24_sdwa v112, sext(v50), v112 dst_sel:DWORD dst_unused:UNUSED_PAD src0_sel:WORD_0 src1_sel:DWORD
	v_lshrrev_b32_e32 v114, 31, v113
	v_ashrrev_i32_e32 v113, 18, v113
	v_lshrrev_b32_e32 v115, 31, v112
	v_ashrrev_i32_e32 v112, 18, v112
	v_add_nc_u16 v113, v113, v114
	v_add_nc_u16 v112, v112, v115
	v_cmp_lt_i16_e64 s35, v113, v112
	v_cndmask_b32_e64 v112, v50, v49, s35
	v_cndmask_b32_e64 v49, v49, v50, s35
	v_mov_b32_e32 v50, v112
	s_or_b32 exec_lo, exec_lo, s38
	s_and_saveexec_b32 s38, s75
	s_cbranch_execnz .LBB522_1420
.LBB522_941:
	s_or_b32 exec_lo, exec_lo, s38
	s_and_saveexec_b32 s38, s76
	s_cbranch_execz .LBB522_1421
.LBB522_942:
	v_mov_b32_e32 v112, 0x6667
	v_mul_i32_i24_sdwa v113, sext(v38), v112 dst_sel:DWORD dst_unused:UNUSED_PAD src0_sel:WORD_0 src1_sel:DWORD
	v_mul_i32_i24_sdwa v112, sext(v101), v112 dst_sel:DWORD dst_unused:UNUSED_PAD src0_sel:WORD_0 src1_sel:DWORD
	v_lshrrev_b32_e32 v114, 31, v113
	v_ashrrev_i32_e32 v113, 18, v113
	v_lshrrev_b32_e32 v115, 31, v112
	v_ashrrev_i32_e32 v112, 18, v112
	v_add_nc_u16 v113, v113, v114
	v_add_nc_u16 v112, v112, v115
	v_cmp_lt_i16_e64 s35, v113, v112
	v_cndmask_b32_e64 v112, v101, v38, s35
	v_cndmask_b32_e64 v38, v38, v101, s35
	v_mov_b32_e32 v101, v112
	s_or_b32 exec_lo, exec_lo, s38
	s_and_saveexec_b32 s38, s77
	s_cbranch_execnz .LBB522_1422
.LBB522_943:
	s_or_b32 exec_lo, exec_lo, s38
	s_and_saveexec_b32 s38, s78
	s_cbranch_execz .LBB522_1423
.LBB522_944:
	v_mov_b32_e32 v112, 0x6667
	v_mul_i32_i24_sdwa v113, sext(v96), v112 dst_sel:DWORD dst_unused:UNUSED_PAD src0_sel:WORD_0 src1_sel:DWORD
	v_mul_i32_i24_sdwa v112, sext(v98), v112 dst_sel:DWORD dst_unused:UNUSED_PAD src0_sel:WORD_0 src1_sel:DWORD
	v_lshrrev_b32_e32 v114, 31, v113
	v_ashrrev_i32_e32 v113, 18, v113
	v_lshrrev_b32_e32 v115, 31, v112
	v_ashrrev_i32_e32 v112, 18, v112
	v_add_nc_u16 v113, v113, v114
	v_add_nc_u16 v112, v112, v115
	v_cmp_lt_i16_e64 s35, v113, v112
	v_cndmask_b32_e64 v112, v96, v98, s35
	v_cndmask_b32_e64 v98, v98, v96, s35
	v_mov_b32_e32 v96, v112
	s_or_b32 exec_lo, exec_lo, s38
	s_and_saveexec_b32 s38, s79
	s_cbranch_execnz .LBB522_1424
.LBB522_945:
	s_or_b32 exec_lo, exec_lo, s38
	s_and_saveexec_b32 s38, s88
	s_cbranch_execz .LBB522_1425
.LBB522_946:
	v_mov_b32_e32 v112, 0x6667
	v_mul_i32_i24_sdwa v113, sext(v84), v112 dst_sel:DWORD dst_unused:UNUSED_PAD src0_sel:WORD_0 src1_sel:DWORD
	v_mul_i32_i24_sdwa v112, sext(v85), v112 dst_sel:DWORD dst_unused:UNUSED_PAD src0_sel:WORD_0 src1_sel:DWORD
	v_lshrrev_b32_e32 v114, 31, v113
	v_ashrrev_i32_e32 v113, 18, v113
	v_lshrrev_b32_e32 v115, 31, v112
	v_ashrrev_i32_e32 v112, 18, v112
	v_add_nc_u16 v113, v113, v114
	v_add_nc_u16 v112, v112, v115
	v_cmp_lt_i16_e64 s35, v113, v112
	v_cndmask_b32_e64 v112, v84, v85, s35
	v_cndmask_b32_e64 v85, v85, v84, s35
	v_mov_b32_e32 v84, v112
	s_or_b32 exec_lo, exec_lo, s38
	s_and_saveexec_b32 s38, s89
	s_cbranch_execnz .LBB522_1426
.LBB522_947:
	s_or_b32 exec_lo, exec_lo, s38
	s_and_saveexec_b32 s38, s90
	s_cbranch_execz .LBB522_1427
.LBB522_948:
	v_mov_b32_e32 v112, 0x6667
	v_mul_i32_i24_sdwa v113, sext(v80), v112 dst_sel:DWORD dst_unused:UNUSED_PAD src0_sel:WORD_0 src1_sel:DWORD
	v_mul_i32_i24_sdwa v112, sext(v81), v112 dst_sel:DWORD dst_unused:UNUSED_PAD src0_sel:WORD_0 src1_sel:DWORD
	v_lshrrev_b32_e32 v114, 31, v113
	v_ashrrev_i32_e32 v113, 18, v113
	v_lshrrev_b32_e32 v115, 31, v112
	v_ashrrev_i32_e32 v112, 18, v112
	v_add_nc_u16 v113, v113, v114
	v_add_nc_u16 v112, v112, v115
	v_cmp_lt_i16_e64 s35, v113, v112
	v_cndmask_b32_e64 v112, v80, v81, s35
	v_cndmask_b32_e64 v81, v81, v80, s35
	v_mov_b32_e32 v80, v112
	s_or_b32 exec_lo, exec_lo, s38
	s_and_saveexec_b32 s38, s91
	s_cbranch_execnz .LBB522_1428
.LBB522_949:
	s_or_b32 exec_lo, exec_lo, s38
	s_and_saveexec_b32 s38, s92
	s_cbranch_execz .LBB522_1429
.LBB522_950:
	v_mov_b32_e32 v112, 0x6667
	v_mul_i32_i24_sdwa v113, sext(v68), v112 dst_sel:DWORD dst_unused:UNUSED_PAD src0_sel:WORD_0 src1_sel:DWORD
	v_mul_i32_i24_sdwa v112, sext(v69), v112 dst_sel:DWORD dst_unused:UNUSED_PAD src0_sel:WORD_0 src1_sel:DWORD
	v_lshrrev_b32_e32 v114, 31, v113
	v_ashrrev_i32_e32 v113, 18, v113
	v_lshrrev_b32_e32 v115, 31, v112
	v_ashrrev_i32_e32 v112, 18, v112
	v_add_nc_u16 v113, v113, v114
	v_add_nc_u16 v112, v112, v115
	v_cmp_lt_i16_e64 s35, v113, v112
	v_cndmask_b32_e64 v112, v68, v69, s35
	v_cndmask_b32_e64 v69, v69, v68, s35
	v_mov_b32_e32 v68, v112
	s_or_b32 exec_lo, exec_lo, s38
	s_and_saveexec_b32 s38, s93
	s_cbranch_execnz .LBB522_1430
.LBB522_951:
	s_or_b32 exec_lo, exec_lo, s38
	s_and_saveexec_b32 s38, s94
	s_cbranch_execz .LBB522_1431
.LBB522_952:
	v_mov_b32_e32 v112, 0x6667
	v_mul_i32_i24_sdwa v113, sext(v64), v112 dst_sel:DWORD dst_unused:UNUSED_PAD src0_sel:WORD_0 src1_sel:DWORD
	v_mul_i32_i24_sdwa v112, sext(v65), v112 dst_sel:DWORD dst_unused:UNUSED_PAD src0_sel:WORD_0 src1_sel:DWORD
	v_lshrrev_b32_e32 v114, 31, v113
	v_ashrrev_i32_e32 v113, 18, v113
	v_lshrrev_b32_e32 v115, 31, v112
	v_ashrrev_i32_e32 v112, 18, v112
	v_add_nc_u16 v113, v113, v114
	v_add_nc_u16 v112, v112, v115
	v_cmp_lt_i16_e64 s35, v113, v112
	v_cndmask_b32_e64 v112, v64, v65, s35
	v_cndmask_b32_e64 v65, v65, v64, s35
	v_mov_b32_e32 v64, v112
	s_or_b32 exec_lo, exec_lo, s38
	s_and_saveexec_b32 s38, s95
	s_cbranch_execnz .LBB522_1432
.LBB522_953:
	s_or_b32 exec_lo, exec_lo, s38
	s_and_saveexec_b32 s38, vcc_hi
	s_cbranch_execz .LBB522_1433
.LBB522_954:
	v_mov_b32_e32 v112, 0x6667
	v_mul_i32_i24_sdwa v113, sext(v51), v112 dst_sel:DWORD dst_unused:UNUSED_PAD src0_sel:WORD_0 src1_sel:DWORD
	v_mul_i32_i24_sdwa v112, sext(v52), v112 dst_sel:DWORD dst_unused:UNUSED_PAD src0_sel:WORD_0 src1_sel:DWORD
	v_lshrrev_b32_e32 v114, 31, v113
	v_ashrrev_i32_e32 v113, 18, v113
	v_lshrrev_b32_e32 v115, 31, v112
	v_ashrrev_i32_e32 v112, 18, v112
	v_add_nc_u16 v113, v113, v114
	v_add_nc_u16 v112, v112, v115
	v_cmp_lt_i16_e64 s35, v113, v112
	v_cndmask_b32_e64 v112, v51, v52, s35
	v_cndmask_b32_e64 v52, v52, v51, s35
	v_mov_b32_e32 v51, v112
	s_or_b32 exec_lo, exec_lo, s38
	s_and_saveexec_b32 s38, s30
	s_cbranch_execnz .LBB522_1434
.LBB522_955:
	s_or_b32 exec_lo, exec_lo, s38
	s_and_saveexec_b32 s38, s31
	s_cbranch_execz .LBB522_1435
.LBB522_956:
	v_mov_b32_e32 v112, 0x6667
	v_mul_i32_i24_sdwa v113, sext(v48), v112 dst_sel:DWORD dst_unused:UNUSED_PAD src0_sel:WORD_0 src1_sel:DWORD
	v_mul_i32_i24_sdwa v112, sext(v49), v112 dst_sel:DWORD dst_unused:UNUSED_PAD src0_sel:WORD_0 src1_sel:DWORD
	v_lshrrev_b32_e32 v114, 31, v113
	v_ashrrev_i32_e32 v113, 18, v113
	v_lshrrev_b32_e32 v115, 31, v112
	v_ashrrev_i32_e32 v112, 18, v112
	v_add_nc_u16 v113, v113, v114
	v_add_nc_u16 v112, v112, v115
	v_cmp_lt_i16_e64 s35, v113, v112
	v_cndmask_b32_e64 v112, v49, v48, s35
	v_cndmask_b32_e64 v48, v48, v49, s35
	v_mov_b32_e32 v49, v112
	s_or_b32 exec_lo, exec_lo, s38
	s_and_saveexec_b32 s38, s34
	s_cbranch_execnz .LBB522_1436
.LBB522_957:
	s_or_b32 exec_lo, exec_lo, s38
	s_and_saveexec_b32 s38, s8
	s_cbranch_execz .LBB522_1437
.LBB522_958:
	v_mov_b32_e32 v112, 0x6667
	v_mul_i32_i24_sdwa v113, sext(v100), v112 dst_sel:DWORD dst_unused:UNUSED_PAD src0_sel:WORD_0 src1_sel:DWORD
	v_mul_i32_i24_sdwa v112, sext(v97), v112 dst_sel:DWORD dst_unused:UNUSED_PAD src0_sel:WORD_0 src1_sel:DWORD
	v_lshrrev_b32_e32 v114, 31, v113
	v_ashrrev_i32_e32 v113, 18, v113
	v_lshrrev_b32_e32 v115, 31, v112
	v_ashrrev_i32_e32 v112, 18, v112
	v_add_nc_u16 v113, v113, v114
	v_add_nc_u16 v112, v112, v115
	v_cmp_lt_i16_e64 s35, v113, v112
	v_cndmask_b32_e64 v112, v100, v97, s35
	v_cndmask_b32_e64 v97, v97, v100, s35
	v_mov_b32_e32 v100, v112
	s_or_b32 exec_lo, exec_lo, s38
	s_and_saveexec_b32 s38, s9
	s_cbranch_execnz .LBB522_1438
.LBB522_959:
	s_or_b32 exec_lo, exec_lo, s38
	s_and_saveexec_b32 s38, s12
	s_cbranch_execz .LBB522_1439
.LBB522_960:
	v_mov_b32_e32 v112, 0x6667
	v_mul_i32_i24_sdwa v113, sext(v87), v112 dst_sel:DWORD dst_unused:UNUSED_PAD src0_sel:WORD_0 src1_sel:DWORD
	v_mul_i32_i24_sdwa v112, sext(v96), v112 dst_sel:DWORD dst_unused:UNUSED_PAD src0_sel:WORD_0 src1_sel:DWORD
	v_lshrrev_b32_e32 v114, 31, v113
	v_ashrrev_i32_e32 v113, 18, v113
	v_lshrrev_b32_e32 v115, 31, v112
	v_ashrrev_i32_e32 v112, 18, v112
	v_add_nc_u16 v113, v113, v114
	v_add_nc_u16 v112, v112, v115
	v_cmp_lt_i16_e64 s35, v113, v112
	v_cndmask_b32_e64 v112, v87, v96, s35
	v_cndmask_b32_e64 v96, v96, v87, s35
	v_mov_b32_e32 v87, v112
	s_or_b32 exec_lo, exec_lo, s38
	s_and_saveexec_b32 s38, s13
	s_cbranch_execnz .LBB522_1440
.LBB522_961:
	s_or_b32 exec_lo, exec_lo, s38
	s_and_saveexec_b32 s38, s57
	s_cbranch_execz .LBB522_1441
.LBB522_962:
	v_mov_b32_e32 v112, 0x6667
	v_mul_i32_i24_sdwa v113, sext(v83), v112 dst_sel:DWORD dst_unused:UNUSED_PAD src0_sel:WORD_0 src1_sel:DWORD
	v_mul_i32_i24_sdwa v112, sext(v84), v112 dst_sel:DWORD dst_unused:UNUSED_PAD src0_sel:WORD_0 src1_sel:DWORD
	v_lshrrev_b32_e32 v114, 31, v113
	v_ashrrev_i32_e32 v113, 18, v113
	v_lshrrev_b32_e32 v115, 31, v112
	v_ashrrev_i32_e32 v112, 18, v112
	v_add_nc_u16 v113, v113, v114
	v_add_nc_u16 v112, v112, v115
	v_cmp_lt_i16_e64 s35, v113, v112
	v_cndmask_b32_e64 v112, v83, v84, s35
	v_cndmask_b32_e64 v84, v84, v83, s35
	v_mov_b32_e32 v83, v112
	s_or_b32 exec_lo, exec_lo, s38
	s_and_saveexec_b32 s38, s58
	s_cbranch_execnz .LBB522_1442
.LBB522_963:
	s_or_b32 exec_lo, exec_lo, s38
	s_and_saveexec_b32 s38, s59
	s_cbranch_execz .LBB522_1443
.LBB522_964:
	v_mov_b32_e32 v112, 0x6667
	v_mul_i32_i24_sdwa v113, sext(v71), v112 dst_sel:DWORD dst_unused:UNUSED_PAD src0_sel:WORD_0 src1_sel:DWORD
	v_mul_i32_i24_sdwa v112, sext(v80), v112 dst_sel:DWORD dst_unused:UNUSED_PAD src0_sel:WORD_0 src1_sel:DWORD
	v_lshrrev_b32_e32 v114, 31, v113
	v_ashrrev_i32_e32 v113, 18, v113
	v_lshrrev_b32_e32 v115, 31, v112
	v_ashrrev_i32_e32 v112, 18, v112
	v_add_nc_u16 v113, v113, v114
	v_add_nc_u16 v112, v112, v115
	v_cmp_lt_i16_e64 s35, v113, v112
	v_cndmask_b32_e64 v112, v71, v80, s35
	v_cndmask_b32_e64 v80, v80, v71, s35
	v_mov_b32_e32 v71, v112
	s_or_b32 exec_lo, exec_lo, s38
	s_and_saveexec_b32 s38, s60
	s_cbranch_execnz .LBB522_1444
.LBB522_965:
	s_or_b32 exec_lo, exec_lo, s38
	s_and_saveexec_b32 s38, s61
	s_cbranch_execz .LBB522_1445
.LBB522_966:
	v_mov_b32_e32 v112, 0x6667
	v_mul_i32_i24_sdwa v113, sext(v67), v112 dst_sel:DWORD dst_unused:UNUSED_PAD src0_sel:WORD_0 src1_sel:DWORD
	v_mul_i32_i24_sdwa v112, sext(v68), v112 dst_sel:DWORD dst_unused:UNUSED_PAD src0_sel:WORD_0 src1_sel:DWORD
	v_lshrrev_b32_e32 v114, 31, v113
	v_ashrrev_i32_e32 v113, 18, v113
	v_lshrrev_b32_e32 v115, 31, v112
	v_ashrrev_i32_e32 v112, 18, v112
	v_add_nc_u16 v113, v113, v114
	v_add_nc_u16 v112, v112, v115
	v_cmp_lt_i16_e64 s35, v113, v112
	v_cndmask_b32_e64 v112, v67, v68, s35
	v_cndmask_b32_e64 v68, v68, v67, s35
	v_mov_b32_e32 v67, v112
	s_or_b32 exec_lo, exec_lo, s38
	s_and_saveexec_b32 s38, s62
	s_cbranch_execnz .LBB522_1446
.LBB522_967:
	s_or_b32 exec_lo, exec_lo, s38
	s_and_saveexec_b32 s38, s63
	s_cbranch_execz .LBB522_1447
.LBB522_968:
	v_mov_b32_e32 v112, 0x6667
	v_mul_i32_i24_sdwa v113, sext(v55), v112 dst_sel:DWORD dst_unused:UNUSED_PAD src0_sel:WORD_0 src1_sel:DWORD
	v_mul_i32_i24_sdwa v112, sext(v64), v112 dst_sel:DWORD dst_unused:UNUSED_PAD src0_sel:WORD_0 src1_sel:DWORD
	v_lshrrev_b32_e32 v114, 31, v113
	v_ashrrev_i32_e32 v113, 18, v113
	v_lshrrev_b32_e32 v115, 31, v112
	v_ashrrev_i32_e32 v112, 18, v112
	v_add_nc_u16 v113, v113, v114
	v_add_nc_u16 v112, v112, v115
	v_cmp_lt_i16_e64 s35, v113, v112
	v_cndmask_b32_e64 v112, v55, v64, s35
	v_cndmask_b32_e64 v64, v64, v55, s35
	v_mov_b32_e32 v55, v112
	s_or_b32 exec_lo, exec_lo, s38
	s_and_saveexec_b32 s38, s72
	s_cbranch_execnz .LBB522_1448
.LBB522_969:
	s_or_b32 exec_lo, exec_lo, s38
	s_and_saveexec_b32 s38, s73
	s_cbranch_execz .LBB522_1449
.LBB522_970:
	v_mov_b32_e32 v112, 0x6667
	v_mul_i32_i24_sdwa v113, sext(v54), v112 dst_sel:DWORD dst_unused:UNUSED_PAD src0_sel:WORD_0 src1_sel:DWORD
	v_mul_i32_i24_sdwa v112, sext(v51), v112 dst_sel:DWORD dst_unused:UNUSED_PAD src0_sel:WORD_0 src1_sel:DWORD
	v_lshrrev_b32_e32 v114, 31, v113
	v_ashrrev_i32_e32 v113, 18, v113
	v_lshrrev_b32_e32 v115, 31, v112
	v_ashrrev_i32_e32 v112, 18, v112
	v_add_nc_u16 v113, v113, v114
	v_add_nc_u16 v112, v112, v115
	v_cmp_lt_i16_e64 s35, v113, v112
	v_cndmask_b32_e64 v112, v54, v51, s35
	v_cndmask_b32_e64 v51, v51, v54, s35
	v_mov_b32_e32 v54, v112
	s_or_b32 exec_lo, exec_lo, s38
	s_and_saveexec_b32 s38, s74
	s_cbranch_execnz .LBB522_1450
.LBB522_971:
	s_or_b32 exec_lo, exec_lo, s38
	s_and_saveexec_b32 s38, s75
	s_cbranch_execz .LBB522_1451
.LBB522_972:
	v_mov_b32_e32 v112, 0x6667
	v_mul_i32_i24_sdwa v113, sext(v39), v112 dst_sel:DWORD dst_unused:UNUSED_PAD src0_sel:WORD_0 src1_sel:DWORD
	v_mul_i32_i24_sdwa v112, sext(v48), v112 dst_sel:DWORD dst_unused:UNUSED_PAD src0_sel:WORD_0 src1_sel:DWORD
	v_lshrrev_b32_e32 v114, 31, v113
	v_ashrrev_i32_e32 v113, 18, v113
	v_lshrrev_b32_e32 v115, 31, v112
	v_ashrrev_i32_e32 v112, 18, v112
	v_add_nc_u16 v113, v113, v114
	v_add_nc_u16 v112, v112, v115
	v_cmp_lt_i16_e64 s35, v113, v112
	v_cndmask_b32_e64 v112, v48, v39, s35
	v_cndmask_b32_e64 v39, v39, v48, s35
	v_mov_b32_e32 v48, v112
	s_or_b32 exec_lo, exec_lo, s38
	s_and_saveexec_b32 s38, s76
	s_cbranch_execnz .LBB522_1452
.LBB522_973:
	s_or_b32 exec_lo, exec_lo, s38
	s_and_saveexec_b32 s38, s77
	s_cbranch_execz .LBB522_1453
.LBB522_974:
	v_mov_b32_e32 v112, 0x6667
	v_mul_i32_i24_sdwa v113, sext(v99), v112 dst_sel:DWORD dst_unused:UNUSED_PAD src0_sel:WORD_0 src1_sel:DWORD
	v_mul_i32_i24_sdwa v112, sext(v100), v112 dst_sel:DWORD dst_unused:UNUSED_PAD src0_sel:WORD_0 src1_sel:DWORD
	v_lshrrev_b32_e32 v114, 31, v113
	v_ashrrev_i32_e32 v113, 18, v113
	v_lshrrev_b32_e32 v115, 31, v112
	v_ashrrev_i32_e32 v112, 18, v112
	v_add_nc_u16 v113, v113, v114
	v_add_nc_u16 v112, v112, v115
	v_cmp_lt_i16_e64 s35, v113, v112
	v_cndmask_b32_e64 v112, v99, v100, s35
	v_cndmask_b32_e64 v100, v100, v99, s35
	v_mov_b32_e32 v99, v112
	s_or_b32 exec_lo, exec_lo, s38
	s_and_saveexec_b32 s38, s78
	s_cbranch_execnz .LBB522_1454
.LBB522_975:
	s_or_b32 exec_lo, exec_lo, s38
	s_and_saveexec_b32 s38, s79
	s_cbranch_execz .LBB522_1455
.LBB522_976:
	v_mov_b32_e32 v112, 0x6667
	v_mul_i32_i24_sdwa v113, sext(v86), v112 dst_sel:DWORD dst_unused:UNUSED_PAD src0_sel:WORD_0 src1_sel:DWORD
	v_mul_i32_i24_sdwa v112, sext(v87), v112 dst_sel:DWORD dst_unused:UNUSED_PAD src0_sel:WORD_0 src1_sel:DWORD
	v_lshrrev_b32_e32 v114, 31, v113
	v_ashrrev_i32_e32 v113, 18, v113
	v_lshrrev_b32_e32 v115, 31, v112
	v_ashrrev_i32_e32 v112, 18, v112
	v_add_nc_u16 v113, v113, v114
	v_add_nc_u16 v112, v112, v115
	v_cmp_lt_i16_e64 s35, v113, v112
	v_cndmask_b32_e64 v112, v86, v87, s35
	v_cndmask_b32_e64 v87, v87, v86, s35
	v_mov_b32_e32 v86, v112
	s_or_b32 exec_lo, exec_lo, s38
	s_and_saveexec_b32 s38, s88
	s_cbranch_execnz .LBB522_1456
.LBB522_977:
	s_or_b32 exec_lo, exec_lo, s38
	s_and_saveexec_b32 s38, s89
	s_cbranch_execz .LBB522_1457
.LBB522_978:
	v_mov_b32_e32 v112, 0x6667
	v_mul_i32_i24_sdwa v113, sext(v82), v112 dst_sel:DWORD dst_unused:UNUSED_PAD src0_sel:WORD_0 src1_sel:DWORD
	v_mul_i32_i24_sdwa v112, sext(v83), v112 dst_sel:DWORD dst_unused:UNUSED_PAD src0_sel:WORD_0 src1_sel:DWORD
	v_lshrrev_b32_e32 v114, 31, v113
	v_ashrrev_i32_e32 v113, 18, v113
	v_lshrrev_b32_e32 v115, 31, v112
	v_ashrrev_i32_e32 v112, 18, v112
	v_add_nc_u16 v113, v113, v114
	v_add_nc_u16 v112, v112, v115
	v_cmp_lt_i16_e64 s35, v113, v112
	v_cndmask_b32_e64 v112, v82, v83, s35
	v_cndmask_b32_e64 v83, v83, v82, s35
	v_mov_b32_e32 v82, v112
	s_or_b32 exec_lo, exec_lo, s38
	s_and_saveexec_b32 s38, s90
	s_cbranch_execnz .LBB522_1458
.LBB522_979:
	s_or_b32 exec_lo, exec_lo, s38
	s_and_saveexec_b32 s38, s91
	s_cbranch_execz .LBB522_1459
.LBB522_980:
	v_mov_b32_e32 v112, 0x6667
	v_mul_i32_i24_sdwa v113, sext(v70), v112 dst_sel:DWORD dst_unused:UNUSED_PAD src0_sel:WORD_0 src1_sel:DWORD
	v_mul_i32_i24_sdwa v112, sext(v71), v112 dst_sel:DWORD dst_unused:UNUSED_PAD src0_sel:WORD_0 src1_sel:DWORD
	v_lshrrev_b32_e32 v114, 31, v113
	v_ashrrev_i32_e32 v113, 18, v113
	v_lshrrev_b32_e32 v115, 31, v112
	v_ashrrev_i32_e32 v112, 18, v112
	v_add_nc_u16 v113, v113, v114
	v_add_nc_u16 v112, v112, v115
	v_cmp_lt_i16_e64 s35, v113, v112
	v_cndmask_b32_e64 v112, v70, v71, s35
	v_cndmask_b32_e64 v71, v71, v70, s35
	v_mov_b32_e32 v70, v112
	s_or_b32 exec_lo, exec_lo, s38
	s_and_saveexec_b32 s38, s92
	s_cbranch_execnz .LBB522_1460
.LBB522_981:
	s_or_b32 exec_lo, exec_lo, s38
	s_and_saveexec_b32 s38, s93
	s_cbranch_execz .LBB522_1461
.LBB522_982:
	v_mov_b32_e32 v112, 0x6667
	v_mul_i32_i24_sdwa v113, sext(v66), v112 dst_sel:DWORD dst_unused:UNUSED_PAD src0_sel:WORD_0 src1_sel:DWORD
	v_mul_i32_i24_sdwa v112, sext(v67), v112 dst_sel:DWORD dst_unused:UNUSED_PAD src0_sel:WORD_0 src1_sel:DWORD
	v_lshrrev_b32_e32 v114, 31, v113
	v_ashrrev_i32_e32 v113, 18, v113
	v_lshrrev_b32_e32 v115, 31, v112
	v_ashrrev_i32_e32 v112, 18, v112
	v_add_nc_u16 v113, v113, v114
	v_add_nc_u16 v112, v112, v115
	v_cmp_lt_i16_e64 s35, v113, v112
	v_cndmask_b32_e64 v112, v66, v67, s35
	v_cndmask_b32_e64 v67, v67, v66, s35
	v_mov_b32_e32 v66, v112
	s_or_b32 exec_lo, exec_lo, s38
	s_and_saveexec_b32 s38, s94
	s_cbranch_execnz .LBB522_1462
.LBB522_983:
	s_or_b32 exec_lo, exec_lo, s38
	s_and_saveexec_b32 s38, s95
	s_cbranch_execz .LBB522_1463
.LBB522_984:
	v_mov_b32_e32 v112, 0x6667
	v_mul_i32_i24_sdwa v113, sext(v53), v112 dst_sel:DWORD dst_unused:UNUSED_PAD src0_sel:WORD_0 src1_sel:DWORD
	v_mul_i32_i24_sdwa v112, sext(v55), v112 dst_sel:DWORD dst_unused:UNUSED_PAD src0_sel:WORD_0 src1_sel:DWORD
	v_lshrrev_b32_e32 v114, 31, v113
	v_ashrrev_i32_e32 v113, 18, v113
	v_lshrrev_b32_e32 v115, 31, v112
	v_ashrrev_i32_e32 v112, 18, v112
	v_add_nc_u16 v113, v113, v114
	v_add_nc_u16 v112, v112, v115
	v_cmp_lt_i16_e64 s35, v113, v112
	v_cndmask_b32_e64 v112, v53, v55, s35
	v_cndmask_b32_e64 v55, v55, v53, s35
	v_mov_b32_e32 v53, v112
	s_or_b32 exec_lo, exec_lo, s38
	s_and_saveexec_b32 s38, vcc_hi
	s_cbranch_execnz .LBB522_1464
.LBB522_985:
	s_or_b32 exec_lo, exec_lo, s38
	s_and_saveexec_b32 s38, s30
	s_cbranch_execz .LBB522_1465
.LBB522_986:
	v_mov_b32_e32 v112, 0x6667
	v_mul_i32_i24_sdwa v113, sext(v50), v112 dst_sel:DWORD dst_unused:UNUSED_PAD src0_sel:WORD_0 src1_sel:DWORD
	v_mul_i32_i24_sdwa v112, sext(v54), v112 dst_sel:DWORD dst_unused:UNUSED_PAD src0_sel:WORD_0 src1_sel:DWORD
	v_lshrrev_b32_e32 v114, 31, v113
	v_ashrrev_i32_e32 v113, 18, v113
	v_lshrrev_b32_e32 v115, 31, v112
	v_ashrrev_i32_e32 v112, 18, v112
	v_add_nc_u16 v113, v113, v114
	v_add_nc_u16 v112, v112, v115
	v_cmp_lt_i16_e64 s35, v113, v112
	v_cndmask_b32_e64 v112, v54, v50, s35
	v_cndmask_b32_e64 v50, v50, v54, s35
	v_mov_b32_e32 v54, v112
	s_or_b32 exec_lo, exec_lo, s38
	s_and_saveexec_b32 s38, s31
	s_cbranch_execnz .LBB522_1466
.LBB522_987:
	s_or_b32 exec_lo, exec_lo, s38
	s_and_saveexec_b32 s38, s34
	s_cbranch_execz .LBB522_1467
.LBB522_988:
	v_mov_b32_e32 v112, 0x6667
	v_mul_i32_i24_sdwa v113, sext(v101), v112 dst_sel:DWORD dst_unused:UNUSED_PAD src0_sel:WORD_0 src1_sel:DWORD
	v_mul_i32_i24_sdwa v112, sext(v39), v112 dst_sel:DWORD dst_unused:UNUSED_PAD src0_sel:WORD_0 src1_sel:DWORD
	v_lshrrev_b32_e32 v114, 31, v113
	v_ashrrev_i32_e32 v113, 18, v113
	v_lshrrev_b32_e32 v115, 31, v112
	v_ashrrev_i32_e32 v112, 18, v112
	v_add_nc_u16 v113, v113, v114
	v_add_nc_u16 v112, v112, v115
	v_cmp_lt_i16_e64 s35, v113, v112
	v_cndmask_b32_e64 v112, v39, v101, s35
	v_cndmask_b32_e64 v101, v101, v39, s35
	v_mov_b32_e32 v39, v112
	s_or_b32 exec_lo, exec_lo, s38
	s_and_saveexec_b32 s38, s8
	s_cbranch_execnz .LBB522_1468
.LBB522_989:
	s_or_b32 exec_lo, exec_lo, s38
	s_and_saveexec_b32 s38, s9
	s_cbranch_execz .LBB522_1469
.LBB522_990:
	v_mov_b32_e32 v112, 0x6667
	v_mul_i32_i24_sdwa v113, sext(v98), v112 dst_sel:DWORD dst_unused:UNUSED_PAD src0_sel:WORD_0 src1_sel:DWORD
	v_mul_i32_i24_sdwa v112, sext(v99), v112 dst_sel:DWORD dst_unused:UNUSED_PAD src0_sel:WORD_0 src1_sel:DWORD
	v_lshrrev_b32_e32 v114, 31, v113
	v_ashrrev_i32_e32 v113, 18, v113
	v_lshrrev_b32_e32 v115, 31, v112
	v_ashrrev_i32_e32 v112, 18, v112
	v_add_nc_u16 v113, v113, v114
	v_add_nc_u16 v112, v112, v115
	v_cmp_lt_i16_e64 s35, v113, v112
	v_cndmask_b32_e64 v112, v98, v99, s35
	v_cndmask_b32_e64 v99, v99, v98, s35
	v_mov_b32_e32 v98, v112
	s_or_b32 exec_lo, exec_lo, s38
	s_and_saveexec_b32 s38, s12
	s_cbranch_execnz .LBB522_1470
.LBB522_991:
	s_or_b32 exec_lo, exec_lo, s38
	s_and_saveexec_b32 s38, s13
	s_cbranch_execz .LBB522_1471
.LBB522_992:
	v_mov_b32_e32 v112, 0x6667
	v_mul_i32_i24_sdwa v113, sext(v85), v112 dst_sel:DWORD dst_unused:UNUSED_PAD src0_sel:WORD_0 src1_sel:DWORD
	v_mul_i32_i24_sdwa v112, sext(v86), v112 dst_sel:DWORD dst_unused:UNUSED_PAD src0_sel:WORD_0 src1_sel:DWORD
	v_lshrrev_b32_e32 v114, 31, v113
	v_ashrrev_i32_e32 v113, 18, v113
	v_lshrrev_b32_e32 v115, 31, v112
	v_ashrrev_i32_e32 v112, 18, v112
	v_add_nc_u16 v113, v113, v114
	v_add_nc_u16 v112, v112, v115
	v_cmp_lt_i16_e64 s35, v113, v112
	v_cndmask_b32_e64 v112, v85, v86, s35
	v_cndmask_b32_e64 v86, v86, v85, s35
	v_mov_b32_e32 v85, v112
	s_or_b32 exec_lo, exec_lo, s38
	s_and_saveexec_b32 s38, s57
	s_cbranch_execnz .LBB522_1472
.LBB522_993:
	s_or_b32 exec_lo, exec_lo, s38
	s_and_saveexec_b32 s38, s58
	s_cbranch_execz .LBB522_1473
.LBB522_994:
	v_mov_b32_e32 v112, 0x6667
	v_mul_i32_i24_sdwa v113, sext(v81), v112 dst_sel:DWORD dst_unused:UNUSED_PAD src0_sel:WORD_0 src1_sel:DWORD
	v_mul_i32_i24_sdwa v112, sext(v82), v112 dst_sel:DWORD dst_unused:UNUSED_PAD src0_sel:WORD_0 src1_sel:DWORD
	v_lshrrev_b32_e32 v114, 31, v113
	v_ashrrev_i32_e32 v113, 18, v113
	v_lshrrev_b32_e32 v115, 31, v112
	v_ashrrev_i32_e32 v112, 18, v112
	v_add_nc_u16 v113, v113, v114
	v_add_nc_u16 v112, v112, v115
	v_cmp_lt_i16_e64 s35, v113, v112
	v_cndmask_b32_e64 v112, v81, v82, s35
	v_cndmask_b32_e64 v82, v82, v81, s35
	v_mov_b32_e32 v81, v112
	s_or_b32 exec_lo, exec_lo, s38
	s_and_saveexec_b32 s38, s59
	s_cbranch_execnz .LBB522_1474
.LBB522_995:
	s_or_b32 exec_lo, exec_lo, s38
	s_and_saveexec_b32 s38, s60
	s_cbranch_execz .LBB522_1475
.LBB522_996:
	v_mov_b32_e32 v112, 0x6667
	v_mul_i32_i24_sdwa v113, sext(v69), v112 dst_sel:DWORD dst_unused:UNUSED_PAD src0_sel:WORD_0 src1_sel:DWORD
	v_mul_i32_i24_sdwa v112, sext(v70), v112 dst_sel:DWORD dst_unused:UNUSED_PAD src0_sel:WORD_0 src1_sel:DWORD
	v_lshrrev_b32_e32 v114, 31, v113
	v_ashrrev_i32_e32 v113, 18, v113
	v_lshrrev_b32_e32 v115, 31, v112
	v_ashrrev_i32_e32 v112, 18, v112
	v_add_nc_u16 v113, v113, v114
	v_add_nc_u16 v112, v112, v115
	v_cmp_lt_i16_e64 s35, v113, v112
	v_cndmask_b32_e64 v112, v69, v70, s35
	v_cndmask_b32_e64 v70, v70, v69, s35
	v_mov_b32_e32 v69, v112
	s_or_b32 exec_lo, exec_lo, s38
	s_and_saveexec_b32 s38, s61
	s_cbranch_execnz .LBB522_1476
.LBB522_997:
	s_or_b32 exec_lo, exec_lo, s38
	s_and_saveexec_b32 s38, s62
	s_cbranch_execz .LBB522_1477
.LBB522_998:
	v_mov_b32_e32 v112, 0x6667
	v_mul_i32_i24_sdwa v113, sext(v65), v112 dst_sel:DWORD dst_unused:UNUSED_PAD src0_sel:WORD_0 src1_sel:DWORD
	v_mul_i32_i24_sdwa v112, sext(v66), v112 dst_sel:DWORD dst_unused:UNUSED_PAD src0_sel:WORD_0 src1_sel:DWORD
	v_lshrrev_b32_e32 v114, 31, v113
	v_ashrrev_i32_e32 v113, 18, v113
	v_lshrrev_b32_e32 v115, 31, v112
	v_ashrrev_i32_e32 v112, 18, v112
	v_add_nc_u16 v113, v113, v114
	v_add_nc_u16 v112, v112, v115
	v_cmp_lt_i16_e64 s35, v113, v112
	v_cndmask_b32_e64 v112, v65, v66, s35
	v_cndmask_b32_e64 v66, v66, v65, s35
	v_mov_b32_e32 v65, v112
	s_or_b32 exec_lo, exec_lo, s38
	s_and_saveexec_b32 s38, s63
	s_cbranch_execnz .LBB522_1478
.LBB522_999:
	s_or_b32 exec_lo, exec_lo, s38
	s_and_saveexec_b32 s38, s72
	s_cbranch_execz .LBB522_1479
.LBB522_1000:
	v_mov_b32_e32 v112, 0x6667
	v_mul_i32_i24_sdwa v113, sext(v52), v112 dst_sel:DWORD dst_unused:UNUSED_PAD src0_sel:WORD_0 src1_sel:DWORD
	v_mul_i32_i24_sdwa v112, sext(v53), v112 dst_sel:DWORD dst_unused:UNUSED_PAD src0_sel:WORD_0 src1_sel:DWORD
	v_lshrrev_b32_e32 v114, 31, v113
	v_ashrrev_i32_e32 v113, 18, v113
	v_lshrrev_b32_e32 v115, 31, v112
	v_ashrrev_i32_e32 v112, 18, v112
	v_add_nc_u16 v113, v113, v114
	v_add_nc_u16 v112, v112, v115
	v_cmp_lt_i16_e64 s35, v113, v112
	v_cndmask_b32_e64 v112, v52, v53, s35
	v_cndmask_b32_e64 v53, v53, v52, s35
	v_mov_b32_e32 v52, v112
	s_or_b32 exec_lo, exec_lo, s38
	s_and_saveexec_b32 s38, s73
	s_cbranch_execnz .LBB522_1480
.LBB522_1001:
	s_or_b32 exec_lo, exec_lo, s38
	s_and_saveexec_b32 s38, s74
	s_cbranch_execz .LBB522_1481
.LBB522_1002:
	v_mov_b32_e32 v112, 0x6667
	v_mul_i32_i24_sdwa v113, sext(v49), v112 dst_sel:DWORD dst_unused:UNUSED_PAD src0_sel:WORD_0 src1_sel:DWORD
	v_mul_i32_i24_sdwa v112, sext(v50), v112 dst_sel:DWORD dst_unused:UNUSED_PAD src0_sel:WORD_0 src1_sel:DWORD
	v_lshrrev_b32_e32 v114, 31, v113
	v_ashrrev_i32_e32 v113, 18, v113
	v_lshrrev_b32_e32 v115, 31, v112
	v_ashrrev_i32_e32 v112, 18, v112
	v_add_nc_u16 v113, v113, v114
	v_add_nc_u16 v112, v112, v115
	v_cmp_lt_i16_e64 s35, v113, v112
	v_cndmask_b32_e64 v112, v50, v49, s35
	v_cndmask_b32_e64 v49, v49, v50, s35
	v_mov_b32_e32 v50, v112
	s_or_b32 exec_lo, exec_lo, s38
	s_and_saveexec_b32 s38, s75
	s_cbranch_execnz .LBB522_1482
.LBB522_1003:
	s_or_b32 exec_lo, exec_lo, s38
	s_and_saveexec_b32 s38, s76
	s_cbranch_execz .LBB522_1483
.LBB522_1004:
	v_mov_b32_e32 v112, 0x6667
	v_mul_i32_i24_sdwa v113, sext(v38), v112 dst_sel:DWORD dst_unused:UNUSED_PAD src0_sel:WORD_0 src1_sel:DWORD
	v_mul_i32_i24_sdwa v112, sext(v101), v112 dst_sel:DWORD dst_unused:UNUSED_PAD src0_sel:WORD_0 src1_sel:DWORD
	v_lshrrev_b32_e32 v114, 31, v113
	v_ashrrev_i32_e32 v113, 18, v113
	v_lshrrev_b32_e32 v115, 31, v112
	v_ashrrev_i32_e32 v112, 18, v112
	v_add_nc_u16 v113, v113, v114
	v_add_nc_u16 v112, v112, v115
	v_cmp_lt_i16_e64 s35, v113, v112
	v_cndmask_b32_e64 v112, v101, v38, s35
	v_cndmask_b32_e64 v38, v38, v101, s35
	v_mov_b32_e32 v101, v112
	s_or_b32 exec_lo, exec_lo, s38
	s_and_saveexec_b32 s38, s77
	s_cbranch_execnz .LBB522_1484
.LBB522_1005:
	s_or_b32 exec_lo, exec_lo, s38
	s_and_saveexec_b32 s38, s78
	s_cbranch_execz .LBB522_1485
.LBB522_1006:
	v_mov_b32_e32 v112, 0x6667
	v_mul_i32_i24_sdwa v113, sext(v96), v112 dst_sel:DWORD dst_unused:UNUSED_PAD src0_sel:WORD_0 src1_sel:DWORD
	v_mul_i32_i24_sdwa v112, sext(v98), v112 dst_sel:DWORD dst_unused:UNUSED_PAD src0_sel:WORD_0 src1_sel:DWORD
	v_lshrrev_b32_e32 v114, 31, v113
	v_ashrrev_i32_e32 v113, 18, v113
	v_lshrrev_b32_e32 v115, 31, v112
	v_ashrrev_i32_e32 v112, 18, v112
	v_add_nc_u16 v113, v113, v114
	v_add_nc_u16 v112, v112, v115
	v_cmp_lt_i16_e64 s35, v113, v112
	v_cndmask_b32_e64 v112, v96, v98, s35
	v_cndmask_b32_e64 v98, v98, v96, s35
	v_mov_b32_e32 v96, v112
	s_or_b32 exec_lo, exec_lo, s38
	s_and_saveexec_b32 s38, s79
	s_cbranch_execnz .LBB522_1486
.LBB522_1007:
	s_or_b32 exec_lo, exec_lo, s38
	s_and_saveexec_b32 s38, s88
	s_cbranch_execz .LBB522_1487
.LBB522_1008:
	v_mov_b32_e32 v112, 0x6667
	v_mul_i32_i24_sdwa v113, sext(v84), v112 dst_sel:DWORD dst_unused:UNUSED_PAD src0_sel:WORD_0 src1_sel:DWORD
	v_mul_i32_i24_sdwa v112, sext(v85), v112 dst_sel:DWORD dst_unused:UNUSED_PAD src0_sel:WORD_0 src1_sel:DWORD
	v_lshrrev_b32_e32 v114, 31, v113
	v_ashrrev_i32_e32 v113, 18, v113
	v_lshrrev_b32_e32 v115, 31, v112
	v_ashrrev_i32_e32 v112, 18, v112
	v_add_nc_u16 v113, v113, v114
	v_add_nc_u16 v112, v112, v115
	v_cmp_lt_i16_e64 s35, v113, v112
	v_cndmask_b32_e64 v112, v84, v85, s35
	v_cndmask_b32_e64 v85, v85, v84, s35
	v_mov_b32_e32 v84, v112
	s_or_b32 exec_lo, exec_lo, s38
	s_and_saveexec_b32 s38, s89
	s_cbranch_execnz .LBB522_1488
.LBB522_1009:
	s_or_b32 exec_lo, exec_lo, s38
	s_and_saveexec_b32 s38, s90
	s_cbranch_execz .LBB522_1489
.LBB522_1010:
	v_mov_b32_e32 v112, 0x6667
	v_mul_i32_i24_sdwa v113, sext(v80), v112 dst_sel:DWORD dst_unused:UNUSED_PAD src0_sel:WORD_0 src1_sel:DWORD
	v_mul_i32_i24_sdwa v112, sext(v81), v112 dst_sel:DWORD dst_unused:UNUSED_PAD src0_sel:WORD_0 src1_sel:DWORD
	v_lshrrev_b32_e32 v114, 31, v113
	v_ashrrev_i32_e32 v113, 18, v113
	v_lshrrev_b32_e32 v115, 31, v112
	v_ashrrev_i32_e32 v112, 18, v112
	v_add_nc_u16 v113, v113, v114
	v_add_nc_u16 v112, v112, v115
	v_cmp_lt_i16_e64 s35, v113, v112
	v_cndmask_b32_e64 v112, v80, v81, s35
	v_cndmask_b32_e64 v81, v81, v80, s35
	v_mov_b32_e32 v80, v112
	s_or_b32 exec_lo, exec_lo, s38
	s_and_saveexec_b32 s38, s91
	s_cbranch_execnz .LBB522_1490
.LBB522_1011:
	s_or_b32 exec_lo, exec_lo, s38
	s_and_saveexec_b32 s38, s92
	s_cbranch_execz .LBB522_1491
.LBB522_1012:
	v_mov_b32_e32 v112, 0x6667
	v_mul_i32_i24_sdwa v113, sext(v68), v112 dst_sel:DWORD dst_unused:UNUSED_PAD src0_sel:WORD_0 src1_sel:DWORD
	v_mul_i32_i24_sdwa v112, sext(v69), v112 dst_sel:DWORD dst_unused:UNUSED_PAD src0_sel:WORD_0 src1_sel:DWORD
	v_lshrrev_b32_e32 v114, 31, v113
	v_ashrrev_i32_e32 v113, 18, v113
	v_lshrrev_b32_e32 v115, 31, v112
	v_ashrrev_i32_e32 v112, 18, v112
	v_add_nc_u16 v113, v113, v114
	v_add_nc_u16 v112, v112, v115
	v_cmp_lt_i16_e64 s35, v113, v112
	v_cndmask_b32_e64 v112, v68, v69, s35
	v_cndmask_b32_e64 v69, v69, v68, s35
	v_mov_b32_e32 v68, v112
	s_or_b32 exec_lo, exec_lo, s38
	s_and_saveexec_b32 s38, s93
	s_cbranch_execnz .LBB522_1492
.LBB522_1013:
	s_or_b32 exec_lo, exec_lo, s38
	s_and_saveexec_b32 s38, s94
	s_cbranch_execz .LBB522_1493
.LBB522_1014:
	v_mov_b32_e32 v112, 0x6667
	v_mul_i32_i24_sdwa v113, sext(v64), v112 dst_sel:DWORD dst_unused:UNUSED_PAD src0_sel:WORD_0 src1_sel:DWORD
	v_mul_i32_i24_sdwa v112, sext(v65), v112 dst_sel:DWORD dst_unused:UNUSED_PAD src0_sel:WORD_0 src1_sel:DWORD
	v_lshrrev_b32_e32 v114, 31, v113
	v_ashrrev_i32_e32 v113, 18, v113
	v_lshrrev_b32_e32 v115, 31, v112
	v_ashrrev_i32_e32 v112, 18, v112
	v_add_nc_u16 v113, v113, v114
	v_add_nc_u16 v112, v112, v115
	v_cmp_lt_i16_e64 s35, v113, v112
	v_cndmask_b32_e64 v112, v64, v65, s35
	v_cndmask_b32_e64 v65, v65, v64, s35
	v_mov_b32_e32 v64, v112
	s_or_b32 exec_lo, exec_lo, s38
	s_and_saveexec_b32 s38, s95
	s_cbranch_execnz .LBB522_1494
.LBB522_1015:
	s_or_b32 exec_lo, exec_lo, s38
	s_and_saveexec_b32 s38, vcc_hi
	s_cbranch_execz .LBB522_1495
.LBB522_1016:
	v_mov_b32_e32 v112, 0x6667
	v_mul_i32_i24_sdwa v113, sext(v51), v112 dst_sel:DWORD dst_unused:UNUSED_PAD src0_sel:WORD_0 src1_sel:DWORD
	v_mul_i32_i24_sdwa v112, sext(v52), v112 dst_sel:DWORD dst_unused:UNUSED_PAD src0_sel:WORD_0 src1_sel:DWORD
	v_lshrrev_b32_e32 v114, 31, v113
	v_ashrrev_i32_e32 v113, 18, v113
	v_lshrrev_b32_e32 v115, 31, v112
	v_ashrrev_i32_e32 v112, 18, v112
	v_add_nc_u16 v113, v113, v114
	v_add_nc_u16 v112, v112, v115
	v_cmp_lt_i16_e64 s35, v113, v112
	v_cndmask_b32_e64 v112, v51, v52, s35
	v_cndmask_b32_e64 v52, v52, v51, s35
	v_mov_b32_e32 v51, v112
	s_or_b32 exec_lo, exec_lo, s38
	s_and_saveexec_b32 s38, s30
	s_cbranch_execnz .LBB522_1496
.LBB522_1017:
	s_or_b32 exec_lo, exec_lo, s38
	s_and_saveexec_b32 s38, s31
	s_cbranch_execz .LBB522_1497
.LBB522_1018:
	v_mov_b32_e32 v112, 0x6667
	v_mul_i32_i24_sdwa v113, sext(v48), v112 dst_sel:DWORD dst_unused:UNUSED_PAD src0_sel:WORD_0 src1_sel:DWORD
	v_mul_i32_i24_sdwa v112, sext(v49), v112 dst_sel:DWORD dst_unused:UNUSED_PAD src0_sel:WORD_0 src1_sel:DWORD
	v_lshrrev_b32_e32 v114, 31, v113
	v_ashrrev_i32_e32 v113, 18, v113
	v_lshrrev_b32_e32 v115, 31, v112
	v_ashrrev_i32_e32 v112, 18, v112
	v_add_nc_u16 v113, v113, v114
	v_add_nc_u16 v112, v112, v115
	v_cmp_lt_i16_e64 s35, v113, v112
	v_cndmask_b32_e64 v112, v49, v48, s35
	v_cndmask_b32_e64 v48, v48, v49, s35
	v_mov_b32_e32 v49, v112
	s_or_b32 exec_lo, exec_lo, s38
	s_and_saveexec_b32 s38, s34
	s_cbranch_execnz .LBB522_1498
.LBB522_1019:
	s_or_b32 exec_lo, exec_lo, s38
	s_and_saveexec_b32 s38, s8
	s_cbranch_execz .LBB522_1499
.LBB522_1020:
	v_mov_b32_e32 v112, 0x6667
	v_mul_i32_i24_sdwa v113, sext(v100), v112 dst_sel:DWORD dst_unused:UNUSED_PAD src0_sel:WORD_0 src1_sel:DWORD
	v_mul_i32_i24_sdwa v112, sext(v97), v112 dst_sel:DWORD dst_unused:UNUSED_PAD src0_sel:WORD_0 src1_sel:DWORD
	v_lshrrev_b32_e32 v114, 31, v113
	v_ashrrev_i32_e32 v113, 18, v113
	v_lshrrev_b32_e32 v115, 31, v112
	v_ashrrev_i32_e32 v112, 18, v112
	v_add_nc_u16 v113, v113, v114
	v_add_nc_u16 v112, v112, v115
	v_cmp_lt_i16_e64 s35, v113, v112
	v_cndmask_b32_e64 v112, v100, v97, s35
	v_cndmask_b32_e64 v97, v97, v100, s35
	v_mov_b32_e32 v100, v112
	s_or_b32 exec_lo, exec_lo, s38
	s_and_saveexec_b32 s38, s9
	s_cbranch_execnz .LBB522_1500
.LBB522_1021:
	s_or_b32 exec_lo, exec_lo, s38
	s_and_saveexec_b32 s38, s12
	s_cbranch_execz .LBB522_1501
.LBB522_1022:
	v_mov_b32_e32 v112, 0x6667
	v_mul_i32_i24_sdwa v113, sext(v87), v112 dst_sel:DWORD dst_unused:UNUSED_PAD src0_sel:WORD_0 src1_sel:DWORD
	v_mul_i32_i24_sdwa v112, sext(v96), v112 dst_sel:DWORD dst_unused:UNUSED_PAD src0_sel:WORD_0 src1_sel:DWORD
	v_lshrrev_b32_e32 v114, 31, v113
	v_ashrrev_i32_e32 v113, 18, v113
	v_lshrrev_b32_e32 v115, 31, v112
	v_ashrrev_i32_e32 v112, 18, v112
	v_add_nc_u16 v113, v113, v114
	v_add_nc_u16 v112, v112, v115
	v_cmp_lt_i16_e64 s35, v113, v112
	v_cndmask_b32_e64 v112, v87, v96, s35
	v_cndmask_b32_e64 v96, v96, v87, s35
	v_mov_b32_e32 v87, v112
	s_or_b32 exec_lo, exec_lo, s38
	s_and_saveexec_b32 s38, s13
	s_cbranch_execnz .LBB522_1502
.LBB522_1023:
	s_or_b32 exec_lo, exec_lo, s38
	s_and_saveexec_b32 s38, s57
	s_cbranch_execz .LBB522_1503
.LBB522_1024:
	v_mov_b32_e32 v112, 0x6667
	v_mul_i32_i24_sdwa v113, sext(v83), v112 dst_sel:DWORD dst_unused:UNUSED_PAD src0_sel:WORD_0 src1_sel:DWORD
	v_mul_i32_i24_sdwa v112, sext(v84), v112 dst_sel:DWORD dst_unused:UNUSED_PAD src0_sel:WORD_0 src1_sel:DWORD
	v_lshrrev_b32_e32 v114, 31, v113
	v_ashrrev_i32_e32 v113, 18, v113
	v_lshrrev_b32_e32 v115, 31, v112
	v_ashrrev_i32_e32 v112, 18, v112
	v_add_nc_u16 v113, v113, v114
	v_add_nc_u16 v112, v112, v115
	v_cmp_lt_i16_e64 s35, v113, v112
	v_cndmask_b32_e64 v112, v83, v84, s35
	v_cndmask_b32_e64 v84, v84, v83, s35
	v_mov_b32_e32 v83, v112
	s_or_b32 exec_lo, exec_lo, s38
	s_and_saveexec_b32 s38, s58
	s_cbranch_execnz .LBB522_1504
.LBB522_1025:
	s_or_b32 exec_lo, exec_lo, s38
	s_and_saveexec_b32 s38, s59
	s_cbranch_execz .LBB522_1505
.LBB522_1026:
	v_mov_b32_e32 v112, 0x6667
	v_mul_i32_i24_sdwa v113, sext(v71), v112 dst_sel:DWORD dst_unused:UNUSED_PAD src0_sel:WORD_0 src1_sel:DWORD
	v_mul_i32_i24_sdwa v112, sext(v80), v112 dst_sel:DWORD dst_unused:UNUSED_PAD src0_sel:WORD_0 src1_sel:DWORD
	v_lshrrev_b32_e32 v114, 31, v113
	v_ashrrev_i32_e32 v113, 18, v113
	v_lshrrev_b32_e32 v115, 31, v112
	v_ashrrev_i32_e32 v112, 18, v112
	v_add_nc_u16 v113, v113, v114
	v_add_nc_u16 v112, v112, v115
	v_cmp_lt_i16_e64 s35, v113, v112
	v_cndmask_b32_e64 v112, v71, v80, s35
	v_cndmask_b32_e64 v80, v80, v71, s35
	v_mov_b32_e32 v71, v112
	s_or_b32 exec_lo, exec_lo, s38
	s_and_saveexec_b32 s38, s60
	s_cbranch_execnz .LBB522_1506
.LBB522_1027:
	s_or_b32 exec_lo, exec_lo, s38
	s_and_saveexec_b32 s38, s61
	s_cbranch_execz .LBB522_1507
.LBB522_1028:
	v_mov_b32_e32 v112, 0x6667
	v_mul_i32_i24_sdwa v113, sext(v67), v112 dst_sel:DWORD dst_unused:UNUSED_PAD src0_sel:WORD_0 src1_sel:DWORD
	v_mul_i32_i24_sdwa v112, sext(v68), v112 dst_sel:DWORD dst_unused:UNUSED_PAD src0_sel:WORD_0 src1_sel:DWORD
	v_lshrrev_b32_e32 v114, 31, v113
	v_ashrrev_i32_e32 v113, 18, v113
	v_lshrrev_b32_e32 v115, 31, v112
	v_ashrrev_i32_e32 v112, 18, v112
	v_add_nc_u16 v113, v113, v114
	v_add_nc_u16 v112, v112, v115
	v_cmp_lt_i16_e64 s35, v113, v112
	v_cndmask_b32_e64 v112, v67, v68, s35
	v_cndmask_b32_e64 v68, v68, v67, s35
	v_mov_b32_e32 v67, v112
	s_or_b32 exec_lo, exec_lo, s38
	s_and_saveexec_b32 s38, s62
	s_cbranch_execnz .LBB522_1508
.LBB522_1029:
	s_or_b32 exec_lo, exec_lo, s38
	s_and_saveexec_b32 s38, s63
	s_cbranch_execz .LBB522_1509
.LBB522_1030:
	v_mov_b32_e32 v112, 0x6667
	v_mul_i32_i24_sdwa v113, sext(v55), v112 dst_sel:DWORD dst_unused:UNUSED_PAD src0_sel:WORD_0 src1_sel:DWORD
	v_mul_i32_i24_sdwa v112, sext(v64), v112 dst_sel:DWORD dst_unused:UNUSED_PAD src0_sel:WORD_0 src1_sel:DWORD
	v_lshrrev_b32_e32 v114, 31, v113
	v_ashrrev_i32_e32 v113, 18, v113
	v_lshrrev_b32_e32 v115, 31, v112
	v_ashrrev_i32_e32 v112, 18, v112
	v_add_nc_u16 v113, v113, v114
	v_add_nc_u16 v112, v112, v115
	v_cmp_lt_i16_e64 s35, v113, v112
	v_cndmask_b32_e64 v112, v55, v64, s35
	v_cndmask_b32_e64 v64, v64, v55, s35
	v_mov_b32_e32 v55, v112
	s_or_b32 exec_lo, exec_lo, s38
	s_and_saveexec_b32 s38, s72
	s_cbranch_execnz .LBB522_1510
.LBB522_1031:
	s_or_b32 exec_lo, exec_lo, s38
	s_and_saveexec_b32 s38, s73
	s_cbranch_execz .LBB522_1511
.LBB522_1032:
	v_mov_b32_e32 v112, 0x6667
	v_mul_i32_i24_sdwa v113, sext(v54), v112 dst_sel:DWORD dst_unused:UNUSED_PAD src0_sel:WORD_0 src1_sel:DWORD
	v_mul_i32_i24_sdwa v112, sext(v51), v112 dst_sel:DWORD dst_unused:UNUSED_PAD src0_sel:WORD_0 src1_sel:DWORD
	v_lshrrev_b32_e32 v114, 31, v113
	v_ashrrev_i32_e32 v113, 18, v113
	v_lshrrev_b32_e32 v115, 31, v112
	v_ashrrev_i32_e32 v112, 18, v112
	v_add_nc_u16 v113, v113, v114
	v_add_nc_u16 v112, v112, v115
	v_cmp_lt_i16_e64 s35, v113, v112
	v_cndmask_b32_e64 v112, v54, v51, s35
	v_cndmask_b32_e64 v51, v51, v54, s35
	v_mov_b32_e32 v54, v112
	s_or_b32 exec_lo, exec_lo, s38
	s_and_saveexec_b32 s38, s74
	s_cbranch_execnz .LBB522_1512
.LBB522_1033:
	s_or_b32 exec_lo, exec_lo, s38
	s_and_saveexec_b32 s38, s75
	s_cbranch_execz .LBB522_1513
.LBB522_1034:
	v_mov_b32_e32 v112, 0x6667
	v_mul_i32_i24_sdwa v113, sext(v39), v112 dst_sel:DWORD dst_unused:UNUSED_PAD src0_sel:WORD_0 src1_sel:DWORD
	v_mul_i32_i24_sdwa v112, sext(v48), v112 dst_sel:DWORD dst_unused:UNUSED_PAD src0_sel:WORD_0 src1_sel:DWORD
	v_lshrrev_b32_e32 v114, 31, v113
	v_ashrrev_i32_e32 v113, 18, v113
	v_lshrrev_b32_e32 v115, 31, v112
	v_ashrrev_i32_e32 v112, 18, v112
	v_add_nc_u16 v113, v113, v114
	v_add_nc_u16 v112, v112, v115
	v_cmp_lt_i16_e64 s35, v113, v112
	v_cndmask_b32_e64 v112, v48, v39, s35
	v_cndmask_b32_e64 v39, v39, v48, s35
	v_mov_b32_e32 v48, v112
	s_or_b32 exec_lo, exec_lo, s38
	s_and_saveexec_b32 s38, s76
	s_cbranch_execnz .LBB522_1514
.LBB522_1035:
	s_or_b32 exec_lo, exec_lo, s38
	s_and_saveexec_b32 s38, s77
	s_cbranch_execz .LBB522_1515
.LBB522_1036:
	v_mov_b32_e32 v112, 0x6667
	v_mul_i32_i24_sdwa v113, sext(v99), v112 dst_sel:DWORD dst_unused:UNUSED_PAD src0_sel:WORD_0 src1_sel:DWORD
	v_mul_i32_i24_sdwa v112, sext(v100), v112 dst_sel:DWORD dst_unused:UNUSED_PAD src0_sel:WORD_0 src1_sel:DWORD
	v_lshrrev_b32_e32 v114, 31, v113
	v_ashrrev_i32_e32 v113, 18, v113
	v_lshrrev_b32_e32 v115, 31, v112
	v_ashrrev_i32_e32 v112, 18, v112
	v_add_nc_u16 v113, v113, v114
	v_add_nc_u16 v112, v112, v115
	v_cmp_lt_i16_e64 s35, v113, v112
	v_cndmask_b32_e64 v112, v99, v100, s35
	v_cndmask_b32_e64 v100, v100, v99, s35
	v_mov_b32_e32 v99, v112
	s_or_b32 exec_lo, exec_lo, s38
	s_and_saveexec_b32 s38, s78
	s_cbranch_execnz .LBB522_1516
.LBB522_1037:
	s_or_b32 exec_lo, exec_lo, s38
	s_and_saveexec_b32 s38, s79
	s_cbranch_execz .LBB522_1517
.LBB522_1038:
	v_mov_b32_e32 v112, 0x6667
	v_mul_i32_i24_sdwa v113, sext(v86), v112 dst_sel:DWORD dst_unused:UNUSED_PAD src0_sel:WORD_0 src1_sel:DWORD
	v_mul_i32_i24_sdwa v112, sext(v87), v112 dst_sel:DWORD dst_unused:UNUSED_PAD src0_sel:WORD_0 src1_sel:DWORD
	v_lshrrev_b32_e32 v114, 31, v113
	v_ashrrev_i32_e32 v113, 18, v113
	v_lshrrev_b32_e32 v115, 31, v112
	v_ashrrev_i32_e32 v112, 18, v112
	v_add_nc_u16 v113, v113, v114
	v_add_nc_u16 v112, v112, v115
	v_cmp_lt_i16_e64 s35, v113, v112
	v_cndmask_b32_e64 v112, v86, v87, s35
	v_cndmask_b32_e64 v87, v87, v86, s35
	v_mov_b32_e32 v86, v112
	s_or_b32 exec_lo, exec_lo, s38
	s_and_saveexec_b32 s38, s88
	s_cbranch_execnz .LBB522_1518
.LBB522_1039:
	s_or_b32 exec_lo, exec_lo, s38
	s_and_saveexec_b32 s38, s89
	s_cbranch_execz .LBB522_1519
.LBB522_1040:
	v_mov_b32_e32 v112, 0x6667
	v_mul_i32_i24_sdwa v113, sext(v82), v112 dst_sel:DWORD dst_unused:UNUSED_PAD src0_sel:WORD_0 src1_sel:DWORD
	v_mul_i32_i24_sdwa v112, sext(v83), v112 dst_sel:DWORD dst_unused:UNUSED_PAD src0_sel:WORD_0 src1_sel:DWORD
	v_lshrrev_b32_e32 v114, 31, v113
	v_ashrrev_i32_e32 v113, 18, v113
	v_lshrrev_b32_e32 v115, 31, v112
	v_ashrrev_i32_e32 v112, 18, v112
	v_add_nc_u16 v113, v113, v114
	v_add_nc_u16 v112, v112, v115
	v_cmp_lt_i16_e64 s35, v113, v112
	v_cndmask_b32_e64 v112, v82, v83, s35
	v_cndmask_b32_e64 v83, v83, v82, s35
	v_mov_b32_e32 v82, v112
	s_or_b32 exec_lo, exec_lo, s38
	s_and_saveexec_b32 s38, s90
	s_cbranch_execnz .LBB522_1520
.LBB522_1041:
	s_or_b32 exec_lo, exec_lo, s38
	s_and_saveexec_b32 s38, s91
	s_cbranch_execz .LBB522_1521
.LBB522_1042:
	v_mov_b32_e32 v112, 0x6667
	v_mul_i32_i24_sdwa v113, sext(v70), v112 dst_sel:DWORD dst_unused:UNUSED_PAD src0_sel:WORD_0 src1_sel:DWORD
	v_mul_i32_i24_sdwa v112, sext(v71), v112 dst_sel:DWORD dst_unused:UNUSED_PAD src0_sel:WORD_0 src1_sel:DWORD
	v_lshrrev_b32_e32 v114, 31, v113
	v_ashrrev_i32_e32 v113, 18, v113
	v_lshrrev_b32_e32 v115, 31, v112
	v_ashrrev_i32_e32 v112, 18, v112
	v_add_nc_u16 v113, v113, v114
	v_add_nc_u16 v112, v112, v115
	v_cmp_lt_i16_e64 s35, v113, v112
	v_cndmask_b32_e64 v112, v70, v71, s35
	v_cndmask_b32_e64 v71, v71, v70, s35
	v_mov_b32_e32 v70, v112
	s_or_b32 exec_lo, exec_lo, s38
	s_and_saveexec_b32 s38, s92
	s_cbranch_execnz .LBB522_1522
.LBB522_1043:
	s_or_b32 exec_lo, exec_lo, s38
	s_and_saveexec_b32 s38, s93
	s_cbranch_execz .LBB522_1523
.LBB522_1044:
	v_mov_b32_e32 v112, 0x6667
	v_mul_i32_i24_sdwa v113, sext(v66), v112 dst_sel:DWORD dst_unused:UNUSED_PAD src0_sel:WORD_0 src1_sel:DWORD
	v_mul_i32_i24_sdwa v112, sext(v67), v112 dst_sel:DWORD dst_unused:UNUSED_PAD src0_sel:WORD_0 src1_sel:DWORD
	v_lshrrev_b32_e32 v114, 31, v113
	v_ashrrev_i32_e32 v113, 18, v113
	v_lshrrev_b32_e32 v115, 31, v112
	v_ashrrev_i32_e32 v112, 18, v112
	v_add_nc_u16 v113, v113, v114
	v_add_nc_u16 v112, v112, v115
	v_cmp_lt_i16_e64 s35, v113, v112
	v_cndmask_b32_e64 v112, v66, v67, s35
	v_cndmask_b32_e64 v67, v67, v66, s35
	v_mov_b32_e32 v66, v112
	s_or_b32 exec_lo, exec_lo, s38
	s_and_saveexec_b32 s38, s94
	s_cbranch_execnz .LBB522_1524
.LBB522_1045:
	s_or_b32 exec_lo, exec_lo, s38
	s_and_saveexec_b32 s38, s95
	s_cbranch_execz .LBB522_1525
.LBB522_1046:
	v_mov_b32_e32 v112, 0x6667
	v_mul_i32_i24_sdwa v113, sext(v53), v112 dst_sel:DWORD dst_unused:UNUSED_PAD src0_sel:WORD_0 src1_sel:DWORD
	v_mul_i32_i24_sdwa v112, sext(v55), v112 dst_sel:DWORD dst_unused:UNUSED_PAD src0_sel:WORD_0 src1_sel:DWORD
	v_lshrrev_b32_e32 v114, 31, v113
	v_ashrrev_i32_e32 v113, 18, v113
	v_lshrrev_b32_e32 v115, 31, v112
	v_ashrrev_i32_e32 v112, 18, v112
	v_add_nc_u16 v113, v113, v114
	v_add_nc_u16 v112, v112, v115
	v_cmp_lt_i16_e64 s35, v113, v112
	v_cndmask_b32_e64 v112, v53, v55, s35
	v_cndmask_b32_e64 v55, v55, v53, s35
	v_mov_b32_e32 v53, v112
	s_or_b32 exec_lo, exec_lo, s38
	s_and_saveexec_b32 s38, vcc_hi
	s_cbranch_execnz .LBB522_1526
.LBB522_1047:
	s_or_b32 exec_lo, exec_lo, s38
	s_and_saveexec_b32 s38, s30
	s_cbranch_execz .LBB522_1527
.LBB522_1048:
	v_mov_b32_e32 v112, 0x6667
	v_mul_i32_i24_sdwa v113, sext(v50), v112 dst_sel:DWORD dst_unused:UNUSED_PAD src0_sel:WORD_0 src1_sel:DWORD
	v_mul_i32_i24_sdwa v112, sext(v54), v112 dst_sel:DWORD dst_unused:UNUSED_PAD src0_sel:WORD_0 src1_sel:DWORD
	v_lshrrev_b32_e32 v114, 31, v113
	v_ashrrev_i32_e32 v113, 18, v113
	v_lshrrev_b32_e32 v115, 31, v112
	v_ashrrev_i32_e32 v112, 18, v112
	v_add_nc_u16 v113, v113, v114
	v_add_nc_u16 v112, v112, v115
	v_cmp_lt_i16_e64 s35, v113, v112
	v_cndmask_b32_e64 v112, v54, v50, s35
	v_cndmask_b32_e64 v50, v50, v54, s35
	v_mov_b32_e32 v54, v112
	s_or_b32 exec_lo, exec_lo, s38
	s_and_saveexec_b32 s38, s31
	s_cbranch_execnz .LBB522_1528
.LBB522_1049:
	s_or_b32 exec_lo, exec_lo, s38
	s_and_saveexec_b32 s38, s34
	s_cbranch_execz .LBB522_1529
.LBB522_1050:
	v_mov_b32_e32 v112, 0x6667
	v_mul_i32_i24_sdwa v113, sext(v101), v112 dst_sel:DWORD dst_unused:UNUSED_PAD src0_sel:WORD_0 src1_sel:DWORD
	v_mul_i32_i24_sdwa v112, sext(v39), v112 dst_sel:DWORD dst_unused:UNUSED_PAD src0_sel:WORD_0 src1_sel:DWORD
	v_lshrrev_b32_e32 v114, 31, v113
	v_ashrrev_i32_e32 v113, 18, v113
	v_lshrrev_b32_e32 v115, 31, v112
	v_ashrrev_i32_e32 v112, 18, v112
	v_add_nc_u16 v113, v113, v114
	v_add_nc_u16 v112, v112, v115
	v_cmp_lt_i16_e64 s35, v113, v112
	v_cndmask_b32_e64 v112, v39, v101, s35
	v_cndmask_b32_e64 v101, v101, v39, s35
	v_mov_b32_e32 v39, v112
	s_or_b32 exec_lo, exec_lo, s38
	s_and_saveexec_b32 s38, s8
	s_cbranch_execnz .LBB522_1530
.LBB522_1051:
	s_or_b32 exec_lo, exec_lo, s38
	s_and_saveexec_b32 s38, s9
	s_cbranch_execz .LBB522_1531
.LBB522_1052:
	v_mov_b32_e32 v112, 0x6667
	v_mul_i32_i24_sdwa v113, sext(v98), v112 dst_sel:DWORD dst_unused:UNUSED_PAD src0_sel:WORD_0 src1_sel:DWORD
	v_mul_i32_i24_sdwa v112, sext(v99), v112 dst_sel:DWORD dst_unused:UNUSED_PAD src0_sel:WORD_0 src1_sel:DWORD
	v_lshrrev_b32_e32 v114, 31, v113
	v_ashrrev_i32_e32 v113, 18, v113
	v_lshrrev_b32_e32 v115, 31, v112
	v_ashrrev_i32_e32 v112, 18, v112
	v_add_nc_u16 v113, v113, v114
	v_add_nc_u16 v112, v112, v115
	v_cmp_lt_i16_e64 s35, v113, v112
	v_cndmask_b32_e64 v112, v98, v99, s35
	v_cndmask_b32_e64 v99, v99, v98, s35
	v_mov_b32_e32 v98, v112
	s_or_b32 exec_lo, exec_lo, s38
	s_and_saveexec_b32 s38, s12
	s_cbranch_execnz .LBB522_1532
.LBB522_1053:
	s_or_b32 exec_lo, exec_lo, s38
	s_and_saveexec_b32 s38, s13
	s_cbranch_execz .LBB522_1533
.LBB522_1054:
	v_mov_b32_e32 v112, 0x6667
	v_mul_i32_i24_sdwa v113, sext(v85), v112 dst_sel:DWORD dst_unused:UNUSED_PAD src0_sel:WORD_0 src1_sel:DWORD
	v_mul_i32_i24_sdwa v112, sext(v86), v112 dst_sel:DWORD dst_unused:UNUSED_PAD src0_sel:WORD_0 src1_sel:DWORD
	v_lshrrev_b32_e32 v114, 31, v113
	v_ashrrev_i32_e32 v113, 18, v113
	v_lshrrev_b32_e32 v115, 31, v112
	v_ashrrev_i32_e32 v112, 18, v112
	v_add_nc_u16 v113, v113, v114
	v_add_nc_u16 v112, v112, v115
	v_cmp_lt_i16_e64 s35, v113, v112
	v_cndmask_b32_e64 v112, v85, v86, s35
	v_cndmask_b32_e64 v86, v86, v85, s35
	v_mov_b32_e32 v85, v112
	s_or_b32 exec_lo, exec_lo, s38
	s_and_saveexec_b32 s38, s57
	s_cbranch_execnz .LBB522_1534
.LBB522_1055:
	s_or_b32 exec_lo, exec_lo, s38
	s_and_saveexec_b32 s38, s58
	s_cbranch_execz .LBB522_1535
.LBB522_1056:
	v_mov_b32_e32 v112, 0x6667
	v_mul_i32_i24_sdwa v113, sext(v81), v112 dst_sel:DWORD dst_unused:UNUSED_PAD src0_sel:WORD_0 src1_sel:DWORD
	v_mul_i32_i24_sdwa v112, sext(v82), v112 dst_sel:DWORD dst_unused:UNUSED_PAD src0_sel:WORD_0 src1_sel:DWORD
	v_lshrrev_b32_e32 v114, 31, v113
	v_ashrrev_i32_e32 v113, 18, v113
	v_lshrrev_b32_e32 v115, 31, v112
	v_ashrrev_i32_e32 v112, 18, v112
	v_add_nc_u16 v113, v113, v114
	v_add_nc_u16 v112, v112, v115
	v_cmp_lt_i16_e64 s35, v113, v112
	v_cndmask_b32_e64 v112, v81, v82, s35
	v_cndmask_b32_e64 v82, v82, v81, s35
	v_mov_b32_e32 v81, v112
	s_or_b32 exec_lo, exec_lo, s38
	s_and_saveexec_b32 s38, s59
	s_cbranch_execnz .LBB522_1536
.LBB522_1057:
	s_or_b32 exec_lo, exec_lo, s38
	s_and_saveexec_b32 s38, s60
	s_cbranch_execz .LBB522_1537
.LBB522_1058:
	v_mov_b32_e32 v112, 0x6667
	v_mul_i32_i24_sdwa v113, sext(v69), v112 dst_sel:DWORD dst_unused:UNUSED_PAD src0_sel:WORD_0 src1_sel:DWORD
	v_mul_i32_i24_sdwa v112, sext(v70), v112 dst_sel:DWORD dst_unused:UNUSED_PAD src0_sel:WORD_0 src1_sel:DWORD
	v_lshrrev_b32_e32 v114, 31, v113
	v_ashrrev_i32_e32 v113, 18, v113
	v_lshrrev_b32_e32 v115, 31, v112
	v_ashrrev_i32_e32 v112, 18, v112
	v_add_nc_u16 v113, v113, v114
	v_add_nc_u16 v112, v112, v115
	v_cmp_lt_i16_e64 s35, v113, v112
	v_cndmask_b32_e64 v112, v69, v70, s35
	v_cndmask_b32_e64 v70, v70, v69, s35
	v_mov_b32_e32 v69, v112
	s_or_b32 exec_lo, exec_lo, s38
	s_and_saveexec_b32 s38, s61
	s_cbranch_execnz .LBB522_1538
.LBB522_1059:
	s_or_b32 exec_lo, exec_lo, s38
	s_and_saveexec_b32 s38, s62
	s_cbranch_execz .LBB522_1539
.LBB522_1060:
	v_mov_b32_e32 v112, 0x6667
	v_mul_i32_i24_sdwa v113, sext(v65), v112 dst_sel:DWORD dst_unused:UNUSED_PAD src0_sel:WORD_0 src1_sel:DWORD
	v_mul_i32_i24_sdwa v112, sext(v66), v112 dst_sel:DWORD dst_unused:UNUSED_PAD src0_sel:WORD_0 src1_sel:DWORD
	v_lshrrev_b32_e32 v114, 31, v113
	v_ashrrev_i32_e32 v113, 18, v113
	v_lshrrev_b32_e32 v115, 31, v112
	v_ashrrev_i32_e32 v112, 18, v112
	v_add_nc_u16 v113, v113, v114
	v_add_nc_u16 v112, v112, v115
	v_cmp_lt_i16_e64 s35, v113, v112
	v_cndmask_b32_e64 v112, v65, v66, s35
	v_cndmask_b32_e64 v66, v66, v65, s35
	v_mov_b32_e32 v65, v112
	s_or_b32 exec_lo, exec_lo, s38
	s_and_saveexec_b32 s38, s63
	s_cbranch_execnz .LBB522_1540
.LBB522_1061:
	s_or_b32 exec_lo, exec_lo, s38
	s_and_saveexec_b32 s38, s72
	s_cbranch_execz .LBB522_1541
.LBB522_1062:
	v_mov_b32_e32 v112, 0x6667
	v_mul_i32_i24_sdwa v113, sext(v52), v112 dst_sel:DWORD dst_unused:UNUSED_PAD src0_sel:WORD_0 src1_sel:DWORD
	v_mul_i32_i24_sdwa v112, sext(v53), v112 dst_sel:DWORD dst_unused:UNUSED_PAD src0_sel:WORD_0 src1_sel:DWORD
	v_lshrrev_b32_e32 v114, 31, v113
	v_ashrrev_i32_e32 v113, 18, v113
	v_lshrrev_b32_e32 v115, 31, v112
	v_ashrrev_i32_e32 v112, 18, v112
	v_add_nc_u16 v113, v113, v114
	v_add_nc_u16 v112, v112, v115
	v_cmp_lt_i16_e64 s35, v113, v112
	v_cndmask_b32_e64 v112, v52, v53, s35
	v_cndmask_b32_e64 v53, v53, v52, s35
	v_mov_b32_e32 v52, v112
	s_or_b32 exec_lo, exec_lo, s38
	s_and_saveexec_b32 s38, s73
	s_cbranch_execnz .LBB522_1542
.LBB522_1063:
	s_or_b32 exec_lo, exec_lo, s38
	s_and_saveexec_b32 s38, s74
	s_cbranch_execz .LBB522_1543
.LBB522_1064:
	v_mov_b32_e32 v112, 0x6667
	v_mul_i32_i24_sdwa v113, sext(v49), v112 dst_sel:DWORD dst_unused:UNUSED_PAD src0_sel:WORD_0 src1_sel:DWORD
	v_mul_i32_i24_sdwa v112, sext(v50), v112 dst_sel:DWORD dst_unused:UNUSED_PAD src0_sel:WORD_0 src1_sel:DWORD
	v_lshrrev_b32_e32 v114, 31, v113
	v_ashrrev_i32_e32 v113, 18, v113
	v_lshrrev_b32_e32 v115, 31, v112
	v_ashrrev_i32_e32 v112, 18, v112
	v_add_nc_u16 v113, v113, v114
	v_add_nc_u16 v112, v112, v115
	v_cmp_lt_i16_e64 s35, v113, v112
	v_cndmask_b32_e64 v112, v50, v49, s35
	v_cndmask_b32_e64 v49, v49, v50, s35
	v_mov_b32_e32 v50, v112
	s_or_b32 exec_lo, exec_lo, s38
	s_and_saveexec_b32 s38, s75
	s_cbranch_execnz .LBB522_1544
.LBB522_1065:
	s_or_b32 exec_lo, exec_lo, s38
	s_and_saveexec_b32 s38, s76
	s_cbranch_execz .LBB522_1545
.LBB522_1066:
	v_mov_b32_e32 v112, 0x6667
	v_mul_i32_i24_sdwa v113, sext(v38), v112 dst_sel:DWORD dst_unused:UNUSED_PAD src0_sel:WORD_0 src1_sel:DWORD
	v_mul_i32_i24_sdwa v112, sext(v101), v112 dst_sel:DWORD dst_unused:UNUSED_PAD src0_sel:WORD_0 src1_sel:DWORD
	v_lshrrev_b32_e32 v114, 31, v113
	v_ashrrev_i32_e32 v113, 18, v113
	v_lshrrev_b32_e32 v115, 31, v112
	v_ashrrev_i32_e32 v112, 18, v112
	v_add_nc_u16 v113, v113, v114
	v_add_nc_u16 v112, v112, v115
	v_cmp_lt_i16_e64 s35, v113, v112
	v_cndmask_b32_e64 v112, v101, v38, s35
	v_cndmask_b32_e64 v38, v38, v101, s35
	v_mov_b32_e32 v101, v112
	s_or_b32 exec_lo, exec_lo, s38
	s_and_saveexec_b32 s38, s77
	s_cbranch_execnz .LBB522_1546
.LBB522_1067:
	s_or_b32 exec_lo, exec_lo, s38
	s_and_saveexec_b32 s38, s78
	s_cbranch_execz .LBB522_1547
.LBB522_1068:
	v_mov_b32_e32 v112, 0x6667
	v_mul_i32_i24_sdwa v113, sext(v96), v112 dst_sel:DWORD dst_unused:UNUSED_PAD src0_sel:WORD_0 src1_sel:DWORD
	v_mul_i32_i24_sdwa v112, sext(v98), v112 dst_sel:DWORD dst_unused:UNUSED_PAD src0_sel:WORD_0 src1_sel:DWORD
	v_lshrrev_b32_e32 v114, 31, v113
	v_ashrrev_i32_e32 v113, 18, v113
	v_lshrrev_b32_e32 v115, 31, v112
	v_ashrrev_i32_e32 v112, 18, v112
	v_add_nc_u16 v113, v113, v114
	v_add_nc_u16 v112, v112, v115
	v_cmp_lt_i16_e64 s35, v113, v112
	v_cndmask_b32_e64 v112, v96, v98, s35
	v_cndmask_b32_e64 v98, v98, v96, s35
	v_mov_b32_e32 v96, v112
	s_or_b32 exec_lo, exec_lo, s38
	s_and_saveexec_b32 s38, s79
	s_cbranch_execnz .LBB522_1548
.LBB522_1069:
	s_or_b32 exec_lo, exec_lo, s38
	s_and_saveexec_b32 s38, s88
	s_cbranch_execz .LBB522_1549
.LBB522_1070:
	v_mov_b32_e32 v112, 0x6667
	v_mul_i32_i24_sdwa v113, sext(v84), v112 dst_sel:DWORD dst_unused:UNUSED_PAD src0_sel:WORD_0 src1_sel:DWORD
	v_mul_i32_i24_sdwa v112, sext(v85), v112 dst_sel:DWORD dst_unused:UNUSED_PAD src0_sel:WORD_0 src1_sel:DWORD
	v_lshrrev_b32_e32 v114, 31, v113
	v_ashrrev_i32_e32 v113, 18, v113
	v_lshrrev_b32_e32 v115, 31, v112
	v_ashrrev_i32_e32 v112, 18, v112
	v_add_nc_u16 v113, v113, v114
	v_add_nc_u16 v112, v112, v115
	v_cmp_lt_i16_e64 s35, v113, v112
	v_cndmask_b32_e64 v112, v84, v85, s35
	v_cndmask_b32_e64 v85, v85, v84, s35
	v_mov_b32_e32 v84, v112
	s_or_b32 exec_lo, exec_lo, s38
	s_and_saveexec_b32 s38, s89
	s_cbranch_execnz .LBB522_1550
.LBB522_1071:
	s_or_b32 exec_lo, exec_lo, s38
	s_and_saveexec_b32 s38, s90
	s_cbranch_execz .LBB522_1551
.LBB522_1072:
	v_mov_b32_e32 v112, 0x6667
	v_mul_i32_i24_sdwa v113, sext(v80), v112 dst_sel:DWORD dst_unused:UNUSED_PAD src0_sel:WORD_0 src1_sel:DWORD
	v_mul_i32_i24_sdwa v112, sext(v81), v112 dst_sel:DWORD dst_unused:UNUSED_PAD src0_sel:WORD_0 src1_sel:DWORD
	v_lshrrev_b32_e32 v114, 31, v113
	v_ashrrev_i32_e32 v113, 18, v113
	v_lshrrev_b32_e32 v115, 31, v112
	v_ashrrev_i32_e32 v112, 18, v112
	v_add_nc_u16 v113, v113, v114
	v_add_nc_u16 v112, v112, v115
	v_cmp_lt_i16_e64 s35, v113, v112
	v_cndmask_b32_e64 v112, v80, v81, s35
	v_cndmask_b32_e64 v81, v81, v80, s35
	v_mov_b32_e32 v80, v112
	s_or_b32 exec_lo, exec_lo, s38
	s_and_saveexec_b32 s38, s91
	s_cbranch_execnz .LBB522_1552
.LBB522_1073:
	s_or_b32 exec_lo, exec_lo, s38
	s_and_saveexec_b32 s38, s92
	s_cbranch_execz .LBB522_1553
.LBB522_1074:
	v_mov_b32_e32 v112, 0x6667
	v_mul_i32_i24_sdwa v113, sext(v68), v112 dst_sel:DWORD dst_unused:UNUSED_PAD src0_sel:WORD_0 src1_sel:DWORD
	v_mul_i32_i24_sdwa v112, sext(v69), v112 dst_sel:DWORD dst_unused:UNUSED_PAD src0_sel:WORD_0 src1_sel:DWORD
	v_lshrrev_b32_e32 v114, 31, v113
	v_ashrrev_i32_e32 v113, 18, v113
	v_lshrrev_b32_e32 v115, 31, v112
	v_ashrrev_i32_e32 v112, 18, v112
	v_add_nc_u16 v113, v113, v114
	v_add_nc_u16 v112, v112, v115
	v_cmp_lt_i16_e64 s35, v113, v112
	v_cndmask_b32_e64 v112, v68, v69, s35
	v_cndmask_b32_e64 v69, v69, v68, s35
	v_mov_b32_e32 v68, v112
	s_or_b32 exec_lo, exec_lo, s38
	s_and_saveexec_b32 s38, s93
	s_cbranch_execnz .LBB522_1554
.LBB522_1075:
	s_or_b32 exec_lo, exec_lo, s38
	s_and_saveexec_b32 s38, s94
	s_cbranch_execz .LBB522_1555
.LBB522_1076:
	v_mov_b32_e32 v112, 0x6667
	v_mul_i32_i24_sdwa v113, sext(v64), v112 dst_sel:DWORD dst_unused:UNUSED_PAD src0_sel:WORD_0 src1_sel:DWORD
	v_mul_i32_i24_sdwa v112, sext(v65), v112 dst_sel:DWORD dst_unused:UNUSED_PAD src0_sel:WORD_0 src1_sel:DWORD
	v_lshrrev_b32_e32 v114, 31, v113
	v_ashrrev_i32_e32 v113, 18, v113
	v_lshrrev_b32_e32 v115, 31, v112
	v_ashrrev_i32_e32 v112, 18, v112
	v_add_nc_u16 v113, v113, v114
	v_add_nc_u16 v112, v112, v115
	v_cmp_lt_i16_e64 s35, v113, v112
	v_cndmask_b32_e64 v112, v64, v65, s35
	v_cndmask_b32_e64 v65, v65, v64, s35
	v_mov_b32_e32 v64, v112
	s_or_b32 exec_lo, exec_lo, s38
	s_and_saveexec_b32 s38, s95
	s_cbranch_execnz .LBB522_1556
.LBB522_1077:
	s_or_b32 exec_lo, exec_lo, s38
	s_and_saveexec_b32 s38, vcc_hi
	s_cbranch_execz .LBB522_1557
.LBB522_1078:
	v_mov_b32_e32 v112, 0x6667
	v_mul_i32_i24_sdwa v113, sext(v51), v112 dst_sel:DWORD dst_unused:UNUSED_PAD src0_sel:WORD_0 src1_sel:DWORD
	v_mul_i32_i24_sdwa v112, sext(v52), v112 dst_sel:DWORD dst_unused:UNUSED_PAD src0_sel:WORD_0 src1_sel:DWORD
	v_lshrrev_b32_e32 v114, 31, v113
	v_ashrrev_i32_e32 v113, 18, v113
	v_lshrrev_b32_e32 v115, 31, v112
	v_ashrrev_i32_e32 v112, 18, v112
	v_add_nc_u16 v113, v113, v114
	v_add_nc_u16 v112, v112, v115
	v_cmp_lt_i16_e64 s35, v113, v112
	v_cndmask_b32_e64 v112, v51, v52, s35
	v_cndmask_b32_e64 v52, v52, v51, s35
	v_mov_b32_e32 v51, v112
	s_or_b32 exec_lo, exec_lo, s38
	s_and_saveexec_b32 s38, s30
	s_cbranch_execnz .LBB522_1558
.LBB522_1079:
	s_or_b32 exec_lo, exec_lo, s38
	s_and_saveexec_b32 s38, s31
	s_cbranch_execz .LBB522_1559
.LBB522_1080:
	v_mov_b32_e32 v112, 0x6667
	v_mul_i32_i24_sdwa v113, sext(v48), v112 dst_sel:DWORD dst_unused:UNUSED_PAD src0_sel:WORD_0 src1_sel:DWORD
	v_mul_i32_i24_sdwa v112, sext(v49), v112 dst_sel:DWORD dst_unused:UNUSED_PAD src0_sel:WORD_0 src1_sel:DWORD
	v_lshrrev_b32_e32 v114, 31, v113
	v_ashrrev_i32_e32 v113, 18, v113
	v_lshrrev_b32_e32 v115, 31, v112
	v_ashrrev_i32_e32 v112, 18, v112
	v_add_nc_u16 v113, v113, v114
	v_add_nc_u16 v112, v112, v115
	v_cmp_lt_i16_e64 s35, v113, v112
	v_cndmask_b32_e64 v112, v49, v48, s35
	v_cndmask_b32_e64 v48, v48, v49, s35
	v_mov_b32_e32 v49, v112
	s_or_b32 exec_lo, exec_lo, s38
	s_and_saveexec_b32 s38, s34
	s_cbranch_execnz .LBB522_1560
.LBB522_1081:
	s_or_b32 exec_lo, exec_lo, s38
	s_and_saveexec_b32 s38, s8
	s_cbranch_execz .LBB522_1561
.LBB522_1082:
	v_mov_b32_e32 v112, 0x6667
	v_mul_i32_i24_sdwa v113, sext(v100), v112 dst_sel:DWORD dst_unused:UNUSED_PAD src0_sel:WORD_0 src1_sel:DWORD
	v_mul_i32_i24_sdwa v112, sext(v97), v112 dst_sel:DWORD dst_unused:UNUSED_PAD src0_sel:WORD_0 src1_sel:DWORD
	v_lshrrev_b32_e32 v114, 31, v113
	v_ashrrev_i32_e32 v113, 18, v113
	v_lshrrev_b32_e32 v115, 31, v112
	v_ashrrev_i32_e32 v112, 18, v112
	v_add_nc_u16 v113, v113, v114
	v_add_nc_u16 v112, v112, v115
	v_cmp_lt_i16_e64 s35, v113, v112
	v_cndmask_b32_e64 v112, v100, v97, s35
	v_cndmask_b32_e64 v97, v97, v100, s35
	v_mov_b32_e32 v100, v112
	s_or_b32 exec_lo, exec_lo, s38
	s_and_saveexec_b32 s38, s9
	s_cbranch_execnz .LBB522_1562
.LBB522_1083:
	s_or_b32 exec_lo, exec_lo, s38
	s_and_saveexec_b32 s38, s12
	s_cbranch_execz .LBB522_1563
.LBB522_1084:
	v_mov_b32_e32 v112, 0x6667
	v_mul_i32_i24_sdwa v113, sext(v87), v112 dst_sel:DWORD dst_unused:UNUSED_PAD src0_sel:WORD_0 src1_sel:DWORD
	v_mul_i32_i24_sdwa v112, sext(v96), v112 dst_sel:DWORD dst_unused:UNUSED_PAD src0_sel:WORD_0 src1_sel:DWORD
	v_lshrrev_b32_e32 v114, 31, v113
	v_ashrrev_i32_e32 v113, 18, v113
	v_lshrrev_b32_e32 v115, 31, v112
	v_ashrrev_i32_e32 v112, 18, v112
	v_add_nc_u16 v113, v113, v114
	v_add_nc_u16 v112, v112, v115
	v_cmp_lt_i16_e64 s35, v113, v112
	v_cndmask_b32_e64 v112, v87, v96, s35
	v_cndmask_b32_e64 v96, v96, v87, s35
	v_mov_b32_e32 v87, v112
	s_or_b32 exec_lo, exec_lo, s38
	s_and_saveexec_b32 s38, s13
	s_cbranch_execnz .LBB522_1564
.LBB522_1085:
	s_or_b32 exec_lo, exec_lo, s38
	s_and_saveexec_b32 s38, s57
	s_cbranch_execz .LBB522_1565
.LBB522_1086:
	v_mov_b32_e32 v112, 0x6667
	v_mul_i32_i24_sdwa v113, sext(v83), v112 dst_sel:DWORD dst_unused:UNUSED_PAD src0_sel:WORD_0 src1_sel:DWORD
	v_mul_i32_i24_sdwa v112, sext(v84), v112 dst_sel:DWORD dst_unused:UNUSED_PAD src0_sel:WORD_0 src1_sel:DWORD
	v_lshrrev_b32_e32 v114, 31, v113
	v_ashrrev_i32_e32 v113, 18, v113
	v_lshrrev_b32_e32 v115, 31, v112
	v_ashrrev_i32_e32 v112, 18, v112
	v_add_nc_u16 v113, v113, v114
	v_add_nc_u16 v112, v112, v115
	v_cmp_lt_i16_e64 s35, v113, v112
	v_cndmask_b32_e64 v112, v83, v84, s35
	v_cndmask_b32_e64 v84, v84, v83, s35
	v_mov_b32_e32 v83, v112
	s_or_b32 exec_lo, exec_lo, s38
	s_and_saveexec_b32 s38, s58
	s_cbranch_execnz .LBB522_1566
.LBB522_1087:
	s_or_b32 exec_lo, exec_lo, s38
	s_and_saveexec_b32 s38, s59
	s_cbranch_execz .LBB522_1567
.LBB522_1088:
	v_mov_b32_e32 v112, 0x6667
	v_mul_i32_i24_sdwa v113, sext(v71), v112 dst_sel:DWORD dst_unused:UNUSED_PAD src0_sel:WORD_0 src1_sel:DWORD
	v_mul_i32_i24_sdwa v112, sext(v80), v112 dst_sel:DWORD dst_unused:UNUSED_PAD src0_sel:WORD_0 src1_sel:DWORD
	v_lshrrev_b32_e32 v114, 31, v113
	v_ashrrev_i32_e32 v113, 18, v113
	v_lshrrev_b32_e32 v115, 31, v112
	v_ashrrev_i32_e32 v112, 18, v112
	v_add_nc_u16 v113, v113, v114
	v_add_nc_u16 v112, v112, v115
	v_cmp_lt_i16_e64 s35, v113, v112
	v_cndmask_b32_e64 v112, v71, v80, s35
	v_cndmask_b32_e64 v80, v80, v71, s35
	v_mov_b32_e32 v71, v112
	s_or_b32 exec_lo, exec_lo, s38
	s_and_saveexec_b32 s38, s60
	s_cbranch_execnz .LBB522_1568
.LBB522_1089:
	s_or_b32 exec_lo, exec_lo, s38
	s_and_saveexec_b32 s38, s61
	s_cbranch_execz .LBB522_1569
.LBB522_1090:
	v_mov_b32_e32 v112, 0x6667
	v_mul_i32_i24_sdwa v113, sext(v67), v112 dst_sel:DWORD dst_unused:UNUSED_PAD src0_sel:WORD_0 src1_sel:DWORD
	v_mul_i32_i24_sdwa v112, sext(v68), v112 dst_sel:DWORD dst_unused:UNUSED_PAD src0_sel:WORD_0 src1_sel:DWORD
	v_lshrrev_b32_e32 v114, 31, v113
	v_ashrrev_i32_e32 v113, 18, v113
	v_lshrrev_b32_e32 v115, 31, v112
	v_ashrrev_i32_e32 v112, 18, v112
	v_add_nc_u16 v113, v113, v114
	v_add_nc_u16 v112, v112, v115
	v_cmp_lt_i16_e64 s35, v113, v112
	v_cndmask_b32_e64 v112, v67, v68, s35
	v_cndmask_b32_e64 v68, v68, v67, s35
	v_mov_b32_e32 v67, v112
	s_or_b32 exec_lo, exec_lo, s38
	s_and_saveexec_b32 s38, s62
	s_cbranch_execnz .LBB522_1570
.LBB522_1091:
	s_or_b32 exec_lo, exec_lo, s38
	s_and_saveexec_b32 s38, s63
	s_cbranch_execz .LBB522_1571
.LBB522_1092:
	v_mov_b32_e32 v112, 0x6667
	v_mul_i32_i24_sdwa v113, sext(v55), v112 dst_sel:DWORD dst_unused:UNUSED_PAD src0_sel:WORD_0 src1_sel:DWORD
	v_mul_i32_i24_sdwa v112, sext(v64), v112 dst_sel:DWORD dst_unused:UNUSED_PAD src0_sel:WORD_0 src1_sel:DWORD
	v_lshrrev_b32_e32 v114, 31, v113
	v_ashrrev_i32_e32 v113, 18, v113
	v_lshrrev_b32_e32 v115, 31, v112
	v_ashrrev_i32_e32 v112, 18, v112
	v_add_nc_u16 v113, v113, v114
	v_add_nc_u16 v112, v112, v115
	v_cmp_lt_i16_e64 s35, v113, v112
	v_cndmask_b32_e64 v112, v55, v64, s35
	v_cndmask_b32_e64 v64, v64, v55, s35
	v_mov_b32_e32 v55, v112
	s_or_b32 exec_lo, exec_lo, s38
	s_and_saveexec_b32 s38, s72
	s_cbranch_execnz .LBB522_1572
.LBB522_1093:
	s_or_b32 exec_lo, exec_lo, s38
	s_and_saveexec_b32 s38, s73
	s_cbranch_execz .LBB522_1573
.LBB522_1094:
	v_mov_b32_e32 v112, 0x6667
	v_mul_i32_i24_sdwa v113, sext(v54), v112 dst_sel:DWORD dst_unused:UNUSED_PAD src0_sel:WORD_0 src1_sel:DWORD
	v_mul_i32_i24_sdwa v112, sext(v51), v112 dst_sel:DWORD dst_unused:UNUSED_PAD src0_sel:WORD_0 src1_sel:DWORD
	v_lshrrev_b32_e32 v114, 31, v113
	v_ashrrev_i32_e32 v113, 18, v113
	v_lshrrev_b32_e32 v115, 31, v112
	v_ashrrev_i32_e32 v112, 18, v112
	v_add_nc_u16 v113, v113, v114
	v_add_nc_u16 v112, v112, v115
	v_cmp_lt_i16_e64 s35, v113, v112
	v_cndmask_b32_e64 v112, v54, v51, s35
	v_cndmask_b32_e64 v51, v51, v54, s35
	v_mov_b32_e32 v54, v112
	s_or_b32 exec_lo, exec_lo, s38
	s_and_saveexec_b32 s38, s74
	s_cbranch_execnz .LBB522_1574
.LBB522_1095:
	s_or_b32 exec_lo, exec_lo, s38
	s_and_saveexec_b32 s38, s75
	s_cbranch_execz .LBB522_1575
.LBB522_1096:
	v_mov_b32_e32 v112, 0x6667
	v_mul_i32_i24_sdwa v113, sext(v39), v112 dst_sel:DWORD dst_unused:UNUSED_PAD src0_sel:WORD_0 src1_sel:DWORD
	v_mul_i32_i24_sdwa v112, sext(v48), v112 dst_sel:DWORD dst_unused:UNUSED_PAD src0_sel:WORD_0 src1_sel:DWORD
	v_lshrrev_b32_e32 v114, 31, v113
	v_ashrrev_i32_e32 v113, 18, v113
	v_lshrrev_b32_e32 v115, 31, v112
	v_ashrrev_i32_e32 v112, 18, v112
	v_add_nc_u16 v113, v113, v114
	v_add_nc_u16 v112, v112, v115
	v_cmp_lt_i16_e64 s35, v113, v112
	v_cndmask_b32_e64 v112, v48, v39, s35
	v_cndmask_b32_e64 v39, v39, v48, s35
	v_mov_b32_e32 v48, v112
	s_or_b32 exec_lo, exec_lo, s38
	s_and_saveexec_b32 s38, s76
	s_cbranch_execnz .LBB522_1576
.LBB522_1097:
	s_or_b32 exec_lo, exec_lo, s38
	s_and_saveexec_b32 s38, s77
	s_cbranch_execz .LBB522_1577
.LBB522_1098:
	v_mov_b32_e32 v112, 0x6667
	v_mul_i32_i24_sdwa v113, sext(v99), v112 dst_sel:DWORD dst_unused:UNUSED_PAD src0_sel:WORD_0 src1_sel:DWORD
	v_mul_i32_i24_sdwa v112, sext(v100), v112 dst_sel:DWORD dst_unused:UNUSED_PAD src0_sel:WORD_0 src1_sel:DWORD
	v_lshrrev_b32_e32 v114, 31, v113
	v_ashrrev_i32_e32 v113, 18, v113
	v_lshrrev_b32_e32 v115, 31, v112
	v_ashrrev_i32_e32 v112, 18, v112
	v_add_nc_u16 v113, v113, v114
	v_add_nc_u16 v112, v112, v115
	v_cmp_lt_i16_e64 s35, v113, v112
	v_cndmask_b32_e64 v112, v99, v100, s35
	v_cndmask_b32_e64 v100, v100, v99, s35
	v_mov_b32_e32 v99, v112
	s_or_b32 exec_lo, exec_lo, s38
	s_and_saveexec_b32 s38, s78
	s_cbranch_execnz .LBB522_1578
.LBB522_1099:
	s_or_b32 exec_lo, exec_lo, s38
	s_and_saveexec_b32 s38, s79
	s_cbranch_execz .LBB522_1579
.LBB522_1100:
	v_mov_b32_e32 v112, 0x6667
	v_mul_i32_i24_sdwa v113, sext(v86), v112 dst_sel:DWORD dst_unused:UNUSED_PAD src0_sel:WORD_0 src1_sel:DWORD
	v_mul_i32_i24_sdwa v112, sext(v87), v112 dst_sel:DWORD dst_unused:UNUSED_PAD src0_sel:WORD_0 src1_sel:DWORD
	v_lshrrev_b32_e32 v114, 31, v113
	v_ashrrev_i32_e32 v113, 18, v113
	v_lshrrev_b32_e32 v115, 31, v112
	v_ashrrev_i32_e32 v112, 18, v112
	v_add_nc_u16 v113, v113, v114
	v_add_nc_u16 v112, v112, v115
	v_cmp_lt_i16_e64 s35, v113, v112
	v_cndmask_b32_e64 v112, v86, v87, s35
	v_cndmask_b32_e64 v87, v87, v86, s35
	v_mov_b32_e32 v86, v112
	s_or_b32 exec_lo, exec_lo, s38
	s_and_saveexec_b32 s38, s88
	s_cbranch_execnz .LBB522_1580
.LBB522_1101:
	s_or_b32 exec_lo, exec_lo, s38
	s_and_saveexec_b32 s38, s89
	s_cbranch_execz .LBB522_1581
.LBB522_1102:
	v_mov_b32_e32 v112, 0x6667
	v_mul_i32_i24_sdwa v113, sext(v82), v112 dst_sel:DWORD dst_unused:UNUSED_PAD src0_sel:WORD_0 src1_sel:DWORD
	v_mul_i32_i24_sdwa v112, sext(v83), v112 dst_sel:DWORD dst_unused:UNUSED_PAD src0_sel:WORD_0 src1_sel:DWORD
	v_lshrrev_b32_e32 v114, 31, v113
	v_ashrrev_i32_e32 v113, 18, v113
	v_lshrrev_b32_e32 v115, 31, v112
	v_ashrrev_i32_e32 v112, 18, v112
	v_add_nc_u16 v113, v113, v114
	v_add_nc_u16 v112, v112, v115
	v_cmp_lt_i16_e64 s35, v113, v112
	v_cndmask_b32_e64 v112, v82, v83, s35
	v_cndmask_b32_e64 v83, v83, v82, s35
	v_mov_b32_e32 v82, v112
	s_or_b32 exec_lo, exec_lo, s38
	s_and_saveexec_b32 s38, s90
	s_cbranch_execnz .LBB522_1582
.LBB522_1103:
	s_or_b32 exec_lo, exec_lo, s38
	s_and_saveexec_b32 s38, s91
	s_cbranch_execz .LBB522_1583
.LBB522_1104:
	v_mov_b32_e32 v112, 0x6667
	v_mul_i32_i24_sdwa v113, sext(v70), v112 dst_sel:DWORD dst_unused:UNUSED_PAD src0_sel:WORD_0 src1_sel:DWORD
	v_mul_i32_i24_sdwa v112, sext(v71), v112 dst_sel:DWORD dst_unused:UNUSED_PAD src0_sel:WORD_0 src1_sel:DWORD
	v_lshrrev_b32_e32 v114, 31, v113
	v_ashrrev_i32_e32 v113, 18, v113
	v_lshrrev_b32_e32 v115, 31, v112
	v_ashrrev_i32_e32 v112, 18, v112
	v_add_nc_u16 v113, v113, v114
	v_add_nc_u16 v112, v112, v115
	v_cmp_lt_i16_e64 s35, v113, v112
	v_cndmask_b32_e64 v112, v70, v71, s35
	v_cndmask_b32_e64 v71, v71, v70, s35
	v_mov_b32_e32 v70, v112
	s_or_b32 exec_lo, exec_lo, s38
	s_and_saveexec_b32 s38, s92
	s_cbranch_execnz .LBB522_1584
.LBB522_1105:
	s_or_b32 exec_lo, exec_lo, s38
	s_and_saveexec_b32 s38, s93
	s_cbranch_execz .LBB522_1585
.LBB522_1106:
	v_mov_b32_e32 v112, 0x6667
	v_mul_i32_i24_sdwa v113, sext(v66), v112 dst_sel:DWORD dst_unused:UNUSED_PAD src0_sel:WORD_0 src1_sel:DWORD
	v_mul_i32_i24_sdwa v112, sext(v67), v112 dst_sel:DWORD dst_unused:UNUSED_PAD src0_sel:WORD_0 src1_sel:DWORD
	v_lshrrev_b32_e32 v114, 31, v113
	v_ashrrev_i32_e32 v113, 18, v113
	v_lshrrev_b32_e32 v115, 31, v112
	v_ashrrev_i32_e32 v112, 18, v112
	v_add_nc_u16 v113, v113, v114
	v_add_nc_u16 v112, v112, v115
	v_cmp_lt_i16_e64 s35, v113, v112
	v_cndmask_b32_e64 v112, v66, v67, s35
	v_cndmask_b32_e64 v67, v67, v66, s35
	v_mov_b32_e32 v66, v112
	s_or_b32 exec_lo, exec_lo, s38
	s_and_saveexec_b32 s38, s94
	s_cbranch_execnz .LBB522_1586
.LBB522_1107:
	s_or_b32 exec_lo, exec_lo, s38
	s_and_saveexec_b32 s38, s95
	s_cbranch_execz .LBB522_1587
.LBB522_1108:
	v_mov_b32_e32 v112, 0x6667
	v_mul_i32_i24_sdwa v113, sext(v53), v112 dst_sel:DWORD dst_unused:UNUSED_PAD src0_sel:WORD_0 src1_sel:DWORD
	v_mul_i32_i24_sdwa v112, sext(v55), v112 dst_sel:DWORD dst_unused:UNUSED_PAD src0_sel:WORD_0 src1_sel:DWORD
	v_lshrrev_b32_e32 v114, 31, v113
	v_ashrrev_i32_e32 v113, 18, v113
	v_lshrrev_b32_e32 v115, 31, v112
	v_ashrrev_i32_e32 v112, 18, v112
	v_add_nc_u16 v113, v113, v114
	v_add_nc_u16 v112, v112, v115
	v_cmp_lt_i16_e64 s35, v113, v112
	v_cndmask_b32_e64 v112, v53, v55, s35
	v_cndmask_b32_e64 v55, v55, v53, s35
	v_mov_b32_e32 v53, v112
	s_or_b32 exec_lo, exec_lo, s38
	s_and_saveexec_b32 s38, vcc_hi
	s_cbranch_execnz .LBB522_1588
.LBB522_1109:
	s_or_b32 exec_lo, exec_lo, s38
	s_and_saveexec_b32 s38, s30
	s_cbranch_execz .LBB522_1589
.LBB522_1110:
	v_mov_b32_e32 v112, 0x6667
	v_mul_i32_i24_sdwa v113, sext(v50), v112 dst_sel:DWORD dst_unused:UNUSED_PAD src0_sel:WORD_0 src1_sel:DWORD
	v_mul_i32_i24_sdwa v112, sext(v54), v112 dst_sel:DWORD dst_unused:UNUSED_PAD src0_sel:WORD_0 src1_sel:DWORD
	v_lshrrev_b32_e32 v114, 31, v113
	v_ashrrev_i32_e32 v113, 18, v113
	v_lshrrev_b32_e32 v115, 31, v112
	v_ashrrev_i32_e32 v112, 18, v112
	v_add_nc_u16 v113, v113, v114
	v_add_nc_u16 v112, v112, v115
	v_cmp_lt_i16_e64 s35, v113, v112
	v_cndmask_b32_e64 v112, v54, v50, s35
	v_cndmask_b32_e64 v50, v50, v54, s35
	v_mov_b32_e32 v54, v112
	s_or_b32 exec_lo, exec_lo, s38
	s_and_saveexec_b32 s38, s31
	s_cbranch_execnz .LBB522_1590
.LBB522_1111:
	s_or_b32 exec_lo, exec_lo, s38
	s_and_saveexec_b32 s38, s34
	s_cbranch_execz .LBB522_1591
.LBB522_1112:
	v_mov_b32_e32 v112, 0x6667
	v_mul_i32_i24_sdwa v113, sext(v101), v112 dst_sel:DWORD dst_unused:UNUSED_PAD src0_sel:WORD_0 src1_sel:DWORD
	v_mul_i32_i24_sdwa v112, sext(v39), v112 dst_sel:DWORD dst_unused:UNUSED_PAD src0_sel:WORD_0 src1_sel:DWORD
	v_lshrrev_b32_e32 v114, 31, v113
	v_ashrrev_i32_e32 v113, 18, v113
	v_lshrrev_b32_e32 v115, 31, v112
	v_ashrrev_i32_e32 v112, 18, v112
	v_add_nc_u16 v113, v113, v114
	v_add_nc_u16 v112, v112, v115
	v_cmp_lt_i16_e64 s35, v113, v112
	v_cndmask_b32_e64 v112, v39, v101, s35
	v_cndmask_b32_e64 v101, v101, v39, s35
	v_mov_b32_e32 v39, v112
	s_or_b32 exec_lo, exec_lo, s38
	s_and_saveexec_b32 s38, s8
	s_cbranch_execnz .LBB522_1592
.LBB522_1113:
	s_or_b32 exec_lo, exec_lo, s38
	s_and_saveexec_b32 s38, s9
	s_cbranch_execz .LBB522_1593
.LBB522_1114:
	v_mov_b32_e32 v112, 0x6667
	v_mul_i32_i24_sdwa v113, sext(v98), v112 dst_sel:DWORD dst_unused:UNUSED_PAD src0_sel:WORD_0 src1_sel:DWORD
	v_mul_i32_i24_sdwa v112, sext(v99), v112 dst_sel:DWORD dst_unused:UNUSED_PAD src0_sel:WORD_0 src1_sel:DWORD
	v_lshrrev_b32_e32 v114, 31, v113
	v_ashrrev_i32_e32 v113, 18, v113
	v_lshrrev_b32_e32 v115, 31, v112
	v_ashrrev_i32_e32 v112, 18, v112
	v_add_nc_u16 v113, v113, v114
	v_add_nc_u16 v112, v112, v115
	v_cmp_lt_i16_e64 s35, v113, v112
	v_cndmask_b32_e64 v112, v98, v99, s35
	v_cndmask_b32_e64 v99, v99, v98, s35
	v_mov_b32_e32 v98, v112
	s_or_b32 exec_lo, exec_lo, s38
	s_and_saveexec_b32 s38, s12
	s_cbranch_execnz .LBB522_1594
.LBB522_1115:
	s_or_b32 exec_lo, exec_lo, s38
	s_and_saveexec_b32 s38, s13
	s_cbranch_execz .LBB522_1595
.LBB522_1116:
	v_mov_b32_e32 v112, 0x6667
	v_mul_i32_i24_sdwa v113, sext(v85), v112 dst_sel:DWORD dst_unused:UNUSED_PAD src0_sel:WORD_0 src1_sel:DWORD
	v_mul_i32_i24_sdwa v112, sext(v86), v112 dst_sel:DWORD dst_unused:UNUSED_PAD src0_sel:WORD_0 src1_sel:DWORD
	v_lshrrev_b32_e32 v114, 31, v113
	v_ashrrev_i32_e32 v113, 18, v113
	v_lshrrev_b32_e32 v115, 31, v112
	v_ashrrev_i32_e32 v112, 18, v112
	v_add_nc_u16 v113, v113, v114
	v_add_nc_u16 v112, v112, v115
	v_cmp_lt_i16_e64 s35, v113, v112
	v_cndmask_b32_e64 v112, v85, v86, s35
	v_cndmask_b32_e64 v86, v86, v85, s35
	v_mov_b32_e32 v85, v112
	s_or_b32 exec_lo, exec_lo, s38
	s_and_saveexec_b32 s38, s57
	s_cbranch_execnz .LBB522_1596
.LBB522_1117:
	s_or_b32 exec_lo, exec_lo, s38
	s_and_saveexec_b32 s38, s58
	s_cbranch_execz .LBB522_1597
.LBB522_1118:
	v_mov_b32_e32 v112, 0x6667
	v_mul_i32_i24_sdwa v113, sext(v81), v112 dst_sel:DWORD dst_unused:UNUSED_PAD src0_sel:WORD_0 src1_sel:DWORD
	v_mul_i32_i24_sdwa v112, sext(v82), v112 dst_sel:DWORD dst_unused:UNUSED_PAD src0_sel:WORD_0 src1_sel:DWORD
	v_lshrrev_b32_e32 v114, 31, v113
	v_ashrrev_i32_e32 v113, 18, v113
	v_lshrrev_b32_e32 v115, 31, v112
	v_ashrrev_i32_e32 v112, 18, v112
	v_add_nc_u16 v113, v113, v114
	v_add_nc_u16 v112, v112, v115
	v_cmp_lt_i16_e64 s35, v113, v112
	v_cndmask_b32_e64 v112, v81, v82, s35
	v_cndmask_b32_e64 v82, v82, v81, s35
	v_mov_b32_e32 v81, v112
	s_or_b32 exec_lo, exec_lo, s38
	s_and_saveexec_b32 s38, s59
	s_cbranch_execnz .LBB522_1598
.LBB522_1119:
	s_or_b32 exec_lo, exec_lo, s38
	s_and_saveexec_b32 s38, s60
	s_cbranch_execz .LBB522_1599
.LBB522_1120:
	v_mov_b32_e32 v112, 0x6667
	v_mul_i32_i24_sdwa v113, sext(v69), v112 dst_sel:DWORD dst_unused:UNUSED_PAD src0_sel:WORD_0 src1_sel:DWORD
	v_mul_i32_i24_sdwa v112, sext(v70), v112 dst_sel:DWORD dst_unused:UNUSED_PAD src0_sel:WORD_0 src1_sel:DWORD
	v_lshrrev_b32_e32 v114, 31, v113
	v_ashrrev_i32_e32 v113, 18, v113
	v_lshrrev_b32_e32 v115, 31, v112
	v_ashrrev_i32_e32 v112, 18, v112
	v_add_nc_u16 v113, v113, v114
	v_add_nc_u16 v112, v112, v115
	v_cmp_lt_i16_e64 s35, v113, v112
	v_cndmask_b32_e64 v112, v69, v70, s35
	v_cndmask_b32_e64 v70, v70, v69, s35
	v_mov_b32_e32 v69, v112
	s_or_b32 exec_lo, exec_lo, s38
	s_and_saveexec_b32 s38, s61
	s_cbranch_execnz .LBB522_1600
.LBB522_1121:
	s_or_b32 exec_lo, exec_lo, s38
	s_and_saveexec_b32 s38, s62
	s_cbranch_execz .LBB522_1601
.LBB522_1122:
	v_mov_b32_e32 v112, 0x6667
	v_mul_i32_i24_sdwa v113, sext(v65), v112 dst_sel:DWORD dst_unused:UNUSED_PAD src0_sel:WORD_0 src1_sel:DWORD
	v_mul_i32_i24_sdwa v112, sext(v66), v112 dst_sel:DWORD dst_unused:UNUSED_PAD src0_sel:WORD_0 src1_sel:DWORD
	v_lshrrev_b32_e32 v114, 31, v113
	v_ashrrev_i32_e32 v113, 18, v113
	v_lshrrev_b32_e32 v115, 31, v112
	v_ashrrev_i32_e32 v112, 18, v112
	v_add_nc_u16 v113, v113, v114
	v_add_nc_u16 v112, v112, v115
	v_cmp_lt_i16_e64 s35, v113, v112
	v_cndmask_b32_e64 v112, v65, v66, s35
	v_cndmask_b32_e64 v66, v66, v65, s35
	v_mov_b32_e32 v65, v112
	s_or_b32 exec_lo, exec_lo, s38
	s_and_saveexec_b32 s38, s63
	s_cbranch_execnz .LBB522_1602
.LBB522_1123:
	s_or_b32 exec_lo, exec_lo, s38
	s_and_saveexec_b32 s38, s72
	s_cbranch_execz .LBB522_1603
.LBB522_1124:
	v_mov_b32_e32 v112, 0x6667
	v_mul_i32_i24_sdwa v113, sext(v52), v112 dst_sel:DWORD dst_unused:UNUSED_PAD src0_sel:WORD_0 src1_sel:DWORD
	v_mul_i32_i24_sdwa v112, sext(v53), v112 dst_sel:DWORD dst_unused:UNUSED_PAD src0_sel:WORD_0 src1_sel:DWORD
	v_lshrrev_b32_e32 v114, 31, v113
	v_ashrrev_i32_e32 v113, 18, v113
	v_lshrrev_b32_e32 v115, 31, v112
	v_ashrrev_i32_e32 v112, 18, v112
	v_add_nc_u16 v113, v113, v114
	v_add_nc_u16 v112, v112, v115
	v_cmp_lt_i16_e64 s35, v113, v112
	v_cndmask_b32_e64 v112, v52, v53, s35
	v_cndmask_b32_e64 v53, v53, v52, s35
	v_mov_b32_e32 v52, v112
	s_or_b32 exec_lo, exec_lo, s38
	s_and_saveexec_b32 s38, s73
	s_cbranch_execnz .LBB522_1604
.LBB522_1125:
	s_or_b32 exec_lo, exec_lo, s38
	s_and_saveexec_b32 s38, s74
	s_cbranch_execz .LBB522_1605
.LBB522_1126:
	v_mov_b32_e32 v112, 0x6667
	v_mul_i32_i24_sdwa v113, sext(v49), v112 dst_sel:DWORD dst_unused:UNUSED_PAD src0_sel:WORD_0 src1_sel:DWORD
	v_mul_i32_i24_sdwa v112, sext(v50), v112 dst_sel:DWORD dst_unused:UNUSED_PAD src0_sel:WORD_0 src1_sel:DWORD
	v_lshrrev_b32_e32 v114, 31, v113
	v_ashrrev_i32_e32 v113, 18, v113
	v_lshrrev_b32_e32 v115, 31, v112
	v_ashrrev_i32_e32 v112, 18, v112
	v_add_nc_u16 v113, v113, v114
	v_add_nc_u16 v112, v112, v115
	v_cmp_lt_i16_e64 s35, v113, v112
	v_cndmask_b32_e64 v112, v50, v49, s35
	v_cndmask_b32_e64 v49, v49, v50, s35
	v_mov_b32_e32 v50, v112
	s_or_b32 exec_lo, exec_lo, s38
	s_and_saveexec_b32 s38, s75
	s_cbranch_execnz .LBB522_1606
.LBB522_1127:
	s_or_b32 exec_lo, exec_lo, s38
	s_and_saveexec_b32 s38, s76
	s_cbranch_execz .LBB522_1607
.LBB522_1128:
	v_mov_b32_e32 v112, 0x6667
	v_mul_i32_i24_sdwa v113, sext(v38), v112 dst_sel:DWORD dst_unused:UNUSED_PAD src0_sel:WORD_0 src1_sel:DWORD
	v_mul_i32_i24_sdwa v112, sext(v101), v112 dst_sel:DWORD dst_unused:UNUSED_PAD src0_sel:WORD_0 src1_sel:DWORD
	v_lshrrev_b32_e32 v114, 31, v113
	v_ashrrev_i32_e32 v113, 18, v113
	v_lshrrev_b32_e32 v115, 31, v112
	v_ashrrev_i32_e32 v112, 18, v112
	v_add_nc_u16 v113, v113, v114
	v_add_nc_u16 v112, v112, v115
	v_cmp_lt_i16_e64 s35, v113, v112
	v_cndmask_b32_e64 v112, v101, v38, s35
	v_cndmask_b32_e64 v38, v38, v101, s35
	v_mov_b32_e32 v101, v112
	s_or_b32 exec_lo, exec_lo, s38
	s_and_saveexec_b32 s38, s77
	s_cbranch_execnz .LBB522_1608
.LBB522_1129:
	s_or_b32 exec_lo, exec_lo, s38
	s_and_saveexec_b32 s38, s78
	s_cbranch_execz .LBB522_1609
.LBB522_1130:
	v_mov_b32_e32 v112, 0x6667
	v_mul_i32_i24_sdwa v113, sext(v96), v112 dst_sel:DWORD dst_unused:UNUSED_PAD src0_sel:WORD_0 src1_sel:DWORD
	v_mul_i32_i24_sdwa v112, sext(v98), v112 dst_sel:DWORD dst_unused:UNUSED_PAD src0_sel:WORD_0 src1_sel:DWORD
	v_lshrrev_b32_e32 v114, 31, v113
	v_ashrrev_i32_e32 v113, 18, v113
	v_lshrrev_b32_e32 v115, 31, v112
	v_ashrrev_i32_e32 v112, 18, v112
	v_add_nc_u16 v113, v113, v114
	v_add_nc_u16 v112, v112, v115
	v_cmp_lt_i16_e64 s35, v113, v112
	v_cndmask_b32_e64 v112, v96, v98, s35
	v_cndmask_b32_e64 v98, v98, v96, s35
	v_mov_b32_e32 v96, v112
	s_or_b32 exec_lo, exec_lo, s38
	s_and_saveexec_b32 s38, s79
	s_cbranch_execnz .LBB522_1610
.LBB522_1131:
	s_or_b32 exec_lo, exec_lo, s38
	s_and_saveexec_b32 s38, s88
	s_cbranch_execz .LBB522_1611
.LBB522_1132:
	v_mov_b32_e32 v112, 0x6667
	v_mul_i32_i24_sdwa v113, sext(v84), v112 dst_sel:DWORD dst_unused:UNUSED_PAD src0_sel:WORD_0 src1_sel:DWORD
	v_mul_i32_i24_sdwa v112, sext(v85), v112 dst_sel:DWORD dst_unused:UNUSED_PAD src0_sel:WORD_0 src1_sel:DWORD
	v_lshrrev_b32_e32 v114, 31, v113
	v_ashrrev_i32_e32 v113, 18, v113
	v_lshrrev_b32_e32 v115, 31, v112
	v_ashrrev_i32_e32 v112, 18, v112
	v_add_nc_u16 v113, v113, v114
	v_add_nc_u16 v112, v112, v115
	v_cmp_lt_i16_e64 s35, v113, v112
	v_cndmask_b32_e64 v112, v84, v85, s35
	v_cndmask_b32_e64 v85, v85, v84, s35
	v_mov_b32_e32 v84, v112
	s_or_b32 exec_lo, exec_lo, s38
	s_and_saveexec_b32 s38, s89
	s_cbranch_execnz .LBB522_1612
.LBB522_1133:
	s_or_b32 exec_lo, exec_lo, s38
	s_and_saveexec_b32 s38, s90
	s_cbranch_execz .LBB522_1613
.LBB522_1134:
	v_mov_b32_e32 v112, 0x6667
	v_mul_i32_i24_sdwa v113, sext(v80), v112 dst_sel:DWORD dst_unused:UNUSED_PAD src0_sel:WORD_0 src1_sel:DWORD
	v_mul_i32_i24_sdwa v112, sext(v81), v112 dst_sel:DWORD dst_unused:UNUSED_PAD src0_sel:WORD_0 src1_sel:DWORD
	v_lshrrev_b32_e32 v114, 31, v113
	v_ashrrev_i32_e32 v113, 18, v113
	v_lshrrev_b32_e32 v115, 31, v112
	v_ashrrev_i32_e32 v112, 18, v112
	v_add_nc_u16 v113, v113, v114
	v_add_nc_u16 v112, v112, v115
	v_cmp_lt_i16_e64 s35, v113, v112
	v_cndmask_b32_e64 v112, v80, v81, s35
	v_cndmask_b32_e64 v81, v81, v80, s35
	v_mov_b32_e32 v80, v112
	s_or_b32 exec_lo, exec_lo, s38
	s_and_saveexec_b32 s38, s91
	s_cbranch_execnz .LBB522_1614
.LBB522_1135:
	s_or_b32 exec_lo, exec_lo, s38
	s_and_saveexec_b32 s38, s92
	s_cbranch_execz .LBB522_1615
.LBB522_1136:
	v_mov_b32_e32 v112, 0x6667
	v_mul_i32_i24_sdwa v113, sext(v68), v112 dst_sel:DWORD dst_unused:UNUSED_PAD src0_sel:WORD_0 src1_sel:DWORD
	v_mul_i32_i24_sdwa v112, sext(v69), v112 dst_sel:DWORD dst_unused:UNUSED_PAD src0_sel:WORD_0 src1_sel:DWORD
	v_lshrrev_b32_e32 v114, 31, v113
	v_ashrrev_i32_e32 v113, 18, v113
	v_lshrrev_b32_e32 v115, 31, v112
	v_ashrrev_i32_e32 v112, 18, v112
	v_add_nc_u16 v113, v113, v114
	v_add_nc_u16 v112, v112, v115
	v_cmp_lt_i16_e64 s35, v113, v112
	v_cndmask_b32_e64 v112, v68, v69, s35
	v_cndmask_b32_e64 v69, v69, v68, s35
	v_mov_b32_e32 v68, v112
	s_or_b32 exec_lo, exec_lo, s38
	s_and_saveexec_b32 s38, s93
	s_cbranch_execnz .LBB522_1616
.LBB522_1137:
	s_or_b32 exec_lo, exec_lo, s38
	s_and_saveexec_b32 s38, s94
	s_cbranch_execz .LBB522_1617
.LBB522_1138:
	v_mov_b32_e32 v112, 0x6667
	v_mul_i32_i24_sdwa v113, sext(v64), v112 dst_sel:DWORD dst_unused:UNUSED_PAD src0_sel:WORD_0 src1_sel:DWORD
	v_mul_i32_i24_sdwa v112, sext(v65), v112 dst_sel:DWORD dst_unused:UNUSED_PAD src0_sel:WORD_0 src1_sel:DWORD
	v_lshrrev_b32_e32 v114, 31, v113
	v_ashrrev_i32_e32 v113, 18, v113
	v_lshrrev_b32_e32 v115, 31, v112
	v_ashrrev_i32_e32 v112, 18, v112
	v_add_nc_u16 v113, v113, v114
	v_add_nc_u16 v112, v112, v115
	v_cmp_lt_i16_e64 s35, v113, v112
	v_cndmask_b32_e64 v112, v64, v65, s35
	v_cndmask_b32_e64 v65, v65, v64, s35
	v_mov_b32_e32 v64, v112
	s_or_b32 exec_lo, exec_lo, s38
	s_and_saveexec_b32 s38, s95
	s_cbranch_execnz .LBB522_1618
.LBB522_1139:
	s_or_b32 exec_lo, exec_lo, s38
	s_and_saveexec_b32 s38, vcc_hi
	s_cbranch_execz .LBB522_1619
.LBB522_1140:
	v_mov_b32_e32 v112, 0x6667
	v_mul_i32_i24_sdwa v113, sext(v51), v112 dst_sel:DWORD dst_unused:UNUSED_PAD src0_sel:WORD_0 src1_sel:DWORD
	v_mul_i32_i24_sdwa v112, sext(v52), v112 dst_sel:DWORD dst_unused:UNUSED_PAD src0_sel:WORD_0 src1_sel:DWORD
	v_lshrrev_b32_e32 v114, 31, v113
	v_ashrrev_i32_e32 v113, 18, v113
	v_lshrrev_b32_e32 v115, 31, v112
	v_ashrrev_i32_e32 v112, 18, v112
	v_add_nc_u16 v113, v113, v114
	v_add_nc_u16 v112, v112, v115
	v_cmp_lt_i16_e64 s35, v113, v112
	v_cndmask_b32_e64 v112, v51, v52, s35
	v_cndmask_b32_e64 v52, v52, v51, s35
	v_mov_b32_e32 v51, v112
	s_or_b32 exec_lo, exec_lo, s38
	s_and_saveexec_b32 s38, s30
	s_cbranch_execnz .LBB522_1620
.LBB522_1141:
	s_or_b32 exec_lo, exec_lo, s38
	s_and_saveexec_b32 s38, s31
	s_cbranch_execz .LBB522_1621
.LBB522_1142:
	v_mov_b32_e32 v112, 0x6667
	v_mul_i32_i24_sdwa v113, sext(v48), v112 dst_sel:DWORD dst_unused:UNUSED_PAD src0_sel:WORD_0 src1_sel:DWORD
	v_mul_i32_i24_sdwa v112, sext(v49), v112 dst_sel:DWORD dst_unused:UNUSED_PAD src0_sel:WORD_0 src1_sel:DWORD
	v_lshrrev_b32_e32 v114, 31, v113
	v_ashrrev_i32_e32 v113, 18, v113
	v_lshrrev_b32_e32 v115, 31, v112
	v_ashrrev_i32_e32 v112, 18, v112
	v_add_nc_u16 v113, v113, v114
	v_add_nc_u16 v112, v112, v115
	v_cmp_lt_i16_e64 s35, v113, v112
	v_cndmask_b32_e64 v112, v49, v48, s35
	v_cndmask_b32_e64 v48, v48, v49, s35
	v_mov_b32_e32 v49, v112
	s_or_b32 exec_lo, exec_lo, s38
	s_and_saveexec_b32 s38, s34
	s_cbranch_execnz .LBB522_1622
.LBB522_1143:
	s_or_b32 exec_lo, exec_lo, s38
	s_and_saveexec_b32 s38, s8
	s_cbranch_execz .LBB522_1623
.LBB522_1144:
	v_mov_b32_e32 v112, 0x6667
	v_mul_i32_i24_sdwa v113, sext(v100), v112 dst_sel:DWORD dst_unused:UNUSED_PAD src0_sel:WORD_0 src1_sel:DWORD
	v_mul_i32_i24_sdwa v112, sext(v97), v112 dst_sel:DWORD dst_unused:UNUSED_PAD src0_sel:WORD_0 src1_sel:DWORD
	v_lshrrev_b32_e32 v114, 31, v113
	v_ashrrev_i32_e32 v113, 18, v113
	v_lshrrev_b32_e32 v115, 31, v112
	v_ashrrev_i32_e32 v112, 18, v112
	v_add_nc_u16 v113, v113, v114
	v_add_nc_u16 v112, v112, v115
	v_cmp_lt_i16_e64 s35, v113, v112
	v_cndmask_b32_e64 v112, v100, v97, s35
	v_cndmask_b32_e64 v97, v97, v100, s35
	v_mov_b32_e32 v100, v112
	s_or_b32 exec_lo, exec_lo, s38
	s_and_saveexec_b32 s38, s9
	s_cbranch_execnz .LBB522_1624
.LBB522_1145:
	s_or_b32 exec_lo, exec_lo, s38
	s_and_saveexec_b32 s38, s12
	s_cbranch_execz .LBB522_1625
.LBB522_1146:
	v_mov_b32_e32 v112, 0x6667
	v_mul_i32_i24_sdwa v113, sext(v87), v112 dst_sel:DWORD dst_unused:UNUSED_PAD src0_sel:WORD_0 src1_sel:DWORD
	v_mul_i32_i24_sdwa v112, sext(v96), v112 dst_sel:DWORD dst_unused:UNUSED_PAD src0_sel:WORD_0 src1_sel:DWORD
	v_lshrrev_b32_e32 v114, 31, v113
	v_ashrrev_i32_e32 v113, 18, v113
	v_lshrrev_b32_e32 v115, 31, v112
	v_ashrrev_i32_e32 v112, 18, v112
	v_add_nc_u16 v113, v113, v114
	v_add_nc_u16 v112, v112, v115
	v_cmp_lt_i16_e64 s35, v113, v112
	v_cndmask_b32_e64 v112, v87, v96, s35
	v_cndmask_b32_e64 v96, v96, v87, s35
	v_mov_b32_e32 v87, v112
	s_or_b32 exec_lo, exec_lo, s38
	s_and_saveexec_b32 s38, s13
	s_cbranch_execnz .LBB522_1626
.LBB522_1147:
	s_or_b32 exec_lo, exec_lo, s38
	s_and_saveexec_b32 s38, s57
	s_cbranch_execz .LBB522_1627
.LBB522_1148:
	v_mov_b32_e32 v112, 0x6667
	v_mul_i32_i24_sdwa v113, sext(v83), v112 dst_sel:DWORD dst_unused:UNUSED_PAD src0_sel:WORD_0 src1_sel:DWORD
	v_mul_i32_i24_sdwa v112, sext(v84), v112 dst_sel:DWORD dst_unused:UNUSED_PAD src0_sel:WORD_0 src1_sel:DWORD
	v_lshrrev_b32_e32 v114, 31, v113
	v_ashrrev_i32_e32 v113, 18, v113
	v_lshrrev_b32_e32 v115, 31, v112
	v_ashrrev_i32_e32 v112, 18, v112
	v_add_nc_u16 v113, v113, v114
	v_add_nc_u16 v112, v112, v115
	v_cmp_lt_i16_e64 s35, v113, v112
	v_cndmask_b32_e64 v112, v83, v84, s35
	v_cndmask_b32_e64 v84, v84, v83, s35
	v_mov_b32_e32 v83, v112
	s_or_b32 exec_lo, exec_lo, s38
	s_and_saveexec_b32 s38, s58
	s_cbranch_execnz .LBB522_1628
.LBB522_1149:
	s_or_b32 exec_lo, exec_lo, s38
	s_and_saveexec_b32 s38, s59
	s_cbranch_execz .LBB522_1629
.LBB522_1150:
	v_mov_b32_e32 v112, 0x6667
	v_mul_i32_i24_sdwa v113, sext(v71), v112 dst_sel:DWORD dst_unused:UNUSED_PAD src0_sel:WORD_0 src1_sel:DWORD
	v_mul_i32_i24_sdwa v112, sext(v80), v112 dst_sel:DWORD dst_unused:UNUSED_PAD src0_sel:WORD_0 src1_sel:DWORD
	v_lshrrev_b32_e32 v114, 31, v113
	v_ashrrev_i32_e32 v113, 18, v113
	v_lshrrev_b32_e32 v115, 31, v112
	v_ashrrev_i32_e32 v112, 18, v112
	v_add_nc_u16 v113, v113, v114
	v_add_nc_u16 v112, v112, v115
	v_cmp_lt_i16_e64 s35, v113, v112
	v_cndmask_b32_e64 v112, v71, v80, s35
	v_cndmask_b32_e64 v80, v80, v71, s35
	v_mov_b32_e32 v71, v112
	s_or_b32 exec_lo, exec_lo, s38
	s_and_saveexec_b32 s38, s60
	s_cbranch_execnz .LBB522_1630
.LBB522_1151:
	s_or_b32 exec_lo, exec_lo, s38
	s_and_saveexec_b32 s38, s61
	s_cbranch_execz .LBB522_1631
.LBB522_1152:
	v_mov_b32_e32 v112, 0x6667
	v_mul_i32_i24_sdwa v113, sext(v67), v112 dst_sel:DWORD dst_unused:UNUSED_PAD src0_sel:WORD_0 src1_sel:DWORD
	v_mul_i32_i24_sdwa v112, sext(v68), v112 dst_sel:DWORD dst_unused:UNUSED_PAD src0_sel:WORD_0 src1_sel:DWORD
	v_lshrrev_b32_e32 v114, 31, v113
	v_ashrrev_i32_e32 v113, 18, v113
	v_lshrrev_b32_e32 v115, 31, v112
	v_ashrrev_i32_e32 v112, 18, v112
	v_add_nc_u16 v113, v113, v114
	v_add_nc_u16 v112, v112, v115
	v_cmp_lt_i16_e64 s35, v113, v112
	v_cndmask_b32_e64 v112, v67, v68, s35
	v_cndmask_b32_e64 v68, v68, v67, s35
	v_mov_b32_e32 v67, v112
	s_or_b32 exec_lo, exec_lo, s38
	s_and_saveexec_b32 s38, s62
	s_cbranch_execnz .LBB522_1632
.LBB522_1153:
	s_or_b32 exec_lo, exec_lo, s38
	s_and_saveexec_b32 s38, s63
	s_cbranch_execz .LBB522_1633
.LBB522_1154:
	v_mov_b32_e32 v112, 0x6667
	v_mul_i32_i24_sdwa v113, sext(v55), v112 dst_sel:DWORD dst_unused:UNUSED_PAD src0_sel:WORD_0 src1_sel:DWORD
	v_mul_i32_i24_sdwa v112, sext(v64), v112 dst_sel:DWORD dst_unused:UNUSED_PAD src0_sel:WORD_0 src1_sel:DWORD
	v_lshrrev_b32_e32 v114, 31, v113
	v_ashrrev_i32_e32 v113, 18, v113
	v_lshrrev_b32_e32 v115, 31, v112
	v_ashrrev_i32_e32 v112, 18, v112
	v_add_nc_u16 v113, v113, v114
	v_add_nc_u16 v112, v112, v115
	v_cmp_lt_i16_e64 s35, v113, v112
	v_cndmask_b32_e64 v112, v55, v64, s35
	v_cndmask_b32_e64 v64, v64, v55, s35
	v_mov_b32_e32 v55, v112
	s_or_b32 exec_lo, exec_lo, s38
	s_and_saveexec_b32 s38, s72
	s_cbranch_execnz .LBB522_1634
.LBB522_1155:
	s_or_b32 exec_lo, exec_lo, s38
	s_and_saveexec_b32 s38, s73
	s_cbranch_execz .LBB522_1635
.LBB522_1156:
	v_mov_b32_e32 v112, 0x6667
	v_mul_i32_i24_sdwa v113, sext(v54), v112 dst_sel:DWORD dst_unused:UNUSED_PAD src0_sel:WORD_0 src1_sel:DWORD
	v_mul_i32_i24_sdwa v112, sext(v51), v112 dst_sel:DWORD dst_unused:UNUSED_PAD src0_sel:WORD_0 src1_sel:DWORD
	v_lshrrev_b32_e32 v114, 31, v113
	v_ashrrev_i32_e32 v113, 18, v113
	v_lshrrev_b32_e32 v115, 31, v112
	v_ashrrev_i32_e32 v112, 18, v112
	v_add_nc_u16 v113, v113, v114
	v_add_nc_u16 v112, v112, v115
	v_cmp_lt_i16_e64 s35, v113, v112
	v_cndmask_b32_e64 v112, v54, v51, s35
	v_cndmask_b32_e64 v51, v51, v54, s35
	v_mov_b32_e32 v54, v112
	s_or_b32 exec_lo, exec_lo, s38
	s_and_saveexec_b32 s38, s74
	s_cbranch_execnz .LBB522_1636
.LBB522_1157:
	s_or_b32 exec_lo, exec_lo, s38
	s_and_saveexec_b32 s38, s75
	s_cbranch_execz .LBB522_1637
.LBB522_1158:
	v_mov_b32_e32 v112, 0x6667
	v_mul_i32_i24_sdwa v113, sext(v39), v112 dst_sel:DWORD dst_unused:UNUSED_PAD src0_sel:WORD_0 src1_sel:DWORD
	v_mul_i32_i24_sdwa v112, sext(v48), v112 dst_sel:DWORD dst_unused:UNUSED_PAD src0_sel:WORD_0 src1_sel:DWORD
	v_lshrrev_b32_e32 v114, 31, v113
	v_ashrrev_i32_e32 v113, 18, v113
	v_lshrrev_b32_e32 v115, 31, v112
	v_ashrrev_i32_e32 v112, 18, v112
	v_add_nc_u16 v113, v113, v114
	v_add_nc_u16 v112, v112, v115
	v_cmp_lt_i16_e64 s35, v113, v112
	v_cndmask_b32_e64 v112, v48, v39, s35
	v_cndmask_b32_e64 v39, v39, v48, s35
	v_mov_b32_e32 v48, v112
	s_or_b32 exec_lo, exec_lo, s38
	s_and_saveexec_b32 s38, s76
	s_cbranch_execnz .LBB522_1638
.LBB522_1159:
	s_or_b32 exec_lo, exec_lo, s38
	s_and_saveexec_b32 s38, s77
	s_cbranch_execz .LBB522_1639
.LBB522_1160:
	v_mov_b32_e32 v112, 0x6667
	v_mul_i32_i24_sdwa v113, sext(v99), v112 dst_sel:DWORD dst_unused:UNUSED_PAD src0_sel:WORD_0 src1_sel:DWORD
	v_mul_i32_i24_sdwa v112, sext(v100), v112 dst_sel:DWORD dst_unused:UNUSED_PAD src0_sel:WORD_0 src1_sel:DWORD
	v_lshrrev_b32_e32 v114, 31, v113
	v_ashrrev_i32_e32 v113, 18, v113
	v_lshrrev_b32_e32 v115, 31, v112
	v_ashrrev_i32_e32 v112, 18, v112
	v_add_nc_u16 v113, v113, v114
	v_add_nc_u16 v112, v112, v115
	v_cmp_lt_i16_e64 s35, v113, v112
	v_cndmask_b32_e64 v112, v99, v100, s35
	v_cndmask_b32_e64 v100, v100, v99, s35
	v_mov_b32_e32 v99, v112
	s_or_b32 exec_lo, exec_lo, s38
	s_and_saveexec_b32 s38, s78
	s_cbranch_execnz .LBB522_1640
.LBB522_1161:
	s_or_b32 exec_lo, exec_lo, s38
	s_and_saveexec_b32 s38, s79
	s_cbranch_execz .LBB522_1641
.LBB522_1162:
	v_mov_b32_e32 v112, 0x6667
	v_mul_i32_i24_sdwa v113, sext(v86), v112 dst_sel:DWORD dst_unused:UNUSED_PAD src0_sel:WORD_0 src1_sel:DWORD
	v_mul_i32_i24_sdwa v112, sext(v87), v112 dst_sel:DWORD dst_unused:UNUSED_PAD src0_sel:WORD_0 src1_sel:DWORD
	v_lshrrev_b32_e32 v114, 31, v113
	v_ashrrev_i32_e32 v113, 18, v113
	v_lshrrev_b32_e32 v115, 31, v112
	v_ashrrev_i32_e32 v112, 18, v112
	v_add_nc_u16 v113, v113, v114
	v_add_nc_u16 v112, v112, v115
	v_cmp_lt_i16_e64 s35, v113, v112
	v_cndmask_b32_e64 v112, v86, v87, s35
	v_cndmask_b32_e64 v87, v87, v86, s35
	v_mov_b32_e32 v86, v112
	s_or_b32 exec_lo, exec_lo, s38
	s_and_saveexec_b32 s38, s88
	s_cbranch_execnz .LBB522_1642
.LBB522_1163:
	s_or_b32 exec_lo, exec_lo, s38
	s_and_saveexec_b32 s38, s89
	s_cbranch_execz .LBB522_1643
.LBB522_1164:
	v_mov_b32_e32 v112, 0x6667
	v_mul_i32_i24_sdwa v113, sext(v82), v112 dst_sel:DWORD dst_unused:UNUSED_PAD src0_sel:WORD_0 src1_sel:DWORD
	v_mul_i32_i24_sdwa v112, sext(v83), v112 dst_sel:DWORD dst_unused:UNUSED_PAD src0_sel:WORD_0 src1_sel:DWORD
	v_lshrrev_b32_e32 v114, 31, v113
	v_ashrrev_i32_e32 v113, 18, v113
	v_lshrrev_b32_e32 v115, 31, v112
	v_ashrrev_i32_e32 v112, 18, v112
	v_add_nc_u16 v113, v113, v114
	v_add_nc_u16 v112, v112, v115
	v_cmp_lt_i16_e64 s35, v113, v112
	v_cndmask_b32_e64 v112, v82, v83, s35
	v_cndmask_b32_e64 v83, v83, v82, s35
	v_mov_b32_e32 v82, v112
	s_or_b32 exec_lo, exec_lo, s38
	s_and_saveexec_b32 s38, s90
	s_cbranch_execnz .LBB522_1644
.LBB522_1165:
	s_or_b32 exec_lo, exec_lo, s38
	s_and_saveexec_b32 s38, s91
	s_cbranch_execz .LBB522_1645
.LBB522_1166:
	v_mov_b32_e32 v112, 0x6667
	v_mul_i32_i24_sdwa v113, sext(v70), v112 dst_sel:DWORD dst_unused:UNUSED_PAD src0_sel:WORD_0 src1_sel:DWORD
	v_mul_i32_i24_sdwa v112, sext(v71), v112 dst_sel:DWORD dst_unused:UNUSED_PAD src0_sel:WORD_0 src1_sel:DWORD
	v_lshrrev_b32_e32 v114, 31, v113
	v_ashrrev_i32_e32 v113, 18, v113
	v_lshrrev_b32_e32 v115, 31, v112
	v_ashrrev_i32_e32 v112, 18, v112
	v_add_nc_u16 v113, v113, v114
	v_add_nc_u16 v112, v112, v115
	v_cmp_lt_i16_e64 s35, v113, v112
	v_cndmask_b32_e64 v112, v70, v71, s35
	v_cndmask_b32_e64 v71, v71, v70, s35
	v_mov_b32_e32 v70, v112
	s_or_b32 exec_lo, exec_lo, s38
	s_and_saveexec_b32 s38, s92
	s_cbranch_execnz .LBB522_1646
.LBB522_1167:
	s_or_b32 exec_lo, exec_lo, s38
	s_and_saveexec_b32 s38, s93
	s_cbranch_execz .LBB522_1647
.LBB522_1168:
	v_mov_b32_e32 v112, 0x6667
	v_mul_i32_i24_sdwa v113, sext(v66), v112 dst_sel:DWORD dst_unused:UNUSED_PAD src0_sel:WORD_0 src1_sel:DWORD
	v_mul_i32_i24_sdwa v112, sext(v67), v112 dst_sel:DWORD dst_unused:UNUSED_PAD src0_sel:WORD_0 src1_sel:DWORD
	v_lshrrev_b32_e32 v114, 31, v113
	v_ashrrev_i32_e32 v113, 18, v113
	v_lshrrev_b32_e32 v115, 31, v112
	v_ashrrev_i32_e32 v112, 18, v112
	v_add_nc_u16 v113, v113, v114
	v_add_nc_u16 v112, v112, v115
	v_cmp_lt_i16_e64 s35, v113, v112
	v_cndmask_b32_e64 v112, v66, v67, s35
	v_cndmask_b32_e64 v67, v67, v66, s35
	v_mov_b32_e32 v66, v112
	s_or_b32 exec_lo, exec_lo, s38
	s_and_saveexec_b32 s38, s94
	s_cbranch_execnz .LBB522_1648
.LBB522_1169:
	s_or_b32 exec_lo, exec_lo, s38
	s_and_saveexec_b32 s38, s95
	s_cbranch_execz .LBB522_1649
.LBB522_1170:
	v_mov_b32_e32 v112, 0x6667
	v_mul_i32_i24_sdwa v113, sext(v53), v112 dst_sel:DWORD dst_unused:UNUSED_PAD src0_sel:WORD_0 src1_sel:DWORD
	v_mul_i32_i24_sdwa v112, sext(v55), v112 dst_sel:DWORD dst_unused:UNUSED_PAD src0_sel:WORD_0 src1_sel:DWORD
	v_lshrrev_b32_e32 v114, 31, v113
	v_ashrrev_i32_e32 v113, 18, v113
	v_lshrrev_b32_e32 v115, 31, v112
	v_ashrrev_i32_e32 v112, 18, v112
	v_add_nc_u16 v113, v113, v114
	v_add_nc_u16 v112, v112, v115
	v_cmp_lt_i16_e64 s35, v113, v112
	v_cndmask_b32_e64 v112, v53, v55, s35
	v_cndmask_b32_e64 v55, v55, v53, s35
	v_mov_b32_e32 v53, v112
	s_or_b32 exec_lo, exec_lo, s38
	s_and_saveexec_b32 s38, vcc_hi
	s_cbranch_execnz .LBB522_1650
.LBB522_1171:
	s_or_b32 exec_lo, exec_lo, s38
	s_and_saveexec_b32 s38, s30
	s_cbranch_execz .LBB522_1651
.LBB522_1172:
	v_mov_b32_e32 v112, 0x6667
	v_mul_i32_i24_sdwa v113, sext(v50), v112 dst_sel:DWORD dst_unused:UNUSED_PAD src0_sel:WORD_0 src1_sel:DWORD
	v_mul_i32_i24_sdwa v112, sext(v54), v112 dst_sel:DWORD dst_unused:UNUSED_PAD src0_sel:WORD_0 src1_sel:DWORD
	v_lshrrev_b32_e32 v114, 31, v113
	v_ashrrev_i32_e32 v113, 18, v113
	v_lshrrev_b32_e32 v115, 31, v112
	v_ashrrev_i32_e32 v112, 18, v112
	v_add_nc_u16 v113, v113, v114
	v_add_nc_u16 v112, v112, v115
	v_cmp_lt_i16_e64 s35, v113, v112
	v_cndmask_b32_e64 v112, v54, v50, s35
	v_cndmask_b32_e64 v50, v50, v54, s35
	v_mov_b32_e32 v54, v112
	s_or_b32 exec_lo, exec_lo, s38
	s_and_saveexec_b32 s38, s31
	s_cbranch_execnz .LBB522_1652
.LBB522_1173:
	s_or_b32 exec_lo, exec_lo, s38
	s_and_saveexec_b32 s38, s34
	s_cbranch_execz .LBB522_1653
.LBB522_1174:
	v_mov_b32_e32 v112, 0x6667
	v_mul_i32_i24_sdwa v113, sext(v101), v112 dst_sel:DWORD dst_unused:UNUSED_PAD src0_sel:WORD_0 src1_sel:DWORD
	v_mul_i32_i24_sdwa v112, sext(v39), v112 dst_sel:DWORD dst_unused:UNUSED_PAD src0_sel:WORD_0 src1_sel:DWORD
	v_lshrrev_b32_e32 v114, 31, v113
	v_ashrrev_i32_e32 v113, 18, v113
	v_lshrrev_b32_e32 v115, 31, v112
	v_ashrrev_i32_e32 v112, 18, v112
	v_add_nc_u16 v113, v113, v114
	v_add_nc_u16 v112, v112, v115
	v_cmp_lt_i16_e64 s35, v113, v112
	v_cndmask_b32_e64 v112, v39, v101, s35
	v_cndmask_b32_e64 v101, v101, v39, s35
	v_mov_b32_e32 v39, v112
	s_or_b32 exec_lo, exec_lo, s38
	s_and_saveexec_b32 s38, s8
	s_cbranch_execnz .LBB522_1654
.LBB522_1175:
	s_or_b32 exec_lo, exec_lo, s38
	s_and_saveexec_b32 s38, s9
	s_cbranch_execz .LBB522_1655
.LBB522_1176:
	v_mov_b32_e32 v112, 0x6667
	v_mul_i32_i24_sdwa v113, sext(v98), v112 dst_sel:DWORD dst_unused:UNUSED_PAD src0_sel:WORD_0 src1_sel:DWORD
	v_mul_i32_i24_sdwa v112, sext(v99), v112 dst_sel:DWORD dst_unused:UNUSED_PAD src0_sel:WORD_0 src1_sel:DWORD
	v_lshrrev_b32_e32 v114, 31, v113
	v_ashrrev_i32_e32 v113, 18, v113
	v_lshrrev_b32_e32 v115, 31, v112
	v_ashrrev_i32_e32 v112, 18, v112
	v_add_nc_u16 v113, v113, v114
	v_add_nc_u16 v112, v112, v115
	v_cmp_lt_i16_e64 s35, v113, v112
	v_cndmask_b32_e64 v112, v98, v99, s35
	v_cndmask_b32_e64 v99, v99, v98, s35
	v_mov_b32_e32 v98, v112
	s_or_b32 exec_lo, exec_lo, s38
	s_and_saveexec_b32 s38, s12
	s_cbranch_execnz .LBB522_1656
.LBB522_1177:
	s_or_b32 exec_lo, exec_lo, s38
	s_and_saveexec_b32 s38, s13
	s_cbranch_execz .LBB522_1657
.LBB522_1178:
	v_mov_b32_e32 v112, 0x6667
	v_mul_i32_i24_sdwa v113, sext(v85), v112 dst_sel:DWORD dst_unused:UNUSED_PAD src0_sel:WORD_0 src1_sel:DWORD
	v_mul_i32_i24_sdwa v112, sext(v86), v112 dst_sel:DWORD dst_unused:UNUSED_PAD src0_sel:WORD_0 src1_sel:DWORD
	v_lshrrev_b32_e32 v114, 31, v113
	v_ashrrev_i32_e32 v113, 18, v113
	v_lshrrev_b32_e32 v115, 31, v112
	v_ashrrev_i32_e32 v112, 18, v112
	v_add_nc_u16 v113, v113, v114
	v_add_nc_u16 v112, v112, v115
	v_cmp_lt_i16_e64 s35, v113, v112
	v_cndmask_b32_e64 v112, v85, v86, s35
	v_cndmask_b32_e64 v86, v86, v85, s35
	v_mov_b32_e32 v85, v112
	s_or_b32 exec_lo, exec_lo, s38
	s_and_saveexec_b32 s38, s57
	s_cbranch_execnz .LBB522_1658
.LBB522_1179:
	s_or_b32 exec_lo, exec_lo, s38
	s_and_saveexec_b32 s38, s58
	s_cbranch_execz .LBB522_1659
.LBB522_1180:
	v_mov_b32_e32 v112, 0x6667
	v_mul_i32_i24_sdwa v113, sext(v81), v112 dst_sel:DWORD dst_unused:UNUSED_PAD src0_sel:WORD_0 src1_sel:DWORD
	v_mul_i32_i24_sdwa v112, sext(v82), v112 dst_sel:DWORD dst_unused:UNUSED_PAD src0_sel:WORD_0 src1_sel:DWORD
	v_lshrrev_b32_e32 v114, 31, v113
	v_ashrrev_i32_e32 v113, 18, v113
	v_lshrrev_b32_e32 v115, 31, v112
	v_ashrrev_i32_e32 v112, 18, v112
	v_add_nc_u16 v113, v113, v114
	v_add_nc_u16 v112, v112, v115
	v_cmp_lt_i16_e64 s35, v113, v112
	v_cndmask_b32_e64 v112, v81, v82, s35
	v_cndmask_b32_e64 v82, v82, v81, s35
	v_mov_b32_e32 v81, v112
	s_or_b32 exec_lo, exec_lo, s38
	s_and_saveexec_b32 s38, s59
	s_cbranch_execnz .LBB522_1660
.LBB522_1181:
	s_or_b32 exec_lo, exec_lo, s38
	s_and_saveexec_b32 s38, s60
	s_cbranch_execz .LBB522_1661
.LBB522_1182:
	v_mov_b32_e32 v112, 0x6667
	v_mul_i32_i24_sdwa v113, sext(v69), v112 dst_sel:DWORD dst_unused:UNUSED_PAD src0_sel:WORD_0 src1_sel:DWORD
	v_mul_i32_i24_sdwa v112, sext(v70), v112 dst_sel:DWORD dst_unused:UNUSED_PAD src0_sel:WORD_0 src1_sel:DWORD
	v_lshrrev_b32_e32 v114, 31, v113
	v_ashrrev_i32_e32 v113, 18, v113
	v_lshrrev_b32_e32 v115, 31, v112
	v_ashrrev_i32_e32 v112, 18, v112
	v_add_nc_u16 v113, v113, v114
	v_add_nc_u16 v112, v112, v115
	v_cmp_lt_i16_e64 s35, v113, v112
	v_cndmask_b32_e64 v112, v69, v70, s35
	v_cndmask_b32_e64 v70, v70, v69, s35
	v_mov_b32_e32 v69, v112
	s_or_b32 exec_lo, exec_lo, s38
	s_and_saveexec_b32 s38, s61
	s_cbranch_execnz .LBB522_1662
.LBB522_1183:
	s_or_b32 exec_lo, exec_lo, s38
	s_and_saveexec_b32 s38, s62
	s_cbranch_execz .LBB522_1663
.LBB522_1184:
	v_mov_b32_e32 v112, 0x6667
	v_mul_i32_i24_sdwa v113, sext(v65), v112 dst_sel:DWORD dst_unused:UNUSED_PAD src0_sel:WORD_0 src1_sel:DWORD
	v_mul_i32_i24_sdwa v112, sext(v66), v112 dst_sel:DWORD dst_unused:UNUSED_PAD src0_sel:WORD_0 src1_sel:DWORD
	v_lshrrev_b32_e32 v114, 31, v113
	v_ashrrev_i32_e32 v113, 18, v113
	v_lshrrev_b32_e32 v115, 31, v112
	v_ashrrev_i32_e32 v112, 18, v112
	v_add_nc_u16 v113, v113, v114
	v_add_nc_u16 v112, v112, v115
	v_cmp_lt_i16_e64 s35, v113, v112
	v_cndmask_b32_e64 v112, v65, v66, s35
	v_cndmask_b32_e64 v66, v66, v65, s35
	v_mov_b32_e32 v65, v112
	s_or_b32 exec_lo, exec_lo, s38
	s_and_saveexec_b32 s38, s63
	s_cbranch_execnz .LBB522_1664
.LBB522_1185:
	s_or_b32 exec_lo, exec_lo, s38
	s_and_saveexec_b32 s38, s72
	s_cbranch_execz .LBB522_1665
.LBB522_1186:
	v_mov_b32_e32 v112, 0x6667
	v_mul_i32_i24_sdwa v113, sext(v52), v112 dst_sel:DWORD dst_unused:UNUSED_PAD src0_sel:WORD_0 src1_sel:DWORD
	v_mul_i32_i24_sdwa v112, sext(v53), v112 dst_sel:DWORD dst_unused:UNUSED_PAD src0_sel:WORD_0 src1_sel:DWORD
	v_lshrrev_b32_e32 v114, 31, v113
	v_ashrrev_i32_e32 v113, 18, v113
	v_lshrrev_b32_e32 v115, 31, v112
	v_ashrrev_i32_e32 v112, 18, v112
	v_add_nc_u16 v113, v113, v114
	v_add_nc_u16 v112, v112, v115
	v_cmp_lt_i16_e64 s35, v113, v112
	v_cndmask_b32_e64 v112, v52, v53, s35
	v_cndmask_b32_e64 v53, v53, v52, s35
	v_mov_b32_e32 v52, v112
	s_or_b32 exec_lo, exec_lo, s38
	s_and_saveexec_b32 s38, s73
	s_cbranch_execnz .LBB522_1666
.LBB522_1187:
	s_or_b32 exec_lo, exec_lo, s38
	s_and_saveexec_b32 s38, s74
	s_cbranch_execz .LBB522_1667
.LBB522_1188:
	v_mov_b32_e32 v112, 0x6667
	v_mul_i32_i24_sdwa v113, sext(v49), v112 dst_sel:DWORD dst_unused:UNUSED_PAD src0_sel:WORD_0 src1_sel:DWORD
	v_mul_i32_i24_sdwa v112, sext(v50), v112 dst_sel:DWORD dst_unused:UNUSED_PAD src0_sel:WORD_0 src1_sel:DWORD
	v_lshrrev_b32_e32 v114, 31, v113
	v_ashrrev_i32_e32 v113, 18, v113
	v_lshrrev_b32_e32 v115, 31, v112
	v_ashrrev_i32_e32 v112, 18, v112
	v_add_nc_u16 v113, v113, v114
	v_add_nc_u16 v112, v112, v115
	v_cmp_lt_i16_e64 s35, v113, v112
	v_cndmask_b32_e64 v112, v50, v49, s35
	v_cndmask_b32_e64 v49, v49, v50, s35
	v_mov_b32_e32 v50, v112
	s_or_b32 exec_lo, exec_lo, s38
	s_and_saveexec_b32 s38, s75
	s_cbranch_execnz .LBB522_1668
.LBB522_1189:
	s_or_b32 exec_lo, exec_lo, s38
	s_and_saveexec_b32 s38, s76
	s_cbranch_execz .LBB522_1669
.LBB522_1190:
	v_mov_b32_e32 v112, 0x6667
	v_mul_i32_i24_sdwa v113, sext(v38), v112 dst_sel:DWORD dst_unused:UNUSED_PAD src0_sel:WORD_0 src1_sel:DWORD
	v_mul_i32_i24_sdwa v112, sext(v101), v112 dst_sel:DWORD dst_unused:UNUSED_PAD src0_sel:WORD_0 src1_sel:DWORD
	v_lshrrev_b32_e32 v114, 31, v113
	v_ashrrev_i32_e32 v113, 18, v113
	v_lshrrev_b32_e32 v115, 31, v112
	v_ashrrev_i32_e32 v112, 18, v112
	v_add_nc_u16 v113, v113, v114
	v_add_nc_u16 v112, v112, v115
	v_cmp_lt_i16_e64 s35, v113, v112
	v_cndmask_b32_e64 v112, v101, v38, s35
	v_cndmask_b32_e64 v38, v38, v101, s35
	v_mov_b32_e32 v101, v112
	s_or_b32 exec_lo, exec_lo, s38
	s_and_saveexec_b32 s38, s77
	s_cbranch_execnz .LBB522_1670
.LBB522_1191:
	s_or_b32 exec_lo, exec_lo, s38
	s_and_saveexec_b32 s38, s78
	s_cbranch_execz .LBB522_1671
.LBB522_1192:
	v_mov_b32_e32 v112, 0x6667
	v_mul_i32_i24_sdwa v113, sext(v96), v112 dst_sel:DWORD dst_unused:UNUSED_PAD src0_sel:WORD_0 src1_sel:DWORD
	v_mul_i32_i24_sdwa v112, sext(v98), v112 dst_sel:DWORD dst_unused:UNUSED_PAD src0_sel:WORD_0 src1_sel:DWORD
	v_lshrrev_b32_e32 v114, 31, v113
	v_ashrrev_i32_e32 v113, 18, v113
	v_lshrrev_b32_e32 v115, 31, v112
	v_ashrrev_i32_e32 v112, 18, v112
	v_add_nc_u16 v113, v113, v114
	v_add_nc_u16 v112, v112, v115
	v_cmp_lt_i16_e64 s35, v113, v112
	v_cndmask_b32_e64 v112, v96, v98, s35
	v_cndmask_b32_e64 v98, v98, v96, s35
	v_mov_b32_e32 v96, v112
	s_or_b32 exec_lo, exec_lo, s38
	s_and_saveexec_b32 s38, s79
	s_cbranch_execnz .LBB522_1672
.LBB522_1193:
	s_or_b32 exec_lo, exec_lo, s38
	s_and_saveexec_b32 s38, s88
	s_cbranch_execz .LBB522_1673
.LBB522_1194:
	v_mov_b32_e32 v112, 0x6667
	v_mul_i32_i24_sdwa v113, sext(v84), v112 dst_sel:DWORD dst_unused:UNUSED_PAD src0_sel:WORD_0 src1_sel:DWORD
	v_mul_i32_i24_sdwa v112, sext(v85), v112 dst_sel:DWORD dst_unused:UNUSED_PAD src0_sel:WORD_0 src1_sel:DWORD
	v_lshrrev_b32_e32 v114, 31, v113
	v_ashrrev_i32_e32 v113, 18, v113
	v_lshrrev_b32_e32 v115, 31, v112
	v_ashrrev_i32_e32 v112, 18, v112
	v_add_nc_u16 v113, v113, v114
	v_add_nc_u16 v112, v112, v115
	v_cmp_lt_i16_e64 s35, v113, v112
	v_cndmask_b32_e64 v112, v84, v85, s35
	v_cndmask_b32_e64 v85, v85, v84, s35
	v_mov_b32_e32 v84, v112
	s_or_b32 exec_lo, exec_lo, s38
	s_and_saveexec_b32 s38, s89
	s_cbranch_execnz .LBB522_1674
.LBB522_1195:
	s_or_b32 exec_lo, exec_lo, s38
	s_and_saveexec_b32 s38, s90
	s_cbranch_execz .LBB522_1675
.LBB522_1196:
	v_mov_b32_e32 v112, 0x6667
	v_mul_i32_i24_sdwa v113, sext(v80), v112 dst_sel:DWORD dst_unused:UNUSED_PAD src0_sel:WORD_0 src1_sel:DWORD
	v_mul_i32_i24_sdwa v112, sext(v81), v112 dst_sel:DWORD dst_unused:UNUSED_PAD src0_sel:WORD_0 src1_sel:DWORD
	v_lshrrev_b32_e32 v114, 31, v113
	v_ashrrev_i32_e32 v113, 18, v113
	v_lshrrev_b32_e32 v115, 31, v112
	v_ashrrev_i32_e32 v112, 18, v112
	v_add_nc_u16 v113, v113, v114
	v_add_nc_u16 v112, v112, v115
	v_cmp_lt_i16_e64 s35, v113, v112
	v_cndmask_b32_e64 v112, v80, v81, s35
	v_cndmask_b32_e64 v81, v81, v80, s35
	v_mov_b32_e32 v80, v112
	s_or_b32 exec_lo, exec_lo, s38
	s_and_saveexec_b32 s38, s91
	s_cbranch_execnz .LBB522_1676
.LBB522_1197:
	s_or_b32 exec_lo, exec_lo, s38
	s_and_saveexec_b32 s38, s92
	s_cbranch_execz .LBB522_1677
.LBB522_1198:
	v_mov_b32_e32 v112, 0x6667
	v_mul_i32_i24_sdwa v113, sext(v68), v112 dst_sel:DWORD dst_unused:UNUSED_PAD src0_sel:WORD_0 src1_sel:DWORD
	v_mul_i32_i24_sdwa v112, sext(v69), v112 dst_sel:DWORD dst_unused:UNUSED_PAD src0_sel:WORD_0 src1_sel:DWORD
	v_lshrrev_b32_e32 v114, 31, v113
	v_ashrrev_i32_e32 v113, 18, v113
	v_lshrrev_b32_e32 v115, 31, v112
	v_ashrrev_i32_e32 v112, 18, v112
	v_add_nc_u16 v113, v113, v114
	v_add_nc_u16 v112, v112, v115
	v_cmp_lt_i16_e64 s35, v113, v112
	v_cndmask_b32_e64 v112, v68, v69, s35
	v_cndmask_b32_e64 v69, v69, v68, s35
	v_mov_b32_e32 v68, v112
	s_or_b32 exec_lo, exec_lo, s38
	s_and_saveexec_b32 s38, s93
	s_cbranch_execnz .LBB522_1678
.LBB522_1199:
	s_or_b32 exec_lo, exec_lo, s38
	s_and_saveexec_b32 s38, s94
	s_cbranch_execz .LBB522_1679
.LBB522_1200:
	v_mov_b32_e32 v112, 0x6667
	v_mul_i32_i24_sdwa v113, sext(v64), v112 dst_sel:DWORD dst_unused:UNUSED_PAD src0_sel:WORD_0 src1_sel:DWORD
	v_mul_i32_i24_sdwa v112, sext(v65), v112 dst_sel:DWORD dst_unused:UNUSED_PAD src0_sel:WORD_0 src1_sel:DWORD
	v_lshrrev_b32_e32 v114, 31, v113
	v_ashrrev_i32_e32 v113, 18, v113
	v_lshrrev_b32_e32 v115, 31, v112
	v_ashrrev_i32_e32 v112, 18, v112
	v_add_nc_u16 v113, v113, v114
	v_add_nc_u16 v112, v112, v115
	v_cmp_lt_i16_e64 s35, v113, v112
	v_cndmask_b32_e64 v112, v64, v65, s35
	v_cndmask_b32_e64 v65, v65, v64, s35
	v_mov_b32_e32 v64, v112
	s_or_b32 exec_lo, exec_lo, s38
	s_and_saveexec_b32 s38, s95
	s_cbranch_execnz .LBB522_1680
.LBB522_1201:
	s_or_b32 exec_lo, exec_lo, s38
	s_and_saveexec_b32 s38, vcc_hi
	s_cbranch_execz .LBB522_1681
.LBB522_1202:
	v_mov_b32_e32 v112, 0x6667
	v_mul_i32_i24_sdwa v113, sext(v51), v112 dst_sel:DWORD dst_unused:UNUSED_PAD src0_sel:WORD_0 src1_sel:DWORD
	v_mul_i32_i24_sdwa v112, sext(v52), v112 dst_sel:DWORD dst_unused:UNUSED_PAD src0_sel:WORD_0 src1_sel:DWORD
	v_lshrrev_b32_e32 v114, 31, v113
	v_ashrrev_i32_e32 v113, 18, v113
	v_lshrrev_b32_e32 v115, 31, v112
	v_ashrrev_i32_e32 v112, 18, v112
	v_add_nc_u16 v113, v113, v114
	v_add_nc_u16 v112, v112, v115
	v_cmp_lt_i16_e64 s35, v113, v112
	v_cndmask_b32_e64 v112, v51, v52, s35
	v_cndmask_b32_e64 v52, v52, v51, s35
	v_mov_b32_e32 v51, v112
	s_or_b32 exec_lo, exec_lo, s38
	s_and_saveexec_b32 s38, s30
	s_cbranch_execnz .LBB522_1682
.LBB522_1203:
	s_or_b32 exec_lo, exec_lo, s38
	s_and_saveexec_b32 s38, s31
	s_cbranch_execz .LBB522_1683
.LBB522_1204:
	v_mov_b32_e32 v112, 0x6667
	v_mul_i32_i24_sdwa v113, sext(v48), v112 dst_sel:DWORD dst_unused:UNUSED_PAD src0_sel:WORD_0 src1_sel:DWORD
	v_mul_i32_i24_sdwa v112, sext(v49), v112 dst_sel:DWORD dst_unused:UNUSED_PAD src0_sel:WORD_0 src1_sel:DWORD
	v_lshrrev_b32_e32 v114, 31, v113
	v_ashrrev_i32_e32 v113, 18, v113
	v_lshrrev_b32_e32 v115, 31, v112
	v_ashrrev_i32_e32 v112, 18, v112
	v_add_nc_u16 v113, v113, v114
	v_add_nc_u16 v112, v112, v115
	v_cmp_lt_i16_e64 s35, v113, v112
	v_cndmask_b32_e64 v112, v49, v48, s35
	v_cndmask_b32_e64 v48, v48, v49, s35
	v_mov_b32_e32 v49, v112
	s_or_b32 exec_lo, exec_lo, s38
	s_and_saveexec_b32 s38, s34
	s_cbranch_execnz .LBB522_1684
.LBB522_1205:
	s_or_b32 exec_lo, exec_lo, s38
	s_and_saveexec_b32 s38, s8
	s_cbranch_execz .LBB522_1685
.LBB522_1206:
	v_mov_b32_e32 v112, 0x6667
	v_mul_i32_i24_sdwa v113, sext(v100), v112 dst_sel:DWORD dst_unused:UNUSED_PAD src0_sel:WORD_0 src1_sel:DWORD
	v_mul_i32_i24_sdwa v112, sext(v97), v112 dst_sel:DWORD dst_unused:UNUSED_PAD src0_sel:WORD_0 src1_sel:DWORD
	v_lshrrev_b32_e32 v114, 31, v113
	v_ashrrev_i32_e32 v113, 18, v113
	v_lshrrev_b32_e32 v115, 31, v112
	v_ashrrev_i32_e32 v112, 18, v112
	v_add_nc_u16 v113, v113, v114
	v_add_nc_u16 v112, v112, v115
	v_cmp_lt_i16_e64 s35, v113, v112
	v_cndmask_b32_e64 v112, v100, v97, s35
	v_cndmask_b32_e64 v97, v97, v100, s35
	v_mov_b32_e32 v100, v112
	s_or_b32 exec_lo, exec_lo, s38
	s_and_saveexec_b32 s38, s9
	s_cbranch_execnz .LBB522_1686
.LBB522_1207:
	s_or_b32 exec_lo, exec_lo, s38
	s_and_saveexec_b32 s38, s12
	s_cbranch_execz .LBB522_1687
.LBB522_1208:
	v_mov_b32_e32 v112, 0x6667
	v_mul_i32_i24_sdwa v113, sext(v87), v112 dst_sel:DWORD dst_unused:UNUSED_PAD src0_sel:WORD_0 src1_sel:DWORD
	v_mul_i32_i24_sdwa v112, sext(v96), v112 dst_sel:DWORD dst_unused:UNUSED_PAD src0_sel:WORD_0 src1_sel:DWORD
	v_lshrrev_b32_e32 v114, 31, v113
	v_ashrrev_i32_e32 v113, 18, v113
	v_lshrrev_b32_e32 v115, 31, v112
	v_ashrrev_i32_e32 v112, 18, v112
	v_add_nc_u16 v113, v113, v114
	v_add_nc_u16 v112, v112, v115
	v_cmp_lt_i16_e64 s35, v113, v112
	v_cndmask_b32_e64 v112, v87, v96, s35
	v_cndmask_b32_e64 v96, v96, v87, s35
	v_mov_b32_e32 v87, v112
	s_or_b32 exec_lo, exec_lo, s38
	s_and_saveexec_b32 s38, s13
	s_cbranch_execnz .LBB522_1688
.LBB522_1209:
	s_or_b32 exec_lo, exec_lo, s38
	s_and_saveexec_b32 s38, s57
	s_cbranch_execz .LBB522_1689
.LBB522_1210:
	v_mov_b32_e32 v112, 0x6667
	v_mul_i32_i24_sdwa v113, sext(v83), v112 dst_sel:DWORD dst_unused:UNUSED_PAD src0_sel:WORD_0 src1_sel:DWORD
	v_mul_i32_i24_sdwa v112, sext(v84), v112 dst_sel:DWORD dst_unused:UNUSED_PAD src0_sel:WORD_0 src1_sel:DWORD
	v_lshrrev_b32_e32 v114, 31, v113
	v_ashrrev_i32_e32 v113, 18, v113
	v_lshrrev_b32_e32 v115, 31, v112
	v_ashrrev_i32_e32 v112, 18, v112
	v_add_nc_u16 v113, v113, v114
	v_add_nc_u16 v112, v112, v115
	v_cmp_lt_i16_e64 s35, v113, v112
	v_cndmask_b32_e64 v112, v83, v84, s35
	v_cndmask_b32_e64 v84, v84, v83, s35
	v_mov_b32_e32 v83, v112
	s_or_b32 exec_lo, exec_lo, s38
	s_and_saveexec_b32 s38, s58
	s_cbranch_execnz .LBB522_1690
.LBB522_1211:
	s_or_b32 exec_lo, exec_lo, s38
	s_and_saveexec_b32 s38, s59
	s_cbranch_execz .LBB522_1691
.LBB522_1212:
	v_mov_b32_e32 v112, 0x6667
	v_mul_i32_i24_sdwa v113, sext(v71), v112 dst_sel:DWORD dst_unused:UNUSED_PAD src0_sel:WORD_0 src1_sel:DWORD
	v_mul_i32_i24_sdwa v112, sext(v80), v112 dst_sel:DWORD dst_unused:UNUSED_PAD src0_sel:WORD_0 src1_sel:DWORD
	v_lshrrev_b32_e32 v114, 31, v113
	v_ashrrev_i32_e32 v113, 18, v113
	v_lshrrev_b32_e32 v115, 31, v112
	v_ashrrev_i32_e32 v112, 18, v112
	v_add_nc_u16 v113, v113, v114
	v_add_nc_u16 v112, v112, v115
	v_cmp_lt_i16_e64 s35, v113, v112
	v_cndmask_b32_e64 v112, v71, v80, s35
	v_cndmask_b32_e64 v80, v80, v71, s35
	v_mov_b32_e32 v71, v112
	s_or_b32 exec_lo, exec_lo, s38
	s_and_saveexec_b32 s38, s60
	s_cbranch_execnz .LBB522_1692
.LBB522_1213:
	s_or_b32 exec_lo, exec_lo, s38
	s_and_saveexec_b32 s38, s61
	s_cbranch_execz .LBB522_1693
.LBB522_1214:
	v_mov_b32_e32 v112, 0x6667
	v_mul_i32_i24_sdwa v113, sext(v67), v112 dst_sel:DWORD dst_unused:UNUSED_PAD src0_sel:WORD_0 src1_sel:DWORD
	v_mul_i32_i24_sdwa v112, sext(v68), v112 dst_sel:DWORD dst_unused:UNUSED_PAD src0_sel:WORD_0 src1_sel:DWORD
	v_lshrrev_b32_e32 v114, 31, v113
	v_ashrrev_i32_e32 v113, 18, v113
	v_lshrrev_b32_e32 v115, 31, v112
	v_ashrrev_i32_e32 v112, 18, v112
	v_add_nc_u16 v113, v113, v114
	v_add_nc_u16 v112, v112, v115
	v_cmp_lt_i16_e64 s35, v113, v112
	v_cndmask_b32_e64 v112, v67, v68, s35
	v_cndmask_b32_e64 v68, v68, v67, s35
	v_mov_b32_e32 v67, v112
	s_or_b32 exec_lo, exec_lo, s38
	s_and_saveexec_b32 s38, s62
	s_cbranch_execnz .LBB522_1694
.LBB522_1215:
	s_or_b32 exec_lo, exec_lo, s38
	s_and_saveexec_b32 s38, s63
	s_cbranch_execz .LBB522_1695
.LBB522_1216:
	v_mov_b32_e32 v112, 0x6667
	v_mul_i32_i24_sdwa v113, sext(v55), v112 dst_sel:DWORD dst_unused:UNUSED_PAD src0_sel:WORD_0 src1_sel:DWORD
	v_mul_i32_i24_sdwa v112, sext(v64), v112 dst_sel:DWORD dst_unused:UNUSED_PAD src0_sel:WORD_0 src1_sel:DWORD
	v_lshrrev_b32_e32 v114, 31, v113
	v_ashrrev_i32_e32 v113, 18, v113
	v_lshrrev_b32_e32 v115, 31, v112
	v_ashrrev_i32_e32 v112, 18, v112
	v_add_nc_u16 v113, v113, v114
	v_add_nc_u16 v112, v112, v115
	v_cmp_lt_i16_e64 s35, v113, v112
	v_cndmask_b32_e64 v112, v55, v64, s35
	v_cndmask_b32_e64 v64, v64, v55, s35
	v_mov_b32_e32 v55, v112
	s_or_b32 exec_lo, exec_lo, s38
	s_and_saveexec_b32 s38, s72
	s_cbranch_execnz .LBB522_1696
.LBB522_1217:
	s_or_b32 exec_lo, exec_lo, s38
	s_and_saveexec_b32 s38, s73
	s_cbranch_execz .LBB522_1697
.LBB522_1218:
	v_mov_b32_e32 v112, 0x6667
	v_mul_i32_i24_sdwa v113, sext(v54), v112 dst_sel:DWORD dst_unused:UNUSED_PAD src0_sel:WORD_0 src1_sel:DWORD
	v_mul_i32_i24_sdwa v112, sext(v51), v112 dst_sel:DWORD dst_unused:UNUSED_PAD src0_sel:WORD_0 src1_sel:DWORD
	v_lshrrev_b32_e32 v114, 31, v113
	v_ashrrev_i32_e32 v113, 18, v113
	v_lshrrev_b32_e32 v115, 31, v112
	v_ashrrev_i32_e32 v112, 18, v112
	v_add_nc_u16 v113, v113, v114
	v_add_nc_u16 v112, v112, v115
	v_cmp_lt_i16_e64 s35, v113, v112
	v_cndmask_b32_e64 v112, v54, v51, s35
	v_cndmask_b32_e64 v51, v51, v54, s35
	v_mov_b32_e32 v54, v112
	s_or_b32 exec_lo, exec_lo, s38
	s_and_saveexec_b32 s38, s74
	s_cbranch_execnz .LBB522_1698
.LBB522_1219:
	s_or_b32 exec_lo, exec_lo, s38
	s_and_saveexec_b32 s38, s75
	s_cbranch_execz .LBB522_1699
.LBB522_1220:
	v_mov_b32_e32 v112, 0x6667
	v_mul_i32_i24_sdwa v113, sext(v39), v112 dst_sel:DWORD dst_unused:UNUSED_PAD src0_sel:WORD_0 src1_sel:DWORD
	v_mul_i32_i24_sdwa v112, sext(v48), v112 dst_sel:DWORD dst_unused:UNUSED_PAD src0_sel:WORD_0 src1_sel:DWORD
	v_lshrrev_b32_e32 v114, 31, v113
	v_ashrrev_i32_e32 v113, 18, v113
	v_lshrrev_b32_e32 v115, 31, v112
	v_ashrrev_i32_e32 v112, 18, v112
	v_add_nc_u16 v113, v113, v114
	v_add_nc_u16 v112, v112, v115
	v_cmp_lt_i16_e64 s35, v113, v112
	v_cndmask_b32_e64 v112, v48, v39, s35
	v_cndmask_b32_e64 v39, v39, v48, s35
	v_mov_b32_e32 v48, v112
	s_or_b32 exec_lo, exec_lo, s38
	s_and_saveexec_b32 s38, s76
	s_cbranch_execnz .LBB522_1700
.LBB522_1221:
	s_or_b32 exec_lo, exec_lo, s38
	s_and_saveexec_b32 s38, s77
	s_cbranch_execz .LBB522_1701
.LBB522_1222:
	v_mov_b32_e32 v112, 0x6667
	v_mul_i32_i24_sdwa v113, sext(v99), v112 dst_sel:DWORD dst_unused:UNUSED_PAD src0_sel:WORD_0 src1_sel:DWORD
	v_mul_i32_i24_sdwa v112, sext(v100), v112 dst_sel:DWORD dst_unused:UNUSED_PAD src0_sel:WORD_0 src1_sel:DWORD
	v_lshrrev_b32_e32 v114, 31, v113
	v_ashrrev_i32_e32 v113, 18, v113
	v_lshrrev_b32_e32 v115, 31, v112
	v_ashrrev_i32_e32 v112, 18, v112
	v_add_nc_u16 v113, v113, v114
	v_add_nc_u16 v112, v112, v115
	v_cmp_lt_i16_e64 s35, v113, v112
	v_cndmask_b32_e64 v112, v99, v100, s35
	v_cndmask_b32_e64 v100, v100, v99, s35
	v_mov_b32_e32 v99, v112
	s_or_b32 exec_lo, exec_lo, s38
	s_and_saveexec_b32 s38, s78
	s_cbranch_execnz .LBB522_1702
.LBB522_1223:
	s_or_b32 exec_lo, exec_lo, s38
	s_and_saveexec_b32 s38, s79
	s_cbranch_execz .LBB522_1703
.LBB522_1224:
	v_mov_b32_e32 v112, 0x6667
	v_mul_i32_i24_sdwa v113, sext(v86), v112 dst_sel:DWORD dst_unused:UNUSED_PAD src0_sel:WORD_0 src1_sel:DWORD
	v_mul_i32_i24_sdwa v112, sext(v87), v112 dst_sel:DWORD dst_unused:UNUSED_PAD src0_sel:WORD_0 src1_sel:DWORD
	v_lshrrev_b32_e32 v114, 31, v113
	v_ashrrev_i32_e32 v113, 18, v113
	v_lshrrev_b32_e32 v115, 31, v112
	v_ashrrev_i32_e32 v112, 18, v112
	v_add_nc_u16 v113, v113, v114
	v_add_nc_u16 v112, v112, v115
	v_cmp_lt_i16_e64 s35, v113, v112
	v_cndmask_b32_e64 v112, v86, v87, s35
	v_cndmask_b32_e64 v87, v87, v86, s35
	v_mov_b32_e32 v86, v112
	s_or_b32 exec_lo, exec_lo, s38
	s_and_saveexec_b32 s38, s88
	s_cbranch_execnz .LBB522_1704
.LBB522_1225:
	s_or_b32 exec_lo, exec_lo, s38
	s_and_saveexec_b32 s38, s89
	s_cbranch_execz .LBB522_1705
.LBB522_1226:
	v_mov_b32_e32 v112, 0x6667
	v_mul_i32_i24_sdwa v113, sext(v82), v112 dst_sel:DWORD dst_unused:UNUSED_PAD src0_sel:WORD_0 src1_sel:DWORD
	v_mul_i32_i24_sdwa v112, sext(v83), v112 dst_sel:DWORD dst_unused:UNUSED_PAD src0_sel:WORD_0 src1_sel:DWORD
	v_lshrrev_b32_e32 v114, 31, v113
	v_ashrrev_i32_e32 v113, 18, v113
	v_lshrrev_b32_e32 v115, 31, v112
	v_ashrrev_i32_e32 v112, 18, v112
	v_add_nc_u16 v113, v113, v114
	v_add_nc_u16 v112, v112, v115
	v_cmp_lt_i16_e64 s35, v113, v112
	v_cndmask_b32_e64 v112, v82, v83, s35
	v_cndmask_b32_e64 v83, v83, v82, s35
	v_mov_b32_e32 v82, v112
	s_or_b32 exec_lo, exec_lo, s38
	s_and_saveexec_b32 s38, s90
	s_cbranch_execnz .LBB522_1706
.LBB522_1227:
	s_or_b32 exec_lo, exec_lo, s38
	s_and_saveexec_b32 s38, s91
	s_cbranch_execz .LBB522_1707
.LBB522_1228:
	v_mov_b32_e32 v112, 0x6667
	v_mul_i32_i24_sdwa v113, sext(v70), v112 dst_sel:DWORD dst_unused:UNUSED_PAD src0_sel:WORD_0 src1_sel:DWORD
	v_mul_i32_i24_sdwa v112, sext(v71), v112 dst_sel:DWORD dst_unused:UNUSED_PAD src0_sel:WORD_0 src1_sel:DWORD
	v_lshrrev_b32_e32 v114, 31, v113
	v_ashrrev_i32_e32 v113, 18, v113
	v_lshrrev_b32_e32 v115, 31, v112
	v_ashrrev_i32_e32 v112, 18, v112
	v_add_nc_u16 v113, v113, v114
	v_add_nc_u16 v112, v112, v115
	v_cmp_lt_i16_e64 s35, v113, v112
	v_cndmask_b32_e64 v112, v70, v71, s35
	v_cndmask_b32_e64 v71, v71, v70, s35
	v_mov_b32_e32 v70, v112
	s_or_b32 exec_lo, exec_lo, s38
	s_and_saveexec_b32 s38, s92
	s_cbranch_execnz .LBB522_1708
.LBB522_1229:
	s_or_b32 exec_lo, exec_lo, s38
	s_and_saveexec_b32 s38, s93
	s_cbranch_execz .LBB522_1709
.LBB522_1230:
	v_mov_b32_e32 v112, 0x6667
	v_mul_i32_i24_sdwa v113, sext(v66), v112 dst_sel:DWORD dst_unused:UNUSED_PAD src0_sel:WORD_0 src1_sel:DWORD
	v_mul_i32_i24_sdwa v112, sext(v67), v112 dst_sel:DWORD dst_unused:UNUSED_PAD src0_sel:WORD_0 src1_sel:DWORD
	v_lshrrev_b32_e32 v114, 31, v113
	v_ashrrev_i32_e32 v113, 18, v113
	v_lshrrev_b32_e32 v115, 31, v112
	v_ashrrev_i32_e32 v112, 18, v112
	v_add_nc_u16 v113, v113, v114
	v_add_nc_u16 v112, v112, v115
	v_cmp_lt_i16_e64 s35, v113, v112
	v_cndmask_b32_e64 v112, v66, v67, s35
	v_cndmask_b32_e64 v67, v67, v66, s35
	v_mov_b32_e32 v66, v112
	s_or_b32 exec_lo, exec_lo, s38
	s_and_saveexec_b32 s38, s94
	s_cbranch_execnz .LBB522_1710
.LBB522_1231:
	s_or_b32 exec_lo, exec_lo, s38
	s_and_saveexec_b32 s38, s95
	s_cbranch_execz .LBB522_1711
.LBB522_1232:
	v_mov_b32_e32 v112, 0x6667
	v_mul_i32_i24_sdwa v113, sext(v53), v112 dst_sel:DWORD dst_unused:UNUSED_PAD src0_sel:WORD_0 src1_sel:DWORD
	v_mul_i32_i24_sdwa v112, sext(v55), v112 dst_sel:DWORD dst_unused:UNUSED_PAD src0_sel:WORD_0 src1_sel:DWORD
	v_lshrrev_b32_e32 v114, 31, v113
	v_ashrrev_i32_e32 v113, 18, v113
	v_lshrrev_b32_e32 v115, 31, v112
	v_ashrrev_i32_e32 v112, 18, v112
	v_add_nc_u16 v113, v113, v114
	v_add_nc_u16 v112, v112, v115
	v_cmp_lt_i16_e64 s35, v113, v112
	v_cndmask_b32_e64 v112, v53, v55, s35
	v_cndmask_b32_e64 v55, v55, v53, s35
	v_mov_b32_e32 v53, v112
	s_or_b32 exec_lo, exec_lo, s38
	s_and_saveexec_b32 s38, vcc_hi
	s_cbranch_execnz .LBB522_1712
.LBB522_1233:
	s_or_b32 exec_lo, exec_lo, s38
	s_and_saveexec_b32 s38, s30
	s_cbranch_execz .LBB522_1713
.LBB522_1234:
	v_mov_b32_e32 v112, 0x6667
	v_mul_i32_i24_sdwa v113, sext(v50), v112 dst_sel:DWORD dst_unused:UNUSED_PAD src0_sel:WORD_0 src1_sel:DWORD
	v_mul_i32_i24_sdwa v112, sext(v54), v112 dst_sel:DWORD dst_unused:UNUSED_PAD src0_sel:WORD_0 src1_sel:DWORD
	v_lshrrev_b32_e32 v114, 31, v113
	v_ashrrev_i32_e32 v113, 18, v113
	v_lshrrev_b32_e32 v115, 31, v112
	v_ashrrev_i32_e32 v112, 18, v112
	v_add_nc_u16 v113, v113, v114
	v_add_nc_u16 v112, v112, v115
	v_cmp_lt_i16_e64 s35, v113, v112
	v_cndmask_b32_e64 v112, v54, v50, s35
	v_cndmask_b32_e64 v50, v50, v54, s35
	v_mov_b32_e32 v54, v112
	s_or_b32 exec_lo, exec_lo, s38
	s_and_saveexec_b32 s38, s31
	s_cbranch_execnz .LBB522_1714
.LBB522_1235:
	s_or_b32 exec_lo, exec_lo, s38
	s_and_saveexec_b32 s38, s34
	s_cbranch_execz .LBB522_1715
.LBB522_1236:
	v_mov_b32_e32 v112, 0x6667
	v_mul_i32_i24_sdwa v113, sext(v101), v112 dst_sel:DWORD dst_unused:UNUSED_PAD src0_sel:WORD_0 src1_sel:DWORD
	v_mul_i32_i24_sdwa v112, sext(v39), v112 dst_sel:DWORD dst_unused:UNUSED_PAD src0_sel:WORD_0 src1_sel:DWORD
	v_lshrrev_b32_e32 v114, 31, v113
	v_ashrrev_i32_e32 v113, 18, v113
	v_lshrrev_b32_e32 v115, 31, v112
	v_ashrrev_i32_e32 v112, 18, v112
	v_add_nc_u16 v113, v113, v114
	v_add_nc_u16 v112, v112, v115
	v_cmp_lt_i16_e64 s35, v113, v112
	v_cndmask_b32_e64 v112, v39, v101, s35
	v_cndmask_b32_e64 v101, v101, v39, s35
	v_mov_b32_e32 v39, v112
	s_or_b32 exec_lo, exec_lo, s38
	s_and_saveexec_b32 s35, s8
	s_cbranch_execnz .LBB522_1716
.LBB522_1237:
	s_or_b32 exec_lo, exec_lo, s35
	s_and_saveexec_b32 s35, s9
	s_cbranch_execz .LBB522_1717
.LBB522_1238:
	v_mov_b32_e32 v112, 0x6667
	v_mul_i32_i24_sdwa v113, sext(v98), v112 dst_sel:DWORD dst_unused:UNUSED_PAD src0_sel:WORD_0 src1_sel:DWORD
	v_mul_i32_i24_sdwa v112, sext(v99), v112 dst_sel:DWORD dst_unused:UNUSED_PAD src0_sel:WORD_0 src1_sel:DWORD
	v_lshrrev_b32_e32 v114, 31, v113
	v_ashrrev_i32_e32 v113, 18, v113
	v_lshrrev_b32_e32 v115, 31, v112
	v_ashrrev_i32_e32 v112, 18, v112
	v_add_nc_u16 v113, v113, v114
	v_add_nc_u16 v112, v112, v115
	v_cmp_lt_i16_e64 s8, v113, v112
	v_cndmask_b32_e64 v112, v98, v99, s8
	v_cndmask_b32_e64 v99, v99, v98, s8
	v_mov_b32_e32 v98, v112
	s_or_b32 exec_lo, exec_lo, s35
	s_and_saveexec_b32 s9, s12
	s_cbranch_execnz .LBB522_1718
.LBB522_1239:
	s_or_b32 exec_lo, exec_lo, s9
	s_and_saveexec_b32 s9, s13
	s_cbranch_execz .LBB522_1719
.LBB522_1240:
	v_mov_b32_e32 v112, 0x6667
	v_mul_i32_i24_sdwa v113, sext(v85), v112 dst_sel:DWORD dst_unused:UNUSED_PAD src0_sel:WORD_0 src1_sel:DWORD
	v_mul_i32_i24_sdwa v112, sext(v86), v112 dst_sel:DWORD dst_unused:UNUSED_PAD src0_sel:WORD_0 src1_sel:DWORD
	v_lshrrev_b32_e32 v114, 31, v113
	v_ashrrev_i32_e32 v113, 18, v113
	v_lshrrev_b32_e32 v115, 31, v112
	v_ashrrev_i32_e32 v112, 18, v112
	v_add_nc_u16 v113, v113, v114
	v_add_nc_u16 v112, v112, v115
	v_cmp_lt_i16_e64 s8, v113, v112
	v_cndmask_b32_e64 v112, v85, v86, s8
	v_cndmask_b32_e64 v86, v86, v85, s8
	v_mov_b32_e32 v85, v112
	s_or_b32 exec_lo, exec_lo, s9
	s_and_saveexec_b32 s9, s57
	s_cbranch_execnz .LBB522_1720
.LBB522_1241:
	s_or_b32 exec_lo, exec_lo, s9
	s_and_saveexec_b32 s9, s58
	s_cbranch_execz .LBB522_1721
.LBB522_1242:
	v_mov_b32_e32 v112, 0x6667
	v_mul_i32_i24_sdwa v113, sext(v81), v112 dst_sel:DWORD dst_unused:UNUSED_PAD src0_sel:WORD_0 src1_sel:DWORD
	v_mul_i32_i24_sdwa v112, sext(v82), v112 dst_sel:DWORD dst_unused:UNUSED_PAD src0_sel:WORD_0 src1_sel:DWORD
	v_lshrrev_b32_e32 v114, 31, v113
	v_ashrrev_i32_e32 v113, 18, v113
	v_lshrrev_b32_e32 v115, 31, v112
	v_ashrrev_i32_e32 v112, 18, v112
	v_add_nc_u16 v113, v113, v114
	v_add_nc_u16 v112, v112, v115
	v_cmp_lt_i16_e64 s8, v113, v112
	v_cndmask_b32_e64 v112, v81, v82, s8
	v_cndmask_b32_e64 v82, v82, v81, s8
	v_mov_b32_e32 v81, v112
	s_or_b32 exec_lo, exec_lo, s9
	s_and_saveexec_b32 s9, s59
	s_cbranch_execnz .LBB522_1722
.LBB522_1243:
	s_or_b32 exec_lo, exec_lo, s9
	s_and_saveexec_b32 s9, s60
	s_cbranch_execz .LBB522_1723
.LBB522_1244:
	v_mov_b32_e32 v112, 0x6667
	v_mul_i32_i24_sdwa v113, sext(v69), v112 dst_sel:DWORD dst_unused:UNUSED_PAD src0_sel:WORD_0 src1_sel:DWORD
	v_mul_i32_i24_sdwa v112, sext(v70), v112 dst_sel:DWORD dst_unused:UNUSED_PAD src0_sel:WORD_0 src1_sel:DWORD
	v_lshrrev_b32_e32 v114, 31, v113
	v_ashrrev_i32_e32 v113, 18, v113
	v_lshrrev_b32_e32 v115, 31, v112
	v_ashrrev_i32_e32 v112, 18, v112
	v_add_nc_u16 v113, v113, v114
	v_add_nc_u16 v112, v112, v115
	v_cmp_lt_i16_e64 s8, v113, v112
	v_cndmask_b32_e64 v112, v69, v70, s8
	v_cndmask_b32_e64 v70, v70, v69, s8
	v_mov_b32_e32 v69, v112
	s_or_b32 exec_lo, exec_lo, s9
	s_and_saveexec_b32 s9, s61
	s_cbranch_execnz .LBB522_1724
.LBB522_1245:
	s_or_b32 exec_lo, exec_lo, s9
	s_and_saveexec_b32 s9, s62
	s_cbranch_execz .LBB522_1725
.LBB522_1246:
	v_mov_b32_e32 v112, 0x6667
	v_mul_i32_i24_sdwa v113, sext(v65), v112 dst_sel:DWORD dst_unused:UNUSED_PAD src0_sel:WORD_0 src1_sel:DWORD
	v_mul_i32_i24_sdwa v112, sext(v66), v112 dst_sel:DWORD dst_unused:UNUSED_PAD src0_sel:WORD_0 src1_sel:DWORD
	v_lshrrev_b32_e32 v114, 31, v113
	v_ashrrev_i32_e32 v113, 18, v113
	v_lshrrev_b32_e32 v115, 31, v112
	v_ashrrev_i32_e32 v112, 18, v112
	v_add_nc_u16 v113, v113, v114
	v_add_nc_u16 v112, v112, v115
	v_cmp_lt_i16_e64 s8, v113, v112
	v_cndmask_b32_e64 v112, v65, v66, s8
	v_cndmask_b32_e64 v66, v66, v65, s8
	v_mov_b32_e32 v65, v112
	s_or_b32 exec_lo, exec_lo, s9
	s_and_saveexec_b32 s9, s63
	s_cbranch_execnz .LBB522_1726
.LBB522_1247:
	s_or_b32 exec_lo, exec_lo, s9
	s_and_saveexec_b32 s9, s72
	s_cbranch_execz .LBB522_1727
.LBB522_1248:
	v_mov_b32_e32 v112, 0x6667
	v_mul_i32_i24_sdwa v113, sext(v52), v112 dst_sel:DWORD dst_unused:UNUSED_PAD src0_sel:WORD_0 src1_sel:DWORD
	v_mul_i32_i24_sdwa v112, sext(v53), v112 dst_sel:DWORD dst_unused:UNUSED_PAD src0_sel:WORD_0 src1_sel:DWORD
	v_lshrrev_b32_e32 v114, 31, v113
	v_ashrrev_i32_e32 v113, 18, v113
	v_lshrrev_b32_e32 v115, 31, v112
	v_ashrrev_i32_e32 v112, 18, v112
	v_add_nc_u16 v113, v113, v114
	v_add_nc_u16 v112, v112, v115
	v_cmp_lt_i16_e64 s8, v113, v112
	v_cndmask_b32_e64 v112, v52, v53, s8
	v_cndmask_b32_e64 v53, v53, v52, s8
	v_mov_b32_e32 v52, v112
	s_or_b32 exec_lo, exec_lo, s9
	s_and_saveexec_b32 s9, s73
	s_cbranch_execnz .LBB522_1728
.LBB522_1249:
	s_or_b32 exec_lo, exec_lo, s9
	s_and_saveexec_b32 s9, s74
	s_cbranch_execz .LBB522_1729
.LBB522_1250:
	v_mov_b32_e32 v112, 0x6667
	v_mul_i32_i24_sdwa v113, sext(v49), v112 dst_sel:DWORD dst_unused:UNUSED_PAD src0_sel:WORD_0 src1_sel:DWORD
	v_mul_i32_i24_sdwa v112, sext(v50), v112 dst_sel:DWORD dst_unused:UNUSED_PAD src0_sel:WORD_0 src1_sel:DWORD
	v_lshrrev_b32_e32 v114, 31, v113
	v_ashrrev_i32_e32 v113, 18, v113
	v_lshrrev_b32_e32 v115, 31, v112
	v_ashrrev_i32_e32 v112, 18, v112
	v_add_nc_u16 v113, v113, v114
	v_add_nc_u16 v112, v112, v115
	v_cmp_lt_i16_e64 s8, v113, v112
	v_cndmask_b32_e64 v112, v50, v49, s8
	v_cndmask_b32_e64 v49, v49, v50, s8
	v_mov_b32_e32 v50, v112
	s_or_b32 exec_lo, exec_lo, s9
	s_and_saveexec_b32 s9, s75
	s_cbranch_execnz .LBB522_1730
.LBB522_1251:
	s_or_b32 exec_lo, exec_lo, s9
	s_and_saveexec_b32 s9, s76
	s_cbranch_execz .LBB522_1731
.LBB522_1252:
	v_mov_b32_e32 v112, 0x6667
	v_mul_i32_i24_sdwa v113, sext(v38), v112 dst_sel:DWORD dst_unused:UNUSED_PAD src0_sel:WORD_0 src1_sel:DWORD
	v_mul_i32_i24_sdwa v112, sext(v101), v112 dst_sel:DWORD dst_unused:UNUSED_PAD src0_sel:WORD_0 src1_sel:DWORD
	v_lshrrev_b32_e32 v114, 31, v113
	v_ashrrev_i32_e32 v113, 18, v113
	v_lshrrev_b32_e32 v115, 31, v112
	v_ashrrev_i32_e32 v112, 18, v112
	v_add_nc_u16 v113, v113, v114
	v_add_nc_u16 v112, v112, v115
	v_cmp_lt_i16_e64 s8, v113, v112
	v_cndmask_b32_e64 v112, v101, v38, s8
	v_cndmask_b32_e64 v38, v38, v101, s8
	v_mov_b32_e32 v101, v112
	s_or_b32 exec_lo, exec_lo, s9
	s_and_saveexec_b32 s9, s77
	s_cbranch_execnz .LBB522_1732
.LBB522_1253:
	s_or_b32 exec_lo, exec_lo, s9
	s_and_saveexec_b32 s9, s78
	s_cbranch_execz .LBB522_1733
.LBB522_1254:
	v_mov_b32_e32 v112, 0x6667
	v_mul_i32_i24_sdwa v113, sext(v96), v112 dst_sel:DWORD dst_unused:UNUSED_PAD src0_sel:WORD_0 src1_sel:DWORD
	v_mul_i32_i24_sdwa v112, sext(v98), v112 dst_sel:DWORD dst_unused:UNUSED_PAD src0_sel:WORD_0 src1_sel:DWORD
	v_lshrrev_b32_e32 v114, 31, v113
	v_ashrrev_i32_e32 v113, 18, v113
	v_lshrrev_b32_e32 v115, 31, v112
	v_ashrrev_i32_e32 v112, 18, v112
	v_add_nc_u16 v113, v113, v114
	v_add_nc_u16 v112, v112, v115
	v_cmp_lt_i16_e64 s8, v113, v112
	v_cndmask_b32_e64 v112, v96, v98, s8
	v_cndmask_b32_e64 v98, v98, v96, s8
	v_mov_b32_e32 v96, v112
	s_or_b32 exec_lo, exec_lo, s9
	s_and_saveexec_b32 s9, s79
	s_cbranch_execnz .LBB522_1734
.LBB522_1255:
	s_or_b32 exec_lo, exec_lo, s9
	s_and_saveexec_b32 s9, s88
	s_cbranch_execz .LBB522_1735
.LBB522_1256:
	v_mov_b32_e32 v112, 0x6667
	v_mul_i32_i24_sdwa v113, sext(v84), v112 dst_sel:DWORD dst_unused:UNUSED_PAD src0_sel:WORD_0 src1_sel:DWORD
	v_mul_i32_i24_sdwa v112, sext(v85), v112 dst_sel:DWORD dst_unused:UNUSED_PAD src0_sel:WORD_0 src1_sel:DWORD
	v_lshrrev_b32_e32 v114, 31, v113
	v_ashrrev_i32_e32 v113, 18, v113
	v_lshrrev_b32_e32 v115, 31, v112
	v_ashrrev_i32_e32 v112, 18, v112
	v_add_nc_u16 v113, v113, v114
	v_add_nc_u16 v112, v112, v115
	v_cmp_lt_i16_e64 s8, v113, v112
	v_cndmask_b32_e64 v112, v84, v85, s8
	v_cndmask_b32_e64 v85, v85, v84, s8
	v_mov_b32_e32 v84, v112
	s_or_b32 exec_lo, exec_lo, s9
	s_and_saveexec_b32 s9, s89
	s_cbranch_execnz .LBB522_1736
.LBB522_1257:
	s_or_b32 exec_lo, exec_lo, s9
	s_and_saveexec_b32 s9, s90
	s_cbranch_execz .LBB522_1737
.LBB522_1258:
	v_mov_b32_e32 v112, 0x6667
	v_mul_i32_i24_sdwa v113, sext(v80), v112 dst_sel:DWORD dst_unused:UNUSED_PAD src0_sel:WORD_0 src1_sel:DWORD
	v_mul_i32_i24_sdwa v112, sext(v81), v112 dst_sel:DWORD dst_unused:UNUSED_PAD src0_sel:WORD_0 src1_sel:DWORD
	v_lshrrev_b32_e32 v114, 31, v113
	v_ashrrev_i32_e32 v113, 18, v113
	v_lshrrev_b32_e32 v115, 31, v112
	v_ashrrev_i32_e32 v112, 18, v112
	v_add_nc_u16 v113, v113, v114
	v_add_nc_u16 v112, v112, v115
	v_cmp_lt_i16_e64 s8, v113, v112
	v_cndmask_b32_e64 v112, v80, v81, s8
	v_cndmask_b32_e64 v81, v81, v80, s8
	v_mov_b32_e32 v80, v112
	s_or_b32 exec_lo, exec_lo, s9
	s_and_saveexec_b32 s9, s91
	s_cbranch_execnz .LBB522_1738
.LBB522_1259:
	s_or_b32 exec_lo, exec_lo, s9
	s_and_saveexec_b32 s9, s92
	s_cbranch_execz .LBB522_1739
.LBB522_1260:
	v_mov_b32_e32 v112, 0x6667
	v_mul_i32_i24_sdwa v113, sext(v68), v112 dst_sel:DWORD dst_unused:UNUSED_PAD src0_sel:WORD_0 src1_sel:DWORD
	v_mul_i32_i24_sdwa v112, sext(v69), v112 dst_sel:DWORD dst_unused:UNUSED_PAD src0_sel:WORD_0 src1_sel:DWORD
	v_lshrrev_b32_e32 v114, 31, v113
	v_ashrrev_i32_e32 v113, 18, v113
	v_lshrrev_b32_e32 v115, 31, v112
	v_ashrrev_i32_e32 v112, 18, v112
	v_add_nc_u16 v113, v113, v114
	v_add_nc_u16 v112, v112, v115
	v_cmp_lt_i16_e64 s8, v113, v112
	v_cndmask_b32_e64 v112, v68, v69, s8
	v_cndmask_b32_e64 v69, v69, v68, s8
	v_mov_b32_e32 v68, v112
	s_or_b32 exec_lo, exec_lo, s9
	s_and_saveexec_b32 s9, s93
	s_cbranch_execnz .LBB522_1740
.LBB522_1261:
	s_or_b32 exec_lo, exec_lo, s9
	s_and_saveexec_b32 s9, s94
	s_cbranch_execz .LBB522_1741
.LBB522_1262:
	v_mov_b32_e32 v112, 0x6667
	v_mul_i32_i24_sdwa v113, sext(v64), v112 dst_sel:DWORD dst_unused:UNUSED_PAD src0_sel:WORD_0 src1_sel:DWORD
	v_mul_i32_i24_sdwa v112, sext(v65), v112 dst_sel:DWORD dst_unused:UNUSED_PAD src0_sel:WORD_0 src1_sel:DWORD
	v_lshrrev_b32_e32 v114, 31, v113
	v_ashrrev_i32_e32 v113, 18, v113
	v_lshrrev_b32_e32 v115, 31, v112
	v_ashrrev_i32_e32 v112, 18, v112
	v_add_nc_u16 v113, v113, v114
	v_add_nc_u16 v112, v112, v115
	v_cmp_lt_i16_e64 s8, v113, v112
	v_cndmask_b32_e64 v112, v64, v65, s8
	v_cndmask_b32_e64 v65, v65, v64, s8
	v_mov_b32_e32 v64, v112
	s_or_b32 exec_lo, exec_lo, s9
	s_and_saveexec_b32 s9, s95
	s_cbranch_execnz .LBB522_1742
.LBB522_1263:
	s_or_b32 exec_lo, exec_lo, s9
	s_and_saveexec_b32 s9, vcc_hi
	s_cbranch_execz .LBB522_1743
.LBB522_1264:
	v_mov_b32_e32 v112, 0x6667
	v_mul_i32_i24_sdwa v113, sext(v51), v112 dst_sel:DWORD dst_unused:UNUSED_PAD src0_sel:WORD_0 src1_sel:DWORD
	v_mul_i32_i24_sdwa v112, sext(v52), v112 dst_sel:DWORD dst_unused:UNUSED_PAD src0_sel:WORD_0 src1_sel:DWORD
	v_lshrrev_b32_e32 v114, 31, v113
	v_ashrrev_i32_e32 v113, 18, v113
	v_lshrrev_b32_e32 v115, 31, v112
	v_ashrrev_i32_e32 v112, 18, v112
	v_add_nc_u16 v113, v113, v114
	v_add_nc_u16 v112, v112, v115
	v_cmp_lt_i16_e64 s8, v113, v112
	v_cndmask_b32_e64 v112, v51, v52, s8
	v_cndmask_b32_e64 v52, v52, v51, s8
	v_mov_b32_e32 v51, v112
	s_or_b32 exec_lo, exec_lo, s9
	s_and_saveexec_b32 s9, s30
	s_cbranch_execnz .LBB522_1744
.LBB522_1265:
	s_or_b32 exec_lo, exec_lo, s9
	s_and_saveexec_b32 s9, s31
	s_cbranch_execz .LBB522_1745
.LBB522_1266:
	v_mov_b32_e32 v112, 0x6667
	v_mul_i32_i24_sdwa v113, sext(v48), v112 dst_sel:DWORD dst_unused:UNUSED_PAD src0_sel:WORD_0 src1_sel:DWORD
	v_mul_i32_i24_sdwa v112, sext(v49), v112 dst_sel:DWORD dst_unused:UNUSED_PAD src0_sel:WORD_0 src1_sel:DWORD
	v_lshrrev_b32_e32 v114, 31, v113
	v_ashrrev_i32_e32 v113, 18, v113
	v_lshrrev_b32_e32 v115, 31, v112
	v_ashrrev_i32_e32 v112, 18, v112
	v_add_nc_u16 v113, v113, v114
	v_add_nc_u16 v112, v112, v115
	v_cmp_lt_i16_e64 s8, v113, v112
	v_cndmask_b32_e64 v112, v49, v48, s8
	v_cndmask_b32_e64 v48, v48, v49, s8
	v_mov_b32_e32 v49, v112
	s_or_b32 exec_lo, exec_lo, s9
	s_and_saveexec_b32 s9, s34
	s_cbranch_execnz .LBB522_1746
	s_branch .LBB522_1747
.LBB522_1267:
	s_or_b32 exec_lo, exec_lo, s79
	v_cmp_lt_u32_e64 s78, 4, v112
	s_and_saveexec_b32 s88, s78
	s_cbranch_execz .LBB522_789
.LBB522_1268:
	v_mov_b32_e32 v113, 0x6667
	v_mul_i32_i24_sdwa v114, sext(v96), v113 dst_sel:DWORD dst_unused:UNUSED_PAD src0_sel:WORD_0 src1_sel:DWORD
	v_mul_i32_i24_sdwa v113, sext(v98), v113 dst_sel:DWORD dst_unused:UNUSED_PAD src0_sel:WORD_0 src1_sel:DWORD
	v_lshrrev_b32_e32 v115, 31, v114
	v_ashrrev_i32_e32 v114, 18, v114
	v_lshrrev_b32_e32 v116, 31, v113
	v_ashrrev_i32_e32 v113, 18, v113
	v_add_nc_u16 v114, v114, v115
	v_add_nc_u16 v113, v113, v116
	v_cmp_lt_i16_e64 s79, v114, v113
	v_cndmask_b32_e64 v113, v96, v98, s79
	v_cndmask_b32_e64 v98, v98, v96, s79
	v_mov_b32_e32 v96, v113
	s_or_b32 exec_lo, exec_lo, s88
	v_cmp_lt_u32_e64 s79, 6, v112
	s_and_saveexec_b32 s89, s79
	s_cbranch_execnz .LBB522_790
.LBB522_1269:
	s_or_b32 exec_lo, exec_lo, s89
	v_cmp_lt_u32_e64 s88, 8, v112
	s_and_saveexec_b32 s90, s88
	s_cbranch_execz .LBB522_791
.LBB522_1270:
	v_mov_b32_e32 v113, 0x6667
	v_mul_i32_i24_sdwa v114, sext(v84), v113 dst_sel:DWORD dst_unused:UNUSED_PAD src0_sel:WORD_0 src1_sel:DWORD
	v_mul_i32_i24_sdwa v113, sext(v85), v113 dst_sel:DWORD dst_unused:UNUSED_PAD src0_sel:WORD_0 src1_sel:DWORD
	v_lshrrev_b32_e32 v115, 31, v114
	v_ashrrev_i32_e32 v114, 18, v114
	v_lshrrev_b32_e32 v116, 31, v113
	v_ashrrev_i32_e32 v113, 18, v113
	v_add_nc_u16 v114, v114, v115
	v_add_nc_u16 v113, v113, v116
	v_cmp_lt_i16_e64 s89, v114, v113
	v_cndmask_b32_e64 v113, v84, v85, s89
	v_cndmask_b32_e64 v85, v85, v84, s89
	v_mov_b32_e32 v84, v113
	s_or_b32 exec_lo, exec_lo, s90
	v_cmp_lt_u32_e64 s89, 10, v112
	s_and_saveexec_b32 s91, s89
	s_cbranch_execnz .LBB522_792
.LBB522_1271:
	s_or_b32 exec_lo, exec_lo, s91
	v_cmp_lt_u32_e64 s90, 12, v112
	s_and_saveexec_b32 s92, s90
	s_cbranch_execz .LBB522_793
.LBB522_1272:
	v_mov_b32_e32 v113, 0x6667
	v_mul_i32_i24_sdwa v114, sext(v80), v113 dst_sel:DWORD dst_unused:UNUSED_PAD src0_sel:WORD_0 src1_sel:DWORD
	v_mul_i32_i24_sdwa v113, sext(v81), v113 dst_sel:DWORD dst_unused:UNUSED_PAD src0_sel:WORD_0 src1_sel:DWORD
	v_lshrrev_b32_e32 v115, 31, v114
	v_ashrrev_i32_e32 v114, 18, v114
	v_lshrrev_b32_e32 v116, 31, v113
	v_ashrrev_i32_e32 v113, 18, v113
	v_add_nc_u16 v114, v114, v115
	v_add_nc_u16 v113, v113, v116
	v_cmp_lt_i16_e64 s91, v114, v113
	v_cndmask_b32_e64 v113, v80, v81, s91
	v_cndmask_b32_e64 v81, v81, v80, s91
	v_mov_b32_e32 v80, v113
	s_or_b32 exec_lo, exec_lo, s92
	v_cmp_lt_u32_e64 s91, 14, v112
	s_and_saveexec_b32 s93, s91
	s_cbranch_execnz .LBB522_794
.LBB522_1273:
	s_or_b32 exec_lo, exec_lo, s93
	v_cmp_lt_u32_e64 s92, 16, v112
	s_and_saveexec_b32 s94, s92
	s_cbranch_execz .LBB522_795
.LBB522_1274:
	v_mov_b32_e32 v113, 0x6667
	v_mul_i32_i24_sdwa v114, sext(v68), v113 dst_sel:DWORD dst_unused:UNUSED_PAD src0_sel:WORD_0 src1_sel:DWORD
	v_mul_i32_i24_sdwa v113, sext(v69), v113 dst_sel:DWORD dst_unused:UNUSED_PAD src0_sel:WORD_0 src1_sel:DWORD
	v_lshrrev_b32_e32 v115, 31, v114
	v_ashrrev_i32_e32 v114, 18, v114
	v_lshrrev_b32_e32 v116, 31, v113
	v_ashrrev_i32_e32 v113, 18, v113
	v_add_nc_u16 v114, v114, v115
	v_add_nc_u16 v113, v113, v116
	v_cmp_lt_i16_e64 s93, v114, v113
	v_cndmask_b32_e64 v113, v68, v69, s93
	v_cndmask_b32_e64 v69, v69, v68, s93
	v_mov_b32_e32 v68, v113
	s_or_b32 exec_lo, exec_lo, s94
	v_cmp_lt_u32_e64 s93, 18, v112
	s_and_saveexec_b32 s95, s93
	s_cbranch_execnz .LBB522_796
.LBB522_1275:
	s_or_b32 exec_lo, exec_lo, s95
	v_cmp_lt_u32_e64 s94, 20, v112
	s_and_saveexec_b32 vcc_hi, s94
	s_cbranch_execz .LBB522_797
.LBB522_1276:
	v_mov_b32_e32 v113, 0x6667
	v_mul_i32_i24_sdwa v114, sext(v64), v113 dst_sel:DWORD dst_unused:UNUSED_PAD src0_sel:WORD_0 src1_sel:DWORD
	v_mul_i32_i24_sdwa v113, sext(v65), v113 dst_sel:DWORD dst_unused:UNUSED_PAD src0_sel:WORD_0 src1_sel:DWORD
	v_lshrrev_b32_e32 v115, 31, v114
	v_ashrrev_i32_e32 v114, 18, v114
	v_lshrrev_b32_e32 v116, 31, v113
	v_ashrrev_i32_e32 v113, 18, v113
	v_add_nc_u16 v114, v114, v115
	v_add_nc_u16 v113, v113, v116
	v_cmp_lt_i16_e64 s95, v114, v113
	v_cndmask_b32_e64 v113, v64, v65, s95
	v_cndmask_b32_e64 v65, v65, v64, s95
	v_mov_b32_e32 v64, v113
	s_or_b32 exec_lo, exec_lo, vcc_hi
	v_cmp_lt_u32_e64 s95, 22, v112
	s_and_saveexec_b32 s30, s95
	s_cbranch_execnz .LBB522_798
.LBB522_1277:
	s_or_b32 exec_lo, exec_lo, s30
	v_cmp_lt_u32_e64 vcc_hi, 24, v112
	s_and_saveexec_b32 s31, vcc_hi
	s_cbranch_execz .LBB522_799
.LBB522_1278:
	v_mov_b32_e32 v113, 0x6667
	v_mul_i32_i24_sdwa v114, sext(v51), v113 dst_sel:DWORD dst_unused:UNUSED_PAD src0_sel:WORD_0 src1_sel:DWORD
	v_mul_i32_i24_sdwa v113, sext(v52), v113 dst_sel:DWORD dst_unused:UNUSED_PAD src0_sel:WORD_0 src1_sel:DWORD
	v_lshrrev_b32_e32 v115, 31, v114
	v_ashrrev_i32_e32 v114, 18, v114
	v_lshrrev_b32_e32 v116, 31, v113
	v_ashrrev_i32_e32 v113, 18, v113
	v_add_nc_u16 v114, v114, v115
	v_add_nc_u16 v113, v113, v116
	v_cmp_lt_i16_e64 s30, v114, v113
	v_cndmask_b32_e64 v113, v51, v52, s30
	v_cndmask_b32_e64 v52, v52, v51, s30
	v_mov_b32_e32 v51, v113
	s_or_b32 exec_lo, exec_lo, s31
	v_cmp_lt_u32_e64 s30, 26, v112
	s_and_saveexec_b32 s34, s30
	s_cbranch_execnz .LBB522_800
.LBB522_1279:
	s_or_b32 exec_lo, exec_lo, s34
	v_cmp_lt_u32_e64 s31, 28, v112
	s_and_saveexec_b32 s35, s31
	s_cbranch_execz .LBB522_801
.LBB522_1280:
	v_mov_b32_e32 v113, 0x6667
	v_mul_i32_i24_sdwa v114, sext(v48), v113 dst_sel:DWORD dst_unused:UNUSED_PAD src0_sel:WORD_0 src1_sel:DWORD
	v_mul_i32_i24_sdwa v113, sext(v49), v113 dst_sel:DWORD dst_unused:UNUSED_PAD src0_sel:WORD_0 src1_sel:DWORD
	v_lshrrev_b32_e32 v115, 31, v114
	v_ashrrev_i32_e32 v114, 18, v114
	v_lshrrev_b32_e32 v116, 31, v113
	v_ashrrev_i32_e32 v113, 18, v113
	v_add_nc_u16 v114, v114, v115
	v_add_nc_u16 v113, v113, v116
	v_cmp_lt_i16_e64 s34, v114, v113
	v_cndmask_b32_e64 v113, v49, v48, s34
	v_cndmask_b32_e64 v48, v48, v49, s34
	v_mov_b32_e32 v49, v113
	s_or_b32 exec_lo, exec_lo, s35
	v_cmp_lt_u32_e64 s34, 30, v112
	s_and_saveexec_b32 s38, s34
	s_cbranch_execnz .LBB522_802
.LBB522_1281:
	s_or_b32 exec_lo, exec_lo, s38
	s_and_saveexec_b32 s38, s8
	s_cbranch_execz .LBB522_803
.LBB522_1282:
	v_mov_b32_e32 v112, 0x6667
	v_mul_i32_i24_sdwa v113, sext(v100), v112 dst_sel:DWORD dst_unused:UNUSED_PAD src0_sel:WORD_0 src1_sel:DWORD
	v_mul_i32_i24_sdwa v112, sext(v97), v112 dst_sel:DWORD dst_unused:UNUSED_PAD src0_sel:WORD_0 src1_sel:DWORD
	v_lshrrev_b32_e32 v114, 31, v113
	v_ashrrev_i32_e32 v113, 18, v113
	v_lshrrev_b32_e32 v115, 31, v112
	v_ashrrev_i32_e32 v112, 18, v112
	v_add_nc_u16 v113, v113, v114
	v_add_nc_u16 v112, v112, v115
	v_cmp_lt_i16_e64 s35, v113, v112
	v_cndmask_b32_e64 v112, v100, v97, s35
	v_cndmask_b32_e64 v97, v97, v100, s35
	v_mov_b32_e32 v100, v112
	s_or_b32 exec_lo, exec_lo, s38
	s_and_saveexec_b32 s38, s9
	s_cbranch_execnz .LBB522_804
.LBB522_1283:
	s_or_b32 exec_lo, exec_lo, s38
	s_and_saveexec_b32 s38, s12
	s_cbranch_execz .LBB522_805
.LBB522_1284:
	v_mov_b32_e32 v112, 0x6667
	v_mul_i32_i24_sdwa v113, sext(v87), v112 dst_sel:DWORD dst_unused:UNUSED_PAD src0_sel:WORD_0 src1_sel:DWORD
	v_mul_i32_i24_sdwa v112, sext(v96), v112 dst_sel:DWORD dst_unused:UNUSED_PAD src0_sel:WORD_0 src1_sel:DWORD
	v_lshrrev_b32_e32 v114, 31, v113
	v_ashrrev_i32_e32 v113, 18, v113
	v_lshrrev_b32_e32 v115, 31, v112
	v_ashrrev_i32_e32 v112, 18, v112
	v_add_nc_u16 v113, v113, v114
	v_add_nc_u16 v112, v112, v115
	v_cmp_lt_i16_e64 s35, v113, v112
	v_cndmask_b32_e64 v112, v87, v96, s35
	v_cndmask_b32_e64 v96, v96, v87, s35
	v_mov_b32_e32 v87, v112
	s_or_b32 exec_lo, exec_lo, s38
	s_and_saveexec_b32 s38, s13
	s_cbranch_execnz .LBB522_806
.LBB522_1285:
	s_or_b32 exec_lo, exec_lo, s38
	s_and_saveexec_b32 s38, s57
	s_cbranch_execz .LBB522_807
.LBB522_1286:
	v_mov_b32_e32 v112, 0x6667
	v_mul_i32_i24_sdwa v113, sext(v83), v112 dst_sel:DWORD dst_unused:UNUSED_PAD src0_sel:WORD_0 src1_sel:DWORD
	v_mul_i32_i24_sdwa v112, sext(v84), v112 dst_sel:DWORD dst_unused:UNUSED_PAD src0_sel:WORD_0 src1_sel:DWORD
	v_lshrrev_b32_e32 v114, 31, v113
	v_ashrrev_i32_e32 v113, 18, v113
	v_lshrrev_b32_e32 v115, 31, v112
	v_ashrrev_i32_e32 v112, 18, v112
	v_add_nc_u16 v113, v113, v114
	v_add_nc_u16 v112, v112, v115
	v_cmp_lt_i16_e64 s35, v113, v112
	v_cndmask_b32_e64 v112, v83, v84, s35
	v_cndmask_b32_e64 v84, v84, v83, s35
	v_mov_b32_e32 v83, v112
	s_or_b32 exec_lo, exec_lo, s38
	s_and_saveexec_b32 s38, s58
	s_cbranch_execnz .LBB522_808
.LBB522_1287:
	s_or_b32 exec_lo, exec_lo, s38
	s_and_saveexec_b32 s38, s59
	s_cbranch_execz .LBB522_809
.LBB522_1288:
	v_mov_b32_e32 v112, 0x6667
	v_mul_i32_i24_sdwa v113, sext(v71), v112 dst_sel:DWORD dst_unused:UNUSED_PAD src0_sel:WORD_0 src1_sel:DWORD
	v_mul_i32_i24_sdwa v112, sext(v80), v112 dst_sel:DWORD dst_unused:UNUSED_PAD src0_sel:WORD_0 src1_sel:DWORD
	v_lshrrev_b32_e32 v114, 31, v113
	v_ashrrev_i32_e32 v113, 18, v113
	v_lshrrev_b32_e32 v115, 31, v112
	v_ashrrev_i32_e32 v112, 18, v112
	v_add_nc_u16 v113, v113, v114
	v_add_nc_u16 v112, v112, v115
	v_cmp_lt_i16_e64 s35, v113, v112
	v_cndmask_b32_e64 v112, v71, v80, s35
	v_cndmask_b32_e64 v80, v80, v71, s35
	v_mov_b32_e32 v71, v112
	s_or_b32 exec_lo, exec_lo, s38
	s_and_saveexec_b32 s38, s60
	s_cbranch_execnz .LBB522_810
.LBB522_1289:
	s_or_b32 exec_lo, exec_lo, s38
	s_and_saveexec_b32 s38, s61
	s_cbranch_execz .LBB522_811
.LBB522_1290:
	v_mov_b32_e32 v112, 0x6667
	v_mul_i32_i24_sdwa v113, sext(v67), v112 dst_sel:DWORD dst_unused:UNUSED_PAD src0_sel:WORD_0 src1_sel:DWORD
	v_mul_i32_i24_sdwa v112, sext(v68), v112 dst_sel:DWORD dst_unused:UNUSED_PAD src0_sel:WORD_0 src1_sel:DWORD
	v_lshrrev_b32_e32 v114, 31, v113
	v_ashrrev_i32_e32 v113, 18, v113
	v_lshrrev_b32_e32 v115, 31, v112
	v_ashrrev_i32_e32 v112, 18, v112
	v_add_nc_u16 v113, v113, v114
	v_add_nc_u16 v112, v112, v115
	v_cmp_lt_i16_e64 s35, v113, v112
	v_cndmask_b32_e64 v112, v67, v68, s35
	v_cndmask_b32_e64 v68, v68, v67, s35
	v_mov_b32_e32 v67, v112
	s_or_b32 exec_lo, exec_lo, s38
	s_and_saveexec_b32 s38, s62
	s_cbranch_execnz .LBB522_812
.LBB522_1291:
	s_or_b32 exec_lo, exec_lo, s38
	s_and_saveexec_b32 s38, s63
	s_cbranch_execz .LBB522_813
.LBB522_1292:
	v_mov_b32_e32 v112, 0x6667
	v_mul_i32_i24_sdwa v113, sext(v55), v112 dst_sel:DWORD dst_unused:UNUSED_PAD src0_sel:WORD_0 src1_sel:DWORD
	v_mul_i32_i24_sdwa v112, sext(v64), v112 dst_sel:DWORD dst_unused:UNUSED_PAD src0_sel:WORD_0 src1_sel:DWORD
	v_lshrrev_b32_e32 v114, 31, v113
	v_ashrrev_i32_e32 v113, 18, v113
	v_lshrrev_b32_e32 v115, 31, v112
	v_ashrrev_i32_e32 v112, 18, v112
	v_add_nc_u16 v113, v113, v114
	v_add_nc_u16 v112, v112, v115
	v_cmp_lt_i16_e64 s35, v113, v112
	v_cndmask_b32_e64 v112, v55, v64, s35
	v_cndmask_b32_e64 v64, v64, v55, s35
	v_mov_b32_e32 v55, v112
	s_or_b32 exec_lo, exec_lo, s38
	s_and_saveexec_b32 s38, s72
	s_cbranch_execnz .LBB522_814
.LBB522_1293:
	s_or_b32 exec_lo, exec_lo, s38
	s_and_saveexec_b32 s38, s73
	s_cbranch_execz .LBB522_815
.LBB522_1294:
	v_mov_b32_e32 v112, 0x6667
	v_mul_i32_i24_sdwa v113, sext(v54), v112 dst_sel:DWORD dst_unused:UNUSED_PAD src0_sel:WORD_0 src1_sel:DWORD
	v_mul_i32_i24_sdwa v112, sext(v51), v112 dst_sel:DWORD dst_unused:UNUSED_PAD src0_sel:WORD_0 src1_sel:DWORD
	v_lshrrev_b32_e32 v114, 31, v113
	v_ashrrev_i32_e32 v113, 18, v113
	v_lshrrev_b32_e32 v115, 31, v112
	v_ashrrev_i32_e32 v112, 18, v112
	v_add_nc_u16 v113, v113, v114
	v_add_nc_u16 v112, v112, v115
	v_cmp_lt_i16_e64 s35, v113, v112
	v_cndmask_b32_e64 v112, v54, v51, s35
	v_cndmask_b32_e64 v51, v51, v54, s35
	v_mov_b32_e32 v54, v112
	s_or_b32 exec_lo, exec_lo, s38
	s_and_saveexec_b32 s38, s74
	s_cbranch_execnz .LBB522_816
.LBB522_1295:
	s_or_b32 exec_lo, exec_lo, s38
	s_and_saveexec_b32 s38, s75
	s_cbranch_execz .LBB522_817
.LBB522_1296:
	v_mov_b32_e32 v112, 0x6667
	v_mul_i32_i24_sdwa v113, sext(v39), v112 dst_sel:DWORD dst_unused:UNUSED_PAD src0_sel:WORD_0 src1_sel:DWORD
	v_mul_i32_i24_sdwa v112, sext(v48), v112 dst_sel:DWORD dst_unused:UNUSED_PAD src0_sel:WORD_0 src1_sel:DWORD
	v_lshrrev_b32_e32 v114, 31, v113
	v_ashrrev_i32_e32 v113, 18, v113
	v_lshrrev_b32_e32 v115, 31, v112
	v_ashrrev_i32_e32 v112, 18, v112
	v_add_nc_u16 v113, v113, v114
	v_add_nc_u16 v112, v112, v115
	v_cmp_lt_i16_e64 s35, v113, v112
	v_cndmask_b32_e64 v112, v48, v39, s35
	v_cndmask_b32_e64 v39, v39, v48, s35
	v_mov_b32_e32 v48, v112
	s_or_b32 exec_lo, exec_lo, s38
	s_and_saveexec_b32 s38, s76
	s_cbranch_execnz .LBB522_818
.LBB522_1297:
	s_or_b32 exec_lo, exec_lo, s38
	s_and_saveexec_b32 s38, s77
	s_cbranch_execz .LBB522_819
.LBB522_1298:
	v_mov_b32_e32 v112, 0x6667
	v_mul_i32_i24_sdwa v113, sext(v99), v112 dst_sel:DWORD dst_unused:UNUSED_PAD src0_sel:WORD_0 src1_sel:DWORD
	v_mul_i32_i24_sdwa v112, sext(v100), v112 dst_sel:DWORD dst_unused:UNUSED_PAD src0_sel:WORD_0 src1_sel:DWORD
	v_lshrrev_b32_e32 v114, 31, v113
	v_ashrrev_i32_e32 v113, 18, v113
	v_lshrrev_b32_e32 v115, 31, v112
	v_ashrrev_i32_e32 v112, 18, v112
	v_add_nc_u16 v113, v113, v114
	v_add_nc_u16 v112, v112, v115
	v_cmp_lt_i16_e64 s35, v113, v112
	v_cndmask_b32_e64 v112, v99, v100, s35
	v_cndmask_b32_e64 v100, v100, v99, s35
	v_mov_b32_e32 v99, v112
	s_or_b32 exec_lo, exec_lo, s38
	s_and_saveexec_b32 s38, s78
	s_cbranch_execnz .LBB522_820
.LBB522_1299:
	s_or_b32 exec_lo, exec_lo, s38
	s_and_saveexec_b32 s38, s79
	s_cbranch_execz .LBB522_821
.LBB522_1300:
	v_mov_b32_e32 v112, 0x6667
	v_mul_i32_i24_sdwa v113, sext(v86), v112 dst_sel:DWORD dst_unused:UNUSED_PAD src0_sel:WORD_0 src1_sel:DWORD
	v_mul_i32_i24_sdwa v112, sext(v87), v112 dst_sel:DWORD dst_unused:UNUSED_PAD src0_sel:WORD_0 src1_sel:DWORD
	v_lshrrev_b32_e32 v114, 31, v113
	v_ashrrev_i32_e32 v113, 18, v113
	v_lshrrev_b32_e32 v115, 31, v112
	v_ashrrev_i32_e32 v112, 18, v112
	v_add_nc_u16 v113, v113, v114
	v_add_nc_u16 v112, v112, v115
	v_cmp_lt_i16_e64 s35, v113, v112
	v_cndmask_b32_e64 v112, v86, v87, s35
	v_cndmask_b32_e64 v87, v87, v86, s35
	v_mov_b32_e32 v86, v112
	s_or_b32 exec_lo, exec_lo, s38
	s_and_saveexec_b32 s38, s88
	s_cbranch_execnz .LBB522_822
.LBB522_1301:
	s_or_b32 exec_lo, exec_lo, s38
	s_and_saveexec_b32 s38, s89
	s_cbranch_execz .LBB522_823
.LBB522_1302:
	v_mov_b32_e32 v112, 0x6667
	v_mul_i32_i24_sdwa v113, sext(v82), v112 dst_sel:DWORD dst_unused:UNUSED_PAD src0_sel:WORD_0 src1_sel:DWORD
	v_mul_i32_i24_sdwa v112, sext(v83), v112 dst_sel:DWORD dst_unused:UNUSED_PAD src0_sel:WORD_0 src1_sel:DWORD
	v_lshrrev_b32_e32 v114, 31, v113
	v_ashrrev_i32_e32 v113, 18, v113
	v_lshrrev_b32_e32 v115, 31, v112
	v_ashrrev_i32_e32 v112, 18, v112
	v_add_nc_u16 v113, v113, v114
	v_add_nc_u16 v112, v112, v115
	v_cmp_lt_i16_e64 s35, v113, v112
	v_cndmask_b32_e64 v112, v82, v83, s35
	v_cndmask_b32_e64 v83, v83, v82, s35
	v_mov_b32_e32 v82, v112
	s_or_b32 exec_lo, exec_lo, s38
	s_and_saveexec_b32 s38, s90
	s_cbranch_execnz .LBB522_824
.LBB522_1303:
	s_or_b32 exec_lo, exec_lo, s38
	s_and_saveexec_b32 s38, s91
	s_cbranch_execz .LBB522_825
.LBB522_1304:
	v_mov_b32_e32 v112, 0x6667
	v_mul_i32_i24_sdwa v113, sext(v70), v112 dst_sel:DWORD dst_unused:UNUSED_PAD src0_sel:WORD_0 src1_sel:DWORD
	v_mul_i32_i24_sdwa v112, sext(v71), v112 dst_sel:DWORD dst_unused:UNUSED_PAD src0_sel:WORD_0 src1_sel:DWORD
	v_lshrrev_b32_e32 v114, 31, v113
	v_ashrrev_i32_e32 v113, 18, v113
	v_lshrrev_b32_e32 v115, 31, v112
	v_ashrrev_i32_e32 v112, 18, v112
	v_add_nc_u16 v113, v113, v114
	v_add_nc_u16 v112, v112, v115
	v_cmp_lt_i16_e64 s35, v113, v112
	v_cndmask_b32_e64 v112, v70, v71, s35
	v_cndmask_b32_e64 v71, v71, v70, s35
	v_mov_b32_e32 v70, v112
	s_or_b32 exec_lo, exec_lo, s38
	s_and_saveexec_b32 s38, s92
	s_cbranch_execnz .LBB522_826
.LBB522_1305:
	s_or_b32 exec_lo, exec_lo, s38
	s_and_saveexec_b32 s38, s93
	s_cbranch_execz .LBB522_827
.LBB522_1306:
	v_mov_b32_e32 v112, 0x6667
	v_mul_i32_i24_sdwa v113, sext(v66), v112 dst_sel:DWORD dst_unused:UNUSED_PAD src0_sel:WORD_0 src1_sel:DWORD
	v_mul_i32_i24_sdwa v112, sext(v67), v112 dst_sel:DWORD dst_unused:UNUSED_PAD src0_sel:WORD_0 src1_sel:DWORD
	v_lshrrev_b32_e32 v114, 31, v113
	v_ashrrev_i32_e32 v113, 18, v113
	v_lshrrev_b32_e32 v115, 31, v112
	v_ashrrev_i32_e32 v112, 18, v112
	v_add_nc_u16 v113, v113, v114
	v_add_nc_u16 v112, v112, v115
	v_cmp_lt_i16_e64 s35, v113, v112
	v_cndmask_b32_e64 v112, v66, v67, s35
	v_cndmask_b32_e64 v67, v67, v66, s35
	v_mov_b32_e32 v66, v112
	s_or_b32 exec_lo, exec_lo, s38
	s_and_saveexec_b32 s38, s94
	s_cbranch_execnz .LBB522_828
.LBB522_1307:
	s_or_b32 exec_lo, exec_lo, s38
	s_and_saveexec_b32 s38, s95
	s_cbranch_execz .LBB522_829
.LBB522_1308:
	v_mov_b32_e32 v112, 0x6667
	v_mul_i32_i24_sdwa v113, sext(v53), v112 dst_sel:DWORD dst_unused:UNUSED_PAD src0_sel:WORD_0 src1_sel:DWORD
	v_mul_i32_i24_sdwa v112, sext(v55), v112 dst_sel:DWORD dst_unused:UNUSED_PAD src0_sel:WORD_0 src1_sel:DWORD
	v_lshrrev_b32_e32 v114, 31, v113
	v_ashrrev_i32_e32 v113, 18, v113
	v_lshrrev_b32_e32 v115, 31, v112
	v_ashrrev_i32_e32 v112, 18, v112
	v_add_nc_u16 v113, v113, v114
	v_add_nc_u16 v112, v112, v115
	v_cmp_lt_i16_e64 s35, v113, v112
	v_cndmask_b32_e64 v112, v53, v55, s35
	v_cndmask_b32_e64 v55, v55, v53, s35
	v_mov_b32_e32 v53, v112
	s_or_b32 exec_lo, exec_lo, s38
	s_and_saveexec_b32 s38, vcc_hi
	s_cbranch_execnz .LBB522_830
.LBB522_1309:
	s_or_b32 exec_lo, exec_lo, s38
	s_and_saveexec_b32 s38, s30
	s_cbranch_execz .LBB522_831
.LBB522_1310:
	v_mov_b32_e32 v112, 0x6667
	v_mul_i32_i24_sdwa v113, sext(v50), v112 dst_sel:DWORD dst_unused:UNUSED_PAD src0_sel:WORD_0 src1_sel:DWORD
	v_mul_i32_i24_sdwa v112, sext(v54), v112 dst_sel:DWORD dst_unused:UNUSED_PAD src0_sel:WORD_0 src1_sel:DWORD
	v_lshrrev_b32_e32 v114, 31, v113
	v_ashrrev_i32_e32 v113, 18, v113
	v_lshrrev_b32_e32 v115, 31, v112
	v_ashrrev_i32_e32 v112, 18, v112
	v_add_nc_u16 v113, v113, v114
	v_add_nc_u16 v112, v112, v115
	v_cmp_lt_i16_e64 s35, v113, v112
	v_cndmask_b32_e64 v112, v54, v50, s35
	v_cndmask_b32_e64 v50, v50, v54, s35
	v_mov_b32_e32 v54, v112
	s_or_b32 exec_lo, exec_lo, s38
	s_and_saveexec_b32 s38, s31
	s_cbranch_execnz .LBB522_832
.LBB522_1311:
	s_or_b32 exec_lo, exec_lo, s38
	s_and_saveexec_b32 s38, s34
	s_cbranch_execz .LBB522_833
.LBB522_1312:
	v_mov_b32_e32 v112, 0x6667
	v_mul_i32_i24_sdwa v113, sext(v101), v112 dst_sel:DWORD dst_unused:UNUSED_PAD src0_sel:WORD_0 src1_sel:DWORD
	v_mul_i32_i24_sdwa v112, sext(v39), v112 dst_sel:DWORD dst_unused:UNUSED_PAD src0_sel:WORD_0 src1_sel:DWORD
	v_lshrrev_b32_e32 v114, 31, v113
	v_ashrrev_i32_e32 v113, 18, v113
	v_lshrrev_b32_e32 v115, 31, v112
	v_ashrrev_i32_e32 v112, 18, v112
	v_add_nc_u16 v113, v113, v114
	v_add_nc_u16 v112, v112, v115
	v_cmp_lt_i16_e64 s35, v113, v112
	v_cndmask_b32_e64 v112, v39, v101, s35
	v_cndmask_b32_e64 v101, v101, v39, s35
	v_mov_b32_e32 v39, v112
	s_or_b32 exec_lo, exec_lo, s38
	s_and_saveexec_b32 s38, s8
	s_cbranch_execnz .LBB522_834
.LBB522_1313:
	s_or_b32 exec_lo, exec_lo, s38
	s_and_saveexec_b32 s38, s9
	s_cbranch_execz .LBB522_835
.LBB522_1314:
	v_mov_b32_e32 v112, 0x6667
	v_mul_i32_i24_sdwa v113, sext(v98), v112 dst_sel:DWORD dst_unused:UNUSED_PAD src0_sel:WORD_0 src1_sel:DWORD
	v_mul_i32_i24_sdwa v112, sext(v99), v112 dst_sel:DWORD dst_unused:UNUSED_PAD src0_sel:WORD_0 src1_sel:DWORD
	v_lshrrev_b32_e32 v114, 31, v113
	v_ashrrev_i32_e32 v113, 18, v113
	v_lshrrev_b32_e32 v115, 31, v112
	v_ashrrev_i32_e32 v112, 18, v112
	v_add_nc_u16 v113, v113, v114
	v_add_nc_u16 v112, v112, v115
	v_cmp_lt_i16_e64 s35, v113, v112
	v_cndmask_b32_e64 v112, v98, v99, s35
	v_cndmask_b32_e64 v99, v99, v98, s35
	v_mov_b32_e32 v98, v112
	s_or_b32 exec_lo, exec_lo, s38
	s_and_saveexec_b32 s38, s12
	s_cbranch_execnz .LBB522_836
.LBB522_1315:
	s_or_b32 exec_lo, exec_lo, s38
	s_and_saveexec_b32 s38, s13
	s_cbranch_execz .LBB522_837
.LBB522_1316:
	v_mov_b32_e32 v112, 0x6667
	v_mul_i32_i24_sdwa v113, sext(v85), v112 dst_sel:DWORD dst_unused:UNUSED_PAD src0_sel:WORD_0 src1_sel:DWORD
	v_mul_i32_i24_sdwa v112, sext(v86), v112 dst_sel:DWORD dst_unused:UNUSED_PAD src0_sel:WORD_0 src1_sel:DWORD
	v_lshrrev_b32_e32 v114, 31, v113
	v_ashrrev_i32_e32 v113, 18, v113
	v_lshrrev_b32_e32 v115, 31, v112
	v_ashrrev_i32_e32 v112, 18, v112
	v_add_nc_u16 v113, v113, v114
	v_add_nc_u16 v112, v112, v115
	v_cmp_lt_i16_e64 s35, v113, v112
	v_cndmask_b32_e64 v112, v85, v86, s35
	v_cndmask_b32_e64 v86, v86, v85, s35
	v_mov_b32_e32 v85, v112
	s_or_b32 exec_lo, exec_lo, s38
	s_and_saveexec_b32 s38, s57
	s_cbranch_execnz .LBB522_838
.LBB522_1317:
	s_or_b32 exec_lo, exec_lo, s38
	s_and_saveexec_b32 s38, s58
	s_cbranch_execz .LBB522_839
.LBB522_1318:
	v_mov_b32_e32 v112, 0x6667
	v_mul_i32_i24_sdwa v113, sext(v81), v112 dst_sel:DWORD dst_unused:UNUSED_PAD src0_sel:WORD_0 src1_sel:DWORD
	v_mul_i32_i24_sdwa v112, sext(v82), v112 dst_sel:DWORD dst_unused:UNUSED_PAD src0_sel:WORD_0 src1_sel:DWORD
	v_lshrrev_b32_e32 v114, 31, v113
	v_ashrrev_i32_e32 v113, 18, v113
	v_lshrrev_b32_e32 v115, 31, v112
	v_ashrrev_i32_e32 v112, 18, v112
	v_add_nc_u16 v113, v113, v114
	v_add_nc_u16 v112, v112, v115
	v_cmp_lt_i16_e64 s35, v113, v112
	v_cndmask_b32_e64 v112, v81, v82, s35
	v_cndmask_b32_e64 v82, v82, v81, s35
	v_mov_b32_e32 v81, v112
	s_or_b32 exec_lo, exec_lo, s38
	s_and_saveexec_b32 s38, s59
	s_cbranch_execnz .LBB522_840
.LBB522_1319:
	s_or_b32 exec_lo, exec_lo, s38
	s_and_saveexec_b32 s38, s60
	s_cbranch_execz .LBB522_841
.LBB522_1320:
	v_mov_b32_e32 v112, 0x6667
	v_mul_i32_i24_sdwa v113, sext(v69), v112 dst_sel:DWORD dst_unused:UNUSED_PAD src0_sel:WORD_0 src1_sel:DWORD
	v_mul_i32_i24_sdwa v112, sext(v70), v112 dst_sel:DWORD dst_unused:UNUSED_PAD src0_sel:WORD_0 src1_sel:DWORD
	v_lshrrev_b32_e32 v114, 31, v113
	v_ashrrev_i32_e32 v113, 18, v113
	v_lshrrev_b32_e32 v115, 31, v112
	v_ashrrev_i32_e32 v112, 18, v112
	v_add_nc_u16 v113, v113, v114
	v_add_nc_u16 v112, v112, v115
	v_cmp_lt_i16_e64 s35, v113, v112
	v_cndmask_b32_e64 v112, v69, v70, s35
	v_cndmask_b32_e64 v70, v70, v69, s35
	v_mov_b32_e32 v69, v112
	s_or_b32 exec_lo, exec_lo, s38
	s_and_saveexec_b32 s38, s61
	s_cbranch_execnz .LBB522_842
.LBB522_1321:
	s_or_b32 exec_lo, exec_lo, s38
	s_and_saveexec_b32 s38, s62
	s_cbranch_execz .LBB522_843
.LBB522_1322:
	v_mov_b32_e32 v112, 0x6667
	v_mul_i32_i24_sdwa v113, sext(v65), v112 dst_sel:DWORD dst_unused:UNUSED_PAD src0_sel:WORD_0 src1_sel:DWORD
	v_mul_i32_i24_sdwa v112, sext(v66), v112 dst_sel:DWORD dst_unused:UNUSED_PAD src0_sel:WORD_0 src1_sel:DWORD
	v_lshrrev_b32_e32 v114, 31, v113
	v_ashrrev_i32_e32 v113, 18, v113
	v_lshrrev_b32_e32 v115, 31, v112
	v_ashrrev_i32_e32 v112, 18, v112
	v_add_nc_u16 v113, v113, v114
	v_add_nc_u16 v112, v112, v115
	v_cmp_lt_i16_e64 s35, v113, v112
	v_cndmask_b32_e64 v112, v65, v66, s35
	v_cndmask_b32_e64 v66, v66, v65, s35
	v_mov_b32_e32 v65, v112
	s_or_b32 exec_lo, exec_lo, s38
	s_and_saveexec_b32 s38, s63
	s_cbranch_execnz .LBB522_844
.LBB522_1323:
	s_or_b32 exec_lo, exec_lo, s38
	s_and_saveexec_b32 s38, s72
	s_cbranch_execz .LBB522_845
.LBB522_1324:
	v_mov_b32_e32 v112, 0x6667
	v_mul_i32_i24_sdwa v113, sext(v52), v112 dst_sel:DWORD dst_unused:UNUSED_PAD src0_sel:WORD_0 src1_sel:DWORD
	v_mul_i32_i24_sdwa v112, sext(v53), v112 dst_sel:DWORD dst_unused:UNUSED_PAD src0_sel:WORD_0 src1_sel:DWORD
	v_lshrrev_b32_e32 v114, 31, v113
	v_ashrrev_i32_e32 v113, 18, v113
	v_lshrrev_b32_e32 v115, 31, v112
	v_ashrrev_i32_e32 v112, 18, v112
	v_add_nc_u16 v113, v113, v114
	v_add_nc_u16 v112, v112, v115
	v_cmp_lt_i16_e64 s35, v113, v112
	v_cndmask_b32_e64 v112, v52, v53, s35
	v_cndmask_b32_e64 v53, v53, v52, s35
	v_mov_b32_e32 v52, v112
	s_or_b32 exec_lo, exec_lo, s38
	s_and_saveexec_b32 s38, s73
	s_cbranch_execnz .LBB522_846
.LBB522_1325:
	s_or_b32 exec_lo, exec_lo, s38
	s_and_saveexec_b32 s38, s74
	s_cbranch_execz .LBB522_847
.LBB522_1326:
	v_mov_b32_e32 v112, 0x6667
	v_mul_i32_i24_sdwa v113, sext(v49), v112 dst_sel:DWORD dst_unused:UNUSED_PAD src0_sel:WORD_0 src1_sel:DWORD
	v_mul_i32_i24_sdwa v112, sext(v50), v112 dst_sel:DWORD dst_unused:UNUSED_PAD src0_sel:WORD_0 src1_sel:DWORD
	v_lshrrev_b32_e32 v114, 31, v113
	v_ashrrev_i32_e32 v113, 18, v113
	v_lshrrev_b32_e32 v115, 31, v112
	v_ashrrev_i32_e32 v112, 18, v112
	v_add_nc_u16 v113, v113, v114
	v_add_nc_u16 v112, v112, v115
	v_cmp_lt_i16_e64 s35, v113, v112
	v_cndmask_b32_e64 v112, v50, v49, s35
	v_cndmask_b32_e64 v49, v49, v50, s35
	v_mov_b32_e32 v50, v112
	s_or_b32 exec_lo, exec_lo, s38
	s_and_saveexec_b32 s38, s75
	s_cbranch_execnz .LBB522_848
.LBB522_1327:
	s_or_b32 exec_lo, exec_lo, s38
	s_and_saveexec_b32 s38, s76
	s_cbranch_execz .LBB522_849
.LBB522_1328:
	v_mov_b32_e32 v112, 0x6667
	v_mul_i32_i24_sdwa v113, sext(v38), v112 dst_sel:DWORD dst_unused:UNUSED_PAD src0_sel:WORD_0 src1_sel:DWORD
	v_mul_i32_i24_sdwa v112, sext(v101), v112 dst_sel:DWORD dst_unused:UNUSED_PAD src0_sel:WORD_0 src1_sel:DWORD
	v_lshrrev_b32_e32 v114, 31, v113
	v_ashrrev_i32_e32 v113, 18, v113
	v_lshrrev_b32_e32 v115, 31, v112
	v_ashrrev_i32_e32 v112, 18, v112
	v_add_nc_u16 v113, v113, v114
	v_add_nc_u16 v112, v112, v115
	v_cmp_lt_i16_e64 s35, v113, v112
	v_cndmask_b32_e64 v112, v101, v38, s35
	v_cndmask_b32_e64 v38, v38, v101, s35
	v_mov_b32_e32 v101, v112
	s_or_b32 exec_lo, exec_lo, s38
	s_and_saveexec_b32 s38, s77
	s_cbranch_execnz .LBB522_850
.LBB522_1329:
	s_or_b32 exec_lo, exec_lo, s38
	s_and_saveexec_b32 s38, s78
	s_cbranch_execz .LBB522_851
.LBB522_1330:
	v_mov_b32_e32 v112, 0x6667
	v_mul_i32_i24_sdwa v113, sext(v96), v112 dst_sel:DWORD dst_unused:UNUSED_PAD src0_sel:WORD_0 src1_sel:DWORD
	v_mul_i32_i24_sdwa v112, sext(v98), v112 dst_sel:DWORD dst_unused:UNUSED_PAD src0_sel:WORD_0 src1_sel:DWORD
	v_lshrrev_b32_e32 v114, 31, v113
	v_ashrrev_i32_e32 v113, 18, v113
	v_lshrrev_b32_e32 v115, 31, v112
	v_ashrrev_i32_e32 v112, 18, v112
	v_add_nc_u16 v113, v113, v114
	v_add_nc_u16 v112, v112, v115
	v_cmp_lt_i16_e64 s35, v113, v112
	v_cndmask_b32_e64 v112, v96, v98, s35
	v_cndmask_b32_e64 v98, v98, v96, s35
	v_mov_b32_e32 v96, v112
	s_or_b32 exec_lo, exec_lo, s38
	s_and_saveexec_b32 s38, s79
	s_cbranch_execnz .LBB522_852
.LBB522_1331:
	s_or_b32 exec_lo, exec_lo, s38
	s_and_saveexec_b32 s38, s88
	s_cbranch_execz .LBB522_853
.LBB522_1332:
	v_mov_b32_e32 v112, 0x6667
	v_mul_i32_i24_sdwa v113, sext(v84), v112 dst_sel:DWORD dst_unused:UNUSED_PAD src0_sel:WORD_0 src1_sel:DWORD
	v_mul_i32_i24_sdwa v112, sext(v85), v112 dst_sel:DWORD dst_unused:UNUSED_PAD src0_sel:WORD_0 src1_sel:DWORD
	v_lshrrev_b32_e32 v114, 31, v113
	v_ashrrev_i32_e32 v113, 18, v113
	v_lshrrev_b32_e32 v115, 31, v112
	v_ashrrev_i32_e32 v112, 18, v112
	v_add_nc_u16 v113, v113, v114
	v_add_nc_u16 v112, v112, v115
	v_cmp_lt_i16_e64 s35, v113, v112
	v_cndmask_b32_e64 v112, v84, v85, s35
	v_cndmask_b32_e64 v85, v85, v84, s35
	v_mov_b32_e32 v84, v112
	s_or_b32 exec_lo, exec_lo, s38
	s_and_saveexec_b32 s38, s89
	s_cbranch_execnz .LBB522_854
.LBB522_1333:
	s_or_b32 exec_lo, exec_lo, s38
	s_and_saveexec_b32 s38, s90
	s_cbranch_execz .LBB522_855
.LBB522_1334:
	v_mov_b32_e32 v112, 0x6667
	v_mul_i32_i24_sdwa v113, sext(v80), v112 dst_sel:DWORD dst_unused:UNUSED_PAD src0_sel:WORD_0 src1_sel:DWORD
	v_mul_i32_i24_sdwa v112, sext(v81), v112 dst_sel:DWORD dst_unused:UNUSED_PAD src0_sel:WORD_0 src1_sel:DWORD
	v_lshrrev_b32_e32 v114, 31, v113
	v_ashrrev_i32_e32 v113, 18, v113
	v_lshrrev_b32_e32 v115, 31, v112
	v_ashrrev_i32_e32 v112, 18, v112
	v_add_nc_u16 v113, v113, v114
	v_add_nc_u16 v112, v112, v115
	v_cmp_lt_i16_e64 s35, v113, v112
	v_cndmask_b32_e64 v112, v80, v81, s35
	v_cndmask_b32_e64 v81, v81, v80, s35
	v_mov_b32_e32 v80, v112
	s_or_b32 exec_lo, exec_lo, s38
	s_and_saveexec_b32 s38, s91
	s_cbranch_execnz .LBB522_856
.LBB522_1335:
	s_or_b32 exec_lo, exec_lo, s38
	s_and_saveexec_b32 s38, s92
	s_cbranch_execz .LBB522_857
.LBB522_1336:
	v_mov_b32_e32 v112, 0x6667
	v_mul_i32_i24_sdwa v113, sext(v68), v112 dst_sel:DWORD dst_unused:UNUSED_PAD src0_sel:WORD_0 src1_sel:DWORD
	v_mul_i32_i24_sdwa v112, sext(v69), v112 dst_sel:DWORD dst_unused:UNUSED_PAD src0_sel:WORD_0 src1_sel:DWORD
	v_lshrrev_b32_e32 v114, 31, v113
	v_ashrrev_i32_e32 v113, 18, v113
	v_lshrrev_b32_e32 v115, 31, v112
	v_ashrrev_i32_e32 v112, 18, v112
	v_add_nc_u16 v113, v113, v114
	v_add_nc_u16 v112, v112, v115
	v_cmp_lt_i16_e64 s35, v113, v112
	v_cndmask_b32_e64 v112, v68, v69, s35
	v_cndmask_b32_e64 v69, v69, v68, s35
	v_mov_b32_e32 v68, v112
	s_or_b32 exec_lo, exec_lo, s38
	s_and_saveexec_b32 s38, s93
	s_cbranch_execnz .LBB522_858
.LBB522_1337:
	s_or_b32 exec_lo, exec_lo, s38
	s_and_saveexec_b32 s38, s94
	s_cbranch_execz .LBB522_859
.LBB522_1338:
	v_mov_b32_e32 v112, 0x6667
	v_mul_i32_i24_sdwa v113, sext(v64), v112 dst_sel:DWORD dst_unused:UNUSED_PAD src0_sel:WORD_0 src1_sel:DWORD
	v_mul_i32_i24_sdwa v112, sext(v65), v112 dst_sel:DWORD dst_unused:UNUSED_PAD src0_sel:WORD_0 src1_sel:DWORD
	v_lshrrev_b32_e32 v114, 31, v113
	v_ashrrev_i32_e32 v113, 18, v113
	v_lshrrev_b32_e32 v115, 31, v112
	v_ashrrev_i32_e32 v112, 18, v112
	v_add_nc_u16 v113, v113, v114
	v_add_nc_u16 v112, v112, v115
	v_cmp_lt_i16_e64 s35, v113, v112
	v_cndmask_b32_e64 v112, v64, v65, s35
	v_cndmask_b32_e64 v65, v65, v64, s35
	v_mov_b32_e32 v64, v112
	s_or_b32 exec_lo, exec_lo, s38
	s_and_saveexec_b32 s38, s95
	s_cbranch_execnz .LBB522_860
.LBB522_1339:
	s_or_b32 exec_lo, exec_lo, s38
	s_and_saveexec_b32 s38, vcc_hi
	s_cbranch_execz .LBB522_861
.LBB522_1340:
	v_mov_b32_e32 v112, 0x6667
	v_mul_i32_i24_sdwa v113, sext(v51), v112 dst_sel:DWORD dst_unused:UNUSED_PAD src0_sel:WORD_0 src1_sel:DWORD
	v_mul_i32_i24_sdwa v112, sext(v52), v112 dst_sel:DWORD dst_unused:UNUSED_PAD src0_sel:WORD_0 src1_sel:DWORD
	v_lshrrev_b32_e32 v114, 31, v113
	v_ashrrev_i32_e32 v113, 18, v113
	v_lshrrev_b32_e32 v115, 31, v112
	v_ashrrev_i32_e32 v112, 18, v112
	v_add_nc_u16 v113, v113, v114
	v_add_nc_u16 v112, v112, v115
	v_cmp_lt_i16_e64 s35, v113, v112
	v_cndmask_b32_e64 v112, v51, v52, s35
	v_cndmask_b32_e64 v52, v52, v51, s35
	v_mov_b32_e32 v51, v112
	s_or_b32 exec_lo, exec_lo, s38
	s_and_saveexec_b32 s38, s30
	s_cbranch_execnz .LBB522_862
.LBB522_1341:
	s_or_b32 exec_lo, exec_lo, s38
	s_and_saveexec_b32 s38, s31
	s_cbranch_execz .LBB522_863
.LBB522_1342:
	v_mov_b32_e32 v112, 0x6667
	v_mul_i32_i24_sdwa v113, sext(v48), v112 dst_sel:DWORD dst_unused:UNUSED_PAD src0_sel:WORD_0 src1_sel:DWORD
	v_mul_i32_i24_sdwa v112, sext(v49), v112 dst_sel:DWORD dst_unused:UNUSED_PAD src0_sel:WORD_0 src1_sel:DWORD
	v_lshrrev_b32_e32 v114, 31, v113
	v_ashrrev_i32_e32 v113, 18, v113
	v_lshrrev_b32_e32 v115, 31, v112
	v_ashrrev_i32_e32 v112, 18, v112
	v_add_nc_u16 v113, v113, v114
	v_add_nc_u16 v112, v112, v115
	v_cmp_lt_i16_e64 s35, v113, v112
	v_cndmask_b32_e64 v112, v49, v48, s35
	v_cndmask_b32_e64 v48, v48, v49, s35
	v_mov_b32_e32 v49, v112
	s_or_b32 exec_lo, exec_lo, s38
	s_and_saveexec_b32 s38, s34
	s_cbranch_execnz .LBB522_864
.LBB522_1343:
	s_or_b32 exec_lo, exec_lo, s38
	s_and_saveexec_b32 s38, s8
	s_cbranch_execz .LBB522_865
.LBB522_1344:
	v_mov_b32_e32 v112, 0x6667
	v_mul_i32_i24_sdwa v113, sext(v100), v112 dst_sel:DWORD dst_unused:UNUSED_PAD src0_sel:WORD_0 src1_sel:DWORD
	v_mul_i32_i24_sdwa v112, sext(v97), v112 dst_sel:DWORD dst_unused:UNUSED_PAD src0_sel:WORD_0 src1_sel:DWORD
	v_lshrrev_b32_e32 v114, 31, v113
	v_ashrrev_i32_e32 v113, 18, v113
	v_lshrrev_b32_e32 v115, 31, v112
	v_ashrrev_i32_e32 v112, 18, v112
	v_add_nc_u16 v113, v113, v114
	v_add_nc_u16 v112, v112, v115
	v_cmp_lt_i16_e64 s35, v113, v112
	v_cndmask_b32_e64 v112, v100, v97, s35
	v_cndmask_b32_e64 v97, v97, v100, s35
	v_mov_b32_e32 v100, v112
	s_or_b32 exec_lo, exec_lo, s38
	s_and_saveexec_b32 s38, s9
	s_cbranch_execnz .LBB522_866
.LBB522_1345:
	s_or_b32 exec_lo, exec_lo, s38
	s_and_saveexec_b32 s38, s12
	s_cbranch_execz .LBB522_867
.LBB522_1346:
	v_mov_b32_e32 v112, 0x6667
	v_mul_i32_i24_sdwa v113, sext(v87), v112 dst_sel:DWORD dst_unused:UNUSED_PAD src0_sel:WORD_0 src1_sel:DWORD
	v_mul_i32_i24_sdwa v112, sext(v96), v112 dst_sel:DWORD dst_unused:UNUSED_PAD src0_sel:WORD_0 src1_sel:DWORD
	v_lshrrev_b32_e32 v114, 31, v113
	v_ashrrev_i32_e32 v113, 18, v113
	v_lshrrev_b32_e32 v115, 31, v112
	v_ashrrev_i32_e32 v112, 18, v112
	v_add_nc_u16 v113, v113, v114
	v_add_nc_u16 v112, v112, v115
	v_cmp_lt_i16_e64 s35, v113, v112
	v_cndmask_b32_e64 v112, v87, v96, s35
	v_cndmask_b32_e64 v96, v96, v87, s35
	v_mov_b32_e32 v87, v112
	s_or_b32 exec_lo, exec_lo, s38
	s_and_saveexec_b32 s38, s13
	s_cbranch_execnz .LBB522_868
.LBB522_1347:
	s_or_b32 exec_lo, exec_lo, s38
	s_and_saveexec_b32 s38, s57
	s_cbranch_execz .LBB522_869
.LBB522_1348:
	v_mov_b32_e32 v112, 0x6667
	v_mul_i32_i24_sdwa v113, sext(v83), v112 dst_sel:DWORD dst_unused:UNUSED_PAD src0_sel:WORD_0 src1_sel:DWORD
	v_mul_i32_i24_sdwa v112, sext(v84), v112 dst_sel:DWORD dst_unused:UNUSED_PAD src0_sel:WORD_0 src1_sel:DWORD
	v_lshrrev_b32_e32 v114, 31, v113
	v_ashrrev_i32_e32 v113, 18, v113
	v_lshrrev_b32_e32 v115, 31, v112
	v_ashrrev_i32_e32 v112, 18, v112
	v_add_nc_u16 v113, v113, v114
	v_add_nc_u16 v112, v112, v115
	v_cmp_lt_i16_e64 s35, v113, v112
	v_cndmask_b32_e64 v112, v83, v84, s35
	v_cndmask_b32_e64 v84, v84, v83, s35
	v_mov_b32_e32 v83, v112
	s_or_b32 exec_lo, exec_lo, s38
	s_and_saveexec_b32 s38, s58
	s_cbranch_execnz .LBB522_870
.LBB522_1349:
	s_or_b32 exec_lo, exec_lo, s38
	s_and_saveexec_b32 s38, s59
	s_cbranch_execz .LBB522_871
.LBB522_1350:
	v_mov_b32_e32 v112, 0x6667
	v_mul_i32_i24_sdwa v113, sext(v71), v112 dst_sel:DWORD dst_unused:UNUSED_PAD src0_sel:WORD_0 src1_sel:DWORD
	v_mul_i32_i24_sdwa v112, sext(v80), v112 dst_sel:DWORD dst_unused:UNUSED_PAD src0_sel:WORD_0 src1_sel:DWORD
	v_lshrrev_b32_e32 v114, 31, v113
	v_ashrrev_i32_e32 v113, 18, v113
	v_lshrrev_b32_e32 v115, 31, v112
	v_ashrrev_i32_e32 v112, 18, v112
	v_add_nc_u16 v113, v113, v114
	v_add_nc_u16 v112, v112, v115
	v_cmp_lt_i16_e64 s35, v113, v112
	v_cndmask_b32_e64 v112, v71, v80, s35
	v_cndmask_b32_e64 v80, v80, v71, s35
	v_mov_b32_e32 v71, v112
	s_or_b32 exec_lo, exec_lo, s38
	s_and_saveexec_b32 s38, s60
	s_cbranch_execnz .LBB522_872
.LBB522_1351:
	s_or_b32 exec_lo, exec_lo, s38
	s_and_saveexec_b32 s38, s61
	s_cbranch_execz .LBB522_873
.LBB522_1352:
	v_mov_b32_e32 v112, 0x6667
	v_mul_i32_i24_sdwa v113, sext(v67), v112 dst_sel:DWORD dst_unused:UNUSED_PAD src0_sel:WORD_0 src1_sel:DWORD
	v_mul_i32_i24_sdwa v112, sext(v68), v112 dst_sel:DWORD dst_unused:UNUSED_PAD src0_sel:WORD_0 src1_sel:DWORD
	v_lshrrev_b32_e32 v114, 31, v113
	v_ashrrev_i32_e32 v113, 18, v113
	v_lshrrev_b32_e32 v115, 31, v112
	v_ashrrev_i32_e32 v112, 18, v112
	v_add_nc_u16 v113, v113, v114
	v_add_nc_u16 v112, v112, v115
	v_cmp_lt_i16_e64 s35, v113, v112
	v_cndmask_b32_e64 v112, v67, v68, s35
	v_cndmask_b32_e64 v68, v68, v67, s35
	v_mov_b32_e32 v67, v112
	s_or_b32 exec_lo, exec_lo, s38
	s_and_saveexec_b32 s38, s62
	s_cbranch_execnz .LBB522_874
.LBB522_1353:
	s_or_b32 exec_lo, exec_lo, s38
	s_and_saveexec_b32 s38, s63
	s_cbranch_execz .LBB522_875
.LBB522_1354:
	v_mov_b32_e32 v112, 0x6667
	v_mul_i32_i24_sdwa v113, sext(v55), v112 dst_sel:DWORD dst_unused:UNUSED_PAD src0_sel:WORD_0 src1_sel:DWORD
	v_mul_i32_i24_sdwa v112, sext(v64), v112 dst_sel:DWORD dst_unused:UNUSED_PAD src0_sel:WORD_0 src1_sel:DWORD
	v_lshrrev_b32_e32 v114, 31, v113
	v_ashrrev_i32_e32 v113, 18, v113
	v_lshrrev_b32_e32 v115, 31, v112
	v_ashrrev_i32_e32 v112, 18, v112
	v_add_nc_u16 v113, v113, v114
	v_add_nc_u16 v112, v112, v115
	v_cmp_lt_i16_e64 s35, v113, v112
	v_cndmask_b32_e64 v112, v55, v64, s35
	v_cndmask_b32_e64 v64, v64, v55, s35
	v_mov_b32_e32 v55, v112
	s_or_b32 exec_lo, exec_lo, s38
	s_and_saveexec_b32 s38, s72
	s_cbranch_execnz .LBB522_876
.LBB522_1355:
	s_or_b32 exec_lo, exec_lo, s38
	s_and_saveexec_b32 s38, s73
	s_cbranch_execz .LBB522_877
.LBB522_1356:
	v_mov_b32_e32 v112, 0x6667
	v_mul_i32_i24_sdwa v113, sext(v54), v112 dst_sel:DWORD dst_unused:UNUSED_PAD src0_sel:WORD_0 src1_sel:DWORD
	v_mul_i32_i24_sdwa v112, sext(v51), v112 dst_sel:DWORD dst_unused:UNUSED_PAD src0_sel:WORD_0 src1_sel:DWORD
	v_lshrrev_b32_e32 v114, 31, v113
	v_ashrrev_i32_e32 v113, 18, v113
	v_lshrrev_b32_e32 v115, 31, v112
	v_ashrrev_i32_e32 v112, 18, v112
	v_add_nc_u16 v113, v113, v114
	v_add_nc_u16 v112, v112, v115
	v_cmp_lt_i16_e64 s35, v113, v112
	v_cndmask_b32_e64 v112, v54, v51, s35
	v_cndmask_b32_e64 v51, v51, v54, s35
	v_mov_b32_e32 v54, v112
	s_or_b32 exec_lo, exec_lo, s38
	s_and_saveexec_b32 s38, s74
	s_cbranch_execnz .LBB522_878
.LBB522_1357:
	s_or_b32 exec_lo, exec_lo, s38
	s_and_saveexec_b32 s38, s75
	s_cbranch_execz .LBB522_879
.LBB522_1358:
	v_mov_b32_e32 v112, 0x6667
	v_mul_i32_i24_sdwa v113, sext(v39), v112 dst_sel:DWORD dst_unused:UNUSED_PAD src0_sel:WORD_0 src1_sel:DWORD
	v_mul_i32_i24_sdwa v112, sext(v48), v112 dst_sel:DWORD dst_unused:UNUSED_PAD src0_sel:WORD_0 src1_sel:DWORD
	v_lshrrev_b32_e32 v114, 31, v113
	v_ashrrev_i32_e32 v113, 18, v113
	v_lshrrev_b32_e32 v115, 31, v112
	v_ashrrev_i32_e32 v112, 18, v112
	v_add_nc_u16 v113, v113, v114
	v_add_nc_u16 v112, v112, v115
	v_cmp_lt_i16_e64 s35, v113, v112
	v_cndmask_b32_e64 v112, v48, v39, s35
	v_cndmask_b32_e64 v39, v39, v48, s35
	v_mov_b32_e32 v48, v112
	s_or_b32 exec_lo, exec_lo, s38
	s_and_saveexec_b32 s38, s76
	s_cbranch_execnz .LBB522_880
.LBB522_1359:
	s_or_b32 exec_lo, exec_lo, s38
	s_and_saveexec_b32 s38, s77
	s_cbranch_execz .LBB522_881
.LBB522_1360:
	v_mov_b32_e32 v112, 0x6667
	v_mul_i32_i24_sdwa v113, sext(v99), v112 dst_sel:DWORD dst_unused:UNUSED_PAD src0_sel:WORD_0 src1_sel:DWORD
	v_mul_i32_i24_sdwa v112, sext(v100), v112 dst_sel:DWORD dst_unused:UNUSED_PAD src0_sel:WORD_0 src1_sel:DWORD
	v_lshrrev_b32_e32 v114, 31, v113
	v_ashrrev_i32_e32 v113, 18, v113
	v_lshrrev_b32_e32 v115, 31, v112
	v_ashrrev_i32_e32 v112, 18, v112
	v_add_nc_u16 v113, v113, v114
	v_add_nc_u16 v112, v112, v115
	v_cmp_lt_i16_e64 s35, v113, v112
	v_cndmask_b32_e64 v112, v99, v100, s35
	v_cndmask_b32_e64 v100, v100, v99, s35
	v_mov_b32_e32 v99, v112
	s_or_b32 exec_lo, exec_lo, s38
	s_and_saveexec_b32 s38, s78
	s_cbranch_execnz .LBB522_882
.LBB522_1361:
	s_or_b32 exec_lo, exec_lo, s38
	s_and_saveexec_b32 s38, s79
	s_cbranch_execz .LBB522_883
.LBB522_1362:
	v_mov_b32_e32 v112, 0x6667
	v_mul_i32_i24_sdwa v113, sext(v86), v112 dst_sel:DWORD dst_unused:UNUSED_PAD src0_sel:WORD_0 src1_sel:DWORD
	v_mul_i32_i24_sdwa v112, sext(v87), v112 dst_sel:DWORD dst_unused:UNUSED_PAD src0_sel:WORD_0 src1_sel:DWORD
	v_lshrrev_b32_e32 v114, 31, v113
	v_ashrrev_i32_e32 v113, 18, v113
	v_lshrrev_b32_e32 v115, 31, v112
	v_ashrrev_i32_e32 v112, 18, v112
	v_add_nc_u16 v113, v113, v114
	v_add_nc_u16 v112, v112, v115
	v_cmp_lt_i16_e64 s35, v113, v112
	v_cndmask_b32_e64 v112, v86, v87, s35
	v_cndmask_b32_e64 v87, v87, v86, s35
	v_mov_b32_e32 v86, v112
	s_or_b32 exec_lo, exec_lo, s38
	s_and_saveexec_b32 s38, s88
	s_cbranch_execnz .LBB522_884
.LBB522_1363:
	s_or_b32 exec_lo, exec_lo, s38
	s_and_saveexec_b32 s38, s89
	s_cbranch_execz .LBB522_885
.LBB522_1364:
	v_mov_b32_e32 v112, 0x6667
	v_mul_i32_i24_sdwa v113, sext(v82), v112 dst_sel:DWORD dst_unused:UNUSED_PAD src0_sel:WORD_0 src1_sel:DWORD
	v_mul_i32_i24_sdwa v112, sext(v83), v112 dst_sel:DWORD dst_unused:UNUSED_PAD src0_sel:WORD_0 src1_sel:DWORD
	v_lshrrev_b32_e32 v114, 31, v113
	v_ashrrev_i32_e32 v113, 18, v113
	v_lshrrev_b32_e32 v115, 31, v112
	v_ashrrev_i32_e32 v112, 18, v112
	v_add_nc_u16 v113, v113, v114
	v_add_nc_u16 v112, v112, v115
	v_cmp_lt_i16_e64 s35, v113, v112
	v_cndmask_b32_e64 v112, v82, v83, s35
	v_cndmask_b32_e64 v83, v83, v82, s35
	v_mov_b32_e32 v82, v112
	s_or_b32 exec_lo, exec_lo, s38
	s_and_saveexec_b32 s38, s90
	s_cbranch_execnz .LBB522_886
.LBB522_1365:
	s_or_b32 exec_lo, exec_lo, s38
	s_and_saveexec_b32 s38, s91
	s_cbranch_execz .LBB522_887
.LBB522_1366:
	v_mov_b32_e32 v112, 0x6667
	v_mul_i32_i24_sdwa v113, sext(v70), v112 dst_sel:DWORD dst_unused:UNUSED_PAD src0_sel:WORD_0 src1_sel:DWORD
	v_mul_i32_i24_sdwa v112, sext(v71), v112 dst_sel:DWORD dst_unused:UNUSED_PAD src0_sel:WORD_0 src1_sel:DWORD
	v_lshrrev_b32_e32 v114, 31, v113
	v_ashrrev_i32_e32 v113, 18, v113
	v_lshrrev_b32_e32 v115, 31, v112
	v_ashrrev_i32_e32 v112, 18, v112
	v_add_nc_u16 v113, v113, v114
	v_add_nc_u16 v112, v112, v115
	v_cmp_lt_i16_e64 s35, v113, v112
	v_cndmask_b32_e64 v112, v70, v71, s35
	v_cndmask_b32_e64 v71, v71, v70, s35
	v_mov_b32_e32 v70, v112
	s_or_b32 exec_lo, exec_lo, s38
	s_and_saveexec_b32 s38, s92
	s_cbranch_execnz .LBB522_888
.LBB522_1367:
	s_or_b32 exec_lo, exec_lo, s38
	s_and_saveexec_b32 s38, s93
	s_cbranch_execz .LBB522_889
.LBB522_1368:
	v_mov_b32_e32 v112, 0x6667
	v_mul_i32_i24_sdwa v113, sext(v66), v112 dst_sel:DWORD dst_unused:UNUSED_PAD src0_sel:WORD_0 src1_sel:DWORD
	v_mul_i32_i24_sdwa v112, sext(v67), v112 dst_sel:DWORD dst_unused:UNUSED_PAD src0_sel:WORD_0 src1_sel:DWORD
	v_lshrrev_b32_e32 v114, 31, v113
	v_ashrrev_i32_e32 v113, 18, v113
	v_lshrrev_b32_e32 v115, 31, v112
	v_ashrrev_i32_e32 v112, 18, v112
	v_add_nc_u16 v113, v113, v114
	v_add_nc_u16 v112, v112, v115
	v_cmp_lt_i16_e64 s35, v113, v112
	v_cndmask_b32_e64 v112, v66, v67, s35
	v_cndmask_b32_e64 v67, v67, v66, s35
	v_mov_b32_e32 v66, v112
	s_or_b32 exec_lo, exec_lo, s38
	s_and_saveexec_b32 s38, s94
	s_cbranch_execnz .LBB522_890
.LBB522_1369:
	s_or_b32 exec_lo, exec_lo, s38
	s_and_saveexec_b32 s38, s95
	s_cbranch_execz .LBB522_891
.LBB522_1370:
	v_mov_b32_e32 v112, 0x6667
	v_mul_i32_i24_sdwa v113, sext(v53), v112 dst_sel:DWORD dst_unused:UNUSED_PAD src0_sel:WORD_0 src1_sel:DWORD
	v_mul_i32_i24_sdwa v112, sext(v55), v112 dst_sel:DWORD dst_unused:UNUSED_PAD src0_sel:WORD_0 src1_sel:DWORD
	v_lshrrev_b32_e32 v114, 31, v113
	v_ashrrev_i32_e32 v113, 18, v113
	v_lshrrev_b32_e32 v115, 31, v112
	v_ashrrev_i32_e32 v112, 18, v112
	v_add_nc_u16 v113, v113, v114
	v_add_nc_u16 v112, v112, v115
	v_cmp_lt_i16_e64 s35, v113, v112
	v_cndmask_b32_e64 v112, v53, v55, s35
	v_cndmask_b32_e64 v55, v55, v53, s35
	v_mov_b32_e32 v53, v112
	s_or_b32 exec_lo, exec_lo, s38
	s_and_saveexec_b32 s38, vcc_hi
	s_cbranch_execnz .LBB522_892
.LBB522_1371:
	s_or_b32 exec_lo, exec_lo, s38
	s_and_saveexec_b32 s38, s30
	s_cbranch_execz .LBB522_893
.LBB522_1372:
	v_mov_b32_e32 v112, 0x6667
	v_mul_i32_i24_sdwa v113, sext(v50), v112 dst_sel:DWORD dst_unused:UNUSED_PAD src0_sel:WORD_0 src1_sel:DWORD
	v_mul_i32_i24_sdwa v112, sext(v54), v112 dst_sel:DWORD dst_unused:UNUSED_PAD src0_sel:WORD_0 src1_sel:DWORD
	v_lshrrev_b32_e32 v114, 31, v113
	v_ashrrev_i32_e32 v113, 18, v113
	v_lshrrev_b32_e32 v115, 31, v112
	v_ashrrev_i32_e32 v112, 18, v112
	v_add_nc_u16 v113, v113, v114
	v_add_nc_u16 v112, v112, v115
	v_cmp_lt_i16_e64 s35, v113, v112
	v_cndmask_b32_e64 v112, v54, v50, s35
	v_cndmask_b32_e64 v50, v50, v54, s35
	v_mov_b32_e32 v54, v112
	s_or_b32 exec_lo, exec_lo, s38
	s_and_saveexec_b32 s38, s31
	s_cbranch_execnz .LBB522_894
.LBB522_1373:
	s_or_b32 exec_lo, exec_lo, s38
	s_and_saveexec_b32 s38, s34
	s_cbranch_execz .LBB522_895
.LBB522_1374:
	v_mov_b32_e32 v112, 0x6667
	v_mul_i32_i24_sdwa v113, sext(v101), v112 dst_sel:DWORD dst_unused:UNUSED_PAD src0_sel:WORD_0 src1_sel:DWORD
	v_mul_i32_i24_sdwa v112, sext(v39), v112 dst_sel:DWORD dst_unused:UNUSED_PAD src0_sel:WORD_0 src1_sel:DWORD
	v_lshrrev_b32_e32 v114, 31, v113
	v_ashrrev_i32_e32 v113, 18, v113
	v_lshrrev_b32_e32 v115, 31, v112
	v_ashrrev_i32_e32 v112, 18, v112
	v_add_nc_u16 v113, v113, v114
	v_add_nc_u16 v112, v112, v115
	v_cmp_lt_i16_e64 s35, v113, v112
	v_cndmask_b32_e64 v112, v39, v101, s35
	v_cndmask_b32_e64 v101, v101, v39, s35
	v_mov_b32_e32 v39, v112
	s_or_b32 exec_lo, exec_lo, s38
	s_and_saveexec_b32 s38, s8
	s_cbranch_execnz .LBB522_896
.LBB522_1375:
	s_or_b32 exec_lo, exec_lo, s38
	s_and_saveexec_b32 s38, s9
	s_cbranch_execz .LBB522_897
.LBB522_1376:
	v_mov_b32_e32 v112, 0x6667
	v_mul_i32_i24_sdwa v113, sext(v98), v112 dst_sel:DWORD dst_unused:UNUSED_PAD src0_sel:WORD_0 src1_sel:DWORD
	v_mul_i32_i24_sdwa v112, sext(v99), v112 dst_sel:DWORD dst_unused:UNUSED_PAD src0_sel:WORD_0 src1_sel:DWORD
	v_lshrrev_b32_e32 v114, 31, v113
	v_ashrrev_i32_e32 v113, 18, v113
	v_lshrrev_b32_e32 v115, 31, v112
	v_ashrrev_i32_e32 v112, 18, v112
	v_add_nc_u16 v113, v113, v114
	v_add_nc_u16 v112, v112, v115
	v_cmp_lt_i16_e64 s35, v113, v112
	v_cndmask_b32_e64 v112, v98, v99, s35
	v_cndmask_b32_e64 v99, v99, v98, s35
	v_mov_b32_e32 v98, v112
	s_or_b32 exec_lo, exec_lo, s38
	s_and_saveexec_b32 s38, s12
	s_cbranch_execnz .LBB522_898
.LBB522_1377:
	s_or_b32 exec_lo, exec_lo, s38
	s_and_saveexec_b32 s38, s13
	s_cbranch_execz .LBB522_899
.LBB522_1378:
	v_mov_b32_e32 v112, 0x6667
	v_mul_i32_i24_sdwa v113, sext(v85), v112 dst_sel:DWORD dst_unused:UNUSED_PAD src0_sel:WORD_0 src1_sel:DWORD
	v_mul_i32_i24_sdwa v112, sext(v86), v112 dst_sel:DWORD dst_unused:UNUSED_PAD src0_sel:WORD_0 src1_sel:DWORD
	v_lshrrev_b32_e32 v114, 31, v113
	v_ashrrev_i32_e32 v113, 18, v113
	v_lshrrev_b32_e32 v115, 31, v112
	v_ashrrev_i32_e32 v112, 18, v112
	v_add_nc_u16 v113, v113, v114
	v_add_nc_u16 v112, v112, v115
	v_cmp_lt_i16_e64 s35, v113, v112
	v_cndmask_b32_e64 v112, v85, v86, s35
	v_cndmask_b32_e64 v86, v86, v85, s35
	v_mov_b32_e32 v85, v112
	s_or_b32 exec_lo, exec_lo, s38
	s_and_saveexec_b32 s38, s57
	s_cbranch_execnz .LBB522_900
.LBB522_1379:
	s_or_b32 exec_lo, exec_lo, s38
	s_and_saveexec_b32 s38, s58
	s_cbranch_execz .LBB522_901
.LBB522_1380:
	v_mov_b32_e32 v112, 0x6667
	v_mul_i32_i24_sdwa v113, sext(v81), v112 dst_sel:DWORD dst_unused:UNUSED_PAD src0_sel:WORD_0 src1_sel:DWORD
	v_mul_i32_i24_sdwa v112, sext(v82), v112 dst_sel:DWORD dst_unused:UNUSED_PAD src0_sel:WORD_0 src1_sel:DWORD
	v_lshrrev_b32_e32 v114, 31, v113
	v_ashrrev_i32_e32 v113, 18, v113
	v_lshrrev_b32_e32 v115, 31, v112
	v_ashrrev_i32_e32 v112, 18, v112
	v_add_nc_u16 v113, v113, v114
	v_add_nc_u16 v112, v112, v115
	v_cmp_lt_i16_e64 s35, v113, v112
	v_cndmask_b32_e64 v112, v81, v82, s35
	v_cndmask_b32_e64 v82, v82, v81, s35
	v_mov_b32_e32 v81, v112
	s_or_b32 exec_lo, exec_lo, s38
	s_and_saveexec_b32 s38, s59
	s_cbranch_execnz .LBB522_902
.LBB522_1381:
	s_or_b32 exec_lo, exec_lo, s38
	s_and_saveexec_b32 s38, s60
	s_cbranch_execz .LBB522_903
.LBB522_1382:
	v_mov_b32_e32 v112, 0x6667
	v_mul_i32_i24_sdwa v113, sext(v69), v112 dst_sel:DWORD dst_unused:UNUSED_PAD src0_sel:WORD_0 src1_sel:DWORD
	v_mul_i32_i24_sdwa v112, sext(v70), v112 dst_sel:DWORD dst_unused:UNUSED_PAD src0_sel:WORD_0 src1_sel:DWORD
	v_lshrrev_b32_e32 v114, 31, v113
	v_ashrrev_i32_e32 v113, 18, v113
	v_lshrrev_b32_e32 v115, 31, v112
	v_ashrrev_i32_e32 v112, 18, v112
	v_add_nc_u16 v113, v113, v114
	v_add_nc_u16 v112, v112, v115
	v_cmp_lt_i16_e64 s35, v113, v112
	v_cndmask_b32_e64 v112, v69, v70, s35
	v_cndmask_b32_e64 v70, v70, v69, s35
	v_mov_b32_e32 v69, v112
	s_or_b32 exec_lo, exec_lo, s38
	s_and_saveexec_b32 s38, s61
	s_cbranch_execnz .LBB522_904
.LBB522_1383:
	s_or_b32 exec_lo, exec_lo, s38
	s_and_saveexec_b32 s38, s62
	s_cbranch_execz .LBB522_905
.LBB522_1384:
	v_mov_b32_e32 v112, 0x6667
	v_mul_i32_i24_sdwa v113, sext(v65), v112 dst_sel:DWORD dst_unused:UNUSED_PAD src0_sel:WORD_0 src1_sel:DWORD
	v_mul_i32_i24_sdwa v112, sext(v66), v112 dst_sel:DWORD dst_unused:UNUSED_PAD src0_sel:WORD_0 src1_sel:DWORD
	v_lshrrev_b32_e32 v114, 31, v113
	v_ashrrev_i32_e32 v113, 18, v113
	v_lshrrev_b32_e32 v115, 31, v112
	v_ashrrev_i32_e32 v112, 18, v112
	v_add_nc_u16 v113, v113, v114
	v_add_nc_u16 v112, v112, v115
	v_cmp_lt_i16_e64 s35, v113, v112
	v_cndmask_b32_e64 v112, v65, v66, s35
	v_cndmask_b32_e64 v66, v66, v65, s35
	v_mov_b32_e32 v65, v112
	s_or_b32 exec_lo, exec_lo, s38
	s_and_saveexec_b32 s38, s63
	s_cbranch_execnz .LBB522_906
.LBB522_1385:
	s_or_b32 exec_lo, exec_lo, s38
	s_and_saveexec_b32 s38, s72
	s_cbranch_execz .LBB522_907
.LBB522_1386:
	v_mov_b32_e32 v112, 0x6667
	v_mul_i32_i24_sdwa v113, sext(v52), v112 dst_sel:DWORD dst_unused:UNUSED_PAD src0_sel:WORD_0 src1_sel:DWORD
	v_mul_i32_i24_sdwa v112, sext(v53), v112 dst_sel:DWORD dst_unused:UNUSED_PAD src0_sel:WORD_0 src1_sel:DWORD
	v_lshrrev_b32_e32 v114, 31, v113
	v_ashrrev_i32_e32 v113, 18, v113
	v_lshrrev_b32_e32 v115, 31, v112
	v_ashrrev_i32_e32 v112, 18, v112
	v_add_nc_u16 v113, v113, v114
	v_add_nc_u16 v112, v112, v115
	v_cmp_lt_i16_e64 s35, v113, v112
	v_cndmask_b32_e64 v112, v52, v53, s35
	v_cndmask_b32_e64 v53, v53, v52, s35
	v_mov_b32_e32 v52, v112
	s_or_b32 exec_lo, exec_lo, s38
	s_and_saveexec_b32 s38, s73
	s_cbranch_execnz .LBB522_908
.LBB522_1387:
	s_or_b32 exec_lo, exec_lo, s38
	s_and_saveexec_b32 s38, s74
	s_cbranch_execz .LBB522_909
.LBB522_1388:
	v_mov_b32_e32 v112, 0x6667
	v_mul_i32_i24_sdwa v113, sext(v49), v112 dst_sel:DWORD dst_unused:UNUSED_PAD src0_sel:WORD_0 src1_sel:DWORD
	v_mul_i32_i24_sdwa v112, sext(v50), v112 dst_sel:DWORD dst_unused:UNUSED_PAD src0_sel:WORD_0 src1_sel:DWORD
	v_lshrrev_b32_e32 v114, 31, v113
	v_ashrrev_i32_e32 v113, 18, v113
	v_lshrrev_b32_e32 v115, 31, v112
	v_ashrrev_i32_e32 v112, 18, v112
	v_add_nc_u16 v113, v113, v114
	v_add_nc_u16 v112, v112, v115
	v_cmp_lt_i16_e64 s35, v113, v112
	v_cndmask_b32_e64 v112, v50, v49, s35
	v_cndmask_b32_e64 v49, v49, v50, s35
	v_mov_b32_e32 v50, v112
	s_or_b32 exec_lo, exec_lo, s38
	s_and_saveexec_b32 s38, s75
	s_cbranch_execnz .LBB522_910
.LBB522_1389:
	s_or_b32 exec_lo, exec_lo, s38
	s_and_saveexec_b32 s38, s76
	s_cbranch_execz .LBB522_911
.LBB522_1390:
	v_mov_b32_e32 v112, 0x6667
	v_mul_i32_i24_sdwa v113, sext(v38), v112 dst_sel:DWORD dst_unused:UNUSED_PAD src0_sel:WORD_0 src1_sel:DWORD
	v_mul_i32_i24_sdwa v112, sext(v101), v112 dst_sel:DWORD dst_unused:UNUSED_PAD src0_sel:WORD_0 src1_sel:DWORD
	v_lshrrev_b32_e32 v114, 31, v113
	v_ashrrev_i32_e32 v113, 18, v113
	v_lshrrev_b32_e32 v115, 31, v112
	v_ashrrev_i32_e32 v112, 18, v112
	v_add_nc_u16 v113, v113, v114
	v_add_nc_u16 v112, v112, v115
	v_cmp_lt_i16_e64 s35, v113, v112
	v_cndmask_b32_e64 v112, v101, v38, s35
	v_cndmask_b32_e64 v38, v38, v101, s35
	v_mov_b32_e32 v101, v112
	s_or_b32 exec_lo, exec_lo, s38
	s_and_saveexec_b32 s38, s77
	s_cbranch_execnz .LBB522_912
.LBB522_1391:
	s_or_b32 exec_lo, exec_lo, s38
	s_and_saveexec_b32 s38, s78
	s_cbranch_execz .LBB522_913
.LBB522_1392:
	v_mov_b32_e32 v112, 0x6667
	v_mul_i32_i24_sdwa v113, sext(v96), v112 dst_sel:DWORD dst_unused:UNUSED_PAD src0_sel:WORD_0 src1_sel:DWORD
	v_mul_i32_i24_sdwa v112, sext(v98), v112 dst_sel:DWORD dst_unused:UNUSED_PAD src0_sel:WORD_0 src1_sel:DWORD
	v_lshrrev_b32_e32 v114, 31, v113
	v_ashrrev_i32_e32 v113, 18, v113
	v_lshrrev_b32_e32 v115, 31, v112
	v_ashrrev_i32_e32 v112, 18, v112
	v_add_nc_u16 v113, v113, v114
	v_add_nc_u16 v112, v112, v115
	v_cmp_lt_i16_e64 s35, v113, v112
	v_cndmask_b32_e64 v112, v96, v98, s35
	v_cndmask_b32_e64 v98, v98, v96, s35
	v_mov_b32_e32 v96, v112
	s_or_b32 exec_lo, exec_lo, s38
	s_and_saveexec_b32 s38, s79
	s_cbranch_execnz .LBB522_914
.LBB522_1393:
	s_or_b32 exec_lo, exec_lo, s38
	s_and_saveexec_b32 s38, s88
	s_cbranch_execz .LBB522_915
.LBB522_1394:
	v_mov_b32_e32 v112, 0x6667
	v_mul_i32_i24_sdwa v113, sext(v84), v112 dst_sel:DWORD dst_unused:UNUSED_PAD src0_sel:WORD_0 src1_sel:DWORD
	v_mul_i32_i24_sdwa v112, sext(v85), v112 dst_sel:DWORD dst_unused:UNUSED_PAD src0_sel:WORD_0 src1_sel:DWORD
	v_lshrrev_b32_e32 v114, 31, v113
	v_ashrrev_i32_e32 v113, 18, v113
	v_lshrrev_b32_e32 v115, 31, v112
	v_ashrrev_i32_e32 v112, 18, v112
	v_add_nc_u16 v113, v113, v114
	v_add_nc_u16 v112, v112, v115
	v_cmp_lt_i16_e64 s35, v113, v112
	v_cndmask_b32_e64 v112, v84, v85, s35
	v_cndmask_b32_e64 v85, v85, v84, s35
	v_mov_b32_e32 v84, v112
	s_or_b32 exec_lo, exec_lo, s38
	s_and_saveexec_b32 s38, s89
	s_cbranch_execnz .LBB522_916
.LBB522_1395:
	s_or_b32 exec_lo, exec_lo, s38
	s_and_saveexec_b32 s38, s90
	s_cbranch_execz .LBB522_917
.LBB522_1396:
	v_mov_b32_e32 v112, 0x6667
	v_mul_i32_i24_sdwa v113, sext(v80), v112 dst_sel:DWORD dst_unused:UNUSED_PAD src0_sel:WORD_0 src1_sel:DWORD
	v_mul_i32_i24_sdwa v112, sext(v81), v112 dst_sel:DWORD dst_unused:UNUSED_PAD src0_sel:WORD_0 src1_sel:DWORD
	v_lshrrev_b32_e32 v114, 31, v113
	v_ashrrev_i32_e32 v113, 18, v113
	v_lshrrev_b32_e32 v115, 31, v112
	v_ashrrev_i32_e32 v112, 18, v112
	v_add_nc_u16 v113, v113, v114
	v_add_nc_u16 v112, v112, v115
	v_cmp_lt_i16_e64 s35, v113, v112
	v_cndmask_b32_e64 v112, v80, v81, s35
	v_cndmask_b32_e64 v81, v81, v80, s35
	v_mov_b32_e32 v80, v112
	s_or_b32 exec_lo, exec_lo, s38
	s_and_saveexec_b32 s38, s91
	s_cbranch_execnz .LBB522_918
.LBB522_1397:
	s_or_b32 exec_lo, exec_lo, s38
	s_and_saveexec_b32 s38, s92
	s_cbranch_execz .LBB522_919
.LBB522_1398:
	v_mov_b32_e32 v112, 0x6667
	v_mul_i32_i24_sdwa v113, sext(v68), v112 dst_sel:DWORD dst_unused:UNUSED_PAD src0_sel:WORD_0 src1_sel:DWORD
	v_mul_i32_i24_sdwa v112, sext(v69), v112 dst_sel:DWORD dst_unused:UNUSED_PAD src0_sel:WORD_0 src1_sel:DWORD
	v_lshrrev_b32_e32 v114, 31, v113
	v_ashrrev_i32_e32 v113, 18, v113
	v_lshrrev_b32_e32 v115, 31, v112
	v_ashrrev_i32_e32 v112, 18, v112
	v_add_nc_u16 v113, v113, v114
	v_add_nc_u16 v112, v112, v115
	v_cmp_lt_i16_e64 s35, v113, v112
	v_cndmask_b32_e64 v112, v68, v69, s35
	v_cndmask_b32_e64 v69, v69, v68, s35
	v_mov_b32_e32 v68, v112
	s_or_b32 exec_lo, exec_lo, s38
	s_and_saveexec_b32 s38, s93
	s_cbranch_execnz .LBB522_920
.LBB522_1399:
	s_or_b32 exec_lo, exec_lo, s38
	s_and_saveexec_b32 s38, s94
	s_cbranch_execz .LBB522_921
.LBB522_1400:
	v_mov_b32_e32 v112, 0x6667
	v_mul_i32_i24_sdwa v113, sext(v64), v112 dst_sel:DWORD dst_unused:UNUSED_PAD src0_sel:WORD_0 src1_sel:DWORD
	v_mul_i32_i24_sdwa v112, sext(v65), v112 dst_sel:DWORD dst_unused:UNUSED_PAD src0_sel:WORD_0 src1_sel:DWORD
	v_lshrrev_b32_e32 v114, 31, v113
	v_ashrrev_i32_e32 v113, 18, v113
	v_lshrrev_b32_e32 v115, 31, v112
	v_ashrrev_i32_e32 v112, 18, v112
	v_add_nc_u16 v113, v113, v114
	v_add_nc_u16 v112, v112, v115
	v_cmp_lt_i16_e64 s35, v113, v112
	v_cndmask_b32_e64 v112, v64, v65, s35
	v_cndmask_b32_e64 v65, v65, v64, s35
	v_mov_b32_e32 v64, v112
	s_or_b32 exec_lo, exec_lo, s38
	s_and_saveexec_b32 s38, s95
	s_cbranch_execnz .LBB522_922
.LBB522_1401:
	s_or_b32 exec_lo, exec_lo, s38
	s_and_saveexec_b32 s38, vcc_hi
	s_cbranch_execz .LBB522_923
.LBB522_1402:
	v_mov_b32_e32 v112, 0x6667
	v_mul_i32_i24_sdwa v113, sext(v51), v112 dst_sel:DWORD dst_unused:UNUSED_PAD src0_sel:WORD_0 src1_sel:DWORD
	v_mul_i32_i24_sdwa v112, sext(v52), v112 dst_sel:DWORD dst_unused:UNUSED_PAD src0_sel:WORD_0 src1_sel:DWORD
	v_lshrrev_b32_e32 v114, 31, v113
	v_ashrrev_i32_e32 v113, 18, v113
	v_lshrrev_b32_e32 v115, 31, v112
	v_ashrrev_i32_e32 v112, 18, v112
	v_add_nc_u16 v113, v113, v114
	v_add_nc_u16 v112, v112, v115
	v_cmp_lt_i16_e64 s35, v113, v112
	v_cndmask_b32_e64 v112, v51, v52, s35
	v_cndmask_b32_e64 v52, v52, v51, s35
	v_mov_b32_e32 v51, v112
	s_or_b32 exec_lo, exec_lo, s38
	s_and_saveexec_b32 s38, s30
	s_cbranch_execnz .LBB522_924
.LBB522_1403:
	s_or_b32 exec_lo, exec_lo, s38
	s_and_saveexec_b32 s38, s31
	s_cbranch_execz .LBB522_925
.LBB522_1404:
	v_mov_b32_e32 v112, 0x6667
	v_mul_i32_i24_sdwa v113, sext(v48), v112 dst_sel:DWORD dst_unused:UNUSED_PAD src0_sel:WORD_0 src1_sel:DWORD
	v_mul_i32_i24_sdwa v112, sext(v49), v112 dst_sel:DWORD dst_unused:UNUSED_PAD src0_sel:WORD_0 src1_sel:DWORD
	v_lshrrev_b32_e32 v114, 31, v113
	v_ashrrev_i32_e32 v113, 18, v113
	v_lshrrev_b32_e32 v115, 31, v112
	v_ashrrev_i32_e32 v112, 18, v112
	v_add_nc_u16 v113, v113, v114
	v_add_nc_u16 v112, v112, v115
	v_cmp_lt_i16_e64 s35, v113, v112
	v_cndmask_b32_e64 v112, v49, v48, s35
	v_cndmask_b32_e64 v48, v48, v49, s35
	v_mov_b32_e32 v49, v112
	s_or_b32 exec_lo, exec_lo, s38
	s_and_saveexec_b32 s38, s34
	s_cbranch_execnz .LBB522_926
.LBB522_1405:
	s_or_b32 exec_lo, exec_lo, s38
	s_and_saveexec_b32 s38, s8
	s_cbranch_execz .LBB522_927
.LBB522_1406:
	v_mov_b32_e32 v112, 0x6667
	v_mul_i32_i24_sdwa v113, sext(v100), v112 dst_sel:DWORD dst_unused:UNUSED_PAD src0_sel:WORD_0 src1_sel:DWORD
	v_mul_i32_i24_sdwa v112, sext(v97), v112 dst_sel:DWORD dst_unused:UNUSED_PAD src0_sel:WORD_0 src1_sel:DWORD
	v_lshrrev_b32_e32 v114, 31, v113
	v_ashrrev_i32_e32 v113, 18, v113
	v_lshrrev_b32_e32 v115, 31, v112
	v_ashrrev_i32_e32 v112, 18, v112
	v_add_nc_u16 v113, v113, v114
	v_add_nc_u16 v112, v112, v115
	v_cmp_lt_i16_e64 s35, v113, v112
	v_cndmask_b32_e64 v112, v100, v97, s35
	v_cndmask_b32_e64 v97, v97, v100, s35
	v_mov_b32_e32 v100, v112
	s_or_b32 exec_lo, exec_lo, s38
	s_and_saveexec_b32 s38, s9
	s_cbranch_execnz .LBB522_928
.LBB522_1407:
	s_or_b32 exec_lo, exec_lo, s38
	s_and_saveexec_b32 s38, s12
	s_cbranch_execz .LBB522_929
.LBB522_1408:
	v_mov_b32_e32 v112, 0x6667
	v_mul_i32_i24_sdwa v113, sext(v87), v112 dst_sel:DWORD dst_unused:UNUSED_PAD src0_sel:WORD_0 src1_sel:DWORD
	v_mul_i32_i24_sdwa v112, sext(v96), v112 dst_sel:DWORD dst_unused:UNUSED_PAD src0_sel:WORD_0 src1_sel:DWORD
	v_lshrrev_b32_e32 v114, 31, v113
	v_ashrrev_i32_e32 v113, 18, v113
	v_lshrrev_b32_e32 v115, 31, v112
	v_ashrrev_i32_e32 v112, 18, v112
	v_add_nc_u16 v113, v113, v114
	v_add_nc_u16 v112, v112, v115
	v_cmp_lt_i16_e64 s35, v113, v112
	v_cndmask_b32_e64 v112, v87, v96, s35
	v_cndmask_b32_e64 v96, v96, v87, s35
	v_mov_b32_e32 v87, v112
	s_or_b32 exec_lo, exec_lo, s38
	s_and_saveexec_b32 s38, s13
	s_cbranch_execnz .LBB522_930
.LBB522_1409:
	s_or_b32 exec_lo, exec_lo, s38
	s_and_saveexec_b32 s38, s57
	s_cbranch_execz .LBB522_931
.LBB522_1410:
	v_mov_b32_e32 v112, 0x6667
	v_mul_i32_i24_sdwa v113, sext(v83), v112 dst_sel:DWORD dst_unused:UNUSED_PAD src0_sel:WORD_0 src1_sel:DWORD
	v_mul_i32_i24_sdwa v112, sext(v84), v112 dst_sel:DWORD dst_unused:UNUSED_PAD src0_sel:WORD_0 src1_sel:DWORD
	v_lshrrev_b32_e32 v114, 31, v113
	v_ashrrev_i32_e32 v113, 18, v113
	v_lshrrev_b32_e32 v115, 31, v112
	v_ashrrev_i32_e32 v112, 18, v112
	v_add_nc_u16 v113, v113, v114
	v_add_nc_u16 v112, v112, v115
	v_cmp_lt_i16_e64 s35, v113, v112
	v_cndmask_b32_e64 v112, v83, v84, s35
	v_cndmask_b32_e64 v84, v84, v83, s35
	v_mov_b32_e32 v83, v112
	s_or_b32 exec_lo, exec_lo, s38
	s_and_saveexec_b32 s38, s58
	s_cbranch_execnz .LBB522_932
.LBB522_1411:
	s_or_b32 exec_lo, exec_lo, s38
	s_and_saveexec_b32 s38, s59
	s_cbranch_execz .LBB522_933
.LBB522_1412:
	v_mov_b32_e32 v112, 0x6667
	v_mul_i32_i24_sdwa v113, sext(v71), v112 dst_sel:DWORD dst_unused:UNUSED_PAD src0_sel:WORD_0 src1_sel:DWORD
	v_mul_i32_i24_sdwa v112, sext(v80), v112 dst_sel:DWORD dst_unused:UNUSED_PAD src0_sel:WORD_0 src1_sel:DWORD
	v_lshrrev_b32_e32 v114, 31, v113
	v_ashrrev_i32_e32 v113, 18, v113
	v_lshrrev_b32_e32 v115, 31, v112
	v_ashrrev_i32_e32 v112, 18, v112
	v_add_nc_u16 v113, v113, v114
	v_add_nc_u16 v112, v112, v115
	v_cmp_lt_i16_e64 s35, v113, v112
	v_cndmask_b32_e64 v112, v71, v80, s35
	v_cndmask_b32_e64 v80, v80, v71, s35
	v_mov_b32_e32 v71, v112
	s_or_b32 exec_lo, exec_lo, s38
	s_and_saveexec_b32 s38, s60
	s_cbranch_execnz .LBB522_934
.LBB522_1413:
	s_or_b32 exec_lo, exec_lo, s38
	s_and_saveexec_b32 s38, s61
	s_cbranch_execz .LBB522_935
.LBB522_1414:
	v_mov_b32_e32 v112, 0x6667
	v_mul_i32_i24_sdwa v113, sext(v67), v112 dst_sel:DWORD dst_unused:UNUSED_PAD src0_sel:WORD_0 src1_sel:DWORD
	v_mul_i32_i24_sdwa v112, sext(v68), v112 dst_sel:DWORD dst_unused:UNUSED_PAD src0_sel:WORD_0 src1_sel:DWORD
	v_lshrrev_b32_e32 v114, 31, v113
	v_ashrrev_i32_e32 v113, 18, v113
	v_lshrrev_b32_e32 v115, 31, v112
	v_ashrrev_i32_e32 v112, 18, v112
	v_add_nc_u16 v113, v113, v114
	v_add_nc_u16 v112, v112, v115
	v_cmp_lt_i16_e64 s35, v113, v112
	v_cndmask_b32_e64 v112, v67, v68, s35
	v_cndmask_b32_e64 v68, v68, v67, s35
	v_mov_b32_e32 v67, v112
	s_or_b32 exec_lo, exec_lo, s38
	s_and_saveexec_b32 s38, s62
	s_cbranch_execnz .LBB522_936
.LBB522_1415:
	s_or_b32 exec_lo, exec_lo, s38
	s_and_saveexec_b32 s38, s63
	s_cbranch_execz .LBB522_937
.LBB522_1416:
	v_mov_b32_e32 v112, 0x6667
	v_mul_i32_i24_sdwa v113, sext(v55), v112 dst_sel:DWORD dst_unused:UNUSED_PAD src0_sel:WORD_0 src1_sel:DWORD
	v_mul_i32_i24_sdwa v112, sext(v64), v112 dst_sel:DWORD dst_unused:UNUSED_PAD src0_sel:WORD_0 src1_sel:DWORD
	v_lshrrev_b32_e32 v114, 31, v113
	v_ashrrev_i32_e32 v113, 18, v113
	v_lshrrev_b32_e32 v115, 31, v112
	v_ashrrev_i32_e32 v112, 18, v112
	v_add_nc_u16 v113, v113, v114
	v_add_nc_u16 v112, v112, v115
	v_cmp_lt_i16_e64 s35, v113, v112
	v_cndmask_b32_e64 v112, v55, v64, s35
	v_cndmask_b32_e64 v64, v64, v55, s35
	v_mov_b32_e32 v55, v112
	s_or_b32 exec_lo, exec_lo, s38
	s_and_saveexec_b32 s38, s72
	s_cbranch_execnz .LBB522_938
.LBB522_1417:
	s_or_b32 exec_lo, exec_lo, s38
	s_and_saveexec_b32 s38, s73
	s_cbranch_execz .LBB522_939
.LBB522_1418:
	v_mov_b32_e32 v112, 0x6667
	v_mul_i32_i24_sdwa v113, sext(v54), v112 dst_sel:DWORD dst_unused:UNUSED_PAD src0_sel:WORD_0 src1_sel:DWORD
	v_mul_i32_i24_sdwa v112, sext(v51), v112 dst_sel:DWORD dst_unused:UNUSED_PAD src0_sel:WORD_0 src1_sel:DWORD
	v_lshrrev_b32_e32 v114, 31, v113
	v_ashrrev_i32_e32 v113, 18, v113
	v_lshrrev_b32_e32 v115, 31, v112
	v_ashrrev_i32_e32 v112, 18, v112
	v_add_nc_u16 v113, v113, v114
	v_add_nc_u16 v112, v112, v115
	v_cmp_lt_i16_e64 s35, v113, v112
	v_cndmask_b32_e64 v112, v54, v51, s35
	v_cndmask_b32_e64 v51, v51, v54, s35
	v_mov_b32_e32 v54, v112
	s_or_b32 exec_lo, exec_lo, s38
	s_and_saveexec_b32 s38, s74
	s_cbranch_execnz .LBB522_940
.LBB522_1419:
	s_or_b32 exec_lo, exec_lo, s38
	s_and_saveexec_b32 s38, s75
	s_cbranch_execz .LBB522_941
.LBB522_1420:
	v_mov_b32_e32 v112, 0x6667
	v_mul_i32_i24_sdwa v113, sext(v39), v112 dst_sel:DWORD dst_unused:UNUSED_PAD src0_sel:WORD_0 src1_sel:DWORD
	v_mul_i32_i24_sdwa v112, sext(v48), v112 dst_sel:DWORD dst_unused:UNUSED_PAD src0_sel:WORD_0 src1_sel:DWORD
	v_lshrrev_b32_e32 v114, 31, v113
	v_ashrrev_i32_e32 v113, 18, v113
	v_lshrrev_b32_e32 v115, 31, v112
	v_ashrrev_i32_e32 v112, 18, v112
	v_add_nc_u16 v113, v113, v114
	v_add_nc_u16 v112, v112, v115
	v_cmp_lt_i16_e64 s35, v113, v112
	v_cndmask_b32_e64 v112, v48, v39, s35
	v_cndmask_b32_e64 v39, v39, v48, s35
	v_mov_b32_e32 v48, v112
	s_or_b32 exec_lo, exec_lo, s38
	s_and_saveexec_b32 s38, s76
	s_cbranch_execnz .LBB522_942
.LBB522_1421:
	s_or_b32 exec_lo, exec_lo, s38
	s_and_saveexec_b32 s38, s77
	s_cbranch_execz .LBB522_943
.LBB522_1422:
	v_mov_b32_e32 v112, 0x6667
	v_mul_i32_i24_sdwa v113, sext(v99), v112 dst_sel:DWORD dst_unused:UNUSED_PAD src0_sel:WORD_0 src1_sel:DWORD
	v_mul_i32_i24_sdwa v112, sext(v100), v112 dst_sel:DWORD dst_unused:UNUSED_PAD src0_sel:WORD_0 src1_sel:DWORD
	v_lshrrev_b32_e32 v114, 31, v113
	v_ashrrev_i32_e32 v113, 18, v113
	v_lshrrev_b32_e32 v115, 31, v112
	v_ashrrev_i32_e32 v112, 18, v112
	v_add_nc_u16 v113, v113, v114
	v_add_nc_u16 v112, v112, v115
	v_cmp_lt_i16_e64 s35, v113, v112
	v_cndmask_b32_e64 v112, v99, v100, s35
	v_cndmask_b32_e64 v100, v100, v99, s35
	v_mov_b32_e32 v99, v112
	s_or_b32 exec_lo, exec_lo, s38
	s_and_saveexec_b32 s38, s78
	s_cbranch_execnz .LBB522_944
.LBB522_1423:
	s_or_b32 exec_lo, exec_lo, s38
	s_and_saveexec_b32 s38, s79
	s_cbranch_execz .LBB522_945
.LBB522_1424:
	v_mov_b32_e32 v112, 0x6667
	v_mul_i32_i24_sdwa v113, sext(v86), v112 dst_sel:DWORD dst_unused:UNUSED_PAD src0_sel:WORD_0 src1_sel:DWORD
	v_mul_i32_i24_sdwa v112, sext(v87), v112 dst_sel:DWORD dst_unused:UNUSED_PAD src0_sel:WORD_0 src1_sel:DWORD
	v_lshrrev_b32_e32 v114, 31, v113
	v_ashrrev_i32_e32 v113, 18, v113
	v_lshrrev_b32_e32 v115, 31, v112
	v_ashrrev_i32_e32 v112, 18, v112
	v_add_nc_u16 v113, v113, v114
	v_add_nc_u16 v112, v112, v115
	v_cmp_lt_i16_e64 s35, v113, v112
	v_cndmask_b32_e64 v112, v86, v87, s35
	v_cndmask_b32_e64 v87, v87, v86, s35
	v_mov_b32_e32 v86, v112
	s_or_b32 exec_lo, exec_lo, s38
	s_and_saveexec_b32 s38, s88
	s_cbranch_execnz .LBB522_946
.LBB522_1425:
	s_or_b32 exec_lo, exec_lo, s38
	s_and_saveexec_b32 s38, s89
	s_cbranch_execz .LBB522_947
.LBB522_1426:
	v_mov_b32_e32 v112, 0x6667
	v_mul_i32_i24_sdwa v113, sext(v82), v112 dst_sel:DWORD dst_unused:UNUSED_PAD src0_sel:WORD_0 src1_sel:DWORD
	v_mul_i32_i24_sdwa v112, sext(v83), v112 dst_sel:DWORD dst_unused:UNUSED_PAD src0_sel:WORD_0 src1_sel:DWORD
	v_lshrrev_b32_e32 v114, 31, v113
	v_ashrrev_i32_e32 v113, 18, v113
	v_lshrrev_b32_e32 v115, 31, v112
	v_ashrrev_i32_e32 v112, 18, v112
	v_add_nc_u16 v113, v113, v114
	v_add_nc_u16 v112, v112, v115
	v_cmp_lt_i16_e64 s35, v113, v112
	v_cndmask_b32_e64 v112, v82, v83, s35
	v_cndmask_b32_e64 v83, v83, v82, s35
	v_mov_b32_e32 v82, v112
	s_or_b32 exec_lo, exec_lo, s38
	s_and_saveexec_b32 s38, s90
	s_cbranch_execnz .LBB522_948
.LBB522_1427:
	s_or_b32 exec_lo, exec_lo, s38
	s_and_saveexec_b32 s38, s91
	s_cbranch_execz .LBB522_949
.LBB522_1428:
	v_mov_b32_e32 v112, 0x6667
	v_mul_i32_i24_sdwa v113, sext(v70), v112 dst_sel:DWORD dst_unused:UNUSED_PAD src0_sel:WORD_0 src1_sel:DWORD
	v_mul_i32_i24_sdwa v112, sext(v71), v112 dst_sel:DWORD dst_unused:UNUSED_PAD src0_sel:WORD_0 src1_sel:DWORD
	v_lshrrev_b32_e32 v114, 31, v113
	v_ashrrev_i32_e32 v113, 18, v113
	v_lshrrev_b32_e32 v115, 31, v112
	v_ashrrev_i32_e32 v112, 18, v112
	v_add_nc_u16 v113, v113, v114
	v_add_nc_u16 v112, v112, v115
	v_cmp_lt_i16_e64 s35, v113, v112
	v_cndmask_b32_e64 v112, v70, v71, s35
	v_cndmask_b32_e64 v71, v71, v70, s35
	v_mov_b32_e32 v70, v112
	s_or_b32 exec_lo, exec_lo, s38
	s_and_saveexec_b32 s38, s92
	s_cbranch_execnz .LBB522_950
.LBB522_1429:
	s_or_b32 exec_lo, exec_lo, s38
	s_and_saveexec_b32 s38, s93
	s_cbranch_execz .LBB522_951
.LBB522_1430:
	v_mov_b32_e32 v112, 0x6667
	v_mul_i32_i24_sdwa v113, sext(v66), v112 dst_sel:DWORD dst_unused:UNUSED_PAD src0_sel:WORD_0 src1_sel:DWORD
	v_mul_i32_i24_sdwa v112, sext(v67), v112 dst_sel:DWORD dst_unused:UNUSED_PAD src0_sel:WORD_0 src1_sel:DWORD
	v_lshrrev_b32_e32 v114, 31, v113
	v_ashrrev_i32_e32 v113, 18, v113
	v_lshrrev_b32_e32 v115, 31, v112
	v_ashrrev_i32_e32 v112, 18, v112
	v_add_nc_u16 v113, v113, v114
	v_add_nc_u16 v112, v112, v115
	v_cmp_lt_i16_e64 s35, v113, v112
	v_cndmask_b32_e64 v112, v66, v67, s35
	v_cndmask_b32_e64 v67, v67, v66, s35
	v_mov_b32_e32 v66, v112
	s_or_b32 exec_lo, exec_lo, s38
	s_and_saveexec_b32 s38, s94
	s_cbranch_execnz .LBB522_952
.LBB522_1431:
	s_or_b32 exec_lo, exec_lo, s38
	s_and_saveexec_b32 s38, s95
	s_cbranch_execz .LBB522_953
.LBB522_1432:
	v_mov_b32_e32 v112, 0x6667
	v_mul_i32_i24_sdwa v113, sext(v53), v112 dst_sel:DWORD dst_unused:UNUSED_PAD src0_sel:WORD_0 src1_sel:DWORD
	v_mul_i32_i24_sdwa v112, sext(v55), v112 dst_sel:DWORD dst_unused:UNUSED_PAD src0_sel:WORD_0 src1_sel:DWORD
	v_lshrrev_b32_e32 v114, 31, v113
	v_ashrrev_i32_e32 v113, 18, v113
	v_lshrrev_b32_e32 v115, 31, v112
	v_ashrrev_i32_e32 v112, 18, v112
	v_add_nc_u16 v113, v113, v114
	v_add_nc_u16 v112, v112, v115
	v_cmp_lt_i16_e64 s35, v113, v112
	v_cndmask_b32_e64 v112, v53, v55, s35
	v_cndmask_b32_e64 v55, v55, v53, s35
	v_mov_b32_e32 v53, v112
	s_or_b32 exec_lo, exec_lo, s38
	s_and_saveexec_b32 s38, vcc_hi
	s_cbranch_execnz .LBB522_954
.LBB522_1433:
	s_or_b32 exec_lo, exec_lo, s38
	s_and_saveexec_b32 s38, s30
	s_cbranch_execz .LBB522_955
.LBB522_1434:
	v_mov_b32_e32 v112, 0x6667
	v_mul_i32_i24_sdwa v113, sext(v50), v112 dst_sel:DWORD dst_unused:UNUSED_PAD src0_sel:WORD_0 src1_sel:DWORD
	v_mul_i32_i24_sdwa v112, sext(v54), v112 dst_sel:DWORD dst_unused:UNUSED_PAD src0_sel:WORD_0 src1_sel:DWORD
	v_lshrrev_b32_e32 v114, 31, v113
	v_ashrrev_i32_e32 v113, 18, v113
	v_lshrrev_b32_e32 v115, 31, v112
	v_ashrrev_i32_e32 v112, 18, v112
	v_add_nc_u16 v113, v113, v114
	v_add_nc_u16 v112, v112, v115
	v_cmp_lt_i16_e64 s35, v113, v112
	v_cndmask_b32_e64 v112, v54, v50, s35
	v_cndmask_b32_e64 v50, v50, v54, s35
	v_mov_b32_e32 v54, v112
	s_or_b32 exec_lo, exec_lo, s38
	s_and_saveexec_b32 s38, s31
	s_cbranch_execnz .LBB522_956
.LBB522_1435:
	s_or_b32 exec_lo, exec_lo, s38
	s_and_saveexec_b32 s38, s34
	s_cbranch_execz .LBB522_957
.LBB522_1436:
	v_mov_b32_e32 v112, 0x6667
	v_mul_i32_i24_sdwa v113, sext(v101), v112 dst_sel:DWORD dst_unused:UNUSED_PAD src0_sel:WORD_0 src1_sel:DWORD
	v_mul_i32_i24_sdwa v112, sext(v39), v112 dst_sel:DWORD dst_unused:UNUSED_PAD src0_sel:WORD_0 src1_sel:DWORD
	v_lshrrev_b32_e32 v114, 31, v113
	v_ashrrev_i32_e32 v113, 18, v113
	v_lshrrev_b32_e32 v115, 31, v112
	v_ashrrev_i32_e32 v112, 18, v112
	v_add_nc_u16 v113, v113, v114
	v_add_nc_u16 v112, v112, v115
	v_cmp_lt_i16_e64 s35, v113, v112
	v_cndmask_b32_e64 v112, v39, v101, s35
	v_cndmask_b32_e64 v101, v101, v39, s35
	v_mov_b32_e32 v39, v112
	s_or_b32 exec_lo, exec_lo, s38
	s_and_saveexec_b32 s38, s8
	s_cbranch_execnz .LBB522_958
.LBB522_1437:
	s_or_b32 exec_lo, exec_lo, s38
	s_and_saveexec_b32 s38, s9
	s_cbranch_execz .LBB522_959
.LBB522_1438:
	v_mov_b32_e32 v112, 0x6667
	v_mul_i32_i24_sdwa v113, sext(v98), v112 dst_sel:DWORD dst_unused:UNUSED_PAD src0_sel:WORD_0 src1_sel:DWORD
	v_mul_i32_i24_sdwa v112, sext(v99), v112 dst_sel:DWORD dst_unused:UNUSED_PAD src0_sel:WORD_0 src1_sel:DWORD
	v_lshrrev_b32_e32 v114, 31, v113
	v_ashrrev_i32_e32 v113, 18, v113
	v_lshrrev_b32_e32 v115, 31, v112
	v_ashrrev_i32_e32 v112, 18, v112
	v_add_nc_u16 v113, v113, v114
	v_add_nc_u16 v112, v112, v115
	v_cmp_lt_i16_e64 s35, v113, v112
	v_cndmask_b32_e64 v112, v98, v99, s35
	v_cndmask_b32_e64 v99, v99, v98, s35
	v_mov_b32_e32 v98, v112
	s_or_b32 exec_lo, exec_lo, s38
	s_and_saveexec_b32 s38, s12
	s_cbranch_execnz .LBB522_960
.LBB522_1439:
	s_or_b32 exec_lo, exec_lo, s38
	s_and_saveexec_b32 s38, s13
	s_cbranch_execz .LBB522_961
.LBB522_1440:
	v_mov_b32_e32 v112, 0x6667
	v_mul_i32_i24_sdwa v113, sext(v85), v112 dst_sel:DWORD dst_unused:UNUSED_PAD src0_sel:WORD_0 src1_sel:DWORD
	v_mul_i32_i24_sdwa v112, sext(v86), v112 dst_sel:DWORD dst_unused:UNUSED_PAD src0_sel:WORD_0 src1_sel:DWORD
	v_lshrrev_b32_e32 v114, 31, v113
	v_ashrrev_i32_e32 v113, 18, v113
	v_lshrrev_b32_e32 v115, 31, v112
	v_ashrrev_i32_e32 v112, 18, v112
	v_add_nc_u16 v113, v113, v114
	v_add_nc_u16 v112, v112, v115
	v_cmp_lt_i16_e64 s35, v113, v112
	v_cndmask_b32_e64 v112, v85, v86, s35
	v_cndmask_b32_e64 v86, v86, v85, s35
	v_mov_b32_e32 v85, v112
	s_or_b32 exec_lo, exec_lo, s38
	s_and_saveexec_b32 s38, s57
	s_cbranch_execnz .LBB522_962
.LBB522_1441:
	s_or_b32 exec_lo, exec_lo, s38
	s_and_saveexec_b32 s38, s58
	s_cbranch_execz .LBB522_963
.LBB522_1442:
	v_mov_b32_e32 v112, 0x6667
	v_mul_i32_i24_sdwa v113, sext(v81), v112 dst_sel:DWORD dst_unused:UNUSED_PAD src0_sel:WORD_0 src1_sel:DWORD
	v_mul_i32_i24_sdwa v112, sext(v82), v112 dst_sel:DWORD dst_unused:UNUSED_PAD src0_sel:WORD_0 src1_sel:DWORD
	v_lshrrev_b32_e32 v114, 31, v113
	v_ashrrev_i32_e32 v113, 18, v113
	v_lshrrev_b32_e32 v115, 31, v112
	v_ashrrev_i32_e32 v112, 18, v112
	v_add_nc_u16 v113, v113, v114
	v_add_nc_u16 v112, v112, v115
	v_cmp_lt_i16_e64 s35, v113, v112
	v_cndmask_b32_e64 v112, v81, v82, s35
	v_cndmask_b32_e64 v82, v82, v81, s35
	v_mov_b32_e32 v81, v112
	s_or_b32 exec_lo, exec_lo, s38
	s_and_saveexec_b32 s38, s59
	s_cbranch_execnz .LBB522_964
.LBB522_1443:
	s_or_b32 exec_lo, exec_lo, s38
	s_and_saveexec_b32 s38, s60
	s_cbranch_execz .LBB522_965
.LBB522_1444:
	v_mov_b32_e32 v112, 0x6667
	v_mul_i32_i24_sdwa v113, sext(v69), v112 dst_sel:DWORD dst_unused:UNUSED_PAD src0_sel:WORD_0 src1_sel:DWORD
	v_mul_i32_i24_sdwa v112, sext(v70), v112 dst_sel:DWORD dst_unused:UNUSED_PAD src0_sel:WORD_0 src1_sel:DWORD
	v_lshrrev_b32_e32 v114, 31, v113
	v_ashrrev_i32_e32 v113, 18, v113
	v_lshrrev_b32_e32 v115, 31, v112
	v_ashrrev_i32_e32 v112, 18, v112
	v_add_nc_u16 v113, v113, v114
	v_add_nc_u16 v112, v112, v115
	v_cmp_lt_i16_e64 s35, v113, v112
	v_cndmask_b32_e64 v112, v69, v70, s35
	v_cndmask_b32_e64 v70, v70, v69, s35
	v_mov_b32_e32 v69, v112
	s_or_b32 exec_lo, exec_lo, s38
	s_and_saveexec_b32 s38, s61
	s_cbranch_execnz .LBB522_966
.LBB522_1445:
	s_or_b32 exec_lo, exec_lo, s38
	s_and_saveexec_b32 s38, s62
	s_cbranch_execz .LBB522_967
.LBB522_1446:
	v_mov_b32_e32 v112, 0x6667
	v_mul_i32_i24_sdwa v113, sext(v65), v112 dst_sel:DWORD dst_unused:UNUSED_PAD src0_sel:WORD_0 src1_sel:DWORD
	v_mul_i32_i24_sdwa v112, sext(v66), v112 dst_sel:DWORD dst_unused:UNUSED_PAD src0_sel:WORD_0 src1_sel:DWORD
	v_lshrrev_b32_e32 v114, 31, v113
	v_ashrrev_i32_e32 v113, 18, v113
	v_lshrrev_b32_e32 v115, 31, v112
	v_ashrrev_i32_e32 v112, 18, v112
	v_add_nc_u16 v113, v113, v114
	v_add_nc_u16 v112, v112, v115
	v_cmp_lt_i16_e64 s35, v113, v112
	v_cndmask_b32_e64 v112, v65, v66, s35
	v_cndmask_b32_e64 v66, v66, v65, s35
	v_mov_b32_e32 v65, v112
	s_or_b32 exec_lo, exec_lo, s38
	s_and_saveexec_b32 s38, s63
	s_cbranch_execnz .LBB522_968
.LBB522_1447:
	s_or_b32 exec_lo, exec_lo, s38
	s_and_saveexec_b32 s38, s72
	s_cbranch_execz .LBB522_969
.LBB522_1448:
	v_mov_b32_e32 v112, 0x6667
	v_mul_i32_i24_sdwa v113, sext(v52), v112 dst_sel:DWORD dst_unused:UNUSED_PAD src0_sel:WORD_0 src1_sel:DWORD
	v_mul_i32_i24_sdwa v112, sext(v53), v112 dst_sel:DWORD dst_unused:UNUSED_PAD src0_sel:WORD_0 src1_sel:DWORD
	v_lshrrev_b32_e32 v114, 31, v113
	v_ashrrev_i32_e32 v113, 18, v113
	v_lshrrev_b32_e32 v115, 31, v112
	v_ashrrev_i32_e32 v112, 18, v112
	v_add_nc_u16 v113, v113, v114
	v_add_nc_u16 v112, v112, v115
	v_cmp_lt_i16_e64 s35, v113, v112
	v_cndmask_b32_e64 v112, v52, v53, s35
	v_cndmask_b32_e64 v53, v53, v52, s35
	v_mov_b32_e32 v52, v112
	s_or_b32 exec_lo, exec_lo, s38
	s_and_saveexec_b32 s38, s73
	s_cbranch_execnz .LBB522_970
.LBB522_1449:
	s_or_b32 exec_lo, exec_lo, s38
	s_and_saveexec_b32 s38, s74
	s_cbranch_execz .LBB522_971
.LBB522_1450:
	v_mov_b32_e32 v112, 0x6667
	v_mul_i32_i24_sdwa v113, sext(v49), v112 dst_sel:DWORD dst_unused:UNUSED_PAD src0_sel:WORD_0 src1_sel:DWORD
	v_mul_i32_i24_sdwa v112, sext(v50), v112 dst_sel:DWORD dst_unused:UNUSED_PAD src0_sel:WORD_0 src1_sel:DWORD
	v_lshrrev_b32_e32 v114, 31, v113
	v_ashrrev_i32_e32 v113, 18, v113
	v_lshrrev_b32_e32 v115, 31, v112
	v_ashrrev_i32_e32 v112, 18, v112
	v_add_nc_u16 v113, v113, v114
	v_add_nc_u16 v112, v112, v115
	v_cmp_lt_i16_e64 s35, v113, v112
	v_cndmask_b32_e64 v112, v50, v49, s35
	v_cndmask_b32_e64 v49, v49, v50, s35
	v_mov_b32_e32 v50, v112
	s_or_b32 exec_lo, exec_lo, s38
	s_and_saveexec_b32 s38, s75
	s_cbranch_execnz .LBB522_972
.LBB522_1451:
	s_or_b32 exec_lo, exec_lo, s38
	s_and_saveexec_b32 s38, s76
	s_cbranch_execz .LBB522_973
.LBB522_1452:
	v_mov_b32_e32 v112, 0x6667
	v_mul_i32_i24_sdwa v113, sext(v38), v112 dst_sel:DWORD dst_unused:UNUSED_PAD src0_sel:WORD_0 src1_sel:DWORD
	v_mul_i32_i24_sdwa v112, sext(v101), v112 dst_sel:DWORD dst_unused:UNUSED_PAD src0_sel:WORD_0 src1_sel:DWORD
	v_lshrrev_b32_e32 v114, 31, v113
	v_ashrrev_i32_e32 v113, 18, v113
	v_lshrrev_b32_e32 v115, 31, v112
	v_ashrrev_i32_e32 v112, 18, v112
	v_add_nc_u16 v113, v113, v114
	v_add_nc_u16 v112, v112, v115
	v_cmp_lt_i16_e64 s35, v113, v112
	v_cndmask_b32_e64 v112, v101, v38, s35
	v_cndmask_b32_e64 v38, v38, v101, s35
	v_mov_b32_e32 v101, v112
	s_or_b32 exec_lo, exec_lo, s38
	s_and_saveexec_b32 s38, s77
	s_cbranch_execnz .LBB522_974
.LBB522_1453:
	s_or_b32 exec_lo, exec_lo, s38
	s_and_saveexec_b32 s38, s78
	s_cbranch_execz .LBB522_975
.LBB522_1454:
	v_mov_b32_e32 v112, 0x6667
	v_mul_i32_i24_sdwa v113, sext(v96), v112 dst_sel:DWORD dst_unused:UNUSED_PAD src0_sel:WORD_0 src1_sel:DWORD
	v_mul_i32_i24_sdwa v112, sext(v98), v112 dst_sel:DWORD dst_unused:UNUSED_PAD src0_sel:WORD_0 src1_sel:DWORD
	v_lshrrev_b32_e32 v114, 31, v113
	v_ashrrev_i32_e32 v113, 18, v113
	v_lshrrev_b32_e32 v115, 31, v112
	v_ashrrev_i32_e32 v112, 18, v112
	v_add_nc_u16 v113, v113, v114
	v_add_nc_u16 v112, v112, v115
	v_cmp_lt_i16_e64 s35, v113, v112
	v_cndmask_b32_e64 v112, v96, v98, s35
	v_cndmask_b32_e64 v98, v98, v96, s35
	v_mov_b32_e32 v96, v112
	s_or_b32 exec_lo, exec_lo, s38
	s_and_saveexec_b32 s38, s79
	s_cbranch_execnz .LBB522_976
.LBB522_1455:
	s_or_b32 exec_lo, exec_lo, s38
	s_and_saveexec_b32 s38, s88
	s_cbranch_execz .LBB522_977
.LBB522_1456:
	v_mov_b32_e32 v112, 0x6667
	v_mul_i32_i24_sdwa v113, sext(v84), v112 dst_sel:DWORD dst_unused:UNUSED_PAD src0_sel:WORD_0 src1_sel:DWORD
	v_mul_i32_i24_sdwa v112, sext(v85), v112 dst_sel:DWORD dst_unused:UNUSED_PAD src0_sel:WORD_0 src1_sel:DWORD
	v_lshrrev_b32_e32 v114, 31, v113
	v_ashrrev_i32_e32 v113, 18, v113
	v_lshrrev_b32_e32 v115, 31, v112
	v_ashrrev_i32_e32 v112, 18, v112
	v_add_nc_u16 v113, v113, v114
	v_add_nc_u16 v112, v112, v115
	v_cmp_lt_i16_e64 s35, v113, v112
	v_cndmask_b32_e64 v112, v84, v85, s35
	v_cndmask_b32_e64 v85, v85, v84, s35
	v_mov_b32_e32 v84, v112
	s_or_b32 exec_lo, exec_lo, s38
	s_and_saveexec_b32 s38, s89
	s_cbranch_execnz .LBB522_978
.LBB522_1457:
	s_or_b32 exec_lo, exec_lo, s38
	s_and_saveexec_b32 s38, s90
	s_cbranch_execz .LBB522_979
.LBB522_1458:
	v_mov_b32_e32 v112, 0x6667
	v_mul_i32_i24_sdwa v113, sext(v80), v112 dst_sel:DWORD dst_unused:UNUSED_PAD src0_sel:WORD_0 src1_sel:DWORD
	v_mul_i32_i24_sdwa v112, sext(v81), v112 dst_sel:DWORD dst_unused:UNUSED_PAD src0_sel:WORD_0 src1_sel:DWORD
	v_lshrrev_b32_e32 v114, 31, v113
	v_ashrrev_i32_e32 v113, 18, v113
	v_lshrrev_b32_e32 v115, 31, v112
	v_ashrrev_i32_e32 v112, 18, v112
	v_add_nc_u16 v113, v113, v114
	v_add_nc_u16 v112, v112, v115
	v_cmp_lt_i16_e64 s35, v113, v112
	v_cndmask_b32_e64 v112, v80, v81, s35
	v_cndmask_b32_e64 v81, v81, v80, s35
	v_mov_b32_e32 v80, v112
	s_or_b32 exec_lo, exec_lo, s38
	s_and_saveexec_b32 s38, s91
	s_cbranch_execnz .LBB522_980
.LBB522_1459:
	s_or_b32 exec_lo, exec_lo, s38
	s_and_saveexec_b32 s38, s92
	s_cbranch_execz .LBB522_981
.LBB522_1460:
	v_mov_b32_e32 v112, 0x6667
	v_mul_i32_i24_sdwa v113, sext(v68), v112 dst_sel:DWORD dst_unused:UNUSED_PAD src0_sel:WORD_0 src1_sel:DWORD
	v_mul_i32_i24_sdwa v112, sext(v69), v112 dst_sel:DWORD dst_unused:UNUSED_PAD src0_sel:WORD_0 src1_sel:DWORD
	v_lshrrev_b32_e32 v114, 31, v113
	v_ashrrev_i32_e32 v113, 18, v113
	v_lshrrev_b32_e32 v115, 31, v112
	v_ashrrev_i32_e32 v112, 18, v112
	v_add_nc_u16 v113, v113, v114
	v_add_nc_u16 v112, v112, v115
	v_cmp_lt_i16_e64 s35, v113, v112
	v_cndmask_b32_e64 v112, v68, v69, s35
	v_cndmask_b32_e64 v69, v69, v68, s35
	v_mov_b32_e32 v68, v112
	s_or_b32 exec_lo, exec_lo, s38
	s_and_saveexec_b32 s38, s93
	s_cbranch_execnz .LBB522_982
.LBB522_1461:
	s_or_b32 exec_lo, exec_lo, s38
	s_and_saveexec_b32 s38, s94
	s_cbranch_execz .LBB522_983
.LBB522_1462:
	v_mov_b32_e32 v112, 0x6667
	v_mul_i32_i24_sdwa v113, sext(v64), v112 dst_sel:DWORD dst_unused:UNUSED_PAD src0_sel:WORD_0 src1_sel:DWORD
	v_mul_i32_i24_sdwa v112, sext(v65), v112 dst_sel:DWORD dst_unused:UNUSED_PAD src0_sel:WORD_0 src1_sel:DWORD
	v_lshrrev_b32_e32 v114, 31, v113
	v_ashrrev_i32_e32 v113, 18, v113
	v_lshrrev_b32_e32 v115, 31, v112
	v_ashrrev_i32_e32 v112, 18, v112
	v_add_nc_u16 v113, v113, v114
	v_add_nc_u16 v112, v112, v115
	v_cmp_lt_i16_e64 s35, v113, v112
	v_cndmask_b32_e64 v112, v64, v65, s35
	v_cndmask_b32_e64 v65, v65, v64, s35
	v_mov_b32_e32 v64, v112
	s_or_b32 exec_lo, exec_lo, s38
	s_and_saveexec_b32 s38, s95
	s_cbranch_execnz .LBB522_984
.LBB522_1463:
	s_or_b32 exec_lo, exec_lo, s38
	s_and_saveexec_b32 s38, vcc_hi
	s_cbranch_execz .LBB522_985
.LBB522_1464:
	v_mov_b32_e32 v112, 0x6667
	v_mul_i32_i24_sdwa v113, sext(v51), v112 dst_sel:DWORD dst_unused:UNUSED_PAD src0_sel:WORD_0 src1_sel:DWORD
	v_mul_i32_i24_sdwa v112, sext(v52), v112 dst_sel:DWORD dst_unused:UNUSED_PAD src0_sel:WORD_0 src1_sel:DWORD
	v_lshrrev_b32_e32 v114, 31, v113
	v_ashrrev_i32_e32 v113, 18, v113
	v_lshrrev_b32_e32 v115, 31, v112
	v_ashrrev_i32_e32 v112, 18, v112
	v_add_nc_u16 v113, v113, v114
	v_add_nc_u16 v112, v112, v115
	v_cmp_lt_i16_e64 s35, v113, v112
	v_cndmask_b32_e64 v112, v51, v52, s35
	v_cndmask_b32_e64 v52, v52, v51, s35
	v_mov_b32_e32 v51, v112
	s_or_b32 exec_lo, exec_lo, s38
	s_and_saveexec_b32 s38, s30
	s_cbranch_execnz .LBB522_986
.LBB522_1465:
	s_or_b32 exec_lo, exec_lo, s38
	s_and_saveexec_b32 s38, s31
	s_cbranch_execz .LBB522_987
.LBB522_1466:
	v_mov_b32_e32 v112, 0x6667
	v_mul_i32_i24_sdwa v113, sext(v48), v112 dst_sel:DWORD dst_unused:UNUSED_PAD src0_sel:WORD_0 src1_sel:DWORD
	v_mul_i32_i24_sdwa v112, sext(v49), v112 dst_sel:DWORD dst_unused:UNUSED_PAD src0_sel:WORD_0 src1_sel:DWORD
	v_lshrrev_b32_e32 v114, 31, v113
	v_ashrrev_i32_e32 v113, 18, v113
	v_lshrrev_b32_e32 v115, 31, v112
	v_ashrrev_i32_e32 v112, 18, v112
	v_add_nc_u16 v113, v113, v114
	v_add_nc_u16 v112, v112, v115
	v_cmp_lt_i16_e64 s35, v113, v112
	v_cndmask_b32_e64 v112, v49, v48, s35
	v_cndmask_b32_e64 v48, v48, v49, s35
	v_mov_b32_e32 v49, v112
	s_or_b32 exec_lo, exec_lo, s38
	s_and_saveexec_b32 s38, s34
	s_cbranch_execnz .LBB522_988
.LBB522_1467:
	s_or_b32 exec_lo, exec_lo, s38
	s_and_saveexec_b32 s38, s8
	s_cbranch_execz .LBB522_989
.LBB522_1468:
	v_mov_b32_e32 v112, 0x6667
	v_mul_i32_i24_sdwa v113, sext(v100), v112 dst_sel:DWORD dst_unused:UNUSED_PAD src0_sel:WORD_0 src1_sel:DWORD
	v_mul_i32_i24_sdwa v112, sext(v97), v112 dst_sel:DWORD dst_unused:UNUSED_PAD src0_sel:WORD_0 src1_sel:DWORD
	v_lshrrev_b32_e32 v114, 31, v113
	v_ashrrev_i32_e32 v113, 18, v113
	v_lshrrev_b32_e32 v115, 31, v112
	v_ashrrev_i32_e32 v112, 18, v112
	v_add_nc_u16 v113, v113, v114
	v_add_nc_u16 v112, v112, v115
	v_cmp_lt_i16_e64 s35, v113, v112
	v_cndmask_b32_e64 v112, v100, v97, s35
	v_cndmask_b32_e64 v97, v97, v100, s35
	v_mov_b32_e32 v100, v112
	s_or_b32 exec_lo, exec_lo, s38
	s_and_saveexec_b32 s38, s9
	s_cbranch_execnz .LBB522_990
.LBB522_1469:
	s_or_b32 exec_lo, exec_lo, s38
	s_and_saveexec_b32 s38, s12
	s_cbranch_execz .LBB522_991
.LBB522_1470:
	v_mov_b32_e32 v112, 0x6667
	v_mul_i32_i24_sdwa v113, sext(v87), v112 dst_sel:DWORD dst_unused:UNUSED_PAD src0_sel:WORD_0 src1_sel:DWORD
	v_mul_i32_i24_sdwa v112, sext(v96), v112 dst_sel:DWORD dst_unused:UNUSED_PAD src0_sel:WORD_0 src1_sel:DWORD
	v_lshrrev_b32_e32 v114, 31, v113
	v_ashrrev_i32_e32 v113, 18, v113
	v_lshrrev_b32_e32 v115, 31, v112
	v_ashrrev_i32_e32 v112, 18, v112
	v_add_nc_u16 v113, v113, v114
	v_add_nc_u16 v112, v112, v115
	v_cmp_lt_i16_e64 s35, v113, v112
	v_cndmask_b32_e64 v112, v87, v96, s35
	v_cndmask_b32_e64 v96, v96, v87, s35
	v_mov_b32_e32 v87, v112
	s_or_b32 exec_lo, exec_lo, s38
	s_and_saveexec_b32 s38, s13
	s_cbranch_execnz .LBB522_992
.LBB522_1471:
	s_or_b32 exec_lo, exec_lo, s38
	s_and_saveexec_b32 s38, s57
	s_cbranch_execz .LBB522_993
.LBB522_1472:
	v_mov_b32_e32 v112, 0x6667
	v_mul_i32_i24_sdwa v113, sext(v83), v112 dst_sel:DWORD dst_unused:UNUSED_PAD src0_sel:WORD_0 src1_sel:DWORD
	v_mul_i32_i24_sdwa v112, sext(v84), v112 dst_sel:DWORD dst_unused:UNUSED_PAD src0_sel:WORD_0 src1_sel:DWORD
	v_lshrrev_b32_e32 v114, 31, v113
	v_ashrrev_i32_e32 v113, 18, v113
	v_lshrrev_b32_e32 v115, 31, v112
	v_ashrrev_i32_e32 v112, 18, v112
	v_add_nc_u16 v113, v113, v114
	v_add_nc_u16 v112, v112, v115
	v_cmp_lt_i16_e64 s35, v113, v112
	v_cndmask_b32_e64 v112, v83, v84, s35
	v_cndmask_b32_e64 v84, v84, v83, s35
	v_mov_b32_e32 v83, v112
	s_or_b32 exec_lo, exec_lo, s38
	s_and_saveexec_b32 s38, s58
	s_cbranch_execnz .LBB522_994
.LBB522_1473:
	s_or_b32 exec_lo, exec_lo, s38
	s_and_saveexec_b32 s38, s59
	s_cbranch_execz .LBB522_995
.LBB522_1474:
	v_mov_b32_e32 v112, 0x6667
	v_mul_i32_i24_sdwa v113, sext(v71), v112 dst_sel:DWORD dst_unused:UNUSED_PAD src0_sel:WORD_0 src1_sel:DWORD
	v_mul_i32_i24_sdwa v112, sext(v80), v112 dst_sel:DWORD dst_unused:UNUSED_PAD src0_sel:WORD_0 src1_sel:DWORD
	v_lshrrev_b32_e32 v114, 31, v113
	v_ashrrev_i32_e32 v113, 18, v113
	v_lshrrev_b32_e32 v115, 31, v112
	v_ashrrev_i32_e32 v112, 18, v112
	v_add_nc_u16 v113, v113, v114
	v_add_nc_u16 v112, v112, v115
	v_cmp_lt_i16_e64 s35, v113, v112
	v_cndmask_b32_e64 v112, v71, v80, s35
	v_cndmask_b32_e64 v80, v80, v71, s35
	v_mov_b32_e32 v71, v112
	s_or_b32 exec_lo, exec_lo, s38
	s_and_saveexec_b32 s38, s60
	s_cbranch_execnz .LBB522_996
.LBB522_1475:
	s_or_b32 exec_lo, exec_lo, s38
	s_and_saveexec_b32 s38, s61
	s_cbranch_execz .LBB522_997
.LBB522_1476:
	v_mov_b32_e32 v112, 0x6667
	v_mul_i32_i24_sdwa v113, sext(v67), v112 dst_sel:DWORD dst_unused:UNUSED_PAD src0_sel:WORD_0 src1_sel:DWORD
	v_mul_i32_i24_sdwa v112, sext(v68), v112 dst_sel:DWORD dst_unused:UNUSED_PAD src0_sel:WORD_0 src1_sel:DWORD
	v_lshrrev_b32_e32 v114, 31, v113
	v_ashrrev_i32_e32 v113, 18, v113
	v_lshrrev_b32_e32 v115, 31, v112
	v_ashrrev_i32_e32 v112, 18, v112
	v_add_nc_u16 v113, v113, v114
	v_add_nc_u16 v112, v112, v115
	v_cmp_lt_i16_e64 s35, v113, v112
	v_cndmask_b32_e64 v112, v67, v68, s35
	v_cndmask_b32_e64 v68, v68, v67, s35
	v_mov_b32_e32 v67, v112
	s_or_b32 exec_lo, exec_lo, s38
	s_and_saveexec_b32 s38, s62
	s_cbranch_execnz .LBB522_998
.LBB522_1477:
	s_or_b32 exec_lo, exec_lo, s38
	s_and_saveexec_b32 s38, s63
	s_cbranch_execz .LBB522_999
.LBB522_1478:
	v_mov_b32_e32 v112, 0x6667
	v_mul_i32_i24_sdwa v113, sext(v55), v112 dst_sel:DWORD dst_unused:UNUSED_PAD src0_sel:WORD_0 src1_sel:DWORD
	v_mul_i32_i24_sdwa v112, sext(v64), v112 dst_sel:DWORD dst_unused:UNUSED_PAD src0_sel:WORD_0 src1_sel:DWORD
	v_lshrrev_b32_e32 v114, 31, v113
	v_ashrrev_i32_e32 v113, 18, v113
	v_lshrrev_b32_e32 v115, 31, v112
	v_ashrrev_i32_e32 v112, 18, v112
	v_add_nc_u16 v113, v113, v114
	v_add_nc_u16 v112, v112, v115
	v_cmp_lt_i16_e64 s35, v113, v112
	v_cndmask_b32_e64 v112, v55, v64, s35
	v_cndmask_b32_e64 v64, v64, v55, s35
	v_mov_b32_e32 v55, v112
	s_or_b32 exec_lo, exec_lo, s38
	s_and_saveexec_b32 s38, s72
	s_cbranch_execnz .LBB522_1000
.LBB522_1479:
	s_or_b32 exec_lo, exec_lo, s38
	s_and_saveexec_b32 s38, s73
	s_cbranch_execz .LBB522_1001
.LBB522_1480:
	v_mov_b32_e32 v112, 0x6667
	v_mul_i32_i24_sdwa v113, sext(v54), v112 dst_sel:DWORD dst_unused:UNUSED_PAD src0_sel:WORD_0 src1_sel:DWORD
	v_mul_i32_i24_sdwa v112, sext(v51), v112 dst_sel:DWORD dst_unused:UNUSED_PAD src0_sel:WORD_0 src1_sel:DWORD
	v_lshrrev_b32_e32 v114, 31, v113
	v_ashrrev_i32_e32 v113, 18, v113
	v_lshrrev_b32_e32 v115, 31, v112
	v_ashrrev_i32_e32 v112, 18, v112
	v_add_nc_u16 v113, v113, v114
	v_add_nc_u16 v112, v112, v115
	v_cmp_lt_i16_e64 s35, v113, v112
	v_cndmask_b32_e64 v112, v54, v51, s35
	v_cndmask_b32_e64 v51, v51, v54, s35
	v_mov_b32_e32 v54, v112
	s_or_b32 exec_lo, exec_lo, s38
	s_and_saveexec_b32 s38, s74
	s_cbranch_execnz .LBB522_1002
.LBB522_1481:
	s_or_b32 exec_lo, exec_lo, s38
	s_and_saveexec_b32 s38, s75
	s_cbranch_execz .LBB522_1003
.LBB522_1482:
	v_mov_b32_e32 v112, 0x6667
	v_mul_i32_i24_sdwa v113, sext(v39), v112 dst_sel:DWORD dst_unused:UNUSED_PAD src0_sel:WORD_0 src1_sel:DWORD
	v_mul_i32_i24_sdwa v112, sext(v48), v112 dst_sel:DWORD dst_unused:UNUSED_PAD src0_sel:WORD_0 src1_sel:DWORD
	v_lshrrev_b32_e32 v114, 31, v113
	v_ashrrev_i32_e32 v113, 18, v113
	v_lshrrev_b32_e32 v115, 31, v112
	v_ashrrev_i32_e32 v112, 18, v112
	v_add_nc_u16 v113, v113, v114
	v_add_nc_u16 v112, v112, v115
	v_cmp_lt_i16_e64 s35, v113, v112
	v_cndmask_b32_e64 v112, v48, v39, s35
	v_cndmask_b32_e64 v39, v39, v48, s35
	v_mov_b32_e32 v48, v112
	s_or_b32 exec_lo, exec_lo, s38
	s_and_saveexec_b32 s38, s76
	s_cbranch_execnz .LBB522_1004
.LBB522_1483:
	s_or_b32 exec_lo, exec_lo, s38
	s_and_saveexec_b32 s38, s77
	s_cbranch_execz .LBB522_1005
.LBB522_1484:
	v_mov_b32_e32 v112, 0x6667
	v_mul_i32_i24_sdwa v113, sext(v99), v112 dst_sel:DWORD dst_unused:UNUSED_PAD src0_sel:WORD_0 src1_sel:DWORD
	v_mul_i32_i24_sdwa v112, sext(v100), v112 dst_sel:DWORD dst_unused:UNUSED_PAD src0_sel:WORD_0 src1_sel:DWORD
	v_lshrrev_b32_e32 v114, 31, v113
	v_ashrrev_i32_e32 v113, 18, v113
	v_lshrrev_b32_e32 v115, 31, v112
	v_ashrrev_i32_e32 v112, 18, v112
	v_add_nc_u16 v113, v113, v114
	v_add_nc_u16 v112, v112, v115
	v_cmp_lt_i16_e64 s35, v113, v112
	v_cndmask_b32_e64 v112, v99, v100, s35
	v_cndmask_b32_e64 v100, v100, v99, s35
	v_mov_b32_e32 v99, v112
	s_or_b32 exec_lo, exec_lo, s38
	s_and_saveexec_b32 s38, s78
	s_cbranch_execnz .LBB522_1006
.LBB522_1485:
	s_or_b32 exec_lo, exec_lo, s38
	s_and_saveexec_b32 s38, s79
	s_cbranch_execz .LBB522_1007
.LBB522_1486:
	v_mov_b32_e32 v112, 0x6667
	v_mul_i32_i24_sdwa v113, sext(v86), v112 dst_sel:DWORD dst_unused:UNUSED_PAD src0_sel:WORD_0 src1_sel:DWORD
	v_mul_i32_i24_sdwa v112, sext(v87), v112 dst_sel:DWORD dst_unused:UNUSED_PAD src0_sel:WORD_0 src1_sel:DWORD
	v_lshrrev_b32_e32 v114, 31, v113
	v_ashrrev_i32_e32 v113, 18, v113
	v_lshrrev_b32_e32 v115, 31, v112
	v_ashrrev_i32_e32 v112, 18, v112
	v_add_nc_u16 v113, v113, v114
	v_add_nc_u16 v112, v112, v115
	v_cmp_lt_i16_e64 s35, v113, v112
	v_cndmask_b32_e64 v112, v86, v87, s35
	v_cndmask_b32_e64 v87, v87, v86, s35
	v_mov_b32_e32 v86, v112
	s_or_b32 exec_lo, exec_lo, s38
	s_and_saveexec_b32 s38, s88
	s_cbranch_execnz .LBB522_1008
.LBB522_1487:
	s_or_b32 exec_lo, exec_lo, s38
	s_and_saveexec_b32 s38, s89
	s_cbranch_execz .LBB522_1009
.LBB522_1488:
	v_mov_b32_e32 v112, 0x6667
	v_mul_i32_i24_sdwa v113, sext(v82), v112 dst_sel:DWORD dst_unused:UNUSED_PAD src0_sel:WORD_0 src1_sel:DWORD
	v_mul_i32_i24_sdwa v112, sext(v83), v112 dst_sel:DWORD dst_unused:UNUSED_PAD src0_sel:WORD_0 src1_sel:DWORD
	v_lshrrev_b32_e32 v114, 31, v113
	v_ashrrev_i32_e32 v113, 18, v113
	v_lshrrev_b32_e32 v115, 31, v112
	v_ashrrev_i32_e32 v112, 18, v112
	v_add_nc_u16 v113, v113, v114
	v_add_nc_u16 v112, v112, v115
	v_cmp_lt_i16_e64 s35, v113, v112
	v_cndmask_b32_e64 v112, v82, v83, s35
	v_cndmask_b32_e64 v83, v83, v82, s35
	v_mov_b32_e32 v82, v112
	s_or_b32 exec_lo, exec_lo, s38
	s_and_saveexec_b32 s38, s90
	s_cbranch_execnz .LBB522_1010
.LBB522_1489:
	s_or_b32 exec_lo, exec_lo, s38
	s_and_saveexec_b32 s38, s91
	s_cbranch_execz .LBB522_1011
.LBB522_1490:
	v_mov_b32_e32 v112, 0x6667
	v_mul_i32_i24_sdwa v113, sext(v70), v112 dst_sel:DWORD dst_unused:UNUSED_PAD src0_sel:WORD_0 src1_sel:DWORD
	v_mul_i32_i24_sdwa v112, sext(v71), v112 dst_sel:DWORD dst_unused:UNUSED_PAD src0_sel:WORD_0 src1_sel:DWORD
	v_lshrrev_b32_e32 v114, 31, v113
	v_ashrrev_i32_e32 v113, 18, v113
	v_lshrrev_b32_e32 v115, 31, v112
	v_ashrrev_i32_e32 v112, 18, v112
	v_add_nc_u16 v113, v113, v114
	v_add_nc_u16 v112, v112, v115
	v_cmp_lt_i16_e64 s35, v113, v112
	v_cndmask_b32_e64 v112, v70, v71, s35
	v_cndmask_b32_e64 v71, v71, v70, s35
	v_mov_b32_e32 v70, v112
	s_or_b32 exec_lo, exec_lo, s38
	s_and_saveexec_b32 s38, s92
	s_cbranch_execnz .LBB522_1012
.LBB522_1491:
	s_or_b32 exec_lo, exec_lo, s38
	s_and_saveexec_b32 s38, s93
	s_cbranch_execz .LBB522_1013
.LBB522_1492:
	v_mov_b32_e32 v112, 0x6667
	v_mul_i32_i24_sdwa v113, sext(v66), v112 dst_sel:DWORD dst_unused:UNUSED_PAD src0_sel:WORD_0 src1_sel:DWORD
	v_mul_i32_i24_sdwa v112, sext(v67), v112 dst_sel:DWORD dst_unused:UNUSED_PAD src0_sel:WORD_0 src1_sel:DWORD
	v_lshrrev_b32_e32 v114, 31, v113
	v_ashrrev_i32_e32 v113, 18, v113
	v_lshrrev_b32_e32 v115, 31, v112
	v_ashrrev_i32_e32 v112, 18, v112
	v_add_nc_u16 v113, v113, v114
	v_add_nc_u16 v112, v112, v115
	v_cmp_lt_i16_e64 s35, v113, v112
	v_cndmask_b32_e64 v112, v66, v67, s35
	v_cndmask_b32_e64 v67, v67, v66, s35
	v_mov_b32_e32 v66, v112
	s_or_b32 exec_lo, exec_lo, s38
	s_and_saveexec_b32 s38, s94
	s_cbranch_execnz .LBB522_1014
.LBB522_1493:
	s_or_b32 exec_lo, exec_lo, s38
	s_and_saveexec_b32 s38, s95
	s_cbranch_execz .LBB522_1015
.LBB522_1494:
	v_mov_b32_e32 v112, 0x6667
	v_mul_i32_i24_sdwa v113, sext(v53), v112 dst_sel:DWORD dst_unused:UNUSED_PAD src0_sel:WORD_0 src1_sel:DWORD
	v_mul_i32_i24_sdwa v112, sext(v55), v112 dst_sel:DWORD dst_unused:UNUSED_PAD src0_sel:WORD_0 src1_sel:DWORD
	v_lshrrev_b32_e32 v114, 31, v113
	v_ashrrev_i32_e32 v113, 18, v113
	v_lshrrev_b32_e32 v115, 31, v112
	v_ashrrev_i32_e32 v112, 18, v112
	v_add_nc_u16 v113, v113, v114
	v_add_nc_u16 v112, v112, v115
	v_cmp_lt_i16_e64 s35, v113, v112
	v_cndmask_b32_e64 v112, v53, v55, s35
	v_cndmask_b32_e64 v55, v55, v53, s35
	v_mov_b32_e32 v53, v112
	s_or_b32 exec_lo, exec_lo, s38
	s_and_saveexec_b32 s38, vcc_hi
	s_cbranch_execnz .LBB522_1016
.LBB522_1495:
	s_or_b32 exec_lo, exec_lo, s38
	s_and_saveexec_b32 s38, s30
	s_cbranch_execz .LBB522_1017
.LBB522_1496:
	v_mov_b32_e32 v112, 0x6667
	v_mul_i32_i24_sdwa v113, sext(v50), v112 dst_sel:DWORD dst_unused:UNUSED_PAD src0_sel:WORD_0 src1_sel:DWORD
	v_mul_i32_i24_sdwa v112, sext(v54), v112 dst_sel:DWORD dst_unused:UNUSED_PAD src0_sel:WORD_0 src1_sel:DWORD
	v_lshrrev_b32_e32 v114, 31, v113
	v_ashrrev_i32_e32 v113, 18, v113
	v_lshrrev_b32_e32 v115, 31, v112
	v_ashrrev_i32_e32 v112, 18, v112
	v_add_nc_u16 v113, v113, v114
	v_add_nc_u16 v112, v112, v115
	v_cmp_lt_i16_e64 s35, v113, v112
	v_cndmask_b32_e64 v112, v54, v50, s35
	v_cndmask_b32_e64 v50, v50, v54, s35
	v_mov_b32_e32 v54, v112
	s_or_b32 exec_lo, exec_lo, s38
	s_and_saveexec_b32 s38, s31
	s_cbranch_execnz .LBB522_1018
.LBB522_1497:
	s_or_b32 exec_lo, exec_lo, s38
	s_and_saveexec_b32 s38, s34
	s_cbranch_execz .LBB522_1019
.LBB522_1498:
	v_mov_b32_e32 v112, 0x6667
	v_mul_i32_i24_sdwa v113, sext(v101), v112 dst_sel:DWORD dst_unused:UNUSED_PAD src0_sel:WORD_0 src1_sel:DWORD
	v_mul_i32_i24_sdwa v112, sext(v39), v112 dst_sel:DWORD dst_unused:UNUSED_PAD src0_sel:WORD_0 src1_sel:DWORD
	v_lshrrev_b32_e32 v114, 31, v113
	v_ashrrev_i32_e32 v113, 18, v113
	v_lshrrev_b32_e32 v115, 31, v112
	v_ashrrev_i32_e32 v112, 18, v112
	v_add_nc_u16 v113, v113, v114
	v_add_nc_u16 v112, v112, v115
	v_cmp_lt_i16_e64 s35, v113, v112
	v_cndmask_b32_e64 v112, v39, v101, s35
	v_cndmask_b32_e64 v101, v101, v39, s35
	v_mov_b32_e32 v39, v112
	s_or_b32 exec_lo, exec_lo, s38
	s_and_saveexec_b32 s38, s8
	s_cbranch_execnz .LBB522_1020
.LBB522_1499:
	s_or_b32 exec_lo, exec_lo, s38
	s_and_saveexec_b32 s38, s9
	s_cbranch_execz .LBB522_1021
.LBB522_1500:
	v_mov_b32_e32 v112, 0x6667
	v_mul_i32_i24_sdwa v113, sext(v98), v112 dst_sel:DWORD dst_unused:UNUSED_PAD src0_sel:WORD_0 src1_sel:DWORD
	v_mul_i32_i24_sdwa v112, sext(v99), v112 dst_sel:DWORD dst_unused:UNUSED_PAD src0_sel:WORD_0 src1_sel:DWORD
	v_lshrrev_b32_e32 v114, 31, v113
	v_ashrrev_i32_e32 v113, 18, v113
	v_lshrrev_b32_e32 v115, 31, v112
	v_ashrrev_i32_e32 v112, 18, v112
	v_add_nc_u16 v113, v113, v114
	v_add_nc_u16 v112, v112, v115
	v_cmp_lt_i16_e64 s35, v113, v112
	v_cndmask_b32_e64 v112, v98, v99, s35
	v_cndmask_b32_e64 v99, v99, v98, s35
	v_mov_b32_e32 v98, v112
	s_or_b32 exec_lo, exec_lo, s38
	s_and_saveexec_b32 s38, s12
	s_cbranch_execnz .LBB522_1022
.LBB522_1501:
	s_or_b32 exec_lo, exec_lo, s38
	s_and_saveexec_b32 s38, s13
	s_cbranch_execz .LBB522_1023
.LBB522_1502:
	v_mov_b32_e32 v112, 0x6667
	v_mul_i32_i24_sdwa v113, sext(v85), v112 dst_sel:DWORD dst_unused:UNUSED_PAD src0_sel:WORD_0 src1_sel:DWORD
	v_mul_i32_i24_sdwa v112, sext(v86), v112 dst_sel:DWORD dst_unused:UNUSED_PAD src0_sel:WORD_0 src1_sel:DWORD
	v_lshrrev_b32_e32 v114, 31, v113
	v_ashrrev_i32_e32 v113, 18, v113
	v_lshrrev_b32_e32 v115, 31, v112
	v_ashrrev_i32_e32 v112, 18, v112
	v_add_nc_u16 v113, v113, v114
	v_add_nc_u16 v112, v112, v115
	v_cmp_lt_i16_e64 s35, v113, v112
	v_cndmask_b32_e64 v112, v85, v86, s35
	v_cndmask_b32_e64 v86, v86, v85, s35
	v_mov_b32_e32 v85, v112
	s_or_b32 exec_lo, exec_lo, s38
	s_and_saveexec_b32 s38, s57
	s_cbranch_execnz .LBB522_1024
.LBB522_1503:
	s_or_b32 exec_lo, exec_lo, s38
	s_and_saveexec_b32 s38, s58
	s_cbranch_execz .LBB522_1025
.LBB522_1504:
	v_mov_b32_e32 v112, 0x6667
	v_mul_i32_i24_sdwa v113, sext(v81), v112 dst_sel:DWORD dst_unused:UNUSED_PAD src0_sel:WORD_0 src1_sel:DWORD
	v_mul_i32_i24_sdwa v112, sext(v82), v112 dst_sel:DWORD dst_unused:UNUSED_PAD src0_sel:WORD_0 src1_sel:DWORD
	v_lshrrev_b32_e32 v114, 31, v113
	v_ashrrev_i32_e32 v113, 18, v113
	v_lshrrev_b32_e32 v115, 31, v112
	v_ashrrev_i32_e32 v112, 18, v112
	v_add_nc_u16 v113, v113, v114
	v_add_nc_u16 v112, v112, v115
	v_cmp_lt_i16_e64 s35, v113, v112
	v_cndmask_b32_e64 v112, v81, v82, s35
	v_cndmask_b32_e64 v82, v82, v81, s35
	v_mov_b32_e32 v81, v112
	s_or_b32 exec_lo, exec_lo, s38
	s_and_saveexec_b32 s38, s59
	s_cbranch_execnz .LBB522_1026
.LBB522_1505:
	s_or_b32 exec_lo, exec_lo, s38
	s_and_saveexec_b32 s38, s60
	s_cbranch_execz .LBB522_1027
.LBB522_1506:
	v_mov_b32_e32 v112, 0x6667
	v_mul_i32_i24_sdwa v113, sext(v69), v112 dst_sel:DWORD dst_unused:UNUSED_PAD src0_sel:WORD_0 src1_sel:DWORD
	v_mul_i32_i24_sdwa v112, sext(v70), v112 dst_sel:DWORD dst_unused:UNUSED_PAD src0_sel:WORD_0 src1_sel:DWORD
	v_lshrrev_b32_e32 v114, 31, v113
	v_ashrrev_i32_e32 v113, 18, v113
	v_lshrrev_b32_e32 v115, 31, v112
	v_ashrrev_i32_e32 v112, 18, v112
	v_add_nc_u16 v113, v113, v114
	v_add_nc_u16 v112, v112, v115
	v_cmp_lt_i16_e64 s35, v113, v112
	v_cndmask_b32_e64 v112, v69, v70, s35
	v_cndmask_b32_e64 v70, v70, v69, s35
	v_mov_b32_e32 v69, v112
	s_or_b32 exec_lo, exec_lo, s38
	s_and_saveexec_b32 s38, s61
	s_cbranch_execnz .LBB522_1028
.LBB522_1507:
	s_or_b32 exec_lo, exec_lo, s38
	s_and_saveexec_b32 s38, s62
	s_cbranch_execz .LBB522_1029
.LBB522_1508:
	v_mov_b32_e32 v112, 0x6667
	v_mul_i32_i24_sdwa v113, sext(v65), v112 dst_sel:DWORD dst_unused:UNUSED_PAD src0_sel:WORD_0 src1_sel:DWORD
	v_mul_i32_i24_sdwa v112, sext(v66), v112 dst_sel:DWORD dst_unused:UNUSED_PAD src0_sel:WORD_0 src1_sel:DWORD
	v_lshrrev_b32_e32 v114, 31, v113
	v_ashrrev_i32_e32 v113, 18, v113
	v_lshrrev_b32_e32 v115, 31, v112
	v_ashrrev_i32_e32 v112, 18, v112
	v_add_nc_u16 v113, v113, v114
	v_add_nc_u16 v112, v112, v115
	v_cmp_lt_i16_e64 s35, v113, v112
	v_cndmask_b32_e64 v112, v65, v66, s35
	v_cndmask_b32_e64 v66, v66, v65, s35
	v_mov_b32_e32 v65, v112
	s_or_b32 exec_lo, exec_lo, s38
	s_and_saveexec_b32 s38, s63
	s_cbranch_execnz .LBB522_1030
.LBB522_1509:
	s_or_b32 exec_lo, exec_lo, s38
	s_and_saveexec_b32 s38, s72
	s_cbranch_execz .LBB522_1031
.LBB522_1510:
	v_mov_b32_e32 v112, 0x6667
	v_mul_i32_i24_sdwa v113, sext(v52), v112 dst_sel:DWORD dst_unused:UNUSED_PAD src0_sel:WORD_0 src1_sel:DWORD
	v_mul_i32_i24_sdwa v112, sext(v53), v112 dst_sel:DWORD dst_unused:UNUSED_PAD src0_sel:WORD_0 src1_sel:DWORD
	v_lshrrev_b32_e32 v114, 31, v113
	v_ashrrev_i32_e32 v113, 18, v113
	v_lshrrev_b32_e32 v115, 31, v112
	v_ashrrev_i32_e32 v112, 18, v112
	v_add_nc_u16 v113, v113, v114
	v_add_nc_u16 v112, v112, v115
	v_cmp_lt_i16_e64 s35, v113, v112
	v_cndmask_b32_e64 v112, v52, v53, s35
	v_cndmask_b32_e64 v53, v53, v52, s35
	v_mov_b32_e32 v52, v112
	s_or_b32 exec_lo, exec_lo, s38
	s_and_saveexec_b32 s38, s73
	s_cbranch_execnz .LBB522_1032
.LBB522_1511:
	s_or_b32 exec_lo, exec_lo, s38
	s_and_saveexec_b32 s38, s74
	s_cbranch_execz .LBB522_1033
.LBB522_1512:
	v_mov_b32_e32 v112, 0x6667
	v_mul_i32_i24_sdwa v113, sext(v49), v112 dst_sel:DWORD dst_unused:UNUSED_PAD src0_sel:WORD_0 src1_sel:DWORD
	v_mul_i32_i24_sdwa v112, sext(v50), v112 dst_sel:DWORD dst_unused:UNUSED_PAD src0_sel:WORD_0 src1_sel:DWORD
	v_lshrrev_b32_e32 v114, 31, v113
	v_ashrrev_i32_e32 v113, 18, v113
	v_lshrrev_b32_e32 v115, 31, v112
	v_ashrrev_i32_e32 v112, 18, v112
	v_add_nc_u16 v113, v113, v114
	v_add_nc_u16 v112, v112, v115
	v_cmp_lt_i16_e64 s35, v113, v112
	v_cndmask_b32_e64 v112, v50, v49, s35
	v_cndmask_b32_e64 v49, v49, v50, s35
	v_mov_b32_e32 v50, v112
	s_or_b32 exec_lo, exec_lo, s38
	s_and_saveexec_b32 s38, s75
	s_cbranch_execnz .LBB522_1034
.LBB522_1513:
	s_or_b32 exec_lo, exec_lo, s38
	s_and_saveexec_b32 s38, s76
	s_cbranch_execz .LBB522_1035
.LBB522_1514:
	v_mov_b32_e32 v112, 0x6667
	v_mul_i32_i24_sdwa v113, sext(v38), v112 dst_sel:DWORD dst_unused:UNUSED_PAD src0_sel:WORD_0 src1_sel:DWORD
	v_mul_i32_i24_sdwa v112, sext(v101), v112 dst_sel:DWORD dst_unused:UNUSED_PAD src0_sel:WORD_0 src1_sel:DWORD
	v_lshrrev_b32_e32 v114, 31, v113
	v_ashrrev_i32_e32 v113, 18, v113
	v_lshrrev_b32_e32 v115, 31, v112
	v_ashrrev_i32_e32 v112, 18, v112
	v_add_nc_u16 v113, v113, v114
	v_add_nc_u16 v112, v112, v115
	v_cmp_lt_i16_e64 s35, v113, v112
	v_cndmask_b32_e64 v112, v101, v38, s35
	v_cndmask_b32_e64 v38, v38, v101, s35
	v_mov_b32_e32 v101, v112
	s_or_b32 exec_lo, exec_lo, s38
	s_and_saveexec_b32 s38, s77
	s_cbranch_execnz .LBB522_1036
.LBB522_1515:
	s_or_b32 exec_lo, exec_lo, s38
	s_and_saveexec_b32 s38, s78
	s_cbranch_execz .LBB522_1037
.LBB522_1516:
	v_mov_b32_e32 v112, 0x6667
	v_mul_i32_i24_sdwa v113, sext(v96), v112 dst_sel:DWORD dst_unused:UNUSED_PAD src0_sel:WORD_0 src1_sel:DWORD
	v_mul_i32_i24_sdwa v112, sext(v98), v112 dst_sel:DWORD dst_unused:UNUSED_PAD src0_sel:WORD_0 src1_sel:DWORD
	v_lshrrev_b32_e32 v114, 31, v113
	v_ashrrev_i32_e32 v113, 18, v113
	v_lshrrev_b32_e32 v115, 31, v112
	v_ashrrev_i32_e32 v112, 18, v112
	v_add_nc_u16 v113, v113, v114
	v_add_nc_u16 v112, v112, v115
	v_cmp_lt_i16_e64 s35, v113, v112
	v_cndmask_b32_e64 v112, v96, v98, s35
	v_cndmask_b32_e64 v98, v98, v96, s35
	v_mov_b32_e32 v96, v112
	s_or_b32 exec_lo, exec_lo, s38
	s_and_saveexec_b32 s38, s79
	s_cbranch_execnz .LBB522_1038
.LBB522_1517:
	s_or_b32 exec_lo, exec_lo, s38
	s_and_saveexec_b32 s38, s88
	s_cbranch_execz .LBB522_1039
.LBB522_1518:
	v_mov_b32_e32 v112, 0x6667
	v_mul_i32_i24_sdwa v113, sext(v84), v112 dst_sel:DWORD dst_unused:UNUSED_PAD src0_sel:WORD_0 src1_sel:DWORD
	v_mul_i32_i24_sdwa v112, sext(v85), v112 dst_sel:DWORD dst_unused:UNUSED_PAD src0_sel:WORD_0 src1_sel:DWORD
	v_lshrrev_b32_e32 v114, 31, v113
	v_ashrrev_i32_e32 v113, 18, v113
	v_lshrrev_b32_e32 v115, 31, v112
	v_ashrrev_i32_e32 v112, 18, v112
	v_add_nc_u16 v113, v113, v114
	v_add_nc_u16 v112, v112, v115
	v_cmp_lt_i16_e64 s35, v113, v112
	v_cndmask_b32_e64 v112, v84, v85, s35
	v_cndmask_b32_e64 v85, v85, v84, s35
	v_mov_b32_e32 v84, v112
	s_or_b32 exec_lo, exec_lo, s38
	s_and_saveexec_b32 s38, s89
	s_cbranch_execnz .LBB522_1040
.LBB522_1519:
	s_or_b32 exec_lo, exec_lo, s38
	s_and_saveexec_b32 s38, s90
	s_cbranch_execz .LBB522_1041
.LBB522_1520:
	v_mov_b32_e32 v112, 0x6667
	v_mul_i32_i24_sdwa v113, sext(v80), v112 dst_sel:DWORD dst_unused:UNUSED_PAD src0_sel:WORD_0 src1_sel:DWORD
	v_mul_i32_i24_sdwa v112, sext(v81), v112 dst_sel:DWORD dst_unused:UNUSED_PAD src0_sel:WORD_0 src1_sel:DWORD
	v_lshrrev_b32_e32 v114, 31, v113
	v_ashrrev_i32_e32 v113, 18, v113
	v_lshrrev_b32_e32 v115, 31, v112
	v_ashrrev_i32_e32 v112, 18, v112
	v_add_nc_u16 v113, v113, v114
	v_add_nc_u16 v112, v112, v115
	v_cmp_lt_i16_e64 s35, v113, v112
	v_cndmask_b32_e64 v112, v80, v81, s35
	v_cndmask_b32_e64 v81, v81, v80, s35
	v_mov_b32_e32 v80, v112
	s_or_b32 exec_lo, exec_lo, s38
	s_and_saveexec_b32 s38, s91
	s_cbranch_execnz .LBB522_1042
.LBB522_1521:
	s_or_b32 exec_lo, exec_lo, s38
	s_and_saveexec_b32 s38, s92
	s_cbranch_execz .LBB522_1043
.LBB522_1522:
	v_mov_b32_e32 v112, 0x6667
	v_mul_i32_i24_sdwa v113, sext(v68), v112 dst_sel:DWORD dst_unused:UNUSED_PAD src0_sel:WORD_0 src1_sel:DWORD
	v_mul_i32_i24_sdwa v112, sext(v69), v112 dst_sel:DWORD dst_unused:UNUSED_PAD src0_sel:WORD_0 src1_sel:DWORD
	v_lshrrev_b32_e32 v114, 31, v113
	v_ashrrev_i32_e32 v113, 18, v113
	v_lshrrev_b32_e32 v115, 31, v112
	v_ashrrev_i32_e32 v112, 18, v112
	v_add_nc_u16 v113, v113, v114
	v_add_nc_u16 v112, v112, v115
	v_cmp_lt_i16_e64 s35, v113, v112
	v_cndmask_b32_e64 v112, v68, v69, s35
	v_cndmask_b32_e64 v69, v69, v68, s35
	v_mov_b32_e32 v68, v112
	s_or_b32 exec_lo, exec_lo, s38
	s_and_saveexec_b32 s38, s93
	s_cbranch_execnz .LBB522_1044
.LBB522_1523:
	s_or_b32 exec_lo, exec_lo, s38
	s_and_saveexec_b32 s38, s94
	s_cbranch_execz .LBB522_1045
.LBB522_1524:
	v_mov_b32_e32 v112, 0x6667
	v_mul_i32_i24_sdwa v113, sext(v64), v112 dst_sel:DWORD dst_unused:UNUSED_PAD src0_sel:WORD_0 src1_sel:DWORD
	v_mul_i32_i24_sdwa v112, sext(v65), v112 dst_sel:DWORD dst_unused:UNUSED_PAD src0_sel:WORD_0 src1_sel:DWORD
	v_lshrrev_b32_e32 v114, 31, v113
	v_ashrrev_i32_e32 v113, 18, v113
	v_lshrrev_b32_e32 v115, 31, v112
	v_ashrrev_i32_e32 v112, 18, v112
	v_add_nc_u16 v113, v113, v114
	v_add_nc_u16 v112, v112, v115
	v_cmp_lt_i16_e64 s35, v113, v112
	v_cndmask_b32_e64 v112, v64, v65, s35
	v_cndmask_b32_e64 v65, v65, v64, s35
	v_mov_b32_e32 v64, v112
	s_or_b32 exec_lo, exec_lo, s38
	s_and_saveexec_b32 s38, s95
	s_cbranch_execnz .LBB522_1046
.LBB522_1525:
	s_or_b32 exec_lo, exec_lo, s38
	s_and_saveexec_b32 s38, vcc_hi
	s_cbranch_execz .LBB522_1047
.LBB522_1526:
	v_mov_b32_e32 v112, 0x6667
	v_mul_i32_i24_sdwa v113, sext(v51), v112 dst_sel:DWORD dst_unused:UNUSED_PAD src0_sel:WORD_0 src1_sel:DWORD
	v_mul_i32_i24_sdwa v112, sext(v52), v112 dst_sel:DWORD dst_unused:UNUSED_PAD src0_sel:WORD_0 src1_sel:DWORD
	v_lshrrev_b32_e32 v114, 31, v113
	v_ashrrev_i32_e32 v113, 18, v113
	v_lshrrev_b32_e32 v115, 31, v112
	v_ashrrev_i32_e32 v112, 18, v112
	v_add_nc_u16 v113, v113, v114
	v_add_nc_u16 v112, v112, v115
	v_cmp_lt_i16_e64 s35, v113, v112
	v_cndmask_b32_e64 v112, v51, v52, s35
	v_cndmask_b32_e64 v52, v52, v51, s35
	v_mov_b32_e32 v51, v112
	s_or_b32 exec_lo, exec_lo, s38
	s_and_saveexec_b32 s38, s30
	s_cbranch_execnz .LBB522_1048
.LBB522_1527:
	s_or_b32 exec_lo, exec_lo, s38
	s_and_saveexec_b32 s38, s31
	s_cbranch_execz .LBB522_1049
.LBB522_1528:
	v_mov_b32_e32 v112, 0x6667
	v_mul_i32_i24_sdwa v113, sext(v48), v112 dst_sel:DWORD dst_unused:UNUSED_PAD src0_sel:WORD_0 src1_sel:DWORD
	v_mul_i32_i24_sdwa v112, sext(v49), v112 dst_sel:DWORD dst_unused:UNUSED_PAD src0_sel:WORD_0 src1_sel:DWORD
	v_lshrrev_b32_e32 v114, 31, v113
	v_ashrrev_i32_e32 v113, 18, v113
	v_lshrrev_b32_e32 v115, 31, v112
	v_ashrrev_i32_e32 v112, 18, v112
	v_add_nc_u16 v113, v113, v114
	v_add_nc_u16 v112, v112, v115
	v_cmp_lt_i16_e64 s35, v113, v112
	v_cndmask_b32_e64 v112, v49, v48, s35
	v_cndmask_b32_e64 v48, v48, v49, s35
	v_mov_b32_e32 v49, v112
	s_or_b32 exec_lo, exec_lo, s38
	s_and_saveexec_b32 s38, s34
	s_cbranch_execnz .LBB522_1050
.LBB522_1529:
	s_or_b32 exec_lo, exec_lo, s38
	s_and_saveexec_b32 s38, s8
	s_cbranch_execz .LBB522_1051
.LBB522_1530:
	v_mov_b32_e32 v112, 0x6667
	v_mul_i32_i24_sdwa v113, sext(v100), v112 dst_sel:DWORD dst_unused:UNUSED_PAD src0_sel:WORD_0 src1_sel:DWORD
	v_mul_i32_i24_sdwa v112, sext(v97), v112 dst_sel:DWORD dst_unused:UNUSED_PAD src0_sel:WORD_0 src1_sel:DWORD
	v_lshrrev_b32_e32 v114, 31, v113
	v_ashrrev_i32_e32 v113, 18, v113
	v_lshrrev_b32_e32 v115, 31, v112
	v_ashrrev_i32_e32 v112, 18, v112
	v_add_nc_u16 v113, v113, v114
	v_add_nc_u16 v112, v112, v115
	v_cmp_lt_i16_e64 s35, v113, v112
	v_cndmask_b32_e64 v112, v100, v97, s35
	v_cndmask_b32_e64 v97, v97, v100, s35
	v_mov_b32_e32 v100, v112
	s_or_b32 exec_lo, exec_lo, s38
	s_and_saveexec_b32 s38, s9
	s_cbranch_execnz .LBB522_1052
.LBB522_1531:
	s_or_b32 exec_lo, exec_lo, s38
	s_and_saveexec_b32 s38, s12
	s_cbranch_execz .LBB522_1053
.LBB522_1532:
	v_mov_b32_e32 v112, 0x6667
	v_mul_i32_i24_sdwa v113, sext(v87), v112 dst_sel:DWORD dst_unused:UNUSED_PAD src0_sel:WORD_0 src1_sel:DWORD
	v_mul_i32_i24_sdwa v112, sext(v96), v112 dst_sel:DWORD dst_unused:UNUSED_PAD src0_sel:WORD_0 src1_sel:DWORD
	v_lshrrev_b32_e32 v114, 31, v113
	v_ashrrev_i32_e32 v113, 18, v113
	v_lshrrev_b32_e32 v115, 31, v112
	v_ashrrev_i32_e32 v112, 18, v112
	v_add_nc_u16 v113, v113, v114
	v_add_nc_u16 v112, v112, v115
	v_cmp_lt_i16_e64 s35, v113, v112
	v_cndmask_b32_e64 v112, v87, v96, s35
	v_cndmask_b32_e64 v96, v96, v87, s35
	v_mov_b32_e32 v87, v112
	s_or_b32 exec_lo, exec_lo, s38
	s_and_saveexec_b32 s38, s13
	s_cbranch_execnz .LBB522_1054
.LBB522_1533:
	s_or_b32 exec_lo, exec_lo, s38
	s_and_saveexec_b32 s38, s57
	s_cbranch_execz .LBB522_1055
.LBB522_1534:
	v_mov_b32_e32 v112, 0x6667
	v_mul_i32_i24_sdwa v113, sext(v83), v112 dst_sel:DWORD dst_unused:UNUSED_PAD src0_sel:WORD_0 src1_sel:DWORD
	v_mul_i32_i24_sdwa v112, sext(v84), v112 dst_sel:DWORD dst_unused:UNUSED_PAD src0_sel:WORD_0 src1_sel:DWORD
	v_lshrrev_b32_e32 v114, 31, v113
	v_ashrrev_i32_e32 v113, 18, v113
	v_lshrrev_b32_e32 v115, 31, v112
	v_ashrrev_i32_e32 v112, 18, v112
	v_add_nc_u16 v113, v113, v114
	v_add_nc_u16 v112, v112, v115
	v_cmp_lt_i16_e64 s35, v113, v112
	v_cndmask_b32_e64 v112, v83, v84, s35
	v_cndmask_b32_e64 v84, v84, v83, s35
	v_mov_b32_e32 v83, v112
	s_or_b32 exec_lo, exec_lo, s38
	s_and_saveexec_b32 s38, s58
	s_cbranch_execnz .LBB522_1056
.LBB522_1535:
	s_or_b32 exec_lo, exec_lo, s38
	s_and_saveexec_b32 s38, s59
	s_cbranch_execz .LBB522_1057
.LBB522_1536:
	v_mov_b32_e32 v112, 0x6667
	v_mul_i32_i24_sdwa v113, sext(v71), v112 dst_sel:DWORD dst_unused:UNUSED_PAD src0_sel:WORD_0 src1_sel:DWORD
	v_mul_i32_i24_sdwa v112, sext(v80), v112 dst_sel:DWORD dst_unused:UNUSED_PAD src0_sel:WORD_0 src1_sel:DWORD
	v_lshrrev_b32_e32 v114, 31, v113
	v_ashrrev_i32_e32 v113, 18, v113
	v_lshrrev_b32_e32 v115, 31, v112
	v_ashrrev_i32_e32 v112, 18, v112
	v_add_nc_u16 v113, v113, v114
	v_add_nc_u16 v112, v112, v115
	v_cmp_lt_i16_e64 s35, v113, v112
	v_cndmask_b32_e64 v112, v71, v80, s35
	v_cndmask_b32_e64 v80, v80, v71, s35
	v_mov_b32_e32 v71, v112
	s_or_b32 exec_lo, exec_lo, s38
	s_and_saveexec_b32 s38, s60
	s_cbranch_execnz .LBB522_1058
.LBB522_1537:
	s_or_b32 exec_lo, exec_lo, s38
	s_and_saveexec_b32 s38, s61
	s_cbranch_execz .LBB522_1059
.LBB522_1538:
	v_mov_b32_e32 v112, 0x6667
	v_mul_i32_i24_sdwa v113, sext(v67), v112 dst_sel:DWORD dst_unused:UNUSED_PAD src0_sel:WORD_0 src1_sel:DWORD
	v_mul_i32_i24_sdwa v112, sext(v68), v112 dst_sel:DWORD dst_unused:UNUSED_PAD src0_sel:WORD_0 src1_sel:DWORD
	v_lshrrev_b32_e32 v114, 31, v113
	v_ashrrev_i32_e32 v113, 18, v113
	v_lshrrev_b32_e32 v115, 31, v112
	v_ashrrev_i32_e32 v112, 18, v112
	v_add_nc_u16 v113, v113, v114
	v_add_nc_u16 v112, v112, v115
	v_cmp_lt_i16_e64 s35, v113, v112
	v_cndmask_b32_e64 v112, v67, v68, s35
	v_cndmask_b32_e64 v68, v68, v67, s35
	v_mov_b32_e32 v67, v112
	s_or_b32 exec_lo, exec_lo, s38
	s_and_saveexec_b32 s38, s62
	s_cbranch_execnz .LBB522_1060
.LBB522_1539:
	s_or_b32 exec_lo, exec_lo, s38
	s_and_saveexec_b32 s38, s63
	s_cbranch_execz .LBB522_1061
.LBB522_1540:
	v_mov_b32_e32 v112, 0x6667
	v_mul_i32_i24_sdwa v113, sext(v55), v112 dst_sel:DWORD dst_unused:UNUSED_PAD src0_sel:WORD_0 src1_sel:DWORD
	v_mul_i32_i24_sdwa v112, sext(v64), v112 dst_sel:DWORD dst_unused:UNUSED_PAD src0_sel:WORD_0 src1_sel:DWORD
	v_lshrrev_b32_e32 v114, 31, v113
	v_ashrrev_i32_e32 v113, 18, v113
	v_lshrrev_b32_e32 v115, 31, v112
	v_ashrrev_i32_e32 v112, 18, v112
	v_add_nc_u16 v113, v113, v114
	v_add_nc_u16 v112, v112, v115
	v_cmp_lt_i16_e64 s35, v113, v112
	v_cndmask_b32_e64 v112, v55, v64, s35
	v_cndmask_b32_e64 v64, v64, v55, s35
	v_mov_b32_e32 v55, v112
	s_or_b32 exec_lo, exec_lo, s38
	s_and_saveexec_b32 s38, s72
	s_cbranch_execnz .LBB522_1062
.LBB522_1541:
	s_or_b32 exec_lo, exec_lo, s38
	s_and_saveexec_b32 s38, s73
	s_cbranch_execz .LBB522_1063
.LBB522_1542:
	v_mov_b32_e32 v112, 0x6667
	v_mul_i32_i24_sdwa v113, sext(v54), v112 dst_sel:DWORD dst_unused:UNUSED_PAD src0_sel:WORD_0 src1_sel:DWORD
	v_mul_i32_i24_sdwa v112, sext(v51), v112 dst_sel:DWORD dst_unused:UNUSED_PAD src0_sel:WORD_0 src1_sel:DWORD
	v_lshrrev_b32_e32 v114, 31, v113
	v_ashrrev_i32_e32 v113, 18, v113
	v_lshrrev_b32_e32 v115, 31, v112
	v_ashrrev_i32_e32 v112, 18, v112
	v_add_nc_u16 v113, v113, v114
	v_add_nc_u16 v112, v112, v115
	v_cmp_lt_i16_e64 s35, v113, v112
	v_cndmask_b32_e64 v112, v54, v51, s35
	v_cndmask_b32_e64 v51, v51, v54, s35
	v_mov_b32_e32 v54, v112
	s_or_b32 exec_lo, exec_lo, s38
	s_and_saveexec_b32 s38, s74
	s_cbranch_execnz .LBB522_1064
.LBB522_1543:
	s_or_b32 exec_lo, exec_lo, s38
	s_and_saveexec_b32 s38, s75
	s_cbranch_execz .LBB522_1065
.LBB522_1544:
	v_mov_b32_e32 v112, 0x6667
	v_mul_i32_i24_sdwa v113, sext(v39), v112 dst_sel:DWORD dst_unused:UNUSED_PAD src0_sel:WORD_0 src1_sel:DWORD
	v_mul_i32_i24_sdwa v112, sext(v48), v112 dst_sel:DWORD dst_unused:UNUSED_PAD src0_sel:WORD_0 src1_sel:DWORD
	v_lshrrev_b32_e32 v114, 31, v113
	v_ashrrev_i32_e32 v113, 18, v113
	v_lshrrev_b32_e32 v115, 31, v112
	v_ashrrev_i32_e32 v112, 18, v112
	v_add_nc_u16 v113, v113, v114
	v_add_nc_u16 v112, v112, v115
	v_cmp_lt_i16_e64 s35, v113, v112
	v_cndmask_b32_e64 v112, v48, v39, s35
	v_cndmask_b32_e64 v39, v39, v48, s35
	v_mov_b32_e32 v48, v112
	s_or_b32 exec_lo, exec_lo, s38
	s_and_saveexec_b32 s38, s76
	s_cbranch_execnz .LBB522_1066
.LBB522_1545:
	s_or_b32 exec_lo, exec_lo, s38
	s_and_saveexec_b32 s38, s77
	s_cbranch_execz .LBB522_1067
.LBB522_1546:
	v_mov_b32_e32 v112, 0x6667
	v_mul_i32_i24_sdwa v113, sext(v99), v112 dst_sel:DWORD dst_unused:UNUSED_PAD src0_sel:WORD_0 src1_sel:DWORD
	v_mul_i32_i24_sdwa v112, sext(v100), v112 dst_sel:DWORD dst_unused:UNUSED_PAD src0_sel:WORD_0 src1_sel:DWORD
	v_lshrrev_b32_e32 v114, 31, v113
	v_ashrrev_i32_e32 v113, 18, v113
	v_lshrrev_b32_e32 v115, 31, v112
	v_ashrrev_i32_e32 v112, 18, v112
	v_add_nc_u16 v113, v113, v114
	v_add_nc_u16 v112, v112, v115
	v_cmp_lt_i16_e64 s35, v113, v112
	v_cndmask_b32_e64 v112, v99, v100, s35
	v_cndmask_b32_e64 v100, v100, v99, s35
	v_mov_b32_e32 v99, v112
	s_or_b32 exec_lo, exec_lo, s38
	s_and_saveexec_b32 s38, s78
	s_cbranch_execnz .LBB522_1068
.LBB522_1547:
	s_or_b32 exec_lo, exec_lo, s38
	s_and_saveexec_b32 s38, s79
	s_cbranch_execz .LBB522_1069
.LBB522_1548:
	v_mov_b32_e32 v112, 0x6667
	v_mul_i32_i24_sdwa v113, sext(v86), v112 dst_sel:DWORD dst_unused:UNUSED_PAD src0_sel:WORD_0 src1_sel:DWORD
	v_mul_i32_i24_sdwa v112, sext(v87), v112 dst_sel:DWORD dst_unused:UNUSED_PAD src0_sel:WORD_0 src1_sel:DWORD
	v_lshrrev_b32_e32 v114, 31, v113
	v_ashrrev_i32_e32 v113, 18, v113
	v_lshrrev_b32_e32 v115, 31, v112
	v_ashrrev_i32_e32 v112, 18, v112
	v_add_nc_u16 v113, v113, v114
	v_add_nc_u16 v112, v112, v115
	v_cmp_lt_i16_e64 s35, v113, v112
	v_cndmask_b32_e64 v112, v86, v87, s35
	v_cndmask_b32_e64 v87, v87, v86, s35
	v_mov_b32_e32 v86, v112
	s_or_b32 exec_lo, exec_lo, s38
	s_and_saveexec_b32 s38, s88
	s_cbranch_execnz .LBB522_1070
.LBB522_1549:
	s_or_b32 exec_lo, exec_lo, s38
	s_and_saveexec_b32 s38, s89
	s_cbranch_execz .LBB522_1071
.LBB522_1550:
	v_mov_b32_e32 v112, 0x6667
	v_mul_i32_i24_sdwa v113, sext(v82), v112 dst_sel:DWORD dst_unused:UNUSED_PAD src0_sel:WORD_0 src1_sel:DWORD
	v_mul_i32_i24_sdwa v112, sext(v83), v112 dst_sel:DWORD dst_unused:UNUSED_PAD src0_sel:WORD_0 src1_sel:DWORD
	v_lshrrev_b32_e32 v114, 31, v113
	v_ashrrev_i32_e32 v113, 18, v113
	v_lshrrev_b32_e32 v115, 31, v112
	v_ashrrev_i32_e32 v112, 18, v112
	v_add_nc_u16 v113, v113, v114
	v_add_nc_u16 v112, v112, v115
	v_cmp_lt_i16_e64 s35, v113, v112
	v_cndmask_b32_e64 v112, v82, v83, s35
	v_cndmask_b32_e64 v83, v83, v82, s35
	v_mov_b32_e32 v82, v112
	s_or_b32 exec_lo, exec_lo, s38
	s_and_saveexec_b32 s38, s90
	s_cbranch_execnz .LBB522_1072
.LBB522_1551:
	s_or_b32 exec_lo, exec_lo, s38
	s_and_saveexec_b32 s38, s91
	s_cbranch_execz .LBB522_1073
.LBB522_1552:
	v_mov_b32_e32 v112, 0x6667
	v_mul_i32_i24_sdwa v113, sext(v70), v112 dst_sel:DWORD dst_unused:UNUSED_PAD src0_sel:WORD_0 src1_sel:DWORD
	v_mul_i32_i24_sdwa v112, sext(v71), v112 dst_sel:DWORD dst_unused:UNUSED_PAD src0_sel:WORD_0 src1_sel:DWORD
	v_lshrrev_b32_e32 v114, 31, v113
	v_ashrrev_i32_e32 v113, 18, v113
	v_lshrrev_b32_e32 v115, 31, v112
	v_ashrrev_i32_e32 v112, 18, v112
	v_add_nc_u16 v113, v113, v114
	v_add_nc_u16 v112, v112, v115
	v_cmp_lt_i16_e64 s35, v113, v112
	v_cndmask_b32_e64 v112, v70, v71, s35
	v_cndmask_b32_e64 v71, v71, v70, s35
	v_mov_b32_e32 v70, v112
	s_or_b32 exec_lo, exec_lo, s38
	s_and_saveexec_b32 s38, s92
	s_cbranch_execnz .LBB522_1074
.LBB522_1553:
	s_or_b32 exec_lo, exec_lo, s38
	s_and_saveexec_b32 s38, s93
	s_cbranch_execz .LBB522_1075
.LBB522_1554:
	v_mov_b32_e32 v112, 0x6667
	v_mul_i32_i24_sdwa v113, sext(v66), v112 dst_sel:DWORD dst_unused:UNUSED_PAD src0_sel:WORD_0 src1_sel:DWORD
	v_mul_i32_i24_sdwa v112, sext(v67), v112 dst_sel:DWORD dst_unused:UNUSED_PAD src0_sel:WORD_0 src1_sel:DWORD
	v_lshrrev_b32_e32 v114, 31, v113
	v_ashrrev_i32_e32 v113, 18, v113
	v_lshrrev_b32_e32 v115, 31, v112
	v_ashrrev_i32_e32 v112, 18, v112
	v_add_nc_u16 v113, v113, v114
	v_add_nc_u16 v112, v112, v115
	v_cmp_lt_i16_e64 s35, v113, v112
	v_cndmask_b32_e64 v112, v66, v67, s35
	v_cndmask_b32_e64 v67, v67, v66, s35
	v_mov_b32_e32 v66, v112
	s_or_b32 exec_lo, exec_lo, s38
	s_and_saveexec_b32 s38, s94
	s_cbranch_execnz .LBB522_1076
.LBB522_1555:
	s_or_b32 exec_lo, exec_lo, s38
	s_and_saveexec_b32 s38, s95
	s_cbranch_execz .LBB522_1077
.LBB522_1556:
	v_mov_b32_e32 v112, 0x6667
	v_mul_i32_i24_sdwa v113, sext(v53), v112 dst_sel:DWORD dst_unused:UNUSED_PAD src0_sel:WORD_0 src1_sel:DWORD
	v_mul_i32_i24_sdwa v112, sext(v55), v112 dst_sel:DWORD dst_unused:UNUSED_PAD src0_sel:WORD_0 src1_sel:DWORD
	v_lshrrev_b32_e32 v114, 31, v113
	v_ashrrev_i32_e32 v113, 18, v113
	v_lshrrev_b32_e32 v115, 31, v112
	v_ashrrev_i32_e32 v112, 18, v112
	v_add_nc_u16 v113, v113, v114
	v_add_nc_u16 v112, v112, v115
	v_cmp_lt_i16_e64 s35, v113, v112
	v_cndmask_b32_e64 v112, v53, v55, s35
	v_cndmask_b32_e64 v55, v55, v53, s35
	v_mov_b32_e32 v53, v112
	s_or_b32 exec_lo, exec_lo, s38
	s_and_saveexec_b32 s38, vcc_hi
	s_cbranch_execnz .LBB522_1078
.LBB522_1557:
	s_or_b32 exec_lo, exec_lo, s38
	s_and_saveexec_b32 s38, s30
	s_cbranch_execz .LBB522_1079
.LBB522_1558:
	v_mov_b32_e32 v112, 0x6667
	v_mul_i32_i24_sdwa v113, sext(v50), v112 dst_sel:DWORD dst_unused:UNUSED_PAD src0_sel:WORD_0 src1_sel:DWORD
	v_mul_i32_i24_sdwa v112, sext(v54), v112 dst_sel:DWORD dst_unused:UNUSED_PAD src0_sel:WORD_0 src1_sel:DWORD
	v_lshrrev_b32_e32 v114, 31, v113
	v_ashrrev_i32_e32 v113, 18, v113
	v_lshrrev_b32_e32 v115, 31, v112
	v_ashrrev_i32_e32 v112, 18, v112
	v_add_nc_u16 v113, v113, v114
	v_add_nc_u16 v112, v112, v115
	v_cmp_lt_i16_e64 s35, v113, v112
	v_cndmask_b32_e64 v112, v54, v50, s35
	v_cndmask_b32_e64 v50, v50, v54, s35
	v_mov_b32_e32 v54, v112
	s_or_b32 exec_lo, exec_lo, s38
	s_and_saveexec_b32 s38, s31
	s_cbranch_execnz .LBB522_1080
.LBB522_1559:
	s_or_b32 exec_lo, exec_lo, s38
	s_and_saveexec_b32 s38, s34
	s_cbranch_execz .LBB522_1081
.LBB522_1560:
	v_mov_b32_e32 v112, 0x6667
	v_mul_i32_i24_sdwa v113, sext(v101), v112 dst_sel:DWORD dst_unused:UNUSED_PAD src0_sel:WORD_0 src1_sel:DWORD
	v_mul_i32_i24_sdwa v112, sext(v39), v112 dst_sel:DWORD dst_unused:UNUSED_PAD src0_sel:WORD_0 src1_sel:DWORD
	v_lshrrev_b32_e32 v114, 31, v113
	v_ashrrev_i32_e32 v113, 18, v113
	v_lshrrev_b32_e32 v115, 31, v112
	v_ashrrev_i32_e32 v112, 18, v112
	v_add_nc_u16 v113, v113, v114
	v_add_nc_u16 v112, v112, v115
	v_cmp_lt_i16_e64 s35, v113, v112
	v_cndmask_b32_e64 v112, v39, v101, s35
	v_cndmask_b32_e64 v101, v101, v39, s35
	v_mov_b32_e32 v39, v112
	s_or_b32 exec_lo, exec_lo, s38
	s_and_saveexec_b32 s38, s8
	s_cbranch_execnz .LBB522_1082
.LBB522_1561:
	s_or_b32 exec_lo, exec_lo, s38
	s_and_saveexec_b32 s38, s9
	s_cbranch_execz .LBB522_1083
.LBB522_1562:
	v_mov_b32_e32 v112, 0x6667
	v_mul_i32_i24_sdwa v113, sext(v98), v112 dst_sel:DWORD dst_unused:UNUSED_PAD src0_sel:WORD_0 src1_sel:DWORD
	v_mul_i32_i24_sdwa v112, sext(v99), v112 dst_sel:DWORD dst_unused:UNUSED_PAD src0_sel:WORD_0 src1_sel:DWORD
	v_lshrrev_b32_e32 v114, 31, v113
	v_ashrrev_i32_e32 v113, 18, v113
	v_lshrrev_b32_e32 v115, 31, v112
	v_ashrrev_i32_e32 v112, 18, v112
	v_add_nc_u16 v113, v113, v114
	v_add_nc_u16 v112, v112, v115
	v_cmp_lt_i16_e64 s35, v113, v112
	v_cndmask_b32_e64 v112, v98, v99, s35
	v_cndmask_b32_e64 v99, v99, v98, s35
	v_mov_b32_e32 v98, v112
	s_or_b32 exec_lo, exec_lo, s38
	s_and_saveexec_b32 s38, s12
	s_cbranch_execnz .LBB522_1084
.LBB522_1563:
	s_or_b32 exec_lo, exec_lo, s38
	s_and_saveexec_b32 s38, s13
	s_cbranch_execz .LBB522_1085
.LBB522_1564:
	v_mov_b32_e32 v112, 0x6667
	v_mul_i32_i24_sdwa v113, sext(v85), v112 dst_sel:DWORD dst_unused:UNUSED_PAD src0_sel:WORD_0 src1_sel:DWORD
	v_mul_i32_i24_sdwa v112, sext(v86), v112 dst_sel:DWORD dst_unused:UNUSED_PAD src0_sel:WORD_0 src1_sel:DWORD
	v_lshrrev_b32_e32 v114, 31, v113
	v_ashrrev_i32_e32 v113, 18, v113
	v_lshrrev_b32_e32 v115, 31, v112
	v_ashrrev_i32_e32 v112, 18, v112
	v_add_nc_u16 v113, v113, v114
	v_add_nc_u16 v112, v112, v115
	v_cmp_lt_i16_e64 s35, v113, v112
	v_cndmask_b32_e64 v112, v85, v86, s35
	v_cndmask_b32_e64 v86, v86, v85, s35
	v_mov_b32_e32 v85, v112
	s_or_b32 exec_lo, exec_lo, s38
	s_and_saveexec_b32 s38, s57
	s_cbranch_execnz .LBB522_1086
.LBB522_1565:
	s_or_b32 exec_lo, exec_lo, s38
	s_and_saveexec_b32 s38, s58
	s_cbranch_execz .LBB522_1087
.LBB522_1566:
	v_mov_b32_e32 v112, 0x6667
	v_mul_i32_i24_sdwa v113, sext(v81), v112 dst_sel:DWORD dst_unused:UNUSED_PAD src0_sel:WORD_0 src1_sel:DWORD
	v_mul_i32_i24_sdwa v112, sext(v82), v112 dst_sel:DWORD dst_unused:UNUSED_PAD src0_sel:WORD_0 src1_sel:DWORD
	v_lshrrev_b32_e32 v114, 31, v113
	v_ashrrev_i32_e32 v113, 18, v113
	v_lshrrev_b32_e32 v115, 31, v112
	v_ashrrev_i32_e32 v112, 18, v112
	v_add_nc_u16 v113, v113, v114
	v_add_nc_u16 v112, v112, v115
	v_cmp_lt_i16_e64 s35, v113, v112
	v_cndmask_b32_e64 v112, v81, v82, s35
	v_cndmask_b32_e64 v82, v82, v81, s35
	v_mov_b32_e32 v81, v112
	s_or_b32 exec_lo, exec_lo, s38
	s_and_saveexec_b32 s38, s59
	s_cbranch_execnz .LBB522_1088
.LBB522_1567:
	s_or_b32 exec_lo, exec_lo, s38
	s_and_saveexec_b32 s38, s60
	s_cbranch_execz .LBB522_1089
.LBB522_1568:
	v_mov_b32_e32 v112, 0x6667
	v_mul_i32_i24_sdwa v113, sext(v69), v112 dst_sel:DWORD dst_unused:UNUSED_PAD src0_sel:WORD_0 src1_sel:DWORD
	v_mul_i32_i24_sdwa v112, sext(v70), v112 dst_sel:DWORD dst_unused:UNUSED_PAD src0_sel:WORD_0 src1_sel:DWORD
	v_lshrrev_b32_e32 v114, 31, v113
	v_ashrrev_i32_e32 v113, 18, v113
	v_lshrrev_b32_e32 v115, 31, v112
	v_ashrrev_i32_e32 v112, 18, v112
	v_add_nc_u16 v113, v113, v114
	v_add_nc_u16 v112, v112, v115
	v_cmp_lt_i16_e64 s35, v113, v112
	v_cndmask_b32_e64 v112, v69, v70, s35
	v_cndmask_b32_e64 v70, v70, v69, s35
	v_mov_b32_e32 v69, v112
	s_or_b32 exec_lo, exec_lo, s38
	s_and_saveexec_b32 s38, s61
	s_cbranch_execnz .LBB522_1090
.LBB522_1569:
	s_or_b32 exec_lo, exec_lo, s38
	s_and_saveexec_b32 s38, s62
	s_cbranch_execz .LBB522_1091
.LBB522_1570:
	v_mov_b32_e32 v112, 0x6667
	v_mul_i32_i24_sdwa v113, sext(v65), v112 dst_sel:DWORD dst_unused:UNUSED_PAD src0_sel:WORD_0 src1_sel:DWORD
	v_mul_i32_i24_sdwa v112, sext(v66), v112 dst_sel:DWORD dst_unused:UNUSED_PAD src0_sel:WORD_0 src1_sel:DWORD
	v_lshrrev_b32_e32 v114, 31, v113
	v_ashrrev_i32_e32 v113, 18, v113
	v_lshrrev_b32_e32 v115, 31, v112
	v_ashrrev_i32_e32 v112, 18, v112
	v_add_nc_u16 v113, v113, v114
	v_add_nc_u16 v112, v112, v115
	v_cmp_lt_i16_e64 s35, v113, v112
	v_cndmask_b32_e64 v112, v65, v66, s35
	v_cndmask_b32_e64 v66, v66, v65, s35
	v_mov_b32_e32 v65, v112
	s_or_b32 exec_lo, exec_lo, s38
	s_and_saveexec_b32 s38, s63
	s_cbranch_execnz .LBB522_1092
.LBB522_1571:
	s_or_b32 exec_lo, exec_lo, s38
	s_and_saveexec_b32 s38, s72
	s_cbranch_execz .LBB522_1093
.LBB522_1572:
	v_mov_b32_e32 v112, 0x6667
	v_mul_i32_i24_sdwa v113, sext(v52), v112 dst_sel:DWORD dst_unused:UNUSED_PAD src0_sel:WORD_0 src1_sel:DWORD
	v_mul_i32_i24_sdwa v112, sext(v53), v112 dst_sel:DWORD dst_unused:UNUSED_PAD src0_sel:WORD_0 src1_sel:DWORD
	v_lshrrev_b32_e32 v114, 31, v113
	v_ashrrev_i32_e32 v113, 18, v113
	v_lshrrev_b32_e32 v115, 31, v112
	v_ashrrev_i32_e32 v112, 18, v112
	v_add_nc_u16 v113, v113, v114
	v_add_nc_u16 v112, v112, v115
	v_cmp_lt_i16_e64 s35, v113, v112
	v_cndmask_b32_e64 v112, v52, v53, s35
	v_cndmask_b32_e64 v53, v53, v52, s35
	v_mov_b32_e32 v52, v112
	s_or_b32 exec_lo, exec_lo, s38
	s_and_saveexec_b32 s38, s73
	s_cbranch_execnz .LBB522_1094
.LBB522_1573:
	s_or_b32 exec_lo, exec_lo, s38
	s_and_saveexec_b32 s38, s74
	s_cbranch_execz .LBB522_1095
.LBB522_1574:
	v_mov_b32_e32 v112, 0x6667
	v_mul_i32_i24_sdwa v113, sext(v49), v112 dst_sel:DWORD dst_unused:UNUSED_PAD src0_sel:WORD_0 src1_sel:DWORD
	v_mul_i32_i24_sdwa v112, sext(v50), v112 dst_sel:DWORD dst_unused:UNUSED_PAD src0_sel:WORD_0 src1_sel:DWORD
	v_lshrrev_b32_e32 v114, 31, v113
	v_ashrrev_i32_e32 v113, 18, v113
	v_lshrrev_b32_e32 v115, 31, v112
	v_ashrrev_i32_e32 v112, 18, v112
	v_add_nc_u16 v113, v113, v114
	v_add_nc_u16 v112, v112, v115
	v_cmp_lt_i16_e64 s35, v113, v112
	v_cndmask_b32_e64 v112, v50, v49, s35
	v_cndmask_b32_e64 v49, v49, v50, s35
	v_mov_b32_e32 v50, v112
	s_or_b32 exec_lo, exec_lo, s38
	s_and_saveexec_b32 s38, s75
	s_cbranch_execnz .LBB522_1096
.LBB522_1575:
	s_or_b32 exec_lo, exec_lo, s38
	s_and_saveexec_b32 s38, s76
	s_cbranch_execz .LBB522_1097
.LBB522_1576:
	v_mov_b32_e32 v112, 0x6667
	v_mul_i32_i24_sdwa v113, sext(v38), v112 dst_sel:DWORD dst_unused:UNUSED_PAD src0_sel:WORD_0 src1_sel:DWORD
	v_mul_i32_i24_sdwa v112, sext(v101), v112 dst_sel:DWORD dst_unused:UNUSED_PAD src0_sel:WORD_0 src1_sel:DWORD
	v_lshrrev_b32_e32 v114, 31, v113
	v_ashrrev_i32_e32 v113, 18, v113
	v_lshrrev_b32_e32 v115, 31, v112
	v_ashrrev_i32_e32 v112, 18, v112
	v_add_nc_u16 v113, v113, v114
	v_add_nc_u16 v112, v112, v115
	v_cmp_lt_i16_e64 s35, v113, v112
	v_cndmask_b32_e64 v112, v101, v38, s35
	v_cndmask_b32_e64 v38, v38, v101, s35
	v_mov_b32_e32 v101, v112
	s_or_b32 exec_lo, exec_lo, s38
	s_and_saveexec_b32 s38, s77
	s_cbranch_execnz .LBB522_1098
.LBB522_1577:
	s_or_b32 exec_lo, exec_lo, s38
	s_and_saveexec_b32 s38, s78
	s_cbranch_execz .LBB522_1099
.LBB522_1578:
	v_mov_b32_e32 v112, 0x6667
	v_mul_i32_i24_sdwa v113, sext(v96), v112 dst_sel:DWORD dst_unused:UNUSED_PAD src0_sel:WORD_0 src1_sel:DWORD
	v_mul_i32_i24_sdwa v112, sext(v98), v112 dst_sel:DWORD dst_unused:UNUSED_PAD src0_sel:WORD_0 src1_sel:DWORD
	v_lshrrev_b32_e32 v114, 31, v113
	v_ashrrev_i32_e32 v113, 18, v113
	v_lshrrev_b32_e32 v115, 31, v112
	v_ashrrev_i32_e32 v112, 18, v112
	v_add_nc_u16 v113, v113, v114
	v_add_nc_u16 v112, v112, v115
	v_cmp_lt_i16_e64 s35, v113, v112
	v_cndmask_b32_e64 v112, v96, v98, s35
	v_cndmask_b32_e64 v98, v98, v96, s35
	v_mov_b32_e32 v96, v112
	s_or_b32 exec_lo, exec_lo, s38
	s_and_saveexec_b32 s38, s79
	s_cbranch_execnz .LBB522_1100
.LBB522_1579:
	s_or_b32 exec_lo, exec_lo, s38
	s_and_saveexec_b32 s38, s88
	s_cbranch_execz .LBB522_1101
.LBB522_1580:
	v_mov_b32_e32 v112, 0x6667
	v_mul_i32_i24_sdwa v113, sext(v84), v112 dst_sel:DWORD dst_unused:UNUSED_PAD src0_sel:WORD_0 src1_sel:DWORD
	v_mul_i32_i24_sdwa v112, sext(v85), v112 dst_sel:DWORD dst_unused:UNUSED_PAD src0_sel:WORD_0 src1_sel:DWORD
	v_lshrrev_b32_e32 v114, 31, v113
	v_ashrrev_i32_e32 v113, 18, v113
	v_lshrrev_b32_e32 v115, 31, v112
	v_ashrrev_i32_e32 v112, 18, v112
	v_add_nc_u16 v113, v113, v114
	v_add_nc_u16 v112, v112, v115
	v_cmp_lt_i16_e64 s35, v113, v112
	v_cndmask_b32_e64 v112, v84, v85, s35
	v_cndmask_b32_e64 v85, v85, v84, s35
	v_mov_b32_e32 v84, v112
	s_or_b32 exec_lo, exec_lo, s38
	s_and_saveexec_b32 s38, s89
	s_cbranch_execnz .LBB522_1102
.LBB522_1581:
	s_or_b32 exec_lo, exec_lo, s38
	s_and_saveexec_b32 s38, s90
	s_cbranch_execz .LBB522_1103
.LBB522_1582:
	v_mov_b32_e32 v112, 0x6667
	v_mul_i32_i24_sdwa v113, sext(v80), v112 dst_sel:DWORD dst_unused:UNUSED_PAD src0_sel:WORD_0 src1_sel:DWORD
	v_mul_i32_i24_sdwa v112, sext(v81), v112 dst_sel:DWORD dst_unused:UNUSED_PAD src0_sel:WORD_0 src1_sel:DWORD
	v_lshrrev_b32_e32 v114, 31, v113
	v_ashrrev_i32_e32 v113, 18, v113
	v_lshrrev_b32_e32 v115, 31, v112
	v_ashrrev_i32_e32 v112, 18, v112
	v_add_nc_u16 v113, v113, v114
	v_add_nc_u16 v112, v112, v115
	v_cmp_lt_i16_e64 s35, v113, v112
	v_cndmask_b32_e64 v112, v80, v81, s35
	v_cndmask_b32_e64 v81, v81, v80, s35
	v_mov_b32_e32 v80, v112
	s_or_b32 exec_lo, exec_lo, s38
	s_and_saveexec_b32 s38, s91
	s_cbranch_execnz .LBB522_1104
.LBB522_1583:
	s_or_b32 exec_lo, exec_lo, s38
	s_and_saveexec_b32 s38, s92
	s_cbranch_execz .LBB522_1105
.LBB522_1584:
	v_mov_b32_e32 v112, 0x6667
	v_mul_i32_i24_sdwa v113, sext(v68), v112 dst_sel:DWORD dst_unused:UNUSED_PAD src0_sel:WORD_0 src1_sel:DWORD
	v_mul_i32_i24_sdwa v112, sext(v69), v112 dst_sel:DWORD dst_unused:UNUSED_PAD src0_sel:WORD_0 src1_sel:DWORD
	v_lshrrev_b32_e32 v114, 31, v113
	v_ashrrev_i32_e32 v113, 18, v113
	v_lshrrev_b32_e32 v115, 31, v112
	v_ashrrev_i32_e32 v112, 18, v112
	v_add_nc_u16 v113, v113, v114
	v_add_nc_u16 v112, v112, v115
	v_cmp_lt_i16_e64 s35, v113, v112
	v_cndmask_b32_e64 v112, v68, v69, s35
	v_cndmask_b32_e64 v69, v69, v68, s35
	v_mov_b32_e32 v68, v112
	s_or_b32 exec_lo, exec_lo, s38
	s_and_saveexec_b32 s38, s93
	s_cbranch_execnz .LBB522_1106
.LBB522_1585:
	s_or_b32 exec_lo, exec_lo, s38
	s_and_saveexec_b32 s38, s94
	s_cbranch_execz .LBB522_1107
.LBB522_1586:
	v_mov_b32_e32 v112, 0x6667
	v_mul_i32_i24_sdwa v113, sext(v64), v112 dst_sel:DWORD dst_unused:UNUSED_PAD src0_sel:WORD_0 src1_sel:DWORD
	v_mul_i32_i24_sdwa v112, sext(v65), v112 dst_sel:DWORD dst_unused:UNUSED_PAD src0_sel:WORD_0 src1_sel:DWORD
	v_lshrrev_b32_e32 v114, 31, v113
	v_ashrrev_i32_e32 v113, 18, v113
	v_lshrrev_b32_e32 v115, 31, v112
	v_ashrrev_i32_e32 v112, 18, v112
	v_add_nc_u16 v113, v113, v114
	v_add_nc_u16 v112, v112, v115
	v_cmp_lt_i16_e64 s35, v113, v112
	v_cndmask_b32_e64 v112, v64, v65, s35
	v_cndmask_b32_e64 v65, v65, v64, s35
	v_mov_b32_e32 v64, v112
	s_or_b32 exec_lo, exec_lo, s38
	s_and_saveexec_b32 s38, s95
	s_cbranch_execnz .LBB522_1108
.LBB522_1587:
	s_or_b32 exec_lo, exec_lo, s38
	s_and_saveexec_b32 s38, vcc_hi
	s_cbranch_execz .LBB522_1109
.LBB522_1588:
	v_mov_b32_e32 v112, 0x6667
	v_mul_i32_i24_sdwa v113, sext(v51), v112 dst_sel:DWORD dst_unused:UNUSED_PAD src0_sel:WORD_0 src1_sel:DWORD
	v_mul_i32_i24_sdwa v112, sext(v52), v112 dst_sel:DWORD dst_unused:UNUSED_PAD src0_sel:WORD_0 src1_sel:DWORD
	v_lshrrev_b32_e32 v114, 31, v113
	v_ashrrev_i32_e32 v113, 18, v113
	v_lshrrev_b32_e32 v115, 31, v112
	v_ashrrev_i32_e32 v112, 18, v112
	v_add_nc_u16 v113, v113, v114
	v_add_nc_u16 v112, v112, v115
	v_cmp_lt_i16_e64 s35, v113, v112
	v_cndmask_b32_e64 v112, v51, v52, s35
	v_cndmask_b32_e64 v52, v52, v51, s35
	v_mov_b32_e32 v51, v112
	s_or_b32 exec_lo, exec_lo, s38
	s_and_saveexec_b32 s38, s30
	s_cbranch_execnz .LBB522_1110
.LBB522_1589:
	s_or_b32 exec_lo, exec_lo, s38
	s_and_saveexec_b32 s38, s31
	s_cbranch_execz .LBB522_1111
.LBB522_1590:
	v_mov_b32_e32 v112, 0x6667
	v_mul_i32_i24_sdwa v113, sext(v48), v112 dst_sel:DWORD dst_unused:UNUSED_PAD src0_sel:WORD_0 src1_sel:DWORD
	v_mul_i32_i24_sdwa v112, sext(v49), v112 dst_sel:DWORD dst_unused:UNUSED_PAD src0_sel:WORD_0 src1_sel:DWORD
	v_lshrrev_b32_e32 v114, 31, v113
	v_ashrrev_i32_e32 v113, 18, v113
	v_lshrrev_b32_e32 v115, 31, v112
	v_ashrrev_i32_e32 v112, 18, v112
	v_add_nc_u16 v113, v113, v114
	v_add_nc_u16 v112, v112, v115
	v_cmp_lt_i16_e64 s35, v113, v112
	v_cndmask_b32_e64 v112, v49, v48, s35
	v_cndmask_b32_e64 v48, v48, v49, s35
	v_mov_b32_e32 v49, v112
	s_or_b32 exec_lo, exec_lo, s38
	s_and_saveexec_b32 s38, s34
	s_cbranch_execnz .LBB522_1112
.LBB522_1591:
	s_or_b32 exec_lo, exec_lo, s38
	s_and_saveexec_b32 s38, s8
	s_cbranch_execz .LBB522_1113
.LBB522_1592:
	v_mov_b32_e32 v112, 0x6667
	v_mul_i32_i24_sdwa v113, sext(v100), v112 dst_sel:DWORD dst_unused:UNUSED_PAD src0_sel:WORD_0 src1_sel:DWORD
	v_mul_i32_i24_sdwa v112, sext(v97), v112 dst_sel:DWORD dst_unused:UNUSED_PAD src0_sel:WORD_0 src1_sel:DWORD
	v_lshrrev_b32_e32 v114, 31, v113
	v_ashrrev_i32_e32 v113, 18, v113
	v_lshrrev_b32_e32 v115, 31, v112
	v_ashrrev_i32_e32 v112, 18, v112
	v_add_nc_u16 v113, v113, v114
	v_add_nc_u16 v112, v112, v115
	v_cmp_lt_i16_e64 s35, v113, v112
	v_cndmask_b32_e64 v112, v100, v97, s35
	v_cndmask_b32_e64 v97, v97, v100, s35
	v_mov_b32_e32 v100, v112
	s_or_b32 exec_lo, exec_lo, s38
	s_and_saveexec_b32 s38, s9
	s_cbranch_execnz .LBB522_1114
.LBB522_1593:
	s_or_b32 exec_lo, exec_lo, s38
	s_and_saveexec_b32 s38, s12
	s_cbranch_execz .LBB522_1115
.LBB522_1594:
	v_mov_b32_e32 v112, 0x6667
	v_mul_i32_i24_sdwa v113, sext(v87), v112 dst_sel:DWORD dst_unused:UNUSED_PAD src0_sel:WORD_0 src1_sel:DWORD
	v_mul_i32_i24_sdwa v112, sext(v96), v112 dst_sel:DWORD dst_unused:UNUSED_PAD src0_sel:WORD_0 src1_sel:DWORD
	v_lshrrev_b32_e32 v114, 31, v113
	v_ashrrev_i32_e32 v113, 18, v113
	v_lshrrev_b32_e32 v115, 31, v112
	v_ashrrev_i32_e32 v112, 18, v112
	v_add_nc_u16 v113, v113, v114
	v_add_nc_u16 v112, v112, v115
	v_cmp_lt_i16_e64 s35, v113, v112
	v_cndmask_b32_e64 v112, v87, v96, s35
	v_cndmask_b32_e64 v96, v96, v87, s35
	v_mov_b32_e32 v87, v112
	s_or_b32 exec_lo, exec_lo, s38
	s_and_saveexec_b32 s38, s13
	s_cbranch_execnz .LBB522_1116
.LBB522_1595:
	s_or_b32 exec_lo, exec_lo, s38
	s_and_saveexec_b32 s38, s57
	s_cbranch_execz .LBB522_1117
.LBB522_1596:
	v_mov_b32_e32 v112, 0x6667
	v_mul_i32_i24_sdwa v113, sext(v83), v112 dst_sel:DWORD dst_unused:UNUSED_PAD src0_sel:WORD_0 src1_sel:DWORD
	v_mul_i32_i24_sdwa v112, sext(v84), v112 dst_sel:DWORD dst_unused:UNUSED_PAD src0_sel:WORD_0 src1_sel:DWORD
	v_lshrrev_b32_e32 v114, 31, v113
	v_ashrrev_i32_e32 v113, 18, v113
	v_lshrrev_b32_e32 v115, 31, v112
	v_ashrrev_i32_e32 v112, 18, v112
	v_add_nc_u16 v113, v113, v114
	v_add_nc_u16 v112, v112, v115
	v_cmp_lt_i16_e64 s35, v113, v112
	v_cndmask_b32_e64 v112, v83, v84, s35
	v_cndmask_b32_e64 v84, v84, v83, s35
	v_mov_b32_e32 v83, v112
	s_or_b32 exec_lo, exec_lo, s38
	s_and_saveexec_b32 s38, s58
	s_cbranch_execnz .LBB522_1118
.LBB522_1597:
	s_or_b32 exec_lo, exec_lo, s38
	s_and_saveexec_b32 s38, s59
	s_cbranch_execz .LBB522_1119
.LBB522_1598:
	v_mov_b32_e32 v112, 0x6667
	v_mul_i32_i24_sdwa v113, sext(v71), v112 dst_sel:DWORD dst_unused:UNUSED_PAD src0_sel:WORD_0 src1_sel:DWORD
	v_mul_i32_i24_sdwa v112, sext(v80), v112 dst_sel:DWORD dst_unused:UNUSED_PAD src0_sel:WORD_0 src1_sel:DWORD
	v_lshrrev_b32_e32 v114, 31, v113
	v_ashrrev_i32_e32 v113, 18, v113
	v_lshrrev_b32_e32 v115, 31, v112
	v_ashrrev_i32_e32 v112, 18, v112
	v_add_nc_u16 v113, v113, v114
	v_add_nc_u16 v112, v112, v115
	v_cmp_lt_i16_e64 s35, v113, v112
	v_cndmask_b32_e64 v112, v71, v80, s35
	v_cndmask_b32_e64 v80, v80, v71, s35
	v_mov_b32_e32 v71, v112
	s_or_b32 exec_lo, exec_lo, s38
	s_and_saveexec_b32 s38, s60
	s_cbranch_execnz .LBB522_1120
.LBB522_1599:
	s_or_b32 exec_lo, exec_lo, s38
	s_and_saveexec_b32 s38, s61
	s_cbranch_execz .LBB522_1121
.LBB522_1600:
	v_mov_b32_e32 v112, 0x6667
	v_mul_i32_i24_sdwa v113, sext(v67), v112 dst_sel:DWORD dst_unused:UNUSED_PAD src0_sel:WORD_0 src1_sel:DWORD
	v_mul_i32_i24_sdwa v112, sext(v68), v112 dst_sel:DWORD dst_unused:UNUSED_PAD src0_sel:WORD_0 src1_sel:DWORD
	v_lshrrev_b32_e32 v114, 31, v113
	v_ashrrev_i32_e32 v113, 18, v113
	v_lshrrev_b32_e32 v115, 31, v112
	v_ashrrev_i32_e32 v112, 18, v112
	v_add_nc_u16 v113, v113, v114
	v_add_nc_u16 v112, v112, v115
	v_cmp_lt_i16_e64 s35, v113, v112
	v_cndmask_b32_e64 v112, v67, v68, s35
	v_cndmask_b32_e64 v68, v68, v67, s35
	v_mov_b32_e32 v67, v112
	s_or_b32 exec_lo, exec_lo, s38
	s_and_saveexec_b32 s38, s62
	s_cbranch_execnz .LBB522_1122
.LBB522_1601:
	s_or_b32 exec_lo, exec_lo, s38
	s_and_saveexec_b32 s38, s63
	s_cbranch_execz .LBB522_1123
.LBB522_1602:
	v_mov_b32_e32 v112, 0x6667
	v_mul_i32_i24_sdwa v113, sext(v55), v112 dst_sel:DWORD dst_unused:UNUSED_PAD src0_sel:WORD_0 src1_sel:DWORD
	v_mul_i32_i24_sdwa v112, sext(v64), v112 dst_sel:DWORD dst_unused:UNUSED_PAD src0_sel:WORD_0 src1_sel:DWORD
	v_lshrrev_b32_e32 v114, 31, v113
	v_ashrrev_i32_e32 v113, 18, v113
	v_lshrrev_b32_e32 v115, 31, v112
	v_ashrrev_i32_e32 v112, 18, v112
	v_add_nc_u16 v113, v113, v114
	v_add_nc_u16 v112, v112, v115
	v_cmp_lt_i16_e64 s35, v113, v112
	v_cndmask_b32_e64 v112, v55, v64, s35
	v_cndmask_b32_e64 v64, v64, v55, s35
	v_mov_b32_e32 v55, v112
	s_or_b32 exec_lo, exec_lo, s38
	s_and_saveexec_b32 s38, s72
	s_cbranch_execnz .LBB522_1124
.LBB522_1603:
	s_or_b32 exec_lo, exec_lo, s38
	s_and_saveexec_b32 s38, s73
	s_cbranch_execz .LBB522_1125
.LBB522_1604:
	v_mov_b32_e32 v112, 0x6667
	v_mul_i32_i24_sdwa v113, sext(v54), v112 dst_sel:DWORD dst_unused:UNUSED_PAD src0_sel:WORD_0 src1_sel:DWORD
	v_mul_i32_i24_sdwa v112, sext(v51), v112 dst_sel:DWORD dst_unused:UNUSED_PAD src0_sel:WORD_0 src1_sel:DWORD
	v_lshrrev_b32_e32 v114, 31, v113
	v_ashrrev_i32_e32 v113, 18, v113
	v_lshrrev_b32_e32 v115, 31, v112
	v_ashrrev_i32_e32 v112, 18, v112
	v_add_nc_u16 v113, v113, v114
	v_add_nc_u16 v112, v112, v115
	v_cmp_lt_i16_e64 s35, v113, v112
	v_cndmask_b32_e64 v112, v54, v51, s35
	v_cndmask_b32_e64 v51, v51, v54, s35
	v_mov_b32_e32 v54, v112
	s_or_b32 exec_lo, exec_lo, s38
	s_and_saveexec_b32 s38, s74
	s_cbranch_execnz .LBB522_1126
.LBB522_1605:
	s_or_b32 exec_lo, exec_lo, s38
	s_and_saveexec_b32 s38, s75
	s_cbranch_execz .LBB522_1127
.LBB522_1606:
	v_mov_b32_e32 v112, 0x6667
	v_mul_i32_i24_sdwa v113, sext(v39), v112 dst_sel:DWORD dst_unused:UNUSED_PAD src0_sel:WORD_0 src1_sel:DWORD
	v_mul_i32_i24_sdwa v112, sext(v48), v112 dst_sel:DWORD dst_unused:UNUSED_PAD src0_sel:WORD_0 src1_sel:DWORD
	v_lshrrev_b32_e32 v114, 31, v113
	v_ashrrev_i32_e32 v113, 18, v113
	v_lshrrev_b32_e32 v115, 31, v112
	v_ashrrev_i32_e32 v112, 18, v112
	v_add_nc_u16 v113, v113, v114
	v_add_nc_u16 v112, v112, v115
	v_cmp_lt_i16_e64 s35, v113, v112
	v_cndmask_b32_e64 v112, v48, v39, s35
	v_cndmask_b32_e64 v39, v39, v48, s35
	v_mov_b32_e32 v48, v112
	s_or_b32 exec_lo, exec_lo, s38
	s_and_saveexec_b32 s38, s76
	s_cbranch_execnz .LBB522_1128
.LBB522_1607:
	s_or_b32 exec_lo, exec_lo, s38
	s_and_saveexec_b32 s38, s77
	s_cbranch_execz .LBB522_1129
.LBB522_1608:
	v_mov_b32_e32 v112, 0x6667
	v_mul_i32_i24_sdwa v113, sext(v99), v112 dst_sel:DWORD dst_unused:UNUSED_PAD src0_sel:WORD_0 src1_sel:DWORD
	v_mul_i32_i24_sdwa v112, sext(v100), v112 dst_sel:DWORD dst_unused:UNUSED_PAD src0_sel:WORD_0 src1_sel:DWORD
	v_lshrrev_b32_e32 v114, 31, v113
	v_ashrrev_i32_e32 v113, 18, v113
	v_lshrrev_b32_e32 v115, 31, v112
	v_ashrrev_i32_e32 v112, 18, v112
	v_add_nc_u16 v113, v113, v114
	v_add_nc_u16 v112, v112, v115
	v_cmp_lt_i16_e64 s35, v113, v112
	v_cndmask_b32_e64 v112, v99, v100, s35
	v_cndmask_b32_e64 v100, v100, v99, s35
	v_mov_b32_e32 v99, v112
	s_or_b32 exec_lo, exec_lo, s38
	s_and_saveexec_b32 s38, s78
	s_cbranch_execnz .LBB522_1130
.LBB522_1609:
	s_or_b32 exec_lo, exec_lo, s38
	s_and_saveexec_b32 s38, s79
	s_cbranch_execz .LBB522_1131
.LBB522_1610:
	v_mov_b32_e32 v112, 0x6667
	v_mul_i32_i24_sdwa v113, sext(v86), v112 dst_sel:DWORD dst_unused:UNUSED_PAD src0_sel:WORD_0 src1_sel:DWORD
	v_mul_i32_i24_sdwa v112, sext(v87), v112 dst_sel:DWORD dst_unused:UNUSED_PAD src0_sel:WORD_0 src1_sel:DWORD
	v_lshrrev_b32_e32 v114, 31, v113
	v_ashrrev_i32_e32 v113, 18, v113
	v_lshrrev_b32_e32 v115, 31, v112
	v_ashrrev_i32_e32 v112, 18, v112
	v_add_nc_u16 v113, v113, v114
	v_add_nc_u16 v112, v112, v115
	v_cmp_lt_i16_e64 s35, v113, v112
	v_cndmask_b32_e64 v112, v86, v87, s35
	v_cndmask_b32_e64 v87, v87, v86, s35
	v_mov_b32_e32 v86, v112
	s_or_b32 exec_lo, exec_lo, s38
	s_and_saveexec_b32 s38, s88
	s_cbranch_execnz .LBB522_1132
.LBB522_1611:
	s_or_b32 exec_lo, exec_lo, s38
	s_and_saveexec_b32 s38, s89
	s_cbranch_execz .LBB522_1133
.LBB522_1612:
	v_mov_b32_e32 v112, 0x6667
	v_mul_i32_i24_sdwa v113, sext(v82), v112 dst_sel:DWORD dst_unused:UNUSED_PAD src0_sel:WORD_0 src1_sel:DWORD
	v_mul_i32_i24_sdwa v112, sext(v83), v112 dst_sel:DWORD dst_unused:UNUSED_PAD src0_sel:WORD_0 src1_sel:DWORD
	v_lshrrev_b32_e32 v114, 31, v113
	v_ashrrev_i32_e32 v113, 18, v113
	v_lshrrev_b32_e32 v115, 31, v112
	v_ashrrev_i32_e32 v112, 18, v112
	v_add_nc_u16 v113, v113, v114
	v_add_nc_u16 v112, v112, v115
	v_cmp_lt_i16_e64 s35, v113, v112
	v_cndmask_b32_e64 v112, v82, v83, s35
	v_cndmask_b32_e64 v83, v83, v82, s35
	v_mov_b32_e32 v82, v112
	s_or_b32 exec_lo, exec_lo, s38
	s_and_saveexec_b32 s38, s90
	s_cbranch_execnz .LBB522_1134
.LBB522_1613:
	s_or_b32 exec_lo, exec_lo, s38
	s_and_saveexec_b32 s38, s91
	s_cbranch_execz .LBB522_1135
.LBB522_1614:
	v_mov_b32_e32 v112, 0x6667
	v_mul_i32_i24_sdwa v113, sext(v70), v112 dst_sel:DWORD dst_unused:UNUSED_PAD src0_sel:WORD_0 src1_sel:DWORD
	v_mul_i32_i24_sdwa v112, sext(v71), v112 dst_sel:DWORD dst_unused:UNUSED_PAD src0_sel:WORD_0 src1_sel:DWORD
	v_lshrrev_b32_e32 v114, 31, v113
	v_ashrrev_i32_e32 v113, 18, v113
	v_lshrrev_b32_e32 v115, 31, v112
	v_ashrrev_i32_e32 v112, 18, v112
	v_add_nc_u16 v113, v113, v114
	v_add_nc_u16 v112, v112, v115
	v_cmp_lt_i16_e64 s35, v113, v112
	v_cndmask_b32_e64 v112, v70, v71, s35
	v_cndmask_b32_e64 v71, v71, v70, s35
	v_mov_b32_e32 v70, v112
	s_or_b32 exec_lo, exec_lo, s38
	s_and_saveexec_b32 s38, s92
	s_cbranch_execnz .LBB522_1136
.LBB522_1615:
	s_or_b32 exec_lo, exec_lo, s38
	s_and_saveexec_b32 s38, s93
	s_cbranch_execz .LBB522_1137
.LBB522_1616:
	v_mov_b32_e32 v112, 0x6667
	v_mul_i32_i24_sdwa v113, sext(v66), v112 dst_sel:DWORD dst_unused:UNUSED_PAD src0_sel:WORD_0 src1_sel:DWORD
	v_mul_i32_i24_sdwa v112, sext(v67), v112 dst_sel:DWORD dst_unused:UNUSED_PAD src0_sel:WORD_0 src1_sel:DWORD
	v_lshrrev_b32_e32 v114, 31, v113
	v_ashrrev_i32_e32 v113, 18, v113
	v_lshrrev_b32_e32 v115, 31, v112
	v_ashrrev_i32_e32 v112, 18, v112
	v_add_nc_u16 v113, v113, v114
	v_add_nc_u16 v112, v112, v115
	v_cmp_lt_i16_e64 s35, v113, v112
	v_cndmask_b32_e64 v112, v66, v67, s35
	v_cndmask_b32_e64 v67, v67, v66, s35
	v_mov_b32_e32 v66, v112
	s_or_b32 exec_lo, exec_lo, s38
	s_and_saveexec_b32 s38, s94
	s_cbranch_execnz .LBB522_1138
.LBB522_1617:
	s_or_b32 exec_lo, exec_lo, s38
	s_and_saveexec_b32 s38, s95
	s_cbranch_execz .LBB522_1139
.LBB522_1618:
	v_mov_b32_e32 v112, 0x6667
	v_mul_i32_i24_sdwa v113, sext(v53), v112 dst_sel:DWORD dst_unused:UNUSED_PAD src0_sel:WORD_0 src1_sel:DWORD
	v_mul_i32_i24_sdwa v112, sext(v55), v112 dst_sel:DWORD dst_unused:UNUSED_PAD src0_sel:WORD_0 src1_sel:DWORD
	v_lshrrev_b32_e32 v114, 31, v113
	v_ashrrev_i32_e32 v113, 18, v113
	v_lshrrev_b32_e32 v115, 31, v112
	v_ashrrev_i32_e32 v112, 18, v112
	v_add_nc_u16 v113, v113, v114
	v_add_nc_u16 v112, v112, v115
	v_cmp_lt_i16_e64 s35, v113, v112
	v_cndmask_b32_e64 v112, v53, v55, s35
	v_cndmask_b32_e64 v55, v55, v53, s35
	v_mov_b32_e32 v53, v112
	s_or_b32 exec_lo, exec_lo, s38
	s_and_saveexec_b32 s38, vcc_hi
	s_cbranch_execnz .LBB522_1140
.LBB522_1619:
	s_or_b32 exec_lo, exec_lo, s38
	s_and_saveexec_b32 s38, s30
	s_cbranch_execz .LBB522_1141
.LBB522_1620:
	v_mov_b32_e32 v112, 0x6667
	v_mul_i32_i24_sdwa v113, sext(v50), v112 dst_sel:DWORD dst_unused:UNUSED_PAD src0_sel:WORD_0 src1_sel:DWORD
	v_mul_i32_i24_sdwa v112, sext(v54), v112 dst_sel:DWORD dst_unused:UNUSED_PAD src0_sel:WORD_0 src1_sel:DWORD
	v_lshrrev_b32_e32 v114, 31, v113
	v_ashrrev_i32_e32 v113, 18, v113
	v_lshrrev_b32_e32 v115, 31, v112
	v_ashrrev_i32_e32 v112, 18, v112
	v_add_nc_u16 v113, v113, v114
	v_add_nc_u16 v112, v112, v115
	v_cmp_lt_i16_e64 s35, v113, v112
	v_cndmask_b32_e64 v112, v54, v50, s35
	v_cndmask_b32_e64 v50, v50, v54, s35
	v_mov_b32_e32 v54, v112
	s_or_b32 exec_lo, exec_lo, s38
	s_and_saveexec_b32 s38, s31
	s_cbranch_execnz .LBB522_1142
.LBB522_1621:
	s_or_b32 exec_lo, exec_lo, s38
	s_and_saveexec_b32 s38, s34
	s_cbranch_execz .LBB522_1143
.LBB522_1622:
	v_mov_b32_e32 v112, 0x6667
	v_mul_i32_i24_sdwa v113, sext(v101), v112 dst_sel:DWORD dst_unused:UNUSED_PAD src0_sel:WORD_0 src1_sel:DWORD
	v_mul_i32_i24_sdwa v112, sext(v39), v112 dst_sel:DWORD dst_unused:UNUSED_PAD src0_sel:WORD_0 src1_sel:DWORD
	v_lshrrev_b32_e32 v114, 31, v113
	v_ashrrev_i32_e32 v113, 18, v113
	v_lshrrev_b32_e32 v115, 31, v112
	v_ashrrev_i32_e32 v112, 18, v112
	v_add_nc_u16 v113, v113, v114
	v_add_nc_u16 v112, v112, v115
	v_cmp_lt_i16_e64 s35, v113, v112
	v_cndmask_b32_e64 v112, v39, v101, s35
	v_cndmask_b32_e64 v101, v101, v39, s35
	v_mov_b32_e32 v39, v112
	s_or_b32 exec_lo, exec_lo, s38
	s_and_saveexec_b32 s38, s8
	s_cbranch_execnz .LBB522_1144
.LBB522_1623:
	s_or_b32 exec_lo, exec_lo, s38
	s_and_saveexec_b32 s38, s9
	s_cbranch_execz .LBB522_1145
.LBB522_1624:
	v_mov_b32_e32 v112, 0x6667
	v_mul_i32_i24_sdwa v113, sext(v98), v112 dst_sel:DWORD dst_unused:UNUSED_PAD src0_sel:WORD_0 src1_sel:DWORD
	v_mul_i32_i24_sdwa v112, sext(v99), v112 dst_sel:DWORD dst_unused:UNUSED_PAD src0_sel:WORD_0 src1_sel:DWORD
	v_lshrrev_b32_e32 v114, 31, v113
	v_ashrrev_i32_e32 v113, 18, v113
	v_lshrrev_b32_e32 v115, 31, v112
	v_ashrrev_i32_e32 v112, 18, v112
	v_add_nc_u16 v113, v113, v114
	v_add_nc_u16 v112, v112, v115
	v_cmp_lt_i16_e64 s35, v113, v112
	v_cndmask_b32_e64 v112, v98, v99, s35
	v_cndmask_b32_e64 v99, v99, v98, s35
	v_mov_b32_e32 v98, v112
	s_or_b32 exec_lo, exec_lo, s38
	s_and_saveexec_b32 s38, s12
	s_cbranch_execnz .LBB522_1146
.LBB522_1625:
	s_or_b32 exec_lo, exec_lo, s38
	s_and_saveexec_b32 s38, s13
	s_cbranch_execz .LBB522_1147
.LBB522_1626:
	v_mov_b32_e32 v112, 0x6667
	v_mul_i32_i24_sdwa v113, sext(v85), v112 dst_sel:DWORD dst_unused:UNUSED_PAD src0_sel:WORD_0 src1_sel:DWORD
	v_mul_i32_i24_sdwa v112, sext(v86), v112 dst_sel:DWORD dst_unused:UNUSED_PAD src0_sel:WORD_0 src1_sel:DWORD
	v_lshrrev_b32_e32 v114, 31, v113
	v_ashrrev_i32_e32 v113, 18, v113
	v_lshrrev_b32_e32 v115, 31, v112
	v_ashrrev_i32_e32 v112, 18, v112
	v_add_nc_u16 v113, v113, v114
	v_add_nc_u16 v112, v112, v115
	v_cmp_lt_i16_e64 s35, v113, v112
	v_cndmask_b32_e64 v112, v85, v86, s35
	v_cndmask_b32_e64 v86, v86, v85, s35
	v_mov_b32_e32 v85, v112
	s_or_b32 exec_lo, exec_lo, s38
	s_and_saveexec_b32 s38, s57
	s_cbranch_execnz .LBB522_1148
.LBB522_1627:
	s_or_b32 exec_lo, exec_lo, s38
	s_and_saveexec_b32 s38, s58
	s_cbranch_execz .LBB522_1149
.LBB522_1628:
	v_mov_b32_e32 v112, 0x6667
	v_mul_i32_i24_sdwa v113, sext(v81), v112 dst_sel:DWORD dst_unused:UNUSED_PAD src0_sel:WORD_0 src1_sel:DWORD
	v_mul_i32_i24_sdwa v112, sext(v82), v112 dst_sel:DWORD dst_unused:UNUSED_PAD src0_sel:WORD_0 src1_sel:DWORD
	v_lshrrev_b32_e32 v114, 31, v113
	v_ashrrev_i32_e32 v113, 18, v113
	v_lshrrev_b32_e32 v115, 31, v112
	v_ashrrev_i32_e32 v112, 18, v112
	v_add_nc_u16 v113, v113, v114
	v_add_nc_u16 v112, v112, v115
	v_cmp_lt_i16_e64 s35, v113, v112
	v_cndmask_b32_e64 v112, v81, v82, s35
	v_cndmask_b32_e64 v82, v82, v81, s35
	v_mov_b32_e32 v81, v112
	s_or_b32 exec_lo, exec_lo, s38
	s_and_saveexec_b32 s38, s59
	s_cbranch_execnz .LBB522_1150
.LBB522_1629:
	s_or_b32 exec_lo, exec_lo, s38
	s_and_saveexec_b32 s38, s60
	s_cbranch_execz .LBB522_1151
.LBB522_1630:
	v_mov_b32_e32 v112, 0x6667
	v_mul_i32_i24_sdwa v113, sext(v69), v112 dst_sel:DWORD dst_unused:UNUSED_PAD src0_sel:WORD_0 src1_sel:DWORD
	v_mul_i32_i24_sdwa v112, sext(v70), v112 dst_sel:DWORD dst_unused:UNUSED_PAD src0_sel:WORD_0 src1_sel:DWORD
	v_lshrrev_b32_e32 v114, 31, v113
	v_ashrrev_i32_e32 v113, 18, v113
	v_lshrrev_b32_e32 v115, 31, v112
	v_ashrrev_i32_e32 v112, 18, v112
	v_add_nc_u16 v113, v113, v114
	v_add_nc_u16 v112, v112, v115
	v_cmp_lt_i16_e64 s35, v113, v112
	v_cndmask_b32_e64 v112, v69, v70, s35
	v_cndmask_b32_e64 v70, v70, v69, s35
	v_mov_b32_e32 v69, v112
	s_or_b32 exec_lo, exec_lo, s38
	s_and_saveexec_b32 s38, s61
	s_cbranch_execnz .LBB522_1152
.LBB522_1631:
	s_or_b32 exec_lo, exec_lo, s38
	s_and_saveexec_b32 s38, s62
	s_cbranch_execz .LBB522_1153
.LBB522_1632:
	v_mov_b32_e32 v112, 0x6667
	v_mul_i32_i24_sdwa v113, sext(v65), v112 dst_sel:DWORD dst_unused:UNUSED_PAD src0_sel:WORD_0 src1_sel:DWORD
	v_mul_i32_i24_sdwa v112, sext(v66), v112 dst_sel:DWORD dst_unused:UNUSED_PAD src0_sel:WORD_0 src1_sel:DWORD
	v_lshrrev_b32_e32 v114, 31, v113
	v_ashrrev_i32_e32 v113, 18, v113
	v_lshrrev_b32_e32 v115, 31, v112
	v_ashrrev_i32_e32 v112, 18, v112
	v_add_nc_u16 v113, v113, v114
	v_add_nc_u16 v112, v112, v115
	v_cmp_lt_i16_e64 s35, v113, v112
	v_cndmask_b32_e64 v112, v65, v66, s35
	v_cndmask_b32_e64 v66, v66, v65, s35
	v_mov_b32_e32 v65, v112
	s_or_b32 exec_lo, exec_lo, s38
	s_and_saveexec_b32 s38, s63
	s_cbranch_execnz .LBB522_1154
.LBB522_1633:
	s_or_b32 exec_lo, exec_lo, s38
	s_and_saveexec_b32 s38, s72
	s_cbranch_execz .LBB522_1155
.LBB522_1634:
	v_mov_b32_e32 v112, 0x6667
	v_mul_i32_i24_sdwa v113, sext(v52), v112 dst_sel:DWORD dst_unused:UNUSED_PAD src0_sel:WORD_0 src1_sel:DWORD
	v_mul_i32_i24_sdwa v112, sext(v53), v112 dst_sel:DWORD dst_unused:UNUSED_PAD src0_sel:WORD_0 src1_sel:DWORD
	v_lshrrev_b32_e32 v114, 31, v113
	v_ashrrev_i32_e32 v113, 18, v113
	v_lshrrev_b32_e32 v115, 31, v112
	v_ashrrev_i32_e32 v112, 18, v112
	v_add_nc_u16 v113, v113, v114
	v_add_nc_u16 v112, v112, v115
	v_cmp_lt_i16_e64 s35, v113, v112
	v_cndmask_b32_e64 v112, v52, v53, s35
	v_cndmask_b32_e64 v53, v53, v52, s35
	v_mov_b32_e32 v52, v112
	s_or_b32 exec_lo, exec_lo, s38
	s_and_saveexec_b32 s38, s73
	s_cbranch_execnz .LBB522_1156
.LBB522_1635:
	s_or_b32 exec_lo, exec_lo, s38
	s_and_saveexec_b32 s38, s74
	s_cbranch_execz .LBB522_1157
.LBB522_1636:
	v_mov_b32_e32 v112, 0x6667
	v_mul_i32_i24_sdwa v113, sext(v49), v112 dst_sel:DWORD dst_unused:UNUSED_PAD src0_sel:WORD_0 src1_sel:DWORD
	v_mul_i32_i24_sdwa v112, sext(v50), v112 dst_sel:DWORD dst_unused:UNUSED_PAD src0_sel:WORD_0 src1_sel:DWORD
	v_lshrrev_b32_e32 v114, 31, v113
	v_ashrrev_i32_e32 v113, 18, v113
	v_lshrrev_b32_e32 v115, 31, v112
	v_ashrrev_i32_e32 v112, 18, v112
	v_add_nc_u16 v113, v113, v114
	v_add_nc_u16 v112, v112, v115
	v_cmp_lt_i16_e64 s35, v113, v112
	v_cndmask_b32_e64 v112, v50, v49, s35
	v_cndmask_b32_e64 v49, v49, v50, s35
	v_mov_b32_e32 v50, v112
	s_or_b32 exec_lo, exec_lo, s38
	s_and_saveexec_b32 s38, s75
	s_cbranch_execnz .LBB522_1158
.LBB522_1637:
	s_or_b32 exec_lo, exec_lo, s38
	s_and_saveexec_b32 s38, s76
	s_cbranch_execz .LBB522_1159
.LBB522_1638:
	v_mov_b32_e32 v112, 0x6667
	v_mul_i32_i24_sdwa v113, sext(v38), v112 dst_sel:DWORD dst_unused:UNUSED_PAD src0_sel:WORD_0 src1_sel:DWORD
	v_mul_i32_i24_sdwa v112, sext(v101), v112 dst_sel:DWORD dst_unused:UNUSED_PAD src0_sel:WORD_0 src1_sel:DWORD
	v_lshrrev_b32_e32 v114, 31, v113
	v_ashrrev_i32_e32 v113, 18, v113
	v_lshrrev_b32_e32 v115, 31, v112
	v_ashrrev_i32_e32 v112, 18, v112
	v_add_nc_u16 v113, v113, v114
	v_add_nc_u16 v112, v112, v115
	v_cmp_lt_i16_e64 s35, v113, v112
	v_cndmask_b32_e64 v112, v101, v38, s35
	v_cndmask_b32_e64 v38, v38, v101, s35
	v_mov_b32_e32 v101, v112
	s_or_b32 exec_lo, exec_lo, s38
	s_and_saveexec_b32 s38, s77
	s_cbranch_execnz .LBB522_1160
.LBB522_1639:
	s_or_b32 exec_lo, exec_lo, s38
	s_and_saveexec_b32 s38, s78
	s_cbranch_execz .LBB522_1161
.LBB522_1640:
	v_mov_b32_e32 v112, 0x6667
	v_mul_i32_i24_sdwa v113, sext(v96), v112 dst_sel:DWORD dst_unused:UNUSED_PAD src0_sel:WORD_0 src1_sel:DWORD
	v_mul_i32_i24_sdwa v112, sext(v98), v112 dst_sel:DWORD dst_unused:UNUSED_PAD src0_sel:WORD_0 src1_sel:DWORD
	v_lshrrev_b32_e32 v114, 31, v113
	v_ashrrev_i32_e32 v113, 18, v113
	v_lshrrev_b32_e32 v115, 31, v112
	v_ashrrev_i32_e32 v112, 18, v112
	v_add_nc_u16 v113, v113, v114
	v_add_nc_u16 v112, v112, v115
	v_cmp_lt_i16_e64 s35, v113, v112
	v_cndmask_b32_e64 v112, v96, v98, s35
	v_cndmask_b32_e64 v98, v98, v96, s35
	v_mov_b32_e32 v96, v112
	s_or_b32 exec_lo, exec_lo, s38
	s_and_saveexec_b32 s38, s79
	s_cbranch_execnz .LBB522_1162
.LBB522_1641:
	s_or_b32 exec_lo, exec_lo, s38
	s_and_saveexec_b32 s38, s88
	s_cbranch_execz .LBB522_1163
.LBB522_1642:
	v_mov_b32_e32 v112, 0x6667
	v_mul_i32_i24_sdwa v113, sext(v84), v112 dst_sel:DWORD dst_unused:UNUSED_PAD src0_sel:WORD_0 src1_sel:DWORD
	v_mul_i32_i24_sdwa v112, sext(v85), v112 dst_sel:DWORD dst_unused:UNUSED_PAD src0_sel:WORD_0 src1_sel:DWORD
	v_lshrrev_b32_e32 v114, 31, v113
	v_ashrrev_i32_e32 v113, 18, v113
	v_lshrrev_b32_e32 v115, 31, v112
	v_ashrrev_i32_e32 v112, 18, v112
	v_add_nc_u16 v113, v113, v114
	v_add_nc_u16 v112, v112, v115
	v_cmp_lt_i16_e64 s35, v113, v112
	v_cndmask_b32_e64 v112, v84, v85, s35
	v_cndmask_b32_e64 v85, v85, v84, s35
	v_mov_b32_e32 v84, v112
	s_or_b32 exec_lo, exec_lo, s38
	s_and_saveexec_b32 s38, s89
	s_cbranch_execnz .LBB522_1164
.LBB522_1643:
	s_or_b32 exec_lo, exec_lo, s38
	s_and_saveexec_b32 s38, s90
	s_cbranch_execz .LBB522_1165
.LBB522_1644:
	v_mov_b32_e32 v112, 0x6667
	v_mul_i32_i24_sdwa v113, sext(v80), v112 dst_sel:DWORD dst_unused:UNUSED_PAD src0_sel:WORD_0 src1_sel:DWORD
	v_mul_i32_i24_sdwa v112, sext(v81), v112 dst_sel:DWORD dst_unused:UNUSED_PAD src0_sel:WORD_0 src1_sel:DWORD
	v_lshrrev_b32_e32 v114, 31, v113
	v_ashrrev_i32_e32 v113, 18, v113
	v_lshrrev_b32_e32 v115, 31, v112
	v_ashrrev_i32_e32 v112, 18, v112
	v_add_nc_u16 v113, v113, v114
	v_add_nc_u16 v112, v112, v115
	v_cmp_lt_i16_e64 s35, v113, v112
	v_cndmask_b32_e64 v112, v80, v81, s35
	v_cndmask_b32_e64 v81, v81, v80, s35
	v_mov_b32_e32 v80, v112
	s_or_b32 exec_lo, exec_lo, s38
	s_and_saveexec_b32 s38, s91
	s_cbranch_execnz .LBB522_1166
.LBB522_1645:
	s_or_b32 exec_lo, exec_lo, s38
	s_and_saveexec_b32 s38, s92
	s_cbranch_execz .LBB522_1167
.LBB522_1646:
	v_mov_b32_e32 v112, 0x6667
	v_mul_i32_i24_sdwa v113, sext(v68), v112 dst_sel:DWORD dst_unused:UNUSED_PAD src0_sel:WORD_0 src1_sel:DWORD
	v_mul_i32_i24_sdwa v112, sext(v69), v112 dst_sel:DWORD dst_unused:UNUSED_PAD src0_sel:WORD_0 src1_sel:DWORD
	v_lshrrev_b32_e32 v114, 31, v113
	v_ashrrev_i32_e32 v113, 18, v113
	v_lshrrev_b32_e32 v115, 31, v112
	v_ashrrev_i32_e32 v112, 18, v112
	v_add_nc_u16 v113, v113, v114
	v_add_nc_u16 v112, v112, v115
	v_cmp_lt_i16_e64 s35, v113, v112
	v_cndmask_b32_e64 v112, v68, v69, s35
	v_cndmask_b32_e64 v69, v69, v68, s35
	v_mov_b32_e32 v68, v112
	s_or_b32 exec_lo, exec_lo, s38
	s_and_saveexec_b32 s38, s93
	s_cbranch_execnz .LBB522_1168
.LBB522_1647:
	s_or_b32 exec_lo, exec_lo, s38
	s_and_saveexec_b32 s38, s94
	s_cbranch_execz .LBB522_1169
.LBB522_1648:
	v_mov_b32_e32 v112, 0x6667
	v_mul_i32_i24_sdwa v113, sext(v64), v112 dst_sel:DWORD dst_unused:UNUSED_PAD src0_sel:WORD_0 src1_sel:DWORD
	v_mul_i32_i24_sdwa v112, sext(v65), v112 dst_sel:DWORD dst_unused:UNUSED_PAD src0_sel:WORD_0 src1_sel:DWORD
	v_lshrrev_b32_e32 v114, 31, v113
	v_ashrrev_i32_e32 v113, 18, v113
	v_lshrrev_b32_e32 v115, 31, v112
	v_ashrrev_i32_e32 v112, 18, v112
	v_add_nc_u16 v113, v113, v114
	v_add_nc_u16 v112, v112, v115
	v_cmp_lt_i16_e64 s35, v113, v112
	v_cndmask_b32_e64 v112, v64, v65, s35
	v_cndmask_b32_e64 v65, v65, v64, s35
	v_mov_b32_e32 v64, v112
	s_or_b32 exec_lo, exec_lo, s38
	s_and_saveexec_b32 s38, s95
	s_cbranch_execnz .LBB522_1170
.LBB522_1649:
	s_or_b32 exec_lo, exec_lo, s38
	s_and_saveexec_b32 s38, vcc_hi
	s_cbranch_execz .LBB522_1171
.LBB522_1650:
	v_mov_b32_e32 v112, 0x6667
	v_mul_i32_i24_sdwa v113, sext(v51), v112 dst_sel:DWORD dst_unused:UNUSED_PAD src0_sel:WORD_0 src1_sel:DWORD
	v_mul_i32_i24_sdwa v112, sext(v52), v112 dst_sel:DWORD dst_unused:UNUSED_PAD src0_sel:WORD_0 src1_sel:DWORD
	v_lshrrev_b32_e32 v114, 31, v113
	v_ashrrev_i32_e32 v113, 18, v113
	v_lshrrev_b32_e32 v115, 31, v112
	v_ashrrev_i32_e32 v112, 18, v112
	v_add_nc_u16 v113, v113, v114
	v_add_nc_u16 v112, v112, v115
	v_cmp_lt_i16_e64 s35, v113, v112
	v_cndmask_b32_e64 v112, v51, v52, s35
	v_cndmask_b32_e64 v52, v52, v51, s35
	v_mov_b32_e32 v51, v112
	s_or_b32 exec_lo, exec_lo, s38
	s_and_saveexec_b32 s38, s30
	s_cbranch_execnz .LBB522_1172
.LBB522_1651:
	s_or_b32 exec_lo, exec_lo, s38
	s_and_saveexec_b32 s38, s31
	s_cbranch_execz .LBB522_1173
.LBB522_1652:
	v_mov_b32_e32 v112, 0x6667
	v_mul_i32_i24_sdwa v113, sext(v48), v112 dst_sel:DWORD dst_unused:UNUSED_PAD src0_sel:WORD_0 src1_sel:DWORD
	v_mul_i32_i24_sdwa v112, sext(v49), v112 dst_sel:DWORD dst_unused:UNUSED_PAD src0_sel:WORD_0 src1_sel:DWORD
	v_lshrrev_b32_e32 v114, 31, v113
	v_ashrrev_i32_e32 v113, 18, v113
	v_lshrrev_b32_e32 v115, 31, v112
	v_ashrrev_i32_e32 v112, 18, v112
	v_add_nc_u16 v113, v113, v114
	v_add_nc_u16 v112, v112, v115
	v_cmp_lt_i16_e64 s35, v113, v112
	v_cndmask_b32_e64 v112, v49, v48, s35
	v_cndmask_b32_e64 v48, v48, v49, s35
	v_mov_b32_e32 v49, v112
	s_or_b32 exec_lo, exec_lo, s38
	s_and_saveexec_b32 s38, s34
	s_cbranch_execnz .LBB522_1174
.LBB522_1653:
	s_or_b32 exec_lo, exec_lo, s38
	s_and_saveexec_b32 s38, s8
	s_cbranch_execz .LBB522_1175
.LBB522_1654:
	v_mov_b32_e32 v112, 0x6667
	v_mul_i32_i24_sdwa v113, sext(v100), v112 dst_sel:DWORD dst_unused:UNUSED_PAD src0_sel:WORD_0 src1_sel:DWORD
	v_mul_i32_i24_sdwa v112, sext(v97), v112 dst_sel:DWORD dst_unused:UNUSED_PAD src0_sel:WORD_0 src1_sel:DWORD
	v_lshrrev_b32_e32 v114, 31, v113
	v_ashrrev_i32_e32 v113, 18, v113
	v_lshrrev_b32_e32 v115, 31, v112
	v_ashrrev_i32_e32 v112, 18, v112
	v_add_nc_u16 v113, v113, v114
	v_add_nc_u16 v112, v112, v115
	v_cmp_lt_i16_e64 s35, v113, v112
	v_cndmask_b32_e64 v112, v100, v97, s35
	v_cndmask_b32_e64 v97, v97, v100, s35
	v_mov_b32_e32 v100, v112
	s_or_b32 exec_lo, exec_lo, s38
	s_and_saveexec_b32 s38, s9
	s_cbranch_execnz .LBB522_1176
.LBB522_1655:
	s_or_b32 exec_lo, exec_lo, s38
	s_and_saveexec_b32 s38, s12
	s_cbranch_execz .LBB522_1177
.LBB522_1656:
	v_mov_b32_e32 v112, 0x6667
	v_mul_i32_i24_sdwa v113, sext(v87), v112 dst_sel:DWORD dst_unused:UNUSED_PAD src0_sel:WORD_0 src1_sel:DWORD
	v_mul_i32_i24_sdwa v112, sext(v96), v112 dst_sel:DWORD dst_unused:UNUSED_PAD src0_sel:WORD_0 src1_sel:DWORD
	v_lshrrev_b32_e32 v114, 31, v113
	v_ashrrev_i32_e32 v113, 18, v113
	v_lshrrev_b32_e32 v115, 31, v112
	v_ashrrev_i32_e32 v112, 18, v112
	v_add_nc_u16 v113, v113, v114
	v_add_nc_u16 v112, v112, v115
	v_cmp_lt_i16_e64 s35, v113, v112
	v_cndmask_b32_e64 v112, v87, v96, s35
	v_cndmask_b32_e64 v96, v96, v87, s35
	v_mov_b32_e32 v87, v112
	s_or_b32 exec_lo, exec_lo, s38
	s_and_saveexec_b32 s38, s13
	s_cbranch_execnz .LBB522_1178
.LBB522_1657:
	s_or_b32 exec_lo, exec_lo, s38
	s_and_saveexec_b32 s38, s57
	s_cbranch_execz .LBB522_1179
.LBB522_1658:
	v_mov_b32_e32 v112, 0x6667
	v_mul_i32_i24_sdwa v113, sext(v83), v112 dst_sel:DWORD dst_unused:UNUSED_PAD src0_sel:WORD_0 src1_sel:DWORD
	v_mul_i32_i24_sdwa v112, sext(v84), v112 dst_sel:DWORD dst_unused:UNUSED_PAD src0_sel:WORD_0 src1_sel:DWORD
	v_lshrrev_b32_e32 v114, 31, v113
	v_ashrrev_i32_e32 v113, 18, v113
	v_lshrrev_b32_e32 v115, 31, v112
	v_ashrrev_i32_e32 v112, 18, v112
	v_add_nc_u16 v113, v113, v114
	v_add_nc_u16 v112, v112, v115
	v_cmp_lt_i16_e64 s35, v113, v112
	v_cndmask_b32_e64 v112, v83, v84, s35
	v_cndmask_b32_e64 v84, v84, v83, s35
	v_mov_b32_e32 v83, v112
	s_or_b32 exec_lo, exec_lo, s38
	s_and_saveexec_b32 s38, s58
	s_cbranch_execnz .LBB522_1180
.LBB522_1659:
	s_or_b32 exec_lo, exec_lo, s38
	s_and_saveexec_b32 s38, s59
	s_cbranch_execz .LBB522_1181
.LBB522_1660:
	v_mov_b32_e32 v112, 0x6667
	v_mul_i32_i24_sdwa v113, sext(v71), v112 dst_sel:DWORD dst_unused:UNUSED_PAD src0_sel:WORD_0 src1_sel:DWORD
	v_mul_i32_i24_sdwa v112, sext(v80), v112 dst_sel:DWORD dst_unused:UNUSED_PAD src0_sel:WORD_0 src1_sel:DWORD
	v_lshrrev_b32_e32 v114, 31, v113
	v_ashrrev_i32_e32 v113, 18, v113
	v_lshrrev_b32_e32 v115, 31, v112
	v_ashrrev_i32_e32 v112, 18, v112
	v_add_nc_u16 v113, v113, v114
	v_add_nc_u16 v112, v112, v115
	v_cmp_lt_i16_e64 s35, v113, v112
	v_cndmask_b32_e64 v112, v71, v80, s35
	v_cndmask_b32_e64 v80, v80, v71, s35
	v_mov_b32_e32 v71, v112
	s_or_b32 exec_lo, exec_lo, s38
	s_and_saveexec_b32 s38, s60
	s_cbranch_execnz .LBB522_1182
.LBB522_1661:
	s_or_b32 exec_lo, exec_lo, s38
	s_and_saveexec_b32 s38, s61
	s_cbranch_execz .LBB522_1183
.LBB522_1662:
	v_mov_b32_e32 v112, 0x6667
	v_mul_i32_i24_sdwa v113, sext(v67), v112 dst_sel:DWORD dst_unused:UNUSED_PAD src0_sel:WORD_0 src1_sel:DWORD
	v_mul_i32_i24_sdwa v112, sext(v68), v112 dst_sel:DWORD dst_unused:UNUSED_PAD src0_sel:WORD_0 src1_sel:DWORD
	v_lshrrev_b32_e32 v114, 31, v113
	v_ashrrev_i32_e32 v113, 18, v113
	v_lshrrev_b32_e32 v115, 31, v112
	v_ashrrev_i32_e32 v112, 18, v112
	v_add_nc_u16 v113, v113, v114
	v_add_nc_u16 v112, v112, v115
	v_cmp_lt_i16_e64 s35, v113, v112
	v_cndmask_b32_e64 v112, v67, v68, s35
	v_cndmask_b32_e64 v68, v68, v67, s35
	v_mov_b32_e32 v67, v112
	s_or_b32 exec_lo, exec_lo, s38
	s_and_saveexec_b32 s38, s62
	s_cbranch_execnz .LBB522_1184
.LBB522_1663:
	s_or_b32 exec_lo, exec_lo, s38
	s_and_saveexec_b32 s38, s63
	s_cbranch_execz .LBB522_1185
.LBB522_1664:
	v_mov_b32_e32 v112, 0x6667
	v_mul_i32_i24_sdwa v113, sext(v55), v112 dst_sel:DWORD dst_unused:UNUSED_PAD src0_sel:WORD_0 src1_sel:DWORD
	v_mul_i32_i24_sdwa v112, sext(v64), v112 dst_sel:DWORD dst_unused:UNUSED_PAD src0_sel:WORD_0 src1_sel:DWORD
	v_lshrrev_b32_e32 v114, 31, v113
	v_ashrrev_i32_e32 v113, 18, v113
	v_lshrrev_b32_e32 v115, 31, v112
	v_ashrrev_i32_e32 v112, 18, v112
	v_add_nc_u16 v113, v113, v114
	v_add_nc_u16 v112, v112, v115
	v_cmp_lt_i16_e64 s35, v113, v112
	v_cndmask_b32_e64 v112, v55, v64, s35
	v_cndmask_b32_e64 v64, v64, v55, s35
	v_mov_b32_e32 v55, v112
	s_or_b32 exec_lo, exec_lo, s38
	s_and_saveexec_b32 s38, s72
	s_cbranch_execnz .LBB522_1186
.LBB522_1665:
	s_or_b32 exec_lo, exec_lo, s38
	s_and_saveexec_b32 s38, s73
	s_cbranch_execz .LBB522_1187
.LBB522_1666:
	v_mov_b32_e32 v112, 0x6667
	v_mul_i32_i24_sdwa v113, sext(v54), v112 dst_sel:DWORD dst_unused:UNUSED_PAD src0_sel:WORD_0 src1_sel:DWORD
	v_mul_i32_i24_sdwa v112, sext(v51), v112 dst_sel:DWORD dst_unused:UNUSED_PAD src0_sel:WORD_0 src1_sel:DWORD
	v_lshrrev_b32_e32 v114, 31, v113
	v_ashrrev_i32_e32 v113, 18, v113
	v_lshrrev_b32_e32 v115, 31, v112
	v_ashrrev_i32_e32 v112, 18, v112
	v_add_nc_u16 v113, v113, v114
	v_add_nc_u16 v112, v112, v115
	v_cmp_lt_i16_e64 s35, v113, v112
	v_cndmask_b32_e64 v112, v54, v51, s35
	v_cndmask_b32_e64 v51, v51, v54, s35
	v_mov_b32_e32 v54, v112
	s_or_b32 exec_lo, exec_lo, s38
	s_and_saveexec_b32 s38, s74
	s_cbranch_execnz .LBB522_1188
.LBB522_1667:
	s_or_b32 exec_lo, exec_lo, s38
	s_and_saveexec_b32 s38, s75
	s_cbranch_execz .LBB522_1189
.LBB522_1668:
	v_mov_b32_e32 v112, 0x6667
	v_mul_i32_i24_sdwa v113, sext(v39), v112 dst_sel:DWORD dst_unused:UNUSED_PAD src0_sel:WORD_0 src1_sel:DWORD
	v_mul_i32_i24_sdwa v112, sext(v48), v112 dst_sel:DWORD dst_unused:UNUSED_PAD src0_sel:WORD_0 src1_sel:DWORD
	v_lshrrev_b32_e32 v114, 31, v113
	v_ashrrev_i32_e32 v113, 18, v113
	v_lshrrev_b32_e32 v115, 31, v112
	v_ashrrev_i32_e32 v112, 18, v112
	v_add_nc_u16 v113, v113, v114
	v_add_nc_u16 v112, v112, v115
	v_cmp_lt_i16_e64 s35, v113, v112
	v_cndmask_b32_e64 v112, v48, v39, s35
	v_cndmask_b32_e64 v39, v39, v48, s35
	v_mov_b32_e32 v48, v112
	s_or_b32 exec_lo, exec_lo, s38
	s_and_saveexec_b32 s38, s76
	s_cbranch_execnz .LBB522_1190
.LBB522_1669:
	s_or_b32 exec_lo, exec_lo, s38
	s_and_saveexec_b32 s38, s77
	s_cbranch_execz .LBB522_1191
.LBB522_1670:
	v_mov_b32_e32 v112, 0x6667
	v_mul_i32_i24_sdwa v113, sext(v99), v112 dst_sel:DWORD dst_unused:UNUSED_PAD src0_sel:WORD_0 src1_sel:DWORD
	v_mul_i32_i24_sdwa v112, sext(v100), v112 dst_sel:DWORD dst_unused:UNUSED_PAD src0_sel:WORD_0 src1_sel:DWORD
	v_lshrrev_b32_e32 v114, 31, v113
	v_ashrrev_i32_e32 v113, 18, v113
	v_lshrrev_b32_e32 v115, 31, v112
	v_ashrrev_i32_e32 v112, 18, v112
	v_add_nc_u16 v113, v113, v114
	v_add_nc_u16 v112, v112, v115
	v_cmp_lt_i16_e64 s35, v113, v112
	v_cndmask_b32_e64 v112, v99, v100, s35
	v_cndmask_b32_e64 v100, v100, v99, s35
	v_mov_b32_e32 v99, v112
	s_or_b32 exec_lo, exec_lo, s38
	s_and_saveexec_b32 s38, s78
	s_cbranch_execnz .LBB522_1192
.LBB522_1671:
	s_or_b32 exec_lo, exec_lo, s38
	s_and_saveexec_b32 s38, s79
	s_cbranch_execz .LBB522_1193
.LBB522_1672:
	v_mov_b32_e32 v112, 0x6667
	v_mul_i32_i24_sdwa v113, sext(v86), v112 dst_sel:DWORD dst_unused:UNUSED_PAD src0_sel:WORD_0 src1_sel:DWORD
	v_mul_i32_i24_sdwa v112, sext(v87), v112 dst_sel:DWORD dst_unused:UNUSED_PAD src0_sel:WORD_0 src1_sel:DWORD
	v_lshrrev_b32_e32 v114, 31, v113
	v_ashrrev_i32_e32 v113, 18, v113
	v_lshrrev_b32_e32 v115, 31, v112
	v_ashrrev_i32_e32 v112, 18, v112
	v_add_nc_u16 v113, v113, v114
	v_add_nc_u16 v112, v112, v115
	v_cmp_lt_i16_e64 s35, v113, v112
	v_cndmask_b32_e64 v112, v86, v87, s35
	v_cndmask_b32_e64 v87, v87, v86, s35
	v_mov_b32_e32 v86, v112
	s_or_b32 exec_lo, exec_lo, s38
	s_and_saveexec_b32 s38, s88
	s_cbranch_execnz .LBB522_1194
.LBB522_1673:
	s_or_b32 exec_lo, exec_lo, s38
	s_and_saveexec_b32 s38, s89
	s_cbranch_execz .LBB522_1195
.LBB522_1674:
	v_mov_b32_e32 v112, 0x6667
	v_mul_i32_i24_sdwa v113, sext(v82), v112 dst_sel:DWORD dst_unused:UNUSED_PAD src0_sel:WORD_0 src1_sel:DWORD
	v_mul_i32_i24_sdwa v112, sext(v83), v112 dst_sel:DWORD dst_unused:UNUSED_PAD src0_sel:WORD_0 src1_sel:DWORD
	v_lshrrev_b32_e32 v114, 31, v113
	v_ashrrev_i32_e32 v113, 18, v113
	v_lshrrev_b32_e32 v115, 31, v112
	v_ashrrev_i32_e32 v112, 18, v112
	v_add_nc_u16 v113, v113, v114
	v_add_nc_u16 v112, v112, v115
	v_cmp_lt_i16_e64 s35, v113, v112
	v_cndmask_b32_e64 v112, v82, v83, s35
	v_cndmask_b32_e64 v83, v83, v82, s35
	v_mov_b32_e32 v82, v112
	s_or_b32 exec_lo, exec_lo, s38
	s_and_saveexec_b32 s38, s90
	s_cbranch_execnz .LBB522_1196
.LBB522_1675:
	s_or_b32 exec_lo, exec_lo, s38
	s_and_saveexec_b32 s38, s91
	s_cbranch_execz .LBB522_1197
.LBB522_1676:
	v_mov_b32_e32 v112, 0x6667
	v_mul_i32_i24_sdwa v113, sext(v70), v112 dst_sel:DWORD dst_unused:UNUSED_PAD src0_sel:WORD_0 src1_sel:DWORD
	v_mul_i32_i24_sdwa v112, sext(v71), v112 dst_sel:DWORD dst_unused:UNUSED_PAD src0_sel:WORD_0 src1_sel:DWORD
	v_lshrrev_b32_e32 v114, 31, v113
	v_ashrrev_i32_e32 v113, 18, v113
	v_lshrrev_b32_e32 v115, 31, v112
	v_ashrrev_i32_e32 v112, 18, v112
	v_add_nc_u16 v113, v113, v114
	v_add_nc_u16 v112, v112, v115
	v_cmp_lt_i16_e64 s35, v113, v112
	v_cndmask_b32_e64 v112, v70, v71, s35
	v_cndmask_b32_e64 v71, v71, v70, s35
	v_mov_b32_e32 v70, v112
	s_or_b32 exec_lo, exec_lo, s38
	s_and_saveexec_b32 s38, s92
	s_cbranch_execnz .LBB522_1198
.LBB522_1677:
	s_or_b32 exec_lo, exec_lo, s38
	s_and_saveexec_b32 s38, s93
	s_cbranch_execz .LBB522_1199
.LBB522_1678:
	v_mov_b32_e32 v112, 0x6667
	v_mul_i32_i24_sdwa v113, sext(v66), v112 dst_sel:DWORD dst_unused:UNUSED_PAD src0_sel:WORD_0 src1_sel:DWORD
	v_mul_i32_i24_sdwa v112, sext(v67), v112 dst_sel:DWORD dst_unused:UNUSED_PAD src0_sel:WORD_0 src1_sel:DWORD
	v_lshrrev_b32_e32 v114, 31, v113
	v_ashrrev_i32_e32 v113, 18, v113
	v_lshrrev_b32_e32 v115, 31, v112
	v_ashrrev_i32_e32 v112, 18, v112
	v_add_nc_u16 v113, v113, v114
	v_add_nc_u16 v112, v112, v115
	v_cmp_lt_i16_e64 s35, v113, v112
	v_cndmask_b32_e64 v112, v66, v67, s35
	v_cndmask_b32_e64 v67, v67, v66, s35
	v_mov_b32_e32 v66, v112
	s_or_b32 exec_lo, exec_lo, s38
	s_and_saveexec_b32 s38, s94
	s_cbranch_execnz .LBB522_1200
.LBB522_1679:
	s_or_b32 exec_lo, exec_lo, s38
	s_and_saveexec_b32 s38, s95
	s_cbranch_execz .LBB522_1201
.LBB522_1680:
	v_mov_b32_e32 v112, 0x6667
	v_mul_i32_i24_sdwa v113, sext(v53), v112 dst_sel:DWORD dst_unused:UNUSED_PAD src0_sel:WORD_0 src1_sel:DWORD
	v_mul_i32_i24_sdwa v112, sext(v55), v112 dst_sel:DWORD dst_unused:UNUSED_PAD src0_sel:WORD_0 src1_sel:DWORD
	v_lshrrev_b32_e32 v114, 31, v113
	v_ashrrev_i32_e32 v113, 18, v113
	v_lshrrev_b32_e32 v115, 31, v112
	v_ashrrev_i32_e32 v112, 18, v112
	v_add_nc_u16 v113, v113, v114
	v_add_nc_u16 v112, v112, v115
	v_cmp_lt_i16_e64 s35, v113, v112
	v_cndmask_b32_e64 v112, v53, v55, s35
	v_cndmask_b32_e64 v55, v55, v53, s35
	v_mov_b32_e32 v53, v112
	s_or_b32 exec_lo, exec_lo, s38
	s_and_saveexec_b32 s38, vcc_hi
	s_cbranch_execnz .LBB522_1202
.LBB522_1681:
	s_or_b32 exec_lo, exec_lo, s38
	s_and_saveexec_b32 s38, s30
	s_cbranch_execz .LBB522_1203
.LBB522_1682:
	v_mov_b32_e32 v112, 0x6667
	v_mul_i32_i24_sdwa v113, sext(v50), v112 dst_sel:DWORD dst_unused:UNUSED_PAD src0_sel:WORD_0 src1_sel:DWORD
	v_mul_i32_i24_sdwa v112, sext(v54), v112 dst_sel:DWORD dst_unused:UNUSED_PAD src0_sel:WORD_0 src1_sel:DWORD
	v_lshrrev_b32_e32 v114, 31, v113
	v_ashrrev_i32_e32 v113, 18, v113
	v_lshrrev_b32_e32 v115, 31, v112
	v_ashrrev_i32_e32 v112, 18, v112
	v_add_nc_u16 v113, v113, v114
	v_add_nc_u16 v112, v112, v115
	v_cmp_lt_i16_e64 s35, v113, v112
	v_cndmask_b32_e64 v112, v54, v50, s35
	v_cndmask_b32_e64 v50, v50, v54, s35
	v_mov_b32_e32 v54, v112
	s_or_b32 exec_lo, exec_lo, s38
	s_and_saveexec_b32 s38, s31
	s_cbranch_execnz .LBB522_1204
.LBB522_1683:
	s_or_b32 exec_lo, exec_lo, s38
	s_and_saveexec_b32 s38, s34
	s_cbranch_execz .LBB522_1205
.LBB522_1684:
	v_mov_b32_e32 v112, 0x6667
	v_mul_i32_i24_sdwa v113, sext(v101), v112 dst_sel:DWORD dst_unused:UNUSED_PAD src0_sel:WORD_0 src1_sel:DWORD
	v_mul_i32_i24_sdwa v112, sext(v39), v112 dst_sel:DWORD dst_unused:UNUSED_PAD src0_sel:WORD_0 src1_sel:DWORD
	v_lshrrev_b32_e32 v114, 31, v113
	v_ashrrev_i32_e32 v113, 18, v113
	v_lshrrev_b32_e32 v115, 31, v112
	v_ashrrev_i32_e32 v112, 18, v112
	v_add_nc_u16 v113, v113, v114
	v_add_nc_u16 v112, v112, v115
	v_cmp_lt_i16_e64 s35, v113, v112
	v_cndmask_b32_e64 v112, v39, v101, s35
	v_cndmask_b32_e64 v101, v101, v39, s35
	v_mov_b32_e32 v39, v112
	s_or_b32 exec_lo, exec_lo, s38
	s_and_saveexec_b32 s38, s8
	s_cbranch_execnz .LBB522_1206
.LBB522_1685:
	s_or_b32 exec_lo, exec_lo, s38
	s_and_saveexec_b32 s38, s9
	s_cbranch_execz .LBB522_1207
.LBB522_1686:
	v_mov_b32_e32 v112, 0x6667
	v_mul_i32_i24_sdwa v113, sext(v98), v112 dst_sel:DWORD dst_unused:UNUSED_PAD src0_sel:WORD_0 src1_sel:DWORD
	v_mul_i32_i24_sdwa v112, sext(v99), v112 dst_sel:DWORD dst_unused:UNUSED_PAD src0_sel:WORD_0 src1_sel:DWORD
	v_lshrrev_b32_e32 v114, 31, v113
	v_ashrrev_i32_e32 v113, 18, v113
	v_lshrrev_b32_e32 v115, 31, v112
	v_ashrrev_i32_e32 v112, 18, v112
	v_add_nc_u16 v113, v113, v114
	v_add_nc_u16 v112, v112, v115
	v_cmp_lt_i16_e64 s35, v113, v112
	v_cndmask_b32_e64 v112, v98, v99, s35
	v_cndmask_b32_e64 v99, v99, v98, s35
	v_mov_b32_e32 v98, v112
	s_or_b32 exec_lo, exec_lo, s38
	s_and_saveexec_b32 s38, s12
	s_cbranch_execnz .LBB522_1208
.LBB522_1687:
	s_or_b32 exec_lo, exec_lo, s38
	s_and_saveexec_b32 s38, s13
	s_cbranch_execz .LBB522_1209
.LBB522_1688:
	v_mov_b32_e32 v112, 0x6667
	v_mul_i32_i24_sdwa v113, sext(v85), v112 dst_sel:DWORD dst_unused:UNUSED_PAD src0_sel:WORD_0 src1_sel:DWORD
	v_mul_i32_i24_sdwa v112, sext(v86), v112 dst_sel:DWORD dst_unused:UNUSED_PAD src0_sel:WORD_0 src1_sel:DWORD
	v_lshrrev_b32_e32 v114, 31, v113
	v_ashrrev_i32_e32 v113, 18, v113
	v_lshrrev_b32_e32 v115, 31, v112
	v_ashrrev_i32_e32 v112, 18, v112
	v_add_nc_u16 v113, v113, v114
	v_add_nc_u16 v112, v112, v115
	v_cmp_lt_i16_e64 s35, v113, v112
	v_cndmask_b32_e64 v112, v85, v86, s35
	v_cndmask_b32_e64 v86, v86, v85, s35
	v_mov_b32_e32 v85, v112
	s_or_b32 exec_lo, exec_lo, s38
	s_and_saveexec_b32 s38, s57
	s_cbranch_execnz .LBB522_1210
.LBB522_1689:
	s_or_b32 exec_lo, exec_lo, s38
	s_and_saveexec_b32 s38, s58
	s_cbranch_execz .LBB522_1211
.LBB522_1690:
	v_mov_b32_e32 v112, 0x6667
	v_mul_i32_i24_sdwa v113, sext(v81), v112 dst_sel:DWORD dst_unused:UNUSED_PAD src0_sel:WORD_0 src1_sel:DWORD
	v_mul_i32_i24_sdwa v112, sext(v82), v112 dst_sel:DWORD dst_unused:UNUSED_PAD src0_sel:WORD_0 src1_sel:DWORD
	v_lshrrev_b32_e32 v114, 31, v113
	v_ashrrev_i32_e32 v113, 18, v113
	v_lshrrev_b32_e32 v115, 31, v112
	v_ashrrev_i32_e32 v112, 18, v112
	v_add_nc_u16 v113, v113, v114
	v_add_nc_u16 v112, v112, v115
	v_cmp_lt_i16_e64 s35, v113, v112
	v_cndmask_b32_e64 v112, v81, v82, s35
	v_cndmask_b32_e64 v82, v82, v81, s35
	v_mov_b32_e32 v81, v112
	s_or_b32 exec_lo, exec_lo, s38
	s_and_saveexec_b32 s38, s59
	s_cbranch_execnz .LBB522_1212
.LBB522_1691:
	s_or_b32 exec_lo, exec_lo, s38
	s_and_saveexec_b32 s38, s60
	s_cbranch_execz .LBB522_1213
.LBB522_1692:
	v_mov_b32_e32 v112, 0x6667
	v_mul_i32_i24_sdwa v113, sext(v69), v112 dst_sel:DWORD dst_unused:UNUSED_PAD src0_sel:WORD_0 src1_sel:DWORD
	v_mul_i32_i24_sdwa v112, sext(v70), v112 dst_sel:DWORD dst_unused:UNUSED_PAD src0_sel:WORD_0 src1_sel:DWORD
	v_lshrrev_b32_e32 v114, 31, v113
	v_ashrrev_i32_e32 v113, 18, v113
	v_lshrrev_b32_e32 v115, 31, v112
	v_ashrrev_i32_e32 v112, 18, v112
	v_add_nc_u16 v113, v113, v114
	v_add_nc_u16 v112, v112, v115
	v_cmp_lt_i16_e64 s35, v113, v112
	v_cndmask_b32_e64 v112, v69, v70, s35
	v_cndmask_b32_e64 v70, v70, v69, s35
	v_mov_b32_e32 v69, v112
	s_or_b32 exec_lo, exec_lo, s38
	s_and_saveexec_b32 s38, s61
	s_cbranch_execnz .LBB522_1214
.LBB522_1693:
	s_or_b32 exec_lo, exec_lo, s38
	s_and_saveexec_b32 s38, s62
	s_cbranch_execz .LBB522_1215
.LBB522_1694:
	v_mov_b32_e32 v112, 0x6667
	v_mul_i32_i24_sdwa v113, sext(v65), v112 dst_sel:DWORD dst_unused:UNUSED_PAD src0_sel:WORD_0 src1_sel:DWORD
	v_mul_i32_i24_sdwa v112, sext(v66), v112 dst_sel:DWORD dst_unused:UNUSED_PAD src0_sel:WORD_0 src1_sel:DWORD
	v_lshrrev_b32_e32 v114, 31, v113
	v_ashrrev_i32_e32 v113, 18, v113
	v_lshrrev_b32_e32 v115, 31, v112
	v_ashrrev_i32_e32 v112, 18, v112
	v_add_nc_u16 v113, v113, v114
	v_add_nc_u16 v112, v112, v115
	v_cmp_lt_i16_e64 s35, v113, v112
	v_cndmask_b32_e64 v112, v65, v66, s35
	v_cndmask_b32_e64 v66, v66, v65, s35
	v_mov_b32_e32 v65, v112
	s_or_b32 exec_lo, exec_lo, s38
	s_and_saveexec_b32 s38, s63
	s_cbranch_execnz .LBB522_1216
.LBB522_1695:
	s_or_b32 exec_lo, exec_lo, s38
	s_and_saveexec_b32 s38, s72
	s_cbranch_execz .LBB522_1217
.LBB522_1696:
	v_mov_b32_e32 v112, 0x6667
	v_mul_i32_i24_sdwa v113, sext(v52), v112 dst_sel:DWORD dst_unused:UNUSED_PAD src0_sel:WORD_0 src1_sel:DWORD
	v_mul_i32_i24_sdwa v112, sext(v53), v112 dst_sel:DWORD dst_unused:UNUSED_PAD src0_sel:WORD_0 src1_sel:DWORD
	v_lshrrev_b32_e32 v114, 31, v113
	v_ashrrev_i32_e32 v113, 18, v113
	v_lshrrev_b32_e32 v115, 31, v112
	v_ashrrev_i32_e32 v112, 18, v112
	v_add_nc_u16 v113, v113, v114
	v_add_nc_u16 v112, v112, v115
	v_cmp_lt_i16_e64 s35, v113, v112
	v_cndmask_b32_e64 v112, v52, v53, s35
	v_cndmask_b32_e64 v53, v53, v52, s35
	v_mov_b32_e32 v52, v112
	s_or_b32 exec_lo, exec_lo, s38
	s_and_saveexec_b32 s38, s73
	s_cbranch_execnz .LBB522_1218
.LBB522_1697:
	s_or_b32 exec_lo, exec_lo, s38
	s_and_saveexec_b32 s38, s74
	s_cbranch_execz .LBB522_1219
.LBB522_1698:
	v_mov_b32_e32 v112, 0x6667
	v_mul_i32_i24_sdwa v113, sext(v49), v112 dst_sel:DWORD dst_unused:UNUSED_PAD src0_sel:WORD_0 src1_sel:DWORD
	v_mul_i32_i24_sdwa v112, sext(v50), v112 dst_sel:DWORD dst_unused:UNUSED_PAD src0_sel:WORD_0 src1_sel:DWORD
	v_lshrrev_b32_e32 v114, 31, v113
	v_ashrrev_i32_e32 v113, 18, v113
	v_lshrrev_b32_e32 v115, 31, v112
	v_ashrrev_i32_e32 v112, 18, v112
	v_add_nc_u16 v113, v113, v114
	v_add_nc_u16 v112, v112, v115
	v_cmp_lt_i16_e64 s35, v113, v112
	v_cndmask_b32_e64 v112, v50, v49, s35
	v_cndmask_b32_e64 v49, v49, v50, s35
	v_mov_b32_e32 v50, v112
	s_or_b32 exec_lo, exec_lo, s38
	s_and_saveexec_b32 s38, s75
	s_cbranch_execnz .LBB522_1220
.LBB522_1699:
	s_or_b32 exec_lo, exec_lo, s38
	s_and_saveexec_b32 s38, s76
	s_cbranch_execz .LBB522_1221
.LBB522_1700:
	v_mov_b32_e32 v112, 0x6667
	v_mul_i32_i24_sdwa v113, sext(v38), v112 dst_sel:DWORD dst_unused:UNUSED_PAD src0_sel:WORD_0 src1_sel:DWORD
	v_mul_i32_i24_sdwa v112, sext(v101), v112 dst_sel:DWORD dst_unused:UNUSED_PAD src0_sel:WORD_0 src1_sel:DWORD
	v_lshrrev_b32_e32 v114, 31, v113
	v_ashrrev_i32_e32 v113, 18, v113
	v_lshrrev_b32_e32 v115, 31, v112
	v_ashrrev_i32_e32 v112, 18, v112
	v_add_nc_u16 v113, v113, v114
	v_add_nc_u16 v112, v112, v115
	v_cmp_lt_i16_e64 s35, v113, v112
	v_cndmask_b32_e64 v112, v101, v38, s35
	v_cndmask_b32_e64 v38, v38, v101, s35
	v_mov_b32_e32 v101, v112
	s_or_b32 exec_lo, exec_lo, s38
	s_and_saveexec_b32 s38, s77
	s_cbranch_execnz .LBB522_1222
.LBB522_1701:
	s_or_b32 exec_lo, exec_lo, s38
	s_and_saveexec_b32 s38, s78
	s_cbranch_execz .LBB522_1223
.LBB522_1702:
	v_mov_b32_e32 v112, 0x6667
	v_mul_i32_i24_sdwa v113, sext(v96), v112 dst_sel:DWORD dst_unused:UNUSED_PAD src0_sel:WORD_0 src1_sel:DWORD
	v_mul_i32_i24_sdwa v112, sext(v98), v112 dst_sel:DWORD dst_unused:UNUSED_PAD src0_sel:WORD_0 src1_sel:DWORD
	v_lshrrev_b32_e32 v114, 31, v113
	v_ashrrev_i32_e32 v113, 18, v113
	v_lshrrev_b32_e32 v115, 31, v112
	v_ashrrev_i32_e32 v112, 18, v112
	v_add_nc_u16 v113, v113, v114
	v_add_nc_u16 v112, v112, v115
	v_cmp_lt_i16_e64 s35, v113, v112
	v_cndmask_b32_e64 v112, v96, v98, s35
	v_cndmask_b32_e64 v98, v98, v96, s35
	v_mov_b32_e32 v96, v112
	s_or_b32 exec_lo, exec_lo, s38
	s_and_saveexec_b32 s38, s79
	s_cbranch_execnz .LBB522_1224
.LBB522_1703:
	s_or_b32 exec_lo, exec_lo, s38
	s_and_saveexec_b32 s38, s88
	s_cbranch_execz .LBB522_1225
.LBB522_1704:
	v_mov_b32_e32 v112, 0x6667
	v_mul_i32_i24_sdwa v113, sext(v84), v112 dst_sel:DWORD dst_unused:UNUSED_PAD src0_sel:WORD_0 src1_sel:DWORD
	v_mul_i32_i24_sdwa v112, sext(v85), v112 dst_sel:DWORD dst_unused:UNUSED_PAD src0_sel:WORD_0 src1_sel:DWORD
	v_lshrrev_b32_e32 v114, 31, v113
	v_ashrrev_i32_e32 v113, 18, v113
	v_lshrrev_b32_e32 v115, 31, v112
	v_ashrrev_i32_e32 v112, 18, v112
	v_add_nc_u16 v113, v113, v114
	v_add_nc_u16 v112, v112, v115
	v_cmp_lt_i16_e64 s35, v113, v112
	v_cndmask_b32_e64 v112, v84, v85, s35
	v_cndmask_b32_e64 v85, v85, v84, s35
	v_mov_b32_e32 v84, v112
	s_or_b32 exec_lo, exec_lo, s38
	s_and_saveexec_b32 s38, s89
	s_cbranch_execnz .LBB522_1226
.LBB522_1705:
	s_or_b32 exec_lo, exec_lo, s38
	s_and_saveexec_b32 s38, s90
	s_cbranch_execz .LBB522_1227
.LBB522_1706:
	v_mov_b32_e32 v112, 0x6667
	v_mul_i32_i24_sdwa v113, sext(v80), v112 dst_sel:DWORD dst_unused:UNUSED_PAD src0_sel:WORD_0 src1_sel:DWORD
	v_mul_i32_i24_sdwa v112, sext(v81), v112 dst_sel:DWORD dst_unused:UNUSED_PAD src0_sel:WORD_0 src1_sel:DWORD
	v_lshrrev_b32_e32 v114, 31, v113
	v_ashrrev_i32_e32 v113, 18, v113
	v_lshrrev_b32_e32 v115, 31, v112
	v_ashrrev_i32_e32 v112, 18, v112
	v_add_nc_u16 v113, v113, v114
	v_add_nc_u16 v112, v112, v115
	v_cmp_lt_i16_e64 s35, v113, v112
	v_cndmask_b32_e64 v112, v80, v81, s35
	v_cndmask_b32_e64 v81, v81, v80, s35
	v_mov_b32_e32 v80, v112
	s_or_b32 exec_lo, exec_lo, s38
	s_and_saveexec_b32 s38, s91
	s_cbranch_execnz .LBB522_1228
.LBB522_1707:
	s_or_b32 exec_lo, exec_lo, s38
	s_and_saveexec_b32 s38, s92
	s_cbranch_execz .LBB522_1229
.LBB522_1708:
	v_mov_b32_e32 v112, 0x6667
	v_mul_i32_i24_sdwa v113, sext(v68), v112 dst_sel:DWORD dst_unused:UNUSED_PAD src0_sel:WORD_0 src1_sel:DWORD
	v_mul_i32_i24_sdwa v112, sext(v69), v112 dst_sel:DWORD dst_unused:UNUSED_PAD src0_sel:WORD_0 src1_sel:DWORD
	v_lshrrev_b32_e32 v114, 31, v113
	v_ashrrev_i32_e32 v113, 18, v113
	v_lshrrev_b32_e32 v115, 31, v112
	v_ashrrev_i32_e32 v112, 18, v112
	v_add_nc_u16 v113, v113, v114
	v_add_nc_u16 v112, v112, v115
	v_cmp_lt_i16_e64 s35, v113, v112
	v_cndmask_b32_e64 v112, v68, v69, s35
	v_cndmask_b32_e64 v69, v69, v68, s35
	v_mov_b32_e32 v68, v112
	s_or_b32 exec_lo, exec_lo, s38
	s_and_saveexec_b32 s38, s93
	s_cbranch_execnz .LBB522_1230
.LBB522_1709:
	s_or_b32 exec_lo, exec_lo, s38
	s_and_saveexec_b32 s38, s94
	s_cbranch_execz .LBB522_1231
.LBB522_1710:
	v_mov_b32_e32 v112, 0x6667
	v_mul_i32_i24_sdwa v113, sext(v64), v112 dst_sel:DWORD dst_unused:UNUSED_PAD src0_sel:WORD_0 src1_sel:DWORD
	v_mul_i32_i24_sdwa v112, sext(v65), v112 dst_sel:DWORD dst_unused:UNUSED_PAD src0_sel:WORD_0 src1_sel:DWORD
	v_lshrrev_b32_e32 v114, 31, v113
	v_ashrrev_i32_e32 v113, 18, v113
	v_lshrrev_b32_e32 v115, 31, v112
	v_ashrrev_i32_e32 v112, 18, v112
	v_add_nc_u16 v113, v113, v114
	v_add_nc_u16 v112, v112, v115
	v_cmp_lt_i16_e64 s35, v113, v112
	v_cndmask_b32_e64 v112, v64, v65, s35
	v_cndmask_b32_e64 v65, v65, v64, s35
	v_mov_b32_e32 v64, v112
	s_or_b32 exec_lo, exec_lo, s38
	s_and_saveexec_b32 s38, s95
	s_cbranch_execnz .LBB522_1232
.LBB522_1711:
	s_or_b32 exec_lo, exec_lo, s38
	s_and_saveexec_b32 s38, vcc_hi
	s_cbranch_execz .LBB522_1233
.LBB522_1712:
	v_mov_b32_e32 v112, 0x6667
	v_mul_i32_i24_sdwa v113, sext(v51), v112 dst_sel:DWORD dst_unused:UNUSED_PAD src0_sel:WORD_0 src1_sel:DWORD
	v_mul_i32_i24_sdwa v112, sext(v52), v112 dst_sel:DWORD dst_unused:UNUSED_PAD src0_sel:WORD_0 src1_sel:DWORD
	v_lshrrev_b32_e32 v114, 31, v113
	v_ashrrev_i32_e32 v113, 18, v113
	v_lshrrev_b32_e32 v115, 31, v112
	v_ashrrev_i32_e32 v112, 18, v112
	v_add_nc_u16 v113, v113, v114
	v_add_nc_u16 v112, v112, v115
	v_cmp_lt_i16_e64 s35, v113, v112
	v_cndmask_b32_e64 v112, v51, v52, s35
	v_cndmask_b32_e64 v52, v52, v51, s35
	v_mov_b32_e32 v51, v112
	s_or_b32 exec_lo, exec_lo, s38
	s_and_saveexec_b32 s38, s30
	s_cbranch_execnz .LBB522_1234
.LBB522_1713:
	s_or_b32 exec_lo, exec_lo, s38
	s_and_saveexec_b32 s38, s31
	s_cbranch_execz .LBB522_1235
.LBB522_1714:
	v_mov_b32_e32 v112, 0x6667
	v_mul_i32_i24_sdwa v113, sext(v48), v112 dst_sel:DWORD dst_unused:UNUSED_PAD src0_sel:WORD_0 src1_sel:DWORD
	v_mul_i32_i24_sdwa v112, sext(v49), v112 dst_sel:DWORD dst_unused:UNUSED_PAD src0_sel:WORD_0 src1_sel:DWORD
	v_lshrrev_b32_e32 v114, 31, v113
	v_ashrrev_i32_e32 v113, 18, v113
	v_lshrrev_b32_e32 v115, 31, v112
	v_ashrrev_i32_e32 v112, 18, v112
	v_add_nc_u16 v113, v113, v114
	v_add_nc_u16 v112, v112, v115
	v_cmp_lt_i16_e64 s35, v113, v112
	v_cndmask_b32_e64 v112, v49, v48, s35
	v_cndmask_b32_e64 v48, v48, v49, s35
	v_mov_b32_e32 v49, v112
	s_or_b32 exec_lo, exec_lo, s38
	s_and_saveexec_b32 s38, s34
	s_cbranch_execnz .LBB522_1236
.LBB522_1715:
	s_or_b32 exec_lo, exec_lo, s38
	s_and_saveexec_b32 s35, s8
	s_cbranch_execz .LBB522_1237
.LBB522_1716:
	v_mov_b32_e32 v112, 0x6667
	v_mul_i32_i24_sdwa v113, sext(v100), v112 dst_sel:DWORD dst_unused:UNUSED_PAD src0_sel:WORD_0 src1_sel:DWORD
	v_mul_i32_i24_sdwa v112, sext(v97), v112 dst_sel:DWORD dst_unused:UNUSED_PAD src0_sel:WORD_0 src1_sel:DWORD
	v_lshrrev_b32_e32 v114, 31, v113
	v_ashrrev_i32_e32 v113, 18, v113
	v_lshrrev_b32_e32 v115, 31, v112
	v_ashrrev_i32_e32 v112, 18, v112
	v_add_nc_u16 v113, v113, v114
	v_add_nc_u16 v112, v112, v115
	v_cmp_lt_i16_e64 s8, v113, v112
	v_cndmask_b32_e64 v112, v100, v97, s8
	v_cndmask_b32_e64 v97, v97, v100, s8
	v_mov_b32_e32 v100, v112
	s_or_b32 exec_lo, exec_lo, s35
	s_and_saveexec_b32 s35, s9
	s_cbranch_execnz .LBB522_1238
.LBB522_1717:
	s_or_b32 exec_lo, exec_lo, s35
	s_and_saveexec_b32 s9, s12
	s_cbranch_execz .LBB522_1239
.LBB522_1718:
	v_mov_b32_e32 v112, 0x6667
	v_mul_i32_i24_sdwa v113, sext(v87), v112 dst_sel:DWORD dst_unused:UNUSED_PAD src0_sel:WORD_0 src1_sel:DWORD
	v_mul_i32_i24_sdwa v112, sext(v96), v112 dst_sel:DWORD dst_unused:UNUSED_PAD src0_sel:WORD_0 src1_sel:DWORD
	v_lshrrev_b32_e32 v114, 31, v113
	v_ashrrev_i32_e32 v113, 18, v113
	v_lshrrev_b32_e32 v115, 31, v112
	v_ashrrev_i32_e32 v112, 18, v112
	v_add_nc_u16 v113, v113, v114
	v_add_nc_u16 v112, v112, v115
	v_cmp_lt_i16_e64 s8, v113, v112
	v_cndmask_b32_e64 v112, v87, v96, s8
	v_cndmask_b32_e64 v96, v96, v87, s8
	v_mov_b32_e32 v87, v112
	s_or_b32 exec_lo, exec_lo, s9
	s_and_saveexec_b32 s9, s13
	s_cbranch_execnz .LBB522_1240
.LBB522_1719:
	s_or_b32 exec_lo, exec_lo, s9
	s_and_saveexec_b32 s9, s57
	s_cbranch_execz .LBB522_1241
.LBB522_1720:
	v_mov_b32_e32 v112, 0x6667
	v_mul_i32_i24_sdwa v113, sext(v83), v112 dst_sel:DWORD dst_unused:UNUSED_PAD src0_sel:WORD_0 src1_sel:DWORD
	v_mul_i32_i24_sdwa v112, sext(v84), v112 dst_sel:DWORD dst_unused:UNUSED_PAD src0_sel:WORD_0 src1_sel:DWORD
	v_lshrrev_b32_e32 v114, 31, v113
	v_ashrrev_i32_e32 v113, 18, v113
	v_lshrrev_b32_e32 v115, 31, v112
	v_ashrrev_i32_e32 v112, 18, v112
	v_add_nc_u16 v113, v113, v114
	v_add_nc_u16 v112, v112, v115
	v_cmp_lt_i16_e64 s8, v113, v112
	v_cndmask_b32_e64 v112, v83, v84, s8
	v_cndmask_b32_e64 v84, v84, v83, s8
	v_mov_b32_e32 v83, v112
	s_or_b32 exec_lo, exec_lo, s9
	s_and_saveexec_b32 s9, s58
	s_cbranch_execnz .LBB522_1242
.LBB522_1721:
	s_or_b32 exec_lo, exec_lo, s9
	s_and_saveexec_b32 s9, s59
	s_cbranch_execz .LBB522_1243
.LBB522_1722:
	v_mov_b32_e32 v112, 0x6667
	v_mul_i32_i24_sdwa v113, sext(v71), v112 dst_sel:DWORD dst_unused:UNUSED_PAD src0_sel:WORD_0 src1_sel:DWORD
	v_mul_i32_i24_sdwa v112, sext(v80), v112 dst_sel:DWORD dst_unused:UNUSED_PAD src0_sel:WORD_0 src1_sel:DWORD
	v_lshrrev_b32_e32 v114, 31, v113
	v_ashrrev_i32_e32 v113, 18, v113
	v_lshrrev_b32_e32 v115, 31, v112
	v_ashrrev_i32_e32 v112, 18, v112
	v_add_nc_u16 v113, v113, v114
	v_add_nc_u16 v112, v112, v115
	v_cmp_lt_i16_e64 s8, v113, v112
	v_cndmask_b32_e64 v112, v71, v80, s8
	v_cndmask_b32_e64 v80, v80, v71, s8
	v_mov_b32_e32 v71, v112
	s_or_b32 exec_lo, exec_lo, s9
	s_and_saveexec_b32 s9, s60
	s_cbranch_execnz .LBB522_1244
.LBB522_1723:
	s_or_b32 exec_lo, exec_lo, s9
	s_and_saveexec_b32 s9, s61
	s_cbranch_execz .LBB522_1245
.LBB522_1724:
	v_mov_b32_e32 v112, 0x6667
	v_mul_i32_i24_sdwa v113, sext(v67), v112 dst_sel:DWORD dst_unused:UNUSED_PAD src0_sel:WORD_0 src1_sel:DWORD
	v_mul_i32_i24_sdwa v112, sext(v68), v112 dst_sel:DWORD dst_unused:UNUSED_PAD src0_sel:WORD_0 src1_sel:DWORD
	v_lshrrev_b32_e32 v114, 31, v113
	v_ashrrev_i32_e32 v113, 18, v113
	v_lshrrev_b32_e32 v115, 31, v112
	v_ashrrev_i32_e32 v112, 18, v112
	v_add_nc_u16 v113, v113, v114
	v_add_nc_u16 v112, v112, v115
	v_cmp_lt_i16_e64 s8, v113, v112
	v_cndmask_b32_e64 v112, v67, v68, s8
	v_cndmask_b32_e64 v68, v68, v67, s8
	v_mov_b32_e32 v67, v112
	s_or_b32 exec_lo, exec_lo, s9
	s_and_saveexec_b32 s9, s62
	s_cbranch_execnz .LBB522_1246
.LBB522_1725:
	s_or_b32 exec_lo, exec_lo, s9
	s_and_saveexec_b32 s9, s63
	s_cbranch_execz .LBB522_1247
.LBB522_1726:
	v_mov_b32_e32 v112, 0x6667
	v_mul_i32_i24_sdwa v113, sext(v55), v112 dst_sel:DWORD dst_unused:UNUSED_PAD src0_sel:WORD_0 src1_sel:DWORD
	v_mul_i32_i24_sdwa v112, sext(v64), v112 dst_sel:DWORD dst_unused:UNUSED_PAD src0_sel:WORD_0 src1_sel:DWORD
	v_lshrrev_b32_e32 v114, 31, v113
	v_ashrrev_i32_e32 v113, 18, v113
	v_lshrrev_b32_e32 v115, 31, v112
	v_ashrrev_i32_e32 v112, 18, v112
	v_add_nc_u16 v113, v113, v114
	v_add_nc_u16 v112, v112, v115
	v_cmp_lt_i16_e64 s8, v113, v112
	v_cndmask_b32_e64 v112, v55, v64, s8
	v_cndmask_b32_e64 v64, v64, v55, s8
	v_mov_b32_e32 v55, v112
	s_or_b32 exec_lo, exec_lo, s9
	s_and_saveexec_b32 s9, s72
	s_cbranch_execnz .LBB522_1248
.LBB522_1727:
	s_or_b32 exec_lo, exec_lo, s9
	s_and_saveexec_b32 s9, s73
	s_cbranch_execz .LBB522_1249
.LBB522_1728:
	v_mov_b32_e32 v112, 0x6667
	v_mul_i32_i24_sdwa v113, sext(v54), v112 dst_sel:DWORD dst_unused:UNUSED_PAD src0_sel:WORD_0 src1_sel:DWORD
	v_mul_i32_i24_sdwa v112, sext(v51), v112 dst_sel:DWORD dst_unused:UNUSED_PAD src0_sel:WORD_0 src1_sel:DWORD
	v_lshrrev_b32_e32 v114, 31, v113
	v_ashrrev_i32_e32 v113, 18, v113
	v_lshrrev_b32_e32 v115, 31, v112
	v_ashrrev_i32_e32 v112, 18, v112
	v_add_nc_u16 v113, v113, v114
	v_add_nc_u16 v112, v112, v115
	v_cmp_lt_i16_e64 s8, v113, v112
	v_cndmask_b32_e64 v112, v54, v51, s8
	v_cndmask_b32_e64 v51, v51, v54, s8
	v_mov_b32_e32 v54, v112
	s_or_b32 exec_lo, exec_lo, s9
	s_and_saveexec_b32 s9, s74
	s_cbranch_execnz .LBB522_1250
.LBB522_1729:
	s_or_b32 exec_lo, exec_lo, s9
	s_and_saveexec_b32 s9, s75
	s_cbranch_execz .LBB522_1251
.LBB522_1730:
	v_mov_b32_e32 v112, 0x6667
	v_mul_i32_i24_sdwa v113, sext(v39), v112 dst_sel:DWORD dst_unused:UNUSED_PAD src0_sel:WORD_0 src1_sel:DWORD
	v_mul_i32_i24_sdwa v112, sext(v48), v112 dst_sel:DWORD dst_unused:UNUSED_PAD src0_sel:WORD_0 src1_sel:DWORD
	v_lshrrev_b32_e32 v114, 31, v113
	v_ashrrev_i32_e32 v113, 18, v113
	v_lshrrev_b32_e32 v115, 31, v112
	v_ashrrev_i32_e32 v112, 18, v112
	v_add_nc_u16 v113, v113, v114
	v_add_nc_u16 v112, v112, v115
	v_cmp_lt_i16_e64 s8, v113, v112
	v_cndmask_b32_e64 v112, v48, v39, s8
	v_cndmask_b32_e64 v39, v39, v48, s8
	v_mov_b32_e32 v48, v112
	s_or_b32 exec_lo, exec_lo, s9
	s_and_saveexec_b32 s9, s76
	s_cbranch_execnz .LBB522_1252
.LBB522_1731:
	s_or_b32 exec_lo, exec_lo, s9
	s_and_saveexec_b32 s9, s77
	s_cbranch_execz .LBB522_1253
.LBB522_1732:
	v_mov_b32_e32 v112, 0x6667
	v_mul_i32_i24_sdwa v113, sext(v99), v112 dst_sel:DWORD dst_unused:UNUSED_PAD src0_sel:WORD_0 src1_sel:DWORD
	v_mul_i32_i24_sdwa v112, sext(v100), v112 dst_sel:DWORD dst_unused:UNUSED_PAD src0_sel:WORD_0 src1_sel:DWORD
	v_lshrrev_b32_e32 v114, 31, v113
	v_ashrrev_i32_e32 v113, 18, v113
	v_lshrrev_b32_e32 v115, 31, v112
	v_ashrrev_i32_e32 v112, 18, v112
	v_add_nc_u16 v113, v113, v114
	v_add_nc_u16 v112, v112, v115
	v_cmp_lt_i16_e64 s8, v113, v112
	v_cndmask_b32_e64 v112, v99, v100, s8
	v_cndmask_b32_e64 v100, v100, v99, s8
	v_mov_b32_e32 v99, v112
	s_or_b32 exec_lo, exec_lo, s9
	s_and_saveexec_b32 s9, s78
	s_cbranch_execnz .LBB522_1254
.LBB522_1733:
	s_or_b32 exec_lo, exec_lo, s9
	s_and_saveexec_b32 s9, s79
	s_cbranch_execz .LBB522_1255
.LBB522_1734:
	v_mov_b32_e32 v112, 0x6667
	v_mul_i32_i24_sdwa v113, sext(v86), v112 dst_sel:DWORD dst_unused:UNUSED_PAD src0_sel:WORD_0 src1_sel:DWORD
	v_mul_i32_i24_sdwa v112, sext(v87), v112 dst_sel:DWORD dst_unused:UNUSED_PAD src0_sel:WORD_0 src1_sel:DWORD
	v_lshrrev_b32_e32 v114, 31, v113
	v_ashrrev_i32_e32 v113, 18, v113
	v_lshrrev_b32_e32 v115, 31, v112
	v_ashrrev_i32_e32 v112, 18, v112
	v_add_nc_u16 v113, v113, v114
	v_add_nc_u16 v112, v112, v115
	v_cmp_lt_i16_e64 s8, v113, v112
	v_cndmask_b32_e64 v112, v86, v87, s8
	v_cndmask_b32_e64 v87, v87, v86, s8
	v_mov_b32_e32 v86, v112
	s_or_b32 exec_lo, exec_lo, s9
	s_and_saveexec_b32 s9, s88
	s_cbranch_execnz .LBB522_1256
.LBB522_1735:
	s_or_b32 exec_lo, exec_lo, s9
	s_and_saveexec_b32 s9, s89
	s_cbranch_execz .LBB522_1257
.LBB522_1736:
	v_mov_b32_e32 v112, 0x6667
	v_mul_i32_i24_sdwa v113, sext(v82), v112 dst_sel:DWORD dst_unused:UNUSED_PAD src0_sel:WORD_0 src1_sel:DWORD
	v_mul_i32_i24_sdwa v112, sext(v83), v112 dst_sel:DWORD dst_unused:UNUSED_PAD src0_sel:WORD_0 src1_sel:DWORD
	v_lshrrev_b32_e32 v114, 31, v113
	v_ashrrev_i32_e32 v113, 18, v113
	v_lshrrev_b32_e32 v115, 31, v112
	v_ashrrev_i32_e32 v112, 18, v112
	v_add_nc_u16 v113, v113, v114
	v_add_nc_u16 v112, v112, v115
	v_cmp_lt_i16_e64 s8, v113, v112
	v_cndmask_b32_e64 v112, v82, v83, s8
	v_cndmask_b32_e64 v83, v83, v82, s8
	v_mov_b32_e32 v82, v112
	s_or_b32 exec_lo, exec_lo, s9
	s_and_saveexec_b32 s9, s90
	s_cbranch_execnz .LBB522_1258
.LBB522_1737:
	s_or_b32 exec_lo, exec_lo, s9
	s_and_saveexec_b32 s9, s91
	s_cbranch_execz .LBB522_1259
.LBB522_1738:
	v_mov_b32_e32 v112, 0x6667
	v_mul_i32_i24_sdwa v113, sext(v70), v112 dst_sel:DWORD dst_unused:UNUSED_PAD src0_sel:WORD_0 src1_sel:DWORD
	v_mul_i32_i24_sdwa v112, sext(v71), v112 dst_sel:DWORD dst_unused:UNUSED_PAD src0_sel:WORD_0 src1_sel:DWORD
	v_lshrrev_b32_e32 v114, 31, v113
	v_ashrrev_i32_e32 v113, 18, v113
	v_lshrrev_b32_e32 v115, 31, v112
	v_ashrrev_i32_e32 v112, 18, v112
	v_add_nc_u16 v113, v113, v114
	v_add_nc_u16 v112, v112, v115
	v_cmp_lt_i16_e64 s8, v113, v112
	v_cndmask_b32_e64 v112, v70, v71, s8
	v_cndmask_b32_e64 v71, v71, v70, s8
	v_mov_b32_e32 v70, v112
	s_or_b32 exec_lo, exec_lo, s9
	s_and_saveexec_b32 s9, s92
	s_cbranch_execnz .LBB522_1260
.LBB522_1739:
	s_or_b32 exec_lo, exec_lo, s9
	s_and_saveexec_b32 s9, s93
	s_cbranch_execz .LBB522_1261
.LBB522_1740:
	v_mov_b32_e32 v112, 0x6667
	v_mul_i32_i24_sdwa v113, sext(v66), v112 dst_sel:DWORD dst_unused:UNUSED_PAD src0_sel:WORD_0 src1_sel:DWORD
	v_mul_i32_i24_sdwa v112, sext(v67), v112 dst_sel:DWORD dst_unused:UNUSED_PAD src0_sel:WORD_0 src1_sel:DWORD
	v_lshrrev_b32_e32 v114, 31, v113
	v_ashrrev_i32_e32 v113, 18, v113
	v_lshrrev_b32_e32 v115, 31, v112
	v_ashrrev_i32_e32 v112, 18, v112
	v_add_nc_u16 v113, v113, v114
	v_add_nc_u16 v112, v112, v115
	v_cmp_lt_i16_e64 s8, v113, v112
	v_cndmask_b32_e64 v112, v66, v67, s8
	v_cndmask_b32_e64 v67, v67, v66, s8
	v_mov_b32_e32 v66, v112
	s_or_b32 exec_lo, exec_lo, s9
	s_and_saveexec_b32 s9, s94
	s_cbranch_execnz .LBB522_1262
.LBB522_1741:
	s_or_b32 exec_lo, exec_lo, s9
	s_and_saveexec_b32 s9, s95
	s_cbranch_execz .LBB522_1263
.LBB522_1742:
	v_mov_b32_e32 v112, 0x6667
	v_mul_i32_i24_sdwa v113, sext(v53), v112 dst_sel:DWORD dst_unused:UNUSED_PAD src0_sel:WORD_0 src1_sel:DWORD
	v_mul_i32_i24_sdwa v112, sext(v55), v112 dst_sel:DWORD dst_unused:UNUSED_PAD src0_sel:WORD_0 src1_sel:DWORD
	v_lshrrev_b32_e32 v114, 31, v113
	v_ashrrev_i32_e32 v113, 18, v113
	v_lshrrev_b32_e32 v115, 31, v112
	v_ashrrev_i32_e32 v112, 18, v112
	v_add_nc_u16 v113, v113, v114
	v_add_nc_u16 v112, v112, v115
	v_cmp_lt_i16_e64 s8, v113, v112
	v_cndmask_b32_e64 v112, v53, v55, s8
	v_cndmask_b32_e64 v55, v55, v53, s8
	v_mov_b32_e32 v53, v112
	s_or_b32 exec_lo, exec_lo, s9
	s_and_saveexec_b32 s9, vcc_hi
	s_cbranch_execnz .LBB522_1264
.LBB522_1743:
	s_or_b32 exec_lo, exec_lo, s9
	s_and_saveexec_b32 s9, s30
	s_cbranch_execz .LBB522_1265
.LBB522_1744:
	v_mov_b32_e32 v112, 0x6667
	v_mul_i32_i24_sdwa v113, sext(v50), v112 dst_sel:DWORD dst_unused:UNUSED_PAD src0_sel:WORD_0 src1_sel:DWORD
	v_mul_i32_i24_sdwa v112, sext(v54), v112 dst_sel:DWORD dst_unused:UNUSED_PAD src0_sel:WORD_0 src1_sel:DWORD
	v_lshrrev_b32_e32 v114, 31, v113
	v_ashrrev_i32_e32 v113, 18, v113
	v_lshrrev_b32_e32 v115, 31, v112
	v_ashrrev_i32_e32 v112, 18, v112
	v_add_nc_u16 v113, v113, v114
	v_add_nc_u16 v112, v112, v115
	v_cmp_lt_i16_e64 s8, v113, v112
	v_cndmask_b32_e64 v112, v54, v50, s8
	v_cndmask_b32_e64 v50, v50, v54, s8
	v_mov_b32_e32 v54, v112
	s_or_b32 exec_lo, exec_lo, s9
	s_and_saveexec_b32 s9, s31
	s_cbranch_execnz .LBB522_1266
.LBB522_1745:
	s_or_b32 exec_lo, exec_lo, s9
	s_and_saveexec_b32 s9, s34
	s_cbranch_execz .LBB522_1747
.LBB522_1746:
	v_mov_b32_e32 v112, 0x6667
	v_mul_i32_i24_sdwa v113, sext(v101), v112 dst_sel:DWORD dst_unused:UNUSED_PAD src0_sel:WORD_0 src1_sel:DWORD
	v_mul_i32_i24_sdwa v112, sext(v39), v112 dst_sel:DWORD dst_unused:UNUSED_PAD src0_sel:WORD_0 src1_sel:DWORD
	v_lshrrev_b32_e32 v114, 31, v113
	v_ashrrev_i32_e32 v113, 18, v113
	v_lshrrev_b32_e32 v115, 31, v112
	v_ashrrev_i32_e32 v112, 18, v112
	v_add_nc_u16 v113, v113, v114
	v_add_nc_u16 v112, v112, v115
	v_cmp_lt_i16_e64 s8, v113, v112
	v_cndmask_b32_e64 v112, v39, v101, s8
	v_cndmask_b32_e64 v101, v101, v39, s8
	v_mov_b32_e32 v39, v112
.LBB522_1747:
	s_or_b32 exec_lo, exec_lo, s9
	v_and_b32_e32 v112, 0xfffffc00, v103
	v_mov_b32_e32 v113, 0
	v_mbcnt_lo_u32_b32 v103, -1, 0
	s_mov_b32 s9, 0
	s_mov_b32 s12, exec_lo
	v_sub_nc_u32_e64 v177, v0, v112 clamp
	v_lshlrev_b64 v[113:114], 1, v[112:113]
	v_lshlrev_b32_e32 v178, 5, v103
	v_and_b32_e32 v112, 32, v178
	v_add_co_u32 v176, null, 0, v113
	v_and_b32_e32 v243, 0x3c0, v178
	v_min_u32_e32 v244, v177, v112
	v_lshl_add_u32 v179, v103, 6, v176
	v_or_b32_e32 v103, 32, v178
	ds_write_b16 v179, v97
	ds_write_b16 v179, v100 offset:2
	ds_write_b16 v179, v99 offset:4
	;; [unrolled: 1-line block ×13, first 2 shown]
	v_min_u32_e32 v241, v177, v103
	ds_write_b16 v179, v70 offset:28
	ds_write_b16 v179, v69 offset:30
	;; [unrolled: 1-line block ×12, first 2 shown]
	v_add_nc_u32_e32 v103, 32, v241
	v_sub_nc_u32_e32 v112, v241, v243
	ds_write_b16 v179, v50 offset:52
	ds_write_b16 v179, v49 offset:54
	;; [unrolled: 1-line block ×6, first 2 shown]
	; wave barrier
	v_min_u32_e32 v242, v177, v103
	v_sub_nc_u32_e32 v103, v242, v241
	v_sub_nc_u32_e64 v245, v244, v103 clamp
	v_min_u32_e32 v103, v244, v112
	v_cmpx_lt_u32_e64 v245, v103
	s_cbranch_execz .LBB522_1751
; %bb.1748:
	v_lshlrev_b32_e32 v112, 1, v243
	v_lshlrev_b32_e32 v113, 1, v241
	v_add_co_u32 v112, null, v176, v112
	v_add_co_u32 v113, null, v176, v113
	s_inst_prefetch 0x1
	.p2align	6
.LBB522_1749:                           ; =>This Inner Loop Header: Depth=1
	v_add_nc_u32_e32 v114, v103, v245
	v_lshrrev_b32_e32 v115, 1, v114
	v_and_b32_e32 v114, -2, v114
	v_xad_u32 v116, v115, -1, v244
	v_add_nc_u32_e32 v114, v112, v114
	v_lshl_add_u32 v116, v116, 1, v113
	ds_read_i16 v114, v114
	ds_read_i16 v116, v116
	s_waitcnt lgkmcnt(1)
	v_mul_i32_i24_e32 v114, 0x6667, v114
	s_waitcnt lgkmcnt(0)
	v_mul_i32_i24_e32 v116, 0x6667, v116
	v_lshrrev_b32_e32 v117, 31, v114
	v_ashrrev_i32_e32 v114, 18, v114
	v_lshrrev_b32_e32 v118, 31, v116
	v_ashrrev_i32_e32 v116, 18, v116
	v_add_nc_u16 v114, v114, v117
	v_add_nc_u32_e32 v117, 1, v115
	v_add_nc_u16 v116, v116, v118
	v_cmp_lt_i16_e64 s8, v116, v114
	v_cndmask_b32_e64 v103, v103, v115, s8
	v_cndmask_b32_e64 v245, v117, v245, s8
	v_cmp_ge_u32_e64 s8, v245, v103
	s_or_b32 s9, s8, s9
	s_andn2_b32 exec_lo, exec_lo, s9
	s_cbranch_execnz .LBB522_1749
; %bb.1750:
	s_inst_prefetch 0x2
	s_or_b32 exec_lo, exec_lo, s9
.LBB522_1751:
	s_or_b32 exec_lo, exec_lo, s12
	v_add_nc_u32_e32 v244, v241, v244
	v_add_nc_u32_e32 v243, v245, v243
	;; [unrolled: 1-line block ×5, first 2 shown]
	v_sub_nc_u32_e32 v244, v244, v245
	v_cmp_le_u32_e64 s8, v243, v241
	v_or_b32_e32 v113, 2, v37
	v_add_nc_u32_e32 v114, 4, v37
	v_add_nc_u32_e32 v115, 6, v37
	v_cmp_le_u32_e64 s9, v244, v242
	v_add_nc_u32_e32 v116, 8, v37
	v_add_nc_u32_e32 v117, 10, v37
	;; [unrolled: 1-line block ×59, first 2 shown]
	s_or_b32 s8, s8, s9
	s_and_saveexec_b32 s12, s8
	s_cbranch_execz .LBB522_1883
; %bb.1752:
	v_cmp_ge_u32_e64 s8, v243, v241
	s_mov_b32 s13, exec_lo
                                        ; implicit-def: $vgpr97
	v_cmpx_lt_u32_e64 v243, v241
; %bb.1753:
	v_lshl_add_u32 v38, v243, 1, v176
	ds_read_u16 v97, v38
; %bb.1754:
	s_or_b32 exec_lo, exec_lo, s13
	v_cmp_ge_u32_e64 s13, v244, v242
	s_mov_b32 s57, exec_lo
                                        ; implicit-def: $vgpr101
	v_cmpx_lt_u32_e64 v244, v242
; %bb.1755:
	v_lshl_add_u32 v38, v244, 1, v176
	ds_read_u16 v101, v38
; %bb.1756:
	s_or_b32 exec_lo, exec_lo, s57
	s_nor_b32 s8, s8, s13
	s_and_saveexec_b32 s9, s8
	s_cbranch_execz .LBB522_1758
; %bb.1757:
	v_mov_b32_e32 v38, 0x6667
	s_andn2_b32 s13, s13, exec_lo
	s_waitcnt lgkmcnt(0)
	v_mul_i32_i24_sdwa v39, sext(v101), v38 dst_sel:DWORD dst_unused:UNUSED_PAD src0_sel:WORD_0 src1_sel:DWORD
	v_mul_i32_i24_sdwa v38, sext(v97), v38 dst_sel:DWORD dst_unused:UNUSED_PAD src0_sel:WORD_0 src1_sel:DWORD
	v_lshrrev_b32_e32 v48, 31, v39
	v_ashrrev_i32_e32 v39, 18, v39
	v_lshrrev_b32_e32 v49, 31, v38
	v_ashrrev_i32_e32 v38, 18, v38
	v_add_nc_u16 v39, v39, v48
	v_add_nc_u16 v38, v38, v49
	v_cmp_ge_i16_e64 s8, v39, v38
	s_and_b32 s8, s8, exec_lo
	s_or_b32 s13, s13, s8
.LBB522_1758:
	s_or_b32 exec_lo, exec_lo, s9
	v_cndmask_b32_e64 v38, v244, v243, s13
	v_cndmask_b32_e64 v39, v242, v241, s13
	s_mov_b32 s57, -1
	s_mov_b32 s9, -1
	s_mov_b32 s58, exec_lo
	v_add_nc_u32_e32 v48, 1, v38
	v_add_nc_u32_e32 v38, -1, v39
	v_cndmask_b32_e64 v39, v243, v48, s13
	v_min_u32_e32 v38, v48, v38
	v_lshl_add_u32 v38, v38, 1, v176
	ds_read_u16 v49, v38
	v_cndmask_b32_e64 v38, v48, v244, s13
	s_waitcnt lgkmcnt(0)
	v_cndmask_b32_e64 v100, v49, v101, s13
	v_cndmask_b32_e64 v243, v97, v49, s13
	v_cmpx_lt_u32_e64 v38, v242
	s_cbranch_execz .LBB522_1762
; %bb.1759:
	s_mov_b32 s59, 0
	s_mov_b32 s9, exec_lo
	v_cmpx_lt_u32_e64 v39, v241
	s_cbranch_execz .LBB522_1761
; %bb.1760:
	v_mov_b32_e32 v48, 0x6667
	v_mul_i32_i24_sdwa v49, sext(v100), v48 dst_sel:DWORD dst_unused:UNUSED_PAD src0_sel:WORD_0 src1_sel:DWORD
	v_mul_i32_i24_sdwa v48, sext(v243), v48 dst_sel:DWORD dst_unused:UNUSED_PAD src0_sel:WORD_0 src1_sel:DWORD
	v_lshrrev_b32_e32 v50, 31, v49
	v_ashrrev_i32_e32 v49, 18, v49
	v_lshrrev_b32_e32 v51, 31, v48
	v_ashrrev_i32_e32 v48, 18, v48
	v_add_nc_u16 v49, v49, v50
	v_add_nc_u16 v48, v48, v51
	v_cmp_ge_i16_e64 s8, v49, v48
	s_and_b32 s59, s8, exec_lo
.LBB522_1761:
	s_or_b32 exec_lo, exec_lo, s9
	s_orn2_b32 s9, s59, exec_lo
.LBB522_1762:
	s_or_b32 exec_lo, exec_lo, s58
	v_cndmask_b32_e64 v48, v38, v39, s9
	v_cndmask_b32_e64 v49, v242, v241, s9
	s_mov_b32 s58, exec_lo
	v_add_nc_u32_e32 v48, 1, v48
	v_add_nc_u32_e32 v49, -1, v49
	v_cndmask_b32_e64 v38, v48, v38, s9
	v_min_u32_e32 v49, v48, v49
	v_cndmask_b32_e64 v39, v39, v48, s9
	v_lshl_add_u32 v49, v49, 1, v176
	ds_read_u16 v49, v49
	s_waitcnt lgkmcnt(0)
	v_cndmask_b32_e64 v99, v49, v100, s9
	v_cndmask_b32_e64 v244, v243, v49, s9
	v_cmpx_lt_u32_e64 v38, v242
	s_cbranch_execz .LBB522_1766
; %bb.1763:
	s_mov_b32 s59, 0
	s_mov_b32 s57, exec_lo
	v_cmpx_lt_u32_e64 v39, v241
	s_cbranch_execz .LBB522_1765
; %bb.1764:
	v_mov_b32_e32 v48, 0x6667
	v_mul_i32_i24_sdwa v49, sext(v99), v48 dst_sel:DWORD dst_unused:UNUSED_PAD src0_sel:WORD_0 src1_sel:DWORD
	v_mul_i32_i24_sdwa v48, sext(v244), v48 dst_sel:DWORD dst_unused:UNUSED_PAD src0_sel:WORD_0 src1_sel:DWORD
	v_lshrrev_b32_e32 v50, 31, v49
	v_ashrrev_i32_e32 v49, 18, v49
	v_lshrrev_b32_e32 v51, 31, v48
	v_ashrrev_i32_e32 v48, 18, v48
	v_add_nc_u16 v49, v49, v50
	v_add_nc_u16 v48, v48, v51
	v_cmp_ge_i16_e64 s8, v49, v48
	s_and_b32 s59, s8, exec_lo
.LBB522_1765:
	s_or_b32 exec_lo, exec_lo, s57
	s_orn2_b32 s57, s59, exec_lo
.LBB522_1766:
	s_or_b32 exec_lo, exec_lo, s58
	v_cndmask_b32_e64 v48, v38, v39, s57
	v_cndmask_b32_e64 v49, v242, v241, s57
	s_mov_b32 s59, -1
	s_mov_b32 s58, -1
	s_mov_b32 s60, exec_lo
	v_add_nc_u32_e32 v48, 1, v48
	v_add_nc_u32_e32 v49, -1, v49
	v_cndmask_b32_e64 v38, v48, v38, s57
	v_min_u32_e32 v49, v48, v49
	v_cndmask_b32_e64 v39, v39, v48, s57
	v_lshl_add_u32 v49, v49, 1, v176
	ds_read_u16 v49, v49
	s_waitcnt lgkmcnt(0)
	v_cndmask_b32_e64 v98, v49, v99, s57
	v_cndmask_b32_e64 v245, v244, v49, s57
	v_cmpx_lt_u32_e64 v38, v242
	s_cbranch_execz .LBB522_1770
; %bb.1767:
	s_mov_b32 s61, 0
	s_mov_b32 s58, exec_lo
	v_cmpx_lt_u32_e64 v39, v241
	s_cbranch_execz .LBB522_1769
; %bb.1768:
	v_mov_b32_e32 v48, 0x6667
	v_mul_i32_i24_sdwa v49, sext(v98), v48 dst_sel:DWORD dst_unused:UNUSED_PAD src0_sel:WORD_0 src1_sel:DWORD
	v_mul_i32_i24_sdwa v48, sext(v245), v48 dst_sel:DWORD dst_unused:UNUSED_PAD src0_sel:WORD_0 src1_sel:DWORD
	v_lshrrev_b32_e32 v50, 31, v49
	v_ashrrev_i32_e32 v49, 18, v49
	v_lshrrev_b32_e32 v51, 31, v48
	v_ashrrev_i32_e32 v48, 18, v48
	v_add_nc_u16 v49, v49, v50
	v_add_nc_u16 v48, v48, v51
	v_cmp_ge_i16_e64 s8, v49, v48
	s_and_b32 s61, s8, exec_lo
.LBB522_1769:
	s_or_b32 exec_lo, exec_lo, s58
	s_orn2_b32 s58, s61, exec_lo
.LBB522_1770:
	s_or_b32 exec_lo, exec_lo, s60
	v_cndmask_b32_e64 v48, v38, v39, s58
	v_cndmask_b32_e64 v49, v242, v241, s58
	s_mov_b32 s60, exec_lo
	v_add_nc_u32_e32 v48, 1, v48
	v_add_nc_u32_e32 v49, -1, v49
	v_cndmask_b32_e64 v38, v48, v38, s58
	v_min_u32_e32 v49, v48, v49
	v_cndmask_b32_e64 v39, v39, v48, s58
	v_lshl_add_u32 v49, v49, 1, v176
	ds_read_u16 v49, v49
	s_waitcnt lgkmcnt(0)
	v_cndmask_b32_e64 v96, v49, v98, s58
	v_cndmask_b32_e64 v246, v245, v49, s58
	v_cmpx_lt_u32_e64 v38, v242
	s_cbranch_execz .LBB522_1774
; %bb.1771:
	s_mov_b32 s61, 0
	s_mov_b32 s59, exec_lo
	v_cmpx_lt_u32_e64 v39, v241
	s_cbranch_execz .LBB522_1773
; %bb.1772:
	v_mov_b32_e32 v48, 0x6667
	v_mul_i32_i24_sdwa v49, sext(v96), v48 dst_sel:DWORD dst_unused:UNUSED_PAD src0_sel:WORD_0 src1_sel:DWORD
	v_mul_i32_i24_sdwa v48, sext(v246), v48 dst_sel:DWORD dst_unused:UNUSED_PAD src0_sel:WORD_0 src1_sel:DWORD
	v_lshrrev_b32_e32 v50, 31, v49
	v_ashrrev_i32_e32 v49, 18, v49
	v_lshrrev_b32_e32 v51, 31, v48
	v_ashrrev_i32_e32 v48, 18, v48
	v_add_nc_u16 v49, v49, v50
	v_add_nc_u16 v48, v48, v51
	v_cmp_ge_i16_e64 s8, v49, v48
	s_and_b32 s61, s8, exec_lo
.LBB522_1773:
	s_or_b32 exec_lo, exec_lo, s59
	s_orn2_b32 s59, s61, exec_lo
.LBB522_1774:
	s_or_b32 exec_lo, exec_lo, s60
	v_cndmask_b32_e64 v48, v38, v39, s59
	v_cndmask_b32_e64 v49, v242, v241, s59
	s_mov_b32 s61, -1
	s_mov_b32 s60, -1
	s_mov_b32 s62, exec_lo
	v_add_nc_u32_e32 v48, 1, v48
	v_add_nc_u32_e32 v49, -1, v49
	v_cndmask_b32_e64 v38, v48, v38, s59
	v_min_u32_e32 v49, v48, v49
	v_cndmask_b32_e64 v39, v39, v48, s59
	v_lshl_add_u32 v49, v49, 1, v176
	ds_read_u16 v49, v49
	s_waitcnt lgkmcnt(0)
	v_cndmask_b32_e64 v87, v49, v96, s59
	v_cndmask_b32_e64 v247, v246, v49, s59
	v_cmpx_lt_u32_e64 v38, v242
	s_cbranch_execz .LBB522_1778
; %bb.1775:
	s_mov_b32 s63, 0
	s_mov_b32 s60, exec_lo
	v_cmpx_lt_u32_e64 v39, v241
	s_cbranch_execz .LBB522_1777
; %bb.1776:
	v_mov_b32_e32 v48, 0x6667
	v_mul_i32_i24_sdwa v49, sext(v87), v48 dst_sel:DWORD dst_unused:UNUSED_PAD src0_sel:WORD_0 src1_sel:DWORD
	v_mul_i32_i24_sdwa v48, sext(v247), v48 dst_sel:DWORD dst_unused:UNUSED_PAD src0_sel:WORD_0 src1_sel:DWORD
	v_lshrrev_b32_e32 v50, 31, v49
	v_ashrrev_i32_e32 v49, 18, v49
	v_lshrrev_b32_e32 v51, 31, v48
	v_ashrrev_i32_e32 v48, 18, v48
	v_add_nc_u16 v49, v49, v50
	v_add_nc_u16 v48, v48, v51
	v_cmp_ge_i16_e64 s8, v49, v48
	s_and_b32 s63, s8, exec_lo
.LBB522_1777:
	s_or_b32 exec_lo, exec_lo, s60
	s_orn2_b32 s60, s63, exec_lo
.LBB522_1778:
	s_or_b32 exec_lo, exec_lo, s62
	v_cndmask_b32_e64 v48, v38, v39, s60
	v_cndmask_b32_e64 v49, v242, v241, s60
	s_mov_b32 s62, exec_lo
	v_add_nc_u32_e32 v48, 1, v48
	v_add_nc_u32_e32 v49, -1, v49
	v_cndmask_b32_e64 v38, v48, v38, s60
	v_min_u32_e32 v49, v48, v49
	v_cndmask_b32_e64 v39, v39, v48, s60
	v_lshl_add_u32 v49, v49, 1, v176
	ds_read_u16 v49, v49
	s_waitcnt lgkmcnt(0)
	v_cndmask_b32_e64 v86, v49, v87, s60
	v_cndmask_b32_e64 v40, v247, v49, s60
	v_cmpx_lt_u32_e64 v38, v242
	s_cbranch_execz .LBB522_1782
; %bb.1779:
	s_mov_b32 s63, 0
	s_mov_b32 s61, exec_lo
	v_cmpx_lt_u32_e64 v39, v241
	s_cbranch_execz .LBB522_1781
; %bb.1780:
	v_mov_b32_e32 v48, 0x6667
	v_mul_i32_i24_sdwa v49, sext(v86), v48 dst_sel:DWORD dst_unused:UNUSED_PAD src0_sel:WORD_0 src1_sel:DWORD
	v_mul_i32_i24_sdwa v48, sext(v40), v48 dst_sel:DWORD dst_unused:UNUSED_PAD src0_sel:WORD_0 src1_sel:DWORD
	v_lshrrev_b32_e32 v50, 31, v49
	v_ashrrev_i32_e32 v49, 18, v49
	v_lshrrev_b32_e32 v51, 31, v48
	v_ashrrev_i32_e32 v48, 18, v48
	v_add_nc_u16 v49, v49, v50
	v_add_nc_u16 v48, v48, v51
	v_cmp_ge_i16_e64 s8, v49, v48
	s_and_b32 s63, s8, exec_lo
.LBB522_1781:
	s_or_b32 exec_lo, exec_lo, s61
	s_orn2_b32 s61, s63, exec_lo
.LBB522_1782:
	s_or_b32 exec_lo, exec_lo, s62
	v_cndmask_b32_e64 v48, v38, v39, s61
	v_cndmask_b32_e64 v49, v242, v241, s61
	s_mov_b32 s63, -1
	s_mov_b32 s62, -1
	s_mov_b32 s72, exec_lo
	v_add_nc_u32_e32 v48, 1, v48
	v_add_nc_u32_e32 v49, -1, v49
	v_cndmask_b32_e64 v38, v48, v38, s61
	v_min_u32_e32 v49, v48, v49
	v_cndmask_b32_e64 v39, v39, v48, s61
	v_lshl_add_u32 v49, v49, 1, v176
	ds_read_u16 v49, v49
	s_waitcnt lgkmcnt(0)
	v_cndmask_b32_e64 v85, v49, v86, s61
	v_cndmask_b32_e64 v41, v40, v49, s61
	v_cmpx_lt_u32_e64 v38, v242
	s_cbranch_execz .LBB522_1786
; %bb.1783:
	s_mov_b32 s73, 0
	s_mov_b32 s62, exec_lo
	v_cmpx_lt_u32_e64 v39, v241
	s_cbranch_execz .LBB522_1785
; %bb.1784:
	v_mov_b32_e32 v48, 0x6667
	v_mul_i32_i24_sdwa v49, sext(v85), v48 dst_sel:DWORD dst_unused:UNUSED_PAD src0_sel:WORD_0 src1_sel:DWORD
	v_mul_i32_i24_sdwa v48, sext(v41), v48 dst_sel:DWORD dst_unused:UNUSED_PAD src0_sel:WORD_0 src1_sel:DWORD
	v_lshrrev_b32_e32 v50, 31, v49
	v_ashrrev_i32_e32 v49, 18, v49
	v_lshrrev_b32_e32 v51, 31, v48
	v_ashrrev_i32_e32 v48, 18, v48
	v_add_nc_u16 v49, v49, v50
	v_add_nc_u16 v48, v48, v51
	v_cmp_ge_i16_e64 s8, v49, v48
	s_and_b32 s73, s8, exec_lo
.LBB522_1785:
	s_or_b32 exec_lo, exec_lo, s62
	s_orn2_b32 s62, s73, exec_lo
.LBB522_1786:
	s_or_b32 exec_lo, exec_lo, s72
	v_cndmask_b32_e64 v48, v38, v39, s62
	v_cndmask_b32_e64 v49, v242, v241, s62
	s_mov_b32 s72, exec_lo
	v_add_nc_u32_e32 v48, 1, v48
	v_add_nc_u32_e32 v49, -1, v49
	v_cndmask_b32_e64 v38, v48, v38, s62
	v_min_u32_e32 v49, v48, v49
	v_cndmask_b32_e64 v39, v39, v48, s62
	v_lshl_add_u32 v49, v49, 1, v176
	ds_read_u16 v49, v49
	s_waitcnt lgkmcnt(0)
	v_cndmask_b32_e64 v84, v49, v85, s62
	v_cndmask_b32_e64 v42, v41, v49, s62
	v_cmpx_lt_u32_e64 v38, v242
	s_cbranch_execz .LBB522_1790
; %bb.1787:
	s_mov_b32 s73, 0
	s_mov_b32 s63, exec_lo
	v_cmpx_lt_u32_e64 v39, v241
	s_cbranch_execz .LBB522_1789
; %bb.1788:
	v_mov_b32_e32 v48, 0x6667
	v_mul_i32_i24_sdwa v49, sext(v84), v48 dst_sel:DWORD dst_unused:UNUSED_PAD src0_sel:WORD_0 src1_sel:DWORD
	v_mul_i32_i24_sdwa v48, sext(v42), v48 dst_sel:DWORD dst_unused:UNUSED_PAD src0_sel:WORD_0 src1_sel:DWORD
	v_lshrrev_b32_e32 v50, 31, v49
	v_ashrrev_i32_e32 v49, 18, v49
	v_lshrrev_b32_e32 v51, 31, v48
	v_ashrrev_i32_e32 v48, 18, v48
	v_add_nc_u16 v49, v49, v50
	v_add_nc_u16 v48, v48, v51
	v_cmp_ge_i16_e64 s8, v49, v48
	s_and_b32 s73, s8, exec_lo
.LBB522_1789:
	s_or_b32 exec_lo, exec_lo, s63
	s_orn2_b32 s63, s73, exec_lo
.LBB522_1790:
	s_or_b32 exec_lo, exec_lo, s72
	v_cndmask_b32_e64 v48, v38, v39, s63
	v_cndmask_b32_e64 v49, v242, v241, s63
	s_mov_b32 s73, -1
	s_mov_b32 s72, -1
	s_mov_b32 s74, exec_lo
	v_add_nc_u32_e32 v48, 1, v48
	v_add_nc_u32_e32 v49, -1, v49
	v_cndmask_b32_e64 v38, v48, v38, s63
	v_min_u32_e32 v49, v48, v49
	v_cndmask_b32_e64 v39, v39, v48, s63
	v_lshl_add_u32 v49, v49, 1, v176
	ds_read_u16 v49, v49
	s_waitcnt lgkmcnt(0)
	v_cndmask_b32_e64 v83, v49, v84, s63
	v_cndmask_b32_e64 v43, v42, v49, s63
	v_cmpx_lt_u32_e64 v38, v242
	s_cbranch_execz .LBB522_1794
; %bb.1791:
	s_mov_b32 s75, 0
	s_mov_b32 s72, exec_lo
	v_cmpx_lt_u32_e64 v39, v241
	s_cbranch_execz .LBB522_1793
; %bb.1792:
	v_mov_b32_e32 v48, 0x6667
	v_mul_i32_i24_sdwa v49, sext(v83), v48 dst_sel:DWORD dst_unused:UNUSED_PAD src0_sel:WORD_0 src1_sel:DWORD
	v_mul_i32_i24_sdwa v48, sext(v43), v48 dst_sel:DWORD dst_unused:UNUSED_PAD src0_sel:WORD_0 src1_sel:DWORD
	v_lshrrev_b32_e32 v50, 31, v49
	v_ashrrev_i32_e32 v49, 18, v49
	v_lshrrev_b32_e32 v51, 31, v48
	v_ashrrev_i32_e32 v48, 18, v48
	v_add_nc_u16 v49, v49, v50
	v_add_nc_u16 v48, v48, v51
	v_cmp_ge_i16_e64 s8, v49, v48
	s_and_b32 s75, s8, exec_lo
.LBB522_1793:
	s_or_b32 exec_lo, exec_lo, s72
	s_orn2_b32 s72, s75, exec_lo
.LBB522_1794:
	s_or_b32 exec_lo, exec_lo, s74
	v_cndmask_b32_e64 v48, v38, v39, s72
	v_cndmask_b32_e64 v49, v242, v241, s72
	s_mov_b32 s74, exec_lo
	v_add_nc_u32_e32 v48, 1, v48
	v_add_nc_u32_e32 v49, -1, v49
	v_cndmask_b32_e64 v38, v48, v38, s72
	v_min_u32_e32 v49, v48, v49
	v_cndmask_b32_e64 v39, v39, v48, s72
	v_lshl_add_u32 v49, v49, 1, v176
	ds_read_u16 v49, v49
	s_waitcnt lgkmcnt(0)
	v_cndmask_b32_e64 v82, v49, v83, s72
	v_cndmask_b32_e64 v44, v43, v49, s72
	v_cmpx_lt_u32_e64 v38, v242
	s_cbranch_execz .LBB522_1798
; %bb.1795:
	s_mov_b32 s75, 0
	s_mov_b32 s73, exec_lo
	v_cmpx_lt_u32_e64 v39, v241
	s_cbranch_execz .LBB522_1797
; %bb.1796:
	v_mov_b32_e32 v48, 0x6667
	v_mul_i32_i24_sdwa v49, sext(v82), v48 dst_sel:DWORD dst_unused:UNUSED_PAD src0_sel:WORD_0 src1_sel:DWORD
	v_mul_i32_i24_sdwa v48, sext(v44), v48 dst_sel:DWORD dst_unused:UNUSED_PAD src0_sel:WORD_0 src1_sel:DWORD
	v_lshrrev_b32_e32 v50, 31, v49
	v_ashrrev_i32_e32 v49, 18, v49
	v_lshrrev_b32_e32 v51, 31, v48
	v_ashrrev_i32_e32 v48, 18, v48
	v_add_nc_u16 v49, v49, v50
	v_add_nc_u16 v48, v48, v51
	v_cmp_ge_i16_e64 s8, v49, v48
	s_and_b32 s75, s8, exec_lo
.LBB522_1797:
	s_or_b32 exec_lo, exec_lo, s73
	s_orn2_b32 s73, s75, exec_lo
.LBB522_1798:
	s_or_b32 exec_lo, exec_lo, s74
	v_cndmask_b32_e64 v48, v38, v39, s73
	v_cndmask_b32_e64 v49, v242, v241, s73
	s_mov_b32 s75, -1
	s_mov_b32 s74, -1
	s_mov_b32 s76, exec_lo
	v_add_nc_u32_e32 v48, 1, v48
	v_add_nc_u32_e32 v49, -1, v49
	v_cndmask_b32_e64 v38, v48, v38, s73
	v_min_u32_e32 v49, v48, v49
	v_cndmask_b32_e64 v39, v39, v48, s73
	v_lshl_add_u32 v49, v49, 1, v176
	ds_read_u16 v49, v49
	s_waitcnt lgkmcnt(0)
	v_cndmask_b32_e64 v81, v49, v82, s73
	v_cndmask_b32_e64 v45, v44, v49, s73
	v_cmpx_lt_u32_e64 v38, v242
	s_cbranch_execz .LBB522_1802
; %bb.1799:
	s_mov_b32 s77, 0
	s_mov_b32 s74, exec_lo
	v_cmpx_lt_u32_e64 v39, v241
	s_cbranch_execz .LBB522_1801
; %bb.1800:
	v_mov_b32_e32 v48, 0x6667
	v_mul_i32_i24_sdwa v49, sext(v81), v48 dst_sel:DWORD dst_unused:UNUSED_PAD src0_sel:WORD_0 src1_sel:DWORD
	v_mul_i32_i24_sdwa v48, sext(v45), v48 dst_sel:DWORD dst_unused:UNUSED_PAD src0_sel:WORD_0 src1_sel:DWORD
	v_lshrrev_b32_e32 v50, 31, v49
	v_ashrrev_i32_e32 v49, 18, v49
	v_lshrrev_b32_e32 v51, 31, v48
	v_ashrrev_i32_e32 v48, 18, v48
	v_add_nc_u16 v49, v49, v50
	v_add_nc_u16 v48, v48, v51
	v_cmp_ge_i16_e64 s8, v49, v48
	s_and_b32 s77, s8, exec_lo
.LBB522_1801:
	s_or_b32 exec_lo, exec_lo, s74
	s_orn2_b32 s74, s77, exec_lo
.LBB522_1802:
	s_or_b32 exec_lo, exec_lo, s76
	v_cndmask_b32_e64 v48, v38, v39, s74
	v_cndmask_b32_e64 v49, v242, v241, s74
	s_mov_b32 s76, exec_lo
	v_add_nc_u32_e32 v48, 1, v48
	v_add_nc_u32_e32 v49, -1, v49
	v_cndmask_b32_e64 v38, v48, v38, s74
	v_min_u32_e32 v49, v48, v49
	v_cndmask_b32_e64 v39, v39, v48, s74
	v_lshl_add_u32 v49, v49, 1, v176
	ds_read_u16 v49, v49
	s_waitcnt lgkmcnt(0)
	v_cndmask_b32_e64 v80, v49, v81, s74
	v_cndmask_b32_e64 v46, v45, v49, s74
	v_cmpx_lt_u32_e64 v38, v242
	s_cbranch_execz .LBB522_1806
; %bb.1803:
	s_mov_b32 s77, 0
	s_mov_b32 s75, exec_lo
	v_cmpx_lt_u32_e64 v39, v241
	s_cbranch_execz .LBB522_1805
; %bb.1804:
	v_mov_b32_e32 v48, 0x6667
	v_mul_i32_i24_sdwa v49, sext(v80), v48 dst_sel:DWORD dst_unused:UNUSED_PAD src0_sel:WORD_0 src1_sel:DWORD
	v_mul_i32_i24_sdwa v48, sext(v46), v48 dst_sel:DWORD dst_unused:UNUSED_PAD src0_sel:WORD_0 src1_sel:DWORD
	v_lshrrev_b32_e32 v50, 31, v49
	v_ashrrev_i32_e32 v49, 18, v49
	v_lshrrev_b32_e32 v51, 31, v48
	v_ashrrev_i32_e32 v48, 18, v48
	v_add_nc_u16 v49, v49, v50
	v_add_nc_u16 v48, v48, v51
	v_cmp_ge_i16_e64 s8, v49, v48
	s_and_b32 s77, s8, exec_lo
.LBB522_1805:
	s_or_b32 exec_lo, exec_lo, s75
	s_orn2_b32 s75, s77, exec_lo
.LBB522_1806:
	s_or_b32 exec_lo, exec_lo, s76
	v_cndmask_b32_e64 v48, v38, v39, s75
	v_cndmask_b32_e64 v49, v242, v241, s75
	s_mov_b32 s77, -1
	s_mov_b32 s76, -1
	s_mov_b32 s78, exec_lo
	v_add_nc_u32_e32 v48, 1, v48
	v_add_nc_u32_e32 v49, -1, v49
	v_cndmask_b32_e64 v38, v48, v38, s75
	v_min_u32_e32 v49, v48, v49
	v_cndmask_b32_e64 v39, v39, v48, s75
	v_lshl_add_u32 v49, v49, 1, v176
	ds_read_u16 v49, v49
	s_waitcnt lgkmcnt(0)
	v_cndmask_b32_e64 v71, v49, v80, s75
	v_cndmask_b32_e64 v47, v46, v49, s75
	v_cmpx_lt_u32_e64 v38, v242
	s_cbranch_execz .LBB522_1810
; %bb.1807:
	s_mov_b32 s79, 0
	s_mov_b32 s76, exec_lo
	v_cmpx_lt_u32_e64 v39, v241
	s_cbranch_execz .LBB522_1809
; %bb.1808:
	v_mov_b32_e32 v48, 0x6667
	v_mul_i32_i24_sdwa v49, sext(v71), v48 dst_sel:DWORD dst_unused:UNUSED_PAD src0_sel:WORD_0 src1_sel:DWORD
	v_mul_i32_i24_sdwa v48, sext(v47), v48 dst_sel:DWORD dst_unused:UNUSED_PAD src0_sel:WORD_0 src1_sel:DWORD
	v_lshrrev_b32_e32 v50, 31, v49
	v_ashrrev_i32_e32 v49, 18, v49
	v_lshrrev_b32_e32 v51, 31, v48
	v_ashrrev_i32_e32 v48, 18, v48
	v_add_nc_u16 v49, v49, v50
	v_add_nc_u16 v48, v48, v51
	v_cmp_ge_i16_e64 s8, v49, v48
	s_and_b32 s79, s8, exec_lo
.LBB522_1809:
	s_or_b32 exec_lo, exec_lo, s76
	s_orn2_b32 s76, s79, exec_lo
.LBB522_1810:
	s_or_b32 exec_lo, exec_lo, s78
	v_cndmask_b32_e64 v48, v38, v39, s76
	v_cndmask_b32_e64 v49, v242, v241, s76
	s_mov_b32 s78, exec_lo
	v_add_nc_u32_e32 v48, 1, v48
	v_add_nc_u32_e32 v49, -1, v49
	v_cndmask_b32_e64 v38, v48, v38, s76
	v_min_u32_e32 v49, v48, v49
	v_cndmask_b32_e64 v39, v39, v48, s76
	v_lshl_add_u32 v49, v49, 1, v176
	ds_read_u16 v49, v49
	s_waitcnt lgkmcnt(0)
	v_cndmask_b32_e64 v70, v49, v71, s76
	v_cndmask_b32_e64 v56, v47, v49, s76
	v_cmpx_lt_u32_e64 v38, v242
	s_cbranch_execz .LBB522_1814
; %bb.1811:
	s_mov_b32 s79, 0
	s_mov_b32 s77, exec_lo
	v_cmpx_lt_u32_e64 v39, v241
	s_cbranch_execz .LBB522_1813
; %bb.1812:
	v_mov_b32_e32 v48, 0x6667
	v_mul_i32_i24_sdwa v49, sext(v70), v48 dst_sel:DWORD dst_unused:UNUSED_PAD src0_sel:WORD_0 src1_sel:DWORD
	v_mul_i32_i24_sdwa v48, sext(v56), v48 dst_sel:DWORD dst_unused:UNUSED_PAD src0_sel:WORD_0 src1_sel:DWORD
	v_lshrrev_b32_e32 v50, 31, v49
	v_ashrrev_i32_e32 v49, 18, v49
	v_lshrrev_b32_e32 v51, 31, v48
	v_ashrrev_i32_e32 v48, 18, v48
	v_add_nc_u16 v49, v49, v50
	v_add_nc_u16 v48, v48, v51
	v_cmp_ge_i16_e64 s8, v49, v48
	s_and_b32 s79, s8, exec_lo
.LBB522_1813:
	s_or_b32 exec_lo, exec_lo, s77
	s_orn2_b32 s77, s79, exec_lo
.LBB522_1814:
	s_or_b32 exec_lo, exec_lo, s78
	v_cndmask_b32_e64 v48, v38, v39, s77
	v_cndmask_b32_e64 v49, v242, v241, s77
	s_mov_b32 s79, -1
	s_mov_b32 s78, -1
	s_mov_b32 s88, exec_lo
	v_add_nc_u32_e32 v48, 1, v48
	v_add_nc_u32_e32 v49, -1, v49
	v_cndmask_b32_e64 v38, v48, v38, s77
	v_min_u32_e32 v49, v48, v49
	v_cndmask_b32_e64 v39, v39, v48, s77
	v_lshl_add_u32 v49, v49, 1, v176
	ds_read_u16 v49, v49
	s_waitcnt lgkmcnt(0)
	v_cndmask_b32_e64 v69, v49, v70, s77
	v_cndmask_b32_e64 v57, v56, v49, s77
	v_cmpx_lt_u32_e64 v38, v242
	s_cbranch_execz .LBB522_1818
; %bb.1815:
	s_mov_b32 s89, 0
	s_mov_b32 s78, exec_lo
	v_cmpx_lt_u32_e64 v39, v241
	s_cbranch_execz .LBB522_1817
; %bb.1816:
	v_mov_b32_e32 v48, 0x6667
	v_mul_i32_i24_sdwa v49, sext(v69), v48 dst_sel:DWORD dst_unused:UNUSED_PAD src0_sel:WORD_0 src1_sel:DWORD
	v_mul_i32_i24_sdwa v48, sext(v57), v48 dst_sel:DWORD dst_unused:UNUSED_PAD src0_sel:WORD_0 src1_sel:DWORD
	v_lshrrev_b32_e32 v50, 31, v49
	v_ashrrev_i32_e32 v49, 18, v49
	v_lshrrev_b32_e32 v51, 31, v48
	v_ashrrev_i32_e32 v48, 18, v48
	v_add_nc_u16 v49, v49, v50
	v_add_nc_u16 v48, v48, v51
	v_cmp_ge_i16_e64 s8, v49, v48
	s_and_b32 s89, s8, exec_lo
.LBB522_1817:
	s_or_b32 exec_lo, exec_lo, s78
	s_orn2_b32 s78, s89, exec_lo
.LBB522_1818:
	s_or_b32 exec_lo, exec_lo, s88
	v_cndmask_b32_e64 v48, v38, v39, s78
	v_cndmask_b32_e64 v49, v242, v241, s78
	s_mov_b32 s88, exec_lo
	v_add_nc_u32_e32 v48, 1, v48
	v_add_nc_u32_e32 v49, -1, v49
	v_cndmask_b32_e64 v38, v48, v38, s78
	v_min_u32_e32 v49, v48, v49
	v_cndmask_b32_e64 v39, v39, v48, s78
	v_lshl_add_u32 v49, v49, 1, v176
	ds_read_u16 v49, v49
	s_waitcnt lgkmcnt(0)
	v_cndmask_b32_e64 v68, v49, v69, s78
	v_cndmask_b32_e64 v58, v57, v49, s78
	v_cmpx_lt_u32_e64 v38, v242
	s_cbranch_execz .LBB522_1822
; %bb.1819:
	s_mov_b32 s89, 0
	s_mov_b32 s79, exec_lo
	v_cmpx_lt_u32_e64 v39, v241
	s_cbranch_execz .LBB522_1821
; %bb.1820:
	v_mov_b32_e32 v48, 0x6667
	v_mul_i32_i24_sdwa v49, sext(v68), v48 dst_sel:DWORD dst_unused:UNUSED_PAD src0_sel:WORD_0 src1_sel:DWORD
	v_mul_i32_i24_sdwa v48, sext(v58), v48 dst_sel:DWORD dst_unused:UNUSED_PAD src0_sel:WORD_0 src1_sel:DWORD
	v_lshrrev_b32_e32 v50, 31, v49
	v_ashrrev_i32_e32 v49, 18, v49
	v_lshrrev_b32_e32 v51, 31, v48
	v_ashrrev_i32_e32 v48, 18, v48
	v_add_nc_u16 v49, v49, v50
	v_add_nc_u16 v48, v48, v51
	v_cmp_ge_i16_e64 s8, v49, v48
	s_and_b32 s89, s8, exec_lo
.LBB522_1821:
	s_or_b32 exec_lo, exec_lo, s79
	s_orn2_b32 s79, s89, exec_lo
.LBB522_1822:
	s_or_b32 exec_lo, exec_lo, s88
	v_cndmask_b32_e64 v48, v38, v39, s79
	v_cndmask_b32_e64 v49, v242, v241, s79
	s_mov_b32 s89, -1
	s_mov_b32 s88, -1
	s_mov_b32 s90, exec_lo
	v_add_nc_u32_e32 v48, 1, v48
	v_add_nc_u32_e32 v49, -1, v49
	v_cndmask_b32_e64 v38, v48, v38, s79
	v_min_u32_e32 v49, v48, v49
	v_cndmask_b32_e64 v39, v39, v48, s79
	v_lshl_add_u32 v49, v49, 1, v176
	ds_read_u16 v49, v49
	s_waitcnt lgkmcnt(0)
	v_cndmask_b32_e64 v67, v49, v68, s79
	v_cndmask_b32_e64 v59, v58, v49, s79
	v_cmpx_lt_u32_e64 v38, v242
	s_cbranch_execz .LBB522_1826
; %bb.1823:
	s_mov_b32 s91, 0
	s_mov_b32 s88, exec_lo
	v_cmpx_lt_u32_e64 v39, v241
	s_cbranch_execz .LBB522_1825
; %bb.1824:
	v_mov_b32_e32 v48, 0x6667
	v_mul_i32_i24_sdwa v49, sext(v67), v48 dst_sel:DWORD dst_unused:UNUSED_PAD src0_sel:WORD_0 src1_sel:DWORD
	v_mul_i32_i24_sdwa v48, sext(v59), v48 dst_sel:DWORD dst_unused:UNUSED_PAD src0_sel:WORD_0 src1_sel:DWORD
	v_lshrrev_b32_e32 v50, 31, v49
	v_ashrrev_i32_e32 v49, 18, v49
	v_lshrrev_b32_e32 v51, 31, v48
	v_ashrrev_i32_e32 v48, 18, v48
	v_add_nc_u16 v49, v49, v50
	v_add_nc_u16 v48, v48, v51
	v_cmp_ge_i16_e64 s8, v49, v48
	s_and_b32 s91, s8, exec_lo
.LBB522_1825:
	s_or_b32 exec_lo, exec_lo, s88
	s_orn2_b32 s88, s91, exec_lo
.LBB522_1826:
	s_or_b32 exec_lo, exec_lo, s90
	v_cndmask_b32_e64 v48, v38, v39, s88
	v_cndmask_b32_e64 v49, v242, v241, s88
	s_mov_b32 s90, exec_lo
	v_add_nc_u32_e32 v48, 1, v48
	v_add_nc_u32_e32 v49, -1, v49
	v_cndmask_b32_e64 v38, v48, v38, s88
	v_min_u32_e32 v49, v48, v49
	v_cndmask_b32_e64 v39, v39, v48, s88
	v_lshl_add_u32 v49, v49, 1, v176
	ds_read_u16 v49, v49
	s_waitcnt lgkmcnt(0)
	v_cndmask_b32_e64 v66, v49, v67, s88
	v_cndmask_b32_e64 v60, v59, v49, s88
	v_cmpx_lt_u32_e64 v38, v242
	s_cbranch_execz .LBB522_1830
; %bb.1827:
	s_mov_b32 s91, 0
	s_mov_b32 s89, exec_lo
	v_cmpx_lt_u32_e64 v39, v241
	s_cbranch_execz .LBB522_1829
; %bb.1828:
	v_mov_b32_e32 v48, 0x6667
	v_mul_i32_i24_sdwa v49, sext(v66), v48 dst_sel:DWORD dst_unused:UNUSED_PAD src0_sel:WORD_0 src1_sel:DWORD
	v_mul_i32_i24_sdwa v48, sext(v60), v48 dst_sel:DWORD dst_unused:UNUSED_PAD src0_sel:WORD_0 src1_sel:DWORD
	v_lshrrev_b32_e32 v50, 31, v49
	v_ashrrev_i32_e32 v49, 18, v49
	v_lshrrev_b32_e32 v51, 31, v48
	v_ashrrev_i32_e32 v48, 18, v48
	v_add_nc_u16 v49, v49, v50
	v_add_nc_u16 v48, v48, v51
	v_cmp_ge_i16_e64 s8, v49, v48
	s_and_b32 s91, s8, exec_lo
.LBB522_1829:
	s_or_b32 exec_lo, exec_lo, s89
	s_orn2_b32 s89, s91, exec_lo
.LBB522_1830:
	s_or_b32 exec_lo, exec_lo, s90
	v_cndmask_b32_e64 v48, v38, v39, s89
	v_cndmask_b32_e64 v49, v242, v241, s89
	s_mov_b32 s91, -1
	s_mov_b32 s90, -1
	s_mov_b32 s92, exec_lo
	v_add_nc_u32_e32 v48, 1, v48
	v_add_nc_u32_e32 v49, -1, v49
	v_cndmask_b32_e64 v38, v48, v38, s89
	v_min_u32_e32 v49, v48, v49
	v_cndmask_b32_e64 v39, v39, v48, s89
	v_lshl_add_u32 v49, v49, 1, v176
	ds_read_u16 v49, v49
	s_waitcnt lgkmcnt(0)
	v_cndmask_b32_e64 v65, v49, v66, s89
	v_cndmask_b32_e64 v61, v60, v49, s89
	v_cmpx_lt_u32_e64 v38, v242
	s_cbranch_execz .LBB522_1834
; %bb.1831:
	s_mov_b32 s93, 0
	s_mov_b32 s90, exec_lo
	v_cmpx_lt_u32_e64 v39, v241
	s_cbranch_execz .LBB522_1833
; %bb.1832:
	v_mov_b32_e32 v48, 0x6667
	v_mul_i32_i24_sdwa v49, sext(v65), v48 dst_sel:DWORD dst_unused:UNUSED_PAD src0_sel:WORD_0 src1_sel:DWORD
	v_mul_i32_i24_sdwa v48, sext(v61), v48 dst_sel:DWORD dst_unused:UNUSED_PAD src0_sel:WORD_0 src1_sel:DWORD
	v_lshrrev_b32_e32 v50, 31, v49
	v_ashrrev_i32_e32 v49, 18, v49
	v_lshrrev_b32_e32 v51, 31, v48
	v_ashrrev_i32_e32 v48, 18, v48
	v_add_nc_u16 v49, v49, v50
	v_add_nc_u16 v48, v48, v51
	v_cmp_ge_i16_e64 s8, v49, v48
	s_and_b32 s93, s8, exec_lo
.LBB522_1833:
	s_or_b32 exec_lo, exec_lo, s90
	s_orn2_b32 s90, s93, exec_lo
.LBB522_1834:
	s_or_b32 exec_lo, exec_lo, s92
	v_cndmask_b32_e64 v48, v38, v39, s90
	v_cndmask_b32_e64 v49, v242, v241, s90
	s_mov_b32 s92, exec_lo
	v_add_nc_u32_e32 v48, 1, v48
	v_add_nc_u32_e32 v49, -1, v49
	v_cndmask_b32_e64 v38, v48, v38, s90
	v_min_u32_e32 v49, v48, v49
	v_cndmask_b32_e64 v39, v39, v48, s90
	v_lshl_add_u32 v49, v49, 1, v176
	ds_read_u16 v49, v49
	s_waitcnt lgkmcnt(0)
	v_cndmask_b32_e64 v64, v49, v65, s90
	v_cndmask_b32_e64 v62, v61, v49, s90
	v_cmpx_lt_u32_e64 v38, v242
	s_cbranch_execz .LBB522_1838
; %bb.1835:
	s_mov_b32 s93, 0
	s_mov_b32 s91, exec_lo
	v_cmpx_lt_u32_e64 v39, v241
	s_cbranch_execz .LBB522_1837
; %bb.1836:
	v_mov_b32_e32 v48, 0x6667
	v_mul_i32_i24_sdwa v49, sext(v64), v48 dst_sel:DWORD dst_unused:UNUSED_PAD src0_sel:WORD_0 src1_sel:DWORD
	v_mul_i32_i24_sdwa v48, sext(v62), v48 dst_sel:DWORD dst_unused:UNUSED_PAD src0_sel:WORD_0 src1_sel:DWORD
	v_lshrrev_b32_e32 v50, 31, v49
	v_ashrrev_i32_e32 v49, 18, v49
	v_lshrrev_b32_e32 v51, 31, v48
	v_ashrrev_i32_e32 v48, 18, v48
	v_add_nc_u16 v49, v49, v50
	v_add_nc_u16 v48, v48, v51
	v_cmp_ge_i16_e64 s8, v49, v48
	s_and_b32 s93, s8, exec_lo
.LBB522_1837:
	s_or_b32 exec_lo, exec_lo, s91
	s_orn2_b32 s91, s93, exec_lo
.LBB522_1838:
	s_or_b32 exec_lo, exec_lo, s92
	v_cndmask_b32_e64 v48, v38, v39, s91
	v_cndmask_b32_e64 v49, v242, v241, s91
	s_mov_b32 s93, -1
	s_mov_b32 s92, -1
	s_mov_b32 s94, exec_lo
	v_add_nc_u32_e32 v48, 1, v48
	v_add_nc_u32_e32 v49, -1, v49
	v_cndmask_b32_e64 v38, v48, v38, s91
	v_min_u32_e32 v49, v48, v49
	v_cndmask_b32_e64 v39, v39, v48, s91
	v_lshl_add_u32 v49, v49, 1, v176
	ds_read_u16 v49, v49
	s_waitcnt lgkmcnt(0)
	v_cndmask_b32_e64 v55, v49, v64, s91
	v_cndmask_b32_e64 v63, v62, v49, s91
	v_cmpx_lt_u32_e64 v38, v242
	s_cbranch_execz .LBB522_1842
; %bb.1839:
	s_mov_b32 s95, 0
	s_mov_b32 s92, exec_lo
	v_cmpx_lt_u32_e64 v39, v241
	s_cbranch_execz .LBB522_1841
; %bb.1840:
	v_mov_b32_e32 v48, 0x6667
	v_mul_i32_i24_sdwa v49, sext(v55), v48 dst_sel:DWORD dst_unused:UNUSED_PAD src0_sel:WORD_0 src1_sel:DWORD
	v_mul_i32_i24_sdwa v48, sext(v63), v48 dst_sel:DWORD dst_unused:UNUSED_PAD src0_sel:WORD_0 src1_sel:DWORD
	v_lshrrev_b32_e32 v50, 31, v49
	v_ashrrev_i32_e32 v49, 18, v49
	v_lshrrev_b32_e32 v51, 31, v48
	v_ashrrev_i32_e32 v48, 18, v48
	v_add_nc_u16 v49, v49, v50
	v_add_nc_u16 v48, v48, v51
	v_cmp_ge_i16_e64 s8, v49, v48
	s_and_b32 s95, s8, exec_lo
.LBB522_1841:
	s_or_b32 exec_lo, exec_lo, s92
	s_orn2_b32 s92, s95, exec_lo
.LBB522_1842:
	s_or_b32 exec_lo, exec_lo, s94
	v_cndmask_b32_e64 v48, v38, v39, s92
	v_cndmask_b32_e64 v49, v242, v241, s92
	s_mov_b32 s94, exec_lo
	v_add_nc_u32_e32 v48, 1, v48
	v_add_nc_u32_e32 v49, -1, v49
	v_cndmask_b32_e64 v38, v48, v38, s92
	v_min_u32_e32 v49, v48, v49
	v_cndmask_b32_e64 v39, v39, v48, s92
	v_lshl_add_u32 v49, v49, 1, v176
	ds_read_u16 v49, v49
	s_waitcnt lgkmcnt(0)
	v_cndmask_b32_e64 v53, v49, v55, s92
	v_cndmask_b32_e64 v72, v63, v49, s92
	v_cmpx_lt_u32_e64 v38, v242
	s_cbranch_execz .LBB522_1846
; %bb.1843:
	s_mov_b32 s95, 0
	s_mov_b32 s93, exec_lo
	v_cmpx_lt_u32_e64 v39, v241
	s_cbranch_execz .LBB522_1845
; %bb.1844:
	v_mov_b32_e32 v48, 0x6667
	v_mul_i32_i24_sdwa v49, sext(v53), v48 dst_sel:DWORD dst_unused:UNUSED_PAD src0_sel:WORD_0 src1_sel:DWORD
	v_mul_i32_i24_sdwa v48, sext(v72), v48 dst_sel:DWORD dst_unused:UNUSED_PAD src0_sel:WORD_0 src1_sel:DWORD
	v_lshrrev_b32_e32 v50, 31, v49
	v_ashrrev_i32_e32 v49, 18, v49
	v_lshrrev_b32_e32 v51, 31, v48
	v_ashrrev_i32_e32 v48, 18, v48
	v_add_nc_u16 v49, v49, v50
	v_add_nc_u16 v48, v48, v51
	v_cmp_ge_i16_e64 s8, v49, v48
	s_and_b32 s95, s8, exec_lo
.LBB522_1845:
	s_or_b32 exec_lo, exec_lo, s93
	s_orn2_b32 s93, s95, exec_lo
.LBB522_1846:
	s_or_b32 exec_lo, exec_lo, s94
	v_cndmask_b32_e64 v48, v38, v39, s93
	v_cndmask_b32_e64 v49, v242, v241, s93
	s_mov_b32 s95, -1
	s_mov_b32 s94, -1
	s_mov_b32 vcc_hi, exec_lo
	v_add_nc_u32_e32 v48, 1, v48
	v_add_nc_u32_e32 v49, -1, v49
	v_cndmask_b32_e64 v38, v48, v38, s93
	v_min_u32_e32 v49, v48, v49
	v_cndmask_b32_e64 v39, v39, v48, s93
	v_lshl_add_u32 v49, v49, 1, v176
	ds_read_u16 v49, v49
	s_waitcnt lgkmcnt(0)
	v_cndmask_b32_e64 v52, v49, v53, s93
	v_cndmask_b32_e64 v73, v72, v49, s93
	v_cmpx_lt_u32_e64 v38, v242
	s_cbranch_execz .LBB522_1850
; %bb.1847:
	s_mov_b32 s30, 0
	s_mov_b32 s94, exec_lo
	v_cmpx_lt_u32_e64 v39, v241
	s_cbranch_execz .LBB522_1849
; %bb.1848:
	v_mov_b32_e32 v48, 0x6667
	v_mul_i32_i24_sdwa v49, sext(v52), v48 dst_sel:DWORD dst_unused:UNUSED_PAD src0_sel:WORD_0 src1_sel:DWORD
	v_mul_i32_i24_sdwa v48, sext(v73), v48 dst_sel:DWORD dst_unused:UNUSED_PAD src0_sel:WORD_0 src1_sel:DWORD
	v_lshrrev_b32_e32 v50, 31, v49
	v_ashrrev_i32_e32 v49, 18, v49
	v_lshrrev_b32_e32 v51, 31, v48
	v_ashrrev_i32_e32 v48, 18, v48
	v_add_nc_u16 v49, v49, v50
	v_add_nc_u16 v48, v48, v51
	v_cmp_ge_i16_e64 s8, v49, v48
	s_and_b32 s30, s8, exec_lo
.LBB522_1849:
	s_or_b32 exec_lo, exec_lo, s94
	s_orn2_b32 s94, s30, exec_lo
.LBB522_1850:
	s_or_b32 exec_lo, exec_lo, vcc_hi
	v_cndmask_b32_e64 v48, v38, v39, s94
	v_cndmask_b32_e64 v49, v242, v241, s94
	s_mov_b32 vcc_hi, exec_lo
	v_add_nc_u32_e32 v48, 1, v48
	v_add_nc_u32_e32 v49, -1, v49
	v_cndmask_b32_e64 v38, v48, v38, s94
	v_min_u32_e32 v49, v48, v49
	v_cndmask_b32_e64 v39, v39, v48, s94
	v_lshl_add_u32 v49, v49, 1, v176
	ds_read_u16 v49, v49
	s_waitcnt lgkmcnt(0)
	v_cndmask_b32_e64 v51, v49, v52, s94
	v_cndmask_b32_e64 v74, v73, v49, s94
	v_cmpx_lt_u32_e64 v38, v242
	s_cbranch_execz .LBB522_1854
; %bb.1851:
	s_mov_b32 s30, 0
	s_mov_b32 s95, exec_lo
	v_cmpx_lt_u32_e64 v39, v241
	s_cbranch_execz .LBB522_1853
; %bb.1852:
	v_mov_b32_e32 v48, 0x6667
	v_mul_i32_i24_sdwa v49, sext(v51), v48 dst_sel:DWORD dst_unused:UNUSED_PAD src0_sel:WORD_0 src1_sel:DWORD
	v_mul_i32_i24_sdwa v48, sext(v74), v48 dst_sel:DWORD dst_unused:UNUSED_PAD src0_sel:WORD_0 src1_sel:DWORD
	v_lshrrev_b32_e32 v50, 31, v49
	v_ashrrev_i32_e32 v49, 18, v49
	v_lshrrev_b32_e32 v54, 31, v48
	v_ashrrev_i32_e32 v48, 18, v48
	v_add_nc_u16 v49, v49, v50
	v_add_nc_u16 v48, v48, v54
	v_cmp_ge_i16_e64 s8, v49, v48
	s_and_b32 s30, s8, exec_lo
.LBB522_1853:
	s_or_b32 exec_lo, exec_lo, s95
	s_orn2_b32 s95, s30, exec_lo
.LBB522_1854:
	s_or_b32 exec_lo, exec_lo, vcc_hi
	v_cndmask_b32_e64 v48, v38, v39, s95
	v_cndmask_b32_e64 v49, v242, v241, s95
	s_mov_b32 s30, -1
	s_mov_b32 vcc_hi, -1
	s_mov_b32 s31, exec_lo
	v_add_nc_u32_e32 v48, 1, v48
	v_add_nc_u32_e32 v49, -1, v49
	v_cndmask_b32_e64 v38, v48, v38, s95
	v_min_u32_e32 v49, v48, v49
	v_cndmask_b32_e64 v39, v39, v48, s95
	v_lshl_add_u32 v49, v49, 1, v176
	ds_read_u16 v49, v49
	s_waitcnt lgkmcnt(0)
	v_cndmask_b32_e64 v54, v49, v51, s95
	v_cndmask_b32_e64 v75, v74, v49, s95
	v_cmpx_lt_u32_e64 v38, v242
	s_cbranch_execz .LBB522_1858
; %bb.1855:
	s_mov_b32 s34, 0
	s_mov_b32 vcc_hi, exec_lo
	v_cmpx_lt_u32_e64 v39, v241
	s_cbranch_execz .LBB522_1857
; %bb.1856:
	v_mov_b32_e32 v48, 0x6667
	v_mul_i32_i24_sdwa v49, sext(v54), v48 dst_sel:DWORD dst_unused:UNUSED_PAD src0_sel:WORD_0 src1_sel:DWORD
	v_mul_i32_i24_sdwa v48, sext(v75), v48 dst_sel:DWORD dst_unused:UNUSED_PAD src0_sel:WORD_0 src1_sel:DWORD
	v_lshrrev_b32_e32 v50, 31, v49
	v_ashrrev_i32_e32 v49, 18, v49
	v_lshrrev_b32_e32 v76, 31, v48
	v_ashrrev_i32_e32 v48, 18, v48
	v_add_nc_u16 v49, v49, v50
	v_add_nc_u16 v48, v48, v76
	v_cmp_ge_i16_e64 s8, v49, v48
	s_and_b32 s34, s8, exec_lo
.LBB522_1857:
	s_or_b32 exec_lo, exec_lo, vcc_hi
	s_orn2_b32 vcc_hi, s34, exec_lo
.LBB522_1858:
	s_or_b32 exec_lo, exec_lo, s31
	v_cndmask_b32_e64 v48, v38, v39, vcc_hi
	v_cndmask_b32_e64 v49, v242, v241, vcc_hi
	s_mov_b32 s31, exec_lo
	v_add_nc_u32_e32 v48, 1, v48
	v_add_nc_u32_e32 v49, -1, v49
	v_cndmask_b32_e64 v38, v48, v38, vcc_hi
	v_min_u32_e32 v49, v48, v49
	v_cndmask_b32_e64 v39, v39, v48, vcc_hi
	v_lshl_add_u32 v49, v49, 1, v176
	ds_read_u16 v49, v49
	s_waitcnt lgkmcnt(0)
	v_cndmask_b32_e64 v50, v49, v54, vcc_hi
	v_cndmask_b32_e64 v76, v75, v49, vcc_hi
	v_cmpx_lt_u32_e64 v38, v242
	s_cbranch_execz .LBB522_1862
; %bb.1859:
	s_mov_b32 s34, 0
	s_mov_b32 s30, exec_lo
	v_cmpx_lt_u32_e64 v39, v241
	s_cbranch_execz .LBB522_1861
; %bb.1860:
	v_mov_b32_e32 v48, 0x6667
	v_mul_i32_i24_sdwa v49, sext(v50), v48 dst_sel:DWORD dst_unused:UNUSED_PAD src0_sel:WORD_0 src1_sel:DWORD
	v_mul_i32_i24_sdwa v48, sext(v76), v48 dst_sel:DWORD dst_unused:UNUSED_PAD src0_sel:WORD_0 src1_sel:DWORD
	v_lshrrev_b32_e32 v77, 31, v49
	v_ashrrev_i32_e32 v49, 18, v49
	v_lshrrev_b32_e32 v78, 31, v48
	v_ashrrev_i32_e32 v48, 18, v48
	v_add_nc_u16 v49, v49, v77
	v_add_nc_u16 v48, v48, v78
	v_cmp_ge_i16_e64 s8, v49, v48
	s_and_b32 s34, s8, exec_lo
.LBB522_1861:
	s_or_b32 exec_lo, exec_lo, s30
	s_orn2_b32 s30, s34, exec_lo
.LBB522_1862:
	s_or_b32 exec_lo, exec_lo, s31
	v_cndmask_b32_e64 v48, v38, v39, s30
	v_cndmask_b32_e64 v49, v242, v241, s30
	s_mov_b32 s34, -1
	s_mov_b32 s31, -1
	s_mov_b32 s35, exec_lo
	v_add_nc_u32_e32 v48, 1, v48
	v_add_nc_u32_e32 v49, -1, v49
	v_cndmask_b32_e64 v38, v48, v38, s30
	v_min_u32_e32 v49, v48, v49
	v_cndmask_b32_e64 v39, v39, v48, s30
	v_lshl_add_u32 v49, v49, 1, v176
	ds_read_u16 v77, v49
	s_waitcnt lgkmcnt(0)
	v_cndmask_b32_e64 v49, v77, v50, s30
	v_cndmask_b32_e64 v77, v76, v77, s30
	v_cmpx_lt_u32_e64 v38, v242
	s_cbranch_execz .LBB522_1866
; %bb.1863:
	s_mov_b32 s38, 0
	s_mov_b32 s31, exec_lo
	v_cmpx_lt_u32_e64 v39, v241
	s_cbranch_execz .LBB522_1865
; %bb.1864:
	v_mov_b32_e32 v48, 0x6667
	v_mul_i32_i24_sdwa v78, sext(v49), v48 dst_sel:DWORD dst_unused:UNUSED_PAD src0_sel:WORD_0 src1_sel:DWORD
	v_mul_i32_i24_sdwa v48, sext(v77), v48 dst_sel:DWORD dst_unused:UNUSED_PAD src0_sel:WORD_0 src1_sel:DWORD
	v_lshrrev_b32_e32 v79, 31, v78
	v_ashrrev_i32_e32 v78, 18, v78
	v_lshrrev_b32_e32 v88, 31, v48
	v_ashrrev_i32_e32 v48, 18, v48
	v_add_nc_u16 v78, v78, v79
	v_add_nc_u16 v48, v48, v88
	v_cmp_ge_i16_e64 s8, v78, v48
	s_and_b32 s38, s8, exec_lo
.LBB522_1865:
	s_or_b32 exec_lo, exec_lo, s31
	s_orn2_b32 s31, s38, exec_lo
.LBB522_1866:
	s_or_b32 exec_lo, exec_lo, s35
	v_cndmask_b32_e64 v48, v38, v39, s31
	v_cndmask_b32_e64 v78, v242, v241, s31
	s_mov_b32 s35, exec_lo
	v_add_nc_u32_e32 v48, 1, v48
	v_add_nc_u32_e32 v78, -1, v78
	v_cndmask_b32_e64 v38, v48, v38, s31
	v_min_u32_e32 v78, v48, v78
	v_cndmask_b32_e64 v39, v39, v48, s31
	v_lshl_add_u32 v78, v78, 1, v176
	ds_read_u16 v78, v78
	s_waitcnt lgkmcnt(0)
	v_cndmask_b32_e64 v48, v78, v49, s31
	v_cndmask_b32_e64 v78, v77, v78, s31
	v_cmpx_lt_u32_e64 v38, v242
	s_cbranch_execz .LBB522_1870
; %bb.1867:
	s_mov_b32 s38, 0
	s_mov_b32 s34, exec_lo
	v_cmpx_lt_u32_e64 v39, v241
	s_cbranch_execz .LBB522_1869
; %bb.1868:
	v_mov_b32_e32 v79, 0x6667
	v_mul_i32_i24_sdwa v88, sext(v48), v79 dst_sel:DWORD dst_unused:UNUSED_PAD src0_sel:WORD_0 src1_sel:DWORD
	v_mul_i32_i24_sdwa v79, sext(v78), v79 dst_sel:DWORD dst_unused:UNUSED_PAD src0_sel:WORD_0 src1_sel:DWORD
	v_lshrrev_b32_e32 v89, 31, v88
	v_ashrrev_i32_e32 v88, 18, v88
	v_lshrrev_b32_e32 v90, 31, v79
	v_ashrrev_i32_e32 v79, 18, v79
	v_add_nc_u16 v88, v88, v89
	v_add_nc_u16 v79, v79, v90
	v_cmp_ge_i16_e64 s8, v88, v79
	s_and_b32 s38, s8, exec_lo
.LBB522_1869:
	s_or_b32 exec_lo, exec_lo, s34
	s_orn2_b32 s34, s38, exec_lo
.LBB522_1870:
	s_or_b32 exec_lo, exec_lo, s35
	v_cndmask_b32_e64 v79, v38, v39, s34
	v_cndmask_b32_e64 v88, v242, v241, s34
	s_mov_b32 s35, -1
	s_mov_b32 s38, -1
	s_mov_b32 s39, exec_lo
	v_add_nc_u32_e32 v79, 1, v79
	v_add_nc_u32_e32 v88, -1, v88
	v_cndmask_b32_e64 v38, v79, v38, s34
	v_min_u32_e32 v88, v79, v88
	v_lshl_add_u32 v88, v88, 1, v176
	ds_read_u16 v89, v88
	v_cndmask_b32_e64 v88, v39, v79, s34
	s_waitcnt lgkmcnt(0)
	v_cndmask_b32_e64 v39, v89, v48, s34
	v_cndmask_b32_e64 v79, v78, v89, s34
	v_cmpx_lt_u32_e64 v38, v242
	s_cbranch_execz .LBB522_1874
; %bb.1871:
	s_mov_b32 s48, 0
	s_mov_b32 s38, exec_lo
	v_cmpx_lt_u32_e64 v88, v241
	s_cbranch_execz .LBB522_1873
; %bb.1872:
	v_mov_b32_e32 v89, 0x6667
	v_mul_i32_i24_sdwa v90, sext(v39), v89 dst_sel:DWORD dst_unused:UNUSED_PAD src0_sel:WORD_0 src1_sel:DWORD
	v_mul_i32_i24_sdwa v89, sext(v79), v89 dst_sel:DWORD dst_unused:UNUSED_PAD src0_sel:WORD_0 src1_sel:DWORD
	v_lshrrev_b32_e32 v91, 31, v90
	v_ashrrev_i32_e32 v90, 18, v90
	v_lshrrev_b32_e32 v92, 31, v89
	v_ashrrev_i32_e32 v89, 18, v89
	v_add_nc_u16 v90, v90, v91
	v_add_nc_u16 v89, v89, v92
	v_cmp_ge_i16_e64 s8, v90, v89
	s_and_b32 s48, s8, exec_lo
.LBB522_1873:
	s_or_b32 exec_lo, exec_lo, s38
	s_orn2_b32 s38, s48, exec_lo
.LBB522_1874:
	s_or_b32 exec_lo, exec_lo, s39
	v_cndmask_b32_e64 v89, v38, v88, s38
	v_cndmask_b32_e64 v90, v242, v241, s38
	s_mov_b32 s39, exec_lo
	v_add_nc_u32_e32 v89, 1, v89
	v_add_nc_u32_e32 v90, -1, v90
	v_cndmask_b32_e64 v38, v89, v38, s38
	v_min_u32_e32 v90, v89, v90
	v_lshl_add_u32 v90, v90, 1, v176
	ds_read_u16 v91, v90
	v_cndmask_b32_e64 v90, v88, v89, s38
	s_waitcnt lgkmcnt(0)
	v_cndmask_b32_e64 v88, v91, v39, s38
	v_cndmask_b32_e64 v89, v79, v91, s38
	v_cmpx_lt_u32_e64 v38, v242
	s_cbranch_execz .LBB522_1878
; %bb.1875:
	s_mov_b32 s48, 0
	s_mov_b32 s35, exec_lo
	v_cmpx_lt_u32_e64 v90, v241
	s_cbranch_execz .LBB522_1877
; %bb.1876:
	v_mov_b32_e32 v91, 0x6667
	v_mul_i32_i24_sdwa v92, sext(v88), v91 dst_sel:DWORD dst_unused:UNUSED_PAD src0_sel:WORD_0 src1_sel:DWORD
	v_mul_i32_i24_sdwa v91, sext(v89), v91 dst_sel:DWORD dst_unused:UNUSED_PAD src0_sel:WORD_0 src1_sel:DWORD
	v_lshrrev_b32_e32 v93, 31, v92
	v_ashrrev_i32_e32 v92, 18, v92
	v_lshrrev_b32_e32 v94, 31, v91
	v_ashrrev_i32_e32 v91, 18, v91
	v_add_nc_u16 v92, v92, v93
	v_add_nc_u16 v91, v91, v94
	v_cmp_ge_i16_e64 s8, v92, v91
	s_and_b32 s48, s8, exec_lo
.LBB522_1877:
	s_or_b32 exec_lo, exec_lo, s35
	s_orn2_b32 s35, s48, exec_lo
.LBB522_1878:
	s_or_b32 exec_lo, exec_lo, s39
	v_cndmask_b32_e64 v91, v38, v90, s35
	v_cndmask_b32_e64 v92, v242, v241, s35
	s_mov_b32 s39, exec_lo
	v_add_nc_u32_e32 v91, 1, v91
	v_add_nc_u32_e32 v92, -1, v92
	v_cndmask_b32_e64 v93, v91, v38, s35
	v_min_u32_e32 v92, v91, v92
	v_lshl_add_u32 v92, v92, 1, v176
	ds_read_u16 v92, v92
	s_waitcnt lgkmcnt(0)
	v_cndmask_b32_e64 v38, v89, v92, s35
	v_cmpx_lt_u32_e64 v93, v242
	s_cbranch_execz .LBB522_1882
; %bb.1879:
	v_cndmask_b32_e64 v90, v90, v91, s35
	v_cndmask_b32_e64 v242, v92, v88, s35
	s_mov_b32 s48, exec_lo
	v_cmpx_lt_u32_e64 v90, v241
	s_cbranch_execz .LBB522_1881
; %bb.1880:
	v_mov_b32_e32 v241, 0x6667
	v_mul_i32_i24_sdwa v90, sext(v242), v241 dst_sel:DWORD dst_unused:UNUSED_PAD src0_sel:WORD_0 src1_sel:DWORD
	v_mul_i32_i24_sdwa v241, sext(v38), v241 dst_sel:DWORD dst_unused:UNUSED_PAD src0_sel:WORD_0 src1_sel:DWORD
	v_lshrrev_b32_e32 v91, 31, v90
	v_ashrrev_i32_e32 v90, 18, v90
	v_lshrrev_b32_e32 v92, 31, v241
	v_ashrrev_i32_e32 v241, 18, v241
	v_add_nc_u16 v90, v90, v91
	v_add_nc_u16 v241, v241, v92
	v_cmp_lt_i16_e64 s8, v90, v241
	v_cndmask_b32_e64 v242, v38, v242, s8
.LBB522_1881:
	s_or_b32 exec_lo, exec_lo, s48
	v_mov_b32_e32 v38, v242
.LBB522_1882:
	s_or_b32 exec_lo, exec_lo, s39
	v_cndmask_b32_e64 v39, v39, v79, s38
	v_cndmask_b32_e64 v48, v48, v78, s34
	;; [unrolled: 1-line block ×4, first 2 shown]
	v_cndmask_b32_e64 v54, v54, v75, vcc_hi
	v_cndmask_b32_e64 v51, v51, v74, s95
	v_cndmask_b32_e64 v52, v52, v73, s94
	v_cndmask_b32_e64 v53, v53, v72, s93
	v_cndmask_b32_e64 v55, v55, v63, s92
	v_cndmask_b32_e64 v64, v64, v62, s91
	v_cndmask_b32_e64 v65, v65, v61, s90
	v_cndmask_b32_e64 v66, v66, v60, s89
	v_cndmask_b32_e64 v67, v67, v59, s88
	v_cndmask_b32_e64 v68, v68, v58, s79
	v_cndmask_b32_e64 v69, v69, v57, s78
	v_cndmask_b32_e64 v70, v70, v56, s77
	v_cndmask_b32_e64 v71, v71, v47, s76
	v_cndmask_b32_e64 v80, v80, v46, s75
	v_cndmask_b32_e64 v81, v81, v45, s74
	v_cndmask_b32_e64 v82, v82, v44, s73
	v_cndmask_b32_e64 v83, v83, v43, s72
	v_cndmask_b32_e64 v84, v84, v42, s63
	v_cndmask_b32_e64 v85, v85, v41, s62
	v_cndmask_b32_e64 v86, v86, v40, s61
	v_cndmask_b32_e64 v87, v87, v247, s60
	v_cndmask_b32_e64 v96, v96, v246, s59
	v_cndmask_b32_e64 v98, v98, v245, s58
	v_cndmask_b32_e64 v99, v99, v244, s57
	v_cndmask_b32_e64 v100, v100, v243, s9
	v_cndmask_b32_e64 v97, v101, v97, s13
	v_cndmask_b32_e64 v101, v88, v89, s35
.LBB522_1883:
	s_or_b32 exec_lo, exec_lo, s12
	v_and_b32_e32 v243, 0x380, v178
	v_and_b32_e32 v244, 0x60, v178
	s_mov_b32 s9, exec_lo
	; wave barrier
	v_or_b32_e32 v241, 64, v243
	v_min_u32_e32 v244, v177, v244
	ds_write_b16 v179, v97
	ds_write_b16 v229, v100
	;; [unrolled: 1-line block ×13, first 2 shown]
	v_min_u32_e32 v241, v177, v241
	ds_write_b16 v209, v71
	ds_write_b16 v210, v70
	;; [unrolled: 1-line block ×13, first 2 shown]
	v_add_nc_u32_e32 v242, 64, v241
	v_sub_nc_u32_e32 v246, v241, v243
	ds_write_b16 v180, v50
	ds_write_b16 v181, v49
	;; [unrolled: 1-line block ×6, first 2 shown]
	; wave barrier
	v_min_u32_e32 v242, v177, v242
	v_min_u32_e32 v246, v244, v246
	v_sub_nc_u32_e32 v245, v242, v241
	v_sub_nc_u32_e64 v245, v244, v245 clamp
	v_cmpx_lt_u32_e64 v245, v246
	s_cbranch_execz .LBB522_1887
; %bb.1884:
	v_lshlrev_b32_e32 v247, 1, v243
	v_lshlrev_b32_e32 v40, 1, v241
	s_mov_b32 s12, 0
	v_add_co_u32 v247, null, v176, v247
	v_add_co_u32 v40, null, v176, v40
	s_inst_prefetch 0x1
	.p2align	6
.LBB522_1885:                           ; =>This Inner Loop Header: Depth=1
	v_add_nc_u32_e32 v41, v246, v245
	v_lshrrev_b32_e32 v42, 1, v41
	v_and_b32_e32 v41, -2, v41
	v_xad_u32 v43, v42, -1, v244
	v_add_nc_u32_e32 v41, v247, v41
	v_lshl_add_u32 v43, v43, 1, v40
	ds_read_i16 v41, v41
	ds_read_i16 v43, v43
	s_waitcnt lgkmcnt(1)
	v_mul_i32_i24_e32 v41, 0x6667, v41
	s_waitcnt lgkmcnt(0)
	v_mul_i32_i24_e32 v43, 0x6667, v43
	v_lshrrev_b32_e32 v44, 31, v41
	v_ashrrev_i32_e32 v41, 18, v41
	v_lshrrev_b32_e32 v45, 31, v43
	v_ashrrev_i32_e32 v43, 18, v43
	v_add_nc_u16 v41, v41, v44
	v_add_nc_u32_e32 v44, 1, v42
	v_add_nc_u16 v43, v43, v45
	v_cmp_lt_i16_e64 s8, v43, v41
	v_cndmask_b32_e64 v246, v246, v42, s8
	v_cndmask_b32_e64 v245, v44, v245, s8
	v_cmp_ge_u32_e64 s8, v245, v246
	s_or_b32 s12, s8, s12
	s_andn2_b32 exec_lo, exec_lo, s12
	s_cbranch_execnz .LBB522_1885
; %bb.1886:
	s_inst_prefetch 0x2
	s_or_b32 exec_lo, exec_lo, s12
.LBB522_1887:
	s_or_b32 exec_lo, exec_lo, s9
	v_add_nc_u32_e32 v244, v241, v244
	v_add_nc_u32_e32 v243, v245, v243
	v_sub_nc_u32_e32 v244, v244, v245
	v_cmp_le_u32_e64 s8, v243, v241
	v_cmp_le_u32_e64 s9, v244, v242
	s_or_b32 s8, s8, s9
	s_and_saveexec_b32 s12, s8
	s_cbranch_execz .LBB522_2019
; %bb.1888:
	v_cmp_ge_u32_e64 s8, v243, v241
	s_mov_b32 s13, exec_lo
                                        ; implicit-def: $vgpr97
	v_cmpx_lt_u32_e64 v243, v241
; %bb.1889:
	v_lshl_add_u32 v38, v243, 1, v176
	ds_read_u16 v97, v38
; %bb.1890:
	s_or_b32 exec_lo, exec_lo, s13
	v_cmp_ge_u32_e64 s13, v244, v242
	s_mov_b32 s57, exec_lo
                                        ; implicit-def: $vgpr101
	v_cmpx_lt_u32_e64 v244, v242
; %bb.1891:
	v_lshl_add_u32 v38, v244, 1, v176
	ds_read_u16 v101, v38
; %bb.1892:
	s_or_b32 exec_lo, exec_lo, s57
	s_nor_b32 s8, s8, s13
	s_and_saveexec_b32 s9, s8
	s_cbranch_execz .LBB522_1894
; %bb.1893:
	v_mov_b32_e32 v38, 0x6667
	s_andn2_b32 s13, s13, exec_lo
	s_waitcnt lgkmcnt(0)
	v_mul_i32_i24_sdwa v39, sext(v101), v38 dst_sel:DWORD dst_unused:UNUSED_PAD src0_sel:WORD_0 src1_sel:DWORD
	v_mul_i32_i24_sdwa v38, sext(v97), v38 dst_sel:DWORD dst_unused:UNUSED_PAD src0_sel:WORD_0 src1_sel:DWORD
	v_lshrrev_b32_e32 v48, 31, v39
	v_ashrrev_i32_e32 v39, 18, v39
	v_lshrrev_b32_e32 v49, 31, v38
	v_ashrrev_i32_e32 v38, 18, v38
	v_add_nc_u16 v39, v39, v48
	v_add_nc_u16 v38, v38, v49
	v_cmp_ge_i16_e64 s8, v39, v38
	s_and_b32 s8, s8, exec_lo
	s_or_b32 s13, s13, s8
.LBB522_1894:
	s_or_b32 exec_lo, exec_lo, s9
	v_cndmask_b32_e64 v38, v244, v243, s13
	v_cndmask_b32_e64 v39, v242, v241, s13
	s_mov_b32 s57, -1
	s_mov_b32 s9, -1
	s_mov_b32 s58, exec_lo
	v_add_nc_u32_e32 v48, 1, v38
	v_add_nc_u32_e32 v38, -1, v39
	v_cndmask_b32_e64 v39, v243, v48, s13
	v_min_u32_e32 v38, v48, v38
	v_lshl_add_u32 v38, v38, 1, v176
	ds_read_u16 v49, v38
	v_cndmask_b32_e64 v38, v48, v244, s13
	s_waitcnt lgkmcnt(0)
	v_cndmask_b32_e64 v100, v49, v101, s13
	v_cndmask_b32_e64 v243, v97, v49, s13
	v_cmpx_lt_u32_e64 v38, v242
	s_cbranch_execz .LBB522_1898
; %bb.1895:
	s_mov_b32 s59, 0
	s_mov_b32 s9, exec_lo
	v_cmpx_lt_u32_e64 v39, v241
	s_cbranch_execz .LBB522_1897
; %bb.1896:
	v_mov_b32_e32 v48, 0x6667
	v_mul_i32_i24_sdwa v49, sext(v100), v48 dst_sel:DWORD dst_unused:UNUSED_PAD src0_sel:WORD_0 src1_sel:DWORD
	v_mul_i32_i24_sdwa v48, sext(v243), v48 dst_sel:DWORD dst_unused:UNUSED_PAD src0_sel:WORD_0 src1_sel:DWORD
	v_lshrrev_b32_e32 v50, 31, v49
	v_ashrrev_i32_e32 v49, 18, v49
	v_lshrrev_b32_e32 v51, 31, v48
	v_ashrrev_i32_e32 v48, 18, v48
	v_add_nc_u16 v49, v49, v50
	v_add_nc_u16 v48, v48, v51
	v_cmp_ge_i16_e64 s8, v49, v48
	s_and_b32 s59, s8, exec_lo
.LBB522_1897:
	s_or_b32 exec_lo, exec_lo, s9
	s_orn2_b32 s9, s59, exec_lo
.LBB522_1898:
	s_or_b32 exec_lo, exec_lo, s58
	v_cndmask_b32_e64 v48, v38, v39, s9
	v_cndmask_b32_e64 v49, v242, v241, s9
	s_mov_b32 s58, exec_lo
	v_add_nc_u32_e32 v48, 1, v48
	v_add_nc_u32_e32 v49, -1, v49
	v_cndmask_b32_e64 v38, v48, v38, s9
	v_min_u32_e32 v49, v48, v49
	v_cndmask_b32_e64 v39, v39, v48, s9
	v_lshl_add_u32 v49, v49, 1, v176
	ds_read_u16 v49, v49
	s_waitcnt lgkmcnt(0)
	v_cndmask_b32_e64 v99, v49, v100, s9
	v_cndmask_b32_e64 v244, v243, v49, s9
	v_cmpx_lt_u32_e64 v38, v242
	s_cbranch_execz .LBB522_1902
; %bb.1899:
	s_mov_b32 s59, 0
	s_mov_b32 s57, exec_lo
	v_cmpx_lt_u32_e64 v39, v241
	s_cbranch_execz .LBB522_1901
; %bb.1900:
	v_mov_b32_e32 v48, 0x6667
	v_mul_i32_i24_sdwa v49, sext(v99), v48 dst_sel:DWORD dst_unused:UNUSED_PAD src0_sel:WORD_0 src1_sel:DWORD
	v_mul_i32_i24_sdwa v48, sext(v244), v48 dst_sel:DWORD dst_unused:UNUSED_PAD src0_sel:WORD_0 src1_sel:DWORD
	v_lshrrev_b32_e32 v50, 31, v49
	v_ashrrev_i32_e32 v49, 18, v49
	v_lshrrev_b32_e32 v51, 31, v48
	v_ashrrev_i32_e32 v48, 18, v48
	v_add_nc_u16 v49, v49, v50
	v_add_nc_u16 v48, v48, v51
	v_cmp_ge_i16_e64 s8, v49, v48
	s_and_b32 s59, s8, exec_lo
.LBB522_1901:
	s_or_b32 exec_lo, exec_lo, s57
	s_orn2_b32 s57, s59, exec_lo
.LBB522_1902:
	s_or_b32 exec_lo, exec_lo, s58
	v_cndmask_b32_e64 v48, v38, v39, s57
	v_cndmask_b32_e64 v49, v242, v241, s57
	s_mov_b32 s59, -1
	s_mov_b32 s58, -1
	s_mov_b32 s60, exec_lo
	v_add_nc_u32_e32 v48, 1, v48
	v_add_nc_u32_e32 v49, -1, v49
	v_cndmask_b32_e64 v38, v48, v38, s57
	v_min_u32_e32 v49, v48, v49
	v_cndmask_b32_e64 v39, v39, v48, s57
	v_lshl_add_u32 v49, v49, 1, v176
	ds_read_u16 v49, v49
	s_waitcnt lgkmcnt(0)
	v_cndmask_b32_e64 v98, v49, v99, s57
	v_cndmask_b32_e64 v245, v244, v49, s57
	v_cmpx_lt_u32_e64 v38, v242
	s_cbranch_execz .LBB522_1906
; %bb.1903:
	s_mov_b32 s61, 0
	s_mov_b32 s58, exec_lo
	v_cmpx_lt_u32_e64 v39, v241
	s_cbranch_execz .LBB522_1905
; %bb.1904:
	v_mov_b32_e32 v48, 0x6667
	v_mul_i32_i24_sdwa v49, sext(v98), v48 dst_sel:DWORD dst_unused:UNUSED_PAD src0_sel:WORD_0 src1_sel:DWORD
	v_mul_i32_i24_sdwa v48, sext(v245), v48 dst_sel:DWORD dst_unused:UNUSED_PAD src0_sel:WORD_0 src1_sel:DWORD
	v_lshrrev_b32_e32 v50, 31, v49
	v_ashrrev_i32_e32 v49, 18, v49
	v_lshrrev_b32_e32 v51, 31, v48
	v_ashrrev_i32_e32 v48, 18, v48
	v_add_nc_u16 v49, v49, v50
	v_add_nc_u16 v48, v48, v51
	v_cmp_ge_i16_e64 s8, v49, v48
	s_and_b32 s61, s8, exec_lo
.LBB522_1905:
	s_or_b32 exec_lo, exec_lo, s58
	s_orn2_b32 s58, s61, exec_lo
.LBB522_1906:
	s_or_b32 exec_lo, exec_lo, s60
	v_cndmask_b32_e64 v48, v38, v39, s58
	v_cndmask_b32_e64 v49, v242, v241, s58
	s_mov_b32 s60, exec_lo
	v_add_nc_u32_e32 v48, 1, v48
	v_add_nc_u32_e32 v49, -1, v49
	v_cndmask_b32_e64 v38, v48, v38, s58
	v_min_u32_e32 v49, v48, v49
	v_cndmask_b32_e64 v39, v39, v48, s58
	v_lshl_add_u32 v49, v49, 1, v176
	ds_read_u16 v49, v49
	s_waitcnt lgkmcnt(0)
	v_cndmask_b32_e64 v96, v49, v98, s58
	v_cndmask_b32_e64 v246, v245, v49, s58
	v_cmpx_lt_u32_e64 v38, v242
	s_cbranch_execz .LBB522_1910
; %bb.1907:
	s_mov_b32 s61, 0
	s_mov_b32 s59, exec_lo
	v_cmpx_lt_u32_e64 v39, v241
	s_cbranch_execz .LBB522_1909
; %bb.1908:
	v_mov_b32_e32 v48, 0x6667
	v_mul_i32_i24_sdwa v49, sext(v96), v48 dst_sel:DWORD dst_unused:UNUSED_PAD src0_sel:WORD_0 src1_sel:DWORD
	v_mul_i32_i24_sdwa v48, sext(v246), v48 dst_sel:DWORD dst_unused:UNUSED_PAD src0_sel:WORD_0 src1_sel:DWORD
	v_lshrrev_b32_e32 v50, 31, v49
	v_ashrrev_i32_e32 v49, 18, v49
	v_lshrrev_b32_e32 v51, 31, v48
	v_ashrrev_i32_e32 v48, 18, v48
	v_add_nc_u16 v49, v49, v50
	v_add_nc_u16 v48, v48, v51
	v_cmp_ge_i16_e64 s8, v49, v48
	s_and_b32 s61, s8, exec_lo
.LBB522_1909:
	s_or_b32 exec_lo, exec_lo, s59
	s_orn2_b32 s59, s61, exec_lo
.LBB522_1910:
	s_or_b32 exec_lo, exec_lo, s60
	v_cndmask_b32_e64 v48, v38, v39, s59
	v_cndmask_b32_e64 v49, v242, v241, s59
	s_mov_b32 s61, -1
	s_mov_b32 s60, -1
	s_mov_b32 s62, exec_lo
	v_add_nc_u32_e32 v48, 1, v48
	v_add_nc_u32_e32 v49, -1, v49
	v_cndmask_b32_e64 v38, v48, v38, s59
	v_min_u32_e32 v49, v48, v49
	v_cndmask_b32_e64 v39, v39, v48, s59
	v_lshl_add_u32 v49, v49, 1, v176
	ds_read_u16 v49, v49
	s_waitcnt lgkmcnt(0)
	v_cndmask_b32_e64 v87, v49, v96, s59
	v_cndmask_b32_e64 v247, v246, v49, s59
	v_cmpx_lt_u32_e64 v38, v242
	s_cbranch_execz .LBB522_1914
; %bb.1911:
	s_mov_b32 s63, 0
	s_mov_b32 s60, exec_lo
	v_cmpx_lt_u32_e64 v39, v241
	s_cbranch_execz .LBB522_1913
; %bb.1912:
	v_mov_b32_e32 v48, 0x6667
	v_mul_i32_i24_sdwa v49, sext(v87), v48 dst_sel:DWORD dst_unused:UNUSED_PAD src0_sel:WORD_0 src1_sel:DWORD
	v_mul_i32_i24_sdwa v48, sext(v247), v48 dst_sel:DWORD dst_unused:UNUSED_PAD src0_sel:WORD_0 src1_sel:DWORD
	v_lshrrev_b32_e32 v50, 31, v49
	v_ashrrev_i32_e32 v49, 18, v49
	v_lshrrev_b32_e32 v51, 31, v48
	v_ashrrev_i32_e32 v48, 18, v48
	v_add_nc_u16 v49, v49, v50
	v_add_nc_u16 v48, v48, v51
	v_cmp_ge_i16_e64 s8, v49, v48
	s_and_b32 s63, s8, exec_lo
.LBB522_1913:
	s_or_b32 exec_lo, exec_lo, s60
	s_orn2_b32 s60, s63, exec_lo
.LBB522_1914:
	s_or_b32 exec_lo, exec_lo, s62
	v_cndmask_b32_e64 v48, v38, v39, s60
	v_cndmask_b32_e64 v49, v242, v241, s60
	s_mov_b32 s62, exec_lo
	v_add_nc_u32_e32 v48, 1, v48
	v_add_nc_u32_e32 v49, -1, v49
	v_cndmask_b32_e64 v38, v48, v38, s60
	v_min_u32_e32 v49, v48, v49
	v_cndmask_b32_e64 v39, v39, v48, s60
	v_lshl_add_u32 v49, v49, 1, v176
	ds_read_u16 v49, v49
	s_waitcnt lgkmcnt(0)
	v_cndmask_b32_e64 v86, v49, v87, s60
	v_cndmask_b32_e64 v40, v247, v49, s60
	v_cmpx_lt_u32_e64 v38, v242
	s_cbranch_execz .LBB522_1918
; %bb.1915:
	s_mov_b32 s63, 0
	s_mov_b32 s61, exec_lo
	v_cmpx_lt_u32_e64 v39, v241
	s_cbranch_execz .LBB522_1917
; %bb.1916:
	v_mov_b32_e32 v48, 0x6667
	v_mul_i32_i24_sdwa v49, sext(v86), v48 dst_sel:DWORD dst_unused:UNUSED_PAD src0_sel:WORD_0 src1_sel:DWORD
	v_mul_i32_i24_sdwa v48, sext(v40), v48 dst_sel:DWORD dst_unused:UNUSED_PAD src0_sel:WORD_0 src1_sel:DWORD
	v_lshrrev_b32_e32 v50, 31, v49
	v_ashrrev_i32_e32 v49, 18, v49
	v_lshrrev_b32_e32 v51, 31, v48
	v_ashrrev_i32_e32 v48, 18, v48
	v_add_nc_u16 v49, v49, v50
	v_add_nc_u16 v48, v48, v51
	v_cmp_ge_i16_e64 s8, v49, v48
	s_and_b32 s63, s8, exec_lo
.LBB522_1917:
	s_or_b32 exec_lo, exec_lo, s61
	s_orn2_b32 s61, s63, exec_lo
.LBB522_1918:
	s_or_b32 exec_lo, exec_lo, s62
	v_cndmask_b32_e64 v48, v38, v39, s61
	v_cndmask_b32_e64 v49, v242, v241, s61
	s_mov_b32 s63, -1
	s_mov_b32 s62, -1
	s_mov_b32 s72, exec_lo
	v_add_nc_u32_e32 v48, 1, v48
	v_add_nc_u32_e32 v49, -1, v49
	v_cndmask_b32_e64 v38, v48, v38, s61
	v_min_u32_e32 v49, v48, v49
	v_cndmask_b32_e64 v39, v39, v48, s61
	v_lshl_add_u32 v49, v49, 1, v176
	ds_read_u16 v49, v49
	s_waitcnt lgkmcnt(0)
	v_cndmask_b32_e64 v85, v49, v86, s61
	v_cndmask_b32_e64 v41, v40, v49, s61
	v_cmpx_lt_u32_e64 v38, v242
	s_cbranch_execz .LBB522_1922
; %bb.1919:
	s_mov_b32 s73, 0
	s_mov_b32 s62, exec_lo
	v_cmpx_lt_u32_e64 v39, v241
	s_cbranch_execz .LBB522_1921
; %bb.1920:
	v_mov_b32_e32 v48, 0x6667
	v_mul_i32_i24_sdwa v49, sext(v85), v48 dst_sel:DWORD dst_unused:UNUSED_PAD src0_sel:WORD_0 src1_sel:DWORD
	v_mul_i32_i24_sdwa v48, sext(v41), v48 dst_sel:DWORD dst_unused:UNUSED_PAD src0_sel:WORD_0 src1_sel:DWORD
	v_lshrrev_b32_e32 v50, 31, v49
	v_ashrrev_i32_e32 v49, 18, v49
	v_lshrrev_b32_e32 v51, 31, v48
	v_ashrrev_i32_e32 v48, 18, v48
	v_add_nc_u16 v49, v49, v50
	v_add_nc_u16 v48, v48, v51
	v_cmp_ge_i16_e64 s8, v49, v48
	s_and_b32 s73, s8, exec_lo
.LBB522_1921:
	s_or_b32 exec_lo, exec_lo, s62
	s_orn2_b32 s62, s73, exec_lo
.LBB522_1922:
	s_or_b32 exec_lo, exec_lo, s72
	v_cndmask_b32_e64 v48, v38, v39, s62
	v_cndmask_b32_e64 v49, v242, v241, s62
	s_mov_b32 s72, exec_lo
	v_add_nc_u32_e32 v48, 1, v48
	v_add_nc_u32_e32 v49, -1, v49
	v_cndmask_b32_e64 v38, v48, v38, s62
	v_min_u32_e32 v49, v48, v49
	v_cndmask_b32_e64 v39, v39, v48, s62
	v_lshl_add_u32 v49, v49, 1, v176
	ds_read_u16 v49, v49
	s_waitcnt lgkmcnt(0)
	v_cndmask_b32_e64 v84, v49, v85, s62
	v_cndmask_b32_e64 v42, v41, v49, s62
	v_cmpx_lt_u32_e64 v38, v242
	s_cbranch_execz .LBB522_1926
; %bb.1923:
	s_mov_b32 s73, 0
	s_mov_b32 s63, exec_lo
	v_cmpx_lt_u32_e64 v39, v241
	s_cbranch_execz .LBB522_1925
; %bb.1924:
	v_mov_b32_e32 v48, 0x6667
	v_mul_i32_i24_sdwa v49, sext(v84), v48 dst_sel:DWORD dst_unused:UNUSED_PAD src0_sel:WORD_0 src1_sel:DWORD
	v_mul_i32_i24_sdwa v48, sext(v42), v48 dst_sel:DWORD dst_unused:UNUSED_PAD src0_sel:WORD_0 src1_sel:DWORD
	v_lshrrev_b32_e32 v50, 31, v49
	v_ashrrev_i32_e32 v49, 18, v49
	v_lshrrev_b32_e32 v51, 31, v48
	v_ashrrev_i32_e32 v48, 18, v48
	v_add_nc_u16 v49, v49, v50
	v_add_nc_u16 v48, v48, v51
	v_cmp_ge_i16_e64 s8, v49, v48
	s_and_b32 s73, s8, exec_lo
.LBB522_1925:
	s_or_b32 exec_lo, exec_lo, s63
	s_orn2_b32 s63, s73, exec_lo
.LBB522_1926:
	s_or_b32 exec_lo, exec_lo, s72
	v_cndmask_b32_e64 v48, v38, v39, s63
	v_cndmask_b32_e64 v49, v242, v241, s63
	s_mov_b32 s73, -1
	s_mov_b32 s72, -1
	s_mov_b32 s74, exec_lo
	v_add_nc_u32_e32 v48, 1, v48
	v_add_nc_u32_e32 v49, -1, v49
	v_cndmask_b32_e64 v38, v48, v38, s63
	v_min_u32_e32 v49, v48, v49
	v_cndmask_b32_e64 v39, v39, v48, s63
	v_lshl_add_u32 v49, v49, 1, v176
	ds_read_u16 v49, v49
	s_waitcnt lgkmcnt(0)
	v_cndmask_b32_e64 v83, v49, v84, s63
	v_cndmask_b32_e64 v43, v42, v49, s63
	v_cmpx_lt_u32_e64 v38, v242
	s_cbranch_execz .LBB522_1930
; %bb.1927:
	s_mov_b32 s75, 0
	s_mov_b32 s72, exec_lo
	v_cmpx_lt_u32_e64 v39, v241
	s_cbranch_execz .LBB522_1929
; %bb.1928:
	v_mov_b32_e32 v48, 0x6667
	v_mul_i32_i24_sdwa v49, sext(v83), v48 dst_sel:DWORD dst_unused:UNUSED_PAD src0_sel:WORD_0 src1_sel:DWORD
	v_mul_i32_i24_sdwa v48, sext(v43), v48 dst_sel:DWORD dst_unused:UNUSED_PAD src0_sel:WORD_0 src1_sel:DWORD
	v_lshrrev_b32_e32 v50, 31, v49
	v_ashrrev_i32_e32 v49, 18, v49
	v_lshrrev_b32_e32 v51, 31, v48
	v_ashrrev_i32_e32 v48, 18, v48
	v_add_nc_u16 v49, v49, v50
	v_add_nc_u16 v48, v48, v51
	v_cmp_ge_i16_e64 s8, v49, v48
	s_and_b32 s75, s8, exec_lo
.LBB522_1929:
	s_or_b32 exec_lo, exec_lo, s72
	s_orn2_b32 s72, s75, exec_lo
.LBB522_1930:
	s_or_b32 exec_lo, exec_lo, s74
	v_cndmask_b32_e64 v48, v38, v39, s72
	v_cndmask_b32_e64 v49, v242, v241, s72
	s_mov_b32 s74, exec_lo
	v_add_nc_u32_e32 v48, 1, v48
	v_add_nc_u32_e32 v49, -1, v49
	v_cndmask_b32_e64 v38, v48, v38, s72
	v_min_u32_e32 v49, v48, v49
	v_cndmask_b32_e64 v39, v39, v48, s72
	v_lshl_add_u32 v49, v49, 1, v176
	ds_read_u16 v49, v49
	s_waitcnt lgkmcnt(0)
	v_cndmask_b32_e64 v82, v49, v83, s72
	v_cndmask_b32_e64 v44, v43, v49, s72
	v_cmpx_lt_u32_e64 v38, v242
	s_cbranch_execz .LBB522_1934
; %bb.1931:
	s_mov_b32 s75, 0
	s_mov_b32 s73, exec_lo
	v_cmpx_lt_u32_e64 v39, v241
	s_cbranch_execz .LBB522_1933
; %bb.1932:
	v_mov_b32_e32 v48, 0x6667
	v_mul_i32_i24_sdwa v49, sext(v82), v48 dst_sel:DWORD dst_unused:UNUSED_PAD src0_sel:WORD_0 src1_sel:DWORD
	v_mul_i32_i24_sdwa v48, sext(v44), v48 dst_sel:DWORD dst_unused:UNUSED_PAD src0_sel:WORD_0 src1_sel:DWORD
	v_lshrrev_b32_e32 v50, 31, v49
	v_ashrrev_i32_e32 v49, 18, v49
	v_lshrrev_b32_e32 v51, 31, v48
	v_ashrrev_i32_e32 v48, 18, v48
	v_add_nc_u16 v49, v49, v50
	v_add_nc_u16 v48, v48, v51
	v_cmp_ge_i16_e64 s8, v49, v48
	s_and_b32 s75, s8, exec_lo
.LBB522_1933:
	s_or_b32 exec_lo, exec_lo, s73
	s_orn2_b32 s73, s75, exec_lo
.LBB522_1934:
	s_or_b32 exec_lo, exec_lo, s74
	v_cndmask_b32_e64 v48, v38, v39, s73
	v_cndmask_b32_e64 v49, v242, v241, s73
	s_mov_b32 s75, -1
	s_mov_b32 s74, -1
	s_mov_b32 s76, exec_lo
	v_add_nc_u32_e32 v48, 1, v48
	v_add_nc_u32_e32 v49, -1, v49
	v_cndmask_b32_e64 v38, v48, v38, s73
	v_min_u32_e32 v49, v48, v49
	v_cndmask_b32_e64 v39, v39, v48, s73
	v_lshl_add_u32 v49, v49, 1, v176
	ds_read_u16 v49, v49
	s_waitcnt lgkmcnt(0)
	v_cndmask_b32_e64 v81, v49, v82, s73
	v_cndmask_b32_e64 v45, v44, v49, s73
	v_cmpx_lt_u32_e64 v38, v242
	s_cbranch_execz .LBB522_1938
; %bb.1935:
	s_mov_b32 s77, 0
	s_mov_b32 s74, exec_lo
	v_cmpx_lt_u32_e64 v39, v241
	s_cbranch_execz .LBB522_1937
; %bb.1936:
	v_mov_b32_e32 v48, 0x6667
	v_mul_i32_i24_sdwa v49, sext(v81), v48 dst_sel:DWORD dst_unused:UNUSED_PAD src0_sel:WORD_0 src1_sel:DWORD
	v_mul_i32_i24_sdwa v48, sext(v45), v48 dst_sel:DWORD dst_unused:UNUSED_PAD src0_sel:WORD_0 src1_sel:DWORD
	v_lshrrev_b32_e32 v50, 31, v49
	v_ashrrev_i32_e32 v49, 18, v49
	v_lshrrev_b32_e32 v51, 31, v48
	v_ashrrev_i32_e32 v48, 18, v48
	v_add_nc_u16 v49, v49, v50
	v_add_nc_u16 v48, v48, v51
	v_cmp_ge_i16_e64 s8, v49, v48
	s_and_b32 s77, s8, exec_lo
.LBB522_1937:
	s_or_b32 exec_lo, exec_lo, s74
	s_orn2_b32 s74, s77, exec_lo
.LBB522_1938:
	s_or_b32 exec_lo, exec_lo, s76
	v_cndmask_b32_e64 v48, v38, v39, s74
	v_cndmask_b32_e64 v49, v242, v241, s74
	s_mov_b32 s76, exec_lo
	v_add_nc_u32_e32 v48, 1, v48
	v_add_nc_u32_e32 v49, -1, v49
	v_cndmask_b32_e64 v38, v48, v38, s74
	v_min_u32_e32 v49, v48, v49
	v_cndmask_b32_e64 v39, v39, v48, s74
	v_lshl_add_u32 v49, v49, 1, v176
	ds_read_u16 v49, v49
	s_waitcnt lgkmcnt(0)
	v_cndmask_b32_e64 v80, v49, v81, s74
	v_cndmask_b32_e64 v46, v45, v49, s74
	v_cmpx_lt_u32_e64 v38, v242
	s_cbranch_execz .LBB522_1942
; %bb.1939:
	s_mov_b32 s77, 0
	s_mov_b32 s75, exec_lo
	v_cmpx_lt_u32_e64 v39, v241
	s_cbranch_execz .LBB522_1941
; %bb.1940:
	v_mov_b32_e32 v48, 0x6667
	v_mul_i32_i24_sdwa v49, sext(v80), v48 dst_sel:DWORD dst_unused:UNUSED_PAD src0_sel:WORD_0 src1_sel:DWORD
	v_mul_i32_i24_sdwa v48, sext(v46), v48 dst_sel:DWORD dst_unused:UNUSED_PAD src0_sel:WORD_0 src1_sel:DWORD
	v_lshrrev_b32_e32 v50, 31, v49
	v_ashrrev_i32_e32 v49, 18, v49
	v_lshrrev_b32_e32 v51, 31, v48
	v_ashrrev_i32_e32 v48, 18, v48
	v_add_nc_u16 v49, v49, v50
	v_add_nc_u16 v48, v48, v51
	v_cmp_ge_i16_e64 s8, v49, v48
	s_and_b32 s77, s8, exec_lo
.LBB522_1941:
	s_or_b32 exec_lo, exec_lo, s75
	s_orn2_b32 s75, s77, exec_lo
.LBB522_1942:
	s_or_b32 exec_lo, exec_lo, s76
	v_cndmask_b32_e64 v48, v38, v39, s75
	v_cndmask_b32_e64 v49, v242, v241, s75
	s_mov_b32 s77, -1
	s_mov_b32 s76, -1
	s_mov_b32 s78, exec_lo
	v_add_nc_u32_e32 v48, 1, v48
	v_add_nc_u32_e32 v49, -1, v49
	v_cndmask_b32_e64 v38, v48, v38, s75
	v_min_u32_e32 v49, v48, v49
	v_cndmask_b32_e64 v39, v39, v48, s75
	v_lshl_add_u32 v49, v49, 1, v176
	ds_read_u16 v49, v49
	s_waitcnt lgkmcnt(0)
	v_cndmask_b32_e64 v71, v49, v80, s75
	v_cndmask_b32_e64 v47, v46, v49, s75
	v_cmpx_lt_u32_e64 v38, v242
	s_cbranch_execz .LBB522_1946
; %bb.1943:
	s_mov_b32 s79, 0
	s_mov_b32 s76, exec_lo
	v_cmpx_lt_u32_e64 v39, v241
	s_cbranch_execz .LBB522_1945
; %bb.1944:
	v_mov_b32_e32 v48, 0x6667
	v_mul_i32_i24_sdwa v49, sext(v71), v48 dst_sel:DWORD dst_unused:UNUSED_PAD src0_sel:WORD_0 src1_sel:DWORD
	v_mul_i32_i24_sdwa v48, sext(v47), v48 dst_sel:DWORD dst_unused:UNUSED_PAD src0_sel:WORD_0 src1_sel:DWORD
	v_lshrrev_b32_e32 v50, 31, v49
	v_ashrrev_i32_e32 v49, 18, v49
	v_lshrrev_b32_e32 v51, 31, v48
	v_ashrrev_i32_e32 v48, 18, v48
	v_add_nc_u16 v49, v49, v50
	v_add_nc_u16 v48, v48, v51
	v_cmp_ge_i16_e64 s8, v49, v48
	s_and_b32 s79, s8, exec_lo
.LBB522_1945:
	s_or_b32 exec_lo, exec_lo, s76
	s_orn2_b32 s76, s79, exec_lo
.LBB522_1946:
	s_or_b32 exec_lo, exec_lo, s78
	v_cndmask_b32_e64 v48, v38, v39, s76
	v_cndmask_b32_e64 v49, v242, v241, s76
	s_mov_b32 s78, exec_lo
	v_add_nc_u32_e32 v48, 1, v48
	v_add_nc_u32_e32 v49, -1, v49
	v_cndmask_b32_e64 v38, v48, v38, s76
	v_min_u32_e32 v49, v48, v49
	v_cndmask_b32_e64 v39, v39, v48, s76
	v_lshl_add_u32 v49, v49, 1, v176
	ds_read_u16 v49, v49
	s_waitcnt lgkmcnt(0)
	v_cndmask_b32_e64 v70, v49, v71, s76
	v_cndmask_b32_e64 v56, v47, v49, s76
	v_cmpx_lt_u32_e64 v38, v242
	s_cbranch_execz .LBB522_1950
; %bb.1947:
	s_mov_b32 s79, 0
	s_mov_b32 s77, exec_lo
	v_cmpx_lt_u32_e64 v39, v241
	s_cbranch_execz .LBB522_1949
; %bb.1948:
	v_mov_b32_e32 v48, 0x6667
	v_mul_i32_i24_sdwa v49, sext(v70), v48 dst_sel:DWORD dst_unused:UNUSED_PAD src0_sel:WORD_0 src1_sel:DWORD
	v_mul_i32_i24_sdwa v48, sext(v56), v48 dst_sel:DWORD dst_unused:UNUSED_PAD src0_sel:WORD_0 src1_sel:DWORD
	v_lshrrev_b32_e32 v50, 31, v49
	v_ashrrev_i32_e32 v49, 18, v49
	v_lshrrev_b32_e32 v51, 31, v48
	v_ashrrev_i32_e32 v48, 18, v48
	v_add_nc_u16 v49, v49, v50
	v_add_nc_u16 v48, v48, v51
	v_cmp_ge_i16_e64 s8, v49, v48
	s_and_b32 s79, s8, exec_lo
.LBB522_1949:
	s_or_b32 exec_lo, exec_lo, s77
	s_orn2_b32 s77, s79, exec_lo
.LBB522_1950:
	s_or_b32 exec_lo, exec_lo, s78
	v_cndmask_b32_e64 v48, v38, v39, s77
	v_cndmask_b32_e64 v49, v242, v241, s77
	s_mov_b32 s79, -1
	s_mov_b32 s78, -1
	s_mov_b32 s88, exec_lo
	v_add_nc_u32_e32 v48, 1, v48
	v_add_nc_u32_e32 v49, -1, v49
	v_cndmask_b32_e64 v38, v48, v38, s77
	v_min_u32_e32 v49, v48, v49
	v_cndmask_b32_e64 v39, v39, v48, s77
	v_lshl_add_u32 v49, v49, 1, v176
	ds_read_u16 v49, v49
	s_waitcnt lgkmcnt(0)
	v_cndmask_b32_e64 v69, v49, v70, s77
	v_cndmask_b32_e64 v57, v56, v49, s77
	v_cmpx_lt_u32_e64 v38, v242
	s_cbranch_execz .LBB522_1954
; %bb.1951:
	s_mov_b32 s89, 0
	s_mov_b32 s78, exec_lo
	v_cmpx_lt_u32_e64 v39, v241
	s_cbranch_execz .LBB522_1953
; %bb.1952:
	v_mov_b32_e32 v48, 0x6667
	v_mul_i32_i24_sdwa v49, sext(v69), v48 dst_sel:DWORD dst_unused:UNUSED_PAD src0_sel:WORD_0 src1_sel:DWORD
	v_mul_i32_i24_sdwa v48, sext(v57), v48 dst_sel:DWORD dst_unused:UNUSED_PAD src0_sel:WORD_0 src1_sel:DWORD
	v_lshrrev_b32_e32 v50, 31, v49
	v_ashrrev_i32_e32 v49, 18, v49
	v_lshrrev_b32_e32 v51, 31, v48
	v_ashrrev_i32_e32 v48, 18, v48
	v_add_nc_u16 v49, v49, v50
	v_add_nc_u16 v48, v48, v51
	v_cmp_ge_i16_e64 s8, v49, v48
	s_and_b32 s89, s8, exec_lo
.LBB522_1953:
	s_or_b32 exec_lo, exec_lo, s78
	s_orn2_b32 s78, s89, exec_lo
.LBB522_1954:
	s_or_b32 exec_lo, exec_lo, s88
	v_cndmask_b32_e64 v48, v38, v39, s78
	v_cndmask_b32_e64 v49, v242, v241, s78
	s_mov_b32 s88, exec_lo
	v_add_nc_u32_e32 v48, 1, v48
	v_add_nc_u32_e32 v49, -1, v49
	v_cndmask_b32_e64 v38, v48, v38, s78
	v_min_u32_e32 v49, v48, v49
	v_cndmask_b32_e64 v39, v39, v48, s78
	v_lshl_add_u32 v49, v49, 1, v176
	ds_read_u16 v49, v49
	s_waitcnt lgkmcnt(0)
	v_cndmask_b32_e64 v68, v49, v69, s78
	v_cndmask_b32_e64 v58, v57, v49, s78
	v_cmpx_lt_u32_e64 v38, v242
	s_cbranch_execz .LBB522_1958
; %bb.1955:
	s_mov_b32 s89, 0
	s_mov_b32 s79, exec_lo
	v_cmpx_lt_u32_e64 v39, v241
	s_cbranch_execz .LBB522_1957
; %bb.1956:
	v_mov_b32_e32 v48, 0x6667
	v_mul_i32_i24_sdwa v49, sext(v68), v48 dst_sel:DWORD dst_unused:UNUSED_PAD src0_sel:WORD_0 src1_sel:DWORD
	v_mul_i32_i24_sdwa v48, sext(v58), v48 dst_sel:DWORD dst_unused:UNUSED_PAD src0_sel:WORD_0 src1_sel:DWORD
	v_lshrrev_b32_e32 v50, 31, v49
	v_ashrrev_i32_e32 v49, 18, v49
	v_lshrrev_b32_e32 v51, 31, v48
	v_ashrrev_i32_e32 v48, 18, v48
	v_add_nc_u16 v49, v49, v50
	v_add_nc_u16 v48, v48, v51
	v_cmp_ge_i16_e64 s8, v49, v48
	s_and_b32 s89, s8, exec_lo
.LBB522_1957:
	s_or_b32 exec_lo, exec_lo, s79
	s_orn2_b32 s79, s89, exec_lo
.LBB522_1958:
	s_or_b32 exec_lo, exec_lo, s88
	v_cndmask_b32_e64 v48, v38, v39, s79
	v_cndmask_b32_e64 v49, v242, v241, s79
	s_mov_b32 s89, -1
	s_mov_b32 s88, -1
	s_mov_b32 s90, exec_lo
	v_add_nc_u32_e32 v48, 1, v48
	v_add_nc_u32_e32 v49, -1, v49
	v_cndmask_b32_e64 v38, v48, v38, s79
	v_min_u32_e32 v49, v48, v49
	v_cndmask_b32_e64 v39, v39, v48, s79
	v_lshl_add_u32 v49, v49, 1, v176
	ds_read_u16 v49, v49
	s_waitcnt lgkmcnt(0)
	v_cndmask_b32_e64 v67, v49, v68, s79
	v_cndmask_b32_e64 v59, v58, v49, s79
	v_cmpx_lt_u32_e64 v38, v242
	s_cbranch_execz .LBB522_1962
; %bb.1959:
	s_mov_b32 s91, 0
	s_mov_b32 s88, exec_lo
	v_cmpx_lt_u32_e64 v39, v241
	s_cbranch_execz .LBB522_1961
; %bb.1960:
	v_mov_b32_e32 v48, 0x6667
	v_mul_i32_i24_sdwa v49, sext(v67), v48 dst_sel:DWORD dst_unused:UNUSED_PAD src0_sel:WORD_0 src1_sel:DWORD
	v_mul_i32_i24_sdwa v48, sext(v59), v48 dst_sel:DWORD dst_unused:UNUSED_PAD src0_sel:WORD_0 src1_sel:DWORD
	v_lshrrev_b32_e32 v50, 31, v49
	v_ashrrev_i32_e32 v49, 18, v49
	v_lshrrev_b32_e32 v51, 31, v48
	v_ashrrev_i32_e32 v48, 18, v48
	v_add_nc_u16 v49, v49, v50
	v_add_nc_u16 v48, v48, v51
	v_cmp_ge_i16_e64 s8, v49, v48
	s_and_b32 s91, s8, exec_lo
.LBB522_1961:
	s_or_b32 exec_lo, exec_lo, s88
	s_orn2_b32 s88, s91, exec_lo
.LBB522_1962:
	s_or_b32 exec_lo, exec_lo, s90
	v_cndmask_b32_e64 v48, v38, v39, s88
	v_cndmask_b32_e64 v49, v242, v241, s88
	s_mov_b32 s90, exec_lo
	v_add_nc_u32_e32 v48, 1, v48
	v_add_nc_u32_e32 v49, -1, v49
	v_cndmask_b32_e64 v38, v48, v38, s88
	v_min_u32_e32 v49, v48, v49
	v_cndmask_b32_e64 v39, v39, v48, s88
	v_lshl_add_u32 v49, v49, 1, v176
	ds_read_u16 v49, v49
	s_waitcnt lgkmcnt(0)
	v_cndmask_b32_e64 v66, v49, v67, s88
	v_cndmask_b32_e64 v60, v59, v49, s88
	v_cmpx_lt_u32_e64 v38, v242
	s_cbranch_execz .LBB522_1966
; %bb.1963:
	s_mov_b32 s91, 0
	s_mov_b32 s89, exec_lo
	v_cmpx_lt_u32_e64 v39, v241
	s_cbranch_execz .LBB522_1965
; %bb.1964:
	v_mov_b32_e32 v48, 0x6667
	v_mul_i32_i24_sdwa v49, sext(v66), v48 dst_sel:DWORD dst_unused:UNUSED_PAD src0_sel:WORD_0 src1_sel:DWORD
	v_mul_i32_i24_sdwa v48, sext(v60), v48 dst_sel:DWORD dst_unused:UNUSED_PAD src0_sel:WORD_0 src1_sel:DWORD
	v_lshrrev_b32_e32 v50, 31, v49
	v_ashrrev_i32_e32 v49, 18, v49
	v_lshrrev_b32_e32 v51, 31, v48
	v_ashrrev_i32_e32 v48, 18, v48
	v_add_nc_u16 v49, v49, v50
	v_add_nc_u16 v48, v48, v51
	v_cmp_ge_i16_e64 s8, v49, v48
	s_and_b32 s91, s8, exec_lo
.LBB522_1965:
	s_or_b32 exec_lo, exec_lo, s89
	s_orn2_b32 s89, s91, exec_lo
.LBB522_1966:
	s_or_b32 exec_lo, exec_lo, s90
	v_cndmask_b32_e64 v48, v38, v39, s89
	v_cndmask_b32_e64 v49, v242, v241, s89
	s_mov_b32 s91, -1
	s_mov_b32 s90, -1
	s_mov_b32 s92, exec_lo
	v_add_nc_u32_e32 v48, 1, v48
	v_add_nc_u32_e32 v49, -1, v49
	v_cndmask_b32_e64 v38, v48, v38, s89
	v_min_u32_e32 v49, v48, v49
	v_cndmask_b32_e64 v39, v39, v48, s89
	v_lshl_add_u32 v49, v49, 1, v176
	ds_read_u16 v49, v49
	s_waitcnt lgkmcnt(0)
	v_cndmask_b32_e64 v65, v49, v66, s89
	v_cndmask_b32_e64 v61, v60, v49, s89
	v_cmpx_lt_u32_e64 v38, v242
	s_cbranch_execz .LBB522_1970
; %bb.1967:
	s_mov_b32 s93, 0
	s_mov_b32 s90, exec_lo
	v_cmpx_lt_u32_e64 v39, v241
	s_cbranch_execz .LBB522_1969
; %bb.1968:
	v_mov_b32_e32 v48, 0x6667
	v_mul_i32_i24_sdwa v49, sext(v65), v48 dst_sel:DWORD dst_unused:UNUSED_PAD src0_sel:WORD_0 src1_sel:DWORD
	v_mul_i32_i24_sdwa v48, sext(v61), v48 dst_sel:DWORD dst_unused:UNUSED_PAD src0_sel:WORD_0 src1_sel:DWORD
	v_lshrrev_b32_e32 v50, 31, v49
	v_ashrrev_i32_e32 v49, 18, v49
	v_lshrrev_b32_e32 v51, 31, v48
	v_ashrrev_i32_e32 v48, 18, v48
	v_add_nc_u16 v49, v49, v50
	v_add_nc_u16 v48, v48, v51
	v_cmp_ge_i16_e64 s8, v49, v48
	s_and_b32 s93, s8, exec_lo
.LBB522_1969:
	s_or_b32 exec_lo, exec_lo, s90
	s_orn2_b32 s90, s93, exec_lo
.LBB522_1970:
	s_or_b32 exec_lo, exec_lo, s92
	v_cndmask_b32_e64 v48, v38, v39, s90
	v_cndmask_b32_e64 v49, v242, v241, s90
	s_mov_b32 s92, exec_lo
	v_add_nc_u32_e32 v48, 1, v48
	v_add_nc_u32_e32 v49, -1, v49
	v_cndmask_b32_e64 v38, v48, v38, s90
	v_min_u32_e32 v49, v48, v49
	v_cndmask_b32_e64 v39, v39, v48, s90
	v_lshl_add_u32 v49, v49, 1, v176
	ds_read_u16 v49, v49
	s_waitcnt lgkmcnt(0)
	v_cndmask_b32_e64 v64, v49, v65, s90
	v_cndmask_b32_e64 v62, v61, v49, s90
	v_cmpx_lt_u32_e64 v38, v242
	s_cbranch_execz .LBB522_1974
; %bb.1971:
	s_mov_b32 s93, 0
	s_mov_b32 s91, exec_lo
	v_cmpx_lt_u32_e64 v39, v241
	s_cbranch_execz .LBB522_1973
; %bb.1972:
	v_mov_b32_e32 v48, 0x6667
	v_mul_i32_i24_sdwa v49, sext(v64), v48 dst_sel:DWORD dst_unused:UNUSED_PAD src0_sel:WORD_0 src1_sel:DWORD
	v_mul_i32_i24_sdwa v48, sext(v62), v48 dst_sel:DWORD dst_unused:UNUSED_PAD src0_sel:WORD_0 src1_sel:DWORD
	v_lshrrev_b32_e32 v50, 31, v49
	v_ashrrev_i32_e32 v49, 18, v49
	v_lshrrev_b32_e32 v51, 31, v48
	v_ashrrev_i32_e32 v48, 18, v48
	v_add_nc_u16 v49, v49, v50
	v_add_nc_u16 v48, v48, v51
	v_cmp_ge_i16_e64 s8, v49, v48
	s_and_b32 s93, s8, exec_lo
.LBB522_1973:
	s_or_b32 exec_lo, exec_lo, s91
	s_orn2_b32 s91, s93, exec_lo
.LBB522_1974:
	s_or_b32 exec_lo, exec_lo, s92
	v_cndmask_b32_e64 v48, v38, v39, s91
	v_cndmask_b32_e64 v49, v242, v241, s91
	s_mov_b32 s93, -1
	s_mov_b32 s92, -1
	s_mov_b32 s94, exec_lo
	v_add_nc_u32_e32 v48, 1, v48
	v_add_nc_u32_e32 v49, -1, v49
	v_cndmask_b32_e64 v38, v48, v38, s91
	v_min_u32_e32 v49, v48, v49
	v_cndmask_b32_e64 v39, v39, v48, s91
	v_lshl_add_u32 v49, v49, 1, v176
	ds_read_u16 v49, v49
	s_waitcnt lgkmcnt(0)
	v_cndmask_b32_e64 v55, v49, v64, s91
	v_cndmask_b32_e64 v63, v62, v49, s91
	v_cmpx_lt_u32_e64 v38, v242
	s_cbranch_execz .LBB522_1978
; %bb.1975:
	s_mov_b32 s95, 0
	s_mov_b32 s92, exec_lo
	v_cmpx_lt_u32_e64 v39, v241
	s_cbranch_execz .LBB522_1977
; %bb.1976:
	v_mov_b32_e32 v48, 0x6667
	v_mul_i32_i24_sdwa v49, sext(v55), v48 dst_sel:DWORD dst_unused:UNUSED_PAD src0_sel:WORD_0 src1_sel:DWORD
	v_mul_i32_i24_sdwa v48, sext(v63), v48 dst_sel:DWORD dst_unused:UNUSED_PAD src0_sel:WORD_0 src1_sel:DWORD
	v_lshrrev_b32_e32 v50, 31, v49
	v_ashrrev_i32_e32 v49, 18, v49
	v_lshrrev_b32_e32 v51, 31, v48
	v_ashrrev_i32_e32 v48, 18, v48
	v_add_nc_u16 v49, v49, v50
	v_add_nc_u16 v48, v48, v51
	v_cmp_ge_i16_e64 s8, v49, v48
	s_and_b32 s95, s8, exec_lo
.LBB522_1977:
	s_or_b32 exec_lo, exec_lo, s92
	s_orn2_b32 s92, s95, exec_lo
.LBB522_1978:
	s_or_b32 exec_lo, exec_lo, s94
	v_cndmask_b32_e64 v48, v38, v39, s92
	v_cndmask_b32_e64 v49, v242, v241, s92
	s_mov_b32 s94, exec_lo
	v_add_nc_u32_e32 v48, 1, v48
	v_add_nc_u32_e32 v49, -1, v49
	v_cndmask_b32_e64 v38, v48, v38, s92
	v_min_u32_e32 v49, v48, v49
	v_cndmask_b32_e64 v39, v39, v48, s92
	v_lshl_add_u32 v49, v49, 1, v176
	ds_read_u16 v49, v49
	s_waitcnt lgkmcnt(0)
	v_cndmask_b32_e64 v53, v49, v55, s92
	v_cndmask_b32_e64 v72, v63, v49, s92
	v_cmpx_lt_u32_e64 v38, v242
	s_cbranch_execz .LBB522_1982
; %bb.1979:
	s_mov_b32 s95, 0
	s_mov_b32 s93, exec_lo
	v_cmpx_lt_u32_e64 v39, v241
	s_cbranch_execz .LBB522_1981
; %bb.1980:
	v_mov_b32_e32 v48, 0x6667
	v_mul_i32_i24_sdwa v49, sext(v53), v48 dst_sel:DWORD dst_unused:UNUSED_PAD src0_sel:WORD_0 src1_sel:DWORD
	v_mul_i32_i24_sdwa v48, sext(v72), v48 dst_sel:DWORD dst_unused:UNUSED_PAD src0_sel:WORD_0 src1_sel:DWORD
	v_lshrrev_b32_e32 v50, 31, v49
	v_ashrrev_i32_e32 v49, 18, v49
	v_lshrrev_b32_e32 v51, 31, v48
	v_ashrrev_i32_e32 v48, 18, v48
	v_add_nc_u16 v49, v49, v50
	v_add_nc_u16 v48, v48, v51
	v_cmp_ge_i16_e64 s8, v49, v48
	s_and_b32 s95, s8, exec_lo
.LBB522_1981:
	s_or_b32 exec_lo, exec_lo, s93
	s_orn2_b32 s93, s95, exec_lo
.LBB522_1982:
	s_or_b32 exec_lo, exec_lo, s94
	v_cndmask_b32_e64 v48, v38, v39, s93
	v_cndmask_b32_e64 v49, v242, v241, s93
	s_mov_b32 s95, -1
	s_mov_b32 s94, -1
	s_mov_b32 vcc_hi, exec_lo
	v_add_nc_u32_e32 v48, 1, v48
	v_add_nc_u32_e32 v49, -1, v49
	v_cndmask_b32_e64 v38, v48, v38, s93
	v_min_u32_e32 v49, v48, v49
	v_cndmask_b32_e64 v39, v39, v48, s93
	v_lshl_add_u32 v49, v49, 1, v176
	ds_read_u16 v49, v49
	s_waitcnt lgkmcnt(0)
	v_cndmask_b32_e64 v52, v49, v53, s93
	v_cndmask_b32_e64 v73, v72, v49, s93
	v_cmpx_lt_u32_e64 v38, v242
	s_cbranch_execz .LBB522_1986
; %bb.1983:
	s_mov_b32 s30, 0
	s_mov_b32 s94, exec_lo
	v_cmpx_lt_u32_e64 v39, v241
	s_cbranch_execz .LBB522_1985
; %bb.1984:
	v_mov_b32_e32 v48, 0x6667
	v_mul_i32_i24_sdwa v49, sext(v52), v48 dst_sel:DWORD dst_unused:UNUSED_PAD src0_sel:WORD_0 src1_sel:DWORD
	v_mul_i32_i24_sdwa v48, sext(v73), v48 dst_sel:DWORD dst_unused:UNUSED_PAD src0_sel:WORD_0 src1_sel:DWORD
	v_lshrrev_b32_e32 v50, 31, v49
	v_ashrrev_i32_e32 v49, 18, v49
	v_lshrrev_b32_e32 v51, 31, v48
	v_ashrrev_i32_e32 v48, 18, v48
	v_add_nc_u16 v49, v49, v50
	v_add_nc_u16 v48, v48, v51
	v_cmp_ge_i16_e64 s8, v49, v48
	s_and_b32 s30, s8, exec_lo
.LBB522_1985:
	s_or_b32 exec_lo, exec_lo, s94
	s_orn2_b32 s94, s30, exec_lo
.LBB522_1986:
	s_or_b32 exec_lo, exec_lo, vcc_hi
	v_cndmask_b32_e64 v48, v38, v39, s94
	v_cndmask_b32_e64 v49, v242, v241, s94
	s_mov_b32 vcc_hi, exec_lo
	v_add_nc_u32_e32 v48, 1, v48
	v_add_nc_u32_e32 v49, -1, v49
	v_cndmask_b32_e64 v38, v48, v38, s94
	v_min_u32_e32 v49, v48, v49
	v_cndmask_b32_e64 v39, v39, v48, s94
	v_lshl_add_u32 v49, v49, 1, v176
	ds_read_u16 v49, v49
	s_waitcnt lgkmcnt(0)
	v_cndmask_b32_e64 v51, v49, v52, s94
	v_cndmask_b32_e64 v74, v73, v49, s94
	v_cmpx_lt_u32_e64 v38, v242
	s_cbranch_execz .LBB522_1990
; %bb.1987:
	s_mov_b32 s30, 0
	s_mov_b32 s95, exec_lo
	v_cmpx_lt_u32_e64 v39, v241
	s_cbranch_execz .LBB522_1989
; %bb.1988:
	v_mov_b32_e32 v48, 0x6667
	v_mul_i32_i24_sdwa v49, sext(v51), v48 dst_sel:DWORD dst_unused:UNUSED_PAD src0_sel:WORD_0 src1_sel:DWORD
	v_mul_i32_i24_sdwa v48, sext(v74), v48 dst_sel:DWORD dst_unused:UNUSED_PAD src0_sel:WORD_0 src1_sel:DWORD
	v_lshrrev_b32_e32 v50, 31, v49
	v_ashrrev_i32_e32 v49, 18, v49
	v_lshrrev_b32_e32 v54, 31, v48
	v_ashrrev_i32_e32 v48, 18, v48
	v_add_nc_u16 v49, v49, v50
	v_add_nc_u16 v48, v48, v54
	v_cmp_ge_i16_e64 s8, v49, v48
	s_and_b32 s30, s8, exec_lo
.LBB522_1989:
	s_or_b32 exec_lo, exec_lo, s95
	s_orn2_b32 s95, s30, exec_lo
.LBB522_1990:
	s_or_b32 exec_lo, exec_lo, vcc_hi
	v_cndmask_b32_e64 v48, v38, v39, s95
	v_cndmask_b32_e64 v49, v242, v241, s95
	s_mov_b32 s30, -1
	s_mov_b32 vcc_hi, -1
	s_mov_b32 s31, exec_lo
	v_add_nc_u32_e32 v48, 1, v48
	v_add_nc_u32_e32 v49, -1, v49
	v_cndmask_b32_e64 v38, v48, v38, s95
	v_min_u32_e32 v49, v48, v49
	v_cndmask_b32_e64 v39, v39, v48, s95
	v_lshl_add_u32 v49, v49, 1, v176
	ds_read_u16 v49, v49
	s_waitcnt lgkmcnt(0)
	v_cndmask_b32_e64 v54, v49, v51, s95
	v_cndmask_b32_e64 v75, v74, v49, s95
	v_cmpx_lt_u32_e64 v38, v242
	s_cbranch_execz .LBB522_1994
; %bb.1991:
	s_mov_b32 s34, 0
	s_mov_b32 vcc_hi, exec_lo
	v_cmpx_lt_u32_e64 v39, v241
	s_cbranch_execz .LBB522_1993
; %bb.1992:
	v_mov_b32_e32 v48, 0x6667
	v_mul_i32_i24_sdwa v49, sext(v54), v48 dst_sel:DWORD dst_unused:UNUSED_PAD src0_sel:WORD_0 src1_sel:DWORD
	v_mul_i32_i24_sdwa v48, sext(v75), v48 dst_sel:DWORD dst_unused:UNUSED_PAD src0_sel:WORD_0 src1_sel:DWORD
	v_lshrrev_b32_e32 v50, 31, v49
	v_ashrrev_i32_e32 v49, 18, v49
	v_lshrrev_b32_e32 v76, 31, v48
	v_ashrrev_i32_e32 v48, 18, v48
	v_add_nc_u16 v49, v49, v50
	v_add_nc_u16 v48, v48, v76
	v_cmp_ge_i16_e64 s8, v49, v48
	s_and_b32 s34, s8, exec_lo
.LBB522_1993:
	s_or_b32 exec_lo, exec_lo, vcc_hi
	s_orn2_b32 vcc_hi, s34, exec_lo
.LBB522_1994:
	s_or_b32 exec_lo, exec_lo, s31
	v_cndmask_b32_e64 v48, v38, v39, vcc_hi
	v_cndmask_b32_e64 v49, v242, v241, vcc_hi
	s_mov_b32 s31, exec_lo
	v_add_nc_u32_e32 v48, 1, v48
	v_add_nc_u32_e32 v49, -1, v49
	v_cndmask_b32_e64 v38, v48, v38, vcc_hi
	v_min_u32_e32 v49, v48, v49
	v_cndmask_b32_e64 v39, v39, v48, vcc_hi
	v_lshl_add_u32 v49, v49, 1, v176
	ds_read_u16 v49, v49
	s_waitcnt lgkmcnt(0)
	v_cndmask_b32_e64 v50, v49, v54, vcc_hi
	v_cndmask_b32_e64 v76, v75, v49, vcc_hi
	v_cmpx_lt_u32_e64 v38, v242
	s_cbranch_execz .LBB522_1998
; %bb.1995:
	s_mov_b32 s34, 0
	s_mov_b32 s30, exec_lo
	v_cmpx_lt_u32_e64 v39, v241
	s_cbranch_execz .LBB522_1997
; %bb.1996:
	v_mov_b32_e32 v48, 0x6667
	v_mul_i32_i24_sdwa v49, sext(v50), v48 dst_sel:DWORD dst_unused:UNUSED_PAD src0_sel:WORD_0 src1_sel:DWORD
	v_mul_i32_i24_sdwa v48, sext(v76), v48 dst_sel:DWORD dst_unused:UNUSED_PAD src0_sel:WORD_0 src1_sel:DWORD
	v_lshrrev_b32_e32 v77, 31, v49
	v_ashrrev_i32_e32 v49, 18, v49
	v_lshrrev_b32_e32 v78, 31, v48
	v_ashrrev_i32_e32 v48, 18, v48
	v_add_nc_u16 v49, v49, v77
	v_add_nc_u16 v48, v48, v78
	v_cmp_ge_i16_e64 s8, v49, v48
	s_and_b32 s34, s8, exec_lo
.LBB522_1997:
	s_or_b32 exec_lo, exec_lo, s30
	s_orn2_b32 s30, s34, exec_lo
.LBB522_1998:
	s_or_b32 exec_lo, exec_lo, s31
	v_cndmask_b32_e64 v48, v38, v39, s30
	v_cndmask_b32_e64 v49, v242, v241, s30
	s_mov_b32 s34, -1
	s_mov_b32 s31, -1
	s_mov_b32 s35, exec_lo
	v_add_nc_u32_e32 v48, 1, v48
	v_add_nc_u32_e32 v49, -1, v49
	v_cndmask_b32_e64 v38, v48, v38, s30
	v_min_u32_e32 v49, v48, v49
	v_cndmask_b32_e64 v39, v39, v48, s30
	v_lshl_add_u32 v49, v49, 1, v176
	ds_read_u16 v77, v49
	s_waitcnt lgkmcnt(0)
	v_cndmask_b32_e64 v49, v77, v50, s30
	v_cndmask_b32_e64 v77, v76, v77, s30
	v_cmpx_lt_u32_e64 v38, v242
	s_cbranch_execz .LBB522_2002
; %bb.1999:
	s_mov_b32 s38, 0
	s_mov_b32 s31, exec_lo
	v_cmpx_lt_u32_e64 v39, v241
	s_cbranch_execz .LBB522_2001
; %bb.2000:
	v_mov_b32_e32 v48, 0x6667
	v_mul_i32_i24_sdwa v78, sext(v49), v48 dst_sel:DWORD dst_unused:UNUSED_PAD src0_sel:WORD_0 src1_sel:DWORD
	v_mul_i32_i24_sdwa v48, sext(v77), v48 dst_sel:DWORD dst_unused:UNUSED_PAD src0_sel:WORD_0 src1_sel:DWORD
	v_lshrrev_b32_e32 v79, 31, v78
	v_ashrrev_i32_e32 v78, 18, v78
	v_lshrrev_b32_e32 v88, 31, v48
	v_ashrrev_i32_e32 v48, 18, v48
	v_add_nc_u16 v78, v78, v79
	v_add_nc_u16 v48, v48, v88
	v_cmp_ge_i16_e64 s8, v78, v48
	s_and_b32 s38, s8, exec_lo
.LBB522_2001:
	s_or_b32 exec_lo, exec_lo, s31
	s_orn2_b32 s31, s38, exec_lo
.LBB522_2002:
	s_or_b32 exec_lo, exec_lo, s35
	v_cndmask_b32_e64 v48, v38, v39, s31
	v_cndmask_b32_e64 v78, v242, v241, s31
	s_mov_b32 s35, exec_lo
	v_add_nc_u32_e32 v48, 1, v48
	v_add_nc_u32_e32 v78, -1, v78
	v_cndmask_b32_e64 v38, v48, v38, s31
	v_min_u32_e32 v78, v48, v78
	v_cndmask_b32_e64 v39, v39, v48, s31
	v_lshl_add_u32 v78, v78, 1, v176
	ds_read_u16 v78, v78
	s_waitcnt lgkmcnt(0)
	v_cndmask_b32_e64 v48, v78, v49, s31
	v_cndmask_b32_e64 v78, v77, v78, s31
	v_cmpx_lt_u32_e64 v38, v242
	s_cbranch_execz .LBB522_2006
; %bb.2003:
	s_mov_b32 s38, 0
	s_mov_b32 s34, exec_lo
	v_cmpx_lt_u32_e64 v39, v241
	s_cbranch_execz .LBB522_2005
; %bb.2004:
	v_mov_b32_e32 v79, 0x6667
	v_mul_i32_i24_sdwa v88, sext(v48), v79 dst_sel:DWORD dst_unused:UNUSED_PAD src0_sel:WORD_0 src1_sel:DWORD
	v_mul_i32_i24_sdwa v79, sext(v78), v79 dst_sel:DWORD dst_unused:UNUSED_PAD src0_sel:WORD_0 src1_sel:DWORD
	v_lshrrev_b32_e32 v89, 31, v88
	v_ashrrev_i32_e32 v88, 18, v88
	v_lshrrev_b32_e32 v90, 31, v79
	v_ashrrev_i32_e32 v79, 18, v79
	v_add_nc_u16 v88, v88, v89
	v_add_nc_u16 v79, v79, v90
	v_cmp_ge_i16_e64 s8, v88, v79
	s_and_b32 s38, s8, exec_lo
.LBB522_2005:
	s_or_b32 exec_lo, exec_lo, s34
	s_orn2_b32 s34, s38, exec_lo
.LBB522_2006:
	s_or_b32 exec_lo, exec_lo, s35
	v_cndmask_b32_e64 v79, v38, v39, s34
	v_cndmask_b32_e64 v88, v242, v241, s34
	s_mov_b32 s35, -1
	s_mov_b32 s38, -1
	s_mov_b32 s39, exec_lo
	v_add_nc_u32_e32 v79, 1, v79
	v_add_nc_u32_e32 v88, -1, v88
	v_cndmask_b32_e64 v38, v79, v38, s34
	v_min_u32_e32 v88, v79, v88
	v_lshl_add_u32 v88, v88, 1, v176
	ds_read_u16 v89, v88
	v_cndmask_b32_e64 v88, v39, v79, s34
	s_waitcnt lgkmcnt(0)
	v_cndmask_b32_e64 v39, v89, v48, s34
	v_cndmask_b32_e64 v79, v78, v89, s34
	v_cmpx_lt_u32_e64 v38, v242
	s_cbranch_execz .LBB522_2010
; %bb.2007:
	s_mov_b32 s48, 0
	s_mov_b32 s38, exec_lo
	v_cmpx_lt_u32_e64 v88, v241
	s_cbranch_execz .LBB522_2009
; %bb.2008:
	v_mov_b32_e32 v89, 0x6667
	v_mul_i32_i24_sdwa v90, sext(v39), v89 dst_sel:DWORD dst_unused:UNUSED_PAD src0_sel:WORD_0 src1_sel:DWORD
	v_mul_i32_i24_sdwa v89, sext(v79), v89 dst_sel:DWORD dst_unused:UNUSED_PAD src0_sel:WORD_0 src1_sel:DWORD
	v_lshrrev_b32_e32 v91, 31, v90
	v_ashrrev_i32_e32 v90, 18, v90
	v_lshrrev_b32_e32 v92, 31, v89
	v_ashrrev_i32_e32 v89, 18, v89
	v_add_nc_u16 v90, v90, v91
	v_add_nc_u16 v89, v89, v92
	v_cmp_ge_i16_e64 s8, v90, v89
	s_and_b32 s48, s8, exec_lo
.LBB522_2009:
	s_or_b32 exec_lo, exec_lo, s38
	s_orn2_b32 s38, s48, exec_lo
.LBB522_2010:
	s_or_b32 exec_lo, exec_lo, s39
	v_cndmask_b32_e64 v89, v38, v88, s38
	v_cndmask_b32_e64 v90, v242, v241, s38
	s_mov_b32 s39, exec_lo
	v_add_nc_u32_e32 v89, 1, v89
	v_add_nc_u32_e32 v90, -1, v90
	v_cndmask_b32_e64 v38, v89, v38, s38
	v_min_u32_e32 v90, v89, v90
	v_lshl_add_u32 v90, v90, 1, v176
	ds_read_u16 v91, v90
	v_cndmask_b32_e64 v90, v88, v89, s38
	s_waitcnt lgkmcnt(0)
	v_cndmask_b32_e64 v88, v91, v39, s38
	v_cndmask_b32_e64 v89, v79, v91, s38
	v_cmpx_lt_u32_e64 v38, v242
	s_cbranch_execz .LBB522_2014
; %bb.2011:
	s_mov_b32 s48, 0
	s_mov_b32 s35, exec_lo
	v_cmpx_lt_u32_e64 v90, v241
	s_cbranch_execz .LBB522_2013
; %bb.2012:
	v_mov_b32_e32 v91, 0x6667
	v_mul_i32_i24_sdwa v92, sext(v88), v91 dst_sel:DWORD dst_unused:UNUSED_PAD src0_sel:WORD_0 src1_sel:DWORD
	v_mul_i32_i24_sdwa v91, sext(v89), v91 dst_sel:DWORD dst_unused:UNUSED_PAD src0_sel:WORD_0 src1_sel:DWORD
	v_lshrrev_b32_e32 v93, 31, v92
	v_ashrrev_i32_e32 v92, 18, v92
	v_lshrrev_b32_e32 v94, 31, v91
	v_ashrrev_i32_e32 v91, 18, v91
	v_add_nc_u16 v92, v92, v93
	v_add_nc_u16 v91, v91, v94
	v_cmp_ge_i16_e64 s8, v92, v91
	s_and_b32 s48, s8, exec_lo
.LBB522_2013:
	s_or_b32 exec_lo, exec_lo, s35
	s_orn2_b32 s35, s48, exec_lo
.LBB522_2014:
	s_or_b32 exec_lo, exec_lo, s39
	v_cndmask_b32_e64 v91, v38, v90, s35
	v_cndmask_b32_e64 v92, v242, v241, s35
	s_mov_b32 s39, exec_lo
	v_add_nc_u32_e32 v91, 1, v91
	v_add_nc_u32_e32 v92, -1, v92
	v_cndmask_b32_e64 v93, v91, v38, s35
	v_min_u32_e32 v92, v91, v92
	v_lshl_add_u32 v92, v92, 1, v176
	ds_read_u16 v92, v92
	s_waitcnt lgkmcnt(0)
	v_cndmask_b32_e64 v38, v89, v92, s35
	v_cmpx_lt_u32_e64 v93, v242
	s_cbranch_execz .LBB522_2018
; %bb.2015:
	v_cndmask_b32_e64 v90, v90, v91, s35
	v_cndmask_b32_e64 v242, v92, v88, s35
	s_mov_b32 s48, exec_lo
	v_cmpx_lt_u32_e64 v90, v241
	s_cbranch_execz .LBB522_2017
; %bb.2016:
	v_mov_b32_e32 v241, 0x6667
	v_mul_i32_i24_sdwa v90, sext(v242), v241 dst_sel:DWORD dst_unused:UNUSED_PAD src0_sel:WORD_0 src1_sel:DWORD
	v_mul_i32_i24_sdwa v241, sext(v38), v241 dst_sel:DWORD dst_unused:UNUSED_PAD src0_sel:WORD_0 src1_sel:DWORD
	v_lshrrev_b32_e32 v91, 31, v90
	v_ashrrev_i32_e32 v90, 18, v90
	v_lshrrev_b32_e32 v92, 31, v241
	v_ashrrev_i32_e32 v241, 18, v241
	v_add_nc_u16 v90, v90, v91
	v_add_nc_u16 v241, v241, v92
	v_cmp_lt_i16_e64 s8, v90, v241
	v_cndmask_b32_e64 v242, v38, v242, s8
.LBB522_2017:
	s_or_b32 exec_lo, exec_lo, s48
	v_mov_b32_e32 v38, v242
.LBB522_2018:
	s_or_b32 exec_lo, exec_lo, s39
	v_cndmask_b32_e64 v39, v39, v79, s38
	v_cndmask_b32_e64 v48, v48, v78, s34
	;; [unrolled: 1-line block ×4, first 2 shown]
	v_cndmask_b32_e64 v54, v54, v75, vcc_hi
	v_cndmask_b32_e64 v51, v51, v74, s95
	v_cndmask_b32_e64 v52, v52, v73, s94
	;; [unrolled: 1-line block ×26, first 2 shown]
.LBB522_2019:
	s_or_b32 exec_lo, exec_lo, s12
	v_and_b32_e32 v243, 0x300, v178
	v_and_b32_e32 v244, 0xe0, v178
	s_mov_b32 s9, exec_lo
	; wave barrier
	v_or_b32_e32 v241, 0x80, v243
	v_min_u32_e32 v244, v177, v244
	ds_write_b16 v179, v97
	ds_write_b16 v229, v100
	;; [unrolled: 1-line block ×13, first 2 shown]
	v_min_u32_e32 v241, v177, v241
	ds_write_b16 v209, v71
	ds_write_b16 v210, v70
	;; [unrolled: 1-line block ×13, first 2 shown]
	v_add_nc_u32_e32 v242, 0x80, v241
	v_sub_nc_u32_e32 v246, v241, v243
	ds_write_b16 v180, v50
	ds_write_b16 v181, v49
	ds_write_b16 v182, v48
	ds_write_b16 v183, v39
	ds_write_b16 v1, v101
	ds_write_b16 v2, v38
	; wave barrier
	v_min_u32_e32 v242, v177, v242
	v_min_u32_e32 v246, v244, v246
	v_sub_nc_u32_e32 v245, v242, v241
	v_sub_nc_u32_e64 v245, v244, v245 clamp
	v_cmpx_lt_u32_e64 v245, v246
	s_cbranch_execz .LBB522_2023
; %bb.2020:
	v_lshlrev_b32_e32 v247, 1, v243
	v_lshlrev_b32_e32 v40, 1, v241
	s_mov_b32 s12, 0
	v_add_co_u32 v247, null, v176, v247
	v_add_co_u32 v40, null, v176, v40
	s_inst_prefetch 0x1
	.p2align	6
.LBB522_2021:                           ; =>This Inner Loop Header: Depth=1
	v_add_nc_u32_e32 v41, v246, v245
	v_lshrrev_b32_e32 v42, 1, v41
	v_and_b32_e32 v41, -2, v41
	v_xad_u32 v43, v42, -1, v244
	v_add_nc_u32_e32 v41, v247, v41
	v_lshl_add_u32 v43, v43, 1, v40
	ds_read_i16 v41, v41
	ds_read_i16 v43, v43
	s_waitcnt lgkmcnt(1)
	v_mul_i32_i24_e32 v41, 0x6667, v41
	s_waitcnt lgkmcnt(0)
	v_mul_i32_i24_e32 v43, 0x6667, v43
	v_lshrrev_b32_e32 v44, 31, v41
	v_ashrrev_i32_e32 v41, 18, v41
	v_lshrrev_b32_e32 v45, 31, v43
	v_ashrrev_i32_e32 v43, 18, v43
	v_add_nc_u16 v41, v41, v44
	v_add_nc_u32_e32 v44, 1, v42
	v_add_nc_u16 v43, v43, v45
	v_cmp_lt_i16_e64 s8, v43, v41
	v_cndmask_b32_e64 v246, v246, v42, s8
	v_cndmask_b32_e64 v245, v44, v245, s8
	v_cmp_ge_u32_e64 s8, v245, v246
	s_or_b32 s12, s8, s12
	s_andn2_b32 exec_lo, exec_lo, s12
	s_cbranch_execnz .LBB522_2021
; %bb.2022:
	s_inst_prefetch 0x2
	s_or_b32 exec_lo, exec_lo, s12
.LBB522_2023:
	s_or_b32 exec_lo, exec_lo, s9
	v_add_nc_u32_e32 v244, v241, v244
	v_add_nc_u32_e32 v243, v245, v243
	v_sub_nc_u32_e32 v244, v244, v245
	v_cmp_le_u32_e64 s8, v243, v241
	v_cmp_le_u32_e64 s9, v244, v242
	s_or_b32 s8, s8, s9
	s_and_saveexec_b32 s12, s8
	s_cbranch_execz .LBB522_2155
; %bb.2024:
	v_cmp_ge_u32_e64 s8, v243, v241
	s_mov_b32 s13, exec_lo
                                        ; implicit-def: $vgpr97
	v_cmpx_lt_u32_e64 v243, v241
; %bb.2025:
	v_lshl_add_u32 v38, v243, 1, v176
	ds_read_u16 v97, v38
; %bb.2026:
	s_or_b32 exec_lo, exec_lo, s13
	v_cmp_ge_u32_e64 s13, v244, v242
	s_mov_b32 s57, exec_lo
                                        ; implicit-def: $vgpr101
	v_cmpx_lt_u32_e64 v244, v242
; %bb.2027:
	v_lshl_add_u32 v38, v244, 1, v176
	ds_read_u16 v101, v38
; %bb.2028:
	s_or_b32 exec_lo, exec_lo, s57
	s_nor_b32 s8, s8, s13
	s_and_saveexec_b32 s9, s8
	s_cbranch_execz .LBB522_2030
; %bb.2029:
	v_mov_b32_e32 v38, 0x6667
	s_andn2_b32 s13, s13, exec_lo
	s_waitcnt lgkmcnt(0)
	v_mul_i32_i24_sdwa v39, sext(v101), v38 dst_sel:DWORD dst_unused:UNUSED_PAD src0_sel:WORD_0 src1_sel:DWORD
	v_mul_i32_i24_sdwa v38, sext(v97), v38 dst_sel:DWORD dst_unused:UNUSED_PAD src0_sel:WORD_0 src1_sel:DWORD
	v_lshrrev_b32_e32 v48, 31, v39
	v_ashrrev_i32_e32 v39, 18, v39
	v_lshrrev_b32_e32 v49, 31, v38
	v_ashrrev_i32_e32 v38, 18, v38
	v_add_nc_u16 v39, v39, v48
	v_add_nc_u16 v38, v38, v49
	v_cmp_ge_i16_e64 s8, v39, v38
	s_and_b32 s8, s8, exec_lo
	s_or_b32 s13, s13, s8
.LBB522_2030:
	s_or_b32 exec_lo, exec_lo, s9
	v_cndmask_b32_e64 v38, v244, v243, s13
	v_cndmask_b32_e64 v39, v242, v241, s13
	s_mov_b32 s57, -1
	s_mov_b32 s9, -1
	s_mov_b32 s58, exec_lo
	v_add_nc_u32_e32 v48, 1, v38
	v_add_nc_u32_e32 v38, -1, v39
	v_cndmask_b32_e64 v39, v243, v48, s13
	v_min_u32_e32 v38, v48, v38
	v_lshl_add_u32 v38, v38, 1, v176
	ds_read_u16 v49, v38
	v_cndmask_b32_e64 v38, v48, v244, s13
	s_waitcnt lgkmcnt(0)
	v_cndmask_b32_e64 v100, v49, v101, s13
	v_cndmask_b32_e64 v243, v97, v49, s13
	v_cmpx_lt_u32_e64 v38, v242
	s_cbranch_execz .LBB522_2034
; %bb.2031:
	s_mov_b32 s59, 0
	s_mov_b32 s9, exec_lo
	v_cmpx_lt_u32_e64 v39, v241
	s_cbranch_execz .LBB522_2033
; %bb.2032:
	v_mov_b32_e32 v48, 0x6667
	v_mul_i32_i24_sdwa v49, sext(v100), v48 dst_sel:DWORD dst_unused:UNUSED_PAD src0_sel:WORD_0 src1_sel:DWORD
	v_mul_i32_i24_sdwa v48, sext(v243), v48 dst_sel:DWORD dst_unused:UNUSED_PAD src0_sel:WORD_0 src1_sel:DWORD
	v_lshrrev_b32_e32 v50, 31, v49
	v_ashrrev_i32_e32 v49, 18, v49
	v_lshrrev_b32_e32 v51, 31, v48
	v_ashrrev_i32_e32 v48, 18, v48
	v_add_nc_u16 v49, v49, v50
	v_add_nc_u16 v48, v48, v51
	v_cmp_ge_i16_e64 s8, v49, v48
	s_and_b32 s59, s8, exec_lo
.LBB522_2033:
	s_or_b32 exec_lo, exec_lo, s9
	s_orn2_b32 s9, s59, exec_lo
.LBB522_2034:
	s_or_b32 exec_lo, exec_lo, s58
	v_cndmask_b32_e64 v48, v38, v39, s9
	v_cndmask_b32_e64 v49, v242, v241, s9
	s_mov_b32 s58, exec_lo
	v_add_nc_u32_e32 v48, 1, v48
	v_add_nc_u32_e32 v49, -1, v49
	v_cndmask_b32_e64 v38, v48, v38, s9
	v_min_u32_e32 v49, v48, v49
	v_cndmask_b32_e64 v39, v39, v48, s9
	v_lshl_add_u32 v49, v49, 1, v176
	ds_read_u16 v49, v49
	s_waitcnt lgkmcnt(0)
	v_cndmask_b32_e64 v99, v49, v100, s9
	v_cndmask_b32_e64 v244, v243, v49, s9
	v_cmpx_lt_u32_e64 v38, v242
	s_cbranch_execz .LBB522_2038
; %bb.2035:
	s_mov_b32 s59, 0
	s_mov_b32 s57, exec_lo
	v_cmpx_lt_u32_e64 v39, v241
	s_cbranch_execz .LBB522_2037
; %bb.2036:
	v_mov_b32_e32 v48, 0x6667
	v_mul_i32_i24_sdwa v49, sext(v99), v48 dst_sel:DWORD dst_unused:UNUSED_PAD src0_sel:WORD_0 src1_sel:DWORD
	v_mul_i32_i24_sdwa v48, sext(v244), v48 dst_sel:DWORD dst_unused:UNUSED_PAD src0_sel:WORD_0 src1_sel:DWORD
	v_lshrrev_b32_e32 v50, 31, v49
	v_ashrrev_i32_e32 v49, 18, v49
	v_lshrrev_b32_e32 v51, 31, v48
	v_ashrrev_i32_e32 v48, 18, v48
	v_add_nc_u16 v49, v49, v50
	v_add_nc_u16 v48, v48, v51
	v_cmp_ge_i16_e64 s8, v49, v48
	s_and_b32 s59, s8, exec_lo
.LBB522_2037:
	s_or_b32 exec_lo, exec_lo, s57
	s_orn2_b32 s57, s59, exec_lo
.LBB522_2038:
	s_or_b32 exec_lo, exec_lo, s58
	v_cndmask_b32_e64 v48, v38, v39, s57
	v_cndmask_b32_e64 v49, v242, v241, s57
	s_mov_b32 s59, -1
	s_mov_b32 s58, -1
	s_mov_b32 s60, exec_lo
	v_add_nc_u32_e32 v48, 1, v48
	v_add_nc_u32_e32 v49, -1, v49
	v_cndmask_b32_e64 v38, v48, v38, s57
	v_min_u32_e32 v49, v48, v49
	v_cndmask_b32_e64 v39, v39, v48, s57
	v_lshl_add_u32 v49, v49, 1, v176
	ds_read_u16 v49, v49
	s_waitcnt lgkmcnt(0)
	v_cndmask_b32_e64 v98, v49, v99, s57
	v_cndmask_b32_e64 v245, v244, v49, s57
	v_cmpx_lt_u32_e64 v38, v242
	s_cbranch_execz .LBB522_2042
; %bb.2039:
	s_mov_b32 s61, 0
	s_mov_b32 s58, exec_lo
	v_cmpx_lt_u32_e64 v39, v241
	s_cbranch_execz .LBB522_2041
; %bb.2040:
	v_mov_b32_e32 v48, 0x6667
	v_mul_i32_i24_sdwa v49, sext(v98), v48 dst_sel:DWORD dst_unused:UNUSED_PAD src0_sel:WORD_0 src1_sel:DWORD
	v_mul_i32_i24_sdwa v48, sext(v245), v48 dst_sel:DWORD dst_unused:UNUSED_PAD src0_sel:WORD_0 src1_sel:DWORD
	v_lshrrev_b32_e32 v50, 31, v49
	v_ashrrev_i32_e32 v49, 18, v49
	v_lshrrev_b32_e32 v51, 31, v48
	v_ashrrev_i32_e32 v48, 18, v48
	v_add_nc_u16 v49, v49, v50
	v_add_nc_u16 v48, v48, v51
	v_cmp_ge_i16_e64 s8, v49, v48
	s_and_b32 s61, s8, exec_lo
.LBB522_2041:
	s_or_b32 exec_lo, exec_lo, s58
	s_orn2_b32 s58, s61, exec_lo
.LBB522_2042:
	s_or_b32 exec_lo, exec_lo, s60
	v_cndmask_b32_e64 v48, v38, v39, s58
	v_cndmask_b32_e64 v49, v242, v241, s58
	s_mov_b32 s60, exec_lo
	v_add_nc_u32_e32 v48, 1, v48
	v_add_nc_u32_e32 v49, -1, v49
	v_cndmask_b32_e64 v38, v48, v38, s58
	v_min_u32_e32 v49, v48, v49
	v_cndmask_b32_e64 v39, v39, v48, s58
	v_lshl_add_u32 v49, v49, 1, v176
	ds_read_u16 v49, v49
	s_waitcnt lgkmcnt(0)
	v_cndmask_b32_e64 v96, v49, v98, s58
	v_cndmask_b32_e64 v246, v245, v49, s58
	v_cmpx_lt_u32_e64 v38, v242
	s_cbranch_execz .LBB522_2046
; %bb.2043:
	s_mov_b32 s61, 0
	s_mov_b32 s59, exec_lo
	v_cmpx_lt_u32_e64 v39, v241
	s_cbranch_execz .LBB522_2045
; %bb.2044:
	v_mov_b32_e32 v48, 0x6667
	v_mul_i32_i24_sdwa v49, sext(v96), v48 dst_sel:DWORD dst_unused:UNUSED_PAD src0_sel:WORD_0 src1_sel:DWORD
	v_mul_i32_i24_sdwa v48, sext(v246), v48 dst_sel:DWORD dst_unused:UNUSED_PAD src0_sel:WORD_0 src1_sel:DWORD
	v_lshrrev_b32_e32 v50, 31, v49
	v_ashrrev_i32_e32 v49, 18, v49
	v_lshrrev_b32_e32 v51, 31, v48
	v_ashrrev_i32_e32 v48, 18, v48
	v_add_nc_u16 v49, v49, v50
	v_add_nc_u16 v48, v48, v51
	v_cmp_ge_i16_e64 s8, v49, v48
	s_and_b32 s61, s8, exec_lo
.LBB522_2045:
	s_or_b32 exec_lo, exec_lo, s59
	s_orn2_b32 s59, s61, exec_lo
.LBB522_2046:
	s_or_b32 exec_lo, exec_lo, s60
	v_cndmask_b32_e64 v48, v38, v39, s59
	v_cndmask_b32_e64 v49, v242, v241, s59
	s_mov_b32 s61, -1
	s_mov_b32 s60, -1
	s_mov_b32 s62, exec_lo
	v_add_nc_u32_e32 v48, 1, v48
	v_add_nc_u32_e32 v49, -1, v49
	v_cndmask_b32_e64 v38, v48, v38, s59
	v_min_u32_e32 v49, v48, v49
	v_cndmask_b32_e64 v39, v39, v48, s59
	v_lshl_add_u32 v49, v49, 1, v176
	ds_read_u16 v49, v49
	s_waitcnt lgkmcnt(0)
	v_cndmask_b32_e64 v87, v49, v96, s59
	v_cndmask_b32_e64 v247, v246, v49, s59
	v_cmpx_lt_u32_e64 v38, v242
	s_cbranch_execz .LBB522_2050
; %bb.2047:
	s_mov_b32 s63, 0
	s_mov_b32 s60, exec_lo
	v_cmpx_lt_u32_e64 v39, v241
	s_cbranch_execz .LBB522_2049
; %bb.2048:
	v_mov_b32_e32 v48, 0x6667
	v_mul_i32_i24_sdwa v49, sext(v87), v48 dst_sel:DWORD dst_unused:UNUSED_PAD src0_sel:WORD_0 src1_sel:DWORD
	v_mul_i32_i24_sdwa v48, sext(v247), v48 dst_sel:DWORD dst_unused:UNUSED_PAD src0_sel:WORD_0 src1_sel:DWORD
	v_lshrrev_b32_e32 v50, 31, v49
	v_ashrrev_i32_e32 v49, 18, v49
	v_lshrrev_b32_e32 v51, 31, v48
	v_ashrrev_i32_e32 v48, 18, v48
	v_add_nc_u16 v49, v49, v50
	v_add_nc_u16 v48, v48, v51
	v_cmp_ge_i16_e64 s8, v49, v48
	s_and_b32 s63, s8, exec_lo
.LBB522_2049:
	s_or_b32 exec_lo, exec_lo, s60
	s_orn2_b32 s60, s63, exec_lo
.LBB522_2050:
	s_or_b32 exec_lo, exec_lo, s62
	v_cndmask_b32_e64 v48, v38, v39, s60
	v_cndmask_b32_e64 v49, v242, v241, s60
	s_mov_b32 s62, exec_lo
	v_add_nc_u32_e32 v48, 1, v48
	v_add_nc_u32_e32 v49, -1, v49
	v_cndmask_b32_e64 v38, v48, v38, s60
	v_min_u32_e32 v49, v48, v49
	v_cndmask_b32_e64 v39, v39, v48, s60
	v_lshl_add_u32 v49, v49, 1, v176
	ds_read_u16 v49, v49
	s_waitcnt lgkmcnt(0)
	v_cndmask_b32_e64 v86, v49, v87, s60
	v_cndmask_b32_e64 v40, v247, v49, s60
	v_cmpx_lt_u32_e64 v38, v242
	s_cbranch_execz .LBB522_2054
; %bb.2051:
	s_mov_b32 s63, 0
	s_mov_b32 s61, exec_lo
	v_cmpx_lt_u32_e64 v39, v241
	s_cbranch_execz .LBB522_2053
; %bb.2052:
	v_mov_b32_e32 v48, 0x6667
	v_mul_i32_i24_sdwa v49, sext(v86), v48 dst_sel:DWORD dst_unused:UNUSED_PAD src0_sel:WORD_0 src1_sel:DWORD
	v_mul_i32_i24_sdwa v48, sext(v40), v48 dst_sel:DWORD dst_unused:UNUSED_PAD src0_sel:WORD_0 src1_sel:DWORD
	v_lshrrev_b32_e32 v50, 31, v49
	v_ashrrev_i32_e32 v49, 18, v49
	v_lshrrev_b32_e32 v51, 31, v48
	v_ashrrev_i32_e32 v48, 18, v48
	v_add_nc_u16 v49, v49, v50
	v_add_nc_u16 v48, v48, v51
	v_cmp_ge_i16_e64 s8, v49, v48
	s_and_b32 s63, s8, exec_lo
.LBB522_2053:
	s_or_b32 exec_lo, exec_lo, s61
	s_orn2_b32 s61, s63, exec_lo
.LBB522_2054:
	s_or_b32 exec_lo, exec_lo, s62
	v_cndmask_b32_e64 v48, v38, v39, s61
	v_cndmask_b32_e64 v49, v242, v241, s61
	s_mov_b32 s63, -1
	s_mov_b32 s62, -1
	s_mov_b32 s72, exec_lo
	v_add_nc_u32_e32 v48, 1, v48
	v_add_nc_u32_e32 v49, -1, v49
	v_cndmask_b32_e64 v38, v48, v38, s61
	v_min_u32_e32 v49, v48, v49
	v_cndmask_b32_e64 v39, v39, v48, s61
	v_lshl_add_u32 v49, v49, 1, v176
	ds_read_u16 v49, v49
	s_waitcnt lgkmcnt(0)
	v_cndmask_b32_e64 v85, v49, v86, s61
	v_cndmask_b32_e64 v41, v40, v49, s61
	v_cmpx_lt_u32_e64 v38, v242
	s_cbranch_execz .LBB522_2058
; %bb.2055:
	s_mov_b32 s73, 0
	s_mov_b32 s62, exec_lo
	v_cmpx_lt_u32_e64 v39, v241
	s_cbranch_execz .LBB522_2057
; %bb.2056:
	v_mov_b32_e32 v48, 0x6667
	v_mul_i32_i24_sdwa v49, sext(v85), v48 dst_sel:DWORD dst_unused:UNUSED_PAD src0_sel:WORD_0 src1_sel:DWORD
	v_mul_i32_i24_sdwa v48, sext(v41), v48 dst_sel:DWORD dst_unused:UNUSED_PAD src0_sel:WORD_0 src1_sel:DWORD
	v_lshrrev_b32_e32 v50, 31, v49
	v_ashrrev_i32_e32 v49, 18, v49
	v_lshrrev_b32_e32 v51, 31, v48
	v_ashrrev_i32_e32 v48, 18, v48
	v_add_nc_u16 v49, v49, v50
	v_add_nc_u16 v48, v48, v51
	v_cmp_ge_i16_e64 s8, v49, v48
	s_and_b32 s73, s8, exec_lo
.LBB522_2057:
	s_or_b32 exec_lo, exec_lo, s62
	s_orn2_b32 s62, s73, exec_lo
.LBB522_2058:
	s_or_b32 exec_lo, exec_lo, s72
	v_cndmask_b32_e64 v48, v38, v39, s62
	v_cndmask_b32_e64 v49, v242, v241, s62
	s_mov_b32 s72, exec_lo
	v_add_nc_u32_e32 v48, 1, v48
	v_add_nc_u32_e32 v49, -1, v49
	v_cndmask_b32_e64 v38, v48, v38, s62
	v_min_u32_e32 v49, v48, v49
	v_cndmask_b32_e64 v39, v39, v48, s62
	v_lshl_add_u32 v49, v49, 1, v176
	ds_read_u16 v49, v49
	s_waitcnt lgkmcnt(0)
	v_cndmask_b32_e64 v84, v49, v85, s62
	v_cndmask_b32_e64 v42, v41, v49, s62
	v_cmpx_lt_u32_e64 v38, v242
	s_cbranch_execz .LBB522_2062
; %bb.2059:
	s_mov_b32 s73, 0
	s_mov_b32 s63, exec_lo
	v_cmpx_lt_u32_e64 v39, v241
	s_cbranch_execz .LBB522_2061
; %bb.2060:
	v_mov_b32_e32 v48, 0x6667
	v_mul_i32_i24_sdwa v49, sext(v84), v48 dst_sel:DWORD dst_unused:UNUSED_PAD src0_sel:WORD_0 src1_sel:DWORD
	v_mul_i32_i24_sdwa v48, sext(v42), v48 dst_sel:DWORD dst_unused:UNUSED_PAD src0_sel:WORD_0 src1_sel:DWORD
	v_lshrrev_b32_e32 v50, 31, v49
	v_ashrrev_i32_e32 v49, 18, v49
	v_lshrrev_b32_e32 v51, 31, v48
	v_ashrrev_i32_e32 v48, 18, v48
	v_add_nc_u16 v49, v49, v50
	v_add_nc_u16 v48, v48, v51
	v_cmp_ge_i16_e64 s8, v49, v48
	s_and_b32 s73, s8, exec_lo
.LBB522_2061:
	s_or_b32 exec_lo, exec_lo, s63
	s_orn2_b32 s63, s73, exec_lo
.LBB522_2062:
	s_or_b32 exec_lo, exec_lo, s72
	v_cndmask_b32_e64 v48, v38, v39, s63
	v_cndmask_b32_e64 v49, v242, v241, s63
	s_mov_b32 s73, -1
	s_mov_b32 s72, -1
	s_mov_b32 s74, exec_lo
	v_add_nc_u32_e32 v48, 1, v48
	v_add_nc_u32_e32 v49, -1, v49
	v_cndmask_b32_e64 v38, v48, v38, s63
	v_min_u32_e32 v49, v48, v49
	v_cndmask_b32_e64 v39, v39, v48, s63
	v_lshl_add_u32 v49, v49, 1, v176
	ds_read_u16 v49, v49
	s_waitcnt lgkmcnt(0)
	v_cndmask_b32_e64 v83, v49, v84, s63
	v_cndmask_b32_e64 v43, v42, v49, s63
	v_cmpx_lt_u32_e64 v38, v242
	s_cbranch_execz .LBB522_2066
; %bb.2063:
	s_mov_b32 s75, 0
	s_mov_b32 s72, exec_lo
	v_cmpx_lt_u32_e64 v39, v241
	s_cbranch_execz .LBB522_2065
; %bb.2064:
	v_mov_b32_e32 v48, 0x6667
	v_mul_i32_i24_sdwa v49, sext(v83), v48 dst_sel:DWORD dst_unused:UNUSED_PAD src0_sel:WORD_0 src1_sel:DWORD
	v_mul_i32_i24_sdwa v48, sext(v43), v48 dst_sel:DWORD dst_unused:UNUSED_PAD src0_sel:WORD_0 src1_sel:DWORD
	v_lshrrev_b32_e32 v50, 31, v49
	v_ashrrev_i32_e32 v49, 18, v49
	v_lshrrev_b32_e32 v51, 31, v48
	v_ashrrev_i32_e32 v48, 18, v48
	v_add_nc_u16 v49, v49, v50
	v_add_nc_u16 v48, v48, v51
	v_cmp_ge_i16_e64 s8, v49, v48
	s_and_b32 s75, s8, exec_lo
.LBB522_2065:
	s_or_b32 exec_lo, exec_lo, s72
	s_orn2_b32 s72, s75, exec_lo
.LBB522_2066:
	s_or_b32 exec_lo, exec_lo, s74
	v_cndmask_b32_e64 v48, v38, v39, s72
	v_cndmask_b32_e64 v49, v242, v241, s72
	s_mov_b32 s74, exec_lo
	v_add_nc_u32_e32 v48, 1, v48
	v_add_nc_u32_e32 v49, -1, v49
	v_cndmask_b32_e64 v38, v48, v38, s72
	v_min_u32_e32 v49, v48, v49
	v_cndmask_b32_e64 v39, v39, v48, s72
	v_lshl_add_u32 v49, v49, 1, v176
	ds_read_u16 v49, v49
	s_waitcnt lgkmcnt(0)
	v_cndmask_b32_e64 v82, v49, v83, s72
	v_cndmask_b32_e64 v44, v43, v49, s72
	v_cmpx_lt_u32_e64 v38, v242
	s_cbranch_execz .LBB522_2070
; %bb.2067:
	s_mov_b32 s75, 0
	s_mov_b32 s73, exec_lo
	v_cmpx_lt_u32_e64 v39, v241
	s_cbranch_execz .LBB522_2069
; %bb.2068:
	v_mov_b32_e32 v48, 0x6667
	v_mul_i32_i24_sdwa v49, sext(v82), v48 dst_sel:DWORD dst_unused:UNUSED_PAD src0_sel:WORD_0 src1_sel:DWORD
	v_mul_i32_i24_sdwa v48, sext(v44), v48 dst_sel:DWORD dst_unused:UNUSED_PAD src0_sel:WORD_0 src1_sel:DWORD
	v_lshrrev_b32_e32 v50, 31, v49
	v_ashrrev_i32_e32 v49, 18, v49
	v_lshrrev_b32_e32 v51, 31, v48
	v_ashrrev_i32_e32 v48, 18, v48
	v_add_nc_u16 v49, v49, v50
	v_add_nc_u16 v48, v48, v51
	v_cmp_ge_i16_e64 s8, v49, v48
	s_and_b32 s75, s8, exec_lo
.LBB522_2069:
	s_or_b32 exec_lo, exec_lo, s73
	s_orn2_b32 s73, s75, exec_lo
.LBB522_2070:
	s_or_b32 exec_lo, exec_lo, s74
	v_cndmask_b32_e64 v48, v38, v39, s73
	v_cndmask_b32_e64 v49, v242, v241, s73
	s_mov_b32 s75, -1
	s_mov_b32 s74, -1
	s_mov_b32 s76, exec_lo
	v_add_nc_u32_e32 v48, 1, v48
	v_add_nc_u32_e32 v49, -1, v49
	v_cndmask_b32_e64 v38, v48, v38, s73
	v_min_u32_e32 v49, v48, v49
	v_cndmask_b32_e64 v39, v39, v48, s73
	v_lshl_add_u32 v49, v49, 1, v176
	ds_read_u16 v49, v49
	s_waitcnt lgkmcnt(0)
	v_cndmask_b32_e64 v81, v49, v82, s73
	v_cndmask_b32_e64 v45, v44, v49, s73
	v_cmpx_lt_u32_e64 v38, v242
	s_cbranch_execz .LBB522_2074
; %bb.2071:
	s_mov_b32 s77, 0
	s_mov_b32 s74, exec_lo
	v_cmpx_lt_u32_e64 v39, v241
	s_cbranch_execz .LBB522_2073
; %bb.2072:
	v_mov_b32_e32 v48, 0x6667
	v_mul_i32_i24_sdwa v49, sext(v81), v48 dst_sel:DWORD dst_unused:UNUSED_PAD src0_sel:WORD_0 src1_sel:DWORD
	v_mul_i32_i24_sdwa v48, sext(v45), v48 dst_sel:DWORD dst_unused:UNUSED_PAD src0_sel:WORD_0 src1_sel:DWORD
	v_lshrrev_b32_e32 v50, 31, v49
	v_ashrrev_i32_e32 v49, 18, v49
	v_lshrrev_b32_e32 v51, 31, v48
	v_ashrrev_i32_e32 v48, 18, v48
	v_add_nc_u16 v49, v49, v50
	v_add_nc_u16 v48, v48, v51
	v_cmp_ge_i16_e64 s8, v49, v48
	s_and_b32 s77, s8, exec_lo
.LBB522_2073:
	s_or_b32 exec_lo, exec_lo, s74
	s_orn2_b32 s74, s77, exec_lo
.LBB522_2074:
	s_or_b32 exec_lo, exec_lo, s76
	v_cndmask_b32_e64 v48, v38, v39, s74
	v_cndmask_b32_e64 v49, v242, v241, s74
	s_mov_b32 s76, exec_lo
	v_add_nc_u32_e32 v48, 1, v48
	v_add_nc_u32_e32 v49, -1, v49
	v_cndmask_b32_e64 v38, v48, v38, s74
	v_min_u32_e32 v49, v48, v49
	v_cndmask_b32_e64 v39, v39, v48, s74
	v_lshl_add_u32 v49, v49, 1, v176
	ds_read_u16 v49, v49
	s_waitcnt lgkmcnt(0)
	v_cndmask_b32_e64 v80, v49, v81, s74
	v_cndmask_b32_e64 v46, v45, v49, s74
	v_cmpx_lt_u32_e64 v38, v242
	s_cbranch_execz .LBB522_2078
; %bb.2075:
	s_mov_b32 s77, 0
	s_mov_b32 s75, exec_lo
	v_cmpx_lt_u32_e64 v39, v241
	s_cbranch_execz .LBB522_2077
; %bb.2076:
	v_mov_b32_e32 v48, 0x6667
	v_mul_i32_i24_sdwa v49, sext(v80), v48 dst_sel:DWORD dst_unused:UNUSED_PAD src0_sel:WORD_0 src1_sel:DWORD
	v_mul_i32_i24_sdwa v48, sext(v46), v48 dst_sel:DWORD dst_unused:UNUSED_PAD src0_sel:WORD_0 src1_sel:DWORD
	v_lshrrev_b32_e32 v50, 31, v49
	v_ashrrev_i32_e32 v49, 18, v49
	v_lshrrev_b32_e32 v51, 31, v48
	v_ashrrev_i32_e32 v48, 18, v48
	v_add_nc_u16 v49, v49, v50
	v_add_nc_u16 v48, v48, v51
	v_cmp_ge_i16_e64 s8, v49, v48
	s_and_b32 s77, s8, exec_lo
.LBB522_2077:
	s_or_b32 exec_lo, exec_lo, s75
	s_orn2_b32 s75, s77, exec_lo
.LBB522_2078:
	s_or_b32 exec_lo, exec_lo, s76
	v_cndmask_b32_e64 v48, v38, v39, s75
	v_cndmask_b32_e64 v49, v242, v241, s75
	s_mov_b32 s77, -1
	s_mov_b32 s76, -1
	s_mov_b32 s78, exec_lo
	v_add_nc_u32_e32 v48, 1, v48
	v_add_nc_u32_e32 v49, -1, v49
	v_cndmask_b32_e64 v38, v48, v38, s75
	v_min_u32_e32 v49, v48, v49
	v_cndmask_b32_e64 v39, v39, v48, s75
	v_lshl_add_u32 v49, v49, 1, v176
	ds_read_u16 v49, v49
	s_waitcnt lgkmcnt(0)
	v_cndmask_b32_e64 v71, v49, v80, s75
	v_cndmask_b32_e64 v47, v46, v49, s75
	v_cmpx_lt_u32_e64 v38, v242
	s_cbranch_execz .LBB522_2082
; %bb.2079:
	s_mov_b32 s79, 0
	s_mov_b32 s76, exec_lo
	v_cmpx_lt_u32_e64 v39, v241
	s_cbranch_execz .LBB522_2081
; %bb.2080:
	v_mov_b32_e32 v48, 0x6667
	v_mul_i32_i24_sdwa v49, sext(v71), v48 dst_sel:DWORD dst_unused:UNUSED_PAD src0_sel:WORD_0 src1_sel:DWORD
	v_mul_i32_i24_sdwa v48, sext(v47), v48 dst_sel:DWORD dst_unused:UNUSED_PAD src0_sel:WORD_0 src1_sel:DWORD
	v_lshrrev_b32_e32 v50, 31, v49
	v_ashrrev_i32_e32 v49, 18, v49
	v_lshrrev_b32_e32 v51, 31, v48
	v_ashrrev_i32_e32 v48, 18, v48
	v_add_nc_u16 v49, v49, v50
	v_add_nc_u16 v48, v48, v51
	v_cmp_ge_i16_e64 s8, v49, v48
	s_and_b32 s79, s8, exec_lo
.LBB522_2081:
	s_or_b32 exec_lo, exec_lo, s76
	s_orn2_b32 s76, s79, exec_lo
.LBB522_2082:
	s_or_b32 exec_lo, exec_lo, s78
	v_cndmask_b32_e64 v48, v38, v39, s76
	v_cndmask_b32_e64 v49, v242, v241, s76
	s_mov_b32 s78, exec_lo
	v_add_nc_u32_e32 v48, 1, v48
	v_add_nc_u32_e32 v49, -1, v49
	v_cndmask_b32_e64 v38, v48, v38, s76
	v_min_u32_e32 v49, v48, v49
	v_cndmask_b32_e64 v39, v39, v48, s76
	v_lshl_add_u32 v49, v49, 1, v176
	ds_read_u16 v49, v49
	s_waitcnt lgkmcnt(0)
	v_cndmask_b32_e64 v70, v49, v71, s76
	v_cndmask_b32_e64 v56, v47, v49, s76
	v_cmpx_lt_u32_e64 v38, v242
	s_cbranch_execz .LBB522_2086
; %bb.2083:
	s_mov_b32 s79, 0
	s_mov_b32 s77, exec_lo
	v_cmpx_lt_u32_e64 v39, v241
	s_cbranch_execz .LBB522_2085
; %bb.2084:
	v_mov_b32_e32 v48, 0x6667
	v_mul_i32_i24_sdwa v49, sext(v70), v48 dst_sel:DWORD dst_unused:UNUSED_PAD src0_sel:WORD_0 src1_sel:DWORD
	v_mul_i32_i24_sdwa v48, sext(v56), v48 dst_sel:DWORD dst_unused:UNUSED_PAD src0_sel:WORD_0 src1_sel:DWORD
	v_lshrrev_b32_e32 v50, 31, v49
	v_ashrrev_i32_e32 v49, 18, v49
	v_lshrrev_b32_e32 v51, 31, v48
	v_ashrrev_i32_e32 v48, 18, v48
	v_add_nc_u16 v49, v49, v50
	v_add_nc_u16 v48, v48, v51
	v_cmp_ge_i16_e64 s8, v49, v48
	s_and_b32 s79, s8, exec_lo
.LBB522_2085:
	s_or_b32 exec_lo, exec_lo, s77
	s_orn2_b32 s77, s79, exec_lo
.LBB522_2086:
	s_or_b32 exec_lo, exec_lo, s78
	v_cndmask_b32_e64 v48, v38, v39, s77
	v_cndmask_b32_e64 v49, v242, v241, s77
	s_mov_b32 s79, -1
	s_mov_b32 s78, -1
	s_mov_b32 s88, exec_lo
	v_add_nc_u32_e32 v48, 1, v48
	v_add_nc_u32_e32 v49, -1, v49
	v_cndmask_b32_e64 v38, v48, v38, s77
	v_min_u32_e32 v49, v48, v49
	v_cndmask_b32_e64 v39, v39, v48, s77
	v_lshl_add_u32 v49, v49, 1, v176
	ds_read_u16 v49, v49
	s_waitcnt lgkmcnt(0)
	v_cndmask_b32_e64 v69, v49, v70, s77
	v_cndmask_b32_e64 v57, v56, v49, s77
	v_cmpx_lt_u32_e64 v38, v242
	s_cbranch_execz .LBB522_2090
; %bb.2087:
	s_mov_b32 s89, 0
	s_mov_b32 s78, exec_lo
	v_cmpx_lt_u32_e64 v39, v241
	s_cbranch_execz .LBB522_2089
; %bb.2088:
	v_mov_b32_e32 v48, 0x6667
	v_mul_i32_i24_sdwa v49, sext(v69), v48 dst_sel:DWORD dst_unused:UNUSED_PAD src0_sel:WORD_0 src1_sel:DWORD
	v_mul_i32_i24_sdwa v48, sext(v57), v48 dst_sel:DWORD dst_unused:UNUSED_PAD src0_sel:WORD_0 src1_sel:DWORD
	v_lshrrev_b32_e32 v50, 31, v49
	v_ashrrev_i32_e32 v49, 18, v49
	v_lshrrev_b32_e32 v51, 31, v48
	v_ashrrev_i32_e32 v48, 18, v48
	v_add_nc_u16 v49, v49, v50
	v_add_nc_u16 v48, v48, v51
	v_cmp_ge_i16_e64 s8, v49, v48
	s_and_b32 s89, s8, exec_lo
.LBB522_2089:
	s_or_b32 exec_lo, exec_lo, s78
	s_orn2_b32 s78, s89, exec_lo
.LBB522_2090:
	s_or_b32 exec_lo, exec_lo, s88
	v_cndmask_b32_e64 v48, v38, v39, s78
	v_cndmask_b32_e64 v49, v242, v241, s78
	s_mov_b32 s88, exec_lo
	v_add_nc_u32_e32 v48, 1, v48
	v_add_nc_u32_e32 v49, -1, v49
	v_cndmask_b32_e64 v38, v48, v38, s78
	v_min_u32_e32 v49, v48, v49
	v_cndmask_b32_e64 v39, v39, v48, s78
	v_lshl_add_u32 v49, v49, 1, v176
	ds_read_u16 v49, v49
	s_waitcnt lgkmcnt(0)
	v_cndmask_b32_e64 v68, v49, v69, s78
	v_cndmask_b32_e64 v58, v57, v49, s78
	v_cmpx_lt_u32_e64 v38, v242
	s_cbranch_execz .LBB522_2094
; %bb.2091:
	s_mov_b32 s89, 0
	s_mov_b32 s79, exec_lo
	v_cmpx_lt_u32_e64 v39, v241
	s_cbranch_execz .LBB522_2093
; %bb.2092:
	v_mov_b32_e32 v48, 0x6667
	v_mul_i32_i24_sdwa v49, sext(v68), v48 dst_sel:DWORD dst_unused:UNUSED_PAD src0_sel:WORD_0 src1_sel:DWORD
	v_mul_i32_i24_sdwa v48, sext(v58), v48 dst_sel:DWORD dst_unused:UNUSED_PAD src0_sel:WORD_0 src1_sel:DWORD
	v_lshrrev_b32_e32 v50, 31, v49
	v_ashrrev_i32_e32 v49, 18, v49
	v_lshrrev_b32_e32 v51, 31, v48
	v_ashrrev_i32_e32 v48, 18, v48
	v_add_nc_u16 v49, v49, v50
	v_add_nc_u16 v48, v48, v51
	v_cmp_ge_i16_e64 s8, v49, v48
	s_and_b32 s89, s8, exec_lo
.LBB522_2093:
	s_or_b32 exec_lo, exec_lo, s79
	s_orn2_b32 s79, s89, exec_lo
.LBB522_2094:
	s_or_b32 exec_lo, exec_lo, s88
	v_cndmask_b32_e64 v48, v38, v39, s79
	v_cndmask_b32_e64 v49, v242, v241, s79
	s_mov_b32 s89, -1
	s_mov_b32 s88, -1
	s_mov_b32 s90, exec_lo
	v_add_nc_u32_e32 v48, 1, v48
	v_add_nc_u32_e32 v49, -1, v49
	v_cndmask_b32_e64 v38, v48, v38, s79
	v_min_u32_e32 v49, v48, v49
	v_cndmask_b32_e64 v39, v39, v48, s79
	v_lshl_add_u32 v49, v49, 1, v176
	ds_read_u16 v49, v49
	s_waitcnt lgkmcnt(0)
	v_cndmask_b32_e64 v67, v49, v68, s79
	v_cndmask_b32_e64 v59, v58, v49, s79
	v_cmpx_lt_u32_e64 v38, v242
	s_cbranch_execz .LBB522_2098
; %bb.2095:
	s_mov_b32 s91, 0
	s_mov_b32 s88, exec_lo
	v_cmpx_lt_u32_e64 v39, v241
	s_cbranch_execz .LBB522_2097
; %bb.2096:
	v_mov_b32_e32 v48, 0x6667
	v_mul_i32_i24_sdwa v49, sext(v67), v48 dst_sel:DWORD dst_unused:UNUSED_PAD src0_sel:WORD_0 src1_sel:DWORD
	v_mul_i32_i24_sdwa v48, sext(v59), v48 dst_sel:DWORD dst_unused:UNUSED_PAD src0_sel:WORD_0 src1_sel:DWORD
	v_lshrrev_b32_e32 v50, 31, v49
	v_ashrrev_i32_e32 v49, 18, v49
	v_lshrrev_b32_e32 v51, 31, v48
	v_ashrrev_i32_e32 v48, 18, v48
	v_add_nc_u16 v49, v49, v50
	v_add_nc_u16 v48, v48, v51
	v_cmp_ge_i16_e64 s8, v49, v48
	s_and_b32 s91, s8, exec_lo
.LBB522_2097:
	s_or_b32 exec_lo, exec_lo, s88
	s_orn2_b32 s88, s91, exec_lo
.LBB522_2098:
	s_or_b32 exec_lo, exec_lo, s90
	v_cndmask_b32_e64 v48, v38, v39, s88
	v_cndmask_b32_e64 v49, v242, v241, s88
	s_mov_b32 s90, exec_lo
	v_add_nc_u32_e32 v48, 1, v48
	v_add_nc_u32_e32 v49, -1, v49
	v_cndmask_b32_e64 v38, v48, v38, s88
	v_min_u32_e32 v49, v48, v49
	v_cndmask_b32_e64 v39, v39, v48, s88
	v_lshl_add_u32 v49, v49, 1, v176
	ds_read_u16 v49, v49
	s_waitcnt lgkmcnt(0)
	v_cndmask_b32_e64 v66, v49, v67, s88
	v_cndmask_b32_e64 v60, v59, v49, s88
	v_cmpx_lt_u32_e64 v38, v242
	s_cbranch_execz .LBB522_2102
; %bb.2099:
	s_mov_b32 s91, 0
	s_mov_b32 s89, exec_lo
	v_cmpx_lt_u32_e64 v39, v241
	s_cbranch_execz .LBB522_2101
; %bb.2100:
	v_mov_b32_e32 v48, 0x6667
	v_mul_i32_i24_sdwa v49, sext(v66), v48 dst_sel:DWORD dst_unused:UNUSED_PAD src0_sel:WORD_0 src1_sel:DWORD
	v_mul_i32_i24_sdwa v48, sext(v60), v48 dst_sel:DWORD dst_unused:UNUSED_PAD src0_sel:WORD_0 src1_sel:DWORD
	v_lshrrev_b32_e32 v50, 31, v49
	v_ashrrev_i32_e32 v49, 18, v49
	v_lshrrev_b32_e32 v51, 31, v48
	v_ashrrev_i32_e32 v48, 18, v48
	v_add_nc_u16 v49, v49, v50
	v_add_nc_u16 v48, v48, v51
	v_cmp_ge_i16_e64 s8, v49, v48
	s_and_b32 s91, s8, exec_lo
.LBB522_2101:
	s_or_b32 exec_lo, exec_lo, s89
	s_orn2_b32 s89, s91, exec_lo
.LBB522_2102:
	s_or_b32 exec_lo, exec_lo, s90
	v_cndmask_b32_e64 v48, v38, v39, s89
	v_cndmask_b32_e64 v49, v242, v241, s89
	s_mov_b32 s91, -1
	s_mov_b32 s90, -1
	s_mov_b32 s92, exec_lo
	v_add_nc_u32_e32 v48, 1, v48
	v_add_nc_u32_e32 v49, -1, v49
	v_cndmask_b32_e64 v38, v48, v38, s89
	v_min_u32_e32 v49, v48, v49
	v_cndmask_b32_e64 v39, v39, v48, s89
	v_lshl_add_u32 v49, v49, 1, v176
	ds_read_u16 v49, v49
	s_waitcnt lgkmcnt(0)
	v_cndmask_b32_e64 v65, v49, v66, s89
	v_cndmask_b32_e64 v61, v60, v49, s89
	v_cmpx_lt_u32_e64 v38, v242
	s_cbranch_execz .LBB522_2106
; %bb.2103:
	s_mov_b32 s93, 0
	s_mov_b32 s90, exec_lo
	v_cmpx_lt_u32_e64 v39, v241
	s_cbranch_execz .LBB522_2105
; %bb.2104:
	v_mov_b32_e32 v48, 0x6667
	v_mul_i32_i24_sdwa v49, sext(v65), v48 dst_sel:DWORD dst_unused:UNUSED_PAD src0_sel:WORD_0 src1_sel:DWORD
	v_mul_i32_i24_sdwa v48, sext(v61), v48 dst_sel:DWORD dst_unused:UNUSED_PAD src0_sel:WORD_0 src1_sel:DWORD
	v_lshrrev_b32_e32 v50, 31, v49
	v_ashrrev_i32_e32 v49, 18, v49
	v_lshrrev_b32_e32 v51, 31, v48
	v_ashrrev_i32_e32 v48, 18, v48
	v_add_nc_u16 v49, v49, v50
	v_add_nc_u16 v48, v48, v51
	v_cmp_ge_i16_e64 s8, v49, v48
	s_and_b32 s93, s8, exec_lo
.LBB522_2105:
	s_or_b32 exec_lo, exec_lo, s90
	s_orn2_b32 s90, s93, exec_lo
.LBB522_2106:
	s_or_b32 exec_lo, exec_lo, s92
	v_cndmask_b32_e64 v48, v38, v39, s90
	v_cndmask_b32_e64 v49, v242, v241, s90
	s_mov_b32 s92, exec_lo
	v_add_nc_u32_e32 v48, 1, v48
	v_add_nc_u32_e32 v49, -1, v49
	v_cndmask_b32_e64 v38, v48, v38, s90
	v_min_u32_e32 v49, v48, v49
	v_cndmask_b32_e64 v39, v39, v48, s90
	v_lshl_add_u32 v49, v49, 1, v176
	ds_read_u16 v49, v49
	s_waitcnt lgkmcnt(0)
	v_cndmask_b32_e64 v64, v49, v65, s90
	v_cndmask_b32_e64 v62, v61, v49, s90
	v_cmpx_lt_u32_e64 v38, v242
	s_cbranch_execz .LBB522_2110
; %bb.2107:
	s_mov_b32 s93, 0
	s_mov_b32 s91, exec_lo
	v_cmpx_lt_u32_e64 v39, v241
	s_cbranch_execz .LBB522_2109
; %bb.2108:
	v_mov_b32_e32 v48, 0x6667
	v_mul_i32_i24_sdwa v49, sext(v64), v48 dst_sel:DWORD dst_unused:UNUSED_PAD src0_sel:WORD_0 src1_sel:DWORD
	v_mul_i32_i24_sdwa v48, sext(v62), v48 dst_sel:DWORD dst_unused:UNUSED_PAD src0_sel:WORD_0 src1_sel:DWORD
	v_lshrrev_b32_e32 v50, 31, v49
	v_ashrrev_i32_e32 v49, 18, v49
	v_lshrrev_b32_e32 v51, 31, v48
	v_ashrrev_i32_e32 v48, 18, v48
	v_add_nc_u16 v49, v49, v50
	v_add_nc_u16 v48, v48, v51
	v_cmp_ge_i16_e64 s8, v49, v48
	s_and_b32 s93, s8, exec_lo
.LBB522_2109:
	s_or_b32 exec_lo, exec_lo, s91
	s_orn2_b32 s91, s93, exec_lo
.LBB522_2110:
	s_or_b32 exec_lo, exec_lo, s92
	v_cndmask_b32_e64 v48, v38, v39, s91
	v_cndmask_b32_e64 v49, v242, v241, s91
	s_mov_b32 s93, -1
	s_mov_b32 s92, -1
	s_mov_b32 s94, exec_lo
	v_add_nc_u32_e32 v48, 1, v48
	v_add_nc_u32_e32 v49, -1, v49
	v_cndmask_b32_e64 v38, v48, v38, s91
	v_min_u32_e32 v49, v48, v49
	v_cndmask_b32_e64 v39, v39, v48, s91
	v_lshl_add_u32 v49, v49, 1, v176
	ds_read_u16 v49, v49
	s_waitcnt lgkmcnt(0)
	v_cndmask_b32_e64 v55, v49, v64, s91
	v_cndmask_b32_e64 v63, v62, v49, s91
	v_cmpx_lt_u32_e64 v38, v242
	s_cbranch_execz .LBB522_2114
; %bb.2111:
	s_mov_b32 s95, 0
	s_mov_b32 s92, exec_lo
	v_cmpx_lt_u32_e64 v39, v241
	s_cbranch_execz .LBB522_2113
; %bb.2112:
	v_mov_b32_e32 v48, 0x6667
	v_mul_i32_i24_sdwa v49, sext(v55), v48 dst_sel:DWORD dst_unused:UNUSED_PAD src0_sel:WORD_0 src1_sel:DWORD
	v_mul_i32_i24_sdwa v48, sext(v63), v48 dst_sel:DWORD dst_unused:UNUSED_PAD src0_sel:WORD_0 src1_sel:DWORD
	v_lshrrev_b32_e32 v50, 31, v49
	v_ashrrev_i32_e32 v49, 18, v49
	v_lshrrev_b32_e32 v51, 31, v48
	v_ashrrev_i32_e32 v48, 18, v48
	v_add_nc_u16 v49, v49, v50
	v_add_nc_u16 v48, v48, v51
	v_cmp_ge_i16_e64 s8, v49, v48
	s_and_b32 s95, s8, exec_lo
.LBB522_2113:
	s_or_b32 exec_lo, exec_lo, s92
	s_orn2_b32 s92, s95, exec_lo
.LBB522_2114:
	s_or_b32 exec_lo, exec_lo, s94
	v_cndmask_b32_e64 v48, v38, v39, s92
	v_cndmask_b32_e64 v49, v242, v241, s92
	s_mov_b32 s94, exec_lo
	v_add_nc_u32_e32 v48, 1, v48
	v_add_nc_u32_e32 v49, -1, v49
	v_cndmask_b32_e64 v38, v48, v38, s92
	v_min_u32_e32 v49, v48, v49
	v_cndmask_b32_e64 v39, v39, v48, s92
	v_lshl_add_u32 v49, v49, 1, v176
	ds_read_u16 v49, v49
	s_waitcnt lgkmcnt(0)
	v_cndmask_b32_e64 v53, v49, v55, s92
	v_cndmask_b32_e64 v72, v63, v49, s92
	v_cmpx_lt_u32_e64 v38, v242
	s_cbranch_execz .LBB522_2118
; %bb.2115:
	s_mov_b32 s95, 0
	s_mov_b32 s93, exec_lo
	v_cmpx_lt_u32_e64 v39, v241
	s_cbranch_execz .LBB522_2117
; %bb.2116:
	v_mov_b32_e32 v48, 0x6667
	v_mul_i32_i24_sdwa v49, sext(v53), v48 dst_sel:DWORD dst_unused:UNUSED_PAD src0_sel:WORD_0 src1_sel:DWORD
	v_mul_i32_i24_sdwa v48, sext(v72), v48 dst_sel:DWORD dst_unused:UNUSED_PAD src0_sel:WORD_0 src1_sel:DWORD
	v_lshrrev_b32_e32 v50, 31, v49
	v_ashrrev_i32_e32 v49, 18, v49
	v_lshrrev_b32_e32 v51, 31, v48
	v_ashrrev_i32_e32 v48, 18, v48
	v_add_nc_u16 v49, v49, v50
	v_add_nc_u16 v48, v48, v51
	v_cmp_ge_i16_e64 s8, v49, v48
	s_and_b32 s95, s8, exec_lo
.LBB522_2117:
	s_or_b32 exec_lo, exec_lo, s93
	s_orn2_b32 s93, s95, exec_lo
.LBB522_2118:
	s_or_b32 exec_lo, exec_lo, s94
	v_cndmask_b32_e64 v48, v38, v39, s93
	v_cndmask_b32_e64 v49, v242, v241, s93
	s_mov_b32 s95, -1
	s_mov_b32 s94, -1
	s_mov_b32 vcc_hi, exec_lo
	v_add_nc_u32_e32 v48, 1, v48
	v_add_nc_u32_e32 v49, -1, v49
	v_cndmask_b32_e64 v38, v48, v38, s93
	v_min_u32_e32 v49, v48, v49
	v_cndmask_b32_e64 v39, v39, v48, s93
	v_lshl_add_u32 v49, v49, 1, v176
	ds_read_u16 v49, v49
	s_waitcnt lgkmcnt(0)
	v_cndmask_b32_e64 v52, v49, v53, s93
	v_cndmask_b32_e64 v73, v72, v49, s93
	v_cmpx_lt_u32_e64 v38, v242
	s_cbranch_execz .LBB522_2122
; %bb.2119:
	s_mov_b32 s30, 0
	s_mov_b32 s94, exec_lo
	v_cmpx_lt_u32_e64 v39, v241
	s_cbranch_execz .LBB522_2121
; %bb.2120:
	v_mov_b32_e32 v48, 0x6667
	v_mul_i32_i24_sdwa v49, sext(v52), v48 dst_sel:DWORD dst_unused:UNUSED_PAD src0_sel:WORD_0 src1_sel:DWORD
	v_mul_i32_i24_sdwa v48, sext(v73), v48 dst_sel:DWORD dst_unused:UNUSED_PAD src0_sel:WORD_0 src1_sel:DWORD
	v_lshrrev_b32_e32 v50, 31, v49
	v_ashrrev_i32_e32 v49, 18, v49
	v_lshrrev_b32_e32 v51, 31, v48
	v_ashrrev_i32_e32 v48, 18, v48
	v_add_nc_u16 v49, v49, v50
	v_add_nc_u16 v48, v48, v51
	v_cmp_ge_i16_e64 s8, v49, v48
	s_and_b32 s30, s8, exec_lo
.LBB522_2121:
	s_or_b32 exec_lo, exec_lo, s94
	s_orn2_b32 s94, s30, exec_lo
.LBB522_2122:
	s_or_b32 exec_lo, exec_lo, vcc_hi
	v_cndmask_b32_e64 v48, v38, v39, s94
	v_cndmask_b32_e64 v49, v242, v241, s94
	s_mov_b32 vcc_hi, exec_lo
	v_add_nc_u32_e32 v48, 1, v48
	v_add_nc_u32_e32 v49, -1, v49
	v_cndmask_b32_e64 v38, v48, v38, s94
	v_min_u32_e32 v49, v48, v49
	v_cndmask_b32_e64 v39, v39, v48, s94
	v_lshl_add_u32 v49, v49, 1, v176
	ds_read_u16 v49, v49
	s_waitcnt lgkmcnt(0)
	v_cndmask_b32_e64 v51, v49, v52, s94
	v_cndmask_b32_e64 v74, v73, v49, s94
	v_cmpx_lt_u32_e64 v38, v242
	s_cbranch_execz .LBB522_2126
; %bb.2123:
	s_mov_b32 s30, 0
	s_mov_b32 s95, exec_lo
	v_cmpx_lt_u32_e64 v39, v241
	s_cbranch_execz .LBB522_2125
; %bb.2124:
	v_mov_b32_e32 v48, 0x6667
	v_mul_i32_i24_sdwa v49, sext(v51), v48 dst_sel:DWORD dst_unused:UNUSED_PAD src0_sel:WORD_0 src1_sel:DWORD
	v_mul_i32_i24_sdwa v48, sext(v74), v48 dst_sel:DWORD dst_unused:UNUSED_PAD src0_sel:WORD_0 src1_sel:DWORD
	v_lshrrev_b32_e32 v50, 31, v49
	v_ashrrev_i32_e32 v49, 18, v49
	v_lshrrev_b32_e32 v54, 31, v48
	v_ashrrev_i32_e32 v48, 18, v48
	v_add_nc_u16 v49, v49, v50
	v_add_nc_u16 v48, v48, v54
	v_cmp_ge_i16_e64 s8, v49, v48
	s_and_b32 s30, s8, exec_lo
.LBB522_2125:
	s_or_b32 exec_lo, exec_lo, s95
	s_orn2_b32 s95, s30, exec_lo
.LBB522_2126:
	s_or_b32 exec_lo, exec_lo, vcc_hi
	v_cndmask_b32_e64 v48, v38, v39, s95
	v_cndmask_b32_e64 v49, v242, v241, s95
	s_mov_b32 s30, -1
	s_mov_b32 vcc_hi, -1
	s_mov_b32 s31, exec_lo
	v_add_nc_u32_e32 v48, 1, v48
	v_add_nc_u32_e32 v49, -1, v49
	v_cndmask_b32_e64 v38, v48, v38, s95
	v_min_u32_e32 v49, v48, v49
	v_cndmask_b32_e64 v39, v39, v48, s95
	v_lshl_add_u32 v49, v49, 1, v176
	ds_read_u16 v49, v49
	s_waitcnt lgkmcnt(0)
	v_cndmask_b32_e64 v54, v49, v51, s95
	v_cndmask_b32_e64 v75, v74, v49, s95
	v_cmpx_lt_u32_e64 v38, v242
	s_cbranch_execz .LBB522_2130
; %bb.2127:
	s_mov_b32 s34, 0
	s_mov_b32 vcc_hi, exec_lo
	v_cmpx_lt_u32_e64 v39, v241
	s_cbranch_execz .LBB522_2129
; %bb.2128:
	v_mov_b32_e32 v48, 0x6667
	v_mul_i32_i24_sdwa v49, sext(v54), v48 dst_sel:DWORD dst_unused:UNUSED_PAD src0_sel:WORD_0 src1_sel:DWORD
	v_mul_i32_i24_sdwa v48, sext(v75), v48 dst_sel:DWORD dst_unused:UNUSED_PAD src0_sel:WORD_0 src1_sel:DWORD
	v_lshrrev_b32_e32 v50, 31, v49
	v_ashrrev_i32_e32 v49, 18, v49
	v_lshrrev_b32_e32 v76, 31, v48
	v_ashrrev_i32_e32 v48, 18, v48
	v_add_nc_u16 v49, v49, v50
	v_add_nc_u16 v48, v48, v76
	v_cmp_ge_i16_e64 s8, v49, v48
	s_and_b32 s34, s8, exec_lo
.LBB522_2129:
	s_or_b32 exec_lo, exec_lo, vcc_hi
	s_orn2_b32 vcc_hi, s34, exec_lo
.LBB522_2130:
	s_or_b32 exec_lo, exec_lo, s31
	v_cndmask_b32_e64 v48, v38, v39, vcc_hi
	v_cndmask_b32_e64 v49, v242, v241, vcc_hi
	s_mov_b32 s31, exec_lo
	v_add_nc_u32_e32 v48, 1, v48
	v_add_nc_u32_e32 v49, -1, v49
	v_cndmask_b32_e64 v38, v48, v38, vcc_hi
	v_min_u32_e32 v49, v48, v49
	v_cndmask_b32_e64 v39, v39, v48, vcc_hi
	v_lshl_add_u32 v49, v49, 1, v176
	ds_read_u16 v49, v49
	s_waitcnt lgkmcnt(0)
	v_cndmask_b32_e64 v50, v49, v54, vcc_hi
	v_cndmask_b32_e64 v76, v75, v49, vcc_hi
	v_cmpx_lt_u32_e64 v38, v242
	s_cbranch_execz .LBB522_2134
; %bb.2131:
	s_mov_b32 s34, 0
	s_mov_b32 s30, exec_lo
	v_cmpx_lt_u32_e64 v39, v241
	s_cbranch_execz .LBB522_2133
; %bb.2132:
	v_mov_b32_e32 v48, 0x6667
	v_mul_i32_i24_sdwa v49, sext(v50), v48 dst_sel:DWORD dst_unused:UNUSED_PAD src0_sel:WORD_0 src1_sel:DWORD
	v_mul_i32_i24_sdwa v48, sext(v76), v48 dst_sel:DWORD dst_unused:UNUSED_PAD src0_sel:WORD_0 src1_sel:DWORD
	v_lshrrev_b32_e32 v77, 31, v49
	v_ashrrev_i32_e32 v49, 18, v49
	v_lshrrev_b32_e32 v78, 31, v48
	v_ashrrev_i32_e32 v48, 18, v48
	v_add_nc_u16 v49, v49, v77
	v_add_nc_u16 v48, v48, v78
	v_cmp_ge_i16_e64 s8, v49, v48
	s_and_b32 s34, s8, exec_lo
.LBB522_2133:
	s_or_b32 exec_lo, exec_lo, s30
	s_orn2_b32 s30, s34, exec_lo
.LBB522_2134:
	s_or_b32 exec_lo, exec_lo, s31
	v_cndmask_b32_e64 v48, v38, v39, s30
	v_cndmask_b32_e64 v49, v242, v241, s30
	s_mov_b32 s34, -1
	s_mov_b32 s31, -1
	s_mov_b32 s35, exec_lo
	v_add_nc_u32_e32 v48, 1, v48
	v_add_nc_u32_e32 v49, -1, v49
	v_cndmask_b32_e64 v38, v48, v38, s30
	v_min_u32_e32 v49, v48, v49
	v_cndmask_b32_e64 v39, v39, v48, s30
	v_lshl_add_u32 v49, v49, 1, v176
	ds_read_u16 v77, v49
	s_waitcnt lgkmcnt(0)
	v_cndmask_b32_e64 v49, v77, v50, s30
	v_cndmask_b32_e64 v77, v76, v77, s30
	v_cmpx_lt_u32_e64 v38, v242
	s_cbranch_execz .LBB522_2138
; %bb.2135:
	s_mov_b32 s38, 0
	s_mov_b32 s31, exec_lo
	v_cmpx_lt_u32_e64 v39, v241
	s_cbranch_execz .LBB522_2137
; %bb.2136:
	v_mov_b32_e32 v48, 0x6667
	v_mul_i32_i24_sdwa v78, sext(v49), v48 dst_sel:DWORD dst_unused:UNUSED_PAD src0_sel:WORD_0 src1_sel:DWORD
	v_mul_i32_i24_sdwa v48, sext(v77), v48 dst_sel:DWORD dst_unused:UNUSED_PAD src0_sel:WORD_0 src1_sel:DWORD
	v_lshrrev_b32_e32 v79, 31, v78
	v_ashrrev_i32_e32 v78, 18, v78
	v_lshrrev_b32_e32 v88, 31, v48
	v_ashrrev_i32_e32 v48, 18, v48
	v_add_nc_u16 v78, v78, v79
	v_add_nc_u16 v48, v48, v88
	v_cmp_ge_i16_e64 s8, v78, v48
	s_and_b32 s38, s8, exec_lo
.LBB522_2137:
	s_or_b32 exec_lo, exec_lo, s31
	s_orn2_b32 s31, s38, exec_lo
.LBB522_2138:
	s_or_b32 exec_lo, exec_lo, s35
	v_cndmask_b32_e64 v48, v38, v39, s31
	v_cndmask_b32_e64 v78, v242, v241, s31
	s_mov_b32 s35, exec_lo
	v_add_nc_u32_e32 v48, 1, v48
	v_add_nc_u32_e32 v78, -1, v78
	v_cndmask_b32_e64 v38, v48, v38, s31
	v_min_u32_e32 v78, v48, v78
	v_cndmask_b32_e64 v39, v39, v48, s31
	v_lshl_add_u32 v78, v78, 1, v176
	ds_read_u16 v78, v78
	s_waitcnt lgkmcnt(0)
	v_cndmask_b32_e64 v48, v78, v49, s31
	v_cndmask_b32_e64 v78, v77, v78, s31
	v_cmpx_lt_u32_e64 v38, v242
	s_cbranch_execz .LBB522_2142
; %bb.2139:
	s_mov_b32 s38, 0
	s_mov_b32 s34, exec_lo
	v_cmpx_lt_u32_e64 v39, v241
	s_cbranch_execz .LBB522_2141
; %bb.2140:
	v_mov_b32_e32 v79, 0x6667
	v_mul_i32_i24_sdwa v88, sext(v48), v79 dst_sel:DWORD dst_unused:UNUSED_PAD src0_sel:WORD_0 src1_sel:DWORD
	v_mul_i32_i24_sdwa v79, sext(v78), v79 dst_sel:DWORD dst_unused:UNUSED_PAD src0_sel:WORD_0 src1_sel:DWORD
	v_lshrrev_b32_e32 v89, 31, v88
	v_ashrrev_i32_e32 v88, 18, v88
	v_lshrrev_b32_e32 v90, 31, v79
	v_ashrrev_i32_e32 v79, 18, v79
	v_add_nc_u16 v88, v88, v89
	v_add_nc_u16 v79, v79, v90
	v_cmp_ge_i16_e64 s8, v88, v79
	s_and_b32 s38, s8, exec_lo
.LBB522_2141:
	s_or_b32 exec_lo, exec_lo, s34
	s_orn2_b32 s34, s38, exec_lo
.LBB522_2142:
	s_or_b32 exec_lo, exec_lo, s35
	v_cndmask_b32_e64 v79, v38, v39, s34
	v_cndmask_b32_e64 v88, v242, v241, s34
	s_mov_b32 s35, -1
	s_mov_b32 s38, -1
	s_mov_b32 s39, exec_lo
	v_add_nc_u32_e32 v79, 1, v79
	v_add_nc_u32_e32 v88, -1, v88
	v_cndmask_b32_e64 v38, v79, v38, s34
	v_min_u32_e32 v88, v79, v88
	v_lshl_add_u32 v88, v88, 1, v176
	ds_read_u16 v89, v88
	v_cndmask_b32_e64 v88, v39, v79, s34
	s_waitcnt lgkmcnt(0)
	v_cndmask_b32_e64 v39, v89, v48, s34
	v_cndmask_b32_e64 v79, v78, v89, s34
	v_cmpx_lt_u32_e64 v38, v242
	s_cbranch_execz .LBB522_2146
; %bb.2143:
	s_mov_b32 s48, 0
	s_mov_b32 s38, exec_lo
	v_cmpx_lt_u32_e64 v88, v241
	s_cbranch_execz .LBB522_2145
; %bb.2144:
	v_mov_b32_e32 v89, 0x6667
	v_mul_i32_i24_sdwa v90, sext(v39), v89 dst_sel:DWORD dst_unused:UNUSED_PAD src0_sel:WORD_0 src1_sel:DWORD
	v_mul_i32_i24_sdwa v89, sext(v79), v89 dst_sel:DWORD dst_unused:UNUSED_PAD src0_sel:WORD_0 src1_sel:DWORD
	v_lshrrev_b32_e32 v91, 31, v90
	v_ashrrev_i32_e32 v90, 18, v90
	v_lshrrev_b32_e32 v92, 31, v89
	v_ashrrev_i32_e32 v89, 18, v89
	v_add_nc_u16 v90, v90, v91
	v_add_nc_u16 v89, v89, v92
	v_cmp_ge_i16_e64 s8, v90, v89
	s_and_b32 s48, s8, exec_lo
.LBB522_2145:
	s_or_b32 exec_lo, exec_lo, s38
	s_orn2_b32 s38, s48, exec_lo
.LBB522_2146:
	s_or_b32 exec_lo, exec_lo, s39
	v_cndmask_b32_e64 v89, v38, v88, s38
	v_cndmask_b32_e64 v90, v242, v241, s38
	s_mov_b32 s39, exec_lo
	v_add_nc_u32_e32 v89, 1, v89
	v_add_nc_u32_e32 v90, -1, v90
	v_cndmask_b32_e64 v38, v89, v38, s38
	v_min_u32_e32 v90, v89, v90
	v_lshl_add_u32 v90, v90, 1, v176
	ds_read_u16 v91, v90
	v_cndmask_b32_e64 v90, v88, v89, s38
	s_waitcnt lgkmcnt(0)
	v_cndmask_b32_e64 v88, v91, v39, s38
	v_cndmask_b32_e64 v89, v79, v91, s38
	v_cmpx_lt_u32_e64 v38, v242
	s_cbranch_execz .LBB522_2150
; %bb.2147:
	s_mov_b32 s48, 0
	s_mov_b32 s35, exec_lo
	v_cmpx_lt_u32_e64 v90, v241
	s_cbranch_execz .LBB522_2149
; %bb.2148:
	v_mov_b32_e32 v91, 0x6667
	v_mul_i32_i24_sdwa v92, sext(v88), v91 dst_sel:DWORD dst_unused:UNUSED_PAD src0_sel:WORD_0 src1_sel:DWORD
	v_mul_i32_i24_sdwa v91, sext(v89), v91 dst_sel:DWORD dst_unused:UNUSED_PAD src0_sel:WORD_0 src1_sel:DWORD
	v_lshrrev_b32_e32 v93, 31, v92
	v_ashrrev_i32_e32 v92, 18, v92
	v_lshrrev_b32_e32 v94, 31, v91
	v_ashrrev_i32_e32 v91, 18, v91
	v_add_nc_u16 v92, v92, v93
	v_add_nc_u16 v91, v91, v94
	v_cmp_ge_i16_e64 s8, v92, v91
	s_and_b32 s48, s8, exec_lo
.LBB522_2149:
	s_or_b32 exec_lo, exec_lo, s35
	s_orn2_b32 s35, s48, exec_lo
.LBB522_2150:
	s_or_b32 exec_lo, exec_lo, s39
	v_cndmask_b32_e64 v91, v38, v90, s35
	v_cndmask_b32_e64 v92, v242, v241, s35
	s_mov_b32 s39, exec_lo
	v_add_nc_u32_e32 v91, 1, v91
	v_add_nc_u32_e32 v92, -1, v92
	v_cndmask_b32_e64 v93, v91, v38, s35
	v_min_u32_e32 v92, v91, v92
	v_lshl_add_u32 v92, v92, 1, v176
	ds_read_u16 v92, v92
	s_waitcnt lgkmcnt(0)
	v_cndmask_b32_e64 v38, v89, v92, s35
	v_cmpx_lt_u32_e64 v93, v242
	s_cbranch_execz .LBB522_2154
; %bb.2151:
	v_cndmask_b32_e64 v90, v90, v91, s35
	v_cndmask_b32_e64 v242, v92, v88, s35
	s_mov_b32 s48, exec_lo
	v_cmpx_lt_u32_e64 v90, v241
	s_cbranch_execz .LBB522_2153
; %bb.2152:
	v_mov_b32_e32 v241, 0x6667
	v_mul_i32_i24_sdwa v90, sext(v242), v241 dst_sel:DWORD dst_unused:UNUSED_PAD src0_sel:WORD_0 src1_sel:DWORD
	v_mul_i32_i24_sdwa v241, sext(v38), v241 dst_sel:DWORD dst_unused:UNUSED_PAD src0_sel:WORD_0 src1_sel:DWORD
	v_lshrrev_b32_e32 v91, 31, v90
	v_ashrrev_i32_e32 v90, 18, v90
	v_lshrrev_b32_e32 v92, 31, v241
	v_ashrrev_i32_e32 v241, 18, v241
	v_add_nc_u16 v90, v90, v91
	v_add_nc_u16 v241, v241, v92
	v_cmp_lt_i16_e64 s8, v90, v241
	v_cndmask_b32_e64 v242, v38, v242, s8
.LBB522_2153:
	s_or_b32 exec_lo, exec_lo, s48
	v_mov_b32_e32 v38, v242
.LBB522_2154:
	s_or_b32 exec_lo, exec_lo, s39
	v_cndmask_b32_e64 v39, v39, v79, s38
	v_cndmask_b32_e64 v48, v48, v78, s34
	;; [unrolled: 1-line block ×4, first 2 shown]
	v_cndmask_b32_e64 v54, v54, v75, vcc_hi
	v_cndmask_b32_e64 v51, v51, v74, s95
	v_cndmask_b32_e64 v52, v52, v73, s94
	;; [unrolled: 1-line block ×26, first 2 shown]
.LBB522_2155:
	s_or_b32 exec_lo, exec_lo, s12
	; wave barrier
	ds_write_b16 v179, v97
	ds_write_b16 v229, v100
	;; [unrolled: 1-line block ×5, first 2 shown]
	v_and_b32_e32 v229, 0x200, v178
	ds_write_b16 v225, v87
	ds_write_b16 v226, v86
	;; [unrolled: 1-line block ×15, first 2 shown]
	v_or_b32_e32 v179, 0x100, v229
	v_and_b32_e32 v198, 0x1e0, v178
	ds_write_b16 v195, v64
	ds_write_b16 v196, v55
	;; [unrolled: 1-line block ×6, first 2 shown]
	s_mov_b32 s9, exec_lo
	v_min_u32_e32 v179, v177, v179
	ds_write_b16 v180, v50
	ds_write_b16 v181, v49
	;; [unrolled: 1-line block ×6, first 2 shown]
	; wave barrier
	v_add_nc_u32_e32 v209, 0x100, v179
	v_sub_nc_u32_e32 v196, v179, v229
	v_min_u32_e32 v178, v177, v209
	v_min_u32_e32 v177, v177, v198
	v_sub_nc_u32_e32 v195, v178, v179
	v_min_u32_e32 v193, v177, v196
	v_sub_nc_u32_e64 v192, v177, v195 clamp
	v_cmpx_lt_u32_e64 v192, v193
	s_cbranch_execz .LBB522_2159
; %bb.2156:
	v_lshlrev_b32_e32 v1, 1, v229
	v_lshlrev_b32_e32 v2, 1, v179
	s_mov_b32 s12, 0
	v_add_co_u32 v1, null, v176, v1
	v_add_co_u32 v2, null, v176, v2
	s_inst_prefetch 0x1
	.p2align	6
.LBB522_2157:                           ; =>This Inner Loop Header: Depth=1
	v_add_nc_u32_e32 v180, v193, v192
	v_lshrrev_b32_e32 v181, 1, v180
	v_and_b32_e32 v180, -2, v180
	v_xad_u32 v182, v181, -1, v177
	v_add_nc_u32_e32 v180, v1, v180
	v_lshl_add_u32 v182, v182, 1, v2
	ds_read_i16 v180, v180
	ds_read_i16 v182, v182
	s_waitcnt lgkmcnt(1)
	v_mul_i32_i24_e32 v180, 0x6667, v180
	s_waitcnt lgkmcnt(0)
	v_mul_i32_i24_e32 v182, 0x6667, v182
	v_lshrrev_b32_e32 v183, 31, v180
	v_ashrrev_i32_e32 v180, 18, v180
	v_lshrrev_b32_e32 v194, 31, v182
	v_ashrrev_i32_e32 v182, 18, v182
	v_add_nc_u16 v180, v180, v183
	v_add_nc_u32_e32 v183, 1, v181
	v_add_nc_u16 v182, v182, v194
	v_cmp_lt_i16_e64 s8, v182, v180
	v_cndmask_b32_e64 v193, v193, v181, s8
	v_cndmask_b32_e64 v192, v183, v192, s8
	v_cmp_ge_u32_e64 s8, v192, v193
	s_or_b32 s12, s8, s12
	s_andn2_b32 exec_lo, exec_lo, s12
	s_cbranch_execnz .LBB522_2157
; %bb.2158:
	s_inst_prefetch 0x2
	s_or_b32 exec_lo, exec_lo, s12
.LBB522_2159:
	s_or_b32 exec_lo, exec_lo, s9
	v_add_nc_u32_e32 v1, v179, v177
	v_add_nc_u32_e32 v177, v192, v229
	v_sub_nc_u32_e32 v180, v1, v192
	v_cmp_le_u32_e64 s8, v177, v179
	v_cmp_le_u32_e64 s9, v180, v178
	s_or_b32 s8, s8, s9
	s_and_saveexec_b32 s12, s8
	s_cbranch_execz .LBB522_2291
; %bb.2160:
	v_cmp_ge_u32_e64 s8, v177, v179
	s_mov_b32 s13, exec_lo
                                        ; implicit-def: $vgpr1
	v_cmpx_lt_u32_e64 v177, v179
; %bb.2161:
	v_lshl_add_u32 v1, v177, 1, v176
	ds_read_u16 v1, v1
; %bb.2162:
	s_or_b32 exec_lo, exec_lo, s13
	v_cmp_ge_u32_e64 s13, v180, v178
	s_mov_b32 s57, exec_lo
                                        ; implicit-def: $vgpr2
	v_cmpx_lt_u32_e64 v180, v178
; %bb.2163:
	v_lshl_add_u32 v2, v180, 1, v176
	ds_read_u16 v2, v2
; %bb.2164:
	s_or_b32 exec_lo, exec_lo, s57
	s_nor_b32 s8, s8, s13
	s_and_saveexec_b32 s9, s8
	s_cbranch_execz .LBB522_2166
; %bb.2165:
	v_mov_b32_e32 v38, 0x6667
	s_andn2_b32 s13, s13, exec_lo
	s_waitcnt lgkmcnt(0)
	v_mul_i32_i24_sdwa v39, sext(v2), v38 dst_sel:DWORD dst_unused:UNUSED_PAD src0_sel:WORD_0 src1_sel:DWORD
	v_mul_i32_i24_sdwa v38, sext(v1), v38 dst_sel:DWORD dst_unused:UNUSED_PAD src0_sel:WORD_0 src1_sel:DWORD
	v_lshrrev_b32_e32 v48, 31, v39
	v_ashrrev_i32_e32 v39, 18, v39
	v_lshrrev_b32_e32 v49, 31, v38
	v_ashrrev_i32_e32 v38, 18, v38
	v_add_nc_u16 v39, v39, v48
	v_add_nc_u16 v38, v38, v49
	v_cmp_ge_i16_e64 s8, v39, v38
	s_and_b32 s8, s8, exec_lo
	s_or_b32 s13, s13, s8
.LBB522_2166:
	s_or_b32 exec_lo, exec_lo, s9
	v_cndmask_b32_e64 v38, v180, v177, s13
	v_cndmask_b32_e64 v39, v178, v179, s13
	s_mov_b32 s57, -1
	s_mov_b32 s9, -1
	s_mov_b32 s58, exec_lo
	v_add_nc_u32_e32 v48, 1, v38
	v_add_nc_u32_e32 v38, -1, v39
	v_cndmask_b32_e64 v39, v177, v48, s13
	v_min_u32_e32 v38, v48, v38
	v_lshl_add_u32 v38, v38, 1, v176
	ds_read_u16 v49, v38
	v_cndmask_b32_e64 v38, v48, v180, s13
	s_waitcnt lgkmcnt(0)
	v_cndmask_b32_e64 v97, v49, v2, s13
	v_cndmask_b32_e64 v100, v1, v49, s13
	v_cmpx_lt_u32_e64 v38, v178
	s_cbranch_execz .LBB522_2170
; %bb.2167:
	s_mov_b32 s59, 0
	s_mov_b32 s9, exec_lo
	v_cmpx_lt_u32_e64 v39, v179
	s_cbranch_execz .LBB522_2169
; %bb.2168:
	v_mov_b32_e32 v48, 0x6667
	v_mul_i32_i24_sdwa v49, sext(v97), v48 dst_sel:DWORD dst_unused:UNUSED_PAD src0_sel:WORD_0 src1_sel:DWORD
	v_mul_i32_i24_sdwa v48, sext(v100), v48 dst_sel:DWORD dst_unused:UNUSED_PAD src0_sel:WORD_0 src1_sel:DWORD
	v_lshrrev_b32_e32 v50, 31, v49
	v_ashrrev_i32_e32 v49, 18, v49
	v_lshrrev_b32_e32 v51, 31, v48
	v_ashrrev_i32_e32 v48, 18, v48
	v_add_nc_u16 v49, v49, v50
	v_add_nc_u16 v48, v48, v51
	v_cmp_ge_i16_e64 s8, v49, v48
	s_and_b32 s59, s8, exec_lo
.LBB522_2169:
	s_or_b32 exec_lo, exec_lo, s9
	s_orn2_b32 s9, s59, exec_lo
.LBB522_2170:
	s_or_b32 exec_lo, exec_lo, s58
	v_cndmask_b32_e64 v48, v38, v39, s9
	v_cndmask_b32_e64 v49, v178, v179, s9
	s_mov_b32 s58, exec_lo
	v_add_nc_u32_e32 v48, 1, v48
	v_add_nc_u32_e32 v49, -1, v49
	v_cndmask_b32_e64 v38, v48, v38, s9
	v_min_u32_e32 v49, v48, v49
	v_cndmask_b32_e64 v39, v39, v48, s9
	v_lshl_add_u32 v49, v49, 1, v176
	ds_read_u16 v49, v49
	s_waitcnt lgkmcnt(0)
	v_cndmask_b32_e64 v99, v49, v97, s9
	v_cndmask_b32_e64 v101, v100, v49, s9
	v_cmpx_lt_u32_e64 v38, v178
	s_cbranch_execz .LBB522_2174
; %bb.2171:
	s_mov_b32 s59, 0
	s_mov_b32 s57, exec_lo
	v_cmpx_lt_u32_e64 v39, v179
	s_cbranch_execz .LBB522_2173
; %bb.2172:
	v_mov_b32_e32 v48, 0x6667
	v_mul_i32_i24_sdwa v49, sext(v99), v48 dst_sel:DWORD dst_unused:UNUSED_PAD src0_sel:WORD_0 src1_sel:DWORD
	v_mul_i32_i24_sdwa v48, sext(v101), v48 dst_sel:DWORD dst_unused:UNUSED_PAD src0_sel:WORD_0 src1_sel:DWORD
	v_lshrrev_b32_e32 v50, 31, v49
	v_ashrrev_i32_e32 v49, 18, v49
	v_lshrrev_b32_e32 v51, 31, v48
	v_ashrrev_i32_e32 v48, 18, v48
	v_add_nc_u16 v49, v49, v50
	v_add_nc_u16 v48, v48, v51
	v_cmp_ge_i16_e64 s8, v49, v48
	s_and_b32 s59, s8, exec_lo
.LBB522_2173:
	s_or_b32 exec_lo, exec_lo, s57
	s_orn2_b32 s57, s59, exec_lo
.LBB522_2174:
	s_or_b32 exec_lo, exec_lo, s58
	v_cndmask_b32_e64 v48, v38, v39, s57
	v_cndmask_b32_e64 v49, v178, v179, s57
	s_mov_b32 s59, -1
	s_mov_b32 s58, -1
	s_mov_b32 s60, exec_lo
	v_add_nc_u32_e32 v48, 1, v48
	v_add_nc_u32_e32 v49, -1, v49
	v_cndmask_b32_e64 v38, v48, v38, s57
	v_min_u32_e32 v49, v48, v49
	v_cndmask_b32_e64 v39, v39, v48, s57
	v_lshl_add_u32 v49, v49, 1, v176
	ds_read_u16 v49, v49
	s_waitcnt lgkmcnt(0)
	v_cndmask_b32_e64 v98, v49, v99, s57
	v_cndmask_b32_e64 v177, v101, v49, s57
	v_cmpx_lt_u32_e64 v38, v178
	s_cbranch_execz .LBB522_2178
; %bb.2175:
	s_mov_b32 s61, 0
	s_mov_b32 s58, exec_lo
	v_cmpx_lt_u32_e64 v39, v179
	s_cbranch_execz .LBB522_2177
; %bb.2176:
	v_mov_b32_e32 v48, 0x6667
	v_mul_i32_i24_sdwa v49, sext(v98), v48 dst_sel:DWORD dst_unused:UNUSED_PAD src0_sel:WORD_0 src1_sel:DWORD
	v_mul_i32_i24_sdwa v48, sext(v177), v48 dst_sel:DWORD dst_unused:UNUSED_PAD src0_sel:WORD_0 src1_sel:DWORD
	v_lshrrev_b32_e32 v50, 31, v49
	v_ashrrev_i32_e32 v49, 18, v49
	v_lshrrev_b32_e32 v51, 31, v48
	v_ashrrev_i32_e32 v48, 18, v48
	v_add_nc_u16 v49, v49, v50
	v_add_nc_u16 v48, v48, v51
	v_cmp_ge_i16_e64 s8, v49, v48
	s_and_b32 s61, s8, exec_lo
.LBB522_2177:
	s_or_b32 exec_lo, exec_lo, s58
	s_orn2_b32 s58, s61, exec_lo
.LBB522_2178:
	s_or_b32 exec_lo, exec_lo, s60
	v_cndmask_b32_e64 v48, v38, v39, s58
	v_cndmask_b32_e64 v49, v178, v179, s58
	s_mov_b32 s60, exec_lo
	v_add_nc_u32_e32 v48, 1, v48
	v_add_nc_u32_e32 v49, -1, v49
	v_cndmask_b32_e64 v38, v48, v38, s58
	v_min_u32_e32 v49, v48, v49
	v_cndmask_b32_e64 v39, v39, v48, s58
	v_lshl_add_u32 v49, v49, 1, v176
	ds_read_u16 v49, v49
	s_waitcnt lgkmcnt(0)
	v_cndmask_b32_e64 v96, v49, v98, s58
	v_cndmask_b32_e64 v180, v177, v49, s58
	v_cmpx_lt_u32_e64 v38, v178
	s_cbranch_execz .LBB522_2182
; %bb.2179:
	s_mov_b32 s61, 0
	s_mov_b32 s59, exec_lo
	v_cmpx_lt_u32_e64 v39, v179
	s_cbranch_execz .LBB522_2181
; %bb.2180:
	v_mov_b32_e32 v48, 0x6667
	v_mul_i32_i24_sdwa v49, sext(v96), v48 dst_sel:DWORD dst_unused:UNUSED_PAD src0_sel:WORD_0 src1_sel:DWORD
	v_mul_i32_i24_sdwa v48, sext(v180), v48 dst_sel:DWORD dst_unused:UNUSED_PAD src0_sel:WORD_0 src1_sel:DWORD
	v_lshrrev_b32_e32 v50, 31, v49
	v_ashrrev_i32_e32 v49, 18, v49
	v_lshrrev_b32_e32 v51, 31, v48
	v_ashrrev_i32_e32 v48, 18, v48
	v_add_nc_u16 v49, v49, v50
	v_add_nc_u16 v48, v48, v51
	v_cmp_ge_i16_e64 s8, v49, v48
	s_and_b32 s61, s8, exec_lo
.LBB522_2181:
	s_or_b32 exec_lo, exec_lo, s59
	s_orn2_b32 s59, s61, exec_lo
.LBB522_2182:
	s_or_b32 exec_lo, exec_lo, s60
	v_cndmask_b32_e64 v48, v38, v39, s59
	v_cndmask_b32_e64 v49, v178, v179, s59
	s_mov_b32 s61, -1
	s_mov_b32 s60, -1
	s_mov_b32 s62, exec_lo
	v_add_nc_u32_e32 v48, 1, v48
	v_add_nc_u32_e32 v49, -1, v49
	v_cndmask_b32_e64 v38, v48, v38, s59
	v_min_u32_e32 v49, v48, v49
	v_cndmask_b32_e64 v39, v39, v48, s59
	v_lshl_add_u32 v49, v49, 1, v176
	ds_read_u16 v49, v49
	s_waitcnt lgkmcnt(0)
	v_cndmask_b32_e64 v87, v49, v96, s59
	v_cndmask_b32_e64 v181, v180, v49, s59
	v_cmpx_lt_u32_e64 v38, v178
	s_cbranch_execz .LBB522_2186
; %bb.2183:
	s_mov_b32 s63, 0
	s_mov_b32 s60, exec_lo
	v_cmpx_lt_u32_e64 v39, v179
	s_cbranch_execz .LBB522_2185
; %bb.2184:
	v_mov_b32_e32 v48, 0x6667
	v_mul_i32_i24_sdwa v49, sext(v87), v48 dst_sel:DWORD dst_unused:UNUSED_PAD src0_sel:WORD_0 src1_sel:DWORD
	v_mul_i32_i24_sdwa v48, sext(v181), v48 dst_sel:DWORD dst_unused:UNUSED_PAD src0_sel:WORD_0 src1_sel:DWORD
	v_lshrrev_b32_e32 v50, 31, v49
	v_ashrrev_i32_e32 v49, 18, v49
	v_lshrrev_b32_e32 v51, 31, v48
	v_ashrrev_i32_e32 v48, 18, v48
	v_add_nc_u16 v49, v49, v50
	v_add_nc_u16 v48, v48, v51
	v_cmp_ge_i16_e64 s8, v49, v48
	s_and_b32 s63, s8, exec_lo
.LBB522_2185:
	s_or_b32 exec_lo, exec_lo, s60
	s_orn2_b32 s60, s63, exec_lo
.LBB522_2186:
	s_or_b32 exec_lo, exec_lo, s62
	v_cndmask_b32_e64 v48, v38, v39, s60
	v_cndmask_b32_e64 v49, v178, v179, s60
	s_mov_b32 s62, exec_lo
	v_add_nc_u32_e32 v48, 1, v48
	v_add_nc_u32_e32 v49, -1, v49
	v_cndmask_b32_e64 v38, v48, v38, s60
	v_min_u32_e32 v49, v48, v49
	v_cndmask_b32_e64 v39, v39, v48, s60
	v_lshl_add_u32 v49, v49, 1, v176
	ds_read_u16 v49, v49
	s_waitcnt lgkmcnt(0)
	v_cndmask_b32_e64 v86, v49, v87, s60
	v_cndmask_b32_e64 v182, v181, v49, s60
	v_cmpx_lt_u32_e64 v38, v178
	s_cbranch_execz .LBB522_2190
; %bb.2187:
	s_mov_b32 s63, 0
	s_mov_b32 s61, exec_lo
	v_cmpx_lt_u32_e64 v39, v179
	s_cbranch_execz .LBB522_2189
; %bb.2188:
	v_mov_b32_e32 v48, 0x6667
	v_mul_i32_i24_sdwa v49, sext(v86), v48 dst_sel:DWORD dst_unused:UNUSED_PAD src0_sel:WORD_0 src1_sel:DWORD
	v_mul_i32_i24_sdwa v48, sext(v182), v48 dst_sel:DWORD dst_unused:UNUSED_PAD src0_sel:WORD_0 src1_sel:DWORD
	v_lshrrev_b32_e32 v50, 31, v49
	v_ashrrev_i32_e32 v49, 18, v49
	v_lshrrev_b32_e32 v51, 31, v48
	v_ashrrev_i32_e32 v48, 18, v48
	v_add_nc_u16 v49, v49, v50
	v_add_nc_u16 v48, v48, v51
	v_cmp_ge_i16_e64 s8, v49, v48
	s_and_b32 s63, s8, exec_lo
.LBB522_2189:
	s_or_b32 exec_lo, exec_lo, s61
	s_orn2_b32 s61, s63, exec_lo
.LBB522_2190:
	s_or_b32 exec_lo, exec_lo, s62
	v_cndmask_b32_e64 v48, v38, v39, s61
	v_cndmask_b32_e64 v49, v178, v179, s61
	s_mov_b32 s63, -1
	s_mov_b32 s62, -1
	s_mov_b32 s72, exec_lo
	v_add_nc_u32_e32 v48, 1, v48
	v_add_nc_u32_e32 v49, -1, v49
	v_cndmask_b32_e64 v38, v48, v38, s61
	v_min_u32_e32 v49, v48, v49
	v_cndmask_b32_e64 v39, v39, v48, s61
	v_lshl_add_u32 v49, v49, 1, v176
	ds_read_u16 v49, v49
	s_waitcnt lgkmcnt(0)
	v_cndmask_b32_e64 v85, v49, v86, s61
	v_cndmask_b32_e64 v183, v182, v49, s61
	v_cmpx_lt_u32_e64 v38, v178
	s_cbranch_execz .LBB522_2194
; %bb.2191:
	s_mov_b32 s73, 0
	s_mov_b32 s62, exec_lo
	v_cmpx_lt_u32_e64 v39, v179
	s_cbranch_execz .LBB522_2193
; %bb.2192:
	v_mov_b32_e32 v48, 0x6667
	v_mul_i32_i24_sdwa v49, sext(v85), v48 dst_sel:DWORD dst_unused:UNUSED_PAD src0_sel:WORD_0 src1_sel:DWORD
	v_mul_i32_i24_sdwa v48, sext(v183), v48 dst_sel:DWORD dst_unused:UNUSED_PAD src0_sel:WORD_0 src1_sel:DWORD
	v_lshrrev_b32_e32 v50, 31, v49
	v_ashrrev_i32_e32 v49, 18, v49
	v_lshrrev_b32_e32 v51, 31, v48
	v_ashrrev_i32_e32 v48, 18, v48
	v_add_nc_u16 v49, v49, v50
	v_add_nc_u16 v48, v48, v51
	v_cmp_ge_i16_e64 s8, v49, v48
	s_and_b32 s73, s8, exec_lo
.LBB522_2193:
	s_or_b32 exec_lo, exec_lo, s62
	s_orn2_b32 s62, s73, exec_lo
.LBB522_2194:
	s_or_b32 exec_lo, exec_lo, s72
	v_cndmask_b32_e64 v48, v38, v39, s62
	v_cndmask_b32_e64 v49, v178, v179, s62
	s_mov_b32 s72, exec_lo
	v_add_nc_u32_e32 v48, 1, v48
	v_add_nc_u32_e32 v49, -1, v49
	v_cndmask_b32_e64 v38, v48, v38, s62
	v_min_u32_e32 v49, v48, v49
	v_cndmask_b32_e64 v39, v39, v48, s62
	v_lshl_add_u32 v49, v49, 1, v176
	ds_read_u16 v49, v49
	s_waitcnt lgkmcnt(0)
	v_cndmask_b32_e64 v84, v49, v85, s62
	v_cndmask_b32_e64 v192, v183, v49, s62
	v_cmpx_lt_u32_e64 v38, v178
	s_cbranch_execz .LBB522_2198
; %bb.2195:
	s_mov_b32 s73, 0
	s_mov_b32 s63, exec_lo
	v_cmpx_lt_u32_e64 v39, v179
	s_cbranch_execz .LBB522_2197
; %bb.2196:
	v_mov_b32_e32 v48, 0x6667
	v_mul_i32_i24_sdwa v49, sext(v84), v48 dst_sel:DWORD dst_unused:UNUSED_PAD src0_sel:WORD_0 src1_sel:DWORD
	v_mul_i32_i24_sdwa v48, sext(v192), v48 dst_sel:DWORD dst_unused:UNUSED_PAD src0_sel:WORD_0 src1_sel:DWORD
	v_lshrrev_b32_e32 v50, 31, v49
	v_ashrrev_i32_e32 v49, 18, v49
	v_lshrrev_b32_e32 v51, 31, v48
	v_ashrrev_i32_e32 v48, 18, v48
	v_add_nc_u16 v49, v49, v50
	v_add_nc_u16 v48, v48, v51
	v_cmp_ge_i16_e64 s8, v49, v48
	s_and_b32 s73, s8, exec_lo
.LBB522_2197:
	s_or_b32 exec_lo, exec_lo, s63
	s_orn2_b32 s63, s73, exec_lo
.LBB522_2198:
	s_or_b32 exec_lo, exec_lo, s72
	v_cndmask_b32_e64 v48, v38, v39, s63
	v_cndmask_b32_e64 v49, v178, v179, s63
	s_mov_b32 s73, -1
	s_mov_b32 s72, -1
	s_mov_b32 s74, exec_lo
	v_add_nc_u32_e32 v48, 1, v48
	v_add_nc_u32_e32 v49, -1, v49
	v_cndmask_b32_e64 v38, v48, v38, s63
	v_min_u32_e32 v49, v48, v49
	v_cndmask_b32_e64 v39, v39, v48, s63
	v_lshl_add_u32 v49, v49, 1, v176
	ds_read_u16 v49, v49
	s_waitcnt lgkmcnt(0)
	v_cndmask_b32_e64 v83, v49, v84, s63
	v_cndmask_b32_e64 v193, v192, v49, s63
	v_cmpx_lt_u32_e64 v38, v178
	s_cbranch_execz .LBB522_2202
; %bb.2199:
	s_mov_b32 s75, 0
	s_mov_b32 s72, exec_lo
	v_cmpx_lt_u32_e64 v39, v179
	s_cbranch_execz .LBB522_2201
; %bb.2200:
	v_mov_b32_e32 v48, 0x6667
	v_mul_i32_i24_sdwa v49, sext(v83), v48 dst_sel:DWORD dst_unused:UNUSED_PAD src0_sel:WORD_0 src1_sel:DWORD
	v_mul_i32_i24_sdwa v48, sext(v193), v48 dst_sel:DWORD dst_unused:UNUSED_PAD src0_sel:WORD_0 src1_sel:DWORD
	v_lshrrev_b32_e32 v50, 31, v49
	v_ashrrev_i32_e32 v49, 18, v49
	v_lshrrev_b32_e32 v51, 31, v48
	v_ashrrev_i32_e32 v48, 18, v48
	v_add_nc_u16 v49, v49, v50
	v_add_nc_u16 v48, v48, v51
	v_cmp_ge_i16_e64 s8, v49, v48
	s_and_b32 s75, s8, exec_lo
.LBB522_2201:
	s_or_b32 exec_lo, exec_lo, s72
	s_orn2_b32 s72, s75, exec_lo
.LBB522_2202:
	s_or_b32 exec_lo, exec_lo, s74
	v_cndmask_b32_e64 v48, v38, v39, s72
	v_cndmask_b32_e64 v49, v178, v179, s72
	s_mov_b32 s74, exec_lo
	v_add_nc_u32_e32 v48, 1, v48
	v_add_nc_u32_e32 v49, -1, v49
	v_cndmask_b32_e64 v38, v48, v38, s72
	v_min_u32_e32 v49, v48, v49
	v_cndmask_b32_e64 v39, v39, v48, s72
	v_lshl_add_u32 v49, v49, 1, v176
	ds_read_u16 v49, v49
	s_waitcnt lgkmcnt(0)
	v_cndmask_b32_e64 v82, v49, v83, s72
	v_cndmask_b32_e64 v194, v193, v49, s72
	v_cmpx_lt_u32_e64 v38, v178
	s_cbranch_execz .LBB522_2206
; %bb.2203:
	s_mov_b32 s75, 0
	s_mov_b32 s73, exec_lo
	v_cmpx_lt_u32_e64 v39, v179
	s_cbranch_execz .LBB522_2205
; %bb.2204:
	v_mov_b32_e32 v48, 0x6667
	v_mul_i32_i24_sdwa v49, sext(v82), v48 dst_sel:DWORD dst_unused:UNUSED_PAD src0_sel:WORD_0 src1_sel:DWORD
	v_mul_i32_i24_sdwa v48, sext(v194), v48 dst_sel:DWORD dst_unused:UNUSED_PAD src0_sel:WORD_0 src1_sel:DWORD
	v_lshrrev_b32_e32 v50, 31, v49
	v_ashrrev_i32_e32 v49, 18, v49
	v_lshrrev_b32_e32 v51, 31, v48
	v_ashrrev_i32_e32 v48, 18, v48
	v_add_nc_u16 v49, v49, v50
	v_add_nc_u16 v48, v48, v51
	v_cmp_ge_i16_e64 s8, v49, v48
	s_and_b32 s75, s8, exec_lo
.LBB522_2205:
	s_or_b32 exec_lo, exec_lo, s73
	s_orn2_b32 s73, s75, exec_lo
.LBB522_2206:
	s_or_b32 exec_lo, exec_lo, s74
	v_cndmask_b32_e64 v48, v38, v39, s73
	v_cndmask_b32_e64 v49, v178, v179, s73
	s_mov_b32 s75, -1
	s_mov_b32 s74, -1
	s_mov_b32 s76, exec_lo
	v_add_nc_u32_e32 v48, 1, v48
	v_add_nc_u32_e32 v49, -1, v49
	v_cndmask_b32_e64 v38, v48, v38, s73
	v_min_u32_e32 v49, v48, v49
	v_cndmask_b32_e64 v39, v39, v48, s73
	v_lshl_add_u32 v49, v49, 1, v176
	ds_read_u16 v49, v49
	s_waitcnt lgkmcnt(0)
	v_cndmask_b32_e64 v81, v49, v82, s73
	v_cndmask_b32_e64 v195, v194, v49, s73
	v_cmpx_lt_u32_e64 v38, v178
	s_cbranch_execz .LBB522_2210
; %bb.2207:
	s_mov_b32 s77, 0
	s_mov_b32 s74, exec_lo
	v_cmpx_lt_u32_e64 v39, v179
	s_cbranch_execz .LBB522_2209
; %bb.2208:
	v_mov_b32_e32 v48, 0x6667
	v_mul_i32_i24_sdwa v49, sext(v81), v48 dst_sel:DWORD dst_unused:UNUSED_PAD src0_sel:WORD_0 src1_sel:DWORD
	v_mul_i32_i24_sdwa v48, sext(v195), v48 dst_sel:DWORD dst_unused:UNUSED_PAD src0_sel:WORD_0 src1_sel:DWORD
	v_lshrrev_b32_e32 v50, 31, v49
	v_ashrrev_i32_e32 v49, 18, v49
	v_lshrrev_b32_e32 v51, 31, v48
	v_ashrrev_i32_e32 v48, 18, v48
	v_add_nc_u16 v49, v49, v50
	v_add_nc_u16 v48, v48, v51
	v_cmp_ge_i16_e64 s8, v49, v48
	s_and_b32 s77, s8, exec_lo
.LBB522_2209:
	s_or_b32 exec_lo, exec_lo, s74
	s_orn2_b32 s74, s77, exec_lo
.LBB522_2210:
	s_or_b32 exec_lo, exec_lo, s76
	v_cndmask_b32_e64 v48, v38, v39, s74
	v_cndmask_b32_e64 v49, v178, v179, s74
	s_mov_b32 s76, exec_lo
	v_add_nc_u32_e32 v48, 1, v48
	v_add_nc_u32_e32 v49, -1, v49
	v_cndmask_b32_e64 v38, v48, v38, s74
	v_min_u32_e32 v49, v48, v49
	v_cndmask_b32_e64 v39, v39, v48, s74
	v_lshl_add_u32 v49, v49, 1, v176
	ds_read_u16 v49, v49
	s_waitcnt lgkmcnt(0)
	v_cndmask_b32_e64 v80, v49, v81, s74
	v_cndmask_b32_e64 v196, v195, v49, s74
	v_cmpx_lt_u32_e64 v38, v178
	s_cbranch_execz .LBB522_2214
; %bb.2211:
	s_mov_b32 s77, 0
	s_mov_b32 s75, exec_lo
	v_cmpx_lt_u32_e64 v39, v179
	s_cbranch_execz .LBB522_2213
; %bb.2212:
	v_mov_b32_e32 v48, 0x6667
	v_mul_i32_i24_sdwa v49, sext(v80), v48 dst_sel:DWORD dst_unused:UNUSED_PAD src0_sel:WORD_0 src1_sel:DWORD
	v_mul_i32_i24_sdwa v48, sext(v196), v48 dst_sel:DWORD dst_unused:UNUSED_PAD src0_sel:WORD_0 src1_sel:DWORD
	v_lshrrev_b32_e32 v50, 31, v49
	v_ashrrev_i32_e32 v49, 18, v49
	v_lshrrev_b32_e32 v51, 31, v48
	v_ashrrev_i32_e32 v48, 18, v48
	v_add_nc_u16 v49, v49, v50
	v_add_nc_u16 v48, v48, v51
	v_cmp_ge_i16_e64 s8, v49, v48
	s_and_b32 s77, s8, exec_lo
.LBB522_2213:
	s_or_b32 exec_lo, exec_lo, s75
	s_orn2_b32 s75, s77, exec_lo
.LBB522_2214:
	s_or_b32 exec_lo, exec_lo, s76
	v_cndmask_b32_e64 v48, v38, v39, s75
	v_cndmask_b32_e64 v49, v178, v179, s75
	s_mov_b32 s77, -1
	s_mov_b32 s76, -1
	s_mov_b32 s78, exec_lo
	v_add_nc_u32_e32 v48, 1, v48
	v_add_nc_u32_e32 v49, -1, v49
	v_cndmask_b32_e64 v38, v48, v38, s75
	v_min_u32_e32 v49, v48, v49
	v_cndmask_b32_e64 v39, v39, v48, s75
	v_lshl_add_u32 v49, v49, 1, v176
	ds_read_u16 v49, v49
	s_waitcnt lgkmcnt(0)
	v_cndmask_b32_e64 v71, v49, v80, s75
	v_cndmask_b32_e64 v197, v196, v49, s75
	v_cmpx_lt_u32_e64 v38, v178
	s_cbranch_execz .LBB522_2218
; %bb.2215:
	s_mov_b32 s79, 0
	s_mov_b32 s76, exec_lo
	v_cmpx_lt_u32_e64 v39, v179
	s_cbranch_execz .LBB522_2217
; %bb.2216:
	v_mov_b32_e32 v48, 0x6667
	v_mul_i32_i24_sdwa v49, sext(v71), v48 dst_sel:DWORD dst_unused:UNUSED_PAD src0_sel:WORD_0 src1_sel:DWORD
	v_mul_i32_i24_sdwa v48, sext(v197), v48 dst_sel:DWORD dst_unused:UNUSED_PAD src0_sel:WORD_0 src1_sel:DWORD
	v_lshrrev_b32_e32 v50, 31, v49
	v_ashrrev_i32_e32 v49, 18, v49
	v_lshrrev_b32_e32 v51, 31, v48
	v_ashrrev_i32_e32 v48, 18, v48
	v_add_nc_u16 v49, v49, v50
	v_add_nc_u16 v48, v48, v51
	v_cmp_ge_i16_e64 s8, v49, v48
	s_and_b32 s79, s8, exec_lo
.LBB522_2217:
	s_or_b32 exec_lo, exec_lo, s76
	s_orn2_b32 s76, s79, exec_lo
.LBB522_2218:
	s_or_b32 exec_lo, exec_lo, s78
	v_cndmask_b32_e64 v48, v38, v39, s76
	v_cndmask_b32_e64 v49, v178, v179, s76
	s_mov_b32 s78, exec_lo
	v_add_nc_u32_e32 v48, 1, v48
	v_add_nc_u32_e32 v49, -1, v49
	v_cndmask_b32_e64 v38, v48, v38, s76
	v_min_u32_e32 v49, v48, v49
	v_cndmask_b32_e64 v39, v39, v48, s76
	v_lshl_add_u32 v49, v49, 1, v176
	ds_read_u16 v49, v49
	s_waitcnt lgkmcnt(0)
	v_cndmask_b32_e64 v70, v49, v71, s76
	v_cndmask_b32_e64 v198, v197, v49, s76
	v_cmpx_lt_u32_e64 v38, v178
	s_cbranch_execz .LBB522_2222
; %bb.2219:
	s_mov_b32 s79, 0
	s_mov_b32 s77, exec_lo
	v_cmpx_lt_u32_e64 v39, v179
	s_cbranch_execz .LBB522_2221
; %bb.2220:
	v_mov_b32_e32 v48, 0x6667
	v_mul_i32_i24_sdwa v49, sext(v70), v48 dst_sel:DWORD dst_unused:UNUSED_PAD src0_sel:WORD_0 src1_sel:DWORD
	v_mul_i32_i24_sdwa v48, sext(v198), v48 dst_sel:DWORD dst_unused:UNUSED_PAD src0_sel:WORD_0 src1_sel:DWORD
	v_lshrrev_b32_e32 v50, 31, v49
	v_ashrrev_i32_e32 v49, 18, v49
	v_lshrrev_b32_e32 v51, 31, v48
	v_ashrrev_i32_e32 v48, 18, v48
	v_add_nc_u16 v49, v49, v50
	v_add_nc_u16 v48, v48, v51
	v_cmp_ge_i16_e64 s8, v49, v48
	s_and_b32 s79, s8, exec_lo
.LBB522_2221:
	s_or_b32 exec_lo, exec_lo, s77
	s_orn2_b32 s77, s79, exec_lo
.LBB522_2222:
	s_or_b32 exec_lo, exec_lo, s78
	v_cndmask_b32_e64 v48, v38, v39, s77
	v_cndmask_b32_e64 v49, v178, v179, s77
	s_mov_b32 s79, -1
	s_mov_b32 s78, -1
	s_mov_b32 s88, exec_lo
	v_add_nc_u32_e32 v48, 1, v48
	v_add_nc_u32_e32 v49, -1, v49
	v_cndmask_b32_e64 v38, v48, v38, s77
	v_min_u32_e32 v49, v48, v49
	v_cndmask_b32_e64 v39, v39, v48, s77
	v_lshl_add_u32 v49, v49, 1, v176
	ds_read_u16 v49, v49
	s_waitcnt lgkmcnt(0)
	v_cndmask_b32_e64 v69, v49, v70, s77
	v_cndmask_b32_e64 v199, v198, v49, s77
	v_cmpx_lt_u32_e64 v38, v178
	s_cbranch_execz .LBB522_2226
; %bb.2223:
	s_mov_b32 s89, 0
	s_mov_b32 s78, exec_lo
	v_cmpx_lt_u32_e64 v39, v179
	s_cbranch_execz .LBB522_2225
; %bb.2224:
	v_mov_b32_e32 v48, 0x6667
	v_mul_i32_i24_sdwa v49, sext(v69), v48 dst_sel:DWORD dst_unused:UNUSED_PAD src0_sel:WORD_0 src1_sel:DWORD
	v_mul_i32_i24_sdwa v48, sext(v199), v48 dst_sel:DWORD dst_unused:UNUSED_PAD src0_sel:WORD_0 src1_sel:DWORD
	v_lshrrev_b32_e32 v50, 31, v49
	v_ashrrev_i32_e32 v49, 18, v49
	v_lshrrev_b32_e32 v51, 31, v48
	v_ashrrev_i32_e32 v48, 18, v48
	v_add_nc_u16 v49, v49, v50
	v_add_nc_u16 v48, v48, v51
	v_cmp_ge_i16_e64 s8, v49, v48
	s_and_b32 s89, s8, exec_lo
.LBB522_2225:
	s_or_b32 exec_lo, exec_lo, s78
	s_orn2_b32 s78, s89, exec_lo
.LBB522_2226:
	s_or_b32 exec_lo, exec_lo, s88
	v_cndmask_b32_e64 v48, v38, v39, s78
	v_cndmask_b32_e64 v49, v178, v179, s78
	s_mov_b32 s88, exec_lo
	v_add_nc_u32_e32 v48, 1, v48
	v_add_nc_u32_e32 v49, -1, v49
	v_cndmask_b32_e64 v38, v48, v38, s78
	v_min_u32_e32 v49, v48, v49
	v_cndmask_b32_e64 v39, v39, v48, s78
	v_lshl_add_u32 v49, v49, 1, v176
	ds_read_u16 v49, v49
	s_waitcnt lgkmcnt(0)
	v_cndmask_b32_e64 v68, v49, v69, s78
	v_cndmask_b32_e64 v208, v199, v49, s78
	v_cmpx_lt_u32_e64 v38, v178
	s_cbranch_execz .LBB522_2230
; %bb.2227:
	s_mov_b32 s89, 0
	s_mov_b32 s79, exec_lo
	v_cmpx_lt_u32_e64 v39, v179
	s_cbranch_execz .LBB522_2229
; %bb.2228:
	v_mov_b32_e32 v48, 0x6667
	v_mul_i32_i24_sdwa v49, sext(v68), v48 dst_sel:DWORD dst_unused:UNUSED_PAD src0_sel:WORD_0 src1_sel:DWORD
	v_mul_i32_i24_sdwa v48, sext(v208), v48 dst_sel:DWORD dst_unused:UNUSED_PAD src0_sel:WORD_0 src1_sel:DWORD
	v_lshrrev_b32_e32 v50, 31, v49
	v_ashrrev_i32_e32 v49, 18, v49
	v_lshrrev_b32_e32 v51, 31, v48
	v_ashrrev_i32_e32 v48, 18, v48
	v_add_nc_u16 v49, v49, v50
	v_add_nc_u16 v48, v48, v51
	v_cmp_ge_i16_e64 s8, v49, v48
	s_and_b32 s89, s8, exec_lo
.LBB522_2229:
	s_or_b32 exec_lo, exec_lo, s79
	s_orn2_b32 s79, s89, exec_lo
.LBB522_2230:
	s_or_b32 exec_lo, exec_lo, s88
	v_cndmask_b32_e64 v48, v38, v39, s79
	v_cndmask_b32_e64 v49, v178, v179, s79
	s_mov_b32 s89, -1
	s_mov_b32 s88, -1
	s_mov_b32 s90, exec_lo
	v_add_nc_u32_e32 v48, 1, v48
	v_add_nc_u32_e32 v49, -1, v49
	v_cndmask_b32_e64 v38, v48, v38, s79
	v_min_u32_e32 v49, v48, v49
	v_cndmask_b32_e64 v39, v39, v48, s79
	v_lshl_add_u32 v49, v49, 1, v176
	ds_read_u16 v49, v49
	s_waitcnt lgkmcnt(0)
	v_cndmask_b32_e64 v67, v49, v68, s79
	v_cndmask_b32_e64 v209, v208, v49, s79
	v_cmpx_lt_u32_e64 v38, v178
	s_cbranch_execz .LBB522_2234
; %bb.2231:
	s_mov_b32 s91, 0
	s_mov_b32 s88, exec_lo
	v_cmpx_lt_u32_e64 v39, v179
	s_cbranch_execz .LBB522_2233
; %bb.2232:
	v_mov_b32_e32 v48, 0x6667
	v_mul_i32_i24_sdwa v49, sext(v67), v48 dst_sel:DWORD dst_unused:UNUSED_PAD src0_sel:WORD_0 src1_sel:DWORD
	v_mul_i32_i24_sdwa v48, sext(v209), v48 dst_sel:DWORD dst_unused:UNUSED_PAD src0_sel:WORD_0 src1_sel:DWORD
	v_lshrrev_b32_e32 v50, 31, v49
	v_ashrrev_i32_e32 v49, 18, v49
	v_lshrrev_b32_e32 v51, 31, v48
	v_ashrrev_i32_e32 v48, 18, v48
	v_add_nc_u16 v49, v49, v50
	v_add_nc_u16 v48, v48, v51
	v_cmp_ge_i16_e64 s8, v49, v48
	s_and_b32 s91, s8, exec_lo
.LBB522_2233:
	s_or_b32 exec_lo, exec_lo, s88
	s_orn2_b32 s88, s91, exec_lo
.LBB522_2234:
	s_or_b32 exec_lo, exec_lo, s90
	v_cndmask_b32_e64 v48, v38, v39, s88
	v_cndmask_b32_e64 v49, v178, v179, s88
	s_mov_b32 s90, exec_lo
	v_add_nc_u32_e32 v48, 1, v48
	v_add_nc_u32_e32 v49, -1, v49
	v_cndmask_b32_e64 v38, v48, v38, s88
	v_min_u32_e32 v49, v48, v49
	v_cndmask_b32_e64 v39, v39, v48, s88
	v_lshl_add_u32 v49, v49, 1, v176
	ds_read_u16 v49, v49
	s_waitcnt lgkmcnt(0)
	v_cndmask_b32_e64 v66, v49, v67, s88
	v_cndmask_b32_e64 v210, v209, v49, s88
	v_cmpx_lt_u32_e64 v38, v178
	s_cbranch_execz .LBB522_2238
; %bb.2235:
	s_mov_b32 s91, 0
	s_mov_b32 s89, exec_lo
	v_cmpx_lt_u32_e64 v39, v179
	s_cbranch_execz .LBB522_2237
; %bb.2236:
	v_mov_b32_e32 v48, 0x6667
	v_mul_i32_i24_sdwa v49, sext(v66), v48 dst_sel:DWORD dst_unused:UNUSED_PAD src0_sel:WORD_0 src1_sel:DWORD
	v_mul_i32_i24_sdwa v48, sext(v210), v48 dst_sel:DWORD dst_unused:UNUSED_PAD src0_sel:WORD_0 src1_sel:DWORD
	v_lshrrev_b32_e32 v50, 31, v49
	v_ashrrev_i32_e32 v49, 18, v49
	v_lshrrev_b32_e32 v51, 31, v48
	v_ashrrev_i32_e32 v48, 18, v48
	v_add_nc_u16 v49, v49, v50
	v_add_nc_u16 v48, v48, v51
	v_cmp_ge_i16_e64 s8, v49, v48
	s_and_b32 s91, s8, exec_lo
.LBB522_2237:
	s_or_b32 exec_lo, exec_lo, s89
	s_orn2_b32 s89, s91, exec_lo
.LBB522_2238:
	s_or_b32 exec_lo, exec_lo, s90
	v_cndmask_b32_e64 v48, v38, v39, s89
	v_cndmask_b32_e64 v49, v178, v179, s89
	s_mov_b32 s91, -1
	s_mov_b32 s90, -1
	s_mov_b32 s92, exec_lo
	v_add_nc_u32_e32 v48, 1, v48
	v_add_nc_u32_e32 v49, -1, v49
	v_cndmask_b32_e64 v38, v48, v38, s89
	v_min_u32_e32 v49, v48, v49
	v_cndmask_b32_e64 v39, v39, v48, s89
	v_lshl_add_u32 v49, v49, 1, v176
	ds_read_u16 v49, v49
	s_waitcnt lgkmcnt(0)
	v_cndmask_b32_e64 v65, v49, v66, s89
	v_cndmask_b32_e64 v211, v210, v49, s89
	v_cmpx_lt_u32_e64 v38, v178
	s_cbranch_execz .LBB522_2242
; %bb.2239:
	s_mov_b32 s93, 0
	s_mov_b32 s90, exec_lo
	v_cmpx_lt_u32_e64 v39, v179
	s_cbranch_execz .LBB522_2241
; %bb.2240:
	v_mov_b32_e32 v48, 0x6667
	v_mul_i32_i24_sdwa v49, sext(v65), v48 dst_sel:DWORD dst_unused:UNUSED_PAD src0_sel:WORD_0 src1_sel:DWORD
	v_mul_i32_i24_sdwa v48, sext(v211), v48 dst_sel:DWORD dst_unused:UNUSED_PAD src0_sel:WORD_0 src1_sel:DWORD
	v_lshrrev_b32_e32 v50, 31, v49
	v_ashrrev_i32_e32 v49, 18, v49
	v_lshrrev_b32_e32 v51, 31, v48
	v_ashrrev_i32_e32 v48, 18, v48
	v_add_nc_u16 v49, v49, v50
	v_add_nc_u16 v48, v48, v51
	v_cmp_ge_i16_e64 s8, v49, v48
	s_and_b32 s93, s8, exec_lo
.LBB522_2241:
	s_or_b32 exec_lo, exec_lo, s90
	s_orn2_b32 s90, s93, exec_lo
.LBB522_2242:
	s_or_b32 exec_lo, exec_lo, s92
	v_cndmask_b32_e64 v48, v38, v39, s90
	v_cndmask_b32_e64 v49, v178, v179, s90
	s_mov_b32 s92, exec_lo
	v_add_nc_u32_e32 v48, 1, v48
	v_add_nc_u32_e32 v49, -1, v49
	v_cndmask_b32_e64 v38, v48, v38, s90
	v_min_u32_e32 v49, v48, v49
	v_cndmask_b32_e64 v39, v39, v48, s90
	v_lshl_add_u32 v49, v49, 1, v176
	ds_read_u16 v49, v49
	s_waitcnt lgkmcnt(0)
	v_cndmask_b32_e64 v64, v49, v65, s90
	v_cndmask_b32_e64 v212, v211, v49, s90
	v_cmpx_lt_u32_e64 v38, v178
	s_cbranch_execz .LBB522_2246
; %bb.2243:
	s_mov_b32 s93, 0
	s_mov_b32 s91, exec_lo
	v_cmpx_lt_u32_e64 v39, v179
	s_cbranch_execz .LBB522_2245
; %bb.2244:
	v_mov_b32_e32 v48, 0x6667
	v_mul_i32_i24_sdwa v49, sext(v64), v48 dst_sel:DWORD dst_unused:UNUSED_PAD src0_sel:WORD_0 src1_sel:DWORD
	v_mul_i32_i24_sdwa v48, sext(v212), v48 dst_sel:DWORD dst_unused:UNUSED_PAD src0_sel:WORD_0 src1_sel:DWORD
	v_lshrrev_b32_e32 v50, 31, v49
	v_ashrrev_i32_e32 v49, 18, v49
	v_lshrrev_b32_e32 v51, 31, v48
	v_ashrrev_i32_e32 v48, 18, v48
	v_add_nc_u16 v49, v49, v50
	v_add_nc_u16 v48, v48, v51
	v_cmp_ge_i16_e64 s8, v49, v48
	s_and_b32 s93, s8, exec_lo
.LBB522_2245:
	s_or_b32 exec_lo, exec_lo, s91
	s_orn2_b32 s91, s93, exec_lo
.LBB522_2246:
	s_or_b32 exec_lo, exec_lo, s92
	v_cndmask_b32_e64 v48, v38, v39, s91
	v_cndmask_b32_e64 v49, v178, v179, s91
	s_mov_b32 s93, -1
	s_mov_b32 s92, -1
	s_mov_b32 s94, exec_lo
	v_add_nc_u32_e32 v48, 1, v48
	v_add_nc_u32_e32 v49, -1, v49
	v_cndmask_b32_e64 v38, v48, v38, s91
	v_min_u32_e32 v49, v48, v49
	v_cndmask_b32_e64 v39, v39, v48, s91
	v_lshl_add_u32 v49, v49, 1, v176
	ds_read_u16 v49, v49
	s_waitcnt lgkmcnt(0)
	v_cndmask_b32_e64 v55, v49, v64, s91
	v_cndmask_b32_e64 v213, v212, v49, s91
	v_cmpx_lt_u32_e64 v38, v178
	s_cbranch_execz .LBB522_2250
; %bb.2247:
	s_mov_b32 s95, 0
	s_mov_b32 s92, exec_lo
	v_cmpx_lt_u32_e64 v39, v179
	s_cbranch_execz .LBB522_2249
; %bb.2248:
	v_mov_b32_e32 v48, 0x6667
	v_mul_i32_i24_sdwa v49, sext(v55), v48 dst_sel:DWORD dst_unused:UNUSED_PAD src0_sel:WORD_0 src1_sel:DWORD
	v_mul_i32_i24_sdwa v48, sext(v213), v48 dst_sel:DWORD dst_unused:UNUSED_PAD src0_sel:WORD_0 src1_sel:DWORD
	v_lshrrev_b32_e32 v50, 31, v49
	v_ashrrev_i32_e32 v49, 18, v49
	v_lshrrev_b32_e32 v51, 31, v48
	v_ashrrev_i32_e32 v48, 18, v48
	v_add_nc_u16 v49, v49, v50
	v_add_nc_u16 v48, v48, v51
	v_cmp_ge_i16_e64 s8, v49, v48
	s_and_b32 s95, s8, exec_lo
.LBB522_2249:
	s_or_b32 exec_lo, exec_lo, s92
	s_orn2_b32 s92, s95, exec_lo
.LBB522_2250:
	s_or_b32 exec_lo, exec_lo, s94
	v_cndmask_b32_e64 v48, v38, v39, s92
	v_cndmask_b32_e64 v49, v178, v179, s92
	s_mov_b32 s94, exec_lo
	v_add_nc_u32_e32 v48, 1, v48
	v_add_nc_u32_e32 v49, -1, v49
	v_cndmask_b32_e64 v38, v48, v38, s92
	v_min_u32_e32 v49, v48, v49
	v_cndmask_b32_e64 v39, v39, v48, s92
	v_lshl_add_u32 v49, v49, 1, v176
	ds_read_u16 v49, v49
	s_waitcnt lgkmcnt(0)
	v_cndmask_b32_e64 v53, v49, v55, s92
	v_cndmask_b32_e64 v214, v213, v49, s92
	v_cmpx_lt_u32_e64 v38, v178
	s_cbranch_execz .LBB522_2254
; %bb.2251:
	s_mov_b32 s95, 0
	s_mov_b32 s93, exec_lo
	v_cmpx_lt_u32_e64 v39, v179
	s_cbranch_execz .LBB522_2253
; %bb.2252:
	v_mov_b32_e32 v48, 0x6667
	v_mul_i32_i24_sdwa v49, sext(v53), v48 dst_sel:DWORD dst_unused:UNUSED_PAD src0_sel:WORD_0 src1_sel:DWORD
	v_mul_i32_i24_sdwa v48, sext(v214), v48 dst_sel:DWORD dst_unused:UNUSED_PAD src0_sel:WORD_0 src1_sel:DWORD
	v_lshrrev_b32_e32 v50, 31, v49
	v_ashrrev_i32_e32 v49, 18, v49
	v_lshrrev_b32_e32 v51, 31, v48
	v_ashrrev_i32_e32 v48, 18, v48
	v_add_nc_u16 v49, v49, v50
	v_add_nc_u16 v48, v48, v51
	v_cmp_ge_i16_e64 s8, v49, v48
	s_and_b32 s95, s8, exec_lo
.LBB522_2253:
	s_or_b32 exec_lo, exec_lo, s93
	s_orn2_b32 s93, s95, exec_lo
.LBB522_2254:
	s_or_b32 exec_lo, exec_lo, s94
	v_cndmask_b32_e64 v48, v38, v39, s93
	v_cndmask_b32_e64 v49, v178, v179, s93
	s_mov_b32 s95, -1
	s_mov_b32 s94, -1
	s_mov_b32 vcc_hi, exec_lo
	v_add_nc_u32_e32 v48, 1, v48
	v_add_nc_u32_e32 v49, -1, v49
	v_cndmask_b32_e64 v38, v48, v38, s93
	v_min_u32_e32 v49, v48, v49
	v_cndmask_b32_e64 v39, v39, v48, s93
	v_lshl_add_u32 v49, v49, 1, v176
	ds_read_u16 v49, v49
	s_waitcnt lgkmcnt(0)
	v_cndmask_b32_e64 v52, v49, v53, s93
	v_cndmask_b32_e64 v215, v214, v49, s93
	v_cmpx_lt_u32_e64 v38, v178
	s_cbranch_execz .LBB522_2258
; %bb.2255:
	s_mov_b32 s30, 0
	s_mov_b32 s94, exec_lo
	v_cmpx_lt_u32_e64 v39, v179
	s_cbranch_execz .LBB522_2257
; %bb.2256:
	v_mov_b32_e32 v48, 0x6667
	v_mul_i32_i24_sdwa v49, sext(v52), v48 dst_sel:DWORD dst_unused:UNUSED_PAD src0_sel:WORD_0 src1_sel:DWORD
	v_mul_i32_i24_sdwa v48, sext(v215), v48 dst_sel:DWORD dst_unused:UNUSED_PAD src0_sel:WORD_0 src1_sel:DWORD
	v_lshrrev_b32_e32 v50, 31, v49
	v_ashrrev_i32_e32 v49, 18, v49
	v_lshrrev_b32_e32 v51, 31, v48
	v_ashrrev_i32_e32 v48, 18, v48
	v_add_nc_u16 v49, v49, v50
	v_add_nc_u16 v48, v48, v51
	v_cmp_ge_i16_e64 s8, v49, v48
	s_and_b32 s30, s8, exec_lo
.LBB522_2257:
	s_or_b32 exec_lo, exec_lo, s94
	s_orn2_b32 s94, s30, exec_lo
.LBB522_2258:
	s_or_b32 exec_lo, exec_lo, vcc_hi
	v_cndmask_b32_e64 v48, v38, v39, s94
	v_cndmask_b32_e64 v49, v178, v179, s94
	s_mov_b32 vcc_hi, exec_lo
	v_add_nc_u32_e32 v48, 1, v48
	v_add_nc_u32_e32 v49, -1, v49
	v_cndmask_b32_e64 v38, v48, v38, s94
	v_min_u32_e32 v49, v48, v49
	v_cndmask_b32_e64 v39, v39, v48, s94
	v_lshl_add_u32 v49, v49, 1, v176
	ds_read_u16 v49, v49
	s_waitcnt lgkmcnt(0)
	v_cndmask_b32_e64 v51, v49, v52, s94
	v_cndmask_b32_e64 v224, v215, v49, s94
	v_cmpx_lt_u32_e64 v38, v178
	s_cbranch_execz .LBB522_2262
; %bb.2259:
	s_mov_b32 s30, 0
	s_mov_b32 s95, exec_lo
	v_cmpx_lt_u32_e64 v39, v179
	s_cbranch_execz .LBB522_2261
; %bb.2260:
	v_mov_b32_e32 v48, 0x6667
	v_mul_i32_i24_sdwa v49, sext(v51), v48 dst_sel:DWORD dst_unused:UNUSED_PAD src0_sel:WORD_0 src1_sel:DWORD
	v_mul_i32_i24_sdwa v48, sext(v224), v48 dst_sel:DWORD dst_unused:UNUSED_PAD src0_sel:WORD_0 src1_sel:DWORD
	v_lshrrev_b32_e32 v50, 31, v49
	v_ashrrev_i32_e32 v49, 18, v49
	v_lshrrev_b32_e32 v54, 31, v48
	v_ashrrev_i32_e32 v48, 18, v48
	v_add_nc_u16 v49, v49, v50
	v_add_nc_u16 v48, v48, v54
	v_cmp_ge_i16_e64 s8, v49, v48
	s_and_b32 s30, s8, exec_lo
.LBB522_2261:
	s_or_b32 exec_lo, exec_lo, s95
	s_orn2_b32 s95, s30, exec_lo
.LBB522_2262:
	s_or_b32 exec_lo, exec_lo, vcc_hi
	v_cndmask_b32_e64 v48, v38, v39, s95
	v_cndmask_b32_e64 v49, v178, v179, s95
	s_mov_b32 s30, -1
	s_mov_b32 vcc_hi, -1
	s_mov_b32 s31, exec_lo
	v_add_nc_u32_e32 v48, 1, v48
	v_add_nc_u32_e32 v49, -1, v49
	v_cndmask_b32_e64 v38, v48, v38, s95
	v_min_u32_e32 v49, v48, v49
	v_cndmask_b32_e64 v39, v39, v48, s95
	v_lshl_add_u32 v49, v49, 1, v176
	ds_read_u16 v49, v49
	s_waitcnt lgkmcnt(0)
	v_cndmask_b32_e64 v54, v49, v51, s95
	v_cndmask_b32_e64 v225, v224, v49, s95
	v_cmpx_lt_u32_e64 v38, v178
	s_cbranch_execz .LBB522_2266
; %bb.2263:
	s_mov_b32 s34, 0
	s_mov_b32 vcc_hi, exec_lo
	v_cmpx_lt_u32_e64 v39, v179
	s_cbranch_execz .LBB522_2265
; %bb.2264:
	v_mov_b32_e32 v48, 0x6667
	v_mul_i32_i24_sdwa v49, sext(v54), v48 dst_sel:DWORD dst_unused:UNUSED_PAD src0_sel:WORD_0 src1_sel:DWORD
	v_mul_i32_i24_sdwa v48, sext(v225), v48 dst_sel:DWORD dst_unused:UNUSED_PAD src0_sel:WORD_0 src1_sel:DWORD
	v_lshrrev_b32_e32 v50, 31, v49
	v_ashrrev_i32_e32 v49, 18, v49
	v_lshrrev_b32_e32 v226, 31, v48
	v_ashrrev_i32_e32 v48, 18, v48
	v_add_nc_u16 v49, v49, v50
	v_add_nc_u16 v48, v48, v226
	v_cmp_ge_i16_e64 s8, v49, v48
	s_and_b32 s34, s8, exec_lo
.LBB522_2265:
	s_or_b32 exec_lo, exec_lo, vcc_hi
	s_orn2_b32 vcc_hi, s34, exec_lo
.LBB522_2266:
	s_or_b32 exec_lo, exec_lo, s31
	v_cndmask_b32_e64 v48, v38, v39, vcc_hi
	v_cndmask_b32_e64 v49, v178, v179, vcc_hi
	s_mov_b32 s31, exec_lo
	v_add_nc_u32_e32 v48, 1, v48
	v_add_nc_u32_e32 v49, -1, v49
	v_cndmask_b32_e64 v38, v48, v38, vcc_hi
	v_min_u32_e32 v49, v48, v49
	v_cndmask_b32_e64 v39, v39, v48, vcc_hi
	v_lshl_add_u32 v49, v49, 1, v176
	ds_read_u16 v49, v49
	s_waitcnt lgkmcnt(0)
	v_cndmask_b32_e64 v50, v49, v54, vcc_hi
	v_cndmask_b32_e64 v226, v225, v49, vcc_hi
	v_cmpx_lt_u32_e64 v38, v178
	s_cbranch_execz .LBB522_2270
; %bb.2267:
	s_mov_b32 s34, 0
	s_mov_b32 s30, exec_lo
	v_cmpx_lt_u32_e64 v39, v179
	s_cbranch_execz .LBB522_2269
; %bb.2268:
	v_mov_b32_e32 v48, 0x6667
	v_mul_i32_i24_sdwa v49, sext(v50), v48 dst_sel:DWORD dst_unused:UNUSED_PAD src0_sel:WORD_0 src1_sel:DWORD
	v_mul_i32_i24_sdwa v48, sext(v226), v48 dst_sel:DWORD dst_unused:UNUSED_PAD src0_sel:WORD_0 src1_sel:DWORD
	v_lshrrev_b32_e32 v227, 31, v49
	v_ashrrev_i32_e32 v49, 18, v49
	v_lshrrev_b32_e32 v228, 31, v48
	v_ashrrev_i32_e32 v48, 18, v48
	v_add_nc_u16 v49, v49, v227
	v_add_nc_u16 v48, v48, v228
	v_cmp_ge_i16_e64 s8, v49, v48
	s_and_b32 s34, s8, exec_lo
.LBB522_2269:
	s_or_b32 exec_lo, exec_lo, s30
	s_orn2_b32 s30, s34, exec_lo
.LBB522_2270:
	s_or_b32 exec_lo, exec_lo, s31
	v_cndmask_b32_e64 v48, v38, v39, s30
	v_cndmask_b32_e64 v49, v178, v179, s30
	s_mov_b32 s34, -1
	s_mov_b32 s31, -1
	s_mov_b32 s35, exec_lo
	v_add_nc_u32_e32 v48, 1, v48
	v_add_nc_u32_e32 v49, -1, v49
	v_cndmask_b32_e64 v38, v48, v38, s30
	v_min_u32_e32 v49, v48, v49
	v_cndmask_b32_e64 v39, v39, v48, s30
	v_lshl_add_u32 v49, v49, 1, v176
	ds_read_u16 v227, v49
	s_waitcnt lgkmcnt(0)
	v_cndmask_b32_e64 v49, v227, v50, s30
	v_cndmask_b32_e64 v227, v226, v227, s30
	v_cmpx_lt_u32_e64 v38, v178
	s_cbranch_execz .LBB522_2274
; %bb.2271:
	s_mov_b32 s38, 0
	s_mov_b32 s31, exec_lo
	v_cmpx_lt_u32_e64 v39, v179
	s_cbranch_execz .LBB522_2273
; %bb.2272:
	v_mov_b32_e32 v48, 0x6667
	v_mul_i32_i24_sdwa v228, sext(v49), v48 dst_sel:DWORD dst_unused:UNUSED_PAD src0_sel:WORD_0 src1_sel:DWORD
	v_mul_i32_i24_sdwa v48, sext(v227), v48 dst_sel:DWORD dst_unused:UNUSED_PAD src0_sel:WORD_0 src1_sel:DWORD
	v_lshrrev_b32_e32 v229, 31, v228
	v_ashrrev_i32_e32 v228, 18, v228
	v_lshrrev_b32_e32 v230, 31, v48
	v_ashrrev_i32_e32 v48, 18, v48
	v_add_nc_u16 v228, v228, v229
	v_add_nc_u16 v48, v48, v230
	v_cmp_ge_i16_e64 s8, v228, v48
	s_and_b32 s38, s8, exec_lo
.LBB522_2273:
	s_or_b32 exec_lo, exec_lo, s31
	s_orn2_b32 s31, s38, exec_lo
.LBB522_2274:
	s_or_b32 exec_lo, exec_lo, s35
	v_cndmask_b32_e64 v48, v38, v39, s31
	v_cndmask_b32_e64 v228, v178, v179, s31
	s_mov_b32 s35, exec_lo
	v_add_nc_u32_e32 v48, 1, v48
	v_add_nc_u32_e32 v228, -1, v228
	v_cndmask_b32_e64 v38, v48, v38, s31
	v_min_u32_e32 v228, v48, v228
	v_cndmask_b32_e64 v39, v39, v48, s31
	v_lshl_add_u32 v228, v228, 1, v176
	ds_read_u16 v228, v228
	s_waitcnt lgkmcnt(0)
	v_cndmask_b32_e64 v48, v228, v49, s31
	v_cndmask_b32_e64 v228, v227, v228, s31
	v_cmpx_lt_u32_e64 v38, v178
	s_cbranch_execz .LBB522_2278
; %bb.2275:
	s_mov_b32 s38, 0
	s_mov_b32 s34, exec_lo
	v_cmpx_lt_u32_e64 v39, v179
	s_cbranch_execz .LBB522_2277
; %bb.2276:
	v_mov_b32_e32 v229, 0x6667
	v_mul_i32_i24_sdwa v230, sext(v48), v229 dst_sel:DWORD dst_unused:UNUSED_PAD src0_sel:WORD_0 src1_sel:DWORD
	v_mul_i32_i24_sdwa v229, sext(v228), v229 dst_sel:DWORD dst_unused:UNUSED_PAD src0_sel:WORD_0 src1_sel:DWORD
	v_lshrrev_b32_e32 v231, 31, v230
	v_ashrrev_i32_e32 v230, 18, v230
	v_lshrrev_b32_e32 v240, 31, v229
	v_ashrrev_i32_e32 v229, 18, v229
	v_add_nc_u16 v230, v230, v231
	v_add_nc_u16 v229, v229, v240
	v_cmp_ge_i16_e64 s8, v230, v229
	s_and_b32 s38, s8, exec_lo
.LBB522_2277:
	s_or_b32 exec_lo, exec_lo, s34
	s_orn2_b32 s34, s38, exec_lo
.LBB522_2278:
	s_or_b32 exec_lo, exec_lo, s35
	v_cndmask_b32_e64 v229, v38, v39, s34
	v_cndmask_b32_e64 v230, v178, v179, s34
	s_mov_b32 s35, -1
	s_mov_b32 s38, -1
	s_mov_b32 s39, exec_lo
	v_add_nc_u32_e32 v229, 1, v229
	v_add_nc_u32_e32 v230, -1, v230
	v_cndmask_b32_e64 v38, v229, v38, s34
	v_min_u32_e32 v230, v229, v230
	v_lshl_add_u32 v230, v230, 1, v176
	ds_read_u16 v231, v230
	v_cndmask_b32_e64 v230, v39, v229, s34
	s_waitcnt lgkmcnt(0)
	v_cndmask_b32_e64 v39, v231, v48, s34
	v_cndmask_b32_e64 v229, v228, v231, s34
	v_cmpx_lt_u32_e64 v38, v178
	s_cbranch_execz .LBB522_2282
; %bb.2279:
	s_mov_b32 s48, 0
	s_mov_b32 s38, exec_lo
	v_cmpx_lt_u32_e64 v230, v179
	s_cbranch_execz .LBB522_2281
; %bb.2280:
	v_mov_b32_e32 v231, 0x6667
	v_mul_i32_i24_sdwa v240, sext(v39), v231 dst_sel:DWORD dst_unused:UNUSED_PAD src0_sel:WORD_0 src1_sel:DWORD
	v_mul_i32_i24_sdwa v231, sext(v229), v231 dst_sel:DWORD dst_unused:UNUSED_PAD src0_sel:WORD_0 src1_sel:DWORD
	v_lshrrev_b32_e32 v241, 31, v240
	v_ashrrev_i32_e32 v240, 18, v240
	v_lshrrev_b32_e32 v242, 31, v231
	v_ashrrev_i32_e32 v231, 18, v231
	v_add_nc_u16 v240, v240, v241
	v_add_nc_u16 v231, v231, v242
	v_cmp_ge_i16_e64 s8, v240, v231
	s_and_b32 s48, s8, exec_lo
.LBB522_2281:
	s_or_b32 exec_lo, exec_lo, s38
	s_orn2_b32 s38, s48, exec_lo
.LBB522_2282:
	s_or_b32 exec_lo, exec_lo, s39
	v_cndmask_b32_e64 v231, v38, v230, s38
	v_cndmask_b32_e64 v240, v178, v179, s38
	s_mov_b32 s39, exec_lo
	v_add_nc_u32_e32 v231, 1, v231
	v_add_nc_u32_e32 v240, -1, v240
	v_cndmask_b32_e64 v38, v231, v38, s38
	v_min_u32_e32 v240, v231, v240
	v_lshl_add_u32 v240, v240, 1, v176
	ds_read_u16 v241, v240
	v_cndmask_b32_e64 v240, v230, v231, s38
	s_waitcnt lgkmcnt(0)
	v_cndmask_b32_e64 v230, v241, v39, s38
	v_cndmask_b32_e64 v231, v229, v241, s38
	v_cmpx_lt_u32_e64 v38, v178
	s_cbranch_execz .LBB522_2286
; %bb.2283:
	s_mov_b32 s48, 0
	s_mov_b32 s35, exec_lo
	v_cmpx_lt_u32_e64 v240, v179
	s_cbranch_execz .LBB522_2285
; %bb.2284:
	v_mov_b32_e32 v241, 0x6667
	v_mul_i32_i24_sdwa v242, sext(v230), v241 dst_sel:DWORD dst_unused:UNUSED_PAD src0_sel:WORD_0 src1_sel:DWORD
	v_mul_i32_i24_sdwa v241, sext(v231), v241 dst_sel:DWORD dst_unused:UNUSED_PAD src0_sel:WORD_0 src1_sel:DWORD
	v_lshrrev_b32_e32 v243, 31, v242
	v_ashrrev_i32_e32 v242, 18, v242
	v_lshrrev_b32_e32 v244, 31, v241
	v_ashrrev_i32_e32 v241, 18, v241
	v_add_nc_u16 v242, v242, v243
	v_add_nc_u16 v241, v241, v244
	v_cmp_ge_i16_e64 s8, v242, v241
	s_and_b32 s48, s8, exec_lo
.LBB522_2285:
	s_or_b32 exec_lo, exec_lo, s35
	s_orn2_b32 s35, s48, exec_lo
.LBB522_2286:
	s_or_b32 exec_lo, exec_lo, s39
	v_cndmask_b32_e64 v241, v38, v240, s35
	v_cndmask_b32_e64 v242, v178, v179, s35
	s_mov_b32 s39, exec_lo
	v_add_nc_u32_e32 v241, 1, v241
	v_add_nc_u32_e32 v242, -1, v242
	v_min_u32_e32 v242, v241, v242
	v_lshl_add_u32 v176, v242, 1, v176
	v_cndmask_b32_e64 v242, v241, v38, s35
	ds_read_u16 v176, v176
	s_waitcnt lgkmcnt(0)
	v_cndmask_b32_e64 v38, v231, v176, s35
	v_cmpx_lt_u32_e64 v242, v178
	s_cbranch_execz .LBB522_2290
; %bb.2287:
	v_cndmask_b32_e64 v178, v240, v241, s35
	v_cndmask_b32_e64 v176, v176, v230, s35
	s_mov_b32 s48, exec_lo
	v_cmpx_lt_u32_e64 v178, v179
	s_cbranch_execz .LBB522_2289
; %bb.2288:
	v_mov_b32_e32 v178, 0x6667
	v_mul_i32_i24_sdwa v179, sext(v176), v178 dst_sel:DWORD dst_unused:UNUSED_PAD src0_sel:WORD_0 src1_sel:DWORD
	v_mul_i32_i24_sdwa v178, sext(v38), v178 dst_sel:DWORD dst_unused:UNUSED_PAD src0_sel:WORD_0 src1_sel:DWORD
	v_lshrrev_b32_e32 v240, 31, v179
	v_ashrrev_i32_e32 v179, 18, v179
	v_lshrrev_b32_e32 v241, 31, v178
	v_ashrrev_i32_e32 v178, 18, v178
	v_add_nc_u16 v179, v179, v240
	v_add_nc_u16 v178, v178, v241
	v_cmp_lt_i16_e64 s8, v179, v178
	v_cndmask_b32_e64 v176, v38, v176, s8
.LBB522_2289:
	s_or_b32 exec_lo, exec_lo, s48
	v_mov_b32_e32 v38, v176
.LBB522_2290:
	s_or_b32 exec_lo, exec_lo, s39
	v_cndmask_b32_e64 v39, v39, v229, s38
	v_cndmask_b32_e64 v48, v48, v228, s34
	;; [unrolled: 1-line block ×4, first 2 shown]
	v_cndmask_b32_e64 v54, v54, v225, vcc_hi
	v_cndmask_b32_e64 v51, v51, v224, s95
	v_cndmask_b32_e64 v52, v52, v215, s94
	;; [unrolled: 1-line block ×26, first 2 shown]
.LBB522_2291:
	s_or_b32 exec_lo, exec_lo, s12
	s_movk_i32 s13, 0x200
	s_mov_b32 s12, exec_lo
	; wave barrier
	s_waitcnt lgkmcnt(0)
	s_barrier
	buffer_gl0_inv
	v_cmpx_lt_u32_e32 0x200, v0
	s_cbranch_execz .LBB522_2431
; %bb.2292:
	v_lshlrev_b32_e32 v176, 1, v9
	v_mov_b32_e32 v2, 0
	v_mov_b32_e32 v240, 0x6667
	s_mov_b32 s57, 0
	v_add_nc_u32_e32 v177, 2, v176
	v_add_nc_u32_e32 v178, 4, v176
	;; [unrolled: 1-line block ×31, first 2 shown]
	s_branch .LBB522_2296
.LBB522_2293:                           ;   in Loop: Header=BB522_2296 Depth=1
	s_or_b32 exec_lo, exec_lo, s51
	v_mov_b32_e32 v38, v241
.LBB522_2294:                           ;   in Loop: Header=BB522_2296 Depth=1
	s_or_b32 exec_lo, exec_lo, s50
	v_cndmask_b32_e64 v39, v39, v78, s49
	v_cndmask_b32_e64 v48, v48, v77, s39
	;; [unrolled: 1-line block ×7, first 2 shown]
	v_cndmask_b32_e64 v53, v53, v63, vcc_hi
	v_cndmask_b32_e64 v55, v55, v62, s95
	v_cndmask_b32_e64 v64, v64, v61, s94
	;; [unrolled: 1-line block ×23, first 2 shown]
.LBB522_2295:                           ;   in Loop: Header=BB522_2296 Depth=1
	s_or_b32 exec_lo, exec_lo, s58
	v_cmp_ge_u32_e64 s8, s13, v0
	s_barrier
	buffer_gl0_inv
	s_or_b32 s57, s8, s57
	s_andn2_b32 exec_lo, exec_lo, s57
	s_cbranch_execz .LBB522_2430
.LBB522_2296:                           ; =>This Loop Header: Depth=1
                                        ;     Child Loop BB522_2298 Depth 2
	s_mov_b32 s8, s13
	s_lshl_b32 s13, s13, 1
	ds_write_b16 v176, v97
	ds_write_b16 v177, v100
	;; [unrolled: 1-line block ×4, first 2 shown]
	s_sub_i32 s9, 0, s13
	ds_write_b16 v180, v96
	v_and_b32_e32 v242, s9, v9
	s_mov_b32 s9, exec_lo
	ds_write_b16 v181, v87
	ds_write_b16 v182, v86
	;; [unrolled: 1-line block ×6, first 2 shown]
	v_add_nc_u32_e32 v1, s8, v242
	ds_write_b16 v195, v81
	ds_write_b16 v196, v80
	;; [unrolled: 1-line block ×10, first 2 shown]
	v_min_u32_e32 v1, v1, v0
	ds_write_b16 v213, v55
	ds_write_b16 v214, v53
	;; [unrolled: 1-line block ×11, first 2 shown]
	s_waitcnt lgkmcnt(0)
	v_add_nc_u32_e32 v241, s8, v1
	s_add_i32 s8, s13, -1
	v_sub_nc_u32_e32 v245, v1, v242
	v_and_b32_e32 v243, s8, v9
	s_barrier
	v_min_u32_e32 v241, v241, v0
	buffer_gl0_inv
	v_min_u32_e32 v243, v243, v0
	v_sub_nc_u32_e32 v244, v241, v1
	v_min_u32_e32 v245, v243, v245
	v_sub_nc_u32_e64 v244, v243, v244 clamp
	v_cmpx_lt_u32_e64 v244, v245
	s_cbranch_execz .LBB522_2300
; %bb.2297:                             ;   in Loop: Header=BB522_2296 Depth=1
	v_lshlrev_b64 v[40:41], 1, v[1:2]
	v_lshlrev_b32_e32 v246, 1, v242
	s_mov_b32 s58, 0
	v_add_co_u32 v247, null, 0, v40
	s_inst_prefetch 0x1
	.p2align	6
.LBB522_2298:                           ;   Parent Loop BB522_2296 Depth=1
                                        ; =>  This Inner Loop Header: Depth=2
	v_add_nc_u32_e32 v40, v245, v244
	v_lshrrev_b32_e32 v41, 1, v40
	v_and_b32_e32 v40, -2, v40
	v_xad_u32 v42, v41, -1, v243
	v_add_nc_u32_e32 v40, v246, v40
	v_lshl_add_u32 v42, v42, 1, v247
	ds_read_i16 v40, v40
	ds_read_i16 v42, v42
	s_waitcnt lgkmcnt(1)
	v_mul_i32_i24_e32 v40, 0x6667, v40
	s_waitcnt lgkmcnt(0)
	v_mul_i32_i24_e32 v42, 0x6667, v42
	v_lshrrev_b32_e32 v43, 31, v40
	v_ashrrev_i32_e32 v40, 18, v40
	v_lshrrev_b32_e32 v44, 31, v42
	v_ashrrev_i32_e32 v42, 18, v42
	v_add_nc_u16 v40, v40, v43
	v_add_nc_u32_e32 v43, 1, v41
	v_add_nc_u16 v42, v42, v44
	v_cmp_lt_i16_e64 s8, v42, v40
	v_cndmask_b32_e64 v245, v245, v41, s8
	v_cndmask_b32_e64 v244, v43, v244, s8
	v_cmp_ge_u32_e64 s8, v244, v245
	s_or_b32 s58, s8, s58
	s_andn2_b32 exec_lo, exec_lo, s58
	s_cbranch_execnz .LBB522_2298
; %bb.2299:                             ;   in Loop: Header=BB522_2296 Depth=1
	s_inst_prefetch 0x2
	s_or_b32 exec_lo, exec_lo, s58
.LBB522_2300:                           ;   in Loop: Header=BB522_2296 Depth=1
	s_or_b32 exec_lo, exec_lo, s9
	v_sub_nc_u32_e32 v243, v243, v244
	v_add_nc_u32_e32 v242, v244, v242
	v_add_nc_u32_e32 v243, v243, v1
	v_cmp_le_u32_e64 s8, v242, v1
	v_cmp_le_u32_e64 s9, v243, v241
	s_or_b32 s8, s8, s9
	s_and_saveexec_b32 s58, s8
	s_cbranch_execz .LBB522_2295
; %bb.2301:                             ;   in Loop: Header=BB522_2296 Depth=1
	v_cmp_ge_u32_e64 s8, v242, v1
	s_mov_b32 s59, exec_lo
                                        ; implicit-def: $vgpr97
	v_cmpx_lt_u32_e64 v242, v1
; %bb.2302:                             ;   in Loop: Header=BB522_2296 Depth=1
	v_lshlrev_b32_e32 v38, 1, v242
	ds_read_u16 v97, v38
; %bb.2303:                             ;   in Loop: Header=BB522_2296 Depth=1
	s_or_b32 exec_lo, exec_lo, s59
	v_cmp_ge_u32_e64 s59, v243, v241
	s_mov_b32 s60, exec_lo
                                        ; implicit-def: $vgpr101
	v_cmpx_lt_u32_e64 v243, v241
; %bb.2304:                             ;   in Loop: Header=BB522_2296 Depth=1
	v_lshlrev_b32_e32 v38, 1, v243
	ds_read_u16 v101, v38
; %bb.2305:                             ;   in Loop: Header=BB522_2296 Depth=1
	s_or_b32 exec_lo, exec_lo, s60
	s_nor_b32 s8, s8, s59
	s_and_saveexec_b32 s9, s8
	s_cbranch_execz .LBB522_2307
; %bb.2306:                             ;   in Loop: Header=BB522_2296 Depth=1
	s_waitcnt lgkmcnt(0)
	v_mul_i32_i24_sdwa v38, sext(v101), v240 dst_sel:DWORD dst_unused:UNUSED_PAD src0_sel:WORD_0 src1_sel:DWORD
	v_mul_i32_i24_sdwa v39, sext(v97), v240 dst_sel:DWORD dst_unused:UNUSED_PAD src0_sel:WORD_0 src1_sel:DWORD
	s_andn2_b32 s59, s59, exec_lo
	v_lshrrev_b32_e32 v48, 31, v38
	v_ashrrev_i32_e32 v38, 18, v38
	v_lshrrev_b32_e32 v49, 31, v39
	v_ashrrev_i32_e32 v39, 18, v39
	v_add_nc_u16 v38, v38, v48
	v_add_nc_u16 v39, v39, v49
	v_cmp_ge_i16_e64 s8, v38, v39
	s_and_b32 s8, s8, exec_lo
	s_or_b32 s59, s59, s8
.LBB522_2307:                           ;   in Loop: Header=BB522_2296 Depth=1
	s_or_b32 exec_lo, exec_lo, s9
	v_cndmask_b32_e64 v38, v243, v242, s59
	v_cndmask_b32_e64 v39, v241, v1, s59
	s_mov_b32 s60, -1
	s_mov_b32 s9, -1
	s_mov_b32 s61, exec_lo
	v_add_nc_u32_e32 v48, 1, v38
	v_add_nc_u32_e32 v38, -1, v39
	v_cndmask_b32_e64 v39, v242, v48, s59
	v_min_u32_e32 v38, v48, v38
	v_lshlrev_b32_e32 v38, 1, v38
	ds_read_u16 v49, v38
	v_cndmask_b32_e64 v38, v48, v243, s59
	s_waitcnt lgkmcnt(0)
	v_cndmask_b32_e64 v100, v49, v101, s59
	v_cndmask_b32_e64 v242, v97, v49, s59
	v_cmpx_lt_u32_e64 v38, v241
	s_cbranch_execz .LBB522_2311
; %bb.2308:                             ;   in Loop: Header=BB522_2296 Depth=1
	s_mov_b32 s62, 0
	s_mov_b32 s9, exec_lo
	v_cmpx_lt_u32_e64 v39, v1
	s_cbranch_execz .LBB522_2310
; %bb.2309:                             ;   in Loop: Header=BB522_2296 Depth=1
	v_mul_i32_i24_sdwa v48, sext(v100), v240 dst_sel:DWORD dst_unused:UNUSED_PAD src0_sel:WORD_0 src1_sel:DWORD
	v_mul_i32_i24_sdwa v49, sext(v242), v240 dst_sel:DWORD dst_unused:UNUSED_PAD src0_sel:WORD_0 src1_sel:DWORD
	v_lshrrev_b32_e32 v50, 31, v48
	v_ashrrev_i32_e32 v48, 18, v48
	v_lshrrev_b32_e32 v51, 31, v49
	v_ashrrev_i32_e32 v49, 18, v49
	v_add_nc_u16 v48, v48, v50
	v_add_nc_u16 v49, v49, v51
	v_cmp_ge_i16_e64 s8, v48, v49
	s_and_b32 s62, s8, exec_lo
.LBB522_2310:                           ;   in Loop: Header=BB522_2296 Depth=1
	s_or_b32 exec_lo, exec_lo, s9
	s_orn2_b32 s9, s62, exec_lo
.LBB522_2311:                           ;   in Loop: Header=BB522_2296 Depth=1
	s_or_b32 exec_lo, exec_lo, s61
	v_cndmask_b32_e64 v48, v38, v39, s9
	v_cndmask_b32_e64 v49, v241, v1, s9
	s_mov_b32 s61, exec_lo
	v_add_nc_u32_e32 v48, 1, v48
	v_add_nc_u32_e32 v49, -1, v49
	v_cndmask_b32_e64 v38, v48, v38, s9
	v_min_u32_e32 v49, v48, v49
	v_cndmask_b32_e64 v39, v39, v48, s9
	v_lshlrev_b32_e32 v49, 1, v49
	ds_read_u16 v49, v49
	s_waitcnt lgkmcnt(0)
	v_cndmask_b32_e64 v99, v49, v100, s9
	v_cndmask_b32_e64 v243, v242, v49, s9
	v_cmpx_lt_u32_e64 v38, v241
	s_cbranch_execz .LBB522_2315
; %bb.2312:                             ;   in Loop: Header=BB522_2296 Depth=1
	s_mov_b32 s62, 0
	s_mov_b32 s60, exec_lo
	v_cmpx_lt_u32_e64 v39, v1
	s_cbranch_execz .LBB522_2314
; %bb.2313:                             ;   in Loop: Header=BB522_2296 Depth=1
	v_mul_i32_i24_sdwa v48, sext(v99), v240 dst_sel:DWORD dst_unused:UNUSED_PAD src0_sel:WORD_0 src1_sel:DWORD
	v_mul_i32_i24_sdwa v49, sext(v243), v240 dst_sel:DWORD dst_unused:UNUSED_PAD src0_sel:WORD_0 src1_sel:DWORD
	v_lshrrev_b32_e32 v50, 31, v48
	v_ashrrev_i32_e32 v48, 18, v48
	v_lshrrev_b32_e32 v51, 31, v49
	v_ashrrev_i32_e32 v49, 18, v49
	v_add_nc_u16 v48, v48, v50
	v_add_nc_u16 v49, v49, v51
	v_cmp_ge_i16_e64 s8, v48, v49
	s_and_b32 s62, s8, exec_lo
.LBB522_2314:                           ;   in Loop: Header=BB522_2296 Depth=1
	s_or_b32 exec_lo, exec_lo, s60
	s_orn2_b32 s60, s62, exec_lo
.LBB522_2315:                           ;   in Loop: Header=BB522_2296 Depth=1
	s_or_b32 exec_lo, exec_lo, s61
	v_cndmask_b32_e64 v48, v38, v39, s60
	v_cndmask_b32_e64 v49, v241, v1, s60
	s_mov_b32 s62, -1
	s_mov_b32 s61, -1
	s_mov_b32 s63, exec_lo
	v_add_nc_u32_e32 v48, 1, v48
	v_add_nc_u32_e32 v49, -1, v49
	v_cndmask_b32_e64 v38, v48, v38, s60
	v_min_u32_e32 v49, v48, v49
	v_cndmask_b32_e64 v39, v39, v48, s60
	v_lshlrev_b32_e32 v49, 1, v49
	ds_read_u16 v49, v49
	s_waitcnt lgkmcnt(0)
	v_cndmask_b32_e64 v98, v49, v99, s60
	v_cndmask_b32_e64 v244, v243, v49, s60
	v_cmpx_lt_u32_e64 v38, v241
	s_cbranch_execz .LBB522_2319
; %bb.2316:                             ;   in Loop: Header=BB522_2296 Depth=1
	s_mov_b32 s72, 0
	s_mov_b32 s61, exec_lo
	v_cmpx_lt_u32_e64 v39, v1
	s_cbranch_execz .LBB522_2318
; %bb.2317:                             ;   in Loop: Header=BB522_2296 Depth=1
	v_mul_i32_i24_sdwa v48, sext(v98), v240 dst_sel:DWORD dst_unused:UNUSED_PAD src0_sel:WORD_0 src1_sel:DWORD
	v_mul_i32_i24_sdwa v49, sext(v244), v240 dst_sel:DWORD dst_unused:UNUSED_PAD src0_sel:WORD_0 src1_sel:DWORD
	v_lshrrev_b32_e32 v50, 31, v48
	v_ashrrev_i32_e32 v48, 18, v48
	v_lshrrev_b32_e32 v51, 31, v49
	v_ashrrev_i32_e32 v49, 18, v49
	v_add_nc_u16 v48, v48, v50
	v_add_nc_u16 v49, v49, v51
	v_cmp_ge_i16_e64 s8, v48, v49
	s_and_b32 s72, s8, exec_lo
.LBB522_2318:                           ;   in Loop: Header=BB522_2296 Depth=1
	s_or_b32 exec_lo, exec_lo, s61
	s_orn2_b32 s61, s72, exec_lo
.LBB522_2319:                           ;   in Loop: Header=BB522_2296 Depth=1
	s_or_b32 exec_lo, exec_lo, s63
	v_cndmask_b32_e64 v48, v38, v39, s61
	v_cndmask_b32_e64 v49, v241, v1, s61
	s_mov_b32 s63, exec_lo
	v_add_nc_u32_e32 v48, 1, v48
	v_add_nc_u32_e32 v49, -1, v49
	v_cndmask_b32_e64 v38, v48, v38, s61
	v_min_u32_e32 v49, v48, v49
	v_cndmask_b32_e64 v39, v39, v48, s61
	v_lshlrev_b32_e32 v49, 1, v49
	ds_read_u16 v49, v49
	s_waitcnt lgkmcnt(0)
	v_cndmask_b32_e64 v96, v49, v98, s61
	v_cndmask_b32_e64 v245, v244, v49, s61
	v_cmpx_lt_u32_e64 v38, v241
	s_cbranch_execz .LBB522_2323
; %bb.2320:                             ;   in Loop: Header=BB522_2296 Depth=1
	s_mov_b32 s72, 0
	s_mov_b32 s62, exec_lo
	v_cmpx_lt_u32_e64 v39, v1
	s_cbranch_execz .LBB522_2322
; %bb.2321:                             ;   in Loop: Header=BB522_2296 Depth=1
	v_mul_i32_i24_sdwa v48, sext(v96), v240 dst_sel:DWORD dst_unused:UNUSED_PAD src0_sel:WORD_0 src1_sel:DWORD
	v_mul_i32_i24_sdwa v49, sext(v245), v240 dst_sel:DWORD dst_unused:UNUSED_PAD src0_sel:WORD_0 src1_sel:DWORD
	v_lshrrev_b32_e32 v50, 31, v48
	v_ashrrev_i32_e32 v48, 18, v48
	v_lshrrev_b32_e32 v51, 31, v49
	v_ashrrev_i32_e32 v49, 18, v49
	v_add_nc_u16 v48, v48, v50
	v_add_nc_u16 v49, v49, v51
	v_cmp_ge_i16_e64 s8, v48, v49
	s_and_b32 s72, s8, exec_lo
.LBB522_2322:                           ;   in Loop: Header=BB522_2296 Depth=1
	s_or_b32 exec_lo, exec_lo, s62
	s_orn2_b32 s62, s72, exec_lo
.LBB522_2323:                           ;   in Loop: Header=BB522_2296 Depth=1
	s_or_b32 exec_lo, exec_lo, s63
	v_cndmask_b32_e64 v48, v38, v39, s62
	v_cndmask_b32_e64 v49, v241, v1, s62
	s_mov_b32 s72, -1
	s_mov_b32 s63, -1
	s_mov_b32 s73, exec_lo
	v_add_nc_u32_e32 v48, 1, v48
	v_add_nc_u32_e32 v49, -1, v49
	v_cndmask_b32_e64 v38, v48, v38, s62
	v_min_u32_e32 v49, v48, v49
	v_cndmask_b32_e64 v39, v39, v48, s62
	v_lshlrev_b32_e32 v49, 1, v49
	ds_read_u16 v49, v49
	s_waitcnt lgkmcnt(0)
	v_cndmask_b32_e64 v87, v49, v96, s62
	v_cndmask_b32_e64 v246, v245, v49, s62
	v_cmpx_lt_u32_e64 v38, v241
	s_cbranch_execz .LBB522_2327
; %bb.2324:                             ;   in Loop: Header=BB522_2296 Depth=1
	s_mov_b32 s74, 0
	s_mov_b32 s63, exec_lo
	v_cmpx_lt_u32_e64 v39, v1
	s_cbranch_execz .LBB522_2326
; %bb.2325:                             ;   in Loop: Header=BB522_2296 Depth=1
	v_mul_i32_i24_sdwa v48, sext(v87), v240 dst_sel:DWORD dst_unused:UNUSED_PAD src0_sel:WORD_0 src1_sel:DWORD
	v_mul_i32_i24_sdwa v49, sext(v246), v240 dst_sel:DWORD dst_unused:UNUSED_PAD src0_sel:WORD_0 src1_sel:DWORD
	v_lshrrev_b32_e32 v50, 31, v48
	v_ashrrev_i32_e32 v48, 18, v48
	v_lshrrev_b32_e32 v51, 31, v49
	v_ashrrev_i32_e32 v49, 18, v49
	v_add_nc_u16 v48, v48, v50
	v_add_nc_u16 v49, v49, v51
	v_cmp_ge_i16_e64 s8, v48, v49
	s_and_b32 s74, s8, exec_lo
.LBB522_2326:                           ;   in Loop: Header=BB522_2296 Depth=1
	s_or_b32 exec_lo, exec_lo, s63
	s_orn2_b32 s63, s74, exec_lo
.LBB522_2327:                           ;   in Loop: Header=BB522_2296 Depth=1
	s_or_b32 exec_lo, exec_lo, s73
	v_cndmask_b32_e64 v48, v38, v39, s63
	v_cndmask_b32_e64 v49, v241, v1, s63
	s_mov_b32 s73, exec_lo
	v_add_nc_u32_e32 v48, 1, v48
	v_add_nc_u32_e32 v49, -1, v49
	v_cndmask_b32_e64 v38, v48, v38, s63
	v_min_u32_e32 v49, v48, v49
	v_cndmask_b32_e64 v39, v39, v48, s63
	v_lshlrev_b32_e32 v49, 1, v49
	ds_read_u16 v49, v49
	s_waitcnt lgkmcnt(0)
	v_cndmask_b32_e64 v86, v49, v87, s63
	v_cndmask_b32_e64 v247, v246, v49, s63
	v_cmpx_lt_u32_e64 v38, v241
	s_cbranch_execz .LBB522_2331
; %bb.2328:                             ;   in Loop: Header=BB522_2296 Depth=1
	s_mov_b32 s74, 0
	s_mov_b32 s72, exec_lo
	v_cmpx_lt_u32_e64 v39, v1
	s_cbranch_execz .LBB522_2330
; %bb.2329:                             ;   in Loop: Header=BB522_2296 Depth=1
	v_mul_i32_i24_sdwa v48, sext(v86), v240 dst_sel:DWORD dst_unused:UNUSED_PAD src0_sel:WORD_0 src1_sel:DWORD
	v_mul_i32_i24_sdwa v49, sext(v247), v240 dst_sel:DWORD dst_unused:UNUSED_PAD src0_sel:WORD_0 src1_sel:DWORD
	v_lshrrev_b32_e32 v50, 31, v48
	v_ashrrev_i32_e32 v48, 18, v48
	v_lshrrev_b32_e32 v51, 31, v49
	v_ashrrev_i32_e32 v49, 18, v49
	v_add_nc_u16 v48, v48, v50
	v_add_nc_u16 v49, v49, v51
	v_cmp_ge_i16_e64 s8, v48, v49
	s_and_b32 s74, s8, exec_lo
.LBB522_2330:                           ;   in Loop: Header=BB522_2296 Depth=1
	s_or_b32 exec_lo, exec_lo, s72
	s_orn2_b32 s72, s74, exec_lo
.LBB522_2331:                           ;   in Loop: Header=BB522_2296 Depth=1
	s_or_b32 exec_lo, exec_lo, s73
	v_cndmask_b32_e64 v48, v38, v39, s72
	v_cndmask_b32_e64 v49, v241, v1, s72
	s_mov_b32 s74, -1
	s_mov_b32 s73, -1
	s_mov_b32 s75, exec_lo
	v_add_nc_u32_e32 v48, 1, v48
	v_add_nc_u32_e32 v49, -1, v49
	v_cndmask_b32_e64 v38, v48, v38, s72
	v_min_u32_e32 v49, v48, v49
	v_cndmask_b32_e64 v39, v39, v48, s72
	v_lshlrev_b32_e32 v49, 1, v49
	ds_read_u16 v49, v49
	s_waitcnt lgkmcnt(0)
	v_cndmask_b32_e64 v85, v49, v86, s72
	v_cndmask_b32_e64 v40, v247, v49, s72
	v_cmpx_lt_u32_e64 v38, v241
	s_cbranch_execz .LBB522_2335
; %bb.2332:                             ;   in Loop: Header=BB522_2296 Depth=1
	s_mov_b32 s76, 0
	s_mov_b32 s73, exec_lo
	v_cmpx_lt_u32_e64 v39, v1
	s_cbranch_execz .LBB522_2334
; %bb.2333:                             ;   in Loop: Header=BB522_2296 Depth=1
	v_mul_i32_i24_sdwa v48, sext(v85), v240 dst_sel:DWORD dst_unused:UNUSED_PAD src0_sel:WORD_0 src1_sel:DWORD
	v_mul_i32_i24_sdwa v49, sext(v40), v240 dst_sel:DWORD dst_unused:UNUSED_PAD src0_sel:WORD_0 src1_sel:DWORD
	v_lshrrev_b32_e32 v50, 31, v48
	v_ashrrev_i32_e32 v48, 18, v48
	v_lshrrev_b32_e32 v51, 31, v49
	v_ashrrev_i32_e32 v49, 18, v49
	v_add_nc_u16 v48, v48, v50
	v_add_nc_u16 v49, v49, v51
	v_cmp_ge_i16_e64 s8, v48, v49
	s_and_b32 s76, s8, exec_lo
.LBB522_2334:                           ;   in Loop: Header=BB522_2296 Depth=1
	s_or_b32 exec_lo, exec_lo, s73
	s_orn2_b32 s73, s76, exec_lo
.LBB522_2335:                           ;   in Loop: Header=BB522_2296 Depth=1
	s_or_b32 exec_lo, exec_lo, s75
	v_cndmask_b32_e64 v48, v38, v39, s73
	v_cndmask_b32_e64 v49, v241, v1, s73
	s_mov_b32 s75, exec_lo
	v_add_nc_u32_e32 v48, 1, v48
	v_add_nc_u32_e32 v49, -1, v49
	v_cndmask_b32_e64 v38, v48, v38, s73
	v_min_u32_e32 v49, v48, v49
	v_cndmask_b32_e64 v39, v39, v48, s73
	v_lshlrev_b32_e32 v49, 1, v49
	ds_read_u16 v49, v49
	s_waitcnt lgkmcnt(0)
	v_cndmask_b32_e64 v84, v49, v85, s73
	v_cndmask_b32_e64 v41, v40, v49, s73
	v_cmpx_lt_u32_e64 v38, v241
	s_cbranch_execz .LBB522_2339
; %bb.2336:                             ;   in Loop: Header=BB522_2296 Depth=1
	s_mov_b32 s76, 0
	s_mov_b32 s74, exec_lo
	v_cmpx_lt_u32_e64 v39, v1
	s_cbranch_execz .LBB522_2338
; %bb.2337:                             ;   in Loop: Header=BB522_2296 Depth=1
	v_mul_i32_i24_sdwa v48, sext(v84), v240 dst_sel:DWORD dst_unused:UNUSED_PAD src0_sel:WORD_0 src1_sel:DWORD
	v_mul_i32_i24_sdwa v49, sext(v41), v240 dst_sel:DWORD dst_unused:UNUSED_PAD src0_sel:WORD_0 src1_sel:DWORD
	v_lshrrev_b32_e32 v50, 31, v48
	v_ashrrev_i32_e32 v48, 18, v48
	v_lshrrev_b32_e32 v51, 31, v49
	v_ashrrev_i32_e32 v49, 18, v49
	v_add_nc_u16 v48, v48, v50
	v_add_nc_u16 v49, v49, v51
	v_cmp_ge_i16_e64 s8, v48, v49
	s_and_b32 s76, s8, exec_lo
.LBB522_2338:                           ;   in Loop: Header=BB522_2296 Depth=1
	s_or_b32 exec_lo, exec_lo, s74
	s_orn2_b32 s74, s76, exec_lo
.LBB522_2339:                           ;   in Loop: Header=BB522_2296 Depth=1
	s_or_b32 exec_lo, exec_lo, s75
	v_cndmask_b32_e64 v48, v38, v39, s74
	v_cndmask_b32_e64 v49, v241, v1, s74
	s_mov_b32 s76, -1
	s_mov_b32 s75, -1
	s_mov_b32 s77, exec_lo
	v_add_nc_u32_e32 v48, 1, v48
	v_add_nc_u32_e32 v49, -1, v49
	v_cndmask_b32_e64 v38, v48, v38, s74
	v_min_u32_e32 v49, v48, v49
	v_cndmask_b32_e64 v39, v39, v48, s74
	v_lshlrev_b32_e32 v49, 1, v49
	ds_read_u16 v49, v49
	s_waitcnt lgkmcnt(0)
	v_cndmask_b32_e64 v83, v49, v84, s74
	v_cndmask_b32_e64 v42, v41, v49, s74
	v_cmpx_lt_u32_e64 v38, v241
	s_cbranch_execz .LBB522_2343
; %bb.2340:                             ;   in Loop: Header=BB522_2296 Depth=1
	s_mov_b32 s78, 0
	s_mov_b32 s75, exec_lo
	v_cmpx_lt_u32_e64 v39, v1
	s_cbranch_execz .LBB522_2342
; %bb.2341:                             ;   in Loop: Header=BB522_2296 Depth=1
	v_mul_i32_i24_sdwa v48, sext(v83), v240 dst_sel:DWORD dst_unused:UNUSED_PAD src0_sel:WORD_0 src1_sel:DWORD
	v_mul_i32_i24_sdwa v49, sext(v42), v240 dst_sel:DWORD dst_unused:UNUSED_PAD src0_sel:WORD_0 src1_sel:DWORD
	v_lshrrev_b32_e32 v50, 31, v48
	v_ashrrev_i32_e32 v48, 18, v48
	v_lshrrev_b32_e32 v51, 31, v49
	v_ashrrev_i32_e32 v49, 18, v49
	v_add_nc_u16 v48, v48, v50
	v_add_nc_u16 v49, v49, v51
	v_cmp_ge_i16_e64 s8, v48, v49
	s_and_b32 s78, s8, exec_lo
.LBB522_2342:                           ;   in Loop: Header=BB522_2296 Depth=1
	s_or_b32 exec_lo, exec_lo, s75
	s_orn2_b32 s75, s78, exec_lo
.LBB522_2343:                           ;   in Loop: Header=BB522_2296 Depth=1
	s_or_b32 exec_lo, exec_lo, s77
	v_cndmask_b32_e64 v48, v38, v39, s75
	v_cndmask_b32_e64 v49, v241, v1, s75
	s_mov_b32 s77, exec_lo
	v_add_nc_u32_e32 v48, 1, v48
	v_add_nc_u32_e32 v49, -1, v49
	v_cndmask_b32_e64 v38, v48, v38, s75
	v_min_u32_e32 v49, v48, v49
	v_cndmask_b32_e64 v39, v39, v48, s75
	v_lshlrev_b32_e32 v49, 1, v49
	ds_read_u16 v49, v49
	s_waitcnt lgkmcnt(0)
	v_cndmask_b32_e64 v82, v49, v83, s75
	v_cndmask_b32_e64 v43, v42, v49, s75
	v_cmpx_lt_u32_e64 v38, v241
	s_cbranch_execz .LBB522_2347
; %bb.2344:                             ;   in Loop: Header=BB522_2296 Depth=1
	s_mov_b32 s78, 0
	s_mov_b32 s76, exec_lo
	v_cmpx_lt_u32_e64 v39, v1
	s_cbranch_execz .LBB522_2346
; %bb.2345:                             ;   in Loop: Header=BB522_2296 Depth=1
	v_mul_i32_i24_sdwa v48, sext(v82), v240 dst_sel:DWORD dst_unused:UNUSED_PAD src0_sel:WORD_0 src1_sel:DWORD
	v_mul_i32_i24_sdwa v49, sext(v43), v240 dst_sel:DWORD dst_unused:UNUSED_PAD src0_sel:WORD_0 src1_sel:DWORD
	v_lshrrev_b32_e32 v50, 31, v48
	v_ashrrev_i32_e32 v48, 18, v48
	v_lshrrev_b32_e32 v51, 31, v49
	v_ashrrev_i32_e32 v49, 18, v49
	v_add_nc_u16 v48, v48, v50
	v_add_nc_u16 v49, v49, v51
	v_cmp_ge_i16_e64 s8, v48, v49
	s_and_b32 s78, s8, exec_lo
.LBB522_2346:                           ;   in Loop: Header=BB522_2296 Depth=1
	s_or_b32 exec_lo, exec_lo, s76
	s_orn2_b32 s76, s78, exec_lo
.LBB522_2347:                           ;   in Loop: Header=BB522_2296 Depth=1
	s_or_b32 exec_lo, exec_lo, s77
	v_cndmask_b32_e64 v48, v38, v39, s76
	v_cndmask_b32_e64 v49, v241, v1, s76
	s_mov_b32 s78, -1
	s_mov_b32 s77, -1
	s_mov_b32 s79, exec_lo
	v_add_nc_u32_e32 v48, 1, v48
	v_add_nc_u32_e32 v49, -1, v49
	v_cndmask_b32_e64 v38, v48, v38, s76
	v_min_u32_e32 v49, v48, v49
	v_cndmask_b32_e64 v39, v39, v48, s76
	v_lshlrev_b32_e32 v49, 1, v49
	ds_read_u16 v49, v49
	s_waitcnt lgkmcnt(0)
	v_cndmask_b32_e64 v81, v49, v82, s76
	v_cndmask_b32_e64 v44, v43, v49, s76
	v_cmpx_lt_u32_e64 v38, v241
	s_cbranch_execz .LBB522_2351
; %bb.2348:                             ;   in Loop: Header=BB522_2296 Depth=1
	s_mov_b32 s88, 0
	s_mov_b32 s77, exec_lo
	v_cmpx_lt_u32_e64 v39, v1
	s_cbranch_execz .LBB522_2350
; %bb.2349:                             ;   in Loop: Header=BB522_2296 Depth=1
	v_mul_i32_i24_sdwa v48, sext(v81), v240 dst_sel:DWORD dst_unused:UNUSED_PAD src0_sel:WORD_0 src1_sel:DWORD
	v_mul_i32_i24_sdwa v49, sext(v44), v240 dst_sel:DWORD dst_unused:UNUSED_PAD src0_sel:WORD_0 src1_sel:DWORD
	v_lshrrev_b32_e32 v50, 31, v48
	v_ashrrev_i32_e32 v48, 18, v48
	v_lshrrev_b32_e32 v51, 31, v49
	v_ashrrev_i32_e32 v49, 18, v49
	v_add_nc_u16 v48, v48, v50
	v_add_nc_u16 v49, v49, v51
	v_cmp_ge_i16_e64 s8, v48, v49
	s_and_b32 s88, s8, exec_lo
.LBB522_2350:                           ;   in Loop: Header=BB522_2296 Depth=1
	s_or_b32 exec_lo, exec_lo, s77
	s_orn2_b32 s77, s88, exec_lo
.LBB522_2351:                           ;   in Loop: Header=BB522_2296 Depth=1
	s_or_b32 exec_lo, exec_lo, s79
	v_cndmask_b32_e64 v48, v38, v39, s77
	v_cndmask_b32_e64 v49, v241, v1, s77
	s_mov_b32 s79, exec_lo
	v_add_nc_u32_e32 v48, 1, v48
	v_add_nc_u32_e32 v49, -1, v49
	v_cndmask_b32_e64 v38, v48, v38, s77
	v_min_u32_e32 v49, v48, v49
	v_cndmask_b32_e64 v39, v39, v48, s77
	v_lshlrev_b32_e32 v49, 1, v49
	ds_read_u16 v49, v49
	s_waitcnt lgkmcnt(0)
	v_cndmask_b32_e64 v80, v49, v81, s77
	v_cndmask_b32_e64 v45, v44, v49, s77
	v_cmpx_lt_u32_e64 v38, v241
	s_cbranch_execz .LBB522_2355
; %bb.2352:                             ;   in Loop: Header=BB522_2296 Depth=1
	s_mov_b32 s88, 0
	s_mov_b32 s78, exec_lo
	v_cmpx_lt_u32_e64 v39, v1
	s_cbranch_execz .LBB522_2354
; %bb.2353:                             ;   in Loop: Header=BB522_2296 Depth=1
	v_mul_i32_i24_sdwa v48, sext(v80), v240 dst_sel:DWORD dst_unused:UNUSED_PAD src0_sel:WORD_0 src1_sel:DWORD
	v_mul_i32_i24_sdwa v49, sext(v45), v240 dst_sel:DWORD dst_unused:UNUSED_PAD src0_sel:WORD_0 src1_sel:DWORD
	v_lshrrev_b32_e32 v50, 31, v48
	v_ashrrev_i32_e32 v48, 18, v48
	v_lshrrev_b32_e32 v51, 31, v49
	v_ashrrev_i32_e32 v49, 18, v49
	v_add_nc_u16 v48, v48, v50
	v_add_nc_u16 v49, v49, v51
	v_cmp_ge_i16_e64 s8, v48, v49
	s_and_b32 s88, s8, exec_lo
.LBB522_2354:                           ;   in Loop: Header=BB522_2296 Depth=1
	s_or_b32 exec_lo, exec_lo, s78
	s_orn2_b32 s78, s88, exec_lo
.LBB522_2355:                           ;   in Loop: Header=BB522_2296 Depth=1
	s_or_b32 exec_lo, exec_lo, s79
	v_cndmask_b32_e64 v48, v38, v39, s78
	v_cndmask_b32_e64 v49, v241, v1, s78
	s_mov_b32 s88, -1
	s_mov_b32 s79, -1
	s_mov_b32 s89, exec_lo
	v_add_nc_u32_e32 v48, 1, v48
	v_add_nc_u32_e32 v49, -1, v49
	v_cndmask_b32_e64 v38, v48, v38, s78
	v_min_u32_e32 v49, v48, v49
	v_cndmask_b32_e64 v39, v39, v48, s78
	v_lshlrev_b32_e32 v49, 1, v49
	ds_read_u16 v49, v49
	s_waitcnt lgkmcnt(0)
	v_cndmask_b32_e64 v71, v49, v80, s78
	v_cndmask_b32_e64 v46, v45, v49, s78
	v_cmpx_lt_u32_e64 v38, v241
	s_cbranch_execz .LBB522_2359
; %bb.2356:                             ;   in Loop: Header=BB522_2296 Depth=1
	s_mov_b32 s90, 0
	s_mov_b32 s79, exec_lo
	v_cmpx_lt_u32_e64 v39, v1
	s_cbranch_execz .LBB522_2358
; %bb.2357:                             ;   in Loop: Header=BB522_2296 Depth=1
	v_mul_i32_i24_sdwa v48, sext(v71), v240 dst_sel:DWORD dst_unused:UNUSED_PAD src0_sel:WORD_0 src1_sel:DWORD
	v_mul_i32_i24_sdwa v49, sext(v46), v240 dst_sel:DWORD dst_unused:UNUSED_PAD src0_sel:WORD_0 src1_sel:DWORD
	v_lshrrev_b32_e32 v50, 31, v48
	v_ashrrev_i32_e32 v48, 18, v48
	v_lshrrev_b32_e32 v51, 31, v49
	v_ashrrev_i32_e32 v49, 18, v49
	v_add_nc_u16 v48, v48, v50
	v_add_nc_u16 v49, v49, v51
	v_cmp_ge_i16_e64 s8, v48, v49
	s_and_b32 s90, s8, exec_lo
.LBB522_2358:                           ;   in Loop: Header=BB522_2296 Depth=1
	s_or_b32 exec_lo, exec_lo, s79
	s_orn2_b32 s79, s90, exec_lo
.LBB522_2359:                           ;   in Loop: Header=BB522_2296 Depth=1
	s_or_b32 exec_lo, exec_lo, s89
	v_cndmask_b32_e64 v48, v38, v39, s79
	v_cndmask_b32_e64 v49, v241, v1, s79
	s_mov_b32 s89, exec_lo
	v_add_nc_u32_e32 v48, 1, v48
	v_add_nc_u32_e32 v49, -1, v49
	v_cndmask_b32_e64 v38, v48, v38, s79
	v_min_u32_e32 v49, v48, v49
	v_cndmask_b32_e64 v39, v39, v48, s79
	v_lshlrev_b32_e32 v49, 1, v49
	ds_read_u16 v49, v49
	s_waitcnt lgkmcnt(0)
	v_cndmask_b32_e64 v70, v49, v71, s79
	v_cndmask_b32_e64 v47, v46, v49, s79
	v_cmpx_lt_u32_e64 v38, v241
	s_cbranch_execz .LBB522_2363
; %bb.2360:                             ;   in Loop: Header=BB522_2296 Depth=1
	s_mov_b32 s90, 0
	s_mov_b32 s88, exec_lo
	v_cmpx_lt_u32_e64 v39, v1
	s_cbranch_execz .LBB522_2362
; %bb.2361:                             ;   in Loop: Header=BB522_2296 Depth=1
	v_mul_i32_i24_sdwa v48, sext(v70), v240 dst_sel:DWORD dst_unused:UNUSED_PAD src0_sel:WORD_0 src1_sel:DWORD
	v_mul_i32_i24_sdwa v49, sext(v47), v240 dst_sel:DWORD dst_unused:UNUSED_PAD src0_sel:WORD_0 src1_sel:DWORD
	v_lshrrev_b32_e32 v50, 31, v48
	v_ashrrev_i32_e32 v48, 18, v48
	v_lshrrev_b32_e32 v51, 31, v49
	v_ashrrev_i32_e32 v49, 18, v49
	v_add_nc_u16 v48, v48, v50
	v_add_nc_u16 v49, v49, v51
	v_cmp_ge_i16_e64 s8, v48, v49
	s_and_b32 s90, s8, exec_lo
.LBB522_2362:                           ;   in Loop: Header=BB522_2296 Depth=1
	s_or_b32 exec_lo, exec_lo, s88
	s_orn2_b32 s88, s90, exec_lo
.LBB522_2363:                           ;   in Loop: Header=BB522_2296 Depth=1
	s_or_b32 exec_lo, exec_lo, s89
	v_cndmask_b32_e64 v48, v38, v39, s88
	v_cndmask_b32_e64 v49, v241, v1, s88
	s_mov_b32 s90, -1
	s_mov_b32 s89, -1
	s_mov_b32 s91, exec_lo
	v_add_nc_u32_e32 v48, 1, v48
	v_add_nc_u32_e32 v49, -1, v49
	v_cndmask_b32_e64 v38, v48, v38, s88
	v_min_u32_e32 v49, v48, v49
	v_cndmask_b32_e64 v39, v39, v48, s88
	v_lshlrev_b32_e32 v49, 1, v49
	ds_read_u16 v49, v49
	s_waitcnt lgkmcnt(0)
	v_cndmask_b32_e64 v69, v49, v70, s88
	v_cndmask_b32_e64 v56, v47, v49, s88
	v_cmpx_lt_u32_e64 v38, v241
	s_cbranch_execz .LBB522_2367
; %bb.2364:                             ;   in Loop: Header=BB522_2296 Depth=1
	s_mov_b32 s92, 0
	s_mov_b32 s89, exec_lo
	v_cmpx_lt_u32_e64 v39, v1
	s_cbranch_execz .LBB522_2366
; %bb.2365:                             ;   in Loop: Header=BB522_2296 Depth=1
	v_mul_i32_i24_sdwa v48, sext(v69), v240 dst_sel:DWORD dst_unused:UNUSED_PAD src0_sel:WORD_0 src1_sel:DWORD
	v_mul_i32_i24_sdwa v49, sext(v56), v240 dst_sel:DWORD dst_unused:UNUSED_PAD src0_sel:WORD_0 src1_sel:DWORD
	v_lshrrev_b32_e32 v50, 31, v48
	v_ashrrev_i32_e32 v48, 18, v48
	v_lshrrev_b32_e32 v51, 31, v49
	v_ashrrev_i32_e32 v49, 18, v49
	v_add_nc_u16 v48, v48, v50
	v_add_nc_u16 v49, v49, v51
	v_cmp_ge_i16_e64 s8, v48, v49
	s_and_b32 s92, s8, exec_lo
.LBB522_2366:                           ;   in Loop: Header=BB522_2296 Depth=1
	s_or_b32 exec_lo, exec_lo, s89
	s_orn2_b32 s89, s92, exec_lo
.LBB522_2367:                           ;   in Loop: Header=BB522_2296 Depth=1
	s_or_b32 exec_lo, exec_lo, s91
	v_cndmask_b32_e64 v48, v38, v39, s89
	v_cndmask_b32_e64 v49, v241, v1, s89
	s_mov_b32 s91, exec_lo
	v_add_nc_u32_e32 v48, 1, v48
	v_add_nc_u32_e32 v49, -1, v49
	v_cndmask_b32_e64 v38, v48, v38, s89
	v_min_u32_e32 v49, v48, v49
	v_cndmask_b32_e64 v39, v39, v48, s89
	v_lshlrev_b32_e32 v49, 1, v49
	ds_read_u16 v49, v49
	s_waitcnt lgkmcnt(0)
	v_cndmask_b32_e64 v68, v49, v69, s89
	v_cndmask_b32_e64 v57, v56, v49, s89
	v_cmpx_lt_u32_e64 v38, v241
	s_cbranch_execz .LBB522_2371
; %bb.2368:                             ;   in Loop: Header=BB522_2296 Depth=1
	s_mov_b32 s92, 0
	s_mov_b32 s90, exec_lo
	v_cmpx_lt_u32_e64 v39, v1
	s_cbranch_execz .LBB522_2370
; %bb.2369:                             ;   in Loop: Header=BB522_2296 Depth=1
	v_mul_i32_i24_sdwa v48, sext(v68), v240 dst_sel:DWORD dst_unused:UNUSED_PAD src0_sel:WORD_0 src1_sel:DWORD
	v_mul_i32_i24_sdwa v49, sext(v57), v240 dst_sel:DWORD dst_unused:UNUSED_PAD src0_sel:WORD_0 src1_sel:DWORD
	v_lshrrev_b32_e32 v50, 31, v48
	v_ashrrev_i32_e32 v48, 18, v48
	v_lshrrev_b32_e32 v51, 31, v49
	v_ashrrev_i32_e32 v49, 18, v49
	v_add_nc_u16 v48, v48, v50
	v_add_nc_u16 v49, v49, v51
	v_cmp_ge_i16_e64 s8, v48, v49
	s_and_b32 s92, s8, exec_lo
.LBB522_2370:                           ;   in Loop: Header=BB522_2296 Depth=1
	s_or_b32 exec_lo, exec_lo, s90
	s_orn2_b32 s90, s92, exec_lo
.LBB522_2371:                           ;   in Loop: Header=BB522_2296 Depth=1
	s_or_b32 exec_lo, exec_lo, s91
	v_cndmask_b32_e64 v48, v38, v39, s90
	v_cndmask_b32_e64 v49, v241, v1, s90
	s_mov_b32 s92, -1
	s_mov_b32 s91, -1
	s_mov_b32 s93, exec_lo
	v_add_nc_u32_e32 v48, 1, v48
	v_add_nc_u32_e32 v49, -1, v49
	v_cndmask_b32_e64 v38, v48, v38, s90
	v_min_u32_e32 v49, v48, v49
	v_cndmask_b32_e64 v39, v39, v48, s90
	v_lshlrev_b32_e32 v49, 1, v49
	ds_read_u16 v49, v49
	s_waitcnt lgkmcnt(0)
	v_cndmask_b32_e64 v67, v49, v68, s90
	v_cndmask_b32_e64 v58, v57, v49, s90
	v_cmpx_lt_u32_e64 v38, v241
	s_cbranch_execz .LBB522_2375
; %bb.2372:                             ;   in Loop: Header=BB522_2296 Depth=1
	s_mov_b32 s94, 0
	s_mov_b32 s91, exec_lo
	v_cmpx_lt_u32_e64 v39, v1
	s_cbranch_execz .LBB522_2374
; %bb.2373:                             ;   in Loop: Header=BB522_2296 Depth=1
	v_mul_i32_i24_sdwa v48, sext(v67), v240 dst_sel:DWORD dst_unused:UNUSED_PAD src0_sel:WORD_0 src1_sel:DWORD
	v_mul_i32_i24_sdwa v49, sext(v58), v240 dst_sel:DWORD dst_unused:UNUSED_PAD src0_sel:WORD_0 src1_sel:DWORD
	v_lshrrev_b32_e32 v50, 31, v48
	v_ashrrev_i32_e32 v48, 18, v48
	v_lshrrev_b32_e32 v51, 31, v49
	v_ashrrev_i32_e32 v49, 18, v49
	v_add_nc_u16 v48, v48, v50
	v_add_nc_u16 v49, v49, v51
	v_cmp_ge_i16_e64 s8, v48, v49
	s_and_b32 s94, s8, exec_lo
.LBB522_2374:                           ;   in Loop: Header=BB522_2296 Depth=1
	s_or_b32 exec_lo, exec_lo, s91
	s_orn2_b32 s91, s94, exec_lo
.LBB522_2375:                           ;   in Loop: Header=BB522_2296 Depth=1
	s_or_b32 exec_lo, exec_lo, s93
	v_cndmask_b32_e64 v48, v38, v39, s91
	v_cndmask_b32_e64 v49, v241, v1, s91
	s_mov_b32 s93, exec_lo
	v_add_nc_u32_e32 v48, 1, v48
	v_add_nc_u32_e32 v49, -1, v49
	v_cndmask_b32_e64 v38, v48, v38, s91
	v_min_u32_e32 v49, v48, v49
	v_cndmask_b32_e64 v39, v39, v48, s91
	v_lshlrev_b32_e32 v49, 1, v49
	ds_read_u16 v49, v49
	s_waitcnt lgkmcnt(0)
	v_cndmask_b32_e64 v66, v49, v67, s91
	v_cndmask_b32_e64 v59, v58, v49, s91
	v_cmpx_lt_u32_e64 v38, v241
	s_cbranch_execz .LBB522_2379
; %bb.2376:                             ;   in Loop: Header=BB522_2296 Depth=1
	s_mov_b32 s94, 0
	s_mov_b32 s92, exec_lo
	v_cmpx_lt_u32_e64 v39, v1
	s_cbranch_execz .LBB522_2378
; %bb.2377:                             ;   in Loop: Header=BB522_2296 Depth=1
	v_mul_i32_i24_sdwa v48, sext(v66), v240 dst_sel:DWORD dst_unused:UNUSED_PAD src0_sel:WORD_0 src1_sel:DWORD
	v_mul_i32_i24_sdwa v49, sext(v59), v240 dst_sel:DWORD dst_unused:UNUSED_PAD src0_sel:WORD_0 src1_sel:DWORD
	v_lshrrev_b32_e32 v50, 31, v48
	v_ashrrev_i32_e32 v48, 18, v48
	v_lshrrev_b32_e32 v51, 31, v49
	v_ashrrev_i32_e32 v49, 18, v49
	v_add_nc_u16 v48, v48, v50
	v_add_nc_u16 v49, v49, v51
	v_cmp_ge_i16_e64 s8, v48, v49
	s_and_b32 s94, s8, exec_lo
.LBB522_2378:                           ;   in Loop: Header=BB522_2296 Depth=1
	s_or_b32 exec_lo, exec_lo, s92
	s_orn2_b32 s92, s94, exec_lo
.LBB522_2379:                           ;   in Loop: Header=BB522_2296 Depth=1
	s_or_b32 exec_lo, exec_lo, s93
	v_cndmask_b32_e64 v48, v38, v39, s92
	v_cndmask_b32_e64 v49, v241, v1, s92
	s_mov_b32 s94, -1
	s_mov_b32 s93, -1
	s_mov_b32 s95, exec_lo
	v_add_nc_u32_e32 v48, 1, v48
	v_add_nc_u32_e32 v49, -1, v49
	v_cndmask_b32_e64 v38, v48, v38, s92
	v_min_u32_e32 v49, v48, v49
	v_cndmask_b32_e64 v39, v39, v48, s92
	v_lshlrev_b32_e32 v49, 1, v49
	ds_read_u16 v49, v49
	s_waitcnt lgkmcnt(0)
	v_cndmask_b32_e64 v65, v49, v66, s92
	v_cndmask_b32_e64 v60, v59, v49, s92
	v_cmpx_lt_u32_e64 v38, v241
	s_cbranch_execz .LBB522_2383
; %bb.2380:                             ;   in Loop: Header=BB522_2296 Depth=1
	s_mov_b32 vcc_hi, 0
	s_mov_b32 s93, exec_lo
	v_cmpx_lt_u32_e64 v39, v1
	s_cbranch_execz .LBB522_2382
; %bb.2381:                             ;   in Loop: Header=BB522_2296 Depth=1
	v_mul_i32_i24_sdwa v48, sext(v65), v240 dst_sel:DWORD dst_unused:UNUSED_PAD src0_sel:WORD_0 src1_sel:DWORD
	v_mul_i32_i24_sdwa v49, sext(v60), v240 dst_sel:DWORD dst_unused:UNUSED_PAD src0_sel:WORD_0 src1_sel:DWORD
	v_lshrrev_b32_e32 v50, 31, v48
	v_ashrrev_i32_e32 v48, 18, v48
	v_lshrrev_b32_e32 v51, 31, v49
	v_ashrrev_i32_e32 v49, 18, v49
	v_add_nc_u16 v48, v48, v50
	v_add_nc_u16 v49, v49, v51
	v_cmp_ge_i16_e64 s8, v48, v49
	s_and_b32 vcc_hi, s8, exec_lo
.LBB522_2382:                           ;   in Loop: Header=BB522_2296 Depth=1
	s_or_b32 exec_lo, exec_lo, s93
	s_orn2_b32 s93, vcc_hi, exec_lo
.LBB522_2383:                           ;   in Loop: Header=BB522_2296 Depth=1
	s_or_b32 exec_lo, exec_lo, s95
	v_cndmask_b32_e64 v48, v38, v39, s93
	v_cndmask_b32_e64 v49, v241, v1, s93
	s_mov_b32 s95, exec_lo
	v_add_nc_u32_e32 v48, 1, v48
	v_add_nc_u32_e32 v49, -1, v49
	v_cndmask_b32_e64 v38, v48, v38, s93
	v_min_u32_e32 v49, v48, v49
	v_cndmask_b32_e64 v39, v39, v48, s93
	v_lshlrev_b32_e32 v49, 1, v49
	ds_read_u16 v49, v49
	s_waitcnt lgkmcnt(0)
	v_cndmask_b32_e64 v64, v49, v65, s93
	v_cndmask_b32_e64 v61, v60, v49, s93
	v_cmpx_lt_u32_e64 v38, v241
	s_cbranch_execz .LBB522_2387
; %bb.2384:                             ;   in Loop: Header=BB522_2296 Depth=1
	s_mov_b32 vcc_hi, 0
	s_mov_b32 s94, exec_lo
	v_cmpx_lt_u32_e64 v39, v1
	s_cbranch_execz .LBB522_2386
; %bb.2385:                             ;   in Loop: Header=BB522_2296 Depth=1
	v_mul_i32_i24_sdwa v48, sext(v64), v240 dst_sel:DWORD dst_unused:UNUSED_PAD src0_sel:WORD_0 src1_sel:DWORD
	v_mul_i32_i24_sdwa v49, sext(v61), v240 dst_sel:DWORD dst_unused:UNUSED_PAD src0_sel:WORD_0 src1_sel:DWORD
	v_lshrrev_b32_e32 v50, 31, v48
	v_ashrrev_i32_e32 v48, 18, v48
	v_lshrrev_b32_e32 v51, 31, v49
	v_ashrrev_i32_e32 v49, 18, v49
	v_add_nc_u16 v48, v48, v50
	v_add_nc_u16 v49, v49, v51
	v_cmp_ge_i16_e64 s8, v48, v49
	s_and_b32 vcc_hi, s8, exec_lo
.LBB522_2386:                           ;   in Loop: Header=BB522_2296 Depth=1
	s_or_b32 exec_lo, exec_lo, s94
	s_orn2_b32 s94, vcc_hi, exec_lo
.LBB522_2387:                           ;   in Loop: Header=BB522_2296 Depth=1
	s_or_b32 exec_lo, exec_lo, s95
	v_cndmask_b32_e64 v48, v38, v39, s94
	v_cndmask_b32_e64 v49, v241, v1, s94
	s_mov_b32 vcc_hi, -1
	s_mov_b32 s95, -1
	s_mov_b32 s30, exec_lo
	v_add_nc_u32_e32 v48, 1, v48
	v_add_nc_u32_e32 v49, -1, v49
	v_cndmask_b32_e64 v38, v48, v38, s94
	v_min_u32_e32 v49, v48, v49
	v_cndmask_b32_e64 v39, v39, v48, s94
	v_lshlrev_b32_e32 v49, 1, v49
	ds_read_u16 v49, v49
	s_waitcnt lgkmcnt(0)
	v_cndmask_b32_e64 v55, v49, v64, s94
	v_cndmask_b32_e64 v62, v61, v49, s94
	v_cmpx_lt_u32_e64 v38, v241
	s_cbranch_execz .LBB522_2391
; %bb.2388:                             ;   in Loop: Header=BB522_2296 Depth=1
	s_mov_b32 s31, 0
	s_mov_b32 s95, exec_lo
	v_cmpx_lt_u32_e64 v39, v1
	s_cbranch_execz .LBB522_2390
; %bb.2389:                             ;   in Loop: Header=BB522_2296 Depth=1
	v_mul_i32_i24_sdwa v48, sext(v55), v240 dst_sel:DWORD dst_unused:UNUSED_PAD src0_sel:WORD_0 src1_sel:DWORD
	v_mul_i32_i24_sdwa v49, sext(v62), v240 dst_sel:DWORD dst_unused:UNUSED_PAD src0_sel:WORD_0 src1_sel:DWORD
	v_lshrrev_b32_e32 v50, 31, v48
	v_ashrrev_i32_e32 v48, 18, v48
	v_lshrrev_b32_e32 v51, 31, v49
	v_ashrrev_i32_e32 v49, 18, v49
	v_add_nc_u16 v48, v48, v50
	v_add_nc_u16 v49, v49, v51
	v_cmp_ge_i16_e64 s8, v48, v49
	s_and_b32 s31, s8, exec_lo
.LBB522_2390:                           ;   in Loop: Header=BB522_2296 Depth=1
	s_or_b32 exec_lo, exec_lo, s95
	s_orn2_b32 s95, s31, exec_lo
.LBB522_2391:                           ;   in Loop: Header=BB522_2296 Depth=1
	s_or_b32 exec_lo, exec_lo, s30
	v_cndmask_b32_e64 v48, v38, v39, s95
	v_cndmask_b32_e64 v49, v241, v1, s95
	s_mov_b32 s30, exec_lo
	v_add_nc_u32_e32 v48, 1, v48
	v_add_nc_u32_e32 v49, -1, v49
	v_cndmask_b32_e64 v38, v48, v38, s95
	v_min_u32_e32 v49, v48, v49
	v_cndmask_b32_e64 v39, v39, v48, s95
	v_lshlrev_b32_e32 v49, 1, v49
	ds_read_u16 v49, v49
	s_waitcnt lgkmcnt(0)
	v_cndmask_b32_e64 v53, v49, v55, s95
	v_cndmask_b32_e64 v63, v62, v49, s95
	v_cmpx_lt_u32_e64 v38, v241
	s_cbranch_execz .LBB522_2395
; %bb.2392:                             ;   in Loop: Header=BB522_2296 Depth=1
	s_mov_b32 s31, 0
	s_mov_b32 vcc_hi, exec_lo
	v_cmpx_lt_u32_e64 v39, v1
	s_cbranch_execz .LBB522_2394
; %bb.2393:                             ;   in Loop: Header=BB522_2296 Depth=1
	v_mul_i32_i24_sdwa v48, sext(v53), v240 dst_sel:DWORD dst_unused:UNUSED_PAD src0_sel:WORD_0 src1_sel:DWORD
	v_mul_i32_i24_sdwa v49, sext(v63), v240 dst_sel:DWORD dst_unused:UNUSED_PAD src0_sel:WORD_0 src1_sel:DWORD
	v_lshrrev_b32_e32 v50, 31, v48
	v_ashrrev_i32_e32 v48, 18, v48
	v_lshrrev_b32_e32 v51, 31, v49
	v_ashrrev_i32_e32 v49, 18, v49
	v_add_nc_u16 v48, v48, v50
	v_add_nc_u16 v49, v49, v51
	v_cmp_ge_i16_e64 s8, v48, v49
	s_and_b32 s31, s8, exec_lo
.LBB522_2394:                           ;   in Loop: Header=BB522_2296 Depth=1
	s_or_b32 exec_lo, exec_lo, vcc_hi
	s_orn2_b32 vcc_hi, s31, exec_lo
.LBB522_2395:                           ;   in Loop: Header=BB522_2296 Depth=1
	s_or_b32 exec_lo, exec_lo, s30
	v_cndmask_b32_e64 v48, v38, v39, vcc_hi
	v_cndmask_b32_e64 v49, v241, v1, vcc_hi
	s_mov_b32 s31, -1
	s_mov_b32 s30, -1
	s_mov_b32 s34, exec_lo
	v_add_nc_u32_e32 v48, 1, v48
	v_add_nc_u32_e32 v49, -1, v49
	v_cndmask_b32_e64 v38, v48, v38, vcc_hi
	v_min_u32_e32 v49, v48, v49
	v_cndmask_b32_e64 v39, v39, v48, vcc_hi
	v_lshlrev_b32_e32 v49, 1, v49
	ds_read_u16 v49, v49
	s_waitcnt lgkmcnt(0)
	v_cndmask_b32_e64 v52, v49, v53, vcc_hi
	v_cndmask_b32_e64 v72, v63, v49, vcc_hi
	v_cmpx_lt_u32_e64 v38, v241
	s_cbranch_execz .LBB522_2399
; %bb.2396:                             ;   in Loop: Header=BB522_2296 Depth=1
	s_mov_b32 s35, 0
	s_mov_b32 s30, exec_lo
	v_cmpx_lt_u32_e64 v39, v1
	s_cbranch_execz .LBB522_2398
; %bb.2397:                             ;   in Loop: Header=BB522_2296 Depth=1
	v_mul_i32_i24_sdwa v48, sext(v52), v240 dst_sel:DWORD dst_unused:UNUSED_PAD src0_sel:WORD_0 src1_sel:DWORD
	v_mul_i32_i24_sdwa v49, sext(v72), v240 dst_sel:DWORD dst_unused:UNUSED_PAD src0_sel:WORD_0 src1_sel:DWORD
	v_lshrrev_b32_e32 v50, 31, v48
	v_ashrrev_i32_e32 v48, 18, v48
	v_lshrrev_b32_e32 v51, 31, v49
	v_ashrrev_i32_e32 v49, 18, v49
	v_add_nc_u16 v48, v48, v50
	v_add_nc_u16 v49, v49, v51
	v_cmp_ge_i16_e64 s8, v48, v49
	s_and_b32 s35, s8, exec_lo
.LBB522_2398:                           ;   in Loop: Header=BB522_2296 Depth=1
	s_or_b32 exec_lo, exec_lo, s30
	s_orn2_b32 s30, s35, exec_lo
.LBB522_2399:                           ;   in Loop: Header=BB522_2296 Depth=1
	s_or_b32 exec_lo, exec_lo, s34
	v_cndmask_b32_e64 v48, v38, v39, s30
	v_cndmask_b32_e64 v49, v241, v1, s30
	s_mov_b32 s34, exec_lo
	v_add_nc_u32_e32 v48, 1, v48
	v_add_nc_u32_e32 v49, -1, v49
	v_cndmask_b32_e64 v38, v48, v38, s30
	v_min_u32_e32 v49, v48, v49
	v_cndmask_b32_e64 v39, v39, v48, s30
	v_lshlrev_b32_e32 v49, 1, v49
	ds_read_u16 v49, v49
	s_waitcnt lgkmcnt(0)
	v_cndmask_b32_e64 v51, v49, v52, s30
	v_cndmask_b32_e64 v73, v72, v49, s30
	v_cmpx_lt_u32_e64 v38, v241
	s_cbranch_execz .LBB522_2403
; %bb.2400:                             ;   in Loop: Header=BB522_2296 Depth=1
	s_mov_b32 s35, 0
	s_mov_b32 s31, exec_lo
	v_cmpx_lt_u32_e64 v39, v1
	s_cbranch_execz .LBB522_2402
; %bb.2401:                             ;   in Loop: Header=BB522_2296 Depth=1
	v_mul_i32_i24_sdwa v48, sext(v51), v240 dst_sel:DWORD dst_unused:UNUSED_PAD src0_sel:WORD_0 src1_sel:DWORD
	v_mul_i32_i24_sdwa v49, sext(v73), v240 dst_sel:DWORD dst_unused:UNUSED_PAD src0_sel:WORD_0 src1_sel:DWORD
	v_lshrrev_b32_e32 v50, 31, v48
	v_ashrrev_i32_e32 v48, 18, v48
	v_lshrrev_b32_e32 v54, 31, v49
	v_ashrrev_i32_e32 v49, 18, v49
	v_add_nc_u16 v48, v48, v50
	v_add_nc_u16 v49, v49, v54
	v_cmp_ge_i16_e64 s8, v48, v49
	s_and_b32 s35, s8, exec_lo
.LBB522_2402:                           ;   in Loop: Header=BB522_2296 Depth=1
	s_or_b32 exec_lo, exec_lo, s31
	s_orn2_b32 s31, s35, exec_lo
.LBB522_2403:                           ;   in Loop: Header=BB522_2296 Depth=1
	s_or_b32 exec_lo, exec_lo, s34
	v_cndmask_b32_e64 v48, v38, v39, s31
	v_cndmask_b32_e64 v49, v241, v1, s31
	s_mov_b32 s35, -1
	s_mov_b32 s34, -1
	s_mov_b32 s38, exec_lo
	v_add_nc_u32_e32 v48, 1, v48
	v_add_nc_u32_e32 v49, -1, v49
	v_cndmask_b32_e64 v38, v48, v38, s31
	v_min_u32_e32 v49, v48, v49
	v_cndmask_b32_e64 v39, v39, v48, s31
	v_lshlrev_b32_e32 v49, 1, v49
	ds_read_u16 v49, v49
	s_waitcnt lgkmcnt(0)
	v_cndmask_b32_e64 v54, v49, v51, s31
	v_cndmask_b32_e64 v74, v73, v49, s31
	v_cmpx_lt_u32_e64 v38, v241
	s_cbranch_execz .LBB522_2407
; %bb.2404:                             ;   in Loop: Header=BB522_2296 Depth=1
	s_mov_b32 s39, 0
	s_mov_b32 s34, exec_lo
	v_cmpx_lt_u32_e64 v39, v1
	s_cbranch_execz .LBB522_2406
; %bb.2405:                             ;   in Loop: Header=BB522_2296 Depth=1
	v_mul_i32_i24_sdwa v48, sext(v54), v240 dst_sel:DWORD dst_unused:UNUSED_PAD src0_sel:WORD_0 src1_sel:DWORD
	v_mul_i32_i24_sdwa v49, sext(v74), v240 dst_sel:DWORD dst_unused:UNUSED_PAD src0_sel:WORD_0 src1_sel:DWORD
	v_lshrrev_b32_e32 v50, 31, v48
	v_ashrrev_i32_e32 v48, 18, v48
	v_lshrrev_b32_e32 v75, 31, v49
	v_ashrrev_i32_e32 v49, 18, v49
	v_add_nc_u16 v48, v48, v50
	v_add_nc_u16 v49, v49, v75
	v_cmp_ge_i16_e64 s8, v48, v49
	s_and_b32 s39, s8, exec_lo
.LBB522_2406:                           ;   in Loop: Header=BB522_2296 Depth=1
	s_or_b32 exec_lo, exec_lo, s34
	s_orn2_b32 s34, s39, exec_lo
.LBB522_2407:                           ;   in Loop: Header=BB522_2296 Depth=1
	s_or_b32 exec_lo, exec_lo, s38
	v_cndmask_b32_e64 v48, v38, v39, s34
	v_cndmask_b32_e64 v49, v241, v1, s34
	s_mov_b32 s38, exec_lo
	v_add_nc_u32_e32 v48, 1, v48
	v_add_nc_u32_e32 v49, -1, v49
	v_cndmask_b32_e64 v38, v48, v38, s34
	v_min_u32_e32 v49, v48, v49
	v_cndmask_b32_e64 v39, v39, v48, s34
	v_lshlrev_b32_e32 v49, 1, v49
	ds_read_u16 v49, v49
	s_waitcnt lgkmcnt(0)
	v_cndmask_b32_e64 v50, v49, v54, s34
	v_cndmask_b32_e64 v75, v74, v49, s34
	v_cmpx_lt_u32_e64 v38, v241
	s_cbranch_execz .LBB522_2411
; %bb.2408:                             ;   in Loop: Header=BB522_2296 Depth=1
	s_mov_b32 s39, 0
	s_mov_b32 s35, exec_lo
	v_cmpx_lt_u32_e64 v39, v1
	s_cbranch_execz .LBB522_2410
; %bb.2409:                             ;   in Loop: Header=BB522_2296 Depth=1
	v_mul_i32_i24_sdwa v48, sext(v50), v240 dst_sel:DWORD dst_unused:UNUSED_PAD src0_sel:WORD_0 src1_sel:DWORD
	v_mul_i32_i24_sdwa v49, sext(v75), v240 dst_sel:DWORD dst_unused:UNUSED_PAD src0_sel:WORD_0 src1_sel:DWORD
	v_lshrrev_b32_e32 v76, 31, v48
	v_ashrrev_i32_e32 v48, 18, v48
	v_lshrrev_b32_e32 v77, 31, v49
	v_ashrrev_i32_e32 v49, 18, v49
	v_add_nc_u16 v48, v48, v76
	v_add_nc_u16 v49, v49, v77
	v_cmp_ge_i16_e64 s8, v48, v49
	s_and_b32 s39, s8, exec_lo
.LBB522_2410:                           ;   in Loop: Header=BB522_2296 Depth=1
	s_or_b32 exec_lo, exec_lo, s35
	s_orn2_b32 s35, s39, exec_lo
.LBB522_2411:                           ;   in Loop: Header=BB522_2296 Depth=1
	s_or_b32 exec_lo, exec_lo, s38
	v_cndmask_b32_e64 v48, v38, v39, s35
	v_cndmask_b32_e64 v49, v241, v1, s35
	s_mov_b32 s39, -1
	s_mov_b32 s38, -1
	s_mov_b32 s48, exec_lo
	v_add_nc_u32_e32 v48, 1, v48
	v_add_nc_u32_e32 v49, -1, v49
	v_cndmask_b32_e64 v38, v48, v38, s35
	v_min_u32_e32 v49, v48, v49
	v_cndmask_b32_e64 v39, v39, v48, s35
	v_lshlrev_b32_e32 v49, 1, v49
	ds_read_u16 v76, v49
	s_waitcnt lgkmcnt(0)
	v_cndmask_b32_e64 v49, v76, v50, s35
	v_cndmask_b32_e64 v76, v75, v76, s35
	v_cmpx_lt_u32_e64 v38, v241
	s_cbranch_execz .LBB522_2415
; %bb.2412:                             ;   in Loop: Header=BB522_2296 Depth=1
	s_mov_b32 s49, 0
	s_mov_b32 s38, exec_lo
	v_cmpx_lt_u32_e64 v39, v1
	s_cbranch_execz .LBB522_2414
; %bb.2413:                             ;   in Loop: Header=BB522_2296 Depth=1
	v_mul_i32_i24_sdwa v48, sext(v49), v240 dst_sel:DWORD dst_unused:UNUSED_PAD src0_sel:WORD_0 src1_sel:DWORD
	v_mul_i32_i24_sdwa v77, sext(v76), v240 dst_sel:DWORD dst_unused:UNUSED_PAD src0_sel:WORD_0 src1_sel:DWORD
	v_lshrrev_b32_e32 v78, 31, v48
	v_ashrrev_i32_e32 v48, 18, v48
	v_lshrrev_b32_e32 v79, 31, v77
	v_ashrrev_i32_e32 v77, 18, v77
	v_add_nc_u16 v48, v48, v78
	v_add_nc_u16 v77, v77, v79
	v_cmp_ge_i16_e64 s8, v48, v77
	s_and_b32 s49, s8, exec_lo
.LBB522_2414:                           ;   in Loop: Header=BB522_2296 Depth=1
	s_or_b32 exec_lo, exec_lo, s38
	s_orn2_b32 s38, s49, exec_lo
.LBB522_2415:                           ;   in Loop: Header=BB522_2296 Depth=1
	s_or_b32 exec_lo, exec_lo, s48
	v_cndmask_b32_e64 v48, v38, v39, s38
	v_cndmask_b32_e64 v77, v241, v1, s38
	s_mov_b32 s48, exec_lo
	v_add_nc_u32_e32 v48, 1, v48
	v_add_nc_u32_e32 v77, -1, v77
	v_cndmask_b32_e64 v38, v48, v38, s38
	v_min_u32_e32 v77, v48, v77
	v_cndmask_b32_e64 v39, v39, v48, s38
	v_lshlrev_b32_e32 v77, 1, v77
	ds_read_u16 v77, v77
	s_waitcnt lgkmcnt(0)
	v_cndmask_b32_e64 v48, v77, v49, s38
	v_cndmask_b32_e64 v77, v76, v77, s38
	v_cmpx_lt_u32_e64 v38, v241
	s_cbranch_execz .LBB522_2419
; %bb.2416:                             ;   in Loop: Header=BB522_2296 Depth=1
	s_mov_b32 s49, 0
	s_mov_b32 s39, exec_lo
	v_cmpx_lt_u32_e64 v39, v1
	s_cbranch_execz .LBB522_2418
; %bb.2417:                             ;   in Loop: Header=BB522_2296 Depth=1
	v_mul_i32_i24_sdwa v78, sext(v48), v240 dst_sel:DWORD dst_unused:UNUSED_PAD src0_sel:WORD_0 src1_sel:DWORD
	v_mul_i32_i24_sdwa v79, sext(v77), v240 dst_sel:DWORD dst_unused:UNUSED_PAD src0_sel:WORD_0 src1_sel:DWORD
	v_lshrrev_b32_e32 v88, 31, v78
	v_ashrrev_i32_e32 v78, 18, v78
	v_lshrrev_b32_e32 v89, 31, v79
	v_ashrrev_i32_e32 v79, 18, v79
	v_add_nc_u16 v78, v78, v88
	v_add_nc_u16 v79, v79, v89
	v_cmp_ge_i16_e64 s8, v78, v79
	s_and_b32 s49, s8, exec_lo
.LBB522_2418:                           ;   in Loop: Header=BB522_2296 Depth=1
	s_or_b32 exec_lo, exec_lo, s39
	s_orn2_b32 s39, s49, exec_lo
.LBB522_2419:                           ;   in Loop: Header=BB522_2296 Depth=1
	s_or_b32 exec_lo, exec_lo, s48
	v_cndmask_b32_e64 v78, v38, v39, s39
	v_cndmask_b32_e64 v79, v241, v1, s39
	s_mov_b32 s48, -1
	s_mov_b32 s49, -1
	s_mov_b32 s50, exec_lo
	v_add_nc_u32_e32 v78, 1, v78
	v_add_nc_u32_e32 v79, -1, v79
	v_cndmask_b32_e64 v38, v78, v38, s39
	v_min_u32_e32 v79, v78, v79
	v_lshlrev_b32_e32 v79, 1, v79
	ds_read_u16 v88, v79
	v_cndmask_b32_e64 v79, v39, v78, s39
	s_waitcnt lgkmcnt(0)
	v_cndmask_b32_e64 v39, v88, v48, s39
	v_cndmask_b32_e64 v78, v77, v88, s39
	v_cmpx_lt_u32_e64 v38, v241
	s_cbranch_execz .LBB522_2423
; %bb.2420:                             ;   in Loop: Header=BB522_2296 Depth=1
	s_mov_b32 s51, 0
	s_mov_b32 s49, exec_lo
	v_cmpx_lt_u32_e64 v79, v1
	s_cbranch_execz .LBB522_2422
; %bb.2421:                             ;   in Loop: Header=BB522_2296 Depth=1
	v_mul_i32_i24_sdwa v88, sext(v39), v240 dst_sel:DWORD dst_unused:UNUSED_PAD src0_sel:WORD_0 src1_sel:DWORD
	v_mul_i32_i24_sdwa v89, sext(v78), v240 dst_sel:DWORD dst_unused:UNUSED_PAD src0_sel:WORD_0 src1_sel:DWORD
	v_lshrrev_b32_e32 v90, 31, v88
	v_ashrrev_i32_e32 v88, 18, v88
	v_lshrrev_b32_e32 v91, 31, v89
	v_ashrrev_i32_e32 v89, 18, v89
	v_add_nc_u16 v88, v88, v90
	v_add_nc_u16 v89, v89, v91
	v_cmp_ge_i16_e64 s8, v88, v89
	s_and_b32 s51, s8, exec_lo
.LBB522_2422:                           ;   in Loop: Header=BB522_2296 Depth=1
	s_or_b32 exec_lo, exec_lo, s49
	s_orn2_b32 s49, s51, exec_lo
.LBB522_2423:                           ;   in Loop: Header=BB522_2296 Depth=1
	s_or_b32 exec_lo, exec_lo, s50
	v_cndmask_b32_e64 v88, v38, v79, s49
	v_cndmask_b32_e64 v89, v241, v1, s49
	s_mov_b32 s50, exec_lo
	v_add_nc_u32_e32 v88, 1, v88
	v_add_nc_u32_e32 v89, -1, v89
	v_cndmask_b32_e64 v38, v88, v38, s49
	v_min_u32_e32 v89, v88, v89
	v_lshlrev_b32_e32 v89, 1, v89
	ds_read_u16 v90, v89
	v_cndmask_b32_e64 v89, v79, v88, s49
	s_waitcnt lgkmcnt(0)
	v_cndmask_b32_e64 v79, v90, v39, s49
	v_cndmask_b32_e64 v88, v78, v90, s49
	v_cmpx_lt_u32_e64 v38, v241
	s_cbranch_execz .LBB522_2427
; %bb.2424:                             ;   in Loop: Header=BB522_2296 Depth=1
	s_mov_b32 s51, 0
	s_mov_b32 s48, exec_lo
	v_cmpx_lt_u32_e64 v89, v1
	s_cbranch_execz .LBB522_2426
; %bb.2425:                             ;   in Loop: Header=BB522_2296 Depth=1
	v_mul_i32_i24_sdwa v90, sext(v79), v240 dst_sel:DWORD dst_unused:UNUSED_PAD src0_sel:WORD_0 src1_sel:DWORD
	v_mul_i32_i24_sdwa v91, sext(v88), v240 dst_sel:DWORD dst_unused:UNUSED_PAD src0_sel:WORD_0 src1_sel:DWORD
	v_lshrrev_b32_e32 v92, 31, v90
	v_ashrrev_i32_e32 v90, 18, v90
	v_lshrrev_b32_e32 v93, 31, v91
	v_ashrrev_i32_e32 v91, 18, v91
	v_add_nc_u16 v90, v90, v92
	v_add_nc_u16 v91, v91, v93
	v_cmp_ge_i16_e64 s8, v90, v91
	s_and_b32 s51, s8, exec_lo
.LBB522_2426:                           ;   in Loop: Header=BB522_2296 Depth=1
	s_or_b32 exec_lo, exec_lo, s48
	s_orn2_b32 s48, s51, exec_lo
.LBB522_2427:                           ;   in Loop: Header=BB522_2296 Depth=1
	s_or_b32 exec_lo, exec_lo, s50
	v_cndmask_b32_e64 v90, v38, v89, s48
	v_cndmask_b32_e64 v91, v241, v1, s48
	s_mov_b32 s50, exec_lo
	v_add_nc_u32_e32 v90, 1, v90
	v_add_nc_u32_e32 v91, -1, v91
	v_cndmask_b32_e64 v92, v90, v38, s48
	v_min_u32_e32 v91, v90, v91
	v_lshlrev_b32_e32 v91, 1, v91
	ds_read_u16 v91, v91
	s_waitcnt lgkmcnt(0)
	v_cndmask_b32_e64 v38, v88, v91, s48
	v_cmpx_lt_u32_e64 v92, v241
	s_cbranch_execz .LBB522_2294
; %bb.2428:                             ;   in Loop: Header=BB522_2296 Depth=1
	v_cndmask_b32_e64 v89, v89, v90, s48
	v_cndmask_b32_e64 v241, v91, v79, s48
	s_mov_b32 s51, exec_lo
	v_cmpx_lt_u32_e64 v89, v1
	s_cbranch_execz .LBB522_2293
; %bb.2429:                             ;   in Loop: Header=BB522_2296 Depth=1
	v_mul_i32_i24_sdwa v1, sext(v241), v240 dst_sel:DWORD dst_unused:UNUSED_PAD src0_sel:WORD_0 src1_sel:DWORD
	v_mul_i32_i24_sdwa v89, sext(v38), v240 dst_sel:DWORD dst_unused:UNUSED_PAD src0_sel:WORD_0 src1_sel:DWORD
	v_lshrrev_b32_e32 v90, 31, v1
	v_ashrrev_i32_e32 v1, 18, v1
	v_lshrrev_b32_e32 v91, 31, v89
	v_ashrrev_i32_e32 v89, 18, v89
	v_add_nc_u16 v1, v1, v90
	v_add_nc_u16 v89, v89, v91
	v_cmp_lt_i16_e64 s8, v1, v89
	v_cndmask_b32_e64 v241, v38, v241, s8
	s_branch .LBB522_2293
.LBB522_2430:
	s_or_b32 exec_lo, exec_lo, s57
.LBB522_2431:
	s_or_b32 exec_lo, exec_lo, s12
	s_barrier
	buffer_gl0_inv
	ds_write_b16 v37, v97
	ds_write_b16 v113, v100
	;; [unrolled: 1-line block ×32, first 2 shown]
	s_waitcnt lgkmcnt(0)
	s_barrier
	buffer_gl0_inv
	ds_read_u16 v69, v103
	ds_read_u16 v68, v112
	;; [unrolled: 1-line block ×31, first 2 shown]
	v_add_co_u32 v0, s8, v4, v8
	v_mov_b32_e32 v7, 0
	v_add_co_ci_u32_e64 v1, null, 0, v5, s8
	s_and_saveexec_b32 s8, vcc_lo
	s_cbranch_execz .LBB522_2464
; %bb.2432:
	ds_read_u16 v3, v3
	s_waitcnt lgkmcnt(0)
	flat_store_short v[0:1], v3
	s_or_b32 exec_lo, exec_lo, s8
	s_and_saveexec_b32 s8, s4
	s_cbranch_execnz .LBB522_2465
.LBB522_2433:
	s_or_b32 exec_lo, exec_lo, s8
	s_and_saveexec_b32 s4, s5
	s_cbranch_execz .LBB522_2466
.LBB522_2434:
	s_waitcnt lgkmcnt(29)
	flat_store_short v[0:1], v68 offset:1024
	s_or_b32 exec_lo, exec_lo, s4
	s_and_saveexec_b32 s4, s6
	s_cbranch_execnz .LBB522_2467
.LBB522_2435:
	s_or_b32 exec_lo, exec_lo, s4
	s_and_saveexec_b32 s4, s7
	s_cbranch_execz .LBB522_2468
.LBB522_2436:
	v_add_co_u32 v22, vcc_lo, 0x800, v0
	v_add_co_ci_u32_e64 v23, null, 0, v1, vcc_lo
	s_waitcnt lgkmcnt(27)
	flat_store_short v[22:23], v66
	s_or_b32 exec_lo, exec_lo, s4
	s_and_saveexec_b32 s4, s10
	s_cbranch_execnz .LBB522_2469
.LBB522_2437:
	s_or_b32 exec_lo, exec_lo, s4
	s_and_saveexec_b32 s4, s11
	s_cbranch_execz .LBB522_2470
.LBB522_2438:
	v_add_co_u32 v22, vcc_lo, 0x800, v0
	v_add_co_ci_u32_e64 v23, null, 0, v1, vcc_lo
	s_waitcnt lgkmcnt(25)
	flat_store_short v[22:23], v64 offset:1024
	s_or_b32 exec_lo, exec_lo, s4
	s_and_saveexec_b32 s4, s47
	s_cbranch_execnz .LBB522_2471
.LBB522_2439:
	s_or_b32 exec_lo, exec_lo, s4
	s_and_saveexec_b32 s4, s56
	s_cbranch_execz .LBB522_2472
.LBB522_2440:
	v_add_co_u32 v22, vcc_lo, 0x1000, v0
	v_add_co_ci_u32_e64 v23, null, 0, v1, vcc_lo
	s_waitcnt lgkmcnt(23)
	flat_store_short v[22:23], v54
	s_or_b32 exec_lo, exec_lo, s4
	s_and_saveexec_b32 s4, s14
	s_cbranch_execnz .LBB522_2473
.LBB522_2441:
	s_or_b32 exec_lo, exec_lo, s4
	s_and_saveexec_b32 s4, s15
	s_cbranch_execz .LBB522_2474
.LBB522_2442:
	v_add_co_u32 v22, vcc_lo, 0x1000, v0
	v_add_co_ci_u32_e64 v23, null, 0, v1, vcc_lo
	s_waitcnt lgkmcnt(21)
	flat_store_short v[22:23], v52 offset:1024
	s_or_b32 exec_lo, exec_lo, s4
	s_and_saveexec_b32 s4, s16
	s_cbranch_execnz .LBB522_2475
.LBB522_2443:
	s_or_b32 exec_lo, exec_lo, s4
	s_and_saveexec_b32 s4, s17
	s_cbranch_execz .LBB522_2476
.LBB522_2444:
	v_add_co_u32 v22, vcc_lo, 0x1800, v0
	v_add_co_ci_u32_e64 v23, null, 0, v1, vcc_lo
	s_waitcnt lgkmcnt(19)
	flat_store_short v[22:23], v49
	s_or_b32 exec_lo, exec_lo, s4
	s_and_saveexec_b32 s4, s18
	s_cbranch_execnz .LBB522_2477
.LBB522_2445:
	s_or_b32 exec_lo, exec_lo, s4
	s_and_saveexec_b32 s4, s19
	s_cbranch_execz .LBB522_2478
.LBB522_2446:
	v_add_co_u32 v22, vcc_lo, 0x1800, v0
	v_add_co_ci_u32_e64 v23, null, 0, v1, vcc_lo
	s_waitcnt lgkmcnt(17)
	flat_store_short v[22:23], v39 offset:1024
	s_or_b32 exec_lo, exec_lo, s4
	s_and_saveexec_b32 s4, s20
	s_cbranch_execnz .LBB522_2479
.LBB522_2447:
	s_or_b32 exec_lo, exec_lo, s4
	s_and_saveexec_b32 s4, s21
	s_cbranch_execz .LBB522_2480
.LBB522_2448:
	v_add_co_u32 v22, vcc_lo, 0x2000, v0
	v_add_co_ci_u32_e64 v23, null, 0, v1, vcc_lo
	s_waitcnt lgkmcnt(15)
	flat_store_short v[22:23], v37
	s_or_b32 exec_lo, exec_lo, s4
	s_and_saveexec_b32 s4, s22
	s_cbranch_execnz .LBB522_2481
.LBB522_2449:
	s_or_b32 exec_lo, exec_lo, s4
	s_and_saveexec_b32 s4, s23
	s_cbranch_execz .LBB522_2482
.LBB522_2450:
	s_waitcnt lgkmcnt(14)
	v_add_co_u32 v21, vcc_lo, 0x2000, v0
	v_add_co_ci_u32_e64 v22, null, 0, v1, vcc_lo
	s_waitcnt lgkmcnt(13)
	flat_store_short v[21:22], v20 offset:1024
	s_or_b32 exec_lo, exec_lo, s4
	s_and_saveexec_b32 s4, s24
	s_cbranch_execnz .LBB522_2483
.LBB522_2451:
	s_or_b32 exec_lo, exec_lo, s4
	s_and_saveexec_b32 s4, s25
	s_cbranch_execz .LBB522_2484
.LBB522_2452:
	s_waitcnt lgkmcnt(12)
	v_add_co_u32 v19, vcc_lo, 0x2800, v0
	v_add_co_ci_u32_e64 v20, null, 0, v1, vcc_lo
	s_waitcnt lgkmcnt(11)
	flat_store_short v[19:20], v18
	s_or_b32 exec_lo, exec_lo, s4
	s_and_saveexec_b32 s4, s26
	s_cbranch_execnz .LBB522_2485
.LBB522_2453:
	s_or_b32 exec_lo, exec_lo, s4
	s_and_saveexec_b32 s4, s27
	s_cbranch_execz .LBB522_2486
.LBB522_2454:
	s_waitcnt lgkmcnt(10)
	v_add_co_u32 v17, vcc_lo, 0x2800, v0
	v_add_co_ci_u32_e64 v18, null, 0, v1, vcc_lo
	s_waitcnt lgkmcnt(9)
	flat_store_short v[17:18], v16 offset:1024
	s_or_b32 exec_lo, exec_lo, s4
	s_and_saveexec_b32 s4, s28
	s_cbranch_execnz .LBB522_2487
.LBB522_2455:
	s_or_b32 exec_lo, exec_lo, s4
	s_and_saveexec_b32 s4, s29
	s_cbranch_execz .LBB522_2488
.LBB522_2456:
	s_waitcnt lgkmcnt(8)
	v_add_co_u32 v15, vcc_lo, 0x3000, v0
	v_add_co_ci_u32_e64 v16, null, 0, v1, vcc_lo
	s_waitcnt lgkmcnt(7)
	flat_store_short v[15:16], v14
	s_or_b32 exec_lo, exec_lo, s4
	s_and_saveexec_b32 s4, s40
	s_cbranch_execnz .LBB522_2489
.LBB522_2457:
	s_or_b32 exec_lo, exec_lo, s4
	s_and_saveexec_b32 s4, s41
	s_cbranch_execz .LBB522_2490
.LBB522_2458:
	s_waitcnt lgkmcnt(6)
	v_add_co_u32 v13, vcc_lo, 0x3000, v0
	v_add_co_ci_u32_e64 v14, null, 0, v1, vcc_lo
	s_waitcnt lgkmcnt(5)
	flat_store_short v[13:14], v12 offset:1024
	s_or_b32 exec_lo, exec_lo, s4
	s_and_saveexec_b32 s4, s42
	s_cbranch_execnz .LBB522_2491
.LBB522_2459:
	s_or_b32 exec_lo, exec_lo, s4
	s_and_saveexec_b32 s4, s43
	s_cbranch_execz .LBB522_2492
.LBB522_2460:
	s_waitcnt lgkmcnt(4)
	v_add_co_u32 v11, vcc_lo, 0x3800, v0
	v_add_co_ci_u32_e64 v12, null, 0, v1, vcc_lo
	s_waitcnt lgkmcnt(3)
	flat_store_short v[11:12], v10
	s_or_b32 exec_lo, exec_lo, s4
	s_and_saveexec_b32 s4, s44
	s_cbranch_execnz .LBB522_2493
.LBB522_2461:
	s_or_b32 exec_lo, exec_lo, s4
	s_and_saveexec_b32 s4, s45
	s_cbranch_execz .LBB522_2463
.LBB522_2462:
	v_add_co_u32 v0, vcc_lo, 0x3800, v0
	v_add_co_ci_u32_e64 v1, null, 0, v1, vcc_lo
	s_waitcnt lgkmcnt(1)
	flat_store_short v[0:1], v2 offset:1024
.LBB522_2463:
	s_or_b32 exec_lo, exec_lo, s4
	s_andn2_b32 s4, s36, exec_lo
	s_and_b32 s5, s46, exec_lo
	s_or_b32 s36, s4, s5
	s_or_b32 exec_lo, exec_lo, s37
	s_and_saveexec_b32 s4, s36
	s_cbranch_execnz .LBB522_769
	s_branch .LBB522_770
.LBB522_2464:
	s_or_b32 exec_lo, exec_lo, s8
	s_and_saveexec_b32 s8, s4
	s_cbranch_execz .LBB522_2433
.LBB522_2465:
	s_waitcnt lgkmcnt(30)
	flat_store_short v[0:1], v69 offset:512
	s_or_b32 exec_lo, exec_lo, s8
	s_and_saveexec_b32 s4, s5
	s_cbranch_execnz .LBB522_2434
.LBB522_2466:
	s_or_b32 exec_lo, exec_lo, s4
	s_and_saveexec_b32 s4, s6
	s_cbranch_execz .LBB522_2435
.LBB522_2467:
	s_waitcnt lgkmcnt(28)
	flat_store_short v[0:1], v67 offset:1536
	s_or_b32 exec_lo, exec_lo, s4
	s_and_saveexec_b32 s4, s7
	s_cbranch_execnz .LBB522_2436
.LBB522_2468:
	s_or_b32 exec_lo, exec_lo, s4
	s_and_saveexec_b32 s4, s10
	s_cbranch_execz .LBB522_2437
.LBB522_2469:
	v_add_co_u32 v22, vcc_lo, 0x800, v0
	v_add_co_ci_u32_e64 v23, null, 0, v1, vcc_lo
	s_waitcnt lgkmcnt(26)
	flat_store_short v[22:23], v65 offset:512
	s_or_b32 exec_lo, exec_lo, s4
	s_and_saveexec_b32 s4, s11
	s_cbranch_execnz .LBB522_2438
.LBB522_2470:
	s_or_b32 exec_lo, exec_lo, s4
	s_and_saveexec_b32 s4, s47
	s_cbranch_execz .LBB522_2439
.LBB522_2471:
	v_add_co_u32 v22, vcc_lo, 0x800, v0
	v_add_co_ci_u32_e64 v23, null, 0, v1, vcc_lo
	s_waitcnt lgkmcnt(24)
	flat_store_short v[22:23], v55 offset:1536
	s_or_b32 exec_lo, exec_lo, s4
	s_and_saveexec_b32 s4, s56
	s_cbranch_execnz .LBB522_2440
.LBB522_2472:
	s_or_b32 exec_lo, exec_lo, s4
	s_and_saveexec_b32 s4, s14
	s_cbranch_execz .LBB522_2441
.LBB522_2473:
	v_add_co_u32 v22, vcc_lo, 0x1000, v0
	v_add_co_ci_u32_e64 v23, null, 0, v1, vcc_lo
	s_waitcnt lgkmcnt(22)
	flat_store_short v[22:23], v53 offset:512
	s_or_b32 exec_lo, exec_lo, s4
	s_and_saveexec_b32 s4, s15
	s_cbranch_execnz .LBB522_2442
.LBB522_2474:
	s_or_b32 exec_lo, exec_lo, s4
	s_and_saveexec_b32 s4, s16
	s_cbranch_execz .LBB522_2443
.LBB522_2475:
	v_add_co_u32 v22, vcc_lo, 0x1000, v0
	v_add_co_ci_u32_e64 v23, null, 0, v1, vcc_lo
	s_waitcnt lgkmcnt(20)
	flat_store_short v[22:23], v51 offset:1536
	s_or_b32 exec_lo, exec_lo, s4
	s_and_saveexec_b32 s4, s17
	s_cbranch_execnz .LBB522_2444
.LBB522_2476:
	s_or_b32 exec_lo, exec_lo, s4
	s_and_saveexec_b32 s4, s18
	s_cbranch_execz .LBB522_2445
.LBB522_2477:
	v_add_co_u32 v22, vcc_lo, 0x1800, v0
	v_add_co_ci_u32_e64 v23, null, 0, v1, vcc_lo
	s_waitcnt lgkmcnt(18)
	flat_store_short v[22:23], v48 offset:512
	s_or_b32 exec_lo, exec_lo, s4
	s_and_saveexec_b32 s4, s19
	s_cbranch_execnz .LBB522_2446
.LBB522_2478:
	s_or_b32 exec_lo, exec_lo, s4
	s_and_saveexec_b32 s4, s20
	s_cbranch_execz .LBB522_2447
.LBB522_2479:
	v_add_co_u32 v22, vcc_lo, 0x1800, v0
	v_add_co_ci_u32_e64 v23, null, 0, v1, vcc_lo
	s_waitcnt lgkmcnt(16)
	flat_store_short v[22:23], v38 offset:1536
	s_or_b32 exec_lo, exec_lo, s4
	s_and_saveexec_b32 s4, s21
	s_cbranch_execnz .LBB522_2448
.LBB522_2480:
	s_or_b32 exec_lo, exec_lo, s4
	s_and_saveexec_b32 s4, s22
	s_cbranch_execz .LBB522_2449
.LBB522_2481:
	v_add_co_u32 v22, vcc_lo, 0x2000, v0
	v_add_co_ci_u32_e64 v23, null, 0, v1, vcc_lo
	s_waitcnt lgkmcnt(14)
	flat_store_short v[22:23], v21 offset:512
	s_or_b32 exec_lo, exec_lo, s4
	s_and_saveexec_b32 s4, s23
	s_cbranch_execnz .LBB522_2450
.LBB522_2482:
	s_or_b32 exec_lo, exec_lo, s4
	s_and_saveexec_b32 s4, s24
	s_cbranch_execz .LBB522_2451
.LBB522_2483:
	s_waitcnt lgkmcnt(13)
	v_add_co_u32 v20, vcc_lo, 0x2000, v0
	v_add_co_ci_u32_e64 v21, null, 0, v1, vcc_lo
	s_waitcnt lgkmcnt(12)
	flat_store_short v[20:21], v19 offset:1536
	s_or_b32 exec_lo, exec_lo, s4
	s_and_saveexec_b32 s4, s25
	s_cbranch_execnz .LBB522_2452
.LBB522_2484:
	s_or_b32 exec_lo, exec_lo, s4
	s_and_saveexec_b32 s4, s26
	s_cbranch_execz .LBB522_2453
.LBB522_2485:
	s_waitcnt lgkmcnt(11)
	v_add_co_u32 v18, vcc_lo, 0x2800, v0
	v_add_co_ci_u32_e64 v19, null, 0, v1, vcc_lo
	s_waitcnt lgkmcnt(10)
	flat_store_short v[18:19], v17 offset:512
	s_or_b32 exec_lo, exec_lo, s4
	s_and_saveexec_b32 s4, s27
	s_cbranch_execnz .LBB522_2454
.LBB522_2486:
	s_or_b32 exec_lo, exec_lo, s4
	s_and_saveexec_b32 s4, s28
	s_cbranch_execz .LBB522_2455
.LBB522_2487:
	s_waitcnt lgkmcnt(9)
	v_add_co_u32 v16, vcc_lo, 0x2800, v0
	v_add_co_ci_u32_e64 v17, null, 0, v1, vcc_lo
	s_waitcnt lgkmcnt(8)
	flat_store_short v[16:17], v15 offset:1536
	s_or_b32 exec_lo, exec_lo, s4
	s_and_saveexec_b32 s4, s29
	s_cbranch_execnz .LBB522_2456
.LBB522_2488:
	s_or_b32 exec_lo, exec_lo, s4
	s_and_saveexec_b32 s4, s40
	s_cbranch_execz .LBB522_2457
.LBB522_2489:
	s_waitcnt lgkmcnt(7)
	v_add_co_u32 v14, vcc_lo, 0x3000, v0
	v_add_co_ci_u32_e64 v15, null, 0, v1, vcc_lo
	s_waitcnt lgkmcnt(6)
	flat_store_short v[14:15], v13 offset:512
	s_or_b32 exec_lo, exec_lo, s4
	s_and_saveexec_b32 s4, s41
	s_cbranch_execnz .LBB522_2458
.LBB522_2490:
	s_or_b32 exec_lo, exec_lo, s4
	s_and_saveexec_b32 s4, s42
	s_cbranch_execz .LBB522_2459
.LBB522_2491:
	s_waitcnt lgkmcnt(5)
	v_add_co_u32 v12, vcc_lo, 0x3000, v0
	v_add_co_ci_u32_e64 v13, null, 0, v1, vcc_lo
	s_waitcnt lgkmcnt(4)
	flat_store_short v[12:13], v11 offset:1536
	s_or_b32 exec_lo, exec_lo, s4
	s_and_saveexec_b32 s4, s43
	s_cbranch_execnz .LBB522_2460
.LBB522_2492:
	s_or_b32 exec_lo, exec_lo, s4
	s_and_saveexec_b32 s4, s44
	s_cbranch_execz .LBB522_2461
.LBB522_2493:
	s_waitcnt lgkmcnt(3)
	v_add_co_u32 v10, vcc_lo, 0x3800, v0
	v_add_co_ci_u32_e64 v11, null, 0, v1, vcc_lo
	s_waitcnt lgkmcnt(2)
	flat_store_short v[10:11], v9 offset:512
	s_or_b32 exec_lo, exec_lo, s4
	s_and_saveexec_b32 s4, s45
	s_cbranch_execnz .LBB522_2462
	s_branch .LBB522_2463
.Lfunc_end522:
	.size	_ZN7rocprim17ROCPRIM_400000_NS6detail15block_sort_implIsNS0_10empty_typeELj256ELj32ELNS0_4arch9wavefront6targetE0EvE4sortIN6thrust23THRUST_200600_302600_NS6detail15normal_iteratorINSA_10device_ptrIsEEEESF_PS3_SG_11less_div_10IsEEEvjbT_T0_T1_T2_T3_RNS7_12storage_typeE, .Lfunc_end522-_ZN7rocprim17ROCPRIM_400000_NS6detail15block_sort_implIsNS0_10empty_typeELj256ELj32ELNS0_4arch9wavefront6targetE0EvE4sortIN6thrust23THRUST_200600_302600_NS6detail15normal_iteratorINSA_10device_ptrIsEEEESF_PS3_SG_11less_div_10IsEEEvjbT_T0_T1_T2_T3_RNS7_12storage_typeE
                                        ; -- End function
	.set .L_ZN7rocprim17ROCPRIM_400000_NS6detail15block_sort_implIsNS0_10empty_typeELj256ELj32ELNS0_4arch9wavefront6targetE0EvE4sortIN6thrust23THRUST_200600_302600_NS6detail15normal_iteratorINSA_10device_ptrIsEEEESF_PS3_SG_11less_div_10IsEEEvjbT_T0_T1_T2_T3_RNS7_12storage_typeE.num_vgpr, 248
	.set .L_ZN7rocprim17ROCPRIM_400000_NS6detail15block_sort_implIsNS0_10empty_typeELj256ELj32ELNS0_4arch9wavefront6targetE0EvE4sortIN6thrust23THRUST_200600_302600_NS6detail15normal_iteratorINSA_10device_ptrIsEEEESF_PS3_SG_11less_div_10IsEEEvjbT_T0_T1_T2_T3_RNS7_12storage_typeE.num_agpr, 0
	.set .L_ZN7rocprim17ROCPRIM_400000_NS6detail15block_sort_implIsNS0_10empty_typeELj256ELj32ELNS0_4arch9wavefront6targetE0EvE4sortIN6thrust23THRUST_200600_302600_NS6detail15normal_iteratorINSA_10device_ptrIsEEEESF_PS3_SG_11less_div_10IsEEEvjbT_T0_T1_T2_T3_RNS7_12storage_typeE.numbered_sgpr, 96
	.set .L_ZN7rocprim17ROCPRIM_400000_NS6detail15block_sort_implIsNS0_10empty_typeELj256ELj32ELNS0_4arch9wavefront6targetE0EvE4sortIN6thrust23THRUST_200600_302600_NS6detail15normal_iteratorINSA_10device_ptrIsEEEESF_PS3_SG_11less_div_10IsEEEvjbT_T0_T1_T2_T3_RNS7_12storage_typeE.num_named_barrier, 0
	.set .L_ZN7rocprim17ROCPRIM_400000_NS6detail15block_sort_implIsNS0_10empty_typeELj256ELj32ELNS0_4arch9wavefront6targetE0EvE4sortIN6thrust23THRUST_200600_302600_NS6detail15normal_iteratorINSA_10device_ptrIsEEEESF_PS3_SG_11less_div_10IsEEEvjbT_T0_T1_T2_T3_RNS7_12storage_typeE.private_seg_size, 132
	.set .L_ZN7rocprim17ROCPRIM_400000_NS6detail15block_sort_implIsNS0_10empty_typeELj256ELj32ELNS0_4arch9wavefront6targetE0EvE4sortIN6thrust23THRUST_200600_302600_NS6detail15normal_iteratorINSA_10device_ptrIsEEEESF_PS3_SG_11less_div_10IsEEEvjbT_T0_T1_T2_T3_RNS7_12storage_typeE.uses_vcc, 1
	.set .L_ZN7rocprim17ROCPRIM_400000_NS6detail15block_sort_implIsNS0_10empty_typeELj256ELj32ELNS0_4arch9wavefront6targetE0EvE4sortIN6thrust23THRUST_200600_302600_NS6detail15normal_iteratorINSA_10device_ptrIsEEEESF_PS3_SG_11less_div_10IsEEEvjbT_T0_T1_T2_T3_RNS7_12storage_typeE.uses_flat_scratch, 1
	.set .L_ZN7rocprim17ROCPRIM_400000_NS6detail15block_sort_implIsNS0_10empty_typeELj256ELj32ELNS0_4arch9wavefront6targetE0EvE4sortIN6thrust23THRUST_200600_302600_NS6detail15normal_iteratorINSA_10device_ptrIsEEEESF_PS3_SG_11less_div_10IsEEEvjbT_T0_T1_T2_T3_RNS7_12storage_typeE.has_dyn_sized_stack, 0
	.set .L_ZN7rocprim17ROCPRIM_400000_NS6detail15block_sort_implIsNS0_10empty_typeELj256ELj32ELNS0_4arch9wavefront6targetE0EvE4sortIN6thrust23THRUST_200600_302600_NS6detail15normal_iteratorINSA_10device_ptrIsEEEESF_PS3_SG_11less_div_10IsEEEvjbT_T0_T1_T2_T3_RNS7_12storage_typeE.has_recursion, 0
	.set .L_ZN7rocprim17ROCPRIM_400000_NS6detail15block_sort_implIsNS0_10empty_typeELj256ELj32ELNS0_4arch9wavefront6targetE0EvE4sortIN6thrust23THRUST_200600_302600_NS6detail15normal_iteratorINSA_10device_ptrIsEEEESF_PS3_SG_11less_div_10IsEEEvjbT_T0_T1_T2_T3_RNS7_12storage_typeE.has_indirect_call, 0
	.section	.AMDGPU.csdata,"",@progbits
; Function info:
; codeLenInByte = 164696
; TotalNumSgprs: 98
; NumVgprs: 248
; ScratchSize: 132
; MemoryBound: 0
	.section	.text._ZN7rocprim17ROCPRIM_400000_NS6detail17trampoline_kernelINS0_14default_configENS1_37merge_sort_block_sort_config_selectorIsNS0_10empty_typeEEEZNS1_21merge_sort_block_sortIS3_N6thrust23THRUST_200600_302600_NS6detail15normal_iteratorINS9_10device_ptrIsEEEESE_PS5_SF_11less_div_10IsEEE10hipError_tT0_T1_T2_T3_mRjT4_P12ihipStream_tbNS1_7vsmem_tEEUlT_E_NS1_11comp_targetILNS1_3genE8ELNS1_11target_archE1030ELNS1_3gpuE2ELNS1_3repE0EEENS1_30default_config_static_selectorELNS0_4arch9wavefront6targetE0EEEvSK_,"axG",@progbits,_ZN7rocprim17ROCPRIM_400000_NS6detail17trampoline_kernelINS0_14default_configENS1_37merge_sort_block_sort_config_selectorIsNS0_10empty_typeEEEZNS1_21merge_sort_block_sortIS3_N6thrust23THRUST_200600_302600_NS6detail15normal_iteratorINS9_10device_ptrIsEEEESE_PS5_SF_11less_div_10IsEEE10hipError_tT0_T1_T2_T3_mRjT4_P12ihipStream_tbNS1_7vsmem_tEEUlT_E_NS1_11comp_targetILNS1_3genE8ELNS1_11target_archE1030ELNS1_3gpuE2ELNS1_3repE0EEENS1_30default_config_static_selectorELNS0_4arch9wavefront6targetE0EEEvSK_,comdat
	.protected	_ZN7rocprim17ROCPRIM_400000_NS6detail17trampoline_kernelINS0_14default_configENS1_37merge_sort_block_sort_config_selectorIsNS0_10empty_typeEEEZNS1_21merge_sort_block_sortIS3_N6thrust23THRUST_200600_302600_NS6detail15normal_iteratorINS9_10device_ptrIsEEEESE_PS5_SF_11less_div_10IsEEE10hipError_tT0_T1_T2_T3_mRjT4_P12ihipStream_tbNS1_7vsmem_tEEUlT_E_NS1_11comp_targetILNS1_3genE8ELNS1_11target_archE1030ELNS1_3gpuE2ELNS1_3repE0EEENS1_30default_config_static_selectorELNS0_4arch9wavefront6targetE0EEEvSK_ ; -- Begin function _ZN7rocprim17ROCPRIM_400000_NS6detail17trampoline_kernelINS0_14default_configENS1_37merge_sort_block_sort_config_selectorIsNS0_10empty_typeEEEZNS1_21merge_sort_block_sortIS3_N6thrust23THRUST_200600_302600_NS6detail15normal_iteratorINS9_10device_ptrIsEEEESE_PS5_SF_11less_div_10IsEEE10hipError_tT0_T1_T2_T3_mRjT4_P12ihipStream_tbNS1_7vsmem_tEEUlT_E_NS1_11comp_targetILNS1_3genE8ELNS1_11target_archE1030ELNS1_3gpuE2ELNS1_3repE0EEENS1_30default_config_static_selectorELNS0_4arch9wavefront6targetE0EEEvSK_
	.globl	_ZN7rocprim17ROCPRIM_400000_NS6detail17trampoline_kernelINS0_14default_configENS1_37merge_sort_block_sort_config_selectorIsNS0_10empty_typeEEEZNS1_21merge_sort_block_sortIS3_N6thrust23THRUST_200600_302600_NS6detail15normal_iteratorINS9_10device_ptrIsEEEESE_PS5_SF_11less_div_10IsEEE10hipError_tT0_T1_T2_T3_mRjT4_P12ihipStream_tbNS1_7vsmem_tEEUlT_E_NS1_11comp_targetILNS1_3genE8ELNS1_11target_archE1030ELNS1_3gpuE2ELNS1_3repE0EEENS1_30default_config_static_selectorELNS0_4arch9wavefront6targetE0EEEvSK_
	.p2align	8
	.type	_ZN7rocprim17ROCPRIM_400000_NS6detail17trampoline_kernelINS0_14default_configENS1_37merge_sort_block_sort_config_selectorIsNS0_10empty_typeEEEZNS1_21merge_sort_block_sortIS3_N6thrust23THRUST_200600_302600_NS6detail15normal_iteratorINS9_10device_ptrIsEEEESE_PS5_SF_11less_div_10IsEEE10hipError_tT0_T1_T2_T3_mRjT4_P12ihipStream_tbNS1_7vsmem_tEEUlT_E_NS1_11comp_targetILNS1_3genE8ELNS1_11target_archE1030ELNS1_3gpuE2ELNS1_3repE0EEENS1_30default_config_static_selectorELNS0_4arch9wavefront6targetE0EEEvSK_,@function
_ZN7rocprim17ROCPRIM_400000_NS6detail17trampoline_kernelINS0_14default_configENS1_37merge_sort_block_sort_config_selectorIsNS0_10empty_typeEEEZNS1_21merge_sort_block_sortIS3_N6thrust23THRUST_200600_302600_NS6detail15normal_iteratorINS9_10device_ptrIsEEEESE_PS5_SF_11less_div_10IsEEE10hipError_tT0_T1_T2_T3_mRjT4_P12ihipStream_tbNS1_7vsmem_tEEUlT_E_NS1_11comp_targetILNS1_3genE8ELNS1_11target_archE1030ELNS1_3gpuE2ELNS1_3repE0EEENS1_30default_config_static_selectorELNS0_4arch9wavefront6targetE0EEEvSK_: ; @_ZN7rocprim17ROCPRIM_400000_NS6detail17trampoline_kernelINS0_14default_configENS1_37merge_sort_block_sort_config_selectorIsNS0_10empty_typeEEEZNS1_21merge_sort_block_sortIS3_N6thrust23THRUST_200600_302600_NS6detail15normal_iteratorINS9_10device_ptrIsEEEESE_PS5_SF_11less_div_10IsEEE10hipError_tT0_T1_T2_T3_mRjT4_P12ihipStream_tbNS1_7vsmem_tEEUlT_E_NS1_11comp_targetILNS1_3genE8ELNS1_11target_archE1030ELNS1_3gpuE2ELNS1_3repE0EEENS1_30default_config_static_selectorELNS0_4arch9wavefront6targetE0EEEvSK_
; %bb.0:
	s_add_u32 s0, s0, s9
	s_clause 0x1
	s_load_dwordx2 s[10:11], s[4:5], 0x40
	s_load_dword s9, s[4:5], 0x0
	s_addc_u32 s1, s1, 0
	s_mov_b32 s32, 0
	s_waitcnt lgkmcnt(0)
	s_mul_i32 s8, s11, s8
	s_add_i32 s8, s8, s7
	s_mul_i32 s8, s8, s10
	s_add_i32 s8, s8, s6
	s_cmp_ge_u32 s8, s9
	s_cbranch_scc1 .LBB523_2
; %bb.1:
	s_clause 0x1
	s_load_dwordx2 s[16:17], s[4:5], 0x8
	s_load_dwordx4 s[12:15], s[4:5], 0x18
	s_mov_b64 s[10:11], src_shared_base
	s_lshl_b32 s10, s8, 13
	s_mov_b32 s9, 0
	v_lshlrev_b32_e32 v2, 20, v2
	v_lshlrev_b32_e32 v1, 10, v1
	v_mov_b32_e32 v6, 0
	v_mov_b32_e32 v7, s11
	v_or3_b32 v31, v0, v1, v2
	s_waitcnt lgkmcnt(0)
	s_lshr_b64 s[18:19], s[16:17], 13
	s_sub_i32 s10, s16, s10
	s_cmp_eq_u64 s[18:19], s[8:9]
	v_mov_b32_e32 v0, s10
	s_cselect_b32 s16, -1, 0
	s_lshl_b64 s[8:9], s[8:9], 14
	v_cndmask_b32_e64 v1, 0, 1, s16
	s_add_u32 s12, s12, s8
	s_addc_u32 s13, s13, s9
	s_add_u32 s14, s14, s8
	s_addc_u32 s15, s15, s9
	v_mov_b32_e32 v2, s12
	v_mov_b32_e32 v3, s13
	;; [unrolled: 1-line block ×4, first 2 shown]
	s_add_u32 s8, s4, 64
	s_addc_u32 s9, s5, 0
	s_getpc_b64 s[4:5]
	s_add_u32 s4, s4, _ZN7rocprim17ROCPRIM_400000_NS6detail15block_sort_implIsNS0_10empty_typeELj256ELj32ELNS0_4arch9wavefront6targetE0EvE4sortIN6thrust23THRUST_200600_302600_NS6detail15normal_iteratorINSA_10device_ptrIsEEEESF_PS3_SG_11less_div_10IsEEEvjbT_T0_T1_T2_T3_RNS7_12storage_typeE@rel32@lo+4
	s_addc_u32 s5, s5, _ZN7rocprim17ROCPRIM_400000_NS6detail15block_sort_implIsNS0_10empty_typeELj256ELj32ELNS0_4arch9wavefront6targetE0EvE4sortIN6thrust23THRUST_200600_302600_NS6detail15normal_iteratorINSA_10device_ptrIsEEEESF_PS3_SG_11less_div_10IsEEEvjbT_T0_T1_T2_T3_RNS7_12storage_typeE@rel32@hi+12
	s_mov_b32 s12, s6
	s_mov_b32 s13, s7
	s_swappc_b64 s[30:31], s[4:5]
.LBB523_2:
	s_endpgm
	.section	.rodata,"a",@progbits
	.p2align	6, 0x0
	.amdhsa_kernel _ZN7rocprim17ROCPRIM_400000_NS6detail17trampoline_kernelINS0_14default_configENS1_37merge_sort_block_sort_config_selectorIsNS0_10empty_typeEEEZNS1_21merge_sort_block_sortIS3_N6thrust23THRUST_200600_302600_NS6detail15normal_iteratorINS9_10device_ptrIsEEEESE_PS5_SF_11less_div_10IsEEE10hipError_tT0_T1_T2_T3_mRjT4_P12ihipStream_tbNS1_7vsmem_tEEUlT_E_NS1_11comp_targetILNS1_3genE8ELNS1_11target_archE1030ELNS1_3gpuE2ELNS1_3repE0EEENS1_30default_config_static_selectorELNS0_4arch9wavefront6targetE0EEEvSK_
		.amdhsa_group_segment_fixed_size 16896
		.amdhsa_private_segment_fixed_size 132
		.amdhsa_kernarg_size 320
		.amdhsa_user_sgpr_count 6
		.amdhsa_user_sgpr_private_segment_buffer 1
		.amdhsa_user_sgpr_dispatch_ptr 0
		.amdhsa_user_sgpr_queue_ptr 0
		.amdhsa_user_sgpr_kernarg_segment_ptr 1
		.amdhsa_user_sgpr_dispatch_id 0
		.amdhsa_user_sgpr_flat_scratch_init 0
		.amdhsa_user_sgpr_private_segment_size 0
		.amdhsa_wavefront_size32 1
		.amdhsa_uses_dynamic_stack 0
		.amdhsa_system_sgpr_private_segment_wavefront_offset 1
		.amdhsa_system_sgpr_workgroup_id_x 1
		.amdhsa_system_sgpr_workgroup_id_y 1
		.amdhsa_system_sgpr_workgroup_id_z 1
		.amdhsa_system_sgpr_workgroup_info 0
		.amdhsa_system_vgpr_workitem_id 2
		.amdhsa_next_free_vgpr 248
		.amdhsa_next_free_sgpr 96
		.amdhsa_reserve_vcc 1
		.amdhsa_reserve_flat_scratch 1
		.amdhsa_float_round_mode_32 0
		.amdhsa_float_round_mode_16_64 0
		.amdhsa_float_denorm_mode_32 3
		.amdhsa_float_denorm_mode_16_64 3
		.amdhsa_dx10_clamp 1
		.amdhsa_ieee_mode 1
		.amdhsa_fp16_overflow 0
		.amdhsa_workgroup_processor_mode 1
		.amdhsa_memory_ordered 1
		.amdhsa_forward_progress 1
		.amdhsa_shared_vgpr_count 0
		.amdhsa_exception_fp_ieee_invalid_op 0
		.amdhsa_exception_fp_denorm_src 0
		.amdhsa_exception_fp_ieee_div_zero 0
		.amdhsa_exception_fp_ieee_overflow 0
		.amdhsa_exception_fp_ieee_underflow 0
		.amdhsa_exception_fp_ieee_inexact 0
		.amdhsa_exception_int_div_zero 0
	.end_amdhsa_kernel
	.section	.text._ZN7rocprim17ROCPRIM_400000_NS6detail17trampoline_kernelINS0_14default_configENS1_37merge_sort_block_sort_config_selectorIsNS0_10empty_typeEEEZNS1_21merge_sort_block_sortIS3_N6thrust23THRUST_200600_302600_NS6detail15normal_iteratorINS9_10device_ptrIsEEEESE_PS5_SF_11less_div_10IsEEE10hipError_tT0_T1_T2_T3_mRjT4_P12ihipStream_tbNS1_7vsmem_tEEUlT_E_NS1_11comp_targetILNS1_3genE8ELNS1_11target_archE1030ELNS1_3gpuE2ELNS1_3repE0EEENS1_30default_config_static_selectorELNS0_4arch9wavefront6targetE0EEEvSK_,"axG",@progbits,_ZN7rocprim17ROCPRIM_400000_NS6detail17trampoline_kernelINS0_14default_configENS1_37merge_sort_block_sort_config_selectorIsNS0_10empty_typeEEEZNS1_21merge_sort_block_sortIS3_N6thrust23THRUST_200600_302600_NS6detail15normal_iteratorINS9_10device_ptrIsEEEESE_PS5_SF_11less_div_10IsEEE10hipError_tT0_T1_T2_T3_mRjT4_P12ihipStream_tbNS1_7vsmem_tEEUlT_E_NS1_11comp_targetILNS1_3genE8ELNS1_11target_archE1030ELNS1_3gpuE2ELNS1_3repE0EEENS1_30default_config_static_selectorELNS0_4arch9wavefront6targetE0EEEvSK_,comdat
.Lfunc_end523:
	.size	_ZN7rocprim17ROCPRIM_400000_NS6detail17trampoline_kernelINS0_14default_configENS1_37merge_sort_block_sort_config_selectorIsNS0_10empty_typeEEEZNS1_21merge_sort_block_sortIS3_N6thrust23THRUST_200600_302600_NS6detail15normal_iteratorINS9_10device_ptrIsEEEESE_PS5_SF_11less_div_10IsEEE10hipError_tT0_T1_T2_T3_mRjT4_P12ihipStream_tbNS1_7vsmem_tEEUlT_E_NS1_11comp_targetILNS1_3genE8ELNS1_11target_archE1030ELNS1_3gpuE2ELNS1_3repE0EEENS1_30default_config_static_selectorELNS0_4arch9wavefront6targetE0EEEvSK_, .Lfunc_end523-_ZN7rocprim17ROCPRIM_400000_NS6detail17trampoline_kernelINS0_14default_configENS1_37merge_sort_block_sort_config_selectorIsNS0_10empty_typeEEEZNS1_21merge_sort_block_sortIS3_N6thrust23THRUST_200600_302600_NS6detail15normal_iteratorINS9_10device_ptrIsEEEESE_PS5_SF_11less_div_10IsEEE10hipError_tT0_T1_T2_T3_mRjT4_P12ihipStream_tbNS1_7vsmem_tEEUlT_E_NS1_11comp_targetILNS1_3genE8ELNS1_11target_archE1030ELNS1_3gpuE2ELNS1_3repE0EEENS1_30default_config_static_selectorELNS0_4arch9wavefront6targetE0EEEvSK_
                                        ; -- End function
	.set _ZN7rocprim17ROCPRIM_400000_NS6detail17trampoline_kernelINS0_14default_configENS1_37merge_sort_block_sort_config_selectorIsNS0_10empty_typeEEEZNS1_21merge_sort_block_sortIS3_N6thrust23THRUST_200600_302600_NS6detail15normal_iteratorINS9_10device_ptrIsEEEESE_PS5_SF_11less_div_10IsEEE10hipError_tT0_T1_T2_T3_mRjT4_P12ihipStream_tbNS1_7vsmem_tEEUlT_E_NS1_11comp_targetILNS1_3genE8ELNS1_11target_archE1030ELNS1_3gpuE2ELNS1_3repE0EEENS1_30default_config_static_selectorELNS0_4arch9wavefront6targetE0EEEvSK_.num_vgpr, max(32, .L_ZN7rocprim17ROCPRIM_400000_NS6detail15block_sort_implIsNS0_10empty_typeELj256ELj32ELNS0_4arch9wavefront6targetE0EvE4sortIN6thrust23THRUST_200600_302600_NS6detail15normal_iteratorINSA_10device_ptrIsEEEESF_PS3_SG_11less_div_10IsEEEvjbT_T0_T1_T2_T3_RNS7_12storage_typeE.num_vgpr)
	.set _ZN7rocprim17ROCPRIM_400000_NS6detail17trampoline_kernelINS0_14default_configENS1_37merge_sort_block_sort_config_selectorIsNS0_10empty_typeEEEZNS1_21merge_sort_block_sortIS3_N6thrust23THRUST_200600_302600_NS6detail15normal_iteratorINS9_10device_ptrIsEEEESE_PS5_SF_11less_div_10IsEEE10hipError_tT0_T1_T2_T3_mRjT4_P12ihipStream_tbNS1_7vsmem_tEEUlT_E_NS1_11comp_targetILNS1_3genE8ELNS1_11target_archE1030ELNS1_3gpuE2ELNS1_3repE0EEENS1_30default_config_static_selectorELNS0_4arch9wavefront6targetE0EEEvSK_.num_agpr, max(0, .L_ZN7rocprim17ROCPRIM_400000_NS6detail15block_sort_implIsNS0_10empty_typeELj256ELj32ELNS0_4arch9wavefront6targetE0EvE4sortIN6thrust23THRUST_200600_302600_NS6detail15normal_iteratorINSA_10device_ptrIsEEEESF_PS3_SG_11less_div_10IsEEEvjbT_T0_T1_T2_T3_RNS7_12storage_typeE.num_agpr)
	.set _ZN7rocprim17ROCPRIM_400000_NS6detail17trampoline_kernelINS0_14default_configENS1_37merge_sort_block_sort_config_selectorIsNS0_10empty_typeEEEZNS1_21merge_sort_block_sortIS3_N6thrust23THRUST_200600_302600_NS6detail15normal_iteratorINS9_10device_ptrIsEEEESE_PS5_SF_11less_div_10IsEEE10hipError_tT0_T1_T2_T3_mRjT4_P12ihipStream_tbNS1_7vsmem_tEEUlT_E_NS1_11comp_targetILNS1_3genE8ELNS1_11target_archE1030ELNS1_3gpuE2ELNS1_3repE0EEENS1_30default_config_static_selectorELNS0_4arch9wavefront6targetE0EEEvSK_.numbered_sgpr, max(33, .L_ZN7rocprim17ROCPRIM_400000_NS6detail15block_sort_implIsNS0_10empty_typeELj256ELj32ELNS0_4arch9wavefront6targetE0EvE4sortIN6thrust23THRUST_200600_302600_NS6detail15normal_iteratorINSA_10device_ptrIsEEEESF_PS3_SG_11less_div_10IsEEEvjbT_T0_T1_T2_T3_RNS7_12storage_typeE.numbered_sgpr)
	.set _ZN7rocprim17ROCPRIM_400000_NS6detail17trampoline_kernelINS0_14default_configENS1_37merge_sort_block_sort_config_selectorIsNS0_10empty_typeEEEZNS1_21merge_sort_block_sortIS3_N6thrust23THRUST_200600_302600_NS6detail15normal_iteratorINS9_10device_ptrIsEEEESE_PS5_SF_11less_div_10IsEEE10hipError_tT0_T1_T2_T3_mRjT4_P12ihipStream_tbNS1_7vsmem_tEEUlT_E_NS1_11comp_targetILNS1_3genE8ELNS1_11target_archE1030ELNS1_3gpuE2ELNS1_3repE0EEENS1_30default_config_static_selectorELNS0_4arch9wavefront6targetE0EEEvSK_.num_named_barrier, max(0, .L_ZN7rocprim17ROCPRIM_400000_NS6detail15block_sort_implIsNS0_10empty_typeELj256ELj32ELNS0_4arch9wavefront6targetE0EvE4sortIN6thrust23THRUST_200600_302600_NS6detail15normal_iteratorINSA_10device_ptrIsEEEESF_PS3_SG_11less_div_10IsEEEvjbT_T0_T1_T2_T3_RNS7_12storage_typeE.num_named_barrier)
	.set _ZN7rocprim17ROCPRIM_400000_NS6detail17trampoline_kernelINS0_14default_configENS1_37merge_sort_block_sort_config_selectorIsNS0_10empty_typeEEEZNS1_21merge_sort_block_sortIS3_N6thrust23THRUST_200600_302600_NS6detail15normal_iteratorINS9_10device_ptrIsEEEESE_PS5_SF_11less_div_10IsEEE10hipError_tT0_T1_T2_T3_mRjT4_P12ihipStream_tbNS1_7vsmem_tEEUlT_E_NS1_11comp_targetILNS1_3genE8ELNS1_11target_archE1030ELNS1_3gpuE2ELNS1_3repE0EEENS1_30default_config_static_selectorELNS0_4arch9wavefront6targetE0EEEvSK_.private_seg_size, 0+max(.L_ZN7rocprim17ROCPRIM_400000_NS6detail15block_sort_implIsNS0_10empty_typeELj256ELj32ELNS0_4arch9wavefront6targetE0EvE4sortIN6thrust23THRUST_200600_302600_NS6detail15normal_iteratorINSA_10device_ptrIsEEEESF_PS3_SG_11less_div_10IsEEEvjbT_T0_T1_T2_T3_RNS7_12storage_typeE.private_seg_size)
	.set _ZN7rocprim17ROCPRIM_400000_NS6detail17trampoline_kernelINS0_14default_configENS1_37merge_sort_block_sort_config_selectorIsNS0_10empty_typeEEEZNS1_21merge_sort_block_sortIS3_N6thrust23THRUST_200600_302600_NS6detail15normal_iteratorINS9_10device_ptrIsEEEESE_PS5_SF_11less_div_10IsEEE10hipError_tT0_T1_T2_T3_mRjT4_P12ihipStream_tbNS1_7vsmem_tEEUlT_E_NS1_11comp_targetILNS1_3genE8ELNS1_11target_archE1030ELNS1_3gpuE2ELNS1_3repE0EEENS1_30default_config_static_selectorELNS0_4arch9wavefront6targetE0EEEvSK_.uses_vcc, or(1, .L_ZN7rocprim17ROCPRIM_400000_NS6detail15block_sort_implIsNS0_10empty_typeELj256ELj32ELNS0_4arch9wavefront6targetE0EvE4sortIN6thrust23THRUST_200600_302600_NS6detail15normal_iteratorINSA_10device_ptrIsEEEESF_PS3_SG_11less_div_10IsEEEvjbT_T0_T1_T2_T3_RNS7_12storage_typeE.uses_vcc)
	.set _ZN7rocprim17ROCPRIM_400000_NS6detail17trampoline_kernelINS0_14default_configENS1_37merge_sort_block_sort_config_selectorIsNS0_10empty_typeEEEZNS1_21merge_sort_block_sortIS3_N6thrust23THRUST_200600_302600_NS6detail15normal_iteratorINS9_10device_ptrIsEEEESE_PS5_SF_11less_div_10IsEEE10hipError_tT0_T1_T2_T3_mRjT4_P12ihipStream_tbNS1_7vsmem_tEEUlT_E_NS1_11comp_targetILNS1_3genE8ELNS1_11target_archE1030ELNS1_3gpuE2ELNS1_3repE0EEENS1_30default_config_static_selectorELNS0_4arch9wavefront6targetE0EEEvSK_.uses_flat_scratch, or(0, .L_ZN7rocprim17ROCPRIM_400000_NS6detail15block_sort_implIsNS0_10empty_typeELj256ELj32ELNS0_4arch9wavefront6targetE0EvE4sortIN6thrust23THRUST_200600_302600_NS6detail15normal_iteratorINSA_10device_ptrIsEEEESF_PS3_SG_11less_div_10IsEEEvjbT_T0_T1_T2_T3_RNS7_12storage_typeE.uses_flat_scratch)
	.set _ZN7rocprim17ROCPRIM_400000_NS6detail17trampoline_kernelINS0_14default_configENS1_37merge_sort_block_sort_config_selectorIsNS0_10empty_typeEEEZNS1_21merge_sort_block_sortIS3_N6thrust23THRUST_200600_302600_NS6detail15normal_iteratorINS9_10device_ptrIsEEEESE_PS5_SF_11less_div_10IsEEE10hipError_tT0_T1_T2_T3_mRjT4_P12ihipStream_tbNS1_7vsmem_tEEUlT_E_NS1_11comp_targetILNS1_3genE8ELNS1_11target_archE1030ELNS1_3gpuE2ELNS1_3repE0EEENS1_30default_config_static_selectorELNS0_4arch9wavefront6targetE0EEEvSK_.has_dyn_sized_stack, or(0, .L_ZN7rocprim17ROCPRIM_400000_NS6detail15block_sort_implIsNS0_10empty_typeELj256ELj32ELNS0_4arch9wavefront6targetE0EvE4sortIN6thrust23THRUST_200600_302600_NS6detail15normal_iteratorINSA_10device_ptrIsEEEESF_PS3_SG_11less_div_10IsEEEvjbT_T0_T1_T2_T3_RNS7_12storage_typeE.has_dyn_sized_stack)
	.set _ZN7rocprim17ROCPRIM_400000_NS6detail17trampoline_kernelINS0_14default_configENS1_37merge_sort_block_sort_config_selectorIsNS0_10empty_typeEEEZNS1_21merge_sort_block_sortIS3_N6thrust23THRUST_200600_302600_NS6detail15normal_iteratorINS9_10device_ptrIsEEEESE_PS5_SF_11less_div_10IsEEE10hipError_tT0_T1_T2_T3_mRjT4_P12ihipStream_tbNS1_7vsmem_tEEUlT_E_NS1_11comp_targetILNS1_3genE8ELNS1_11target_archE1030ELNS1_3gpuE2ELNS1_3repE0EEENS1_30default_config_static_selectorELNS0_4arch9wavefront6targetE0EEEvSK_.has_recursion, or(0, .L_ZN7rocprim17ROCPRIM_400000_NS6detail15block_sort_implIsNS0_10empty_typeELj256ELj32ELNS0_4arch9wavefront6targetE0EvE4sortIN6thrust23THRUST_200600_302600_NS6detail15normal_iteratorINSA_10device_ptrIsEEEESF_PS3_SG_11less_div_10IsEEEvjbT_T0_T1_T2_T3_RNS7_12storage_typeE.has_recursion)
	.set _ZN7rocprim17ROCPRIM_400000_NS6detail17trampoline_kernelINS0_14default_configENS1_37merge_sort_block_sort_config_selectorIsNS0_10empty_typeEEEZNS1_21merge_sort_block_sortIS3_N6thrust23THRUST_200600_302600_NS6detail15normal_iteratorINS9_10device_ptrIsEEEESE_PS5_SF_11less_div_10IsEEE10hipError_tT0_T1_T2_T3_mRjT4_P12ihipStream_tbNS1_7vsmem_tEEUlT_E_NS1_11comp_targetILNS1_3genE8ELNS1_11target_archE1030ELNS1_3gpuE2ELNS1_3repE0EEENS1_30default_config_static_selectorELNS0_4arch9wavefront6targetE0EEEvSK_.has_indirect_call, or(0, .L_ZN7rocprim17ROCPRIM_400000_NS6detail15block_sort_implIsNS0_10empty_typeELj256ELj32ELNS0_4arch9wavefront6targetE0EvE4sortIN6thrust23THRUST_200600_302600_NS6detail15normal_iteratorINSA_10device_ptrIsEEEESF_PS3_SG_11less_div_10IsEEEvjbT_T0_T1_T2_T3_RNS7_12storage_typeE.has_indirect_call)
	.section	.AMDGPU.csdata,"",@progbits
; Kernel info:
; codeLenInByte = 228
; TotalNumSgprs: 98
; NumVgprs: 248
; ScratchSize: 132
; MemoryBound: 0
; FloatMode: 240
; IeeeMode: 1
; LDSByteSize: 16896 bytes/workgroup (compile time only)
; SGPRBlocks: 0
; VGPRBlocks: 30
; NumSGPRsForWavesPerEU: 98
; NumVGPRsForWavesPerEU: 248
; Occupancy: 4
; WaveLimiterHint : 1
; COMPUTE_PGM_RSRC2:SCRATCH_EN: 1
; COMPUTE_PGM_RSRC2:USER_SGPR: 6
; COMPUTE_PGM_RSRC2:TRAP_HANDLER: 0
; COMPUTE_PGM_RSRC2:TGID_X_EN: 1
; COMPUTE_PGM_RSRC2:TGID_Y_EN: 1
; COMPUTE_PGM_RSRC2:TGID_Z_EN: 1
; COMPUTE_PGM_RSRC2:TIDIG_COMP_CNT: 2
	.section	.text._ZN7rocprim17ROCPRIM_400000_NS6detail17trampoline_kernelINS0_14default_configENS1_38merge_sort_block_merge_config_selectorIsNS0_10empty_typeEEEZZNS1_27merge_sort_block_merge_implIS3_N6thrust23THRUST_200600_302600_NS6detail15normal_iteratorINS9_10device_ptrIsEEEEPS5_m11less_div_10IsEEE10hipError_tT0_T1_T2_jT3_P12ihipStream_tbPNSt15iterator_traitsISJ_E10value_typeEPNSP_ISK_E10value_typeEPSL_NS1_7vsmem_tEENKUlT_SJ_SK_SL_E_clIPsSE_SF_SF_EESI_SY_SJ_SK_SL_EUlSY_E_NS1_11comp_targetILNS1_3genE0ELNS1_11target_archE4294967295ELNS1_3gpuE0ELNS1_3repE0EEENS1_48merge_mergepath_partition_config_static_selectorELNS0_4arch9wavefront6targetE0EEEvSK_,"axG",@progbits,_ZN7rocprim17ROCPRIM_400000_NS6detail17trampoline_kernelINS0_14default_configENS1_38merge_sort_block_merge_config_selectorIsNS0_10empty_typeEEEZZNS1_27merge_sort_block_merge_implIS3_N6thrust23THRUST_200600_302600_NS6detail15normal_iteratorINS9_10device_ptrIsEEEEPS5_m11less_div_10IsEEE10hipError_tT0_T1_T2_jT3_P12ihipStream_tbPNSt15iterator_traitsISJ_E10value_typeEPNSP_ISK_E10value_typeEPSL_NS1_7vsmem_tEENKUlT_SJ_SK_SL_E_clIPsSE_SF_SF_EESI_SY_SJ_SK_SL_EUlSY_E_NS1_11comp_targetILNS1_3genE0ELNS1_11target_archE4294967295ELNS1_3gpuE0ELNS1_3repE0EEENS1_48merge_mergepath_partition_config_static_selectorELNS0_4arch9wavefront6targetE0EEEvSK_,comdat
	.protected	_ZN7rocprim17ROCPRIM_400000_NS6detail17trampoline_kernelINS0_14default_configENS1_38merge_sort_block_merge_config_selectorIsNS0_10empty_typeEEEZZNS1_27merge_sort_block_merge_implIS3_N6thrust23THRUST_200600_302600_NS6detail15normal_iteratorINS9_10device_ptrIsEEEEPS5_m11less_div_10IsEEE10hipError_tT0_T1_T2_jT3_P12ihipStream_tbPNSt15iterator_traitsISJ_E10value_typeEPNSP_ISK_E10value_typeEPSL_NS1_7vsmem_tEENKUlT_SJ_SK_SL_E_clIPsSE_SF_SF_EESI_SY_SJ_SK_SL_EUlSY_E_NS1_11comp_targetILNS1_3genE0ELNS1_11target_archE4294967295ELNS1_3gpuE0ELNS1_3repE0EEENS1_48merge_mergepath_partition_config_static_selectorELNS0_4arch9wavefront6targetE0EEEvSK_ ; -- Begin function _ZN7rocprim17ROCPRIM_400000_NS6detail17trampoline_kernelINS0_14default_configENS1_38merge_sort_block_merge_config_selectorIsNS0_10empty_typeEEEZZNS1_27merge_sort_block_merge_implIS3_N6thrust23THRUST_200600_302600_NS6detail15normal_iteratorINS9_10device_ptrIsEEEEPS5_m11less_div_10IsEEE10hipError_tT0_T1_T2_jT3_P12ihipStream_tbPNSt15iterator_traitsISJ_E10value_typeEPNSP_ISK_E10value_typeEPSL_NS1_7vsmem_tEENKUlT_SJ_SK_SL_E_clIPsSE_SF_SF_EESI_SY_SJ_SK_SL_EUlSY_E_NS1_11comp_targetILNS1_3genE0ELNS1_11target_archE4294967295ELNS1_3gpuE0ELNS1_3repE0EEENS1_48merge_mergepath_partition_config_static_selectorELNS0_4arch9wavefront6targetE0EEEvSK_
	.globl	_ZN7rocprim17ROCPRIM_400000_NS6detail17trampoline_kernelINS0_14default_configENS1_38merge_sort_block_merge_config_selectorIsNS0_10empty_typeEEEZZNS1_27merge_sort_block_merge_implIS3_N6thrust23THRUST_200600_302600_NS6detail15normal_iteratorINS9_10device_ptrIsEEEEPS5_m11less_div_10IsEEE10hipError_tT0_T1_T2_jT3_P12ihipStream_tbPNSt15iterator_traitsISJ_E10value_typeEPNSP_ISK_E10value_typeEPSL_NS1_7vsmem_tEENKUlT_SJ_SK_SL_E_clIPsSE_SF_SF_EESI_SY_SJ_SK_SL_EUlSY_E_NS1_11comp_targetILNS1_3genE0ELNS1_11target_archE4294967295ELNS1_3gpuE0ELNS1_3repE0EEENS1_48merge_mergepath_partition_config_static_selectorELNS0_4arch9wavefront6targetE0EEEvSK_
	.p2align	8
	.type	_ZN7rocprim17ROCPRIM_400000_NS6detail17trampoline_kernelINS0_14default_configENS1_38merge_sort_block_merge_config_selectorIsNS0_10empty_typeEEEZZNS1_27merge_sort_block_merge_implIS3_N6thrust23THRUST_200600_302600_NS6detail15normal_iteratorINS9_10device_ptrIsEEEEPS5_m11less_div_10IsEEE10hipError_tT0_T1_T2_jT3_P12ihipStream_tbPNSt15iterator_traitsISJ_E10value_typeEPNSP_ISK_E10value_typeEPSL_NS1_7vsmem_tEENKUlT_SJ_SK_SL_E_clIPsSE_SF_SF_EESI_SY_SJ_SK_SL_EUlSY_E_NS1_11comp_targetILNS1_3genE0ELNS1_11target_archE4294967295ELNS1_3gpuE0ELNS1_3repE0EEENS1_48merge_mergepath_partition_config_static_selectorELNS0_4arch9wavefront6targetE0EEEvSK_,@function
_ZN7rocprim17ROCPRIM_400000_NS6detail17trampoline_kernelINS0_14default_configENS1_38merge_sort_block_merge_config_selectorIsNS0_10empty_typeEEEZZNS1_27merge_sort_block_merge_implIS3_N6thrust23THRUST_200600_302600_NS6detail15normal_iteratorINS9_10device_ptrIsEEEEPS5_m11less_div_10IsEEE10hipError_tT0_T1_T2_jT3_P12ihipStream_tbPNSt15iterator_traitsISJ_E10value_typeEPNSP_ISK_E10value_typeEPSL_NS1_7vsmem_tEENKUlT_SJ_SK_SL_E_clIPsSE_SF_SF_EESI_SY_SJ_SK_SL_EUlSY_E_NS1_11comp_targetILNS1_3genE0ELNS1_11target_archE4294967295ELNS1_3gpuE0ELNS1_3repE0EEENS1_48merge_mergepath_partition_config_static_selectorELNS0_4arch9wavefront6targetE0EEEvSK_: ; @_ZN7rocprim17ROCPRIM_400000_NS6detail17trampoline_kernelINS0_14default_configENS1_38merge_sort_block_merge_config_selectorIsNS0_10empty_typeEEEZZNS1_27merge_sort_block_merge_implIS3_N6thrust23THRUST_200600_302600_NS6detail15normal_iteratorINS9_10device_ptrIsEEEEPS5_m11less_div_10IsEEE10hipError_tT0_T1_T2_jT3_P12ihipStream_tbPNSt15iterator_traitsISJ_E10value_typeEPNSP_ISK_E10value_typeEPSL_NS1_7vsmem_tEENKUlT_SJ_SK_SL_E_clIPsSE_SF_SF_EESI_SY_SJ_SK_SL_EUlSY_E_NS1_11comp_targetILNS1_3genE0ELNS1_11target_archE4294967295ELNS1_3gpuE0ELNS1_3repE0EEENS1_48merge_mergepath_partition_config_static_selectorELNS0_4arch9wavefront6targetE0EEEvSK_
; %bb.0:
	.section	.rodata,"a",@progbits
	.p2align	6, 0x0
	.amdhsa_kernel _ZN7rocprim17ROCPRIM_400000_NS6detail17trampoline_kernelINS0_14default_configENS1_38merge_sort_block_merge_config_selectorIsNS0_10empty_typeEEEZZNS1_27merge_sort_block_merge_implIS3_N6thrust23THRUST_200600_302600_NS6detail15normal_iteratorINS9_10device_ptrIsEEEEPS5_m11less_div_10IsEEE10hipError_tT0_T1_T2_jT3_P12ihipStream_tbPNSt15iterator_traitsISJ_E10value_typeEPNSP_ISK_E10value_typeEPSL_NS1_7vsmem_tEENKUlT_SJ_SK_SL_E_clIPsSE_SF_SF_EESI_SY_SJ_SK_SL_EUlSY_E_NS1_11comp_targetILNS1_3genE0ELNS1_11target_archE4294967295ELNS1_3gpuE0ELNS1_3repE0EEENS1_48merge_mergepath_partition_config_static_selectorELNS0_4arch9wavefront6targetE0EEEvSK_
		.amdhsa_group_segment_fixed_size 0
		.amdhsa_private_segment_fixed_size 0
		.amdhsa_kernarg_size 48
		.amdhsa_user_sgpr_count 6
		.amdhsa_user_sgpr_private_segment_buffer 1
		.amdhsa_user_sgpr_dispatch_ptr 0
		.amdhsa_user_sgpr_queue_ptr 0
		.amdhsa_user_sgpr_kernarg_segment_ptr 1
		.amdhsa_user_sgpr_dispatch_id 0
		.amdhsa_user_sgpr_flat_scratch_init 0
		.amdhsa_user_sgpr_private_segment_size 0
		.amdhsa_wavefront_size32 1
		.amdhsa_uses_dynamic_stack 0
		.amdhsa_system_sgpr_private_segment_wavefront_offset 0
		.amdhsa_system_sgpr_workgroup_id_x 1
		.amdhsa_system_sgpr_workgroup_id_y 0
		.amdhsa_system_sgpr_workgroup_id_z 0
		.amdhsa_system_sgpr_workgroup_info 0
		.amdhsa_system_vgpr_workitem_id 0
		.amdhsa_next_free_vgpr 1
		.amdhsa_next_free_sgpr 1
		.amdhsa_reserve_vcc 0
		.amdhsa_reserve_flat_scratch 0
		.amdhsa_float_round_mode_32 0
		.amdhsa_float_round_mode_16_64 0
		.amdhsa_float_denorm_mode_32 3
		.amdhsa_float_denorm_mode_16_64 3
		.amdhsa_dx10_clamp 1
		.amdhsa_ieee_mode 1
		.amdhsa_fp16_overflow 0
		.amdhsa_workgroup_processor_mode 1
		.amdhsa_memory_ordered 1
		.amdhsa_forward_progress 1
		.amdhsa_shared_vgpr_count 0
		.amdhsa_exception_fp_ieee_invalid_op 0
		.amdhsa_exception_fp_denorm_src 0
		.amdhsa_exception_fp_ieee_div_zero 0
		.amdhsa_exception_fp_ieee_overflow 0
		.amdhsa_exception_fp_ieee_underflow 0
		.amdhsa_exception_fp_ieee_inexact 0
		.amdhsa_exception_int_div_zero 0
	.end_amdhsa_kernel
	.section	.text._ZN7rocprim17ROCPRIM_400000_NS6detail17trampoline_kernelINS0_14default_configENS1_38merge_sort_block_merge_config_selectorIsNS0_10empty_typeEEEZZNS1_27merge_sort_block_merge_implIS3_N6thrust23THRUST_200600_302600_NS6detail15normal_iteratorINS9_10device_ptrIsEEEEPS5_m11less_div_10IsEEE10hipError_tT0_T1_T2_jT3_P12ihipStream_tbPNSt15iterator_traitsISJ_E10value_typeEPNSP_ISK_E10value_typeEPSL_NS1_7vsmem_tEENKUlT_SJ_SK_SL_E_clIPsSE_SF_SF_EESI_SY_SJ_SK_SL_EUlSY_E_NS1_11comp_targetILNS1_3genE0ELNS1_11target_archE4294967295ELNS1_3gpuE0ELNS1_3repE0EEENS1_48merge_mergepath_partition_config_static_selectorELNS0_4arch9wavefront6targetE0EEEvSK_,"axG",@progbits,_ZN7rocprim17ROCPRIM_400000_NS6detail17trampoline_kernelINS0_14default_configENS1_38merge_sort_block_merge_config_selectorIsNS0_10empty_typeEEEZZNS1_27merge_sort_block_merge_implIS3_N6thrust23THRUST_200600_302600_NS6detail15normal_iteratorINS9_10device_ptrIsEEEEPS5_m11less_div_10IsEEE10hipError_tT0_T1_T2_jT3_P12ihipStream_tbPNSt15iterator_traitsISJ_E10value_typeEPNSP_ISK_E10value_typeEPSL_NS1_7vsmem_tEENKUlT_SJ_SK_SL_E_clIPsSE_SF_SF_EESI_SY_SJ_SK_SL_EUlSY_E_NS1_11comp_targetILNS1_3genE0ELNS1_11target_archE4294967295ELNS1_3gpuE0ELNS1_3repE0EEENS1_48merge_mergepath_partition_config_static_selectorELNS0_4arch9wavefront6targetE0EEEvSK_,comdat
.Lfunc_end524:
	.size	_ZN7rocprim17ROCPRIM_400000_NS6detail17trampoline_kernelINS0_14default_configENS1_38merge_sort_block_merge_config_selectorIsNS0_10empty_typeEEEZZNS1_27merge_sort_block_merge_implIS3_N6thrust23THRUST_200600_302600_NS6detail15normal_iteratorINS9_10device_ptrIsEEEEPS5_m11less_div_10IsEEE10hipError_tT0_T1_T2_jT3_P12ihipStream_tbPNSt15iterator_traitsISJ_E10value_typeEPNSP_ISK_E10value_typeEPSL_NS1_7vsmem_tEENKUlT_SJ_SK_SL_E_clIPsSE_SF_SF_EESI_SY_SJ_SK_SL_EUlSY_E_NS1_11comp_targetILNS1_3genE0ELNS1_11target_archE4294967295ELNS1_3gpuE0ELNS1_3repE0EEENS1_48merge_mergepath_partition_config_static_selectorELNS0_4arch9wavefront6targetE0EEEvSK_, .Lfunc_end524-_ZN7rocprim17ROCPRIM_400000_NS6detail17trampoline_kernelINS0_14default_configENS1_38merge_sort_block_merge_config_selectorIsNS0_10empty_typeEEEZZNS1_27merge_sort_block_merge_implIS3_N6thrust23THRUST_200600_302600_NS6detail15normal_iteratorINS9_10device_ptrIsEEEEPS5_m11less_div_10IsEEE10hipError_tT0_T1_T2_jT3_P12ihipStream_tbPNSt15iterator_traitsISJ_E10value_typeEPNSP_ISK_E10value_typeEPSL_NS1_7vsmem_tEENKUlT_SJ_SK_SL_E_clIPsSE_SF_SF_EESI_SY_SJ_SK_SL_EUlSY_E_NS1_11comp_targetILNS1_3genE0ELNS1_11target_archE4294967295ELNS1_3gpuE0ELNS1_3repE0EEENS1_48merge_mergepath_partition_config_static_selectorELNS0_4arch9wavefront6targetE0EEEvSK_
                                        ; -- End function
	.set _ZN7rocprim17ROCPRIM_400000_NS6detail17trampoline_kernelINS0_14default_configENS1_38merge_sort_block_merge_config_selectorIsNS0_10empty_typeEEEZZNS1_27merge_sort_block_merge_implIS3_N6thrust23THRUST_200600_302600_NS6detail15normal_iteratorINS9_10device_ptrIsEEEEPS5_m11less_div_10IsEEE10hipError_tT0_T1_T2_jT3_P12ihipStream_tbPNSt15iterator_traitsISJ_E10value_typeEPNSP_ISK_E10value_typeEPSL_NS1_7vsmem_tEENKUlT_SJ_SK_SL_E_clIPsSE_SF_SF_EESI_SY_SJ_SK_SL_EUlSY_E_NS1_11comp_targetILNS1_3genE0ELNS1_11target_archE4294967295ELNS1_3gpuE0ELNS1_3repE0EEENS1_48merge_mergepath_partition_config_static_selectorELNS0_4arch9wavefront6targetE0EEEvSK_.num_vgpr, 0
	.set _ZN7rocprim17ROCPRIM_400000_NS6detail17trampoline_kernelINS0_14default_configENS1_38merge_sort_block_merge_config_selectorIsNS0_10empty_typeEEEZZNS1_27merge_sort_block_merge_implIS3_N6thrust23THRUST_200600_302600_NS6detail15normal_iteratorINS9_10device_ptrIsEEEEPS5_m11less_div_10IsEEE10hipError_tT0_T1_T2_jT3_P12ihipStream_tbPNSt15iterator_traitsISJ_E10value_typeEPNSP_ISK_E10value_typeEPSL_NS1_7vsmem_tEENKUlT_SJ_SK_SL_E_clIPsSE_SF_SF_EESI_SY_SJ_SK_SL_EUlSY_E_NS1_11comp_targetILNS1_3genE0ELNS1_11target_archE4294967295ELNS1_3gpuE0ELNS1_3repE0EEENS1_48merge_mergepath_partition_config_static_selectorELNS0_4arch9wavefront6targetE0EEEvSK_.num_agpr, 0
	.set _ZN7rocprim17ROCPRIM_400000_NS6detail17trampoline_kernelINS0_14default_configENS1_38merge_sort_block_merge_config_selectorIsNS0_10empty_typeEEEZZNS1_27merge_sort_block_merge_implIS3_N6thrust23THRUST_200600_302600_NS6detail15normal_iteratorINS9_10device_ptrIsEEEEPS5_m11less_div_10IsEEE10hipError_tT0_T1_T2_jT3_P12ihipStream_tbPNSt15iterator_traitsISJ_E10value_typeEPNSP_ISK_E10value_typeEPSL_NS1_7vsmem_tEENKUlT_SJ_SK_SL_E_clIPsSE_SF_SF_EESI_SY_SJ_SK_SL_EUlSY_E_NS1_11comp_targetILNS1_3genE0ELNS1_11target_archE4294967295ELNS1_3gpuE0ELNS1_3repE0EEENS1_48merge_mergepath_partition_config_static_selectorELNS0_4arch9wavefront6targetE0EEEvSK_.numbered_sgpr, 0
	.set _ZN7rocprim17ROCPRIM_400000_NS6detail17trampoline_kernelINS0_14default_configENS1_38merge_sort_block_merge_config_selectorIsNS0_10empty_typeEEEZZNS1_27merge_sort_block_merge_implIS3_N6thrust23THRUST_200600_302600_NS6detail15normal_iteratorINS9_10device_ptrIsEEEEPS5_m11less_div_10IsEEE10hipError_tT0_T1_T2_jT3_P12ihipStream_tbPNSt15iterator_traitsISJ_E10value_typeEPNSP_ISK_E10value_typeEPSL_NS1_7vsmem_tEENKUlT_SJ_SK_SL_E_clIPsSE_SF_SF_EESI_SY_SJ_SK_SL_EUlSY_E_NS1_11comp_targetILNS1_3genE0ELNS1_11target_archE4294967295ELNS1_3gpuE0ELNS1_3repE0EEENS1_48merge_mergepath_partition_config_static_selectorELNS0_4arch9wavefront6targetE0EEEvSK_.num_named_barrier, 0
	.set _ZN7rocprim17ROCPRIM_400000_NS6detail17trampoline_kernelINS0_14default_configENS1_38merge_sort_block_merge_config_selectorIsNS0_10empty_typeEEEZZNS1_27merge_sort_block_merge_implIS3_N6thrust23THRUST_200600_302600_NS6detail15normal_iteratorINS9_10device_ptrIsEEEEPS5_m11less_div_10IsEEE10hipError_tT0_T1_T2_jT3_P12ihipStream_tbPNSt15iterator_traitsISJ_E10value_typeEPNSP_ISK_E10value_typeEPSL_NS1_7vsmem_tEENKUlT_SJ_SK_SL_E_clIPsSE_SF_SF_EESI_SY_SJ_SK_SL_EUlSY_E_NS1_11comp_targetILNS1_3genE0ELNS1_11target_archE4294967295ELNS1_3gpuE0ELNS1_3repE0EEENS1_48merge_mergepath_partition_config_static_selectorELNS0_4arch9wavefront6targetE0EEEvSK_.private_seg_size, 0
	.set _ZN7rocprim17ROCPRIM_400000_NS6detail17trampoline_kernelINS0_14default_configENS1_38merge_sort_block_merge_config_selectorIsNS0_10empty_typeEEEZZNS1_27merge_sort_block_merge_implIS3_N6thrust23THRUST_200600_302600_NS6detail15normal_iteratorINS9_10device_ptrIsEEEEPS5_m11less_div_10IsEEE10hipError_tT0_T1_T2_jT3_P12ihipStream_tbPNSt15iterator_traitsISJ_E10value_typeEPNSP_ISK_E10value_typeEPSL_NS1_7vsmem_tEENKUlT_SJ_SK_SL_E_clIPsSE_SF_SF_EESI_SY_SJ_SK_SL_EUlSY_E_NS1_11comp_targetILNS1_3genE0ELNS1_11target_archE4294967295ELNS1_3gpuE0ELNS1_3repE0EEENS1_48merge_mergepath_partition_config_static_selectorELNS0_4arch9wavefront6targetE0EEEvSK_.uses_vcc, 0
	.set _ZN7rocprim17ROCPRIM_400000_NS6detail17trampoline_kernelINS0_14default_configENS1_38merge_sort_block_merge_config_selectorIsNS0_10empty_typeEEEZZNS1_27merge_sort_block_merge_implIS3_N6thrust23THRUST_200600_302600_NS6detail15normal_iteratorINS9_10device_ptrIsEEEEPS5_m11less_div_10IsEEE10hipError_tT0_T1_T2_jT3_P12ihipStream_tbPNSt15iterator_traitsISJ_E10value_typeEPNSP_ISK_E10value_typeEPSL_NS1_7vsmem_tEENKUlT_SJ_SK_SL_E_clIPsSE_SF_SF_EESI_SY_SJ_SK_SL_EUlSY_E_NS1_11comp_targetILNS1_3genE0ELNS1_11target_archE4294967295ELNS1_3gpuE0ELNS1_3repE0EEENS1_48merge_mergepath_partition_config_static_selectorELNS0_4arch9wavefront6targetE0EEEvSK_.uses_flat_scratch, 0
	.set _ZN7rocprim17ROCPRIM_400000_NS6detail17trampoline_kernelINS0_14default_configENS1_38merge_sort_block_merge_config_selectorIsNS0_10empty_typeEEEZZNS1_27merge_sort_block_merge_implIS3_N6thrust23THRUST_200600_302600_NS6detail15normal_iteratorINS9_10device_ptrIsEEEEPS5_m11less_div_10IsEEE10hipError_tT0_T1_T2_jT3_P12ihipStream_tbPNSt15iterator_traitsISJ_E10value_typeEPNSP_ISK_E10value_typeEPSL_NS1_7vsmem_tEENKUlT_SJ_SK_SL_E_clIPsSE_SF_SF_EESI_SY_SJ_SK_SL_EUlSY_E_NS1_11comp_targetILNS1_3genE0ELNS1_11target_archE4294967295ELNS1_3gpuE0ELNS1_3repE0EEENS1_48merge_mergepath_partition_config_static_selectorELNS0_4arch9wavefront6targetE0EEEvSK_.has_dyn_sized_stack, 0
	.set _ZN7rocprim17ROCPRIM_400000_NS6detail17trampoline_kernelINS0_14default_configENS1_38merge_sort_block_merge_config_selectorIsNS0_10empty_typeEEEZZNS1_27merge_sort_block_merge_implIS3_N6thrust23THRUST_200600_302600_NS6detail15normal_iteratorINS9_10device_ptrIsEEEEPS5_m11less_div_10IsEEE10hipError_tT0_T1_T2_jT3_P12ihipStream_tbPNSt15iterator_traitsISJ_E10value_typeEPNSP_ISK_E10value_typeEPSL_NS1_7vsmem_tEENKUlT_SJ_SK_SL_E_clIPsSE_SF_SF_EESI_SY_SJ_SK_SL_EUlSY_E_NS1_11comp_targetILNS1_3genE0ELNS1_11target_archE4294967295ELNS1_3gpuE0ELNS1_3repE0EEENS1_48merge_mergepath_partition_config_static_selectorELNS0_4arch9wavefront6targetE0EEEvSK_.has_recursion, 0
	.set _ZN7rocprim17ROCPRIM_400000_NS6detail17trampoline_kernelINS0_14default_configENS1_38merge_sort_block_merge_config_selectorIsNS0_10empty_typeEEEZZNS1_27merge_sort_block_merge_implIS3_N6thrust23THRUST_200600_302600_NS6detail15normal_iteratorINS9_10device_ptrIsEEEEPS5_m11less_div_10IsEEE10hipError_tT0_T1_T2_jT3_P12ihipStream_tbPNSt15iterator_traitsISJ_E10value_typeEPNSP_ISK_E10value_typeEPSL_NS1_7vsmem_tEENKUlT_SJ_SK_SL_E_clIPsSE_SF_SF_EESI_SY_SJ_SK_SL_EUlSY_E_NS1_11comp_targetILNS1_3genE0ELNS1_11target_archE4294967295ELNS1_3gpuE0ELNS1_3repE0EEENS1_48merge_mergepath_partition_config_static_selectorELNS0_4arch9wavefront6targetE0EEEvSK_.has_indirect_call, 0
	.section	.AMDGPU.csdata,"",@progbits
; Kernel info:
; codeLenInByte = 0
; TotalNumSgprs: 0
; NumVgprs: 0
; ScratchSize: 0
; MemoryBound: 0
; FloatMode: 240
; IeeeMode: 1
; LDSByteSize: 0 bytes/workgroup (compile time only)
; SGPRBlocks: 0
; VGPRBlocks: 0
; NumSGPRsForWavesPerEU: 1
; NumVGPRsForWavesPerEU: 1
; Occupancy: 16
; WaveLimiterHint : 0
; COMPUTE_PGM_RSRC2:SCRATCH_EN: 0
; COMPUTE_PGM_RSRC2:USER_SGPR: 6
; COMPUTE_PGM_RSRC2:TRAP_HANDLER: 0
; COMPUTE_PGM_RSRC2:TGID_X_EN: 1
; COMPUTE_PGM_RSRC2:TGID_Y_EN: 0
; COMPUTE_PGM_RSRC2:TGID_Z_EN: 0
; COMPUTE_PGM_RSRC2:TIDIG_COMP_CNT: 0
	.section	.text._ZN7rocprim17ROCPRIM_400000_NS6detail17trampoline_kernelINS0_14default_configENS1_38merge_sort_block_merge_config_selectorIsNS0_10empty_typeEEEZZNS1_27merge_sort_block_merge_implIS3_N6thrust23THRUST_200600_302600_NS6detail15normal_iteratorINS9_10device_ptrIsEEEEPS5_m11less_div_10IsEEE10hipError_tT0_T1_T2_jT3_P12ihipStream_tbPNSt15iterator_traitsISJ_E10value_typeEPNSP_ISK_E10value_typeEPSL_NS1_7vsmem_tEENKUlT_SJ_SK_SL_E_clIPsSE_SF_SF_EESI_SY_SJ_SK_SL_EUlSY_E_NS1_11comp_targetILNS1_3genE10ELNS1_11target_archE1201ELNS1_3gpuE5ELNS1_3repE0EEENS1_48merge_mergepath_partition_config_static_selectorELNS0_4arch9wavefront6targetE0EEEvSK_,"axG",@progbits,_ZN7rocprim17ROCPRIM_400000_NS6detail17trampoline_kernelINS0_14default_configENS1_38merge_sort_block_merge_config_selectorIsNS0_10empty_typeEEEZZNS1_27merge_sort_block_merge_implIS3_N6thrust23THRUST_200600_302600_NS6detail15normal_iteratorINS9_10device_ptrIsEEEEPS5_m11less_div_10IsEEE10hipError_tT0_T1_T2_jT3_P12ihipStream_tbPNSt15iterator_traitsISJ_E10value_typeEPNSP_ISK_E10value_typeEPSL_NS1_7vsmem_tEENKUlT_SJ_SK_SL_E_clIPsSE_SF_SF_EESI_SY_SJ_SK_SL_EUlSY_E_NS1_11comp_targetILNS1_3genE10ELNS1_11target_archE1201ELNS1_3gpuE5ELNS1_3repE0EEENS1_48merge_mergepath_partition_config_static_selectorELNS0_4arch9wavefront6targetE0EEEvSK_,comdat
	.protected	_ZN7rocprim17ROCPRIM_400000_NS6detail17trampoline_kernelINS0_14default_configENS1_38merge_sort_block_merge_config_selectorIsNS0_10empty_typeEEEZZNS1_27merge_sort_block_merge_implIS3_N6thrust23THRUST_200600_302600_NS6detail15normal_iteratorINS9_10device_ptrIsEEEEPS5_m11less_div_10IsEEE10hipError_tT0_T1_T2_jT3_P12ihipStream_tbPNSt15iterator_traitsISJ_E10value_typeEPNSP_ISK_E10value_typeEPSL_NS1_7vsmem_tEENKUlT_SJ_SK_SL_E_clIPsSE_SF_SF_EESI_SY_SJ_SK_SL_EUlSY_E_NS1_11comp_targetILNS1_3genE10ELNS1_11target_archE1201ELNS1_3gpuE5ELNS1_3repE0EEENS1_48merge_mergepath_partition_config_static_selectorELNS0_4arch9wavefront6targetE0EEEvSK_ ; -- Begin function _ZN7rocprim17ROCPRIM_400000_NS6detail17trampoline_kernelINS0_14default_configENS1_38merge_sort_block_merge_config_selectorIsNS0_10empty_typeEEEZZNS1_27merge_sort_block_merge_implIS3_N6thrust23THRUST_200600_302600_NS6detail15normal_iteratorINS9_10device_ptrIsEEEEPS5_m11less_div_10IsEEE10hipError_tT0_T1_T2_jT3_P12ihipStream_tbPNSt15iterator_traitsISJ_E10value_typeEPNSP_ISK_E10value_typeEPSL_NS1_7vsmem_tEENKUlT_SJ_SK_SL_E_clIPsSE_SF_SF_EESI_SY_SJ_SK_SL_EUlSY_E_NS1_11comp_targetILNS1_3genE10ELNS1_11target_archE1201ELNS1_3gpuE5ELNS1_3repE0EEENS1_48merge_mergepath_partition_config_static_selectorELNS0_4arch9wavefront6targetE0EEEvSK_
	.globl	_ZN7rocprim17ROCPRIM_400000_NS6detail17trampoline_kernelINS0_14default_configENS1_38merge_sort_block_merge_config_selectorIsNS0_10empty_typeEEEZZNS1_27merge_sort_block_merge_implIS3_N6thrust23THRUST_200600_302600_NS6detail15normal_iteratorINS9_10device_ptrIsEEEEPS5_m11less_div_10IsEEE10hipError_tT0_T1_T2_jT3_P12ihipStream_tbPNSt15iterator_traitsISJ_E10value_typeEPNSP_ISK_E10value_typeEPSL_NS1_7vsmem_tEENKUlT_SJ_SK_SL_E_clIPsSE_SF_SF_EESI_SY_SJ_SK_SL_EUlSY_E_NS1_11comp_targetILNS1_3genE10ELNS1_11target_archE1201ELNS1_3gpuE5ELNS1_3repE0EEENS1_48merge_mergepath_partition_config_static_selectorELNS0_4arch9wavefront6targetE0EEEvSK_
	.p2align	8
	.type	_ZN7rocprim17ROCPRIM_400000_NS6detail17trampoline_kernelINS0_14default_configENS1_38merge_sort_block_merge_config_selectorIsNS0_10empty_typeEEEZZNS1_27merge_sort_block_merge_implIS3_N6thrust23THRUST_200600_302600_NS6detail15normal_iteratorINS9_10device_ptrIsEEEEPS5_m11less_div_10IsEEE10hipError_tT0_T1_T2_jT3_P12ihipStream_tbPNSt15iterator_traitsISJ_E10value_typeEPNSP_ISK_E10value_typeEPSL_NS1_7vsmem_tEENKUlT_SJ_SK_SL_E_clIPsSE_SF_SF_EESI_SY_SJ_SK_SL_EUlSY_E_NS1_11comp_targetILNS1_3genE10ELNS1_11target_archE1201ELNS1_3gpuE5ELNS1_3repE0EEENS1_48merge_mergepath_partition_config_static_selectorELNS0_4arch9wavefront6targetE0EEEvSK_,@function
_ZN7rocprim17ROCPRIM_400000_NS6detail17trampoline_kernelINS0_14default_configENS1_38merge_sort_block_merge_config_selectorIsNS0_10empty_typeEEEZZNS1_27merge_sort_block_merge_implIS3_N6thrust23THRUST_200600_302600_NS6detail15normal_iteratorINS9_10device_ptrIsEEEEPS5_m11less_div_10IsEEE10hipError_tT0_T1_T2_jT3_P12ihipStream_tbPNSt15iterator_traitsISJ_E10value_typeEPNSP_ISK_E10value_typeEPSL_NS1_7vsmem_tEENKUlT_SJ_SK_SL_E_clIPsSE_SF_SF_EESI_SY_SJ_SK_SL_EUlSY_E_NS1_11comp_targetILNS1_3genE10ELNS1_11target_archE1201ELNS1_3gpuE5ELNS1_3repE0EEENS1_48merge_mergepath_partition_config_static_selectorELNS0_4arch9wavefront6targetE0EEEvSK_: ; @_ZN7rocprim17ROCPRIM_400000_NS6detail17trampoline_kernelINS0_14default_configENS1_38merge_sort_block_merge_config_selectorIsNS0_10empty_typeEEEZZNS1_27merge_sort_block_merge_implIS3_N6thrust23THRUST_200600_302600_NS6detail15normal_iteratorINS9_10device_ptrIsEEEEPS5_m11less_div_10IsEEE10hipError_tT0_T1_T2_jT3_P12ihipStream_tbPNSt15iterator_traitsISJ_E10value_typeEPNSP_ISK_E10value_typeEPSL_NS1_7vsmem_tEENKUlT_SJ_SK_SL_E_clIPsSE_SF_SF_EESI_SY_SJ_SK_SL_EUlSY_E_NS1_11comp_targetILNS1_3genE10ELNS1_11target_archE1201ELNS1_3gpuE5ELNS1_3repE0EEENS1_48merge_mergepath_partition_config_static_selectorELNS0_4arch9wavefront6targetE0EEEvSK_
; %bb.0:
	.section	.rodata,"a",@progbits
	.p2align	6, 0x0
	.amdhsa_kernel _ZN7rocprim17ROCPRIM_400000_NS6detail17trampoline_kernelINS0_14default_configENS1_38merge_sort_block_merge_config_selectorIsNS0_10empty_typeEEEZZNS1_27merge_sort_block_merge_implIS3_N6thrust23THRUST_200600_302600_NS6detail15normal_iteratorINS9_10device_ptrIsEEEEPS5_m11less_div_10IsEEE10hipError_tT0_T1_T2_jT3_P12ihipStream_tbPNSt15iterator_traitsISJ_E10value_typeEPNSP_ISK_E10value_typeEPSL_NS1_7vsmem_tEENKUlT_SJ_SK_SL_E_clIPsSE_SF_SF_EESI_SY_SJ_SK_SL_EUlSY_E_NS1_11comp_targetILNS1_3genE10ELNS1_11target_archE1201ELNS1_3gpuE5ELNS1_3repE0EEENS1_48merge_mergepath_partition_config_static_selectorELNS0_4arch9wavefront6targetE0EEEvSK_
		.amdhsa_group_segment_fixed_size 0
		.amdhsa_private_segment_fixed_size 0
		.amdhsa_kernarg_size 48
		.amdhsa_user_sgpr_count 6
		.amdhsa_user_sgpr_private_segment_buffer 1
		.amdhsa_user_sgpr_dispatch_ptr 0
		.amdhsa_user_sgpr_queue_ptr 0
		.amdhsa_user_sgpr_kernarg_segment_ptr 1
		.amdhsa_user_sgpr_dispatch_id 0
		.amdhsa_user_sgpr_flat_scratch_init 0
		.amdhsa_user_sgpr_private_segment_size 0
		.amdhsa_wavefront_size32 1
		.amdhsa_uses_dynamic_stack 0
		.amdhsa_system_sgpr_private_segment_wavefront_offset 0
		.amdhsa_system_sgpr_workgroup_id_x 1
		.amdhsa_system_sgpr_workgroup_id_y 0
		.amdhsa_system_sgpr_workgroup_id_z 0
		.amdhsa_system_sgpr_workgroup_info 0
		.amdhsa_system_vgpr_workitem_id 0
		.amdhsa_next_free_vgpr 1
		.amdhsa_next_free_sgpr 1
		.amdhsa_reserve_vcc 0
		.amdhsa_reserve_flat_scratch 0
		.amdhsa_float_round_mode_32 0
		.amdhsa_float_round_mode_16_64 0
		.amdhsa_float_denorm_mode_32 3
		.amdhsa_float_denorm_mode_16_64 3
		.amdhsa_dx10_clamp 1
		.amdhsa_ieee_mode 1
		.amdhsa_fp16_overflow 0
		.amdhsa_workgroup_processor_mode 1
		.amdhsa_memory_ordered 1
		.amdhsa_forward_progress 1
		.amdhsa_shared_vgpr_count 0
		.amdhsa_exception_fp_ieee_invalid_op 0
		.amdhsa_exception_fp_denorm_src 0
		.amdhsa_exception_fp_ieee_div_zero 0
		.amdhsa_exception_fp_ieee_overflow 0
		.amdhsa_exception_fp_ieee_underflow 0
		.amdhsa_exception_fp_ieee_inexact 0
		.amdhsa_exception_int_div_zero 0
	.end_amdhsa_kernel
	.section	.text._ZN7rocprim17ROCPRIM_400000_NS6detail17trampoline_kernelINS0_14default_configENS1_38merge_sort_block_merge_config_selectorIsNS0_10empty_typeEEEZZNS1_27merge_sort_block_merge_implIS3_N6thrust23THRUST_200600_302600_NS6detail15normal_iteratorINS9_10device_ptrIsEEEEPS5_m11less_div_10IsEEE10hipError_tT0_T1_T2_jT3_P12ihipStream_tbPNSt15iterator_traitsISJ_E10value_typeEPNSP_ISK_E10value_typeEPSL_NS1_7vsmem_tEENKUlT_SJ_SK_SL_E_clIPsSE_SF_SF_EESI_SY_SJ_SK_SL_EUlSY_E_NS1_11comp_targetILNS1_3genE10ELNS1_11target_archE1201ELNS1_3gpuE5ELNS1_3repE0EEENS1_48merge_mergepath_partition_config_static_selectorELNS0_4arch9wavefront6targetE0EEEvSK_,"axG",@progbits,_ZN7rocprim17ROCPRIM_400000_NS6detail17trampoline_kernelINS0_14default_configENS1_38merge_sort_block_merge_config_selectorIsNS0_10empty_typeEEEZZNS1_27merge_sort_block_merge_implIS3_N6thrust23THRUST_200600_302600_NS6detail15normal_iteratorINS9_10device_ptrIsEEEEPS5_m11less_div_10IsEEE10hipError_tT0_T1_T2_jT3_P12ihipStream_tbPNSt15iterator_traitsISJ_E10value_typeEPNSP_ISK_E10value_typeEPSL_NS1_7vsmem_tEENKUlT_SJ_SK_SL_E_clIPsSE_SF_SF_EESI_SY_SJ_SK_SL_EUlSY_E_NS1_11comp_targetILNS1_3genE10ELNS1_11target_archE1201ELNS1_3gpuE5ELNS1_3repE0EEENS1_48merge_mergepath_partition_config_static_selectorELNS0_4arch9wavefront6targetE0EEEvSK_,comdat
.Lfunc_end525:
	.size	_ZN7rocprim17ROCPRIM_400000_NS6detail17trampoline_kernelINS0_14default_configENS1_38merge_sort_block_merge_config_selectorIsNS0_10empty_typeEEEZZNS1_27merge_sort_block_merge_implIS3_N6thrust23THRUST_200600_302600_NS6detail15normal_iteratorINS9_10device_ptrIsEEEEPS5_m11less_div_10IsEEE10hipError_tT0_T1_T2_jT3_P12ihipStream_tbPNSt15iterator_traitsISJ_E10value_typeEPNSP_ISK_E10value_typeEPSL_NS1_7vsmem_tEENKUlT_SJ_SK_SL_E_clIPsSE_SF_SF_EESI_SY_SJ_SK_SL_EUlSY_E_NS1_11comp_targetILNS1_3genE10ELNS1_11target_archE1201ELNS1_3gpuE5ELNS1_3repE0EEENS1_48merge_mergepath_partition_config_static_selectorELNS0_4arch9wavefront6targetE0EEEvSK_, .Lfunc_end525-_ZN7rocprim17ROCPRIM_400000_NS6detail17trampoline_kernelINS0_14default_configENS1_38merge_sort_block_merge_config_selectorIsNS0_10empty_typeEEEZZNS1_27merge_sort_block_merge_implIS3_N6thrust23THRUST_200600_302600_NS6detail15normal_iteratorINS9_10device_ptrIsEEEEPS5_m11less_div_10IsEEE10hipError_tT0_T1_T2_jT3_P12ihipStream_tbPNSt15iterator_traitsISJ_E10value_typeEPNSP_ISK_E10value_typeEPSL_NS1_7vsmem_tEENKUlT_SJ_SK_SL_E_clIPsSE_SF_SF_EESI_SY_SJ_SK_SL_EUlSY_E_NS1_11comp_targetILNS1_3genE10ELNS1_11target_archE1201ELNS1_3gpuE5ELNS1_3repE0EEENS1_48merge_mergepath_partition_config_static_selectorELNS0_4arch9wavefront6targetE0EEEvSK_
                                        ; -- End function
	.set _ZN7rocprim17ROCPRIM_400000_NS6detail17trampoline_kernelINS0_14default_configENS1_38merge_sort_block_merge_config_selectorIsNS0_10empty_typeEEEZZNS1_27merge_sort_block_merge_implIS3_N6thrust23THRUST_200600_302600_NS6detail15normal_iteratorINS9_10device_ptrIsEEEEPS5_m11less_div_10IsEEE10hipError_tT0_T1_T2_jT3_P12ihipStream_tbPNSt15iterator_traitsISJ_E10value_typeEPNSP_ISK_E10value_typeEPSL_NS1_7vsmem_tEENKUlT_SJ_SK_SL_E_clIPsSE_SF_SF_EESI_SY_SJ_SK_SL_EUlSY_E_NS1_11comp_targetILNS1_3genE10ELNS1_11target_archE1201ELNS1_3gpuE5ELNS1_3repE0EEENS1_48merge_mergepath_partition_config_static_selectorELNS0_4arch9wavefront6targetE0EEEvSK_.num_vgpr, 0
	.set _ZN7rocprim17ROCPRIM_400000_NS6detail17trampoline_kernelINS0_14default_configENS1_38merge_sort_block_merge_config_selectorIsNS0_10empty_typeEEEZZNS1_27merge_sort_block_merge_implIS3_N6thrust23THRUST_200600_302600_NS6detail15normal_iteratorINS9_10device_ptrIsEEEEPS5_m11less_div_10IsEEE10hipError_tT0_T1_T2_jT3_P12ihipStream_tbPNSt15iterator_traitsISJ_E10value_typeEPNSP_ISK_E10value_typeEPSL_NS1_7vsmem_tEENKUlT_SJ_SK_SL_E_clIPsSE_SF_SF_EESI_SY_SJ_SK_SL_EUlSY_E_NS1_11comp_targetILNS1_3genE10ELNS1_11target_archE1201ELNS1_3gpuE5ELNS1_3repE0EEENS1_48merge_mergepath_partition_config_static_selectorELNS0_4arch9wavefront6targetE0EEEvSK_.num_agpr, 0
	.set _ZN7rocprim17ROCPRIM_400000_NS6detail17trampoline_kernelINS0_14default_configENS1_38merge_sort_block_merge_config_selectorIsNS0_10empty_typeEEEZZNS1_27merge_sort_block_merge_implIS3_N6thrust23THRUST_200600_302600_NS6detail15normal_iteratorINS9_10device_ptrIsEEEEPS5_m11less_div_10IsEEE10hipError_tT0_T1_T2_jT3_P12ihipStream_tbPNSt15iterator_traitsISJ_E10value_typeEPNSP_ISK_E10value_typeEPSL_NS1_7vsmem_tEENKUlT_SJ_SK_SL_E_clIPsSE_SF_SF_EESI_SY_SJ_SK_SL_EUlSY_E_NS1_11comp_targetILNS1_3genE10ELNS1_11target_archE1201ELNS1_3gpuE5ELNS1_3repE0EEENS1_48merge_mergepath_partition_config_static_selectorELNS0_4arch9wavefront6targetE0EEEvSK_.numbered_sgpr, 0
	.set _ZN7rocprim17ROCPRIM_400000_NS6detail17trampoline_kernelINS0_14default_configENS1_38merge_sort_block_merge_config_selectorIsNS0_10empty_typeEEEZZNS1_27merge_sort_block_merge_implIS3_N6thrust23THRUST_200600_302600_NS6detail15normal_iteratorINS9_10device_ptrIsEEEEPS5_m11less_div_10IsEEE10hipError_tT0_T1_T2_jT3_P12ihipStream_tbPNSt15iterator_traitsISJ_E10value_typeEPNSP_ISK_E10value_typeEPSL_NS1_7vsmem_tEENKUlT_SJ_SK_SL_E_clIPsSE_SF_SF_EESI_SY_SJ_SK_SL_EUlSY_E_NS1_11comp_targetILNS1_3genE10ELNS1_11target_archE1201ELNS1_3gpuE5ELNS1_3repE0EEENS1_48merge_mergepath_partition_config_static_selectorELNS0_4arch9wavefront6targetE0EEEvSK_.num_named_barrier, 0
	.set _ZN7rocprim17ROCPRIM_400000_NS6detail17trampoline_kernelINS0_14default_configENS1_38merge_sort_block_merge_config_selectorIsNS0_10empty_typeEEEZZNS1_27merge_sort_block_merge_implIS3_N6thrust23THRUST_200600_302600_NS6detail15normal_iteratorINS9_10device_ptrIsEEEEPS5_m11less_div_10IsEEE10hipError_tT0_T1_T2_jT3_P12ihipStream_tbPNSt15iterator_traitsISJ_E10value_typeEPNSP_ISK_E10value_typeEPSL_NS1_7vsmem_tEENKUlT_SJ_SK_SL_E_clIPsSE_SF_SF_EESI_SY_SJ_SK_SL_EUlSY_E_NS1_11comp_targetILNS1_3genE10ELNS1_11target_archE1201ELNS1_3gpuE5ELNS1_3repE0EEENS1_48merge_mergepath_partition_config_static_selectorELNS0_4arch9wavefront6targetE0EEEvSK_.private_seg_size, 0
	.set _ZN7rocprim17ROCPRIM_400000_NS6detail17trampoline_kernelINS0_14default_configENS1_38merge_sort_block_merge_config_selectorIsNS0_10empty_typeEEEZZNS1_27merge_sort_block_merge_implIS3_N6thrust23THRUST_200600_302600_NS6detail15normal_iteratorINS9_10device_ptrIsEEEEPS5_m11less_div_10IsEEE10hipError_tT0_T1_T2_jT3_P12ihipStream_tbPNSt15iterator_traitsISJ_E10value_typeEPNSP_ISK_E10value_typeEPSL_NS1_7vsmem_tEENKUlT_SJ_SK_SL_E_clIPsSE_SF_SF_EESI_SY_SJ_SK_SL_EUlSY_E_NS1_11comp_targetILNS1_3genE10ELNS1_11target_archE1201ELNS1_3gpuE5ELNS1_3repE0EEENS1_48merge_mergepath_partition_config_static_selectorELNS0_4arch9wavefront6targetE0EEEvSK_.uses_vcc, 0
	.set _ZN7rocprim17ROCPRIM_400000_NS6detail17trampoline_kernelINS0_14default_configENS1_38merge_sort_block_merge_config_selectorIsNS0_10empty_typeEEEZZNS1_27merge_sort_block_merge_implIS3_N6thrust23THRUST_200600_302600_NS6detail15normal_iteratorINS9_10device_ptrIsEEEEPS5_m11less_div_10IsEEE10hipError_tT0_T1_T2_jT3_P12ihipStream_tbPNSt15iterator_traitsISJ_E10value_typeEPNSP_ISK_E10value_typeEPSL_NS1_7vsmem_tEENKUlT_SJ_SK_SL_E_clIPsSE_SF_SF_EESI_SY_SJ_SK_SL_EUlSY_E_NS1_11comp_targetILNS1_3genE10ELNS1_11target_archE1201ELNS1_3gpuE5ELNS1_3repE0EEENS1_48merge_mergepath_partition_config_static_selectorELNS0_4arch9wavefront6targetE0EEEvSK_.uses_flat_scratch, 0
	.set _ZN7rocprim17ROCPRIM_400000_NS6detail17trampoline_kernelINS0_14default_configENS1_38merge_sort_block_merge_config_selectorIsNS0_10empty_typeEEEZZNS1_27merge_sort_block_merge_implIS3_N6thrust23THRUST_200600_302600_NS6detail15normal_iteratorINS9_10device_ptrIsEEEEPS5_m11less_div_10IsEEE10hipError_tT0_T1_T2_jT3_P12ihipStream_tbPNSt15iterator_traitsISJ_E10value_typeEPNSP_ISK_E10value_typeEPSL_NS1_7vsmem_tEENKUlT_SJ_SK_SL_E_clIPsSE_SF_SF_EESI_SY_SJ_SK_SL_EUlSY_E_NS1_11comp_targetILNS1_3genE10ELNS1_11target_archE1201ELNS1_3gpuE5ELNS1_3repE0EEENS1_48merge_mergepath_partition_config_static_selectorELNS0_4arch9wavefront6targetE0EEEvSK_.has_dyn_sized_stack, 0
	.set _ZN7rocprim17ROCPRIM_400000_NS6detail17trampoline_kernelINS0_14default_configENS1_38merge_sort_block_merge_config_selectorIsNS0_10empty_typeEEEZZNS1_27merge_sort_block_merge_implIS3_N6thrust23THRUST_200600_302600_NS6detail15normal_iteratorINS9_10device_ptrIsEEEEPS5_m11less_div_10IsEEE10hipError_tT0_T1_T2_jT3_P12ihipStream_tbPNSt15iterator_traitsISJ_E10value_typeEPNSP_ISK_E10value_typeEPSL_NS1_7vsmem_tEENKUlT_SJ_SK_SL_E_clIPsSE_SF_SF_EESI_SY_SJ_SK_SL_EUlSY_E_NS1_11comp_targetILNS1_3genE10ELNS1_11target_archE1201ELNS1_3gpuE5ELNS1_3repE0EEENS1_48merge_mergepath_partition_config_static_selectorELNS0_4arch9wavefront6targetE0EEEvSK_.has_recursion, 0
	.set _ZN7rocprim17ROCPRIM_400000_NS6detail17trampoline_kernelINS0_14default_configENS1_38merge_sort_block_merge_config_selectorIsNS0_10empty_typeEEEZZNS1_27merge_sort_block_merge_implIS3_N6thrust23THRUST_200600_302600_NS6detail15normal_iteratorINS9_10device_ptrIsEEEEPS5_m11less_div_10IsEEE10hipError_tT0_T1_T2_jT3_P12ihipStream_tbPNSt15iterator_traitsISJ_E10value_typeEPNSP_ISK_E10value_typeEPSL_NS1_7vsmem_tEENKUlT_SJ_SK_SL_E_clIPsSE_SF_SF_EESI_SY_SJ_SK_SL_EUlSY_E_NS1_11comp_targetILNS1_3genE10ELNS1_11target_archE1201ELNS1_3gpuE5ELNS1_3repE0EEENS1_48merge_mergepath_partition_config_static_selectorELNS0_4arch9wavefront6targetE0EEEvSK_.has_indirect_call, 0
	.section	.AMDGPU.csdata,"",@progbits
; Kernel info:
; codeLenInByte = 0
; TotalNumSgprs: 0
; NumVgprs: 0
; ScratchSize: 0
; MemoryBound: 0
; FloatMode: 240
; IeeeMode: 1
; LDSByteSize: 0 bytes/workgroup (compile time only)
; SGPRBlocks: 0
; VGPRBlocks: 0
; NumSGPRsForWavesPerEU: 1
; NumVGPRsForWavesPerEU: 1
; Occupancy: 16
; WaveLimiterHint : 0
; COMPUTE_PGM_RSRC2:SCRATCH_EN: 0
; COMPUTE_PGM_RSRC2:USER_SGPR: 6
; COMPUTE_PGM_RSRC2:TRAP_HANDLER: 0
; COMPUTE_PGM_RSRC2:TGID_X_EN: 1
; COMPUTE_PGM_RSRC2:TGID_Y_EN: 0
; COMPUTE_PGM_RSRC2:TGID_Z_EN: 0
; COMPUTE_PGM_RSRC2:TIDIG_COMP_CNT: 0
	.section	.text._ZN7rocprim17ROCPRIM_400000_NS6detail17trampoline_kernelINS0_14default_configENS1_38merge_sort_block_merge_config_selectorIsNS0_10empty_typeEEEZZNS1_27merge_sort_block_merge_implIS3_N6thrust23THRUST_200600_302600_NS6detail15normal_iteratorINS9_10device_ptrIsEEEEPS5_m11less_div_10IsEEE10hipError_tT0_T1_T2_jT3_P12ihipStream_tbPNSt15iterator_traitsISJ_E10value_typeEPNSP_ISK_E10value_typeEPSL_NS1_7vsmem_tEENKUlT_SJ_SK_SL_E_clIPsSE_SF_SF_EESI_SY_SJ_SK_SL_EUlSY_E_NS1_11comp_targetILNS1_3genE5ELNS1_11target_archE942ELNS1_3gpuE9ELNS1_3repE0EEENS1_48merge_mergepath_partition_config_static_selectorELNS0_4arch9wavefront6targetE0EEEvSK_,"axG",@progbits,_ZN7rocprim17ROCPRIM_400000_NS6detail17trampoline_kernelINS0_14default_configENS1_38merge_sort_block_merge_config_selectorIsNS0_10empty_typeEEEZZNS1_27merge_sort_block_merge_implIS3_N6thrust23THRUST_200600_302600_NS6detail15normal_iteratorINS9_10device_ptrIsEEEEPS5_m11less_div_10IsEEE10hipError_tT0_T1_T2_jT3_P12ihipStream_tbPNSt15iterator_traitsISJ_E10value_typeEPNSP_ISK_E10value_typeEPSL_NS1_7vsmem_tEENKUlT_SJ_SK_SL_E_clIPsSE_SF_SF_EESI_SY_SJ_SK_SL_EUlSY_E_NS1_11comp_targetILNS1_3genE5ELNS1_11target_archE942ELNS1_3gpuE9ELNS1_3repE0EEENS1_48merge_mergepath_partition_config_static_selectorELNS0_4arch9wavefront6targetE0EEEvSK_,comdat
	.protected	_ZN7rocprim17ROCPRIM_400000_NS6detail17trampoline_kernelINS0_14default_configENS1_38merge_sort_block_merge_config_selectorIsNS0_10empty_typeEEEZZNS1_27merge_sort_block_merge_implIS3_N6thrust23THRUST_200600_302600_NS6detail15normal_iteratorINS9_10device_ptrIsEEEEPS5_m11less_div_10IsEEE10hipError_tT0_T1_T2_jT3_P12ihipStream_tbPNSt15iterator_traitsISJ_E10value_typeEPNSP_ISK_E10value_typeEPSL_NS1_7vsmem_tEENKUlT_SJ_SK_SL_E_clIPsSE_SF_SF_EESI_SY_SJ_SK_SL_EUlSY_E_NS1_11comp_targetILNS1_3genE5ELNS1_11target_archE942ELNS1_3gpuE9ELNS1_3repE0EEENS1_48merge_mergepath_partition_config_static_selectorELNS0_4arch9wavefront6targetE0EEEvSK_ ; -- Begin function _ZN7rocprim17ROCPRIM_400000_NS6detail17trampoline_kernelINS0_14default_configENS1_38merge_sort_block_merge_config_selectorIsNS0_10empty_typeEEEZZNS1_27merge_sort_block_merge_implIS3_N6thrust23THRUST_200600_302600_NS6detail15normal_iteratorINS9_10device_ptrIsEEEEPS5_m11less_div_10IsEEE10hipError_tT0_T1_T2_jT3_P12ihipStream_tbPNSt15iterator_traitsISJ_E10value_typeEPNSP_ISK_E10value_typeEPSL_NS1_7vsmem_tEENKUlT_SJ_SK_SL_E_clIPsSE_SF_SF_EESI_SY_SJ_SK_SL_EUlSY_E_NS1_11comp_targetILNS1_3genE5ELNS1_11target_archE942ELNS1_3gpuE9ELNS1_3repE0EEENS1_48merge_mergepath_partition_config_static_selectorELNS0_4arch9wavefront6targetE0EEEvSK_
	.globl	_ZN7rocprim17ROCPRIM_400000_NS6detail17trampoline_kernelINS0_14default_configENS1_38merge_sort_block_merge_config_selectorIsNS0_10empty_typeEEEZZNS1_27merge_sort_block_merge_implIS3_N6thrust23THRUST_200600_302600_NS6detail15normal_iteratorINS9_10device_ptrIsEEEEPS5_m11less_div_10IsEEE10hipError_tT0_T1_T2_jT3_P12ihipStream_tbPNSt15iterator_traitsISJ_E10value_typeEPNSP_ISK_E10value_typeEPSL_NS1_7vsmem_tEENKUlT_SJ_SK_SL_E_clIPsSE_SF_SF_EESI_SY_SJ_SK_SL_EUlSY_E_NS1_11comp_targetILNS1_3genE5ELNS1_11target_archE942ELNS1_3gpuE9ELNS1_3repE0EEENS1_48merge_mergepath_partition_config_static_selectorELNS0_4arch9wavefront6targetE0EEEvSK_
	.p2align	8
	.type	_ZN7rocprim17ROCPRIM_400000_NS6detail17trampoline_kernelINS0_14default_configENS1_38merge_sort_block_merge_config_selectorIsNS0_10empty_typeEEEZZNS1_27merge_sort_block_merge_implIS3_N6thrust23THRUST_200600_302600_NS6detail15normal_iteratorINS9_10device_ptrIsEEEEPS5_m11less_div_10IsEEE10hipError_tT0_T1_T2_jT3_P12ihipStream_tbPNSt15iterator_traitsISJ_E10value_typeEPNSP_ISK_E10value_typeEPSL_NS1_7vsmem_tEENKUlT_SJ_SK_SL_E_clIPsSE_SF_SF_EESI_SY_SJ_SK_SL_EUlSY_E_NS1_11comp_targetILNS1_3genE5ELNS1_11target_archE942ELNS1_3gpuE9ELNS1_3repE0EEENS1_48merge_mergepath_partition_config_static_selectorELNS0_4arch9wavefront6targetE0EEEvSK_,@function
_ZN7rocprim17ROCPRIM_400000_NS6detail17trampoline_kernelINS0_14default_configENS1_38merge_sort_block_merge_config_selectorIsNS0_10empty_typeEEEZZNS1_27merge_sort_block_merge_implIS3_N6thrust23THRUST_200600_302600_NS6detail15normal_iteratorINS9_10device_ptrIsEEEEPS5_m11less_div_10IsEEE10hipError_tT0_T1_T2_jT3_P12ihipStream_tbPNSt15iterator_traitsISJ_E10value_typeEPNSP_ISK_E10value_typeEPSL_NS1_7vsmem_tEENKUlT_SJ_SK_SL_E_clIPsSE_SF_SF_EESI_SY_SJ_SK_SL_EUlSY_E_NS1_11comp_targetILNS1_3genE5ELNS1_11target_archE942ELNS1_3gpuE9ELNS1_3repE0EEENS1_48merge_mergepath_partition_config_static_selectorELNS0_4arch9wavefront6targetE0EEEvSK_: ; @_ZN7rocprim17ROCPRIM_400000_NS6detail17trampoline_kernelINS0_14default_configENS1_38merge_sort_block_merge_config_selectorIsNS0_10empty_typeEEEZZNS1_27merge_sort_block_merge_implIS3_N6thrust23THRUST_200600_302600_NS6detail15normal_iteratorINS9_10device_ptrIsEEEEPS5_m11less_div_10IsEEE10hipError_tT0_T1_T2_jT3_P12ihipStream_tbPNSt15iterator_traitsISJ_E10value_typeEPNSP_ISK_E10value_typeEPSL_NS1_7vsmem_tEENKUlT_SJ_SK_SL_E_clIPsSE_SF_SF_EESI_SY_SJ_SK_SL_EUlSY_E_NS1_11comp_targetILNS1_3genE5ELNS1_11target_archE942ELNS1_3gpuE9ELNS1_3repE0EEENS1_48merge_mergepath_partition_config_static_selectorELNS0_4arch9wavefront6targetE0EEEvSK_
; %bb.0:
	.section	.rodata,"a",@progbits
	.p2align	6, 0x0
	.amdhsa_kernel _ZN7rocprim17ROCPRIM_400000_NS6detail17trampoline_kernelINS0_14default_configENS1_38merge_sort_block_merge_config_selectorIsNS0_10empty_typeEEEZZNS1_27merge_sort_block_merge_implIS3_N6thrust23THRUST_200600_302600_NS6detail15normal_iteratorINS9_10device_ptrIsEEEEPS5_m11less_div_10IsEEE10hipError_tT0_T1_T2_jT3_P12ihipStream_tbPNSt15iterator_traitsISJ_E10value_typeEPNSP_ISK_E10value_typeEPSL_NS1_7vsmem_tEENKUlT_SJ_SK_SL_E_clIPsSE_SF_SF_EESI_SY_SJ_SK_SL_EUlSY_E_NS1_11comp_targetILNS1_3genE5ELNS1_11target_archE942ELNS1_3gpuE9ELNS1_3repE0EEENS1_48merge_mergepath_partition_config_static_selectorELNS0_4arch9wavefront6targetE0EEEvSK_
		.amdhsa_group_segment_fixed_size 0
		.amdhsa_private_segment_fixed_size 0
		.amdhsa_kernarg_size 48
		.amdhsa_user_sgpr_count 6
		.amdhsa_user_sgpr_private_segment_buffer 1
		.amdhsa_user_sgpr_dispatch_ptr 0
		.amdhsa_user_sgpr_queue_ptr 0
		.amdhsa_user_sgpr_kernarg_segment_ptr 1
		.amdhsa_user_sgpr_dispatch_id 0
		.amdhsa_user_sgpr_flat_scratch_init 0
		.amdhsa_user_sgpr_private_segment_size 0
		.amdhsa_wavefront_size32 1
		.amdhsa_uses_dynamic_stack 0
		.amdhsa_system_sgpr_private_segment_wavefront_offset 0
		.amdhsa_system_sgpr_workgroup_id_x 1
		.amdhsa_system_sgpr_workgroup_id_y 0
		.amdhsa_system_sgpr_workgroup_id_z 0
		.amdhsa_system_sgpr_workgroup_info 0
		.amdhsa_system_vgpr_workitem_id 0
		.amdhsa_next_free_vgpr 1
		.amdhsa_next_free_sgpr 1
		.amdhsa_reserve_vcc 0
		.amdhsa_reserve_flat_scratch 0
		.amdhsa_float_round_mode_32 0
		.amdhsa_float_round_mode_16_64 0
		.amdhsa_float_denorm_mode_32 3
		.amdhsa_float_denorm_mode_16_64 3
		.amdhsa_dx10_clamp 1
		.amdhsa_ieee_mode 1
		.amdhsa_fp16_overflow 0
		.amdhsa_workgroup_processor_mode 1
		.amdhsa_memory_ordered 1
		.amdhsa_forward_progress 1
		.amdhsa_shared_vgpr_count 0
		.amdhsa_exception_fp_ieee_invalid_op 0
		.amdhsa_exception_fp_denorm_src 0
		.amdhsa_exception_fp_ieee_div_zero 0
		.amdhsa_exception_fp_ieee_overflow 0
		.amdhsa_exception_fp_ieee_underflow 0
		.amdhsa_exception_fp_ieee_inexact 0
		.amdhsa_exception_int_div_zero 0
	.end_amdhsa_kernel
	.section	.text._ZN7rocprim17ROCPRIM_400000_NS6detail17trampoline_kernelINS0_14default_configENS1_38merge_sort_block_merge_config_selectorIsNS0_10empty_typeEEEZZNS1_27merge_sort_block_merge_implIS3_N6thrust23THRUST_200600_302600_NS6detail15normal_iteratorINS9_10device_ptrIsEEEEPS5_m11less_div_10IsEEE10hipError_tT0_T1_T2_jT3_P12ihipStream_tbPNSt15iterator_traitsISJ_E10value_typeEPNSP_ISK_E10value_typeEPSL_NS1_7vsmem_tEENKUlT_SJ_SK_SL_E_clIPsSE_SF_SF_EESI_SY_SJ_SK_SL_EUlSY_E_NS1_11comp_targetILNS1_3genE5ELNS1_11target_archE942ELNS1_3gpuE9ELNS1_3repE0EEENS1_48merge_mergepath_partition_config_static_selectorELNS0_4arch9wavefront6targetE0EEEvSK_,"axG",@progbits,_ZN7rocprim17ROCPRIM_400000_NS6detail17trampoline_kernelINS0_14default_configENS1_38merge_sort_block_merge_config_selectorIsNS0_10empty_typeEEEZZNS1_27merge_sort_block_merge_implIS3_N6thrust23THRUST_200600_302600_NS6detail15normal_iteratorINS9_10device_ptrIsEEEEPS5_m11less_div_10IsEEE10hipError_tT0_T1_T2_jT3_P12ihipStream_tbPNSt15iterator_traitsISJ_E10value_typeEPNSP_ISK_E10value_typeEPSL_NS1_7vsmem_tEENKUlT_SJ_SK_SL_E_clIPsSE_SF_SF_EESI_SY_SJ_SK_SL_EUlSY_E_NS1_11comp_targetILNS1_3genE5ELNS1_11target_archE942ELNS1_3gpuE9ELNS1_3repE0EEENS1_48merge_mergepath_partition_config_static_selectorELNS0_4arch9wavefront6targetE0EEEvSK_,comdat
.Lfunc_end526:
	.size	_ZN7rocprim17ROCPRIM_400000_NS6detail17trampoline_kernelINS0_14default_configENS1_38merge_sort_block_merge_config_selectorIsNS0_10empty_typeEEEZZNS1_27merge_sort_block_merge_implIS3_N6thrust23THRUST_200600_302600_NS6detail15normal_iteratorINS9_10device_ptrIsEEEEPS5_m11less_div_10IsEEE10hipError_tT0_T1_T2_jT3_P12ihipStream_tbPNSt15iterator_traitsISJ_E10value_typeEPNSP_ISK_E10value_typeEPSL_NS1_7vsmem_tEENKUlT_SJ_SK_SL_E_clIPsSE_SF_SF_EESI_SY_SJ_SK_SL_EUlSY_E_NS1_11comp_targetILNS1_3genE5ELNS1_11target_archE942ELNS1_3gpuE9ELNS1_3repE0EEENS1_48merge_mergepath_partition_config_static_selectorELNS0_4arch9wavefront6targetE0EEEvSK_, .Lfunc_end526-_ZN7rocprim17ROCPRIM_400000_NS6detail17trampoline_kernelINS0_14default_configENS1_38merge_sort_block_merge_config_selectorIsNS0_10empty_typeEEEZZNS1_27merge_sort_block_merge_implIS3_N6thrust23THRUST_200600_302600_NS6detail15normal_iteratorINS9_10device_ptrIsEEEEPS5_m11less_div_10IsEEE10hipError_tT0_T1_T2_jT3_P12ihipStream_tbPNSt15iterator_traitsISJ_E10value_typeEPNSP_ISK_E10value_typeEPSL_NS1_7vsmem_tEENKUlT_SJ_SK_SL_E_clIPsSE_SF_SF_EESI_SY_SJ_SK_SL_EUlSY_E_NS1_11comp_targetILNS1_3genE5ELNS1_11target_archE942ELNS1_3gpuE9ELNS1_3repE0EEENS1_48merge_mergepath_partition_config_static_selectorELNS0_4arch9wavefront6targetE0EEEvSK_
                                        ; -- End function
	.set _ZN7rocprim17ROCPRIM_400000_NS6detail17trampoline_kernelINS0_14default_configENS1_38merge_sort_block_merge_config_selectorIsNS0_10empty_typeEEEZZNS1_27merge_sort_block_merge_implIS3_N6thrust23THRUST_200600_302600_NS6detail15normal_iteratorINS9_10device_ptrIsEEEEPS5_m11less_div_10IsEEE10hipError_tT0_T1_T2_jT3_P12ihipStream_tbPNSt15iterator_traitsISJ_E10value_typeEPNSP_ISK_E10value_typeEPSL_NS1_7vsmem_tEENKUlT_SJ_SK_SL_E_clIPsSE_SF_SF_EESI_SY_SJ_SK_SL_EUlSY_E_NS1_11comp_targetILNS1_3genE5ELNS1_11target_archE942ELNS1_3gpuE9ELNS1_3repE0EEENS1_48merge_mergepath_partition_config_static_selectorELNS0_4arch9wavefront6targetE0EEEvSK_.num_vgpr, 0
	.set _ZN7rocprim17ROCPRIM_400000_NS6detail17trampoline_kernelINS0_14default_configENS1_38merge_sort_block_merge_config_selectorIsNS0_10empty_typeEEEZZNS1_27merge_sort_block_merge_implIS3_N6thrust23THRUST_200600_302600_NS6detail15normal_iteratorINS9_10device_ptrIsEEEEPS5_m11less_div_10IsEEE10hipError_tT0_T1_T2_jT3_P12ihipStream_tbPNSt15iterator_traitsISJ_E10value_typeEPNSP_ISK_E10value_typeEPSL_NS1_7vsmem_tEENKUlT_SJ_SK_SL_E_clIPsSE_SF_SF_EESI_SY_SJ_SK_SL_EUlSY_E_NS1_11comp_targetILNS1_3genE5ELNS1_11target_archE942ELNS1_3gpuE9ELNS1_3repE0EEENS1_48merge_mergepath_partition_config_static_selectorELNS0_4arch9wavefront6targetE0EEEvSK_.num_agpr, 0
	.set _ZN7rocprim17ROCPRIM_400000_NS6detail17trampoline_kernelINS0_14default_configENS1_38merge_sort_block_merge_config_selectorIsNS0_10empty_typeEEEZZNS1_27merge_sort_block_merge_implIS3_N6thrust23THRUST_200600_302600_NS6detail15normal_iteratorINS9_10device_ptrIsEEEEPS5_m11less_div_10IsEEE10hipError_tT0_T1_T2_jT3_P12ihipStream_tbPNSt15iterator_traitsISJ_E10value_typeEPNSP_ISK_E10value_typeEPSL_NS1_7vsmem_tEENKUlT_SJ_SK_SL_E_clIPsSE_SF_SF_EESI_SY_SJ_SK_SL_EUlSY_E_NS1_11comp_targetILNS1_3genE5ELNS1_11target_archE942ELNS1_3gpuE9ELNS1_3repE0EEENS1_48merge_mergepath_partition_config_static_selectorELNS0_4arch9wavefront6targetE0EEEvSK_.numbered_sgpr, 0
	.set _ZN7rocprim17ROCPRIM_400000_NS6detail17trampoline_kernelINS0_14default_configENS1_38merge_sort_block_merge_config_selectorIsNS0_10empty_typeEEEZZNS1_27merge_sort_block_merge_implIS3_N6thrust23THRUST_200600_302600_NS6detail15normal_iteratorINS9_10device_ptrIsEEEEPS5_m11less_div_10IsEEE10hipError_tT0_T1_T2_jT3_P12ihipStream_tbPNSt15iterator_traitsISJ_E10value_typeEPNSP_ISK_E10value_typeEPSL_NS1_7vsmem_tEENKUlT_SJ_SK_SL_E_clIPsSE_SF_SF_EESI_SY_SJ_SK_SL_EUlSY_E_NS1_11comp_targetILNS1_3genE5ELNS1_11target_archE942ELNS1_3gpuE9ELNS1_3repE0EEENS1_48merge_mergepath_partition_config_static_selectorELNS0_4arch9wavefront6targetE0EEEvSK_.num_named_barrier, 0
	.set _ZN7rocprim17ROCPRIM_400000_NS6detail17trampoline_kernelINS0_14default_configENS1_38merge_sort_block_merge_config_selectorIsNS0_10empty_typeEEEZZNS1_27merge_sort_block_merge_implIS3_N6thrust23THRUST_200600_302600_NS6detail15normal_iteratorINS9_10device_ptrIsEEEEPS5_m11less_div_10IsEEE10hipError_tT0_T1_T2_jT3_P12ihipStream_tbPNSt15iterator_traitsISJ_E10value_typeEPNSP_ISK_E10value_typeEPSL_NS1_7vsmem_tEENKUlT_SJ_SK_SL_E_clIPsSE_SF_SF_EESI_SY_SJ_SK_SL_EUlSY_E_NS1_11comp_targetILNS1_3genE5ELNS1_11target_archE942ELNS1_3gpuE9ELNS1_3repE0EEENS1_48merge_mergepath_partition_config_static_selectorELNS0_4arch9wavefront6targetE0EEEvSK_.private_seg_size, 0
	.set _ZN7rocprim17ROCPRIM_400000_NS6detail17trampoline_kernelINS0_14default_configENS1_38merge_sort_block_merge_config_selectorIsNS0_10empty_typeEEEZZNS1_27merge_sort_block_merge_implIS3_N6thrust23THRUST_200600_302600_NS6detail15normal_iteratorINS9_10device_ptrIsEEEEPS5_m11less_div_10IsEEE10hipError_tT0_T1_T2_jT3_P12ihipStream_tbPNSt15iterator_traitsISJ_E10value_typeEPNSP_ISK_E10value_typeEPSL_NS1_7vsmem_tEENKUlT_SJ_SK_SL_E_clIPsSE_SF_SF_EESI_SY_SJ_SK_SL_EUlSY_E_NS1_11comp_targetILNS1_3genE5ELNS1_11target_archE942ELNS1_3gpuE9ELNS1_3repE0EEENS1_48merge_mergepath_partition_config_static_selectorELNS0_4arch9wavefront6targetE0EEEvSK_.uses_vcc, 0
	.set _ZN7rocprim17ROCPRIM_400000_NS6detail17trampoline_kernelINS0_14default_configENS1_38merge_sort_block_merge_config_selectorIsNS0_10empty_typeEEEZZNS1_27merge_sort_block_merge_implIS3_N6thrust23THRUST_200600_302600_NS6detail15normal_iteratorINS9_10device_ptrIsEEEEPS5_m11less_div_10IsEEE10hipError_tT0_T1_T2_jT3_P12ihipStream_tbPNSt15iterator_traitsISJ_E10value_typeEPNSP_ISK_E10value_typeEPSL_NS1_7vsmem_tEENKUlT_SJ_SK_SL_E_clIPsSE_SF_SF_EESI_SY_SJ_SK_SL_EUlSY_E_NS1_11comp_targetILNS1_3genE5ELNS1_11target_archE942ELNS1_3gpuE9ELNS1_3repE0EEENS1_48merge_mergepath_partition_config_static_selectorELNS0_4arch9wavefront6targetE0EEEvSK_.uses_flat_scratch, 0
	.set _ZN7rocprim17ROCPRIM_400000_NS6detail17trampoline_kernelINS0_14default_configENS1_38merge_sort_block_merge_config_selectorIsNS0_10empty_typeEEEZZNS1_27merge_sort_block_merge_implIS3_N6thrust23THRUST_200600_302600_NS6detail15normal_iteratorINS9_10device_ptrIsEEEEPS5_m11less_div_10IsEEE10hipError_tT0_T1_T2_jT3_P12ihipStream_tbPNSt15iterator_traitsISJ_E10value_typeEPNSP_ISK_E10value_typeEPSL_NS1_7vsmem_tEENKUlT_SJ_SK_SL_E_clIPsSE_SF_SF_EESI_SY_SJ_SK_SL_EUlSY_E_NS1_11comp_targetILNS1_3genE5ELNS1_11target_archE942ELNS1_3gpuE9ELNS1_3repE0EEENS1_48merge_mergepath_partition_config_static_selectorELNS0_4arch9wavefront6targetE0EEEvSK_.has_dyn_sized_stack, 0
	.set _ZN7rocprim17ROCPRIM_400000_NS6detail17trampoline_kernelINS0_14default_configENS1_38merge_sort_block_merge_config_selectorIsNS0_10empty_typeEEEZZNS1_27merge_sort_block_merge_implIS3_N6thrust23THRUST_200600_302600_NS6detail15normal_iteratorINS9_10device_ptrIsEEEEPS5_m11less_div_10IsEEE10hipError_tT0_T1_T2_jT3_P12ihipStream_tbPNSt15iterator_traitsISJ_E10value_typeEPNSP_ISK_E10value_typeEPSL_NS1_7vsmem_tEENKUlT_SJ_SK_SL_E_clIPsSE_SF_SF_EESI_SY_SJ_SK_SL_EUlSY_E_NS1_11comp_targetILNS1_3genE5ELNS1_11target_archE942ELNS1_3gpuE9ELNS1_3repE0EEENS1_48merge_mergepath_partition_config_static_selectorELNS0_4arch9wavefront6targetE0EEEvSK_.has_recursion, 0
	.set _ZN7rocprim17ROCPRIM_400000_NS6detail17trampoline_kernelINS0_14default_configENS1_38merge_sort_block_merge_config_selectorIsNS0_10empty_typeEEEZZNS1_27merge_sort_block_merge_implIS3_N6thrust23THRUST_200600_302600_NS6detail15normal_iteratorINS9_10device_ptrIsEEEEPS5_m11less_div_10IsEEE10hipError_tT0_T1_T2_jT3_P12ihipStream_tbPNSt15iterator_traitsISJ_E10value_typeEPNSP_ISK_E10value_typeEPSL_NS1_7vsmem_tEENKUlT_SJ_SK_SL_E_clIPsSE_SF_SF_EESI_SY_SJ_SK_SL_EUlSY_E_NS1_11comp_targetILNS1_3genE5ELNS1_11target_archE942ELNS1_3gpuE9ELNS1_3repE0EEENS1_48merge_mergepath_partition_config_static_selectorELNS0_4arch9wavefront6targetE0EEEvSK_.has_indirect_call, 0
	.section	.AMDGPU.csdata,"",@progbits
; Kernel info:
; codeLenInByte = 0
; TotalNumSgprs: 0
; NumVgprs: 0
; ScratchSize: 0
; MemoryBound: 0
; FloatMode: 240
; IeeeMode: 1
; LDSByteSize: 0 bytes/workgroup (compile time only)
; SGPRBlocks: 0
; VGPRBlocks: 0
; NumSGPRsForWavesPerEU: 1
; NumVGPRsForWavesPerEU: 1
; Occupancy: 16
; WaveLimiterHint : 0
; COMPUTE_PGM_RSRC2:SCRATCH_EN: 0
; COMPUTE_PGM_RSRC2:USER_SGPR: 6
; COMPUTE_PGM_RSRC2:TRAP_HANDLER: 0
; COMPUTE_PGM_RSRC2:TGID_X_EN: 1
; COMPUTE_PGM_RSRC2:TGID_Y_EN: 0
; COMPUTE_PGM_RSRC2:TGID_Z_EN: 0
; COMPUTE_PGM_RSRC2:TIDIG_COMP_CNT: 0
	.section	.text._ZN7rocprim17ROCPRIM_400000_NS6detail17trampoline_kernelINS0_14default_configENS1_38merge_sort_block_merge_config_selectorIsNS0_10empty_typeEEEZZNS1_27merge_sort_block_merge_implIS3_N6thrust23THRUST_200600_302600_NS6detail15normal_iteratorINS9_10device_ptrIsEEEEPS5_m11less_div_10IsEEE10hipError_tT0_T1_T2_jT3_P12ihipStream_tbPNSt15iterator_traitsISJ_E10value_typeEPNSP_ISK_E10value_typeEPSL_NS1_7vsmem_tEENKUlT_SJ_SK_SL_E_clIPsSE_SF_SF_EESI_SY_SJ_SK_SL_EUlSY_E_NS1_11comp_targetILNS1_3genE4ELNS1_11target_archE910ELNS1_3gpuE8ELNS1_3repE0EEENS1_48merge_mergepath_partition_config_static_selectorELNS0_4arch9wavefront6targetE0EEEvSK_,"axG",@progbits,_ZN7rocprim17ROCPRIM_400000_NS6detail17trampoline_kernelINS0_14default_configENS1_38merge_sort_block_merge_config_selectorIsNS0_10empty_typeEEEZZNS1_27merge_sort_block_merge_implIS3_N6thrust23THRUST_200600_302600_NS6detail15normal_iteratorINS9_10device_ptrIsEEEEPS5_m11less_div_10IsEEE10hipError_tT0_T1_T2_jT3_P12ihipStream_tbPNSt15iterator_traitsISJ_E10value_typeEPNSP_ISK_E10value_typeEPSL_NS1_7vsmem_tEENKUlT_SJ_SK_SL_E_clIPsSE_SF_SF_EESI_SY_SJ_SK_SL_EUlSY_E_NS1_11comp_targetILNS1_3genE4ELNS1_11target_archE910ELNS1_3gpuE8ELNS1_3repE0EEENS1_48merge_mergepath_partition_config_static_selectorELNS0_4arch9wavefront6targetE0EEEvSK_,comdat
	.protected	_ZN7rocprim17ROCPRIM_400000_NS6detail17trampoline_kernelINS0_14default_configENS1_38merge_sort_block_merge_config_selectorIsNS0_10empty_typeEEEZZNS1_27merge_sort_block_merge_implIS3_N6thrust23THRUST_200600_302600_NS6detail15normal_iteratorINS9_10device_ptrIsEEEEPS5_m11less_div_10IsEEE10hipError_tT0_T1_T2_jT3_P12ihipStream_tbPNSt15iterator_traitsISJ_E10value_typeEPNSP_ISK_E10value_typeEPSL_NS1_7vsmem_tEENKUlT_SJ_SK_SL_E_clIPsSE_SF_SF_EESI_SY_SJ_SK_SL_EUlSY_E_NS1_11comp_targetILNS1_3genE4ELNS1_11target_archE910ELNS1_3gpuE8ELNS1_3repE0EEENS1_48merge_mergepath_partition_config_static_selectorELNS0_4arch9wavefront6targetE0EEEvSK_ ; -- Begin function _ZN7rocprim17ROCPRIM_400000_NS6detail17trampoline_kernelINS0_14default_configENS1_38merge_sort_block_merge_config_selectorIsNS0_10empty_typeEEEZZNS1_27merge_sort_block_merge_implIS3_N6thrust23THRUST_200600_302600_NS6detail15normal_iteratorINS9_10device_ptrIsEEEEPS5_m11less_div_10IsEEE10hipError_tT0_T1_T2_jT3_P12ihipStream_tbPNSt15iterator_traitsISJ_E10value_typeEPNSP_ISK_E10value_typeEPSL_NS1_7vsmem_tEENKUlT_SJ_SK_SL_E_clIPsSE_SF_SF_EESI_SY_SJ_SK_SL_EUlSY_E_NS1_11comp_targetILNS1_3genE4ELNS1_11target_archE910ELNS1_3gpuE8ELNS1_3repE0EEENS1_48merge_mergepath_partition_config_static_selectorELNS0_4arch9wavefront6targetE0EEEvSK_
	.globl	_ZN7rocprim17ROCPRIM_400000_NS6detail17trampoline_kernelINS0_14default_configENS1_38merge_sort_block_merge_config_selectorIsNS0_10empty_typeEEEZZNS1_27merge_sort_block_merge_implIS3_N6thrust23THRUST_200600_302600_NS6detail15normal_iteratorINS9_10device_ptrIsEEEEPS5_m11less_div_10IsEEE10hipError_tT0_T1_T2_jT3_P12ihipStream_tbPNSt15iterator_traitsISJ_E10value_typeEPNSP_ISK_E10value_typeEPSL_NS1_7vsmem_tEENKUlT_SJ_SK_SL_E_clIPsSE_SF_SF_EESI_SY_SJ_SK_SL_EUlSY_E_NS1_11comp_targetILNS1_3genE4ELNS1_11target_archE910ELNS1_3gpuE8ELNS1_3repE0EEENS1_48merge_mergepath_partition_config_static_selectorELNS0_4arch9wavefront6targetE0EEEvSK_
	.p2align	8
	.type	_ZN7rocprim17ROCPRIM_400000_NS6detail17trampoline_kernelINS0_14default_configENS1_38merge_sort_block_merge_config_selectorIsNS0_10empty_typeEEEZZNS1_27merge_sort_block_merge_implIS3_N6thrust23THRUST_200600_302600_NS6detail15normal_iteratorINS9_10device_ptrIsEEEEPS5_m11less_div_10IsEEE10hipError_tT0_T1_T2_jT3_P12ihipStream_tbPNSt15iterator_traitsISJ_E10value_typeEPNSP_ISK_E10value_typeEPSL_NS1_7vsmem_tEENKUlT_SJ_SK_SL_E_clIPsSE_SF_SF_EESI_SY_SJ_SK_SL_EUlSY_E_NS1_11comp_targetILNS1_3genE4ELNS1_11target_archE910ELNS1_3gpuE8ELNS1_3repE0EEENS1_48merge_mergepath_partition_config_static_selectorELNS0_4arch9wavefront6targetE0EEEvSK_,@function
_ZN7rocprim17ROCPRIM_400000_NS6detail17trampoline_kernelINS0_14default_configENS1_38merge_sort_block_merge_config_selectorIsNS0_10empty_typeEEEZZNS1_27merge_sort_block_merge_implIS3_N6thrust23THRUST_200600_302600_NS6detail15normal_iteratorINS9_10device_ptrIsEEEEPS5_m11less_div_10IsEEE10hipError_tT0_T1_T2_jT3_P12ihipStream_tbPNSt15iterator_traitsISJ_E10value_typeEPNSP_ISK_E10value_typeEPSL_NS1_7vsmem_tEENKUlT_SJ_SK_SL_E_clIPsSE_SF_SF_EESI_SY_SJ_SK_SL_EUlSY_E_NS1_11comp_targetILNS1_3genE4ELNS1_11target_archE910ELNS1_3gpuE8ELNS1_3repE0EEENS1_48merge_mergepath_partition_config_static_selectorELNS0_4arch9wavefront6targetE0EEEvSK_: ; @_ZN7rocprim17ROCPRIM_400000_NS6detail17trampoline_kernelINS0_14default_configENS1_38merge_sort_block_merge_config_selectorIsNS0_10empty_typeEEEZZNS1_27merge_sort_block_merge_implIS3_N6thrust23THRUST_200600_302600_NS6detail15normal_iteratorINS9_10device_ptrIsEEEEPS5_m11less_div_10IsEEE10hipError_tT0_T1_T2_jT3_P12ihipStream_tbPNSt15iterator_traitsISJ_E10value_typeEPNSP_ISK_E10value_typeEPSL_NS1_7vsmem_tEENKUlT_SJ_SK_SL_E_clIPsSE_SF_SF_EESI_SY_SJ_SK_SL_EUlSY_E_NS1_11comp_targetILNS1_3genE4ELNS1_11target_archE910ELNS1_3gpuE8ELNS1_3repE0EEENS1_48merge_mergepath_partition_config_static_selectorELNS0_4arch9wavefront6targetE0EEEvSK_
; %bb.0:
	.section	.rodata,"a",@progbits
	.p2align	6, 0x0
	.amdhsa_kernel _ZN7rocprim17ROCPRIM_400000_NS6detail17trampoline_kernelINS0_14default_configENS1_38merge_sort_block_merge_config_selectorIsNS0_10empty_typeEEEZZNS1_27merge_sort_block_merge_implIS3_N6thrust23THRUST_200600_302600_NS6detail15normal_iteratorINS9_10device_ptrIsEEEEPS5_m11less_div_10IsEEE10hipError_tT0_T1_T2_jT3_P12ihipStream_tbPNSt15iterator_traitsISJ_E10value_typeEPNSP_ISK_E10value_typeEPSL_NS1_7vsmem_tEENKUlT_SJ_SK_SL_E_clIPsSE_SF_SF_EESI_SY_SJ_SK_SL_EUlSY_E_NS1_11comp_targetILNS1_3genE4ELNS1_11target_archE910ELNS1_3gpuE8ELNS1_3repE0EEENS1_48merge_mergepath_partition_config_static_selectorELNS0_4arch9wavefront6targetE0EEEvSK_
		.amdhsa_group_segment_fixed_size 0
		.amdhsa_private_segment_fixed_size 0
		.amdhsa_kernarg_size 48
		.amdhsa_user_sgpr_count 6
		.amdhsa_user_sgpr_private_segment_buffer 1
		.amdhsa_user_sgpr_dispatch_ptr 0
		.amdhsa_user_sgpr_queue_ptr 0
		.amdhsa_user_sgpr_kernarg_segment_ptr 1
		.amdhsa_user_sgpr_dispatch_id 0
		.amdhsa_user_sgpr_flat_scratch_init 0
		.amdhsa_user_sgpr_private_segment_size 0
		.amdhsa_wavefront_size32 1
		.amdhsa_uses_dynamic_stack 0
		.amdhsa_system_sgpr_private_segment_wavefront_offset 0
		.amdhsa_system_sgpr_workgroup_id_x 1
		.amdhsa_system_sgpr_workgroup_id_y 0
		.amdhsa_system_sgpr_workgroup_id_z 0
		.amdhsa_system_sgpr_workgroup_info 0
		.amdhsa_system_vgpr_workitem_id 0
		.amdhsa_next_free_vgpr 1
		.amdhsa_next_free_sgpr 1
		.amdhsa_reserve_vcc 0
		.amdhsa_reserve_flat_scratch 0
		.amdhsa_float_round_mode_32 0
		.amdhsa_float_round_mode_16_64 0
		.amdhsa_float_denorm_mode_32 3
		.amdhsa_float_denorm_mode_16_64 3
		.amdhsa_dx10_clamp 1
		.amdhsa_ieee_mode 1
		.amdhsa_fp16_overflow 0
		.amdhsa_workgroup_processor_mode 1
		.amdhsa_memory_ordered 1
		.amdhsa_forward_progress 1
		.amdhsa_shared_vgpr_count 0
		.amdhsa_exception_fp_ieee_invalid_op 0
		.amdhsa_exception_fp_denorm_src 0
		.amdhsa_exception_fp_ieee_div_zero 0
		.amdhsa_exception_fp_ieee_overflow 0
		.amdhsa_exception_fp_ieee_underflow 0
		.amdhsa_exception_fp_ieee_inexact 0
		.amdhsa_exception_int_div_zero 0
	.end_amdhsa_kernel
	.section	.text._ZN7rocprim17ROCPRIM_400000_NS6detail17trampoline_kernelINS0_14default_configENS1_38merge_sort_block_merge_config_selectorIsNS0_10empty_typeEEEZZNS1_27merge_sort_block_merge_implIS3_N6thrust23THRUST_200600_302600_NS6detail15normal_iteratorINS9_10device_ptrIsEEEEPS5_m11less_div_10IsEEE10hipError_tT0_T1_T2_jT3_P12ihipStream_tbPNSt15iterator_traitsISJ_E10value_typeEPNSP_ISK_E10value_typeEPSL_NS1_7vsmem_tEENKUlT_SJ_SK_SL_E_clIPsSE_SF_SF_EESI_SY_SJ_SK_SL_EUlSY_E_NS1_11comp_targetILNS1_3genE4ELNS1_11target_archE910ELNS1_3gpuE8ELNS1_3repE0EEENS1_48merge_mergepath_partition_config_static_selectorELNS0_4arch9wavefront6targetE0EEEvSK_,"axG",@progbits,_ZN7rocprim17ROCPRIM_400000_NS6detail17trampoline_kernelINS0_14default_configENS1_38merge_sort_block_merge_config_selectorIsNS0_10empty_typeEEEZZNS1_27merge_sort_block_merge_implIS3_N6thrust23THRUST_200600_302600_NS6detail15normal_iteratorINS9_10device_ptrIsEEEEPS5_m11less_div_10IsEEE10hipError_tT0_T1_T2_jT3_P12ihipStream_tbPNSt15iterator_traitsISJ_E10value_typeEPNSP_ISK_E10value_typeEPSL_NS1_7vsmem_tEENKUlT_SJ_SK_SL_E_clIPsSE_SF_SF_EESI_SY_SJ_SK_SL_EUlSY_E_NS1_11comp_targetILNS1_3genE4ELNS1_11target_archE910ELNS1_3gpuE8ELNS1_3repE0EEENS1_48merge_mergepath_partition_config_static_selectorELNS0_4arch9wavefront6targetE0EEEvSK_,comdat
.Lfunc_end527:
	.size	_ZN7rocprim17ROCPRIM_400000_NS6detail17trampoline_kernelINS0_14default_configENS1_38merge_sort_block_merge_config_selectorIsNS0_10empty_typeEEEZZNS1_27merge_sort_block_merge_implIS3_N6thrust23THRUST_200600_302600_NS6detail15normal_iteratorINS9_10device_ptrIsEEEEPS5_m11less_div_10IsEEE10hipError_tT0_T1_T2_jT3_P12ihipStream_tbPNSt15iterator_traitsISJ_E10value_typeEPNSP_ISK_E10value_typeEPSL_NS1_7vsmem_tEENKUlT_SJ_SK_SL_E_clIPsSE_SF_SF_EESI_SY_SJ_SK_SL_EUlSY_E_NS1_11comp_targetILNS1_3genE4ELNS1_11target_archE910ELNS1_3gpuE8ELNS1_3repE0EEENS1_48merge_mergepath_partition_config_static_selectorELNS0_4arch9wavefront6targetE0EEEvSK_, .Lfunc_end527-_ZN7rocprim17ROCPRIM_400000_NS6detail17trampoline_kernelINS0_14default_configENS1_38merge_sort_block_merge_config_selectorIsNS0_10empty_typeEEEZZNS1_27merge_sort_block_merge_implIS3_N6thrust23THRUST_200600_302600_NS6detail15normal_iteratorINS9_10device_ptrIsEEEEPS5_m11less_div_10IsEEE10hipError_tT0_T1_T2_jT3_P12ihipStream_tbPNSt15iterator_traitsISJ_E10value_typeEPNSP_ISK_E10value_typeEPSL_NS1_7vsmem_tEENKUlT_SJ_SK_SL_E_clIPsSE_SF_SF_EESI_SY_SJ_SK_SL_EUlSY_E_NS1_11comp_targetILNS1_3genE4ELNS1_11target_archE910ELNS1_3gpuE8ELNS1_3repE0EEENS1_48merge_mergepath_partition_config_static_selectorELNS0_4arch9wavefront6targetE0EEEvSK_
                                        ; -- End function
	.set _ZN7rocprim17ROCPRIM_400000_NS6detail17trampoline_kernelINS0_14default_configENS1_38merge_sort_block_merge_config_selectorIsNS0_10empty_typeEEEZZNS1_27merge_sort_block_merge_implIS3_N6thrust23THRUST_200600_302600_NS6detail15normal_iteratorINS9_10device_ptrIsEEEEPS5_m11less_div_10IsEEE10hipError_tT0_T1_T2_jT3_P12ihipStream_tbPNSt15iterator_traitsISJ_E10value_typeEPNSP_ISK_E10value_typeEPSL_NS1_7vsmem_tEENKUlT_SJ_SK_SL_E_clIPsSE_SF_SF_EESI_SY_SJ_SK_SL_EUlSY_E_NS1_11comp_targetILNS1_3genE4ELNS1_11target_archE910ELNS1_3gpuE8ELNS1_3repE0EEENS1_48merge_mergepath_partition_config_static_selectorELNS0_4arch9wavefront6targetE0EEEvSK_.num_vgpr, 0
	.set _ZN7rocprim17ROCPRIM_400000_NS6detail17trampoline_kernelINS0_14default_configENS1_38merge_sort_block_merge_config_selectorIsNS0_10empty_typeEEEZZNS1_27merge_sort_block_merge_implIS3_N6thrust23THRUST_200600_302600_NS6detail15normal_iteratorINS9_10device_ptrIsEEEEPS5_m11less_div_10IsEEE10hipError_tT0_T1_T2_jT3_P12ihipStream_tbPNSt15iterator_traitsISJ_E10value_typeEPNSP_ISK_E10value_typeEPSL_NS1_7vsmem_tEENKUlT_SJ_SK_SL_E_clIPsSE_SF_SF_EESI_SY_SJ_SK_SL_EUlSY_E_NS1_11comp_targetILNS1_3genE4ELNS1_11target_archE910ELNS1_3gpuE8ELNS1_3repE0EEENS1_48merge_mergepath_partition_config_static_selectorELNS0_4arch9wavefront6targetE0EEEvSK_.num_agpr, 0
	.set _ZN7rocprim17ROCPRIM_400000_NS6detail17trampoline_kernelINS0_14default_configENS1_38merge_sort_block_merge_config_selectorIsNS0_10empty_typeEEEZZNS1_27merge_sort_block_merge_implIS3_N6thrust23THRUST_200600_302600_NS6detail15normal_iteratorINS9_10device_ptrIsEEEEPS5_m11less_div_10IsEEE10hipError_tT0_T1_T2_jT3_P12ihipStream_tbPNSt15iterator_traitsISJ_E10value_typeEPNSP_ISK_E10value_typeEPSL_NS1_7vsmem_tEENKUlT_SJ_SK_SL_E_clIPsSE_SF_SF_EESI_SY_SJ_SK_SL_EUlSY_E_NS1_11comp_targetILNS1_3genE4ELNS1_11target_archE910ELNS1_3gpuE8ELNS1_3repE0EEENS1_48merge_mergepath_partition_config_static_selectorELNS0_4arch9wavefront6targetE0EEEvSK_.numbered_sgpr, 0
	.set _ZN7rocprim17ROCPRIM_400000_NS6detail17trampoline_kernelINS0_14default_configENS1_38merge_sort_block_merge_config_selectorIsNS0_10empty_typeEEEZZNS1_27merge_sort_block_merge_implIS3_N6thrust23THRUST_200600_302600_NS6detail15normal_iteratorINS9_10device_ptrIsEEEEPS5_m11less_div_10IsEEE10hipError_tT0_T1_T2_jT3_P12ihipStream_tbPNSt15iterator_traitsISJ_E10value_typeEPNSP_ISK_E10value_typeEPSL_NS1_7vsmem_tEENKUlT_SJ_SK_SL_E_clIPsSE_SF_SF_EESI_SY_SJ_SK_SL_EUlSY_E_NS1_11comp_targetILNS1_3genE4ELNS1_11target_archE910ELNS1_3gpuE8ELNS1_3repE0EEENS1_48merge_mergepath_partition_config_static_selectorELNS0_4arch9wavefront6targetE0EEEvSK_.num_named_barrier, 0
	.set _ZN7rocprim17ROCPRIM_400000_NS6detail17trampoline_kernelINS0_14default_configENS1_38merge_sort_block_merge_config_selectorIsNS0_10empty_typeEEEZZNS1_27merge_sort_block_merge_implIS3_N6thrust23THRUST_200600_302600_NS6detail15normal_iteratorINS9_10device_ptrIsEEEEPS5_m11less_div_10IsEEE10hipError_tT0_T1_T2_jT3_P12ihipStream_tbPNSt15iterator_traitsISJ_E10value_typeEPNSP_ISK_E10value_typeEPSL_NS1_7vsmem_tEENKUlT_SJ_SK_SL_E_clIPsSE_SF_SF_EESI_SY_SJ_SK_SL_EUlSY_E_NS1_11comp_targetILNS1_3genE4ELNS1_11target_archE910ELNS1_3gpuE8ELNS1_3repE0EEENS1_48merge_mergepath_partition_config_static_selectorELNS0_4arch9wavefront6targetE0EEEvSK_.private_seg_size, 0
	.set _ZN7rocprim17ROCPRIM_400000_NS6detail17trampoline_kernelINS0_14default_configENS1_38merge_sort_block_merge_config_selectorIsNS0_10empty_typeEEEZZNS1_27merge_sort_block_merge_implIS3_N6thrust23THRUST_200600_302600_NS6detail15normal_iteratorINS9_10device_ptrIsEEEEPS5_m11less_div_10IsEEE10hipError_tT0_T1_T2_jT3_P12ihipStream_tbPNSt15iterator_traitsISJ_E10value_typeEPNSP_ISK_E10value_typeEPSL_NS1_7vsmem_tEENKUlT_SJ_SK_SL_E_clIPsSE_SF_SF_EESI_SY_SJ_SK_SL_EUlSY_E_NS1_11comp_targetILNS1_3genE4ELNS1_11target_archE910ELNS1_3gpuE8ELNS1_3repE0EEENS1_48merge_mergepath_partition_config_static_selectorELNS0_4arch9wavefront6targetE0EEEvSK_.uses_vcc, 0
	.set _ZN7rocprim17ROCPRIM_400000_NS6detail17trampoline_kernelINS0_14default_configENS1_38merge_sort_block_merge_config_selectorIsNS0_10empty_typeEEEZZNS1_27merge_sort_block_merge_implIS3_N6thrust23THRUST_200600_302600_NS6detail15normal_iteratorINS9_10device_ptrIsEEEEPS5_m11less_div_10IsEEE10hipError_tT0_T1_T2_jT3_P12ihipStream_tbPNSt15iterator_traitsISJ_E10value_typeEPNSP_ISK_E10value_typeEPSL_NS1_7vsmem_tEENKUlT_SJ_SK_SL_E_clIPsSE_SF_SF_EESI_SY_SJ_SK_SL_EUlSY_E_NS1_11comp_targetILNS1_3genE4ELNS1_11target_archE910ELNS1_3gpuE8ELNS1_3repE0EEENS1_48merge_mergepath_partition_config_static_selectorELNS0_4arch9wavefront6targetE0EEEvSK_.uses_flat_scratch, 0
	.set _ZN7rocprim17ROCPRIM_400000_NS6detail17trampoline_kernelINS0_14default_configENS1_38merge_sort_block_merge_config_selectorIsNS0_10empty_typeEEEZZNS1_27merge_sort_block_merge_implIS3_N6thrust23THRUST_200600_302600_NS6detail15normal_iteratorINS9_10device_ptrIsEEEEPS5_m11less_div_10IsEEE10hipError_tT0_T1_T2_jT3_P12ihipStream_tbPNSt15iterator_traitsISJ_E10value_typeEPNSP_ISK_E10value_typeEPSL_NS1_7vsmem_tEENKUlT_SJ_SK_SL_E_clIPsSE_SF_SF_EESI_SY_SJ_SK_SL_EUlSY_E_NS1_11comp_targetILNS1_3genE4ELNS1_11target_archE910ELNS1_3gpuE8ELNS1_3repE0EEENS1_48merge_mergepath_partition_config_static_selectorELNS0_4arch9wavefront6targetE0EEEvSK_.has_dyn_sized_stack, 0
	.set _ZN7rocprim17ROCPRIM_400000_NS6detail17trampoline_kernelINS0_14default_configENS1_38merge_sort_block_merge_config_selectorIsNS0_10empty_typeEEEZZNS1_27merge_sort_block_merge_implIS3_N6thrust23THRUST_200600_302600_NS6detail15normal_iteratorINS9_10device_ptrIsEEEEPS5_m11less_div_10IsEEE10hipError_tT0_T1_T2_jT3_P12ihipStream_tbPNSt15iterator_traitsISJ_E10value_typeEPNSP_ISK_E10value_typeEPSL_NS1_7vsmem_tEENKUlT_SJ_SK_SL_E_clIPsSE_SF_SF_EESI_SY_SJ_SK_SL_EUlSY_E_NS1_11comp_targetILNS1_3genE4ELNS1_11target_archE910ELNS1_3gpuE8ELNS1_3repE0EEENS1_48merge_mergepath_partition_config_static_selectorELNS0_4arch9wavefront6targetE0EEEvSK_.has_recursion, 0
	.set _ZN7rocprim17ROCPRIM_400000_NS6detail17trampoline_kernelINS0_14default_configENS1_38merge_sort_block_merge_config_selectorIsNS0_10empty_typeEEEZZNS1_27merge_sort_block_merge_implIS3_N6thrust23THRUST_200600_302600_NS6detail15normal_iteratorINS9_10device_ptrIsEEEEPS5_m11less_div_10IsEEE10hipError_tT0_T1_T2_jT3_P12ihipStream_tbPNSt15iterator_traitsISJ_E10value_typeEPNSP_ISK_E10value_typeEPSL_NS1_7vsmem_tEENKUlT_SJ_SK_SL_E_clIPsSE_SF_SF_EESI_SY_SJ_SK_SL_EUlSY_E_NS1_11comp_targetILNS1_3genE4ELNS1_11target_archE910ELNS1_3gpuE8ELNS1_3repE0EEENS1_48merge_mergepath_partition_config_static_selectorELNS0_4arch9wavefront6targetE0EEEvSK_.has_indirect_call, 0
	.section	.AMDGPU.csdata,"",@progbits
; Kernel info:
; codeLenInByte = 0
; TotalNumSgprs: 0
; NumVgprs: 0
; ScratchSize: 0
; MemoryBound: 0
; FloatMode: 240
; IeeeMode: 1
; LDSByteSize: 0 bytes/workgroup (compile time only)
; SGPRBlocks: 0
; VGPRBlocks: 0
; NumSGPRsForWavesPerEU: 1
; NumVGPRsForWavesPerEU: 1
; Occupancy: 16
; WaveLimiterHint : 0
; COMPUTE_PGM_RSRC2:SCRATCH_EN: 0
; COMPUTE_PGM_RSRC2:USER_SGPR: 6
; COMPUTE_PGM_RSRC2:TRAP_HANDLER: 0
; COMPUTE_PGM_RSRC2:TGID_X_EN: 1
; COMPUTE_PGM_RSRC2:TGID_Y_EN: 0
; COMPUTE_PGM_RSRC2:TGID_Z_EN: 0
; COMPUTE_PGM_RSRC2:TIDIG_COMP_CNT: 0
	.section	.text._ZN7rocprim17ROCPRIM_400000_NS6detail17trampoline_kernelINS0_14default_configENS1_38merge_sort_block_merge_config_selectorIsNS0_10empty_typeEEEZZNS1_27merge_sort_block_merge_implIS3_N6thrust23THRUST_200600_302600_NS6detail15normal_iteratorINS9_10device_ptrIsEEEEPS5_m11less_div_10IsEEE10hipError_tT0_T1_T2_jT3_P12ihipStream_tbPNSt15iterator_traitsISJ_E10value_typeEPNSP_ISK_E10value_typeEPSL_NS1_7vsmem_tEENKUlT_SJ_SK_SL_E_clIPsSE_SF_SF_EESI_SY_SJ_SK_SL_EUlSY_E_NS1_11comp_targetILNS1_3genE3ELNS1_11target_archE908ELNS1_3gpuE7ELNS1_3repE0EEENS1_48merge_mergepath_partition_config_static_selectorELNS0_4arch9wavefront6targetE0EEEvSK_,"axG",@progbits,_ZN7rocprim17ROCPRIM_400000_NS6detail17trampoline_kernelINS0_14default_configENS1_38merge_sort_block_merge_config_selectorIsNS0_10empty_typeEEEZZNS1_27merge_sort_block_merge_implIS3_N6thrust23THRUST_200600_302600_NS6detail15normal_iteratorINS9_10device_ptrIsEEEEPS5_m11less_div_10IsEEE10hipError_tT0_T1_T2_jT3_P12ihipStream_tbPNSt15iterator_traitsISJ_E10value_typeEPNSP_ISK_E10value_typeEPSL_NS1_7vsmem_tEENKUlT_SJ_SK_SL_E_clIPsSE_SF_SF_EESI_SY_SJ_SK_SL_EUlSY_E_NS1_11comp_targetILNS1_3genE3ELNS1_11target_archE908ELNS1_3gpuE7ELNS1_3repE0EEENS1_48merge_mergepath_partition_config_static_selectorELNS0_4arch9wavefront6targetE0EEEvSK_,comdat
	.protected	_ZN7rocprim17ROCPRIM_400000_NS6detail17trampoline_kernelINS0_14default_configENS1_38merge_sort_block_merge_config_selectorIsNS0_10empty_typeEEEZZNS1_27merge_sort_block_merge_implIS3_N6thrust23THRUST_200600_302600_NS6detail15normal_iteratorINS9_10device_ptrIsEEEEPS5_m11less_div_10IsEEE10hipError_tT0_T1_T2_jT3_P12ihipStream_tbPNSt15iterator_traitsISJ_E10value_typeEPNSP_ISK_E10value_typeEPSL_NS1_7vsmem_tEENKUlT_SJ_SK_SL_E_clIPsSE_SF_SF_EESI_SY_SJ_SK_SL_EUlSY_E_NS1_11comp_targetILNS1_3genE3ELNS1_11target_archE908ELNS1_3gpuE7ELNS1_3repE0EEENS1_48merge_mergepath_partition_config_static_selectorELNS0_4arch9wavefront6targetE0EEEvSK_ ; -- Begin function _ZN7rocprim17ROCPRIM_400000_NS6detail17trampoline_kernelINS0_14default_configENS1_38merge_sort_block_merge_config_selectorIsNS0_10empty_typeEEEZZNS1_27merge_sort_block_merge_implIS3_N6thrust23THRUST_200600_302600_NS6detail15normal_iteratorINS9_10device_ptrIsEEEEPS5_m11less_div_10IsEEE10hipError_tT0_T1_T2_jT3_P12ihipStream_tbPNSt15iterator_traitsISJ_E10value_typeEPNSP_ISK_E10value_typeEPSL_NS1_7vsmem_tEENKUlT_SJ_SK_SL_E_clIPsSE_SF_SF_EESI_SY_SJ_SK_SL_EUlSY_E_NS1_11comp_targetILNS1_3genE3ELNS1_11target_archE908ELNS1_3gpuE7ELNS1_3repE0EEENS1_48merge_mergepath_partition_config_static_selectorELNS0_4arch9wavefront6targetE0EEEvSK_
	.globl	_ZN7rocprim17ROCPRIM_400000_NS6detail17trampoline_kernelINS0_14default_configENS1_38merge_sort_block_merge_config_selectorIsNS0_10empty_typeEEEZZNS1_27merge_sort_block_merge_implIS3_N6thrust23THRUST_200600_302600_NS6detail15normal_iteratorINS9_10device_ptrIsEEEEPS5_m11less_div_10IsEEE10hipError_tT0_T1_T2_jT3_P12ihipStream_tbPNSt15iterator_traitsISJ_E10value_typeEPNSP_ISK_E10value_typeEPSL_NS1_7vsmem_tEENKUlT_SJ_SK_SL_E_clIPsSE_SF_SF_EESI_SY_SJ_SK_SL_EUlSY_E_NS1_11comp_targetILNS1_3genE3ELNS1_11target_archE908ELNS1_3gpuE7ELNS1_3repE0EEENS1_48merge_mergepath_partition_config_static_selectorELNS0_4arch9wavefront6targetE0EEEvSK_
	.p2align	8
	.type	_ZN7rocprim17ROCPRIM_400000_NS6detail17trampoline_kernelINS0_14default_configENS1_38merge_sort_block_merge_config_selectorIsNS0_10empty_typeEEEZZNS1_27merge_sort_block_merge_implIS3_N6thrust23THRUST_200600_302600_NS6detail15normal_iteratorINS9_10device_ptrIsEEEEPS5_m11less_div_10IsEEE10hipError_tT0_T1_T2_jT3_P12ihipStream_tbPNSt15iterator_traitsISJ_E10value_typeEPNSP_ISK_E10value_typeEPSL_NS1_7vsmem_tEENKUlT_SJ_SK_SL_E_clIPsSE_SF_SF_EESI_SY_SJ_SK_SL_EUlSY_E_NS1_11comp_targetILNS1_3genE3ELNS1_11target_archE908ELNS1_3gpuE7ELNS1_3repE0EEENS1_48merge_mergepath_partition_config_static_selectorELNS0_4arch9wavefront6targetE0EEEvSK_,@function
_ZN7rocprim17ROCPRIM_400000_NS6detail17trampoline_kernelINS0_14default_configENS1_38merge_sort_block_merge_config_selectorIsNS0_10empty_typeEEEZZNS1_27merge_sort_block_merge_implIS3_N6thrust23THRUST_200600_302600_NS6detail15normal_iteratorINS9_10device_ptrIsEEEEPS5_m11less_div_10IsEEE10hipError_tT0_T1_T2_jT3_P12ihipStream_tbPNSt15iterator_traitsISJ_E10value_typeEPNSP_ISK_E10value_typeEPSL_NS1_7vsmem_tEENKUlT_SJ_SK_SL_E_clIPsSE_SF_SF_EESI_SY_SJ_SK_SL_EUlSY_E_NS1_11comp_targetILNS1_3genE3ELNS1_11target_archE908ELNS1_3gpuE7ELNS1_3repE0EEENS1_48merge_mergepath_partition_config_static_selectorELNS0_4arch9wavefront6targetE0EEEvSK_: ; @_ZN7rocprim17ROCPRIM_400000_NS6detail17trampoline_kernelINS0_14default_configENS1_38merge_sort_block_merge_config_selectorIsNS0_10empty_typeEEEZZNS1_27merge_sort_block_merge_implIS3_N6thrust23THRUST_200600_302600_NS6detail15normal_iteratorINS9_10device_ptrIsEEEEPS5_m11less_div_10IsEEE10hipError_tT0_T1_T2_jT3_P12ihipStream_tbPNSt15iterator_traitsISJ_E10value_typeEPNSP_ISK_E10value_typeEPSL_NS1_7vsmem_tEENKUlT_SJ_SK_SL_E_clIPsSE_SF_SF_EESI_SY_SJ_SK_SL_EUlSY_E_NS1_11comp_targetILNS1_3genE3ELNS1_11target_archE908ELNS1_3gpuE7ELNS1_3repE0EEENS1_48merge_mergepath_partition_config_static_selectorELNS0_4arch9wavefront6targetE0EEEvSK_
; %bb.0:
	.section	.rodata,"a",@progbits
	.p2align	6, 0x0
	.amdhsa_kernel _ZN7rocprim17ROCPRIM_400000_NS6detail17trampoline_kernelINS0_14default_configENS1_38merge_sort_block_merge_config_selectorIsNS0_10empty_typeEEEZZNS1_27merge_sort_block_merge_implIS3_N6thrust23THRUST_200600_302600_NS6detail15normal_iteratorINS9_10device_ptrIsEEEEPS5_m11less_div_10IsEEE10hipError_tT0_T1_T2_jT3_P12ihipStream_tbPNSt15iterator_traitsISJ_E10value_typeEPNSP_ISK_E10value_typeEPSL_NS1_7vsmem_tEENKUlT_SJ_SK_SL_E_clIPsSE_SF_SF_EESI_SY_SJ_SK_SL_EUlSY_E_NS1_11comp_targetILNS1_3genE3ELNS1_11target_archE908ELNS1_3gpuE7ELNS1_3repE0EEENS1_48merge_mergepath_partition_config_static_selectorELNS0_4arch9wavefront6targetE0EEEvSK_
		.amdhsa_group_segment_fixed_size 0
		.amdhsa_private_segment_fixed_size 0
		.amdhsa_kernarg_size 48
		.amdhsa_user_sgpr_count 6
		.amdhsa_user_sgpr_private_segment_buffer 1
		.amdhsa_user_sgpr_dispatch_ptr 0
		.amdhsa_user_sgpr_queue_ptr 0
		.amdhsa_user_sgpr_kernarg_segment_ptr 1
		.amdhsa_user_sgpr_dispatch_id 0
		.amdhsa_user_sgpr_flat_scratch_init 0
		.amdhsa_user_sgpr_private_segment_size 0
		.amdhsa_wavefront_size32 1
		.amdhsa_uses_dynamic_stack 0
		.amdhsa_system_sgpr_private_segment_wavefront_offset 0
		.amdhsa_system_sgpr_workgroup_id_x 1
		.amdhsa_system_sgpr_workgroup_id_y 0
		.amdhsa_system_sgpr_workgroup_id_z 0
		.amdhsa_system_sgpr_workgroup_info 0
		.amdhsa_system_vgpr_workitem_id 0
		.amdhsa_next_free_vgpr 1
		.amdhsa_next_free_sgpr 1
		.amdhsa_reserve_vcc 0
		.amdhsa_reserve_flat_scratch 0
		.amdhsa_float_round_mode_32 0
		.amdhsa_float_round_mode_16_64 0
		.amdhsa_float_denorm_mode_32 3
		.amdhsa_float_denorm_mode_16_64 3
		.amdhsa_dx10_clamp 1
		.amdhsa_ieee_mode 1
		.amdhsa_fp16_overflow 0
		.amdhsa_workgroup_processor_mode 1
		.amdhsa_memory_ordered 1
		.amdhsa_forward_progress 1
		.amdhsa_shared_vgpr_count 0
		.amdhsa_exception_fp_ieee_invalid_op 0
		.amdhsa_exception_fp_denorm_src 0
		.amdhsa_exception_fp_ieee_div_zero 0
		.amdhsa_exception_fp_ieee_overflow 0
		.amdhsa_exception_fp_ieee_underflow 0
		.amdhsa_exception_fp_ieee_inexact 0
		.amdhsa_exception_int_div_zero 0
	.end_amdhsa_kernel
	.section	.text._ZN7rocprim17ROCPRIM_400000_NS6detail17trampoline_kernelINS0_14default_configENS1_38merge_sort_block_merge_config_selectorIsNS0_10empty_typeEEEZZNS1_27merge_sort_block_merge_implIS3_N6thrust23THRUST_200600_302600_NS6detail15normal_iteratorINS9_10device_ptrIsEEEEPS5_m11less_div_10IsEEE10hipError_tT0_T1_T2_jT3_P12ihipStream_tbPNSt15iterator_traitsISJ_E10value_typeEPNSP_ISK_E10value_typeEPSL_NS1_7vsmem_tEENKUlT_SJ_SK_SL_E_clIPsSE_SF_SF_EESI_SY_SJ_SK_SL_EUlSY_E_NS1_11comp_targetILNS1_3genE3ELNS1_11target_archE908ELNS1_3gpuE7ELNS1_3repE0EEENS1_48merge_mergepath_partition_config_static_selectorELNS0_4arch9wavefront6targetE0EEEvSK_,"axG",@progbits,_ZN7rocprim17ROCPRIM_400000_NS6detail17trampoline_kernelINS0_14default_configENS1_38merge_sort_block_merge_config_selectorIsNS0_10empty_typeEEEZZNS1_27merge_sort_block_merge_implIS3_N6thrust23THRUST_200600_302600_NS6detail15normal_iteratorINS9_10device_ptrIsEEEEPS5_m11less_div_10IsEEE10hipError_tT0_T1_T2_jT3_P12ihipStream_tbPNSt15iterator_traitsISJ_E10value_typeEPNSP_ISK_E10value_typeEPSL_NS1_7vsmem_tEENKUlT_SJ_SK_SL_E_clIPsSE_SF_SF_EESI_SY_SJ_SK_SL_EUlSY_E_NS1_11comp_targetILNS1_3genE3ELNS1_11target_archE908ELNS1_3gpuE7ELNS1_3repE0EEENS1_48merge_mergepath_partition_config_static_selectorELNS0_4arch9wavefront6targetE0EEEvSK_,comdat
.Lfunc_end528:
	.size	_ZN7rocprim17ROCPRIM_400000_NS6detail17trampoline_kernelINS0_14default_configENS1_38merge_sort_block_merge_config_selectorIsNS0_10empty_typeEEEZZNS1_27merge_sort_block_merge_implIS3_N6thrust23THRUST_200600_302600_NS6detail15normal_iteratorINS9_10device_ptrIsEEEEPS5_m11less_div_10IsEEE10hipError_tT0_T1_T2_jT3_P12ihipStream_tbPNSt15iterator_traitsISJ_E10value_typeEPNSP_ISK_E10value_typeEPSL_NS1_7vsmem_tEENKUlT_SJ_SK_SL_E_clIPsSE_SF_SF_EESI_SY_SJ_SK_SL_EUlSY_E_NS1_11comp_targetILNS1_3genE3ELNS1_11target_archE908ELNS1_3gpuE7ELNS1_3repE0EEENS1_48merge_mergepath_partition_config_static_selectorELNS0_4arch9wavefront6targetE0EEEvSK_, .Lfunc_end528-_ZN7rocprim17ROCPRIM_400000_NS6detail17trampoline_kernelINS0_14default_configENS1_38merge_sort_block_merge_config_selectorIsNS0_10empty_typeEEEZZNS1_27merge_sort_block_merge_implIS3_N6thrust23THRUST_200600_302600_NS6detail15normal_iteratorINS9_10device_ptrIsEEEEPS5_m11less_div_10IsEEE10hipError_tT0_T1_T2_jT3_P12ihipStream_tbPNSt15iterator_traitsISJ_E10value_typeEPNSP_ISK_E10value_typeEPSL_NS1_7vsmem_tEENKUlT_SJ_SK_SL_E_clIPsSE_SF_SF_EESI_SY_SJ_SK_SL_EUlSY_E_NS1_11comp_targetILNS1_3genE3ELNS1_11target_archE908ELNS1_3gpuE7ELNS1_3repE0EEENS1_48merge_mergepath_partition_config_static_selectorELNS0_4arch9wavefront6targetE0EEEvSK_
                                        ; -- End function
	.set _ZN7rocprim17ROCPRIM_400000_NS6detail17trampoline_kernelINS0_14default_configENS1_38merge_sort_block_merge_config_selectorIsNS0_10empty_typeEEEZZNS1_27merge_sort_block_merge_implIS3_N6thrust23THRUST_200600_302600_NS6detail15normal_iteratorINS9_10device_ptrIsEEEEPS5_m11less_div_10IsEEE10hipError_tT0_T1_T2_jT3_P12ihipStream_tbPNSt15iterator_traitsISJ_E10value_typeEPNSP_ISK_E10value_typeEPSL_NS1_7vsmem_tEENKUlT_SJ_SK_SL_E_clIPsSE_SF_SF_EESI_SY_SJ_SK_SL_EUlSY_E_NS1_11comp_targetILNS1_3genE3ELNS1_11target_archE908ELNS1_3gpuE7ELNS1_3repE0EEENS1_48merge_mergepath_partition_config_static_selectorELNS0_4arch9wavefront6targetE0EEEvSK_.num_vgpr, 0
	.set _ZN7rocprim17ROCPRIM_400000_NS6detail17trampoline_kernelINS0_14default_configENS1_38merge_sort_block_merge_config_selectorIsNS0_10empty_typeEEEZZNS1_27merge_sort_block_merge_implIS3_N6thrust23THRUST_200600_302600_NS6detail15normal_iteratorINS9_10device_ptrIsEEEEPS5_m11less_div_10IsEEE10hipError_tT0_T1_T2_jT3_P12ihipStream_tbPNSt15iterator_traitsISJ_E10value_typeEPNSP_ISK_E10value_typeEPSL_NS1_7vsmem_tEENKUlT_SJ_SK_SL_E_clIPsSE_SF_SF_EESI_SY_SJ_SK_SL_EUlSY_E_NS1_11comp_targetILNS1_3genE3ELNS1_11target_archE908ELNS1_3gpuE7ELNS1_3repE0EEENS1_48merge_mergepath_partition_config_static_selectorELNS0_4arch9wavefront6targetE0EEEvSK_.num_agpr, 0
	.set _ZN7rocprim17ROCPRIM_400000_NS6detail17trampoline_kernelINS0_14default_configENS1_38merge_sort_block_merge_config_selectorIsNS0_10empty_typeEEEZZNS1_27merge_sort_block_merge_implIS3_N6thrust23THRUST_200600_302600_NS6detail15normal_iteratorINS9_10device_ptrIsEEEEPS5_m11less_div_10IsEEE10hipError_tT0_T1_T2_jT3_P12ihipStream_tbPNSt15iterator_traitsISJ_E10value_typeEPNSP_ISK_E10value_typeEPSL_NS1_7vsmem_tEENKUlT_SJ_SK_SL_E_clIPsSE_SF_SF_EESI_SY_SJ_SK_SL_EUlSY_E_NS1_11comp_targetILNS1_3genE3ELNS1_11target_archE908ELNS1_3gpuE7ELNS1_3repE0EEENS1_48merge_mergepath_partition_config_static_selectorELNS0_4arch9wavefront6targetE0EEEvSK_.numbered_sgpr, 0
	.set _ZN7rocprim17ROCPRIM_400000_NS6detail17trampoline_kernelINS0_14default_configENS1_38merge_sort_block_merge_config_selectorIsNS0_10empty_typeEEEZZNS1_27merge_sort_block_merge_implIS3_N6thrust23THRUST_200600_302600_NS6detail15normal_iteratorINS9_10device_ptrIsEEEEPS5_m11less_div_10IsEEE10hipError_tT0_T1_T2_jT3_P12ihipStream_tbPNSt15iterator_traitsISJ_E10value_typeEPNSP_ISK_E10value_typeEPSL_NS1_7vsmem_tEENKUlT_SJ_SK_SL_E_clIPsSE_SF_SF_EESI_SY_SJ_SK_SL_EUlSY_E_NS1_11comp_targetILNS1_3genE3ELNS1_11target_archE908ELNS1_3gpuE7ELNS1_3repE0EEENS1_48merge_mergepath_partition_config_static_selectorELNS0_4arch9wavefront6targetE0EEEvSK_.num_named_barrier, 0
	.set _ZN7rocprim17ROCPRIM_400000_NS6detail17trampoline_kernelINS0_14default_configENS1_38merge_sort_block_merge_config_selectorIsNS0_10empty_typeEEEZZNS1_27merge_sort_block_merge_implIS3_N6thrust23THRUST_200600_302600_NS6detail15normal_iteratorINS9_10device_ptrIsEEEEPS5_m11less_div_10IsEEE10hipError_tT0_T1_T2_jT3_P12ihipStream_tbPNSt15iterator_traitsISJ_E10value_typeEPNSP_ISK_E10value_typeEPSL_NS1_7vsmem_tEENKUlT_SJ_SK_SL_E_clIPsSE_SF_SF_EESI_SY_SJ_SK_SL_EUlSY_E_NS1_11comp_targetILNS1_3genE3ELNS1_11target_archE908ELNS1_3gpuE7ELNS1_3repE0EEENS1_48merge_mergepath_partition_config_static_selectorELNS0_4arch9wavefront6targetE0EEEvSK_.private_seg_size, 0
	.set _ZN7rocprim17ROCPRIM_400000_NS6detail17trampoline_kernelINS0_14default_configENS1_38merge_sort_block_merge_config_selectorIsNS0_10empty_typeEEEZZNS1_27merge_sort_block_merge_implIS3_N6thrust23THRUST_200600_302600_NS6detail15normal_iteratorINS9_10device_ptrIsEEEEPS5_m11less_div_10IsEEE10hipError_tT0_T1_T2_jT3_P12ihipStream_tbPNSt15iterator_traitsISJ_E10value_typeEPNSP_ISK_E10value_typeEPSL_NS1_7vsmem_tEENKUlT_SJ_SK_SL_E_clIPsSE_SF_SF_EESI_SY_SJ_SK_SL_EUlSY_E_NS1_11comp_targetILNS1_3genE3ELNS1_11target_archE908ELNS1_3gpuE7ELNS1_3repE0EEENS1_48merge_mergepath_partition_config_static_selectorELNS0_4arch9wavefront6targetE0EEEvSK_.uses_vcc, 0
	.set _ZN7rocprim17ROCPRIM_400000_NS6detail17trampoline_kernelINS0_14default_configENS1_38merge_sort_block_merge_config_selectorIsNS0_10empty_typeEEEZZNS1_27merge_sort_block_merge_implIS3_N6thrust23THRUST_200600_302600_NS6detail15normal_iteratorINS9_10device_ptrIsEEEEPS5_m11less_div_10IsEEE10hipError_tT0_T1_T2_jT3_P12ihipStream_tbPNSt15iterator_traitsISJ_E10value_typeEPNSP_ISK_E10value_typeEPSL_NS1_7vsmem_tEENKUlT_SJ_SK_SL_E_clIPsSE_SF_SF_EESI_SY_SJ_SK_SL_EUlSY_E_NS1_11comp_targetILNS1_3genE3ELNS1_11target_archE908ELNS1_3gpuE7ELNS1_3repE0EEENS1_48merge_mergepath_partition_config_static_selectorELNS0_4arch9wavefront6targetE0EEEvSK_.uses_flat_scratch, 0
	.set _ZN7rocprim17ROCPRIM_400000_NS6detail17trampoline_kernelINS0_14default_configENS1_38merge_sort_block_merge_config_selectorIsNS0_10empty_typeEEEZZNS1_27merge_sort_block_merge_implIS3_N6thrust23THRUST_200600_302600_NS6detail15normal_iteratorINS9_10device_ptrIsEEEEPS5_m11less_div_10IsEEE10hipError_tT0_T1_T2_jT3_P12ihipStream_tbPNSt15iterator_traitsISJ_E10value_typeEPNSP_ISK_E10value_typeEPSL_NS1_7vsmem_tEENKUlT_SJ_SK_SL_E_clIPsSE_SF_SF_EESI_SY_SJ_SK_SL_EUlSY_E_NS1_11comp_targetILNS1_3genE3ELNS1_11target_archE908ELNS1_3gpuE7ELNS1_3repE0EEENS1_48merge_mergepath_partition_config_static_selectorELNS0_4arch9wavefront6targetE0EEEvSK_.has_dyn_sized_stack, 0
	.set _ZN7rocprim17ROCPRIM_400000_NS6detail17trampoline_kernelINS0_14default_configENS1_38merge_sort_block_merge_config_selectorIsNS0_10empty_typeEEEZZNS1_27merge_sort_block_merge_implIS3_N6thrust23THRUST_200600_302600_NS6detail15normal_iteratorINS9_10device_ptrIsEEEEPS5_m11less_div_10IsEEE10hipError_tT0_T1_T2_jT3_P12ihipStream_tbPNSt15iterator_traitsISJ_E10value_typeEPNSP_ISK_E10value_typeEPSL_NS1_7vsmem_tEENKUlT_SJ_SK_SL_E_clIPsSE_SF_SF_EESI_SY_SJ_SK_SL_EUlSY_E_NS1_11comp_targetILNS1_3genE3ELNS1_11target_archE908ELNS1_3gpuE7ELNS1_3repE0EEENS1_48merge_mergepath_partition_config_static_selectorELNS0_4arch9wavefront6targetE0EEEvSK_.has_recursion, 0
	.set _ZN7rocprim17ROCPRIM_400000_NS6detail17trampoline_kernelINS0_14default_configENS1_38merge_sort_block_merge_config_selectorIsNS0_10empty_typeEEEZZNS1_27merge_sort_block_merge_implIS3_N6thrust23THRUST_200600_302600_NS6detail15normal_iteratorINS9_10device_ptrIsEEEEPS5_m11less_div_10IsEEE10hipError_tT0_T1_T2_jT3_P12ihipStream_tbPNSt15iterator_traitsISJ_E10value_typeEPNSP_ISK_E10value_typeEPSL_NS1_7vsmem_tEENKUlT_SJ_SK_SL_E_clIPsSE_SF_SF_EESI_SY_SJ_SK_SL_EUlSY_E_NS1_11comp_targetILNS1_3genE3ELNS1_11target_archE908ELNS1_3gpuE7ELNS1_3repE0EEENS1_48merge_mergepath_partition_config_static_selectorELNS0_4arch9wavefront6targetE0EEEvSK_.has_indirect_call, 0
	.section	.AMDGPU.csdata,"",@progbits
; Kernel info:
; codeLenInByte = 0
; TotalNumSgprs: 0
; NumVgprs: 0
; ScratchSize: 0
; MemoryBound: 0
; FloatMode: 240
; IeeeMode: 1
; LDSByteSize: 0 bytes/workgroup (compile time only)
; SGPRBlocks: 0
; VGPRBlocks: 0
; NumSGPRsForWavesPerEU: 1
; NumVGPRsForWavesPerEU: 1
; Occupancy: 16
; WaveLimiterHint : 0
; COMPUTE_PGM_RSRC2:SCRATCH_EN: 0
; COMPUTE_PGM_RSRC2:USER_SGPR: 6
; COMPUTE_PGM_RSRC2:TRAP_HANDLER: 0
; COMPUTE_PGM_RSRC2:TGID_X_EN: 1
; COMPUTE_PGM_RSRC2:TGID_Y_EN: 0
; COMPUTE_PGM_RSRC2:TGID_Z_EN: 0
; COMPUTE_PGM_RSRC2:TIDIG_COMP_CNT: 0
	.section	.text._ZN7rocprim17ROCPRIM_400000_NS6detail17trampoline_kernelINS0_14default_configENS1_38merge_sort_block_merge_config_selectorIsNS0_10empty_typeEEEZZNS1_27merge_sort_block_merge_implIS3_N6thrust23THRUST_200600_302600_NS6detail15normal_iteratorINS9_10device_ptrIsEEEEPS5_m11less_div_10IsEEE10hipError_tT0_T1_T2_jT3_P12ihipStream_tbPNSt15iterator_traitsISJ_E10value_typeEPNSP_ISK_E10value_typeEPSL_NS1_7vsmem_tEENKUlT_SJ_SK_SL_E_clIPsSE_SF_SF_EESI_SY_SJ_SK_SL_EUlSY_E_NS1_11comp_targetILNS1_3genE2ELNS1_11target_archE906ELNS1_3gpuE6ELNS1_3repE0EEENS1_48merge_mergepath_partition_config_static_selectorELNS0_4arch9wavefront6targetE0EEEvSK_,"axG",@progbits,_ZN7rocprim17ROCPRIM_400000_NS6detail17trampoline_kernelINS0_14default_configENS1_38merge_sort_block_merge_config_selectorIsNS0_10empty_typeEEEZZNS1_27merge_sort_block_merge_implIS3_N6thrust23THRUST_200600_302600_NS6detail15normal_iteratorINS9_10device_ptrIsEEEEPS5_m11less_div_10IsEEE10hipError_tT0_T1_T2_jT3_P12ihipStream_tbPNSt15iterator_traitsISJ_E10value_typeEPNSP_ISK_E10value_typeEPSL_NS1_7vsmem_tEENKUlT_SJ_SK_SL_E_clIPsSE_SF_SF_EESI_SY_SJ_SK_SL_EUlSY_E_NS1_11comp_targetILNS1_3genE2ELNS1_11target_archE906ELNS1_3gpuE6ELNS1_3repE0EEENS1_48merge_mergepath_partition_config_static_selectorELNS0_4arch9wavefront6targetE0EEEvSK_,comdat
	.protected	_ZN7rocprim17ROCPRIM_400000_NS6detail17trampoline_kernelINS0_14default_configENS1_38merge_sort_block_merge_config_selectorIsNS0_10empty_typeEEEZZNS1_27merge_sort_block_merge_implIS3_N6thrust23THRUST_200600_302600_NS6detail15normal_iteratorINS9_10device_ptrIsEEEEPS5_m11less_div_10IsEEE10hipError_tT0_T1_T2_jT3_P12ihipStream_tbPNSt15iterator_traitsISJ_E10value_typeEPNSP_ISK_E10value_typeEPSL_NS1_7vsmem_tEENKUlT_SJ_SK_SL_E_clIPsSE_SF_SF_EESI_SY_SJ_SK_SL_EUlSY_E_NS1_11comp_targetILNS1_3genE2ELNS1_11target_archE906ELNS1_3gpuE6ELNS1_3repE0EEENS1_48merge_mergepath_partition_config_static_selectorELNS0_4arch9wavefront6targetE0EEEvSK_ ; -- Begin function _ZN7rocprim17ROCPRIM_400000_NS6detail17trampoline_kernelINS0_14default_configENS1_38merge_sort_block_merge_config_selectorIsNS0_10empty_typeEEEZZNS1_27merge_sort_block_merge_implIS3_N6thrust23THRUST_200600_302600_NS6detail15normal_iteratorINS9_10device_ptrIsEEEEPS5_m11less_div_10IsEEE10hipError_tT0_T1_T2_jT3_P12ihipStream_tbPNSt15iterator_traitsISJ_E10value_typeEPNSP_ISK_E10value_typeEPSL_NS1_7vsmem_tEENKUlT_SJ_SK_SL_E_clIPsSE_SF_SF_EESI_SY_SJ_SK_SL_EUlSY_E_NS1_11comp_targetILNS1_3genE2ELNS1_11target_archE906ELNS1_3gpuE6ELNS1_3repE0EEENS1_48merge_mergepath_partition_config_static_selectorELNS0_4arch9wavefront6targetE0EEEvSK_
	.globl	_ZN7rocprim17ROCPRIM_400000_NS6detail17trampoline_kernelINS0_14default_configENS1_38merge_sort_block_merge_config_selectorIsNS0_10empty_typeEEEZZNS1_27merge_sort_block_merge_implIS3_N6thrust23THRUST_200600_302600_NS6detail15normal_iteratorINS9_10device_ptrIsEEEEPS5_m11less_div_10IsEEE10hipError_tT0_T1_T2_jT3_P12ihipStream_tbPNSt15iterator_traitsISJ_E10value_typeEPNSP_ISK_E10value_typeEPSL_NS1_7vsmem_tEENKUlT_SJ_SK_SL_E_clIPsSE_SF_SF_EESI_SY_SJ_SK_SL_EUlSY_E_NS1_11comp_targetILNS1_3genE2ELNS1_11target_archE906ELNS1_3gpuE6ELNS1_3repE0EEENS1_48merge_mergepath_partition_config_static_selectorELNS0_4arch9wavefront6targetE0EEEvSK_
	.p2align	8
	.type	_ZN7rocprim17ROCPRIM_400000_NS6detail17trampoline_kernelINS0_14default_configENS1_38merge_sort_block_merge_config_selectorIsNS0_10empty_typeEEEZZNS1_27merge_sort_block_merge_implIS3_N6thrust23THRUST_200600_302600_NS6detail15normal_iteratorINS9_10device_ptrIsEEEEPS5_m11less_div_10IsEEE10hipError_tT0_T1_T2_jT3_P12ihipStream_tbPNSt15iterator_traitsISJ_E10value_typeEPNSP_ISK_E10value_typeEPSL_NS1_7vsmem_tEENKUlT_SJ_SK_SL_E_clIPsSE_SF_SF_EESI_SY_SJ_SK_SL_EUlSY_E_NS1_11comp_targetILNS1_3genE2ELNS1_11target_archE906ELNS1_3gpuE6ELNS1_3repE0EEENS1_48merge_mergepath_partition_config_static_selectorELNS0_4arch9wavefront6targetE0EEEvSK_,@function
_ZN7rocprim17ROCPRIM_400000_NS6detail17trampoline_kernelINS0_14default_configENS1_38merge_sort_block_merge_config_selectorIsNS0_10empty_typeEEEZZNS1_27merge_sort_block_merge_implIS3_N6thrust23THRUST_200600_302600_NS6detail15normal_iteratorINS9_10device_ptrIsEEEEPS5_m11less_div_10IsEEE10hipError_tT0_T1_T2_jT3_P12ihipStream_tbPNSt15iterator_traitsISJ_E10value_typeEPNSP_ISK_E10value_typeEPSL_NS1_7vsmem_tEENKUlT_SJ_SK_SL_E_clIPsSE_SF_SF_EESI_SY_SJ_SK_SL_EUlSY_E_NS1_11comp_targetILNS1_3genE2ELNS1_11target_archE906ELNS1_3gpuE6ELNS1_3repE0EEENS1_48merge_mergepath_partition_config_static_selectorELNS0_4arch9wavefront6targetE0EEEvSK_: ; @_ZN7rocprim17ROCPRIM_400000_NS6detail17trampoline_kernelINS0_14default_configENS1_38merge_sort_block_merge_config_selectorIsNS0_10empty_typeEEEZZNS1_27merge_sort_block_merge_implIS3_N6thrust23THRUST_200600_302600_NS6detail15normal_iteratorINS9_10device_ptrIsEEEEPS5_m11less_div_10IsEEE10hipError_tT0_T1_T2_jT3_P12ihipStream_tbPNSt15iterator_traitsISJ_E10value_typeEPNSP_ISK_E10value_typeEPSL_NS1_7vsmem_tEENKUlT_SJ_SK_SL_E_clIPsSE_SF_SF_EESI_SY_SJ_SK_SL_EUlSY_E_NS1_11comp_targetILNS1_3genE2ELNS1_11target_archE906ELNS1_3gpuE6ELNS1_3repE0EEENS1_48merge_mergepath_partition_config_static_selectorELNS0_4arch9wavefront6targetE0EEEvSK_
; %bb.0:
	.section	.rodata,"a",@progbits
	.p2align	6, 0x0
	.amdhsa_kernel _ZN7rocprim17ROCPRIM_400000_NS6detail17trampoline_kernelINS0_14default_configENS1_38merge_sort_block_merge_config_selectorIsNS0_10empty_typeEEEZZNS1_27merge_sort_block_merge_implIS3_N6thrust23THRUST_200600_302600_NS6detail15normal_iteratorINS9_10device_ptrIsEEEEPS5_m11less_div_10IsEEE10hipError_tT0_T1_T2_jT3_P12ihipStream_tbPNSt15iterator_traitsISJ_E10value_typeEPNSP_ISK_E10value_typeEPSL_NS1_7vsmem_tEENKUlT_SJ_SK_SL_E_clIPsSE_SF_SF_EESI_SY_SJ_SK_SL_EUlSY_E_NS1_11comp_targetILNS1_3genE2ELNS1_11target_archE906ELNS1_3gpuE6ELNS1_3repE0EEENS1_48merge_mergepath_partition_config_static_selectorELNS0_4arch9wavefront6targetE0EEEvSK_
		.amdhsa_group_segment_fixed_size 0
		.amdhsa_private_segment_fixed_size 0
		.amdhsa_kernarg_size 48
		.amdhsa_user_sgpr_count 6
		.amdhsa_user_sgpr_private_segment_buffer 1
		.amdhsa_user_sgpr_dispatch_ptr 0
		.amdhsa_user_sgpr_queue_ptr 0
		.amdhsa_user_sgpr_kernarg_segment_ptr 1
		.amdhsa_user_sgpr_dispatch_id 0
		.amdhsa_user_sgpr_flat_scratch_init 0
		.amdhsa_user_sgpr_private_segment_size 0
		.amdhsa_wavefront_size32 1
		.amdhsa_uses_dynamic_stack 0
		.amdhsa_system_sgpr_private_segment_wavefront_offset 0
		.amdhsa_system_sgpr_workgroup_id_x 1
		.amdhsa_system_sgpr_workgroup_id_y 0
		.amdhsa_system_sgpr_workgroup_id_z 0
		.amdhsa_system_sgpr_workgroup_info 0
		.amdhsa_system_vgpr_workitem_id 0
		.amdhsa_next_free_vgpr 1
		.amdhsa_next_free_sgpr 1
		.amdhsa_reserve_vcc 0
		.amdhsa_reserve_flat_scratch 0
		.amdhsa_float_round_mode_32 0
		.amdhsa_float_round_mode_16_64 0
		.amdhsa_float_denorm_mode_32 3
		.amdhsa_float_denorm_mode_16_64 3
		.amdhsa_dx10_clamp 1
		.amdhsa_ieee_mode 1
		.amdhsa_fp16_overflow 0
		.amdhsa_workgroup_processor_mode 1
		.amdhsa_memory_ordered 1
		.amdhsa_forward_progress 1
		.amdhsa_shared_vgpr_count 0
		.amdhsa_exception_fp_ieee_invalid_op 0
		.amdhsa_exception_fp_denorm_src 0
		.amdhsa_exception_fp_ieee_div_zero 0
		.amdhsa_exception_fp_ieee_overflow 0
		.amdhsa_exception_fp_ieee_underflow 0
		.amdhsa_exception_fp_ieee_inexact 0
		.amdhsa_exception_int_div_zero 0
	.end_amdhsa_kernel
	.section	.text._ZN7rocprim17ROCPRIM_400000_NS6detail17trampoline_kernelINS0_14default_configENS1_38merge_sort_block_merge_config_selectorIsNS0_10empty_typeEEEZZNS1_27merge_sort_block_merge_implIS3_N6thrust23THRUST_200600_302600_NS6detail15normal_iteratorINS9_10device_ptrIsEEEEPS5_m11less_div_10IsEEE10hipError_tT0_T1_T2_jT3_P12ihipStream_tbPNSt15iterator_traitsISJ_E10value_typeEPNSP_ISK_E10value_typeEPSL_NS1_7vsmem_tEENKUlT_SJ_SK_SL_E_clIPsSE_SF_SF_EESI_SY_SJ_SK_SL_EUlSY_E_NS1_11comp_targetILNS1_3genE2ELNS1_11target_archE906ELNS1_3gpuE6ELNS1_3repE0EEENS1_48merge_mergepath_partition_config_static_selectorELNS0_4arch9wavefront6targetE0EEEvSK_,"axG",@progbits,_ZN7rocprim17ROCPRIM_400000_NS6detail17trampoline_kernelINS0_14default_configENS1_38merge_sort_block_merge_config_selectorIsNS0_10empty_typeEEEZZNS1_27merge_sort_block_merge_implIS3_N6thrust23THRUST_200600_302600_NS6detail15normal_iteratorINS9_10device_ptrIsEEEEPS5_m11less_div_10IsEEE10hipError_tT0_T1_T2_jT3_P12ihipStream_tbPNSt15iterator_traitsISJ_E10value_typeEPNSP_ISK_E10value_typeEPSL_NS1_7vsmem_tEENKUlT_SJ_SK_SL_E_clIPsSE_SF_SF_EESI_SY_SJ_SK_SL_EUlSY_E_NS1_11comp_targetILNS1_3genE2ELNS1_11target_archE906ELNS1_3gpuE6ELNS1_3repE0EEENS1_48merge_mergepath_partition_config_static_selectorELNS0_4arch9wavefront6targetE0EEEvSK_,comdat
.Lfunc_end529:
	.size	_ZN7rocprim17ROCPRIM_400000_NS6detail17trampoline_kernelINS0_14default_configENS1_38merge_sort_block_merge_config_selectorIsNS0_10empty_typeEEEZZNS1_27merge_sort_block_merge_implIS3_N6thrust23THRUST_200600_302600_NS6detail15normal_iteratorINS9_10device_ptrIsEEEEPS5_m11less_div_10IsEEE10hipError_tT0_T1_T2_jT3_P12ihipStream_tbPNSt15iterator_traitsISJ_E10value_typeEPNSP_ISK_E10value_typeEPSL_NS1_7vsmem_tEENKUlT_SJ_SK_SL_E_clIPsSE_SF_SF_EESI_SY_SJ_SK_SL_EUlSY_E_NS1_11comp_targetILNS1_3genE2ELNS1_11target_archE906ELNS1_3gpuE6ELNS1_3repE0EEENS1_48merge_mergepath_partition_config_static_selectorELNS0_4arch9wavefront6targetE0EEEvSK_, .Lfunc_end529-_ZN7rocprim17ROCPRIM_400000_NS6detail17trampoline_kernelINS0_14default_configENS1_38merge_sort_block_merge_config_selectorIsNS0_10empty_typeEEEZZNS1_27merge_sort_block_merge_implIS3_N6thrust23THRUST_200600_302600_NS6detail15normal_iteratorINS9_10device_ptrIsEEEEPS5_m11less_div_10IsEEE10hipError_tT0_T1_T2_jT3_P12ihipStream_tbPNSt15iterator_traitsISJ_E10value_typeEPNSP_ISK_E10value_typeEPSL_NS1_7vsmem_tEENKUlT_SJ_SK_SL_E_clIPsSE_SF_SF_EESI_SY_SJ_SK_SL_EUlSY_E_NS1_11comp_targetILNS1_3genE2ELNS1_11target_archE906ELNS1_3gpuE6ELNS1_3repE0EEENS1_48merge_mergepath_partition_config_static_selectorELNS0_4arch9wavefront6targetE0EEEvSK_
                                        ; -- End function
	.set _ZN7rocprim17ROCPRIM_400000_NS6detail17trampoline_kernelINS0_14default_configENS1_38merge_sort_block_merge_config_selectorIsNS0_10empty_typeEEEZZNS1_27merge_sort_block_merge_implIS3_N6thrust23THRUST_200600_302600_NS6detail15normal_iteratorINS9_10device_ptrIsEEEEPS5_m11less_div_10IsEEE10hipError_tT0_T1_T2_jT3_P12ihipStream_tbPNSt15iterator_traitsISJ_E10value_typeEPNSP_ISK_E10value_typeEPSL_NS1_7vsmem_tEENKUlT_SJ_SK_SL_E_clIPsSE_SF_SF_EESI_SY_SJ_SK_SL_EUlSY_E_NS1_11comp_targetILNS1_3genE2ELNS1_11target_archE906ELNS1_3gpuE6ELNS1_3repE0EEENS1_48merge_mergepath_partition_config_static_selectorELNS0_4arch9wavefront6targetE0EEEvSK_.num_vgpr, 0
	.set _ZN7rocprim17ROCPRIM_400000_NS6detail17trampoline_kernelINS0_14default_configENS1_38merge_sort_block_merge_config_selectorIsNS0_10empty_typeEEEZZNS1_27merge_sort_block_merge_implIS3_N6thrust23THRUST_200600_302600_NS6detail15normal_iteratorINS9_10device_ptrIsEEEEPS5_m11less_div_10IsEEE10hipError_tT0_T1_T2_jT3_P12ihipStream_tbPNSt15iterator_traitsISJ_E10value_typeEPNSP_ISK_E10value_typeEPSL_NS1_7vsmem_tEENKUlT_SJ_SK_SL_E_clIPsSE_SF_SF_EESI_SY_SJ_SK_SL_EUlSY_E_NS1_11comp_targetILNS1_3genE2ELNS1_11target_archE906ELNS1_3gpuE6ELNS1_3repE0EEENS1_48merge_mergepath_partition_config_static_selectorELNS0_4arch9wavefront6targetE0EEEvSK_.num_agpr, 0
	.set _ZN7rocprim17ROCPRIM_400000_NS6detail17trampoline_kernelINS0_14default_configENS1_38merge_sort_block_merge_config_selectorIsNS0_10empty_typeEEEZZNS1_27merge_sort_block_merge_implIS3_N6thrust23THRUST_200600_302600_NS6detail15normal_iteratorINS9_10device_ptrIsEEEEPS5_m11less_div_10IsEEE10hipError_tT0_T1_T2_jT3_P12ihipStream_tbPNSt15iterator_traitsISJ_E10value_typeEPNSP_ISK_E10value_typeEPSL_NS1_7vsmem_tEENKUlT_SJ_SK_SL_E_clIPsSE_SF_SF_EESI_SY_SJ_SK_SL_EUlSY_E_NS1_11comp_targetILNS1_3genE2ELNS1_11target_archE906ELNS1_3gpuE6ELNS1_3repE0EEENS1_48merge_mergepath_partition_config_static_selectorELNS0_4arch9wavefront6targetE0EEEvSK_.numbered_sgpr, 0
	.set _ZN7rocprim17ROCPRIM_400000_NS6detail17trampoline_kernelINS0_14default_configENS1_38merge_sort_block_merge_config_selectorIsNS0_10empty_typeEEEZZNS1_27merge_sort_block_merge_implIS3_N6thrust23THRUST_200600_302600_NS6detail15normal_iteratorINS9_10device_ptrIsEEEEPS5_m11less_div_10IsEEE10hipError_tT0_T1_T2_jT3_P12ihipStream_tbPNSt15iterator_traitsISJ_E10value_typeEPNSP_ISK_E10value_typeEPSL_NS1_7vsmem_tEENKUlT_SJ_SK_SL_E_clIPsSE_SF_SF_EESI_SY_SJ_SK_SL_EUlSY_E_NS1_11comp_targetILNS1_3genE2ELNS1_11target_archE906ELNS1_3gpuE6ELNS1_3repE0EEENS1_48merge_mergepath_partition_config_static_selectorELNS0_4arch9wavefront6targetE0EEEvSK_.num_named_barrier, 0
	.set _ZN7rocprim17ROCPRIM_400000_NS6detail17trampoline_kernelINS0_14default_configENS1_38merge_sort_block_merge_config_selectorIsNS0_10empty_typeEEEZZNS1_27merge_sort_block_merge_implIS3_N6thrust23THRUST_200600_302600_NS6detail15normal_iteratorINS9_10device_ptrIsEEEEPS5_m11less_div_10IsEEE10hipError_tT0_T1_T2_jT3_P12ihipStream_tbPNSt15iterator_traitsISJ_E10value_typeEPNSP_ISK_E10value_typeEPSL_NS1_7vsmem_tEENKUlT_SJ_SK_SL_E_clIPsSE_SF_SF_EESI_SY_SJ_SK_SL_EUlSY_E_NS1_11comp_targetILNS1_3genE2ELNS1_11target_archE906ELNS1_3gpuE6ELNS1_3repE0EEENS1_48merge_mergepath_partition_config_static_selectorELNS0_4arch9wavefront6targetE0EEEvSK_.private_seg_size, 0
	.set _ZN7rocprim17ROCPRIM_400000_NS6detail17trampoline_kernelINS0_14default_configENS1_38merge_sort_block_merge_config_selectorIsNS0_10empty_typeEEEZZNS1_27merge_sort_block_merge_implIS3_N6thrust23THRUST_200600_302600_NS6detail15normal_iteratorINS9_10device_ptrIsEEEEPS5_m11less_div_10IsEEE10hipError_tT0_T1_T2_jT3_P12ihipStream_tbPNSt15iterator_traitsISJ_E10value_typeEPNSP_ISK_E10value_typeEPSL_NS1_7vsmem_tEENKUlT_SJ_SK_SL_E_clIPsSE_SF_SF_EESI_SY_SJ_SK_SL_EUlSY_E_NS1_11comp_targetILNS1_3genE2ELNS1_11target_archE906ELNS1_3gpuE6ELNS1_3repE0EEENS1_48merge_mergepath_partition_config_static_selectorELNS0_4arch9wavefront6targetE0EEEvSK_.uses_vcc, 0
	.set _ZN7rocprim17ROCPRIM_400000_NS6detail17trampoline_kernelINS0_14default_configENS1_38merge_sort_block_merge_config_selectorIsNS0_10empty_typeEEEZZNS1_27merge_sort_block_merge_implIS3_N6thrust23THRUST_200600_302600_NS6detail15normal_iteratorINS9_10device_ptrIsEEEEPS5_m11less_div_10IsEEE10hipError_tT0_T1_T2_jT3_P12ihipStream_tbPNSt15iterator_traitsISJ_E10value_typeEPNSP_ISK_E10value_typeEPSL_NS1_7vsmem_tEENKUlT_SJ_SK_SL_E_clIPsSE_SF_SF_EESI_SY_SJ_SK_SL_EUlSY_E_NS1_11comp_targetILNS1_3genE2ELNS1_11target_archE906ELNS1_3gpuE6ELNS1_3repE0EEENS1_48merge_mergepath_partition_config_static_selectorELNS0_4arch9wavefront6targetE0EEEvSK_.uses_flat_scratch, 0
	.set _ZN7rocprim17ROCPRIM_400000_NS6detail17trampoline_kernelINS0_14default_configENS1_38merge_sort_block_merge_config_selectorIsNS0_10empty_typeEEEZZNS1_27merge_sort_block_merge_implIS3_N6thrust23THRUST_200600_302600_NS6detail15normal_iteratorINS9_10device_ptrIsEEEEPS5_m11less_div_10IsEEE10hipError_tT0_T1_T2_jT3_P12ihipStream_tbPNSt15iterator_traitsISJ_E10value_typeEPNSP_ISK_E10value_typeEPSL_NS1_7vsmem_tEENKUlT_SJ_SK_SL_E_clIPsSE_SF_SF_EESI_SY_SJ_SK_SL_EUlSY_E_NS1_11comp_targetILNS1_3genE2ELNS1_11target_archE906ELNS1_3gpuE6ELNS1_3repE0EEENS1_48merge_mergepath_partition_config_static_selectorELNS0_4arch9wavefront6targetE0EEEvSK_.has_dyn_sized_stack, 0
	.set _ZN7rocprim17ROCPRIM_400000_NS6detail17trampoline_kernelINS0_14default_configENS1_38merge_sort_block_merge_config_selectorIsNS0_10empty_typeEEEZZNS1_27merge_sort_block_merge_implIS3_N6thrust23THRUST_200600_302600_NS6detail15normal_iteratorINS9_10device_ptrIsEEEEPS5_m11less_div_10IsEEE10hipError_tT0_T1_T2_jT3_P12ihipStream_tbPNSt15iterator_traitsISJ_E10value_typeEPNSP_ISK_E10value_typeEPSL_NS1_7vsmem_tEENKUlT_SJ_SK_SL_E_clIPsSE_SF_SF_EESI_SY_SJ_SK_SL_EUlSY_E_NS1_11comp_targetILNS1_3genE2ELNS1_11target_archE906ELNS1_3gpuE6ELNS1_3repE0EEENS1_48merge_mergepath_partition_config_static_selectorELNS0_4arch9wavefront6targetE0EEEvSK_.has_recursion, 0
	.set _ZN7rocprim17ROCPRIM_400000_NS6detail17trampoline_kernelINS0_14default_configENS1_38merge_sort_block_merge_config_selectorIsNS0_10empty_typeEEEZZNS1_27merge_sort_block_merge_implIS3_N6thrust23THRUST_200600_302600_NS6detail15normal_iteratorINS9_10device_ptrIsEEEEPS5_m11less_div_10IsEEE10hipError_tT0_T1_T2_jT3_P12ihipStream_tbPNSt15iterator_traitsISJ_E10value_typeEPNSP_ISK_E10value_typeEPSL_NS1_7vsmem_tEENKUlT_SJ_SK_SL_E_clIPsSE_SF_SF_EESI_SY_SJ_SK_SL_EUlSY_E_NS1_11comp_targetILNS1_3genE2ELNS1_11target_archE906ELNS1_3gpuE6ELNS1_3repE0EEENS1_48merge_mergepath_partition_config_static_selectorELNS0_4arch9wavefront6targetE0EEEvSK_.has_indirect_call, 0
	.section	.AMDGPU.csdata,"",@progbits
; Kernel info:
; codeLenInByte = 0
; TotalNumSgprs: 0
; NumVgprs: 0
; ScratchSize: 0
; MemoryBound: 0
; FloatMode: 240
; IeeeMode: 1
; LDSByteSize: 0 bytes/workgroup (compile time only)
; SGPRBlocks: 0
; VGPRBlocks: 0
; NumSGPRsForWavesPerEU: 1
; NumVGPRsForWavesPerEU: 1
; Occupancy: 16
; WaveLimiterHint : 0
; COMPUTE_PGM_RSRC2:SCRATCH_EN: 0
; COMPUTE_PGM_RSRC2:USER_SGPR: 6
; COMPUTE_PGM_RSRC2:TRAP_HANDLER: 0
; COMPUTE_PGM_RSRC2:TGID_X_EN: 1
; COMPUTE_PGM_RSRC2:TGID_Y_EN: 0
; COMPUTE_PGM_RSRC2:TGID_Z_EN: 0
; COMPUTE_PGM_RSRC2:TIDIG_COMP_CNT: 0
	.section	.text._ZN7rocprim17ROCPRIM_400000_NS6detail17trampoline_kernelINS0_14default_configENS1_38merge_sort_block_merge_config_selectorIsNS0_10empty_typeEEEZZNS1_27merge_sort_block_merge_implIS3_N6thrust23THRUST_200600_302600_NS6detail15normal_iteratorINS9_10device_ptrIsEEEEPS5_m11less_div_10IsEEE10hipError_tT0_T1_T2_jT3_P12ihipStream_tbPNSt15iterator_traitsISJ_E10value_typeEPNSP_ISK_E10value_typeEPSL_NS1_7vsmem_tEENKUlT_SJ_SK_SL_E_clIPsSE_SF_SF_EESI_SY_SJ_SK_SL_EUlSY_E_NS1_11comp_targetILNS1_3genE9ELNS1_11target_archE1100ELNS1_3gpuE3ELNS1_3repE0EEENS1_48merge_mergepath_partition_config_static_selectorELNS0_4arch9wavefront6targetE0EEEvSK_,"axG",@progbits,_ZN7rocprim17ROCPRIM_400000_NS6detail17trampoline_kernelINS0_14default_configENS1_38merge_sort_block_merge_config_selectorIsNS0_10empty_typeEEEZZNS1_27merge_sort_block_merge_implIS3_N6thrust23THRUST_200600_302600_NS6detail15normal_iteratorINS9_10device_ptrIsEEEEPS5_m11less_div_10IsEEE10hipError_tT0_T1_T2_jT3_P12ihipStream_tbPNSt15iterator_traitsISJ_E10value_typeEPNSP_ISK_E10value_typeEPSL_NS1_7vsmem_tEENKUlT_SJ_SK_SL_E_clIPsSE_SF_SF_EESI_SY_SJ_SK_SL_EUlSY_E_NS1_11comp_targetILNS1_3genE9ELNS1_11target_archE1100ELNS1_3gpuE3ELNS1_3repE0EEENS1_48merge_mergepath_partition_config_static_selectorELNS0_4arch9wavefront6targetE0EEEvSK_,comdat
	.protected	_ZN7rocprim17ROCPRIM_400000_NS6detail17trampoline_kernelINS0_14default_configENS1_38merge_sort_block_merge_config_selectorIsNS0_10empty_typeEEEZZNS1_27merge_sort_block_merge_implIS3_N6thrust23THRUST_200600_302600_NS6detail15normal_iteratorINS9_10device_ptrIsEEEEPS5_m11less_div_10IsEEE10hipError_tT0_T1_T2_jT3_P12ihipStream_tbPNSt15iterator_traitsISJ_E10value_typeEPNSP_ISK_E10value_typeEPSL_NS1_7vsmem_tEENKUlT_SJ_SK_SL_E_clIPsSE_SF_SF_EESI_SY_SJ_SK_SL_EUlSY_E_NS1_11comp_targetILNS1_3genE9ELNS1_11target_archE1100ELNS1_3gpuE3ELNS1_3repE0EEENS1_48merge_mergepath_partition_config_static_selectorELNS0_4arch9wavefront6targetE0EEEvSK_ ; -- Begin function _ZN7rocprim17ROCPRIM_400000_NS6detail17trampoline_kernelINS0_14default_configENS1_38merge_sort_block_merge_config_selectorIsNS0_10empty_typeEEEZZNS1_27merge_sort_block_merge_implIS3_N6thrust23THRUST_200600_302600_NS6detail15normal_iteratorINS9_10device_ptrIsEEEEPS5_m11less_div_10IsEEE10hipError_tT0_T1_T2_jT3_P12ihipStream_tbPNSt15iterator_traitsISJ_E10value_typeEPNSP_ISK_E10value_typeEPSL_NS1_7vsmem_tEENKUlT_SJ_SK_SL_E_clIPsSE_SF_SF_EESI_SY_SJ_SK_SL_EUlSY_E_NS1_11comp_targetILNS1_3genE9ELNS1_11target_archE1100ELNS1_3gpuE3ELNS1_3repE0EEENS1_48merge_mergepath_partition_config_static_selectorELNS0_4arch9wavefront6targetE0EEEvSK_
	.globl	_ZN7rocprim17ROCPRIM_400000_NS6detail17trampoline_kernelINS0_14default_configENS1_38merge_sort_block_merge_config_selectorIsNS0_10empty_typeEEEZZNS1_27merge_sort_block_merge_implIS3_N6thrust23THRUST_200600_302600_NS6detail15normal_iteratorINS9_10device_ptrIsEEEEPS5_m11less_div_10IsEEE10hipError_tT0_T1_T2_jT3_P12ihipStream_tbPNSt15iterator_traitsISJ_E10value_typeEPNSP_ISK_E10value_typeEPSL_NS1_7vsmem_tEENKUlT_SJ_SK_SL_E_clIPsSE_SF_SF_EESI_SY_SJ_SK_SL_EUlSY_E_NS1_11comp_targetILNS1_3genE9ELNS1_11target_archE1100ELNS1_3gpuE3ELNS1_3repE0EEENS1_48merge_mergepath_partition_config_static_selectorELNS0_4arch9wavefront6targetE0EEEvSK_
	.p2align	8
	.type	_ZN7rocprim17ROCPRIM_400000_NS6detail17trampoline_kernelINS0_14default_configENS1_38merge_sort_block_merge_config_selectorIsNS0_10empty_typeEEEZZNS1_27merge_sort_block_merge_implIS3_N6thrust23THRUST_200600_302600_NS6detail15normal_iteratorINS9_10device_ptrIsEEEEPS5_m11less_div_10IsEEE10hipError_tT0_T1_T2_jT3_P12ihipStream_tbPNSt15iterator_traitsISJ_E10value_typeEPNSP_ISK_E10value_typeEPSL_NS1_7vsmem_tEENKUlT_SJ_SK_SL_E_clIPsSE_SF_SF_EESI_SY_SJ_SK_SL_EUlSY_E_NS1_11comp_targetILNS1_3genE9ELNS1_11target_archE1100ELNS1_3gpuE3ELNS1_3repE0EEENS1_48merge_mergepath_partition_config_static_selectorELNS0_4arch9wavefront6targetE0EEEvSK_,@function
_ZN7rocprim17ROCPRIM_400000_NS6detail17trampoline_kernelINS0_14default_configENS1_38merge_sort_block_merge_config_selectorIsNS0_10empty_typeEEEZZNS1_27merge_sort_block_merge_implIS3_N6thrust23THRUST_200600_302600_NS6detail15normal_iteratorINS9_10device_ptrIsEEEEPS5_m11less_div_10IsEEE10hipError_tT0_T1_T2_jT3_P12ihipStream_tbPNSt15iterator_traitsISJ_E10value_typeEPNSP_ISK_E10value_typeEPSL_NS1_7vsmem_tEENKUlT_SJ_SK_SL_E_clIPsSE_SF_SF_EESI_SY_SJ_SK_SL_EUlSY_E_NS1_11comp_targetILNS1_3genE9ELNS1_11target_archE1100ELNS1_3gpuE3ELNS1_3repE0EEENS1_48merge_mergepath_partition_config_static_selectorELNS0_4arch9wavefront6targetE0EEEvSK_: ; @_ZN7rocprim17ROCPRIM_400000_NS6detail17trampoline_kernelINS0_14default_configENS1_38merge_sort_block_merge_config_selectorIsNS0_10empty_typeEEEZZNS1_27merge_sort_block_merge_implIS3_N6thrust23THRUST_200600_302600_NS6detail15normal_iteratorINS9_10device_ptrIsEEEEPS5_m11less_div_10IsEEE10hipError_tT0_T1_T2_jT3_P12ihipStream_tbPNSt15iterator_traitsISJ_E10value_typeEPNSP_ISK_E10value_typeEPSL_NS1_7vsmem_tEENKUlT_SJ_SK_SL_E_clIPsSE_SF_SF_EESI_SY_SJ_SK_SL_EUlSY_E_NS1_11comp_targetILNS1_3genE9ELNS1_11target_archE1100ELNS1_3gpuE3ELNS1_3repE0EEENS1_48merge_mergepath_partition_config_static_selectorELNS0_4arch9wavefront6targetE0EEEvSK_
; %bb.0:
	.section	.rodata,"a",@progbits
	.p2align	6, 0x0
	.amdhsa_kernel _ZN7rocprim17ROCPRIM_400000_NS6detail17trampoline_kernelINS0_14default_configENS1_38merge_sort_block_merge_config_selectorIsNS0_10empty_typeEEEZZNS1_27merge_sort_block_merge_implIS3_N6thrust23THRUST_200600_302600_NS6detail15normal_iteratorINS9_10device_ptrIsEEEEPS5_m11less_div_10IsEEE10hipError_tT0_T1_T2_jT3_P12ihipStream_tbPNSt15iterator_traitsISJ_E10value_typeEPNSP_ISK_E10value_typeEPSL_NS1_7vsmem_tEENKUlT_SJ_SK_SL_E_clIPsSE_SF_SF_EESI_SY_SJ_SK_SL_EUlSY_E_NS1_11comp_targetILNS1_3genE9ELNS1_11target_archE1100ELNS1_3gpuE3ELNS1_3repE0EEENS1_48merge_mergepath_partition_config_static_selectorELNS0_4arch9wavefront6targetE0EEEvSK_
		.amdhsa_group_segment_fixed_size 0
		.amdhsa_private_segment_fixed_size 0
		.amdhsa_kernarg_size 48
		.amdhsa_user_sgpr_count 6
		.amdhsa_user_sgpr_private_segment_buffer 1
		.amdhsa_user_sgpr_dispatch_ptr 0
		.amdhsa_user_sgpr_queue_ptr 0
		.amdhsa_user_sgpr_kernarg_segment_ptr 1
		.amdhsa_user_sgpr_dispatch_id 0
		.amdhsa_user_sgpr_flat_scratch_init 0
		.amdhsa_user_sgpr_private_segment_size 0
		.amdhsa_wavefront_size32 1
		.amdhsa_uses_dynamic_stack 0
		.amdhsa_system_sgpr_private_segment_wavefront_offset 0
		.amdhsa_system_sgpr_workgroup_id_x 1
		.amdhsa_system_sgpr_workgroup_id_y 0
		.amdhsa_system_sgpr_workgroup_id_z 0
		.amdhsa_system_sgpr_workgroup_info 0
		.amdhsa_system_vgpr_workitem_id 0
		.amdhsa_next_free_vgpr 1
		.amdhsa_next_free_sgpr 1
		.amdhsa_reserve_vcc 0
		.amdhsa_reserve_flat_scratch 0
		.amdhsa_float_round_mode_32 0
		.amdhsa_float_round_mode_16_64 0
		.amdhsa_float_denorm_mode_32 3
		.amdhsa_float_denorm_mode_16_64 3
		.amdhsa_dx10_clamp 1
		.amdhsa_ieee_mode 1
		.amdhsa_fp16_overflow 0
		.amdhsa_workgroup_processor_mode 1
		.amdhsa_memory_ordered 1
		.amdhsa_forward_progress 1
		.amdhsa_shared_vgpr_count 0
		.amdhsa_exception_fp_ieee_invalid_op 0
		.amdhsa_exception_fp_denorm_src 0
		.amdhsa_exception_fp_ieee_div_zero 0
		.amdhsa_exception_fp_ieee_overflow 0
		.amdhsa_exception_fp_ieee_underflow 0
		.amdhsa_exception_fp_ieee_inexact 0
		.amdhsa_exception_int_div_zero 0
	.end_amdhsa_kernel
	.section	.text._ZN7rocprim17ROCPRIM_400000_NS6detail17trampoline_kernelINS0_14default_configENS1_38merge_sort_block_merge_config_selectorIsNS0_10empty_typeEEEZZNS1_27merge_sort_block_merge_implIS3_N6thrust23THRUST_200600_302600_NS6detail15normal_iteratorINS9_10device_ptrIsEEEEPS5_m11less_div_10IsEEE10hipError_tT0_T1_T2_jT3_P12ihipStream_tbPNSt15iterator_traitsISJ_E10value_typeEPNSP_ISK_E10value_typeEPSL_NS1_7vsmem_tEENKUlT_SJ_SK_SL_E_clIPsSE_SF_SF_EESI_SY_SJ_SK_SL_EUlSY_E_NS1_11comp_targetILNS1_3genE9ELNS1_11target_archE1100ELNS1_3gpuE3ELNS1_3repE0EEENS1_48merge_mergepath_partition_config_static_selectorELNS0_4arch9wavefront6targetE0EEEvSK_,"axG",@progbits,_ZN7rocprim17ROCPRIM_400000_NS6detail17trampoline_kernelINS0_14default_configENS1_38merge_sort_block_merge_config_selectorIsNS0_10empty_typeEEEZZNS1_27merge_sort_block_merge_implIS3_N6thrust23THRUST_200600_302600_NS6detail15normal_iteratorINS9_10device_ptrIsEEEEPS5_m11less_div_10IsEEE10hipError_tT0_T1_T2_jT3_P12ihipStream_tbPNSt15iterator_traitsISJ_E10value_typeEPNSP_ISK_E10value_typeEPSL_NS1_7vsmem_tEENKUlT_SJ_SK_SL_E_clIPsSE_SF_SF_EESI_SY_SJ_SK_SL_EUlSY_E_NS1_11comp_targetILNS1_3genE9ELNS1_11target_archE1100ELNS1_3gpuE3ELNS1_3repE0EEENS1_48merge_mergepath_partition_config_static_selectorELNS0_4arch9wavefront6targetE0EEEvSK_,comdat
.Lfunc_end530:
	.size	_ZN7rocprim17ROCPRIM_400000_NS6detail17trampoline_kernelINS0_14default_configENS1_38merge_sort_block_merge_config_selectorIsNS0_10empty_typeEEEZZNS1_27merge_sort_block_merge_implIS3_N6thrust23THRUST_200600_302600_NS6detail15normal_iteratorINS9_10device_ptrIsEEEEPS5_m11less_div_10IsEEE10hipError_tT0_T1_T2_jT3_P12ihipStream_tbPNSt15iterator_traitsISJ_E10value_typeEPNSP_ISK_E10value_typeEPSL_NS1_7vsmem_tEENKUlT_SJ_SK_SL_E_clIPsSE_SF_SF_EESI_SY_SJ_SK_SL_EUlSY_E_NS1_11comp_targetILNS1_3genE9ELNS1_11target_archE1100ELNS1_3gpuE3ELNS1_3repE0EEENS1_48merge_mergepath_partition_config_static_selectorELNS0_4arch9wavefront6targetE0EEEvSK_, .Lfunc_end530-_ZN7rocprim17ROCPRIM_400000_NS6detail17trampoline_kernelINS0_14default_configENS1_38merge_sort_block_merge_config_selectorIsNS0_10empty_typeEEEZZNS1_27merge_sort_block_merge_implIS3_N6thrust23THRUST_200600_302600_NS6detail15normal_iteratorINS9_10device_ptrIsEEEEPS5_m11less_div_10IsEEE10hipError_tT0_T1_T2_jT3_P12ihipStream_tbPNSt15iterator_traitsISJ_E10value_typeEPNSP_ISK_E10value_typeEPSL_NS1_7vsmem_tEENKUlT_SJ_SK_SL_E_clIPsSE_SF_SF_EESI_SY_SJ_SK_SL_EUlSY_E_NS1_11comp_targetILNS1_3genE9ELNS1_11target_archE1100ELNS1_3gpuE3ELNS1_3repE0EEENS1_48merge_mergepath_partition_config_static_selectorELNS0_4arch9wavefront6targetE0EEEvSK_
                                        ; -- End function
	.set _ZN7rocprim17ROCPRIM_400000_NS6detail17trampoline_kernelINS0_14default_configENS1_38merge_sort_block_merge_config_selectorIsNS0_10empty_typeEEEZZNS1_27merge_sort_block_merge_implIS3_N6thrust23THRUST_200600_302600_NS6detail15normal_iteratorINS9_10device_ptrIsEEEEPS5_m11less_div_10IsEEE10hipError_tT0_T1_T2_jT3_P12ihipStream_tbPNSt15iterator_traitsISJ_E10value_typeEPNSP_ISK_E10value_typeEPSL_NS1_7vsmem_tEENKUlT_SJ_SK_SL_E_clIPsSE_SF_SF_EESI_SY_SJ_SK_SL_EUlSY_E_NS1_11comp_targetILNS1_3genE9ELNS1_11target_archE1100ELNS1_3gpuE3ELNS1_3repE0EEENS1_48merge_mergepath_partition_config_static_selectorELNS0_4arch9wavefront6targetE0EEEvSK_.num_vgpr, 0
	.set _ZN7rocprim17ROCPRIM_400000_NS6detail17trampoline_kernelINS0_14default_configENS1_38merge_sort_block_merge_config_selectorIsNS0_10empty_typeEEEZZNS1_27merge_sort_block_merge_implIS3_N6thrust23THRUST_200600_302600_NS6detail15normal_iteratorINS9_10device_ptrIsEEEEPS5_m11less_div_10IsEEE10hipError_tT0_T1_T2_jT3_P12ihipStream_tbPNSt15iterator_traitsISJ_E10value_typeEPNSP_ISK_E10value_typeEPSL_NS1_7vsmem_tEENKUlT_SJ_SK_SL_E_clIPsSE_SF_SF_EESI_SY_SJ_SK_SL_EUlSY_E_NS1_11comp_targetILNS1_3genE9ELNS1_11target_archE1100ELNS1_3gpuE3ELNS1_3repE0EEENS1_48merge_mergepath_partition_config_static_selectorELNS0_4arch9wavefront6targetE0EEEvSK_.num_agpr, 0
	.set _ZN7rocprim17ROCPRIM_400000_NS6detail17trampoline_kernelINS0_14default_configENS1_38merge_sort_block_merge_config_selectorIsNS0_10empty_typeEEEZZNS1_27merge_sort_block_merge_implIS3_N6thrust23THRUST_200600_302600_NS6detail15normal_iteratorINS9_10device_ptrIsEEEEPS5_m11less_div_10IsEEE10hipError_tT0_T1_T2_jT3_P12ihipStream_tbPNSt15iterator_traitsISJ_E10value_typeEPNSP_ISK_E10value_typeEPSL_NS1_7vsmem_tEENKUlT_SJ_SK_SL_E_clIPsSE_SF_SF_EESI_SY_SJ_SK_SL_EUlSY_E_NS1_11comp_targetILNS1_3genE9ELNS1_11target_archE1100ELNS1_3gpuE3ELNS1_3repE0EEENS1_48merge_mergepath_partition_config_static_selectorELNS0_4arch9wavefront6targetE0EEEvSK_.numbered_sgpr, 0
	.set _ZN7rocprim17ROCPRIM_400000_NS6detail17trampoline_kernelINS0_14default_configENS1_38merge_sort_block_merge_config_selectorIsNS0_10empty_typeEEEZZNS1_27merge_sort_block_merge_implIS3_N6thrust23THRUST_200600_302600_NS6detail15normal_iteratorINS9_10device_ptrIsEEEEPS5_m11less_div_10IsEEE10hipError_tT0_T1_T2_jT3_P12ihipStream_tbPNSt15iterator_traitsISJ_E10value_typeEPNSP_ISK_E10value_typeEPSL_NS1_7vsmem_tEENKUlT_SJ_SK_SL_E_clIPsSE_SF_SF_EESI_SY_SJ_SK_SL_EUlSY_E_NS1_11comp_targetILNS1_3genE9ELNS1_11target_archE1100ELNS1_3gpuE3ELNS1_3repE0EEENS1_48merge_mergepath_partition_config_static_selectorELNS0_4arch9wavefront6targetE0EEEvSK_.num_named_barrier, 0
	.set _ZN7rocprim17ROCPRIM_400000_NS6detail17trampoline_kernelINS0_14default_configENS1_38merge_sort_block_merge_config_selectorIsNS0_10empty_typeEEEZZNS1_27merge_sort_block_merge_implIS3_N6thrust23THRUST_200600_302600_NS6detail15normal_iteratorINS9_10device_ptrIsEEEEPS5_m11less_div_10IsEEE10hipError_tT0_T1_T2_jT3_P12ihipStream_tbPNSt15iterator_traitsISJ_E10value_typeEPNSP_ISK_E10value_typeEPSL_NS1_7vsmem_tEENKUlT_SJ_SK_SL_E_clIPsSE_SF_SF_EESI_SY_SJ_SK_SL_EUlSY_E_NS1_11comp_targetILNS1_3genE9ELNS1_11target_archE1100ELNS1_3gpuE3ELNS1_3repE0EEENS1_48merge_mergepath_partition_config_static_selectorELNS0_4arch9wavefront6targetE0EEEvSK_.private_seg_size, 0
	.set _ZN7rocprim17ROCPRIM_400000_NS6detail17trampoline_kernelINS0_14default_configENS1_38merge_sort_block_merge_config_selectorIsNS0_10empty_typeEEEZZNS1_27merge_sort_block_merge_implIS3_N6thrust23THRUST_200600_302600_NS6detail15normal_iteratorINS9_10device_ptrIsEEEEPS5_m11less_div_10IsEEE10hipError_tT0_T1_T2_jT3_P12ihipStream_tbPNSt15iterator_traitsISJ_E10value_typeEPNSP_ISK_E10value_typeEPSL_NS1_7vsmem_tEENKUlT_SJ_SK_SL_E_clIPsSE_SF_SF_EESI_SY_SJ_SK_SL_EUlSY_E_NS1_11comp_targetILNS1_3genE9ELNS1_11target_archE1100ELNS1_3gpuE3ELNS1_3repE0EEENS1_48merge_mergepath_partition_config_static_selectorELNS0_4arch9wavefront6targetE0EEEvSK_.uses_vcc, 0
	.set _ZN7rocprim17ROCPRIM_400000_NS6detail17trampoline_kernelINS0_14default_configENS1_38merge_sort_block_merge_config_selectorIsNS0_10empty_typeEEEZZNS1_27merge_sort_block_merge_implIS3_N6thrust23THRUST_200600_302600_NS6detail15normal_iteratorINS9_10device_ptrIsEEEEPS5_m11less_div_10IsEEE10hipError_tT0_T1_T2_jT3_P12ihipStream_tbPNSt15iterator_traitsISJ_E10value_typeEPNSP_ISK_E10value_typeEPSL_NS1_7vsmem_tEENKUlT_SJ_SK_SL_E_clIPsSE_SF_SF_EESI_SY_SJ_SK_SL_EUlSY_E_NS1_11comp_targetILNS1_3genE9ELNS1_11target_archE1100ELNS1_3gpuE3ELNS1_3repE0EEENS1_48merge_mergepath_partition_config_static_selectorELNS0_4arch9wavefront6targetE0EEEvSK_.uses_flat_scratch, 0
	.set _ZN7rocprim17ROCPRIM_400000_NS6detail17trampoline_kernelINS0_14default_configENS1_38merge_sort_block_merge_config_selectorIsNS0_10empty_typeEEEZZNS1_27merge_sort_block_merge_implIS3_N6thrust23THRUST_200600_302600_NS6detail15normal_iteratorINS9_10device_ptrIsEEEEPS5_m11less_div_10IsEEE10hipError_tT0_T1_T2_jT3_P12ihipStream_tbPNSt15iterator_traitsISJ_E10value_typeEPNSP_ISK_E10value_typeEPSL_NS1_7vsmem_tEENKUlT_SJ_SK_SL_E_clIPsSE_SF_SF_EESI_SY_SJ_SK_SL_EUlSY_E_NS1_11comp_targetILNS1_3genE9ELNS1_11target_archE1100ELNS1_3gpuE3ELNS1_3repE0EEENS1_48merge_mergepath_partition_config_static_selectorELNS0_4arch9wavefront6targetE0EEEvSK_.has_dyn_sized_stack, 0
	.set _ZN7rocprim17ROCPRIM_400000_NS6detail17trampoline_kernelINS0_14default_configENS1_38merge_sort_block_merge_config_selectorIsNS0_10empty_typeEEEZZNS1_27merge_sort_block_merge_implIS3_N6thrust23THRUST_200600_302600_NS6detail15normal_iteratorINS9_10device_ptrIsEEEEPS5_m11less_div_10IsEEE10hipError_tT0_T1_T2_jT3_P12ihipStream_tbPNSt15iterator_traitsISJ_E10value_typeEPNSP_ISK_E10value_typeEPSL_NS1_7vsmem_tEENKUlT_SJ_SK_SL_E_clIPsSE_SF_SF_EESI_SY_SJ_SK_SL_EUlSY_E_NS1_11comp_targetILNS1_3genE9ELNS1_11target_archE1100ELNS1_3gpuE3ELNS1_3repE0EEENS1_48merge_mergepath_partition_config_static_selectorELNS0_4arch9wavefront6targetE0EEEvSK_.has_recursion, 0
	.set _ZN7rocprim17ROCPRIM_400000_NS6detail17trampoline_kernelINS0_14default_configENS1_38merge_sort_block_merge_config_selectorIsNS0_10empty_typeEEEZZNS1_27merge_sort_block_merge_implIS3_N6thrust23THRUST_200600_302600_NS6detail15normal_iteratorINS9_10device_ptrIsEEEEPS5_m11less_div_10IsEEE10hipError_tT0_T1_T2_jT3_P12ihipStream_tbPNSt15iterator_traitsISJ_E10value_typeEPNSP_ISK_E10value_typeEPSL_NS1_7vsmem_tEENKUlT_SJ_SK_SL_E_clIPsSE_SF_SF_EESI_SY_SJ_SK_SL_EUlSY_E_NS1_11comp_targetILNS1_3genE9ELNS1_11target_archE1100ELNS1_3gpuE3ELNS1_3repE0EEENS1_48merge_mergepath_partition_config_static_selectorELNS0_4arch9wavefront6targetE0EEEvSK_.has_indirect_call, 0
	.section	.AMDGPU.csdata,"",@progbits
; Kernel info:
; codeLenInByte = 0
; TotalNumSgprs: 0
; NumVgprs: 0
; ScratchSize: 0
; MemoryBound: 0
; FloatMode: 240
; IeeeMode: 1
; LDSByteSize: 0 bytes/workgroup (compile time only)
; SGPRBlocks: 0
; VGPRBlocks: 0
; NumSGPRsForWavesPerEU: 1
; NumVGPRsForWavesPerEU: 1
; Occupancy: 16
; WaveLimiterHint : 0
; COMPUTE_PGM_RSRC2:SCRATCH_EN: 0
; COMPUTE_PGM_RSRC2:USER_SGPR: 6
; COMPUTE_PGM_RSRC2:TRAP_HANDLER: 0
; COMPUTE_PGM_RSRC2:TGID_X_EN: 1
; COMPUTE_PGM_RSRC2:TGID_Y_EN: 0
; COMPUTE_PGM_RSRC2:TGID_Z_EN: 0
; COMPUTE_PGM_RSRC2:TIDIG_COMP_CNT: 0
	.section	.text._ZN7rocprim17ROCPRIM_400000_NS6detail17trampoline_kernelINS0_14default_configENS1_38merge_sort_block_merge_config_selectorIsNS0_10empty_typeEEEZZNS1_27merge_sort_block_merge_implIS3_N6thrust23THRUST_200600_302600_NS6detail15normal_iteratorINS9_10device_ptrIsEEEEPS5_m11less_div_10IsEEE10hipError_tT0_T1_T2_jT3_P12ihipStream_tbPNSt15iterator_traitsISJ_E10value_typeEPNSP_ISK_E10value_typeEPSL_NS1_7vsmem_tEENKUlT_SJ_SK_SL_E_clIPsSE_SF_SF_EESI_SY_SJ_SK_SL_EUlSY_E_NS1_11comp_targetILNS1_3genE8ELNS1_11target_archE1030ELNS1_3gpuE2ELNS1_3repE0EEENS1_48merge_mergepath_partition_config_static_selectorELNS0_4arch9wavefront6targetE0EEEvSK_,"axG",@progbits,_ZN7rocprim17ROCPRIM_400000_NS6detail17trampoline_kernelINS0_14default_configENS1_38merge_sort_block_merge_config_selectorIsNS0_10empty_typeEEEZZNS1_27merge_sort_block_merge_implIS3_N6thrust23THRUST_200600_302600_NS6detail15normal_iteratorINS9_10device_ptrIsEEEEPS5_m11less_div_10IsEEE10hipError_tT0_T1_T2_jT3_P12ihipStream_tbPNSt15iterator_traitsISJ_E10value_typeEPNSP_ISK_E10value_typeEPSL_NS1_7vsmem_tEENKUlT_SJ_SK_SL_E_clIPsSE_SF_SF_EESI_SY_SJ_SK_SL_EUlSY_E_NS1_11comp_targetILNS1_3genE8ELNS1_11target_archE1030ELNS1_3gpuE2ELNS1_3repE0EEENS1_48merge_mergepath_partition_config_static_selectorELNS0_4arch9wavefront6targetE0EEEvSK_,comdat
	.protected	_ZN7rocprim17ROCPRIM_400000_NS6detail17trampoline_kernelINS0_14default_configENS1_38merge_sort_block_merge_config_selectorIsNS0_10empty_typeEEEZZNS1_27merge_sort_block_merge_implIS3_N6thrust23THRUST_200600_302600_NS6detail15normal_iteratorINS9_10device_ptrIsEEEEPS5_m11less_div_10IsEEE10hipError_tT0_T1_T2_jT3_P12ihipStream_tbPNSt15iterator_traitsISJ_E10value_typeEPNSP_ISK_E10value_typeEPSL_NS1_7vsmem_tEENKUlT_SJ_SK_SL_E_clIPsSE_SF_SF_EESI_SY_SJ_SK_SL_EUlSY_E_NS1_11comp_targetILNS1_3genE8ELNS1_11target_archE1030ELNS1_3gpuE2ELNS1_3repE0EEENS1_48merge_mergepath_partition_config_static_selectorELNS0_4arch9wavefront6targetE0EEEvSK_ ; -- Begin function _ZN7rocprim17ROCPRIM_400000_NS6detail17trampoline_kernelINS0_14default_configENS1_38merge_sort_block_merge_config_selectorIsNS0_10empty_typeEEEZZNS1_27merge_sort_block_merge_implIS3_N6thrust23THRUST_200600_302600_NS6detail15normal_iteratorINS9_10device_ptrIsEEEEPS5_m11less_div_10IsEEE10hipError_tT0_T1_T2_jT3_P12ihipStream_tbPNSt15iterator_traitsISJ_E10value_typeEPNSP_ISK_E10value_typeEPSL_NS1_7vsmem_tEENKUlT_SJ_SK_SL_E_clIPsSE_SF_SF_EESI_SY_SJ_SK_SL_EUlSY_E_NS1_11comp_targetILNS1_3genE8ELNS1_11target_archE1030ELNS1_3gpuE2ELNS1_3repE0EEENS1_48merge_mergepath_partition_config_static_selectorELNS0_4arch9wavefront6targetE0EEEvSK_
	.globl	_ZN7rocprim17ROCPRIM_400000_NS6detail17trampoline_kernelINS0_14default_configENS1_38merge_sort_block_merge_config_selectorIsNS0_10empty_typeEEEZZNS1_27merge_sort_block_merge_implIS3_N6thrust23THRUST_200600_302600_NS6detail15normal_iteratorINS9_10device_ptrIsEEEEPS5_m11less_div_10IsEEE10hipError_tT0_T1_T2_jT3_P12ihipStream_tbPNSt15iterator_traitsISJ_E10value_typeEPNSP_ISK_E10value_typeEPSL_NS1_7vsmem_tEENKUlT_SJ_SK_SL_E_clIPsSE_SF_SF_EESI_SY_SJ_SK_SL_EUlSY_E_NS1_11comp_targetILNS1_3genE8ELNS1_11target_archE1030ELNS1_3gpuE2ELNS1_3repE0EEENS1_48merge_mergepath_partition_config_static_selectorELNS0_4arch9wavefront6targetE0EEEvSK_
	.p2align	8
	.type	_ZN7rocprim17ROCPRIM_400000_NS6detail17trampoline_kernelINS0_14default_configENS1_38merge_sort_block_merge_config_selectorIsNS0_10empty_typeEEEZZNS1_27merge_sort_block_merge_implIS3_N6thrust23THRUST_200600_302600_NS6detail15normal_iteratorINS9_10device_ptrIsEEEEPS5_m11less_div_10IsEEE10hipError_tT0_T1_T2_jT3_P12ihipStream_tbPNSt15iterator_traitsISJ_E10value_typeEPNSP_ISK_E10value_typeEPSL_NS1_7vsmem_tEENKUlT_SJ_SK_SL_E_clIPsSE_SF_SF_EESI_SY_SJ_SK_SL_EUlSY_E_NS1_11comp_targetILNS1_3genE8ELNS1_11target_archE1030ELNS1_3gpuE2ELNS1_3repE0EEENS1_48merge_mergepath_partition_config_static_selectorELNS0_4arch9wavefront6targetE0EEEvSK_,@function
_ZN7rocprim17ROCPRIM_400000_NS6detail17trampoline_kernelINS0_14default_configENS1_38merge_sort_block_merge_config_selectorIsNS0_10empty_typeEEEZZNS1_27merge_sort_block_merge_implIS3_N6thrust23THRUST_200600_302600_NS6detail15normal_iteratorINS9_10device_ptrIsEEEEPS5_m11less_div_10IsEEE10hipError_tT0_T1_T2_jT3_P12ihipStream_tbPNSt15iterator_traitsISJ_E10value_typeEPNSP_ISK_E10value_typeEPSL_NS1_7vsmem_tEENKUlT_SJ_SK_SL_E_clIPsSE_SF_SF_EESI_SY_SJ_SK_SL_EUlSY_E_NS1_11comp_targetILNS1_3genE8ELNS1_11target_archE1030ELNS1_3gpuE2ELNS1_3repE0EEENS1_48merge_mergepath_partition_config_static_selectorELNS0_4arch9wavefront6targetE0EEEvSK_: ; @_ZN7rocprim17ROCPRIM_400000_NS6detail17trampoline_kernelINS0_14default_configENS1_38merge_sort_block_merge_config_selectorIsNS0_10empty_typeEEEZZNS1_27merge_sort_block_merge_implIS3_N6thrust23THRUST_200600_302600_NS6detail15normal_iteratorINS9_10device_ptrIsEEEEPS5_m11less_div_10IsEEE10hipError_tT0_T1_T2_jT3_P12ihipStream_tbPNSt15iterator_traitsISJ_E10value_typeEPNSP_ISK_E10value_typeEPSL_NS1_7vsmem_tEENKUlT_SJ_SK_SL_E_clIPsSE_SF_SF_EESI_SY_SJ_SK_SL_EUlSY_E_NS1_11comp_targetILNS1_3genE8ELNS1_11target_archE1030ELNS1_3gpuE2ELNS1_3repE0EEENS1_48merge_mergepath_partition_config_static_selectorELNS0_4arch9wavefront6targetE0EEEvSK_
; %bb.0:
	s_load_dword s0, s[4:5], 0x0
	v_lshl_or_b32 v0, s6, 7, v0
	s_waitcnt lgkmcnt(0)
	v_cmp_gt_u32_e32 vcc_lo, s0, v0
	s_and_saveexec_b32 s0, vcc_lo
	s_cbranch_execz .LBB531_6
; %bb.1:
	s_load_dwordx4 s[0:3], s[4:5], 0x8
	v_mov_b32_e32 v2, 0
	v_mov_b32_e32 v11, v2
	s_waitcnt lgkmcnt(0)
	s_lshr_b64 s[6:7], s[0:1], 9
	s_and_b32 s6, s6, -2
	s_sub_i32 s7, 0, s6
	s_add_i32 s6, s6, -1
	v_and_b32_e32 v1, s7, v0
	v_and_b32_e32 v10, s6, v0
	v_lshlrev_b64 v[4:5], 10, v[1:2]
	v_add_co_u32 v6, vcc_lo, v4, s0
	v_add_co_ci_u32_e64 v7, null, s1, v5, vcc_lo
	v_cmp_lt_u64_e32 vcc_lo, s[2:3], v[6:7]
	v_cndmask_b32_e64 v8, v6, s2, vcc_lo
	v_cndmask_b32_e64 v9, v7, s3, vcc_lo
	v_add_co_u32 v6, vcc_lo, v8, s0
	v_add_co_ci_u32_e64 v7, null, s1, v9, vcc_lo
	v_cmp_lt_u64_e32 vcc_lo, s[2:3], v[4:5]
	s_mov_b32 s1, 0
	v_cmp_lt_u64_e64 s0, s[2:3], v[6:7]
	v_cndmask_b32_e64 v2, v4, s2, vcc_lo
	v_cndmask_b32_e64 v3, v5, s3, vcc_lo
	v_lshlrev_b64 v[4:5], 10, v[10:11]
	v_cndmask_b32_e64 v12, v6, s2, s0
	v_cndmask_b32_e64 v1, v7, s3, s0
	s_load_dwordx2 s[2:3], s[4:5], 0x28
	v_sub_co_u32 v6, vcc_lo, v12, v2
	v_sub_co_ci_u32_e64 v7, null, v1, v3, vcc_lo
	v_cmp_lt_u64_e32 vcc_lo, v[6:7], v[4:5]
	v_cndmask_b32_e32 v11, v5, v7, vcc_lo
	v_cndmask_b32_e32 v10, v4, v6, vcc_lo
	v_sub_co_u32 v4, vcc_lo, v8, v12
	v_sub_co_ci_u32_e64 v1, null, v9, v1, vcc_lo
	v_add_co_u32 v4, vcc_lo, v10, v4
	v_add_co_ci_u32_e64 v5, null, v11, v1, vcc_lo
	v_sub_co_u32 v6, vcc_lo, v8, v2
	v_sub_co_ci_u32_e64 v7, null, v9, v3, vcc_lo
	v_cmp_gt_u64_e32 vcc_lo, v[4:5], v[10:11]
	v_cmp_lt_u64_e64 s0, v[10:11], v[6:7]
	v_cndmask_b32_e64 v5, v5, 0, vcc_lo
	v_cndmask_b32_e64 v4, v4, 0, vcc_lo
	v_cndmask_b32_e64 v7, v7, v11, s0
	v_cndmask_b32_e64 v6, v6, v10, s0
	s_mov_b32 s0, exec_lo
	v_cmpx_lt_u64_e64 v[4:5], v[6:7]
	s_cbranch_execz .LBB531_5
; %bb.2:
	s_load_dwordx2 s[4:5], s[4:5], 0x18
	v_lshlrev_b64 v[8:9], 1, v[8:9]
	v_lshlrev_b64 v[12:13], 1, v[2:3]
	v_lshlrev_b64 v[10:11], 1, v[10:11]
	s_waitcnt lgkmcnt(0)
	v_add_co_u32 v14, vcc_lo, s4, v8
	v_add_co_ci_u32_e64 v15, null, s5, v9, vcc_lo
	v_add_co_u32 v1, vcc_lo, s4, v12
	v_add_co_ci_u32_e64 v8, null, s5, v13, vcc_lo
	;; [unrolled: 2-line block ×3, first 2 shown]
	s_inst_prefetch 0x1
	.p2align	6
.LBB531_3:                              ; =>This Inner Loop Header: Depth=1
	v_add_co_u32 v11, vcc_lo, v6, v4
	v_add_co_ci_u32_e64 v12, null, v7, v5, vcc_lo
	v_and_b32_e32 v13, -2, v11
	v_xor_b32_e32 v16, -1, v12
	v_xor_b32_e32 v15, -2, v13
	v_add_co_u32 v13, vcc_lo, v1, v13
	v_add_co_ci_u32_e64 v14, null, v8, v12, vcc_lo
	v_add_co_u32 v15, vcc_lo, v9, v15
	v_add_co_ci_u32_e64 v16, null, v10, v16, vcc_lo
	v_lshrrev_b64 v[11:12], 1, v[11:12]
	s_clause 0x1
	global_load_sshort v13, v[13:14], off
	global_load_sshort v14, v[15:16], off
	v_add_co_u32 v17, vcc_lo, v11, 1
	s_waitcnt vmcnt(1)
	v_mul_i32_i24_e32 v13, 0x6667, v13
	s_waitcnt vmcnt(0)
	v_mul_i32_i24_e32 v14, 0x6667, v14
	v_lshrrev_b32_e32 v15, 31, v13
	v_ashrrev_i32_e32 v13, 18, v13
	v_lshrrev_b32_e32 v16, 31, v14
	v_ashrrev_i32_e32 v14, 18, v14
	v_add_nc_u16 v13, v13, v15
	v_add_co_ci_u32_e64 v15, null, 0, v12, vcc_lo
	v_add_nc_u16 v14, v14, v16
	v_cmp_lt_i16_e32 vcc_lo, v14, v13
	v_cndmask_b32_e32 v7, v7, v12, vcc_lo
	v_cndmask_b32_e32 v6, v6, v11, vcc_lo
	;; [unrolled: 1-line block ×4, first 2 shown]
	v_cmp_ge_u64_e32 vcc_lo, v[4:5], v[6:7]
	s_or_b32 s1, vcc_lo, s1
	s_andn2_b32 exec_lo, exec_lo, s1
	s_cbranch_execnz .LBB531_3
; %bb.4:
	s_inst_prefetch 0x2
	s_or_b32 exec_lo, exec_lo, s1
.LBB531_5:
	s_or_b32 exec_lo, exec_lo, s0
	v_mov_b32_e32 v1, 0
	v_add_co_u32 v2, vcc_lo, v4, v2
	v_add_co_ci_u32_e64 v3, null, v5, v3, vcc_lo
	v_lshlrev_b64 v[0:1], 3, v[0:1]
	s_waitcnt lgkmcnt(0)
	v_add_co_u32 v0, vcc_lo, s2, v0
	v_add_co_ci_u32_e64 v1, null, s3, v1, vcc_lo
	global_store_dwordx2 v[0:1], v[2:3], off
.LBB531_6:
	s_endpgm
	.section	.rodata,"a",@progbits
	.p2align	6, 0x0
	.amdhsa_kernel _ZN7rocprim17ROCPRIM_400000_NS6detail17trampoline_kernelINS0_14default_configENS1_38merge_sort_block_merge_config_selectorIsNS0_10empty_typeEEEZZNS1_27merge_sort_block_merge_implIS3_N6thrust23THRUST_200600_302600_NS6detail15normal_iteratorINS9_10device_ptrIsEEEEPS5_m11less_div_10IsEEE10hipError_tT0_T1_T2_jT3_P12ihipStream_tbPNSt15iterator_traitsISJ_E10value_typeEPNSP_ISK_E10value_typeEPSL_NS1_7vsmem_tEENKUlT_SJ_SK_SL_E_clIPsSE_SF_SF_EESI_SY_SJ_SK_SL_EUlSY_E_NS1_11comp_targetILNS1_3genE8ELNS1_11target_archE1030ELNS1_3gpuE2ELNS1_3repE0EEENS1_48merge_mergepath_partition_config_static_selectorELNS0_4arch9wavefront6targetE0EEEvSK_
		.amdhsa_group_segment_fixed_size 0
		.amdhsa_private_segment_fixed_size 0
		.amdhsa_kernarg_size 48
		.amdhsa_user_sgpr_count 6
		.amdhsa_user_sgpr_private_segment_buffer 1
		.amdhsa_user_sgpr_dispatch_ptr 0
		.amdhsa_user_sgpr_queue_ptr 0
		.amdhsa_user_sgpr_kernarg_segment_ptr 1
		.amdhsa_user_sgpr_dispatch_id 0
		.amdhsa_user_sgpr_flat_scratch_init 0
		.amdhsa_user_sgpr_private_segment_size 0
		.amdhsa_wavefront_size32 1
		.amdhsa_uses_dynamic_stack 0
		.amdhsa_system_sgpr_private_segment_wavefront_offset 0
		.amdhsa_system_sgpr_workgroup_id_x 1
		.amdhsa_system_sgpr_workgroup_id_y 0
		.amdhsa_system_sgpr_workgroup_id_z 0
		.amdhsa_system_sgpr_workgroup_info 0
		.amdhsa_system_vgpr_workitem_id 0
		.amdhsa_next_free_vgpr 18
		.amdhsa_next_free_sgpr 8
		.amdhsa_reserve_vcc 1
		.amdhsa_reserve_flat_scratch 0
		.amdhsa_float_round_mode_32 0
		.amdhsa_float_round_mode_16_64 0
		.amdhsa_float_denorm_mode_32 3
		.amdhsa_float_denorm_mode_16_64 3
		.amdhsa_dx10_clamp 1
		.amdhsa_ieee_mode 1
		.amdhsa_fp16_overflow 0
		.amdhsa_workgroup_processor_mode 1
		.amdhsa_memory_ordered 1
		.amdhsa_forward_progress 1
		.amdhsa_shared_vgpr_count 0
		.amdhsa_exception_fp_ieee_invalid_op 0
		.amdhsa_exception_fp_denorm_src 0
		.amdhsa_exception_fp_ieee_div_zero 0
		.amdhsa_exception_fp_ieee_overflow 0
		.amdhsa_exception_fp_ieee_underflow 0
		.amdhsa_exception_fp_ieee_inexact 0
		.amdhsa_exception_int_div_zero 0
	.end_amdhsa_kernel
	.section	.text._ZN7rocprim17ROCPRIM_400000_NS6detail17trampoline_kernelINS0_14default_configENS1_38merge_sort_block_merge_config_selectorIsNS0_10empty_typeEEEZZNS1_27merge_sort_block_merge_implIS3_N6thrust23THRUST_200600_302600_NS6detail15normal_iteratorINS9_10device_ptrIsEEEEPS5_m11less_div_10IsEEE10hipError_tT0_T1_T2_jT3_P12ihipStream_tbPNSt15iterator_traitsISJ_E10value_typeEPNSP_ISK_E10value_typeEPSL_NS1_7vsmem_tEENKUlT_SJ_SK_SL_E_clIPsSE_SF_SF_EESI_SY_SJ_SK_SL_EUlSY_E_NS1_11comp_targetILNS1_3genE8ELNS1_11target_archE1030ELNS1_3gpuE2ELNS1_3repE0EEENS1_48merge_mergepath_partition_config_static_selectorELNS0_4arch9wavefront6targetE0EEEvSK_,"axG",@progbits,_ZN7rocprim17ROCPRIM_400000_NS6detail17trampoline_kernelINS0_14default_configENS1_38merge_sort_block_merge_config_selectorIsNS0_10empty_typeEEEZZNS1_27merge_sort_block_merge_implIS3_N6thrust23THRUST_200600_302600_NS6detail15normal_iteratorINS9_10device_ptrIsEEEEPS5_m11less_div_10IsEEE10hipError_tT0_T1_T2_jT3_P12ihipStream_tbPNSt15iterator_traitsISJ_E10value_typeEPNSP_ISK_E10value_typeEPSL_NS1_7vsmem_tEENKUlT_SJ_SK_SL_E_clIPsSE_SF_SF_EESI_SY_SJ_SK_SL_EUlSY_E_NS1_11comp_targetILNS1_3genE8ELNS1_11target_archE1030ELNS1_3gpuE2ELNS1_3repE0EEENS1_48merge_mergepath_partition_config_static_selectorELNS0_4arch9wavefront6targetE0EEEvSK_,comdat
.Lfunc_end531:
	.size	_ZN7rocprim17ROCPRIM_400000_NS6detail17trampoline_kernelINS0_14default_configENS1_38merge_sort_block_merge_config_selectorIsNS0_10empty_typeEEEZZNS1_27merge_sort_block_merge_implIS3_N6thrust23THRUST_200600_302600_NS6detail15normal_iteratorINS9_10device_ptrIsEEEEPS5_m11less_div_10IsEEE10hipError_tT0_T1_T2_jT3_P12ihipStream_tbPNSt15iterator_traitsISJ_E10value_typeEPNSP_ISK_E10value_typeEPSL_NS1_7vsmem_tEENKUlT_SJ_SK_SL_E_clIPsSE_SF_SF_EESI_SY_SJ_SK_SL_EUlSY_E_NS1_11comp_targetILNS1_3genE8ELNS1_11target_archE1030ELNS1_3gpuE2ELNS1_3repE0EEENS1_48merge_mergepath_partition_config_static_selectorELNS0_4arch9wavefront6targetE0EEEvSK_, .Lfunc_end531-_ZN7rocprim17ROCPRIM_400000_NS6detail17trampoline_kernelINS0_14default_configENS1_38merge_sort_block_merge_config_selectorIsNS0_10empty_typeEEEZZNS1_27merge_sort_block_merge_implIS3_N6thrust23THRUST_200600_302600_NS6detail15normal_iteratorINS9_10device_ptrIsEEEEPS5_m11less_div_10IsEEE10hipError_tT0_T1_T2_jT3_P12ihipStream_tbPNSt15iterator_traitsISJ_E10value_typeEPNSP_ISK_E10value_typeEPSL_NS1_7vsmem_tEENKUlT_SJ_SK_SL_E_clIPsSE_SF_SF_EESI_SY_SJ_SK_SL_EUlSY_E_NS1_11comp_targetILNS1_3genE8ELNS1_11target_archE1030ELNS1_3gpuE2ELNS1_3repE0EEENS1_48merge_mergepath_partition_config_static_selectorELNS0_4arch9wavefront6targetE0EEEvSK_
                                        ; -- End function
	.set _ZN7rocprim17ROCPRIM_400000_NS6detail17trampoline_kernelINS0_14default_configENS1_38merge_sort_block_merge_config_selectorIsNS0_10empty_typeEEEZZNS1_27merge_sort_block_merge_implIS3_N6thrust23THRUST_200600_302600_NS6detail15normal_iteratorINS9_10device_ptrIsEEEEPS5_m11less_div_10IsEEE10hipError_tT0_T1_T2_jT3_P12ihipStream_tbPNSt15iterator_traitsISJ_E10value_typeEPNSP_ISK_E10value_typeEPSL_NS1_7vsmem_tEENKUlT_SJ_SK_SL_E_clIPsSE_SF_SF_EESI_SY_SJ_SK_SL_EUlSY_E_NS1_11comp_targetILNS1_3genE8ELNS1_11target_archE1030ELNS1_3gpuE2ELNS1_3repE0EEENS1_48merge_mergepath_partition_config_static_selectorELNS0_4arch9wavefront6targetE0EEEvSK_.num_vgpr, 18
	.set _ZN7rocprim17ROCPRIM_400000_NS6detail17trampoline_kernelINS0_14default_configENS1_38merge_sort_block_merge_config_selectorIsNS0_10empty_typeEEEZZNS1_27merge_sort_block_merge_implIS3_N6thrust23THRUST_200600_302600_NS6detail15normal_iteratorINS9_10device_ptrIsEEEEPS5_m11less_div_10IsEEE10hipError_tT0_T1_T2_jT3_P12ihipStream_tbPNSt15iterator_traitsISJ_E10value_typeEPNSP_ISK_E10value_typeEPSL_NS1_7vsmem_tEENKUlT_SJ_SK_SL_E_clIPsSE_SF_SF_EESI_SY_SJ_SK_SL_EUlSY_E_NS1_11comp_targetILNS1_3genE8ELNS1_11target_archE1030ELNS1_3gpuE2ELNS1_3repE0EEENS1_48merge_mergepath_partition_config_static_selectorELNS0_4arch9wavefront6targetE0EEEvSK_.num_agpr, 0
	.set _ZN7rocprim17ROCPRIM_400000_NS6detail17trampoline_kernelINS0_14default_configENS1_38merge_sort_block_merge_config_selectorIsNS0_10empty_typeEEEZZNS1_27merge_sort_block_merge_implIS3_N6thrust23THRUST_200600_302600_NS6detail15normal_iteratorINS9_10device_ptrIsEEEEPS5_m11less_div_10IsEEE10hipError_tT0_T1_T2_jT3_P12ihipStream_tbPNSt15iterator_traitsISJ_E10value_typeEPNSP_ISK_E10value_typeEPSL_NS1_7vsmem_tEENKUlT_SJ_SK_SL_E_clIPsSE_SF_SF_EESI_SY_SJ_SK_SL_EUlSY_E_NS1_11comp_targetILNS1_3genE8ELNS1_11target_archE1030ELNS1_3gpuE2ELNS1_3repE0EEENS1_48merge_mergepath_partition_config_static_selectorELNS0_4arch9wavefront6targetE0EEEvSK_.numbered_sgpr, 8
	.set _ZN7rocprim17ROCPRIM_400000_NS6detail17trampoline_kernelINS0_14default_configENS1_38merge_sort_block_merge_config_selectorIsNS0_10empty_typeEEEZZNS1_27merge_sort_block_merge_implIS3_N6thrust23THRUST_200600_302600_NS6detail15normal_iteratorINS9_10device_ptrIsEEEEPS5_m11less_div_10IsEEE10hipError_tT0_T1_T2_jT3_P12ihipStream_tbPNSt15iterator_traitsISJ_E10value_typeEPNSP_ISK_E10value_typeEPSL_NS1_7vsmem_tEENKUlT_SJ_SK_SL_E_clIPsSE_SF_SF_EESI_SY_SJ_SK_SL_EUlSY_E_NS1_11comp_targetILNS1_3genE8ELNS1_11target_archE1030ELNS1_3gpuE2ELNS1_3repE0EEENS1_48merge_mergepath_partition_config_static_selectorELNS0_4arch9wavefront6targetE0EEEvSK_.num_named_barrier, 0
	.set _ZN7rocprim17ROCPRIM_400000_NS6detail17trampoline_kernelINS0_14default_configENS1_38merge_sort_block_merge_config_selectorIsNS0_10empty_typeEEEZZNS1_27merge_sort_block_merge_implIS3_N6thrust23THRUST_200600_302600_NS6detail15normal_iteratorINS9_10device_ptrIsEEEEPS5_m11less_div_10IsEEE10hipError_tT0_T1_T2_jT3_P12ihipStream_tbPNSt15iterator_traitsISJ_E10value_typeEPNSP_ISK_E10value_typeEPSL_NS1_7vsmem_tEENKUlT_SJ_SK_SL_E_clIPsSE_SF_SF_EESI_SY_SJ_SK_SL_EUlSY_E_NS1_11comp_targetILNS1_3genE8ELNS1_11target_archE1030ELNS1_3gpuE2ELNS1_3repE0EEENS1_48merge_mergepath_partition_config_static_selectorELNS0_4arch9wavefront6targetE0EEEvSK_.private_seg_size, 0
	.set _ZN7rocprim17ROCPRIM_400000_NS6detail17trampoline_kernelINS0_14default_configENS1_38merge_sort_block_merge_config_selectorIsNS0_10empty_typeEEEZZNS1_27merge_sort_block_merge_implIS3_N6thrust23THRUST_200600_302600_NS6detail15normal_iteratorINS9_10device_ptrIsEEEEPS5_m11less_div_10IsEEE10hipError_tT0_T1_T2_jT3_P12ihipStream_tbPNSt15iterator_traitsISJ_E10value_typeEPNSP_ISK_E10value_typeEPSL_NS1_7vsmem_tEENKUlT_SJ_SK_SL_E_clIPsSE_SF_SF_EESI_SY_SJ_SK_SL_EUlSY_E_NS1_11comp_targetILNS1_3genE8ELNS1_11target_archE1030ELNS1_3gpuE2ELNS1_3repE0EEENS1_48merge_mergepath_partition_config_static_selectorELNS0_4arch9wavefront6targetE0EEEvSK_.uses_vcc, 1
	.set _ZN7rocprim17ROCPRIM_400000_NS6detail17trampoline_kernelINS0_14default_configENS1_38merge_sort_block_merge_config_selectorIsNS0_10empty_typeEEEZZNS1_27merge_sort_block_merge_implIS3_N6thrust23THRUST_200600_302600_NS6detail15normal_iteratorINS9_10device_ptrIsEEEEPS5_m11less_div_10IsEEE10hipError_tT0_T1_T2_jT3_P12ihipStream_tbPNSt15iterator_traitsISJ_E10value_typeEPNSP_ISK_E10value_typeEPSL_NS1_7vsmem_tEENKUlT_SJ_SK_SL_E_clIPsSE_SF_SF_EESI_SY_SJ_SK_SL_EUlSY_E_NS1_11comp_targetILNS1_3genE8ELNS1_11target_archE1030ELNS1_3gpuE2ELNS1_3repE0EEENS1_48merge_mergepath_partition_config_static_selectorELNS0_4arch9wavefront6targetE0EEEvSK_.uses_flat_scratch, 0
	.set _ZN7rocprim17ROCPRIM_400000_NS6detail17trampoline_kernelINS0_14default_configENS1_38merge_sort_block_merge_config_selectorIsNS0_10empty_typeEEEZZNS1_27merge_sort_block_merge_implIS3_N6thrust23THRUST_200600_302600_NS6detail15normal_iteratorINS9_10device_ptrIsEEEEPS5_m11less_div_10IsEEE10hipError_tT0_T1_T2_jT3_P12ihipStream_tbPNSt15iterator_traitsISJ_E10value_typeEPNSP_ISK_E10value_typeEPSL_NS1_7vsmem_tEENKUlT_SJ_SK_SL_E_clIPsSE_SF_SF_EESI_SY_SJ_SK_SL_EUlSY_E_NS1_11comp_targetILNS1_3genE8ELNS1_11target_archE1030ELNS1_3gpuE2ELNS1_3repE0EEENS1_48merge_mergepath_partition_config_static_selectorELNS0_4arch9wavefront6targetE0EEEvSK_.has_dyn_sized_stack, 0
	.set _ZN7rocprim17ROCPRIM_400000_NS6detail17trampoline_kernelINS0_14default_configENS1_38merge_sort_block_merge_config_selectorIsNS0_10empty_typeEEEZZNS1_27merge_sort_block_merge_implIS3_N6thrust23THRUST_200600_302600_NS6detail15normal_iteratorINS9_10device_ptrIsEEEEPS5_m11less_div_10IsEEE10hipError_tT0_T1_T2_jT3_P12ihipStream_tbPNSt15iterator_traitsISJ_E10value_typeEPNSP_ISK_E10value_typeEPSL_NS1_7vsmem_tEENKUlT_SJ_SK_SL_E_clIPsSE_SF_SF_EESI_SY_SJ_SK_SL_EUlSY_E_NS1_11comp_targetILNS1_3genE8ELNS1_11target_archE1030ELNS1_3gpuE2ELNS1_3repE0EEENS1_48merge_mergepath_partition_config_static_selectorELNS0_4arch9wavefront6targetE0EEEvSK_.has_recursion, 0
	.set _ZN7rocprim17ROCPRIM_400000_NS6detail17trampoline_kernelINS0_14default_configENS1_38merge_sort_block_merge_config_selectorIsNS0_10empty_typeEEEZZNS1_27merge_sort_block_merge_implIS3_N6thrust23THRUST_200600_302600_NS6detail15normal_iteratorINS9_10device_ptrIsEEEEPS5_m11less_div_10IsEEE10hipError_tT0_T1_T2_jT3_P12ihipStream_tbPNSt15iterator_traitsISJ_E10value_typeEPNSP_ISK_E10value_typeEPSL_NS1_7vsmem_tEENKUlT_SJ_SK_SL_E_clIPsSE_SF_SF_EESI_SY_SJ_SK_SL_EUlSY_E_NS1_11comp_targetILNS1_3genE8ELNS1_11target_archE1030ELNS1_3gpuE2ELNS1_3repE0EEENS1_48merge_mergepath_partition_config_static_selectorELNS0_4arch9wavefront6targetE0EEEvSK_.has_indirect_call, 0
	.section	.AMDGPU.csdata,"",@progbits
; Kernel info:
; codeLenInByte = 716
; TotalNumSgprs: 10
; NumVgprs: 18
; ScratchSize: 0
; MemoryBound: 0
; FloatMode: 240
; IeeeMode: 1
; LDSByteSize: 0 bytes/workgroup (compile time only)
; SGPRBlocks: 0
; VGPRBlocks: 2
; NumSGPRsForWavesPerEU: 10
; NumVGPRsForWavesPerEU: 18
; Occupancy: 16
; WaveLimiterHint : 0
; COMPUTE_PGM_RSRC2:SCRATCH_EN: 0
; COMPUTE_PGM_RSRC2:USER_SGPR: 6
; COMPUTE_PGM_RSRC2:TRAP_HANDLER: 0
; COMPUTE_PGM_RSRC2:TGID_X_EN: 1
; COMPUTE_PGM_RSRC2:TGID_Y_EN: 0
; COMPUTE_PGM_RSRC2:TGID_Z_EN: 0
; COMPUTE_PGM_RSRC2:TIDIG_COMP_CNT: 0
	.section	.text._ZN7rocprim17ROCPRIM_400000_NS6detail17trampoline_kernelINS0_14default_configENS1_38merge_sort_block_merge_config_selectorIsNS0_10empty_typeEEEZZNS1_27merge_sort_block_merge_implIS3_N6thrust23THRUST_200600_302600_NS6detail15normal_iteratorINS9_10device_ptrIsEEEEPS5_m11less_div_10IsEEE10hipError_tT0_T1_T2_jT3_P12ihipStream_tbPNSt15iterator_traitsISJ_E10value_typeEPNSP_ISK_E10value_typeEPSL_NS1_7vsmem_tEENKUlT_SJ_SK_SL_E_clIPsSE_SF_SF_EESI_SY_SJ_SK_SL_EUlSY_E0_NS1_11comp_targetILNS1_3genE0ELNS1_11target_archE4294967295ELNS1_3gpuE0ELNS1_3repE0EEENS1_38merge_mergepath_config_static_selectorELNS0_4arch9wavefront6targetE0EEEvSK_,"axG",@progbits,_ZN7rocprim17ROCPRIM_400000_NS6detail17trampoline_kernelINS0_14default_configENS1_38merge_sort_block_merge_config_selectorIsNS0_10empty_typeEEEZZNS1_27merge_sort_block_merge_implIS3_N6thrust23THRUST_200600_302600_NS6detail15normal_iteratorINS9_10device_ptrIsEEEEPS5_m11less_div_10IsEEE10hipError_tT0_T1_T2_jT3_P12ihipStream_tbPNSt15iterator_traitsISJ_E10value_typeEPNSP_ISK_E10value_typeEPSL_NS1_7vsmem_tEENKUlT_SJ_SK_SL_E_clIPsSE_SF_SF_EESI_SY_SJ_SK_SL_EUlSY_E0_NS1_11comp_targetILNS1_3genE0ELNS1_11target_archE4294967295ELNS1_3gpuE0ELNS1_3repE0EEENS1_38merge_mergepath_config_static_selectorELNS0_4arch9wavefront6targetE0EEEvSK_,comdat
	.protected	_ZN7rocprim17ROCPRIM_400000_NS6detail17trampoline_kernelINS0_14default_configENS1_38merge_sort_block_merge_config_selectorIsNS0_10empty_typeEEEZZNS1_27merge_sort_block_merge_implIS3_N6thrust23THRUST_200600_302600_NS6detail15normal_iteratorINS9_10device_ptrIsEEEEPS5_m11less_div_10IsEEE10hipError_tT0_T1_T2_jT3_P12ihipStream_tbPNSt15iterator_traitsISJ_E10value_typeEPNSP_ISK_E10value_typeEPSL_NS1_7vsmem_tEENKUlT_SJ_SK_SL_E_clIPsSE_SF_SF_EESI_SY_SJ_SK_SL_EUlSY_E0_NS1_11comp_targetILNS1_3genE0ELNS1_11target_archE4294967295ELNS1_3gpuE0ELNS1_3repE0EEENS1_38merge_mergepath_config_static_selectorELNS0_4arch9wavefront6targetE0EEEvSK_ ; -- Begin function _ZN7rocprim17ROCPRIM_400000_NS6detail17trampoline_kernelINS0_14default_configENS1_38merge_sort_block_merge_config_selectorIsNS0_10empty_typeEEEZZNS1_27merge_sort_block_merge_implIS3_N6thrust23THRUST_200600_302600_NS6detail15normal_iteratorINS9_10device_ptrIsEEEEPS5_m11less_div_10IsEEE10hipError_tT0_T1_T2_jT3_P12ihipStream_tbPNSt15iterator_traitsISJ_E10value_typeEPNSP_ISK_E10value_typeEPSL_NS1_7vsmem_tEENKUlT_SJ_SK_SL_E_clIPsSE_SF_SF_EESI_SY_SJ_SK_SL_EUlSY_E0_NS1_11comp_targetILNS1_3genE0ELNS1_11target_archE4294967295ELNS1_3gpuE0ELNS1_3repE0EEENS1_38merge_mergepath_config_static_selectorELNS0_4arch9wavefront6targetE0EEEvSK_
	.globl	_ZN7rocprim17ROCPRIM_400000_NS6detail17trampoline_kernelINS0_14default_configENS1_38merge_sort_block_merge_config_selectorIsNS0_10empty_typeEEEZZNS1_27merge_sort_block_merge_implIS3_N6thrust23THRUST_200600_302600_NS6detail15normal_iteratorINS9_10device_ptrIsEEEEPS5_m11less_div_10IsEEE10hipError_tT0_T1_T2_jT3_P12ihipStream_tbPNSt15iterator_traitsISJ_E10value_typeEPNSP_ISK_E10value_typeEPSL_NS1_7vsmem_tEENKUlT_SJ_SK_SL_E_clIPsSE_SF_SF_EESI_SY_SJ_SK_SL_EUlSY_E0_NS1_11comp_targetILNS1_3genE0ELNS1_11target_archE4294967295ELNS1_3gpuE0ELNS1_3repE0EEENS1_38merge_mergepath_config_static_selectorELNS0_4arch9wavefront6targetE0EEEvSK_
	.p2align	8
	.type	_ZN7rocprim17ROCPRIM_400000_NS6detail17trampoline_kernelINS0_14default_configENS1_38merge_sort_block_merge_config_selectorIsNS0_10empty_typeEEEZZNS1_27merge_sort_block_merge_implIS3_N6thrust23THRUST_200600_302600_NS6detail15normal_iteratorINS9_10device_ptrIsEEEEPS5_m11less_div_10IsEEE10hipError_tT0_T1_T2_jT3_P12ihipStream_tbPNSt15iterator_traitsISJ_E10value_typeEPNSP_ISK_E10value_typeEPSL_NS1_7vsmem_tEENKUlT_SJ_SK_SL_E_clIPsSE_SF_SF_EESI_SY_SJ_SK_SL_EUlSY_E0_NS1_11comp_targetILNS1_3genE0ELNS1_11target_archE4294967295ELNS1_3gpuE0ELNS1_3repE0EEENS1_38merge_mergepath_config_static_selectorELNS0_4arch9wavefront6targetE0EEEvSK_,@function
_ZN7rocprim17ROCPRIM_400000_NS6detail17trampoline_kernelINS0_14default_configENS1_38merge_sort_block_merge_config_selectorIsNS0_10empty_typeEEEZZNS1_27merge_sort_block_merge_implIS3_N6thrust23THRUST_200600_302600_NS6detail15normal_iteratorINS9_10device_ptrIsEEEEPS5_m11less_div_10IsEEE10hipError_tT0_T1_T2_jT3_P12ihipStream_tbPNSt15iterator_traitsISJ_E10value_typeEPNSP_ISK_E10value_typeEPSL_NS1_7vsmem_tEENKUlT_SJ_SK_SL_E_clIPsSE_SF_SF_EESI_SY_SJ_SK_SL_EUlSY_E0_NS1_11comp_targetILNS1_3genE0ELNS1_11target_archE4294967295ELNS1_3gpuE0ELNS1_3repE0EEENS1_38merge_mergepath_config_static_selectorELNS0_4arch9wavefront6targetE0EEEvSK_: ; @_ZN7rocprim17ROCPRIM_400000_NS6detail17trampoline_kernelINS0_14default_configENS1_38merge_sort_block_merge_config_selectorIsNS0_10empty_typeEEEZZNS1_27merge_sort_block_merge_implIS3_N6thrust23THRUST_200600_302600_NS6detail15normal_iteratorINS9_10device_ptrIsEEEEPS5_m11less_div_10IsEEE10hipError_tT0_T1_T2_jT3_P12ihipStream_tbPNSt15iterator_traitsISJ_E10value_typeEPNSP_ISK_E10value_typeEPSL_NS1_7vsmem_tEENKUlT_SJ_SK_SL_E_clIPsSE_SF_SF_EESI_SY_SJ_SK_SL_EUlSY_E0_NS1_11comp_targetILNS1_3genE0ELNS1_11target_archE4294967295ELNS1_3gpuE0ELNS1_3repE0EEENS1_38merge_mergepath_config_static_selectorELNS0_4arch9wavefront6targetE0EEEvSK_
; %bb.0:
	.section	.rodata,"a",@progbits
	.p2align	6, 0x0
	.amdhsa_kernel _ZN7rocprim17ROCPRIM_400000_NS6detail17trampoline_kernelINS0_14default_configENS1_38merge_sort_block_merge_config_selectorIsNS0_10empty_typeEEEZZNS1_27merge_sort_block_merge_implIS3_N6thrust23THRUST_200600_302600_NS6detail15normal_iteratorINS9_10device_ptrIsEEEEPS5_m11less_div_10IsEEE10hipError_tT0_T1_T2_jT3_P12ihipStream_tbPNSt15iterator_traitsISJ_E10value_typeEPNSP_ISK_E10value_typeEPSL_NS1_7vsmem_tEENKUlT_SJ_SK_SL_E_clIPsSE_SF_SF_EESI_SY_SJ_SK_SL_EUlSY_E0_NS1_11comp_targetILNS1_3genE0ELNS1_11target_archE4294967295ELNS1_3gpuE0ELNS1_3repE0EEENS1_38merge_mergepath_config_static_selectorELNS0_4arch9wavefront6targetE0EEEvSK_
		.amdhsa_group_segment_fixed_size 0
		.amdhsa_private_segment_fixed_size 0
		.amdhsa_kernarg_size 72
		.amdhsa_user_sgpr_count 6
		.amdhsa_user_sgpr_private_segment_buffer 1
		.amdhsa_user_sgpr_dispatch_ptr 0
		.amdhsa_user_sgpr_queue_ptr 0
		.amdhsa_user_sgpr_kernarg_segment_ptr 1
		.amdhsa_user_sgpr_dispatch_id 0
		.amdhsa_user_sgpr_flat_scratch_init 0
		.amdhsa_user_sgpr_private_segment_size 0
		.amdhsa_wavefront_size32 1
		.amdhsa_uses_dynamic_stack 0
		.amdhsa_system_sgpr_private_segment_wavefront_offset 0
		.amdhsa_system_sgpr_workgroup_id_x 1
		.amdhsa_system_sgpr_workgroup_id_y 0
		.amdhsa_system_sgpr_workgroup_id_z 0
		.amdhsa_system_sgpr_workgroup_info 0
		.amdhsa_system_vgpr_workitem_id 0
		.amdhsa_next_free_vgpr 1
		.amdhsa_next_free_sgpr 1
		.amdhsa_reserve_vcc 0
		.amdhsa_reserve_flat_scratch 0
		.amdhsa_float_round_mode_32 0
		.amdhsa_float_round_mode_16_64 0
		.amdhsa_float_denorm_mode_32 3
		.amdhsa_float_denorm_mode_16_64 3
		.amdhsa_dx10_clamp 1
		.amdhsa_ieee_mode 1
		.amdhsa_fp16_overflow 0
		.amdhsa_workgroup_processor_mode 1
		.amdhsa_memory_ordered 1
		.amdhsa_forward_progress 1
		.amdhsa_shared_vgpr_count 0
		.amdhsa_exception_fp_ieee_invalid_op 0
		.amdhsa_exception_fp_denorm_src 0
		.amdhsa_exception_fp_ieee_div_zero 0
		.amdhsa_exception_fp_ieee_overflow 0
		.amdhsa_exception_fp_ieee_underflow 0
		.amdhsa_exception_fp_ieee_inexact 0
		.amdhsa_exception_int_div_zero 0
	.end_amdhsa_kernel
	.section	.text._ZN7rocprim17ROCPRIM_400000_NS6detail17trampoline_kernelINS0_14default_configENS1_38merge_sort_block_merge_config_selectorIsNS0_10empty_typeEEEZZNS1_27merge_sort_block_merge_implIS3_N6thrust23THRUST_200600_302600_NS6detail15normal_iteratorINS9_10device_ptrIsEEEEPS5_m11less_div_10IsEEE10hipError_tT0_T1_T2_jT3_P12ihipStream_tbPNSt15iterator_traitsISJ_E10value_typeEPNSP_ISK_E10value_typeEPSL_NS1_7vsmem_tEENKUlT_SJ_SK_SL_E_clIPsSE_SF_SF_EESI_SY_SJ_SK_SL_EUlSY_E0_NS1_11comp_targetILNS1_3genE0ELNS1_11target_archE4294967295ELNS1_3gpuE0ELNS1_3repE0EEENS1_38merge_mergepath_config_static_selectorELNS0_4arch9wavefront6targetE0EEEvSK_,"axG",@progbits,_ZN7rocprim17ROCPRIM_400000_NS6detail17trampoline_kernelINS0_14default_configENS1_38merge_sort_block_merge_config_selectorIsNS0_10empty_typeEEEZZNS1_27merge_sort_block_merge_implIS3_N6thrust23THRUST_200600_302600_NS6detail15normal_iteratorINS9_10device_ptrIsEEEEPS5_m11less_div_10IsEEE10hipError_tT0_T1_T2_jT3_P12ihipStream_tbPNSt15iterator_traitsISJ_E10value_typeEPNSP_ISK_E10value_typeEPSL_NS1_7vsmem_tEENKUlT_SJ_SK_SL_E_clIPsSE_SF_SF_EESI_SY_SJ_SK_SL_EUlSY_E0_NS1_11comp_targetILNS1_3genE0ELNS1_11target_archE4294967295ELNS1_3gpuE0ELNS1_3repE0EEENS1_38merge_mergepath_config_static_selectorELNS0_4arch9wavefront6targetE0EEEvSK_,comdat
.Lfunc_end532:
	.size	_ZN7rocprim17ROCPRIM_400000_NS6detail17trampoline_kernelINS0_14default_configENS1_38merge_sort_block_merge_config_selectorIsNS0_10empty_typeEEEZZNS1_27merge_sort_block_merge_implIS3_N6thrust23THRUST_200600_302600_NS6detail15normal_iteratorINS9_10device_ptrIsEEEEPS5_m11less_div_10IsEEE10hipError_tT0_T1_T2_jT3_P12ihipStream_tbPNSt15iterator_traitsISJ_E10value_typeEPNSP_ISK_E10value_typeEPSL_NS1_7vsmem_tEENKUlT_SJ_SK_SL_E_clIPsSE_SF_SF_EESI_SY_SJ_SK_SL_EUlSY_E0_NS1_11comp_targetILNS1_3genE0ELNS1_11target_archE4294967295ELNS1_3gpuE0ELNS1_3repE0EEENS1_38merge_mergepath_config_static_selectorELNS0_4arch9wavefront6targetE0EEEvSK_, .Lfunc_end532-_ZN7rocprim17ROCPRIM_400000_NS6detail17trampoline_kernelINS0_14default_configENS1_38merge_sort_block_merge_config_selectorIsNS0_10empty_typeEEEZZNS1_27merge_sort_block_merge_implIS3_N6thrust23THRUST_200600_302600_NS6detail15normal_iteratorINS9_10device_ptrIsEEEEPS5_m11less_div_10IsEEE10hipError_tT0_T1_T2_jT3_P12ihipStream_tbPNSt15iterator_traitsISJ_E10value_typeEPNSP_ISK_E10value_typeEPSL_NS1_7vsmem_tEENKUlT_SJ_SK_SL_E_clIPsSE_SF_SF_EESI_SY_SJ_SK_SL_EUlSY_E0_NS1_11comp_targetILNS1_3genE0ELNS1_11target_archE4294967295ELNS1_3gpuE0ELNS1_3repE0EEENS1_38merge_mergepath_config_static_selectorELNS0_4arch9wavefront6targetE0EEEvSK_
                                        ; -- End function
	.set _ZN7rocprim17ROCPRIM_400000_NS6detail17trampoline_kernelINS0_14default_configENS1_38merge_sort_block_merge_config_selectorIsNS0_10empty_typeEEEZZNS1_27merge_sort_block_merge_implIS3_N6thrust23THRUST_200600_302600_NS6detail15normal_iteratorINS9_10device_ptrIsEEEEPS5_m11less_div_10IsEEE10hipError_tT0_T1_T2_jT3_P12ihipStream_tbPNSt15iterator_traitsISJ_E10value_typeEPNSP_ISK_E10value_typeEPSL_NS1_7vsmem_tEENKUlT_SJ_SK_SL_E_clIPsSE_SF_SF_EESI_SY_SJ_SK_SL_EUlSY_E0_NS1_11comp_targetILNS1_3genE0ELNS1_11target_archE4294967295ELNS1_3gpuE0ELNS1_3repE0EEENS1_38merge_mergepath_config_static_selectorELNS0_4arch9wavefront6targetE0EEEvSK_.num_vgpr, 0
	.set _ZN7rocprim17ROCPRIM_400000_NS6detail17trampoline_kernelINS0_14default_configENS1_38merge_sort_block_merge_config_selectorIsNS0_10empty_typeEEEZZNS1_27merge_sort_block_merge_implIS3_N6thrust23THRUST_200600_302600_NS6detail15normal_iteratorINS9_10device_ptrIsEEEEPS5_m11less_div_10IsEEE10hipError_tT0_T1_T2_jT3_P12ihipStream_tbPNSt15iterator_traitsISJ_E10value_typeEPNSP_ISK_E10value_typeEPSL_NS1_7vsmem_tEENKUlT_SJ_SK_SL_E_clIPsSE_SF_SF_EESI_SY_SJ_SK_SL_EUlSY_E0_NS1_11comp_targetILNS1_3genE0ELNS1_11target_archE4294967295ELNS1_3gpuE0ELNS1_3repE0EEENS1_38merge_mergepath_config_static_selectorELNS0_4arch9wavefront6targetE0EEEvSK_.num_agpr, 0
	.set _ZN7rocprim17ROCPRIM_400000_NS6detail17trampoline_kernelINS0_14default_configENS1_38merge_sort_block_merge_config_selectorIsNS0_10empty_typeEEEZZNS1_27merge_sort_block_merge_implIS3_N6thrust23THRUST_200600_302600_NS6detail15normal_iteratorINS9_10device_ptrIsEEEEPS5_m11less_div_10IsEEE10hipError_tT0_T1_T2_jT3_P12ihipStream_tbPNSt15iterator_traitsISJ_E10value_typeEPNSP_ISK_E10value_typeEPSL_NS1_7vsmem_tEENKUlT_SJ_SK_SL_E_clIPsSE_SF_SF_EESI_SY_SJ_SK_SL_EUlSY_E0_NS1_11comp_targetILNS1_3genE0ELNS1_11target_archE4294967295ELNS1_3gpuE0ELNS1_3repE0EEENS1_38merge_mergepath_config_static_selectorELNS0_4arch9wavefront6targetE0EEEvSK_.numbered_sgpr, 0
	.set _ZN7rocprim17ROCPRIM_400000_NS6detail17trampoline_kernelINS0_14default_configENS1_38merge_sort_block_merge_config_selectorIsNS0_10empty_typeEEEZZNS1_27merge_sort_block_merge_implIS3_N6thrust23THRUST_200600_302600_NS6detail15normal_iteratorINS9_10device_ptrIsEEEEPS5_m11less_div_10IsEEE10hipError_tT0_T1_T2_jT3_P12ihipStream_tbPNSt15iterator_traitsISJ_E10value_typeEPNSP_ISK_E10value_typeEPSL_NS1_7vsmem_tEENKUlT_SJ_SK_SL_E_clIPsSE_SF_SF_EESI_SY_SJ_SK_SL_EUlSY_E0_NS1_11comp_targetILNS1_3genE0ELNS1_11target_archE4294967295ELNS1_3gpuE0ELNS1_3repE0EEENS1_38merge_mergepath_config_static_selectorELNS0_4arch9wavefront6targetE0EEEvSK_.num_named_barrier, 0
	.set _ZN7rocprim17ROCPRIM_400000_NS6detail17trampoline_kernelINS0_14default_configENS1_38merge_sort_block_merge_config_selectorIsNS0_10empty_typeEEEZZNS1_27merge_sort_block_merge_implIS3_N6thrust23THRUST_200600_302600_NS6detail15normal_iteratorINS9_10device_ptrIsEEEEPS5_m11less_div_10IsEEE10hipError_tT0_T1_T2_jT3_P12ihipStream_tbPNSt15iterator_traitsISJ_E10value_typeEPNSP_ISK_E10value_typeEPSL_NS1_7vsmem_tEENKUlT_SJ_SK_SL_E_clIPsSE_SF_SF_EESI_SY_SJ_SK_SL_EUlSY_E0_NS1_11comp_targetILNS1_3genE0ELNS1_11target_archE4294967295ELNS1_3gpuE0ELNS1_3repE0EEENS1_38merge_mergepath_config_static_selectorELNS0_4arch9wavefront6targetE0EEEvSK_.private_seg_size, 0
	.set _ZN7rocprim17ROCPRIM_400000_NS6detail17trampoline_kernelINS0_14default_configENS1_38merge_sort_block_merge_config_selectorIsNS0_10empty_typeEEEZZNS1_27merge_sort_block_merge_implIS3_N6thrust23THRUST_200600_302600_NS6detail15normal_iteratorINS9_10device_ptrIsEEEEPS5_m11less_div_10IsEEE10hipError_tT0_T1_T2_jT3_P12ihipStream_tbPNSt15iterator_traitsISJ_E10value_typeEPNSP_ISK_E10value_typeEPSL_NS1_7vsmem_tEENKUlT_SJ_SK_SL_E_clIPsSE_SF_SF_EESI_SY_SJ_SK_SL_EUlSY_E0_NS1_11comp_targetILNS1_3genE0ELNS1_11target_archE4294967295ELNS1_3gpuE0ELNS1_3repE0EEENS1_38merge_mergepath_config_static_selectorELNS0_4arch9wavefront6targetE0EEEvSK_.uses_vcc, 0
	.set _ZN7rocprim17ROCPRIM_400000_NS6detail17trampoline_kernelINS0_14default_configENS1_38merge_sort_block_merge_config_selectorIsNS0_10empty_typeEEEZZNS1_27merge_sort_block_merge_implIS3_N6thrust23THRUST_200600_302600_NS6detail15normal_iteratorINS9_10device_ptrIsEEEEPS5_m11less_div_10IsEEE10hipError_tT0_T1_T2_jT3_P12ihipStream_tbPNSt15iterator_traitsISJ_E10value_typeEPNSP_ISK_E10value_typeEPSL_NS1_7vsmem_tEENKUlT_SJ_SK_SL_E_clIPsSE_SF_SF_EESI_SY_SJ_SK_SL_EUlSY_E0_NS1_11comp_targetILNS1_3genE0ELNS1_11target_archE4294967295ELNS1_3gpuE0ELNS1_3repE0EEENS1_38merge_mergepath_config_static_selectorELNS0_4arch9wavefront6targetE0EEEvSK_.uses_flat_scratch, 0
	.set _ZN7rocprim17ROCPRIM_400000_NS6detail17trampoline_kernelINS0_14default_configENS1_38merge_sort_block_merge_config_selectorIsNS0_10empty_typeEEEZZNS1_27merge_sort_block_merge_implIS3_N6thrust23THRUST_200600_302600_NS6detail15normal_iteratorINS9_10device_ptrIsEEEEPS5_m11less_div_10IsEEE10hipError_tT0_T1_T2_jT3_P12ihipStream_tbPNSt15iterator_traitsISJ_E10value_typeEPNSP_ISK_E10value_typeEPSL_NS1_7vsmem_tEENKUlT_SJ_SK_SL_E_clIPsSE_SF_SF_EESI_SY_SJ_SK_SL_EUlSY_E0_NS1_11comp_targetILNS1_3genE0ELNS1_11target_archE4294967295ELNS1_3gpuE0ELNS1_3repE0EEENS1_38merge_mergepath_config_static_selectorELNS0_4arch9wavefront6targetE0EEEvSK_.has_dyn_sized_stack, 0
	.set _ZN7rocprim17ROCPRIM_400000_NS6detail17trampoline_kernelINS0_14default_configENS1_38merge_sort_block_merge_config_selectorIsNS0_10empty_typeEEEZZNS1_27merge_sort_block_merge_implIS3_N6thrust23THRUST_200600_302600_NS6detail15normal_iteratorINS9_10device_ptrIsEEEEPS5_m11less_div_10IsEEE10hipError_tT0_T1_T2_jT3_P12ihipStream_tbPNSt15iterator_traitsISJ_E10value_typeEPNSP_ISK_E10value_typeEPSL_NS1_7vsmem_tEENKUlT_SJ_SK_SL_E_clIPsSE_SF_SF_EESI_SY_SJ_SK_SL_EUlSY_E0_NS1_11comp_targetILNS1_3genE0ELNS1_11target_archE4294967295ELNS1_3gpuE0ELNS1_3repE0EEENS1_38merge_mergepath_config_static_selectorELNS0_4arch9wavefront6targetE0EEEvSK_.has_recursion, 0
	.set _ZN7rocprim17ROCPRIM_400000_NS6detail17trampoline_kernelINS0_14default_configENS1_38merge_sort_block_merge_config_selectorIsNS0_10empty_typeEEEZZNS1_27merge_sort_block_merge_implIS3_N6thrust23THRUST_200600_302600_NS6detail15normal_iteratorINS9_10device_ptrIsEEEEPS5_m11less_div_10IsEEE10hipError_tT0_T1_T2_jT3_P12ihipStream_tbPNSt15iterator_traitsISJ_E10value_typeEPNSP_ISK_E10value_typeEPSL_NS1_7vsmem_tEENKUlT_SJ_SK_SL_E_clIPsSE_SF_SF_EESI_SY_SJ_SK_SL_EUlSY_E0_NS1_11comp_targetILNS1_3genE0ELNS1_11target_archE4294967295ELNS1_3gpuE0ELNS1_3repE0EEENS1_38merge_mergepath_config_static_selectorELNS0_4arch9wavefront6targetE0EEEvSK_.has_indirect_call, 0
	.section	.AMDGPU.csdata,"",@progbits
; Kernel info:
; codeLenInByte = 0
; TotalNumSgprs: 0
; NumVgprs: 0
; ScratchSize: 0
; MemoryBound: 0
; FloatMode: 240
; IeeeMode: 1
; LDSByteSize: 0 bytes/workgroup (compile time only)
; SGPRBlocks: 0
; VGPRBlocks: 0
; NumSGPRsForWavesPerEU: 1
; NumVGPRsForWavesPerEU: 1
; Occupancy: 16
; WaveLimiterHint : 0
; COMPUTE_PGM_RSRC2:SCRATCH_EN: 0
; COMPUTE_PGM_RSRC2:USER_SGPR: 6
; COMPUTE_PGM_RSRC2:TRAP_HANDLER: 0
; COMPUTE_PGM_RSRC2:TGID_X_EN: 1
; COMPUTE_PGM_RSRC2:TGID_Y_EN: 0
; COMPUTE_PGM_RSRC2:TGID_Z_EN: 0
; COMPUTE_PGM_RSRC2:TIDIG_COMP_CNT: 0
	.section	.text._ZN7rocprim17ROCPRIM_400000_NS6detail17trampoline_kernelINS0_14default_configENS1_38merge_sort_block_merge_config_selectorIsNS0_10empty_typeEEEZZNS1_27merge_sort_block_merge_implIS3_N6thrust23THRUST_200600_302600_NS6detail15normal_iteratorINS9_10device_ptrIsEEEEPS5_m11less_div_10IsEEE10hipError_tT0_T1_T2_jT3_P12ihipStream_tbPNSt15iterator_traitsISJ_E10value_typeEPNSP_ISK_E10value_typeEPSL_NS1_7vsmem_tEENKUlT_SJ_SK_SL_E_clIPsSE_SF_SF_EESI_SY_SJ_SK_SL_EUlSY_E0_NS1_11comp_targetILNS1_3genE10ELNS1_11target_archE1201ELNS1_3gpuE5ELNS1_3repE0EEENS1_38merge_mergepath_config_static_selectorELNS0_4arch9wavefront6targetE0EEEvSK_,"axG",@progbits,_ZN7rocprim17ROCPRIM_400000_NS6detail17trampoline_kernelINS0_14default_configENS1_38merge_sort_block_merge_config_selectorIsNS0_10empty_typeEEEZZNS1_27merge_sort_block_merge_implIS3_N6thrust23THRUST_200600_302600_NS6detail15normal_iteratorINS9_10device_ptrIsEEEEPS5_m11less_div_10IsEEE10hipError_tT0_T1_T2_jT3_P12ihipStream_tbPNSt15iterator_traitsISJ_E10value_typeEPNSP_ISK_E10value_typeEPSL_NS1_7vsmem_tEENKUlT_SJ_SK_SL_E_clIPsSE_SF_SF_EESI_SY_SJ_SK_SL_EUlSY_E0_NS1_11comp_targetILNS1_3genE10ELNS1_11target_archE1201ELNS1_3gpuE5ELNS1_3repE0EEENS1_38merge_mergepath_config_static_selectorELNS0_4arch9wavefront6targetE0EEEvSK_,comdat
	.protected	_ZN7rocprim17ROCPRIM_400000_NS6detail17trampoline_kernelINS0_14default_configENS1_38merge_sort_block_merge_config_selectorIsNS0_10empty_typeEEEZZNS1_27merge_sort_block_merge_implIS3_N6thrust23THRUST_200600_302600_NS6detail15normal_iteratorINS9_10device_ptrIsEEEEPS5_m11less_div_10IsEEE10hipError_tT0_T1_T2_jT3_P12ihipStream_tbPNSt15iterator_traitsISJ_E10value_typeEPNSP_ISK_E10value_typeEPSL_NS1_7vsmem_tEENKUlT_SJ_SK_SL_E_clIPsSE_SF_SF_EESI_SY_SJ_SK_SL_EUlSY_E0_NS1_11comp_targetILNS1_3genE10ELNS1_11target_archE1201ELNS1_3gpuE5ELNS1_3repE0EEENS1_38merge_mergepath_config_static_selectorELNS0_4arch9wavefront6targetE0EEEvSK_ ; -- Begin function _ZN7rocprim17ROCPRIM_400000_NS6detail17trampoline_kernelINS0_14default_configENS1_38merge_sort_block_merge_config_selectorIsNS0_10empty_typeEEEZZNS1_27merge_sort_block_merge_implIS3_N6thrust23THRUST_200600_302600_NS6detail15normal_iteratorINS9_10device_ptrIsEEEEPS5_m11less_div_10IsEEE10hipError_tT0_T1_T2_jT3_P12ihipStream_tbPNSt15iterator_traitsISJ_E10value_typeEPNSP_ISK_E10value_typeEPSL_NS1_7vsmem_tEENKUlT_SJ_SK_SL_E_clIPsSE_SF_SF_EESI_SY_SJ_SK_SL_EUlSY_E0_NS1_11comp_targetILNS1_3genE10ELNS1_11target_archE1201ELNS1_3gpuE5ELNS1_3repE0EEENS1_38merge_mergepath_config_static_selectorELNS0_4arch9wavefront6targetE0EEEvSK_
	.globl	_ZN7rocprim17ROCPRIM_400000_NS6detail17trampoline_kernelINS0_14default_configENS1_38merge_sort_block_merge_config_selectorIsNS0_10empty_typeEEEZZNS1_27merge_sort_block_merge_implIS3_N6thrust23THRUST_200600_302600_NS6detail15normal_iteratorINS9_10device_ptrIsEEEEPS5_m11less_div_10IsEEE10hipError_tT0_T1_T2_jT3_P12ihipStream_tbPNSt15iterator_traitsISJ_E10value_typeEPNSP_ISK_E10value_typeEPSL_NS1_7vsmem_tEENKUlT_SJ_SK_SL_E_clIPsSE_SF_SF_EESI_SY_SJ_SK_SL_EUlSY_E0_NS1_11comp_targetILNS1_3genE10ELNS1_11target_archE1201ELNS1_3gpuE5ELNS1_3repE0EEENS1_38merge_mergepath_config_static_selectorELNS0_4arch9wavefront6targetE0EEEvSK_
	.p2align	8
	.type	_ZN7rocprim17ROCPRIM_400000_NS6detail17trampoline_kernelINS0_14default_configENS1_38merge_sort_block_merge_config_selectorIsNS0_10empty_typeEEEZZNS1_27merge_sort_block_merge_implIS3_N6thrust23THRUST_200600_302600_NS6detail15normal_iteratorINS9_10device_ptrIsEEEEPS5_m11less_div_10IsEEE10hipError_tT0_T1_T2_jT3_P12ihipStream_tbPNSt15iterator_traitsISJ_E10value_typeEPNSP_ISK_E10value_typeEPSL_NS1_7vsmem_tEENKUlT_SJ_SK_SL_E_clIPsSE_SF_SF_EESI_SY_SJ_SK_SL_EUlSY_E0_NS1_11comp_targetILNS1_3genE10ELNS1_11target_archE1201ELNS1_3gpuE5ELNS1_3repE0EEENS1_38merge_mergepath_config_static_selectorELNS0_4arch9wavefront6targetE0EEEvSK_,@function
_ZN7rocprim17ROCPRIM_400000_NS6detail17trampoline_kernelINS0_14default_configENS1_38merge_sort_block_merge_config_selectorIsNS0_10empty_typeEEEZZNS1_27merge_sort_block_merge_implIS3_N6thrust23THRUST_200600_302600_NS6detail15normal_iteratorINS9_10device_ptrIsEEEEPS5_m11less_div_10IsEEE10hipError_tT0_T1_T2_jT3_P12ihipStream_tbPNSt15iterator_traitsISJ_E10value_typeEPNSP_ISK_E10value_typeEPSL_NS1_7vsmem_tEENKUlT_SJ_SK_SL_E_clIPsSE_SF_SF_EESI_SY_SJ_SK_SL_EUlSY_E0_NS1_11comp_targetILNS1_3genE10ELNS1_11target_archE1201ELNS1_3gpuE5ELNS1_3repE0EEENS1_38merge_mergepath_config_static_selectorELNS0_4arch9wavefront6targetE0EEEvSK_: ; @_ZN7rocprim17ROCPRIM_400000_NS6detail17trampoline_kernelINS0_14default_configENS1_38merge_sort_block_merge_config_selectorIsNS0_10empty_typeEEEZZNS1_27merge_sort_block_merge_implIS3_N6thrust23THRUST_200600_302600_NS6detail15normal_iteratorINS9_10device_ptrIsEEEEPS5_m11less_div_10IsEEE10hipError_tT0_T1_T2_jT3_P12ihipStream_tbPNSt15iterator_traitsISJ_E10value_typeEPNSP_ISK_E10value_typeEPSL_NS1_7vsmem_tEENKUlT_SJ_SK_SL_E_clIPsSE_SF_SF_EESI_SY_SJ_SK_SL_EUlSY_E0_NS1_11comp_targetILNS1_3genE10ELNS1_11target_archE1201ELNS1_3gpuE5ELNS1_3repE0EEENS1_38merge_mergepath_config_static_selectorELNS0_4arch9wavefront6targetE0EEEvSK_
; %bb.0:
	.section	.rodata,"a",@progbits
	.p2align	6, 0x0
	.amdhsa_kernel _ZN7rocprim17ROCPRIM_400000_NS6detail17trampoline_kernelINS0_14default_configENS1_38merge_sort_block_merge_config_selectorIsNS0_10empty_typeEEEZZNS1_27merge_sort_block_merge_implIS3_N6thrust23THRUST_200600_302600_NS6detail15normal_iteratorINS9_10device_ptrIsEEEEPS5_m11less_div_10IsEEE10hipError_tT0_T1_T2_jT3_P12ihipStream_tbPNSt15iterator_traitsISJ_E10value_typeEPNSP_ISK_E10value_typeEPSL_NS1_7vsmem_tEENKUlT_SJ_SK_SL_E_clIPsSE_SF_SF_EESI_SY_SJ_SK_SL_EUlSY_E0_NS1_11comp_targetILNS1_3genE10ELNS1_11target_archE1201ELNS1_3gpuE5ELNS1_3repE0EEENS1_38merge_mergepath_config_static_selectorELNS0_4arch9wavefront6targetE0EEEvSK_
		.amdhsa_group_segment_fixed_size 0
		.amdhsa_private_segment_fixed_size 0
		.amdhsa_kernarg_size 72
		.amdhsa_user_sgpr_count 6
		.amdhsa_user_sgpr_private_segment_buffer 1
		.amdhsa_user_sgpr_dispatch_ptr 0
		.amdhsa_user_sgpr_queue_ptr 0
		.amdhsa_user_sgpr_kernarg_segment_ptr 1
		.amdhsa_user_sgpr_dispatch_id 0
		.amdhsa_user_sgpr_flat_scratch_init 0
		.amdhsa_user_sgpr_private_segment_size 0
		.amdhsa_wavefront_size32 1
		.amdhsa_uses_dynamic_stack 0
		.amdhsa_system_sgpr_private_segment_wavefront_offset 0
		.amdhsa_system_sgpr_workgroup_id_x 1
		.amdhsa_system_sgpr_workgroup_id_y 0
		.amdhsa_system_sgpr_workgroup_id_z 0
		.amdhsa_system_sgpr_workgroup_info 0
		.amdhsa_system_vgpr_workitem_id 0
		.amdhsa_next_free_vgpr 1
		.amdhsa_next_free_sgpr 1
		.amdhsa_reserve_vcc 0
		.amdhsa_reserve_flat_scratch 0
		.amdhsa_float_round_mode_32 0
		.amdhsa_float_round_mode_16_64 0
		.amdhsa_float_denorm_mode_32 3
		.amdhsa_float_denorm_mode_16_64 3
		.amdhsa_dx10_clamp 1
		.amdhsa_ieee_mode 1
		.amdhsa_fp16_overflow 0
		.amdhsa_workgroup_processor_mode 1
		.amdhsa_memory_ordered 1
		.amdhsa_forward_progress 1
		.amdhsa_shared_vgpr_count 0
		.amdhsa_exception_fp_ieee_invalid_op 0
		.amdhsa_exception_fp_denorm_src 0
		.amdhsa_exception_fp_ieee_div_zero 0
		.amdhsa_exception_fp_ieee_overflow 0
		.amdhsa_exception_fp_ieee_underflow 0
		.amdhsa_exception_fp_ieee_inexact 0
		.amdhsa_exception_int_div_zero 0
	.end_amdhsa_kernel
	.section	.text._ZN7rocprim17ROCPRIM_400000_NS6detail17trampoline_kernelINS0_14default_configENS1_38merge_sort_block_merge_config_selectorIsNS0_10empty_typeEEEZZNS1_27merge_sort_block_merge_implIS3_N6thrust23THRUST_200600_302600_NS6detail15normal_iteratorINS9_10device_ptrIsEEEEPS5_m11less_div_10IsEEE10hipError_tT0_T1_T2_jT3_P12ihipStream_tbPNSt15iterator_traitsISJ_E10value_typeEPNSP_ISK_E10value_typeEPSL_NS1_7vsmem_tEENKUlT_SJ_SK_SL_E_clIPsSE_SF_SF_EESI_SY_SJ_SK_SL_EUlSY_E0_NS1_11comp_targetILNS1_3genE10ELNS1_11target_archE1201ELNS1_3gpuE5ELNS1_3repE0EEENS1_38merge_mergepath_config_static_selectorELNS0_4arch9wavefront6targetE0EEEvSK_,"axG",@progbits,_ZN7rocprim17ROCPRIM_400000_NS6detail17trampoline_kernelINS0_14default_configENS1_38merge_sort_block_merge_config_selectorIsNS0_10empty_typeEEEZZNS1_27merge_sort_block_merge_implIS3_N6thrust23THRUST_200600_302600_NS6detail15normal_iteratorINS9_10device_ptrIsEEEEPS5_m11less_div_10IsEEE10hipError_tT0_T1_T2_jT3_P12ihipStream_tbPNSt15iterator_traitsISJ_E10value_typeEPNSP_ISK_E10value_typeEPSL_NS1_7vsmem_tEENKUlT_SJ_SK_SL_E_clIPsSE_SF_SF_EESI_SY_SJ_SK_SL_EUlSY_E0_NS1_11comp_targetILNS1_3genE10ELNS1_11target_archE1201ELNS1_3gpuE5ELNS1_3repE0EEENS1_38merge_mergepath_config_static_selectorELNS0_4arch9wavefront6targetE0EEEvSK_,comdat
.Lfunc_end533:
	.size	_ZN7rocprim17ROCPRIM_400000_NS6detail17trampoline_kernelINS0_14default_configENS1_38merge_sort_block_merge_config_selectorIsNS0_10empty_typeEEEZZNS1_27merge_sort_block_merge_implIS3_N6thrust23THRUST_200600_302600_NS6detail15normal_iteratorINS9_10device_ptrIsEEEEPS5_m11less_div_10IsEEE10hipError_tT0_T1_T2_jT3_P12ihipStream_tbPNSt15iterator_traitsISJ_E10value_typeEPNSP_ISK_E10value_typeEPSL_NS1_7vsmem_tEENKUlT_SJ_SK_SL_E_clIPsSE_SF_SF_EESI_SY_SJ_SK_SL_EUlSY_E0_NS1_11comp_targetILNS1_3genE10ELNS1_11target_archE1201ELNS1_3gpuE5ELNS1_3repE0EEENS1_38merge_mergepath_config_static_selectorELNS0_4arch9wavefront6targetE0EEEvSK_, .Lfunc_end533-_ZN7rocprim17ROCPRIM_400000_NS6detail17trampoline_kernelINS0_14default_configENS1_38merge_sort_block_merge_config_selectorIsNS0_10empty_typeEEEZZNS1_27merge_sort_block_merge_implIS3_N6thrust23THRUST_200600_302600_NS6detail15normal_iteratorINS9_10device_ptrIsEEEEPS5_m11less_div_10IsEEE10hipError_tT0_T1_T2_jT3_P12ihipStream_tbPNSt15iterator_traitsISJ_E10value_typeEPNSP_ISK_E10value_typeEPSL_NS1_7vsmem_tEENKUlT_SJ_SK_SL_E_clIPsSE_SF_SF_EESI_SY_SJ_SK_SL_EUlSY_E0_NS1_11comp_targetILNS1_3genE10ELNS1_11target_archE1201ELNS1_3gpuE5ELNS1_3repE0EEENS1_38merge_mergepath_config_static_selectorELNS0_4arch9wavefront6targetE0EEEvSK_
                                        ; -- End function
	.set _ZN7rocprim17ROCPRIM_400000_NS6detail17trampoline_kernelINS0_14default_configENS1_38merge_sort_block_merge_config_selectorIsNS0_10empty_typeEEEZZNS1_27merge_sort_block_merge_implIS3_N6thrust23THRUST_200600_302600_NS6detail15normal_iteratorINS9_10device_ptrIsEEEEPS5_m11less_div_10IsEEE10hipError_tT0_T1_T2_jT3_P12ihipStream_tbPNSt15iterator_traitsISJ_E10value_typeEPNSP_ISK_E10value_typeEPSL_NS1_7vsmem_tEENKUlT_SJ_SK_SL_E_clIPsSE_SF_SF_EESI_SY_SJ_SK_SL_EUlSY_E0_NS1_11comp_targetILNS1_3genE10ELNS1_11target_archE1201ELNS1_3gpuE5ELNS1_3repE0EEENS1_38merge_mergepath_config_static_selectorELNS0_4arch9wavefront6targetE0EEEvSK_.num_vgpr, 0
	.set _ZN7rocprim17ROCPRIM_400000_NS6detail17trampoline_kernelINS0_14default_configENS1_38merge_sort_block_merge_config_selectorIsNS0_10empty_typeEEEZZNS1_27merge_sort_block_merge_implIS3_N6thrust23THRUST_200600_302600_NS6detail15normal_iteratorINS9_10device_ptrIsEEEEPS5_m11less_div_10IsEEE10hipError_tT0_T1_T2_jT3_P12ihipStream_tbPNSt15iterator_traitsISJ_E10value_typeEPNSP_ISK_E10value_typeEPSL_NS1_7vsmem_tEENKUlT_SJ_SK_SL_E_clIPsSE_SF_SF_EESI_SY_SJ_SK_SL_EUlSY_E0_NS1_11comp_targetILNS1_3genE10ELNS1_11target_archE1201ELNS1_3gpuE5ELNS1_3repE0EEENS1_38merge_mergepath_config_static_selectorELNS0_4arch9wavefront6targetE0EEEvSK_.num_agpr, 0
	.set _ZN7rocprim17ROCPRIM_400000_NS6detail17trampoline_kernelINS0_14default_configENS1_38merge_sort_block_merge_config_selectorIsNS0_10empty_typeEEEZZNS1_27merge_sort_block_merge_implIS3_N6thrust23THRUST_200600_302600_NS6detail15normal_iteratorINS9_10device_ptrIsEEEEPS5_m11less_div_10IsEEE10hipError_tT0_T1_T2_jT3_P12ihipStream_tbPNSt15iterator_traitsISJ_E10value_typeEPNSP_ISK_E10value_typeEPSL_NS1_7vsmem_tEENKUlT_SJ_SK_SL_E_clIPsSE_SF_SF_EESI_SY_SJ_SK_SL_EUlSY_E0_NS1_11comp_targetILNS1_3genE10ELNS1_11target_archE1201ELNS1_3gpuE5ELNS1_3repE0EEENS1_38merge_mergepath_config_static_selectorELNS0_4arch9wavefront6targetE0EEEvSK_.numbered_sgpr, 0
	.set _ZN7rocprim17ROCPRIM_400000_NS6detail17trampoline_kernelINS0_14default_configENS1_38merge_sort_block_merge_config_selectorIsNS0_10empty_typeEEEZZNS1_27merge_sort_block_merge_implIS3_N6thrust23THRUST_200600_302600_NS6detail15normal_iteratorINS9_10device_ptrIsEEEEPS5_m11less_div_10IsEEE10hipError_tT0_T1_T2_jT3_P12ihipStream_tbPNSt15iterator_traitsISJ_E10value_typeEPNSP_ISK_E10value_typeEPSL_NS1_7vsmem_tEENKUlT_SJ_SK_SL_E_clIPsSE_SF_SF_EESI_SY_SJ_SK_SL_EUlSY_E0_NS1_11comp_targetILNS1_3genE10ELNS1_11target_archE1201ELNS1_3gpuE5ELNS1_3repE0EEENS1_38merge_mergepath_config_static_selectorELNS0_4arch9wavefront6targetE0EEEvSK_.num_named_barrier, 0
	.set _ZN7rocprim17ROCPRIM_400000_NS6detail17trampoline_kernelINS0_14default_configENS1_38merge_sort_block_merge_config_selectorIsNS0_10empty_typeEEEZZNS1_27merge_sort_block_merge_implIS3_N6thrust23THRUST_200600_302600_NS6detail15normal_iteratorINS9_10device_ptrIsEEEEPS5_m11less_div_10IsEEE10hipError_tT0_T1_T2_jT3_P12ihipStream_tbPNSt15iterator_traitsISJ_E10value_typeEPNSP_ISK_E10value_typeEPSL_NS1_7vsmem_tEENKUlT_SJ_SK_SL_E_clIPsSE_SF_SF_EESI_SY_SJ_SK_SL_EUlSY_E0_NS1_11comp_targetILNS1_3genE10ELNS1_11target_archE1201ELNS1_3gpuE5ELNS1_3repE0EEENS1_38merge_mergepath_config_static_selectorELNS0_4arch9wavefront6targetE0EEEvSK_.private_seg_size, 0
	.set _ZN7rocprim17ROCPRIM_400000_NS6detail17trampoline_kernelINS0_14default_configENS1_38merge_sort_block_merge_config_selectorIsNS0_10empty_typeEEEZZNS1_27merge_sort_block_merge_implIS3_N6thrust23THRUST_200600_302600_NS6detail15normal_iteratorINS9_10device_ptrIsEEEEPS5_m11less_div_10IsEEE10hipError_tT0_T1_T2_jT3_P12ihipStream_tbPNSt15iterator_traitsISJ_E10value_typeEPNSP_ISK_E10value_typeEPSL_NS1_7vsmem_tEENKUlT_SJ_SK_SL_E_clIPsSE_SF_SF_EESI_SY_SJ_SK_SL_EUlSY_E0_NS1_11comp_targetILNS1_3genE10ELNS1_11target_archE1201ELNS1_3gpuE5ELNS1_3repE0EEENS1_38merge_mergepath_config_static_selectorELNS0_4arch9wavefront6targetE0EEEvSK_.uses_vcc, 0
	.set _ZN7rocprim17ROCPRIM_400000_NS6detail17trampoline_kernelINS0_14default_configENS1_38merge_sort_block_merge_config_selectorIsNS0_10empty_typeEEEZZNS1_27merge_sort_block_merge_implIS3_N6thrust23THRUST_200600_302600_NS6detail15normal_iteratorINS9_10device_ptrIsEEEEPS5_m11less_div_10IsEEE10hipError_tT0_T1_T2_jT3_P12ihipStream_tbPNSt15iterator_traitsISJ_E10value_typeEPNSP_ISK_E10value_typeEPSL_NS1_7vsmem_tEENKUlT_SJ_SK_SL_E_clIPsSE_SF_SF_EESI_SY_SJ_SK_SL_EUlSY_E0_NS1_11comp_targetILNS1_3genE10ELNS1_11target_archE1201ELNS1_3gpuE5ELNS1_3repE0EEENS1_38merge_mergepath_config_static_selectorELNS0_4arch9wavefront6targetE0EEEvSK_.uses_flat_scratch, 0
	.set _ZN7rocprim17ROCPRIM_400000_NS6detail17trampoline_kernelINS0_14default_configENS1_38merge_sort_block_merge_config_selectorIsNS0_10empty_typeEEEZZNS1_27merge_sort_block_merge_implIS3_N6thrust23THRUST_200600_302600_NS6detail15normal_iteratorINS9_10device_ptrIsEEEEPS5_m11less_div_10IsEEE10hipError_tT0_T1_T2_jT3_P12ihipStream_tbPNSt15iterator_traitsISJ_E10value_typeEPNSP_ISK_E10value_typeEPSL_NS1_7vsmem_tEENKUlT_SJ_SK_SL_E_clIPsSE_SF_SF_EESI_SY_SJ_SK_SL_EUlSY_E0_NS1_11comp_targetILNS1_3genE10ELNS1_11target_archE1201ELNS1_3gpuE5ELNS1_3repE0EEENS1_38merge_mergepath_config_static_selectorELNS0_4arch9wavefront6targetE0EEEvSK_.has_dyn_sized_stack, 0
	.set _ZN7rocprim17ROCPRIM_400000_NS6detail17trampoline_kernelINS0_14default_configENS1_38merge_sort_block_merge_config_selectorIsNS0_10empty_typeEEEZZNS1_27merge_sort_block_merge_implIS3_N6thrust23THRUST_200600_302600_NS6detail15normal_iteratorINS9_10device_ptrIsEEEEPS5_m11less_div_10IsEEE10hipError_tT0_T1_T2_jT3_P12ihipStream_tbPNSt15iterator_traitsISJ_E10value_typeEPNSP_ISK_E10value_typeEPSL_NS1_7vsmem_tEENKUlT_SJ_SK_SL_E_clIPsSE_SF_SF_EESI_SY_SJ_SK_SL_EUlSY_E0_NS1_11comp_targetILNS1_3genE10ELNS1_11target_archE1201ELNS1_3gpuE5ELNS1_3repE0EEENS1_38merge_mergepath_config_static_selectorELNS0_4arch9wavefront6targetE0EEEvSK_.has_recursion, 0
	.set _ZN7rocprim17ROCPRIM_400000_NS6detail17trampoline_kernelINS0_14default_configENS1_38merge_sort_block_merge_config_selectorIsNS0_10empty_typeEEEZZNS1_27merge_sort_block_merge_implIS3_N6thrust23THRUST_200600_302600_NS6detail15normal_iteratorINS9_10device_ptrIsEEEEPS5_m11less_div_10IsEEE10hipError_tT0_T1_T2_jT3_P12ihipStream_tbPNSt15iterator_traitsISJ_E10value_typeEPNSP_ISK_E10value_typeEPSL_NS1_7vsmem_tEENKUlT_SJ_SK_SL_E_clIPsSE_SF_SF_EESI_SY_SJ_SK_SL_EUlSY_E0_NS1_11comp_targetILNS1_3genE10ELNS1_11target_archE1201ELNS1_3gpuE5ELNS1_3repE0EEENS1_38merge_mergepath_config_static_selectorELNS0_4arch9wavefront6targetE0EEEvSK_.has_indirect_call, 0
	.section	.AMDGPU.csdata,"",@progbits
; Kernel info:
; codeLenInByte = 0
; TotalNumSgprs: 0
; NumVgprs: 0
; ScratchSize: 0
; MemoryBound: 0
; FloatMode: 240
; IeeeMode: 1
; LDSByteSize: 0 bytes/workgroup (compile time only)
; SGPRBlocks: 0
; VGPRBlocks: 0
; NumSGPRsForWavesPerEU: 1
; NumVGPRsForWavesPerEU: 1
; Occupancy: 16
; WaveLimiterHint : 0
; COMPUTE_PGM_RSRC2:SCRATCH_EN: 0
; COMPUTE_PGM_RSRC2:USER_SGPR: 6
; COMPUTE_PGM_RSRC2:TRAP_HANDLER: 0
; COMPUTE_PGM_RSRC2:TGID_X_EN: 1
; COMPUTE_PGM_RSRC2:TGID_Y_EN: 0
; COMPUTE_PGM_RSRC2:TGID_Z_EN: 0
; COMPUTE_PGM_RSRC2:TIDIG_COMP_CNT: 0
	.section	.text._ZN7rocprim17ROCPRIM_400000_NS6detail17trampoline_kernelINS0_14default_configENS1_38merge_sort_block_merge_config_selectorIsNS0_10empty_typeEEEZZNS1_27merge_sort_block_merge_implIS3_N6thrust23THRUST_200600_302600_NS6detail15normal_iteratorINS9_10device_ptrIsEEEEPS5_m11less_div_10IsEEE10hipError_tT0_T1_T2_jT3_P12ihipStream_tbPNSt15iterator_traitsISJ_E10value_typeEPNSP_ISK_E10value_typeEPSL_NS1_7vsmem_tEENKUlT_SJ_SK_SL_E_clIPsSE_SF_SF_EESI_SY_SJ_SK_SL_EUlSY_E0_NS1_11comp_targetILNS1_3genE5ELNS1_11target_archE942ELNS1_3gpuE9ELNS1_3repE0EEENS1_38merge_mergepath_config_static_selectorELNS0_4arch9wavefront6targetE0EEEvSK_,"axG",@progbits,_ZN7rocprim17ROCPRIM_400000_NS6detail17trampoline_kernelINS0_14default_configENS1_38merge_sort_block_merge_config_selectorIsNS0_10empty_typeEEEZZNS1_27merge_sort_block_merge_implIS3_N6thrust23THRUST_200600_302600_NS6detail15normal_iteratorINS9_10device_ptrIsEEEEPS5_m11less_div_10IsEEE10hipError_tT0_T1_T2_jT3_P12ihipStream_tbPNSt15iterator_traitsISJ_E10value_typeEPNSP_ISK_E10value_typeEPSL_NS1_7vsmem_tEENKUlT_SJ_SK_SL_E_clIPsSE_SF_SF_EESI_SY_SJ_SK_SL_EUlSY_E0_NS1_11comp_targetILNS1_3genE5ELNS1_11target_archE942ELNS1_3gpuE9ELNS1_3repE0EEENS1_38merge_mergepath_config_static_selectorELNS0_4arch9wavefront6targetE0EEEvSK_,comdat
	.protected	_ZN7rocprim17ROCPRIM_400000_NS6detail17trampoline_kernelINS0_14default_configENS1_38merge_sort_block_merge_config_selectorIsNS0_10empty_typeEEEZZNS1_27merge_sort_block_merge_implIS3_N6thrust23THRUST_200600_302600_NS6detail15normal_iteratorINS9_10device_ptrIsEEEEPS5_m11less_div_10IsEEE10hipError_tT0_T1_T2_jT3_P12ihipStream_tbPNSt15iterator_traitsISJ_E10value_typeEPNSP_ISK_E10value_typeEPSL_NS1_7vsmem_tEENKUlT_SJ_SK_SL_E_clIPsSE_SF_SF_EESI_SY_SJ_SK_SL_EUlSY_E0_NS1_11comp_targetILNS1_3genE5ELNS1_11target_archE942ELNS1_3gpuE9ELNS1_3repE0EEENS1_38merge_mergepath_config_static_selectorELNS0_4arch9wavefront6targetE0EEEvSK_ ; -- Begin function _ZN7rocprim17ROCPRIM_400000_NS6detail17trampoline_kernelINS0_14default_configENS1_38merge_sort_block_merge_config_selectorIsNS0_10empty_typeEEEZZNS1_27merge_sort_block_merge_implIS3_N6thrust23THRUST_200600_302600_NS6detail15normal_iteratorINS9_10device_ptrIsEEEEPS5_m11less_div_10IsEEE10hipError_tT0_T1_T2_jT3_P12ihipStream_tbPNSt15iterator_traitsISJ_E10value_typeEPNSP_ISK_E10value_typeEPSL_NS1_7vsmem_tEENKUlT_SJ_SK_SL_E_clIPsSE_SF_SF_EESI_SY_SJ_SK_SL_EUlSY_E0_NS1_11comp_targetILNS1_3genE5ELNS1_11target_archE942ELNS1_3gpuE9ELNS1_3repE0EEENS1_38merge_mergepath_config_static_selectorELNS0_4arch9wavefront6targetE0EEEvSK_
	.globl	_ZN7rocprim17ROCPRIM_400000_NS6detail17trampoline_kernelINS0_14default_configENS1_38merge_sort_block_merge_config_selectorIsNS0_10empty_typeEEEZZNS1_27merge_sort_block_merge_implIS3_N6thrust23THRUST_200600_302600_NS6detail15normal_iteratorINS9_10device_ptrIsEEEEPS5_m11less_div_10IsEEE10hipError_tT0_T1_T2_jT3_P12ihipStream_tbPNSt15iterator_traitsISJ_E10value_typeEPNSP_ISK_E10value_typeEPSL_NS1_7vsmem_tEENKUlT_SJ_SK_SL_E_clIPsSE_SF_SF_EESI_SY_SJ_SK_SL_EUlSY_E0_NS1_11comp_targetILNS1_3genE5ELNS1_11target_archE942ELNS1_3gpuE9ELNS1_3repE0EEENS1_38merge_mergepath_config_static_selectorELNS0_4arch9wavefront6targetE0EEEvSK_
	.p2align	8
	.type	_ZN7rocprim17ROCPRIM_400000_NS6detail17trampoline_kernelINS0_14default_configENS1_38merge_sort_block_merge_config_selectorIsNS0_10empty_typeEEEZZNS1_27merge_sort_block_merge_implIS3_N6thrust23THRUST_200600_302600_NS6detail15normal_iteratorINS9_10device_ptrIsEEEEPS5_m11less_div_10IsEEE10hipError_tT0_T1_T2_jT3_P12ihipStream_tbPNSt15iterator_traitsISJ_E10value_typeEPNSP_ISK_E10value_typeEPSL_NS1_7vsmem_tEENKUlT_SJ_SK_SL_E_clIPsSE_SF_SF_EESI_SY_SJ_SK_SL_EUlSY_E0_NS1_11comp_targetILNS1_3genE5ELNS1_11target_archE942ELNS1_3gpuE9ELNS1_3repE0EEENS1_38merge_mergepath_config_static_selectorELNS0_4arch9wavefront6targetE0EEEvSK_,@function
_ZN7rocprim17ROCPRIM_400000_NS6detail17trampoline_kernelINS0_14default_configENS1_38merge_sort_block_merge_config_selectorIsNS0_10empty_typeEEEZZNS1_27merge_sort_block_merge_implIS3_N6thrust23THRUST_200600_302600_NS6detail15normal_iteratorINS9_10device_ptrIsEEEEPS5_m11less_div_10IsEEE10hipError_tT0_T1_T2_jT3_P12ihipStream_tbPNSt15iterator_traitsISJ_E10value_typeEPNSP_ISK_E10value_typeEPSL_NS1_7vsmem_tEENKUlT_SJ_SK_SL_E_clIPsSE_SF_SF_EESI_SY_SJ_SK_SL_EUlSY_E0_NS1_11comp_targetILNS1_3genE5ELNS1_11target_archE942ELNS1_3gpuE9ELNS1_3repE0EEENS1_38merge_mergepath_config_static_selectorELNS0_4arch9wavefront6targetE0EEEvSK_: ; @_ZN7rocprim17ROCPRIM_400000_NS6detail17trampoline_kernelINS0_14default_configENS1_38merge_sort_block_merge_config_selectorIsNS0_10empty_typeEEEZZNS1_27merge_sort_block_merge_implIS3_N6thrust23THRUST_200600_302600_NS6detail15normal_iteratorINS9_10device_ptrIsEEEEPS5_m11less_div_10IsEEE10hipError_tT0_T1_T2_jT3_P12ihipStream_tbPNSt15iterator_traitsISJ_E10value_typeEPNSP_ISK_E10value_typeEPSL_NS1_7vsmem_tEENKUlT_SJ_SK_SL_E_clIPsSE_SF_SF_EESI_SY_SJ_SK_SL_EUlSY_E0_NS1_11comp_targetILNS1_3genE5ELNS1_11target_archE942ELNS1_3gpuE9ELNS1_3repE0EEENS1_38merge_mergepath_config_static_selectorELNS0_4arch9wavefront6targetE0EEEvSK_
; %bb.0:
	.section	.rodata,"a",@progbits
	.p2align	6, 0x0
	.amdhsa_kernel _ZN7rocprim17ROCPRIM_400000_NS6detail17trampoline_kernelINS0_14default_configENS1_38merge_sort_block_merge_config_selectorIsNS0_10empty_typeEEEZZNS1_27merge_sort_block_merge_implIS3_N6thrust23THRUST_200600_302600_NS6detail15normal_iteratorINS9_10device_ptrIsEEEEPS5_m11less_div_10IsEEE10hipError_tT0_T1_T2_jT3_P12ihipStream_tbPNSt15iterator_traitsISJ_E10value_typeEPNSP_ISK_E10value_typeEPSL_NS1_7vsmem_tEENKUlT_SJ_SK_SL_E_clIPsSE_SF_SF_EESI_SY_SJ_SK_SL_EUlSY_E0_NS1_11comp_targetILNS1_3genE5ELNS1_11target_archE942ELNS1_3gpuE9ELNS1_3repE0EEENS1_38merge_mergepath_config_static_selectorELNS0_4arch9wavefront6targetE0EEEvSK_
		.amdhsa_group_segment_fixed_size 0
		.amdhsa_private_segment_fixed_size 0
		.amdhsa_kernarg_size 72
		.amdhsa_user_sgpr_count 6
		.amdhsa_user_sgpr_private_segment_buffer 1
		.amdhsa_user_sgpr_dispatch_ptr 0
		.amdhsa_user_sgpr_queue_ptr 0
		.amdhsa_user_sgpr_kernarg_segment_ptr 1
		.amdhsa_user_sgpr_dispatch_id 0
		.amdhsa_user_sgpr_flat_scratch_init 0
		.amdhsa_user_sgpr_private_segment_size 0
		.amdhsa_wavefront_size32 1
		.amdhsa_uses_dynamic_stack 0
		.amdhsa_system_sgpr_private_segment_wavefront_offset 0
		.amdhsa_system_sgpr_workgroup_id_x 1
		.amdhsa_system_sgpr_workgroup_id_y 0
		.amdhsa_system_sgpr_workgroup_id_z 0
		.amdhsa_system_sgpr_workgroup_info 0
		.amdhsa_system_vgpr_workitem_id 0
		.amdhsa_next_free_vgpr 1
		.amdhsa_next_free_sgpr 1
		.amdhsa_reserve_vcc 0
		.amdhsa_reserve_flat_scratch 0
		.amdhsa_float_round_mode_32 0
		.amdhsa_float_round_mode_16_64 0
		.amdhsa_float_denorm_mode_32 3
		.amdhsa_float_denorm_mode_16_64 3
		.amdhsa_dx10_clamp 1
		.amdhsa_ieee_mode 1
		.amdhsa_fp16_overflow 0
		.amdhsa_workgroup_processor_mode 1
		.amdhsa_memory_ordered 1
		.amdhsa_forward_progress 1
		.amdhsa_shared_vgpr_count 0
		.amdhsa_exception_fp_ieee_invalid_op 0
		.amdhsa_exception_fp_denorm_src 0
		.amdhsa_exception_fp_ieee_div_zero 0
		.amdhsa_exception_fp_ieee_overflow 0
		.amdhsa_exception_fp_ieee_underflow 0
		.amdhsa_exception_fp_ieee_inexact 0
		.amdhsa_exception_int_div_zero 0
	.end_amdhsa_kernel
	.section	.text._ZN7rocprim17ROCPRIM_400000_NS6detail17trampoline_kernelINS0_14default_configENS1_38merge_sort_block_merge_config_selectorIsNS0_10empty_typeEEEZZNS1_27merge_sort_block_merge_implIS3_N6thrust23THRUST_200600_302600_NS6detail15normal_iteratorINS9_10device_ptrIsEEEEPS5_m11less_div_10IsEEE10hipError_tT0_T1_T2_jT3_P12ihipStream_tbPNSt15iterator_traitsISJ_E10value_typeEPNSP_ISK_E10value_typeEPSL_NS1_7vsmem_tEENKUlT_SJ_SK_SL_E_clIPsSE_SF_SF_EESI_SY_SJ_SK_SL_EUlSY_E0_NS1_11comp_targetILNS1_3genE5ELNS1_11target_archE942ELNS1_3gpuE9ELNS1_3repE0EEENS1_38merge_mergepath_config_static_selectorELNS0_4arch9wavefront6targetE0EEEvSK_,"axG",@progbits,_ZN7rocprim17ROCPRIM_400000_NS6detail17trampoline_kernelINS0_14default_configENS1_38merge_sort_block_merge_config_selectorIsNS0_10empty_typeEEEZZNS1_27merge_sort_block_merge_implIS3_N6thrust23THRUST_200600_302600_NS6detail15normal_iteratorINS9_10device_ptrIsEEEEPS5_m11less_div_10IsEEE10hipError_tT0_T1_T2_jT3_P12ihipStream_tbPNSt15iterator_traitsISJ_E10value_typeEPNSP_ISK_E10value_typeEPSL_NS1_7vsmem_tEENKUlT_SJ_SK_SL_E_clIPsSE_SF_SF_EESI_SY_SJ_SK_SL_EUlSY_E0_NS1_11comp_targetILNS1_3genE5ELNS1_11target_archE942ELNS1_3gpuE9ELNS1_3repE0EEENS1_38merge_mergepath_config_static_selectorELNS0_4arch9wavefront6targetE0EEEvSK_,comdat
.Lfunc_end534:
	.size	_ZN7rocprim17ROCPRIM_400000_NS6detail17trampoline_kernelINS0_14default_configENS1_38merge_sort_block_merge_config_selectorIsNS0_10empty_typeEEEZZNS1_27merge_sort_block_merge_implIS3_N6thrust23THRUST_200600_302600_NS6detail15normal_iteratorINS9_10device_ptrIsEEEEPS5_m11less_div_10IsEEE10hipError_tT0_T1_T2_jT3_P12ihipStream_tbPNSt15iterator_traitsISJ_E10value_typeEPNSP_ISK_E10value_typeEPSL_NS1_7vsmem_tEENKUlT_SJ_SK_SL_E_clIPsSE_SF_SF_EESI_SY_SJ_SK_SL_EUlSY_E0_NS1_11comp_targetILNS1_3genE5ELNS1_11target_archE942ELNS1_3gpuE9ELNS1_3repE0EEENS1_38merge_mergepath_config_static_selectorELNS0_4arch9wavefront6targetE0EEEvSK_, .Lfunc_end534-_ZN7rocprim17ROCPRIM_400000_NS6detail17trampoline_kernelINS0_14default_configENS1_38merge_sort_block_merge_config_selectorIsNS0_10empty_typeEEEZZNS1_27merge_sort_block_merge_implIS3_N6thrust23THRUST_200600_302600_NS6detail15normal_iteratorINS9_10device_ptrIsEEEEPS5_m11less_div_10IsEEE10hipError_tT0_T1_T2_jT3_P12ihipStream_tbPNSt15iterator_traitsISJ_E10value_typeEPNSP_ISK_E10value_typeEPSL_NS1_7vsmem_tEENKUlT_SJ_SK_SL_E_clIPsSE_SF_SF_EESI_SY_SJ_SK_SL_EUlSY_E0_NS1_11comp_targetILNS1_3genE5ELNS1_11target_archE942ELNS1_3gpuE9ELNS1_3repE0EEENS1_38merge_mergepath_config_static_selectorELNS0_4arch9wavefront6targetE0EEEvSK_
                                        ; -- End function
	.set _ZN7rocprim17ROCPRIM_400000_NS6detail17trampoline_kernelINS0_14default_configENS1_38merge_sort_block_merge_config_selectorIsNS0_10empty_typeEEEZZNS1_27merge_sort_block_merge_implIS3_N6thrust23THRUST_200600_302600_NS6detail15normal_iteratorINS9_10device_ptrIsEEEEPS5_m11less_div_10IsEEE10hipError_tT0_T1_T2_jT3_P12ihipStream_tbPNSt15iterator_traitsISJ_E10value_typeEPNSP_ISK_E10value_typeEPSL_NS1_7vsmem_tEENKUlT_SJ_SK_SL_E_clIPsSE_SF_SF_EESI_SY_SJ_SK_SL_EUlSY_E0_NS1_11comp_targetILNS1_3genE5ELNS1_11target_archE942ELNS1_3gpuE9ELNS1_3repE0EEENS1_38merge_mergepath_config_static_selectorELNS0_4arch9wavefront6targetE0EEEvSK_.num_vgpr, 0
	.set _ZN7rocprim17ROCPRIM_400000_NS6detail17trampoline_kernelINS0_14default_configENS1_38merge_sort_block_merge_config_selectorIsNS0_10empty_typeEEEZZNS1_27merge_sort_block_merge_implIS3_N6thrust23THRUST_200600_302600_NS6detail15normal_iteratorINS9_10device_ptrIsEEEEPS5_m11less_div_10IsEEE10hipError_tT0_T1_T2_jT3_P12ihipStream_tbPNSt15iterator_traitsISJ_E10value_typeEPNSP_ISK_E10value_typeEPSL_NS1_7vsmem_tEENKUlT_SJ_SK_SL_E_clIPsSE_SF_SF_EESI_SY_SJ_SK_SL_EUlSY_E0_NS1_11comp_targetILNS1_3genE5ELNS1_11target_archE942ELNS1_3gpuE9ELNS1_3repE0EEENS1_38merge_mergepath_config_static_selectorELNS0_4arch9wavefront6targetE0EEEvSK_.num_agpr, 0
	.set _ZN7rocprim17ROCPRIM_400000_NS6detail17trampoline_kernelINS0_14default_configENS1_38merge_sort_block_merge_config_selectorIsNS0_10empty_typeEEEZZNS1_27merge_sort_block_merge_implIS3_N6thrust23THRUST_200600_302600_NS6detail15normal_iteratorINS9_10device_ptrIsEEEEPS5_m11less_div_10IsEEE10hipError_tT0_T1_T2_jT3_P12ihipStream_tbPNSt15iterator_traitsISJ_E10value_typeEPNSP_ISK_E10value_typeEPSL_NS1_7vsmem_tEENKUlT_SJ_SK_SL_E_clIPsSE_SF_SF_EESI_SY_SJ_SK_SL_EUlSY_E0_NS1_11comp_targetILNS1_3genE5ELNS1_11target_archE942ELNS1_3gpuE9ELNS1_3repE0EEENS1_38merge_mergepath_config_static_selectorELNS0_4arch9wavefront6targetE0EEEvSK_.numbered_sgpr, 0
	.set _ZN7rocprim17ROCPRIM_400000_NS6detail17trampoline_kernelINS0_14default_configENS1_38merge_sort_block_merge_config_selectorIsNS0_10empty_typeEEEZZNS1_27merge_sort_block_merge_implIS3_N6thrust23THRUST_200600_302600_NS6detail15normal_iteratorINS9_10device_ptrIsEEEEPS5_m11less_div_10IsEEE10hipError_tT0_T1_T2_jT3_P12ihipStream_tbPNSt15iterator_traitsISJ_E10value_typeEPNSP_ISK_E10value_typeEPSL_NS1_7vsmem_tEENKUlT_SJ_SK_SL_E_clIPsSE_SF_SF_EESI_SY_SJ_SK_SL_EUlSY_E0_NS1_11comp_targetILNS1_3genE5ELNS1_11target_archE942ELNS1_3gpuE9ELNS1_3repE0EEENS1_38merge_mergepath_config_static_selectorELNS0_4arch9wavefront6targetE0EEEvSK_.num_named_barrier, 0
	.set _ZN7rocprim17ROCPRIM_400000_NS6detail17trampoline_kernelINS0_14default_configENS1_38merge_sort_block_merge_config_selectorIsNS0_10empty_typeEEEZZNS1_27merge_sort_block_merge_implIS3_N6thrust23THRUST_200600_302600_NS6detail15normal_iteratorINS9_10device_ptrIsEEEEPS5_m11less_div_10IsEEE10hipError_tT0_T1_T2_jT3_P12ihipStream_tbPNSt15iterator_traitsISJ_E10value_typeEPNSP_ISK_E10value_typeEPSL_NS1_7vsmem_tEENKUlT_SJ_SK_SL_E_clIPsSE_SF_SF_EESI_SY_SJ_SK_SL_EUlSY_E0_NS1_11comp_targetILNS1_3genE5ELNS1_11target_archE942ELNS1_3gpuE9ELNS1_3repE0EEENS1_38merge_mergepath_config_static_selectorELNS0_4arch9wavefront6targetE0EEEvSK_.private_seg_size, 0
	.set _ZN7rocprim17ROCPRIM_400000_NS6detail17trampoline_kernelINS0_14default_configENS1_38merge_sort_block_merge_config_selectorIsNS0_10empty_typeEEEZZNS1_27merge_sort_block_merge_implIS3_N6thrust23THRUST_200600_302600_NS6detail15normal_iteratorINS9_10device_ptrIsEEEEPS5_m11less_div_10IsEEE10hipError_tT0_T1_T2_jT3_P12ihipStream_tbPNSt15iterator_traitsISJ_E10value_typeEPNSP_ISK_E10value_typeEPSL_NS1_7vsmem_tEENKUlT_SJ_SK_SL_E_clIPsSE_SF_SF_EESI_SY_SJ_SK_SL_EUlSY_E0_NS1_11comp_targetILNS1_3genE5ELNS1_11target_archE942ELNS1_3gpuE9ELNS1_3repE0EEENS1_38merge_mergepath_config_static_selectorELNS0_4arch9wavefront6targetE0EEEvSK_.uses_vcc, 0
	.set _ZN7rocprim17ROCPRIM_400000_NS6detail17trampoline_kernelINS0_14default_configENS1_38merge_sort_block_merge_config_selectorIsNS0_10empty_typeEEEZZNS1_27merge_sort_block_merge_implIS3_N6thrust23THRUST_200600_302600_NS6detail15normal_iteratorINS9_10device_ptrIsEEEEPS5_m11less_div_10IsEEE10hipError_tT0_T1_T2_jT3_P12ihipStream_tbPNSt15iterator_traitsISJ_E10value_typeEPNSP_ISK_E10value_typeEPSL_NS1_7vsmem_tEENKUlT_SJ_SK_SL_E_clIPsSE_SF_SF_EESI_SY_SJ_SK_SL_EUlSY_E0_NS1_11comp_targetILNS1_3genE5ELNS1_11target_archE942ELNS1_3gpuE9ELNS1_3repE0EEENS1_38merge_mergepath_config_static_selectorELNS0_4arch9wavefront6targetE0EEEvSK_.uses_flat_scratch, 0
	.set _ZN7rocprim17ROCPRIM_400000_NS6detail17trampoline_kernelINS0_14default_configENS1_38merge_sort_block_merge_config_selectorIsNS0_10empty_typeEEEZZNS1_27merge_sort_block_merge_implIS3_N6thrust23THRUST_200600_302600_NS6detail15normal_iteratorINS9_10device_ptrIsEEEEPS5_m11less_div_10IsEEE10hipError_tT0_T1_T2_jT3_P12ihipStream_tbPNSt15iterator_traitsISJ_E10value_typeEPNSP_ISK_E10value_typeEPSL_NS1_7vsmem_tEENKUlT_SJ_SK_SL_E_clIPsSE_SF_SF_EESI_SY_SJ_SK_SL_EUlSY_E0_NS1_11comp_targetILNS1_3genE5ELNS1_11target_archE942ELNS1_3gpuE9ELNS1_3repE0EEENS1_38merge_mergepath_config_static_selectorELNS0_4arch9wavefront6targetE0EEEvSK_.has_dyn_sized_stack, 0
	.set _ZN7rocprim17ROCPRIM_400000_NS6detail17trampoline_kernelINS0_14default_configENS1_38merge_sort_block_merge_config_selectorIsNS0_10empty_typeEEEZZNS1_27merge_sort_block_merge_implIS3_N6thrust23THRUST_200600_302600_NS6detail15normal_iteratorINS9_10device_ptrIsEEEEPS5_m11less_div_10IsEEE10hipError_tT0_T1_T2_jT3_P12ihipStream_tbPNSt15iterator_traitsISJ_E10value_typeEPNSP_ISK_E10value_typeEPSL_NS1_7vsmem_tEENKUlT_SJ_SK_SL_E_clIPsSE_SF_SF_EESI_SY_SJ_SK_SL_EUlSY_E0_NS1_11comp_targetILNS1_3genE5ELNS1_11target_archE942ELNS1_3gpuE9ELNS1_3repE0EEENS1_38merge_mergepath_config_static_selectorELNS0_4arch9wavefront6targetE0EEEvSK_.has_recursion, 0
	.set _ZN7rocprim17ROCPRIM_400000_NS6detail17trampoline_kernelINS0_14default_configENS1_38merge_sort_block_merge_config_selectorIsNS0_10empty_typeEEEZZNS1_27merge_sort_block_merge_implIS3_N6thrust23THRUST_200600_302600_NS6detail15normal_iteratorINS9_10device_ptrIsEEEEPS5_m11less_div_10IsEEE10hipError_tT0_T1_T2_jT3_P12ihipStream_tbPNSt15iterator_traitsISJ_E10value_typeEPNSP_ISK_E10value_typeEPSL_NS1_7vsmem_tEENKUlT_SJ_SK_SL_E_clIPsSE_SF_SF_EESI_SY_SJ_SK_SL_EUlSY_E0_NS1_11comp_targetILNS1_3genE5ELNS1_11target_archE942ELNS1_3gpuE9ELNS1_3repE0EEENS1_38merge_mergepath_config_static_selectorELNS0_4arch9wavefront6targetE0EEEvSK_.has_indirect_call, 0
	.section	.AMDGPU.csdata,"",@progbits
; Kernel info:
; codeLenInByte = 0
; TotalNumSgprs: 0
; NumVgprs: 0
; ScratchSize: 0
; MemoryBound: 0
; FloatMode: 240
; IeeeMode: 1
; LDSByteSize: 0 bytes/workgroup (compile time only)
; SGPRBlocks: 0
; VGPRBlocks: 0
; NumSGPRsForWavesPerEU: 1
; NumVGPRsForWavesPerEU: 1
; Occupancy: 16
; WaveLimiterHint : 0
; COMPUTE_PGM_RSRC2:SCRATCH_EN: 0
; COMPUTE_PGM_RSRC2:USER_SGPR: 6
; COMPUTE_PGM_RSRC2:TRAP_HANDLER: 0
; COMPUTE_PGM_RSRC2:TGID_X_EN: 1
; COMPUTE_PGM_RSRC2:TGID_Y_EN: 0
; COMPUTE_PGM_RSRC2:TGID_Z_EN: 0
; COMPUTE_PGM_RSRC2:TIDIG_COMP_CNT: 0
	.section	.text._ZN7rocprim17ROCPRIM_400000_NS6detail17trampoline_kernelINS0_14default_configENS1_38merge_sort_block_merge_config_selectorIsNS0_10empty_typeEEEZZNS1_27merge_sort_block_merge_implIS3_N6thrust23THRUST_200600_302600_NS6detail15normal_iteratorINS9_10device_ptrIsEEEEPS5_m11less_div_10IsEEE10hipError_tT0_T1_T2_jT3_P12ihipStream_tbPNSt15iterator_traitsISJ_E10value_typeEPNSP_ISK_E10value_typeEPSL_NS1_7vsmem_tEENKUlT_SJ_SK_SL_E_clIPsSE_SF_SF_EESI_SY_SJ_SK_SL_EUlSY_E0_NS1_11comp_targetILNS1_3genE4ELNS1_11target_archE910ELNS1_3gpuE8ELNS1_3repE0EEENS1_38merge_mergepath_config_static_selectorELNS0_4arch9wavefront6targetE0EEEvSK_,"axG",@progbits,_ZN7rocprim17ROCPRIM_400000_NS6detail17trampoline_kernelINS0_14default_configENS1_38merge_sort_block_merge_config_selectorIsNS0_10empty_typeEEEZZNS1_27merge_sort_block_merge_implIS3_N6thrust23THRUST_200600_302600_NS6detail15normal_iteratorINS9_10device_ptrIsEEEEPS5_m11less_div_10IsEEE10hipError_tT0_T1_T2_jT3_P12ihipStream_tbPNSt15iterator_traitsISJ_E10value_typeEPNSP_ISK_E10value_typeEPSL_NS1_7vsmem_tEENKUlT_SJ_SK_SL_E_clIPsSE_SF_SF_EESI_SY_SJ_SK_SL_EUlSY_E0_NS1_11comp_targetILNS1_3genE4ELNS1_11target_archE910ELNS1_3gpuE8ELNS1_3repE0EEENS1_38merge_mergepath_config_static_selectorELNS0_4arch9wavefront6targetE0EEEvSK_,comdat
	.protected	_ZN7rocprim17ROCPRIM_400000_NS6detail17trampoline_kernelINS0_14default_configENS1_38merge_sort_block_merge_config_selectorIsNS0_10empty_typeEEEZZNS1_27merge_sort_block_merge_implIS3_N6thrust23THRUST_200600_302600_NS6detail15normal_iteratorINS9_10device_ptrIsEEEEPS5_m11less_div_10IsEEE10hipError_tT0_T1_T2_jT3_P12ihipStream_tbPNSt15iterator_traitsISJ_E10value_typeEPNSP_ISK_E10value_typeEPSL_NS1_7vsmem_tEENKUlT_SJ_SK_SL_E_clIPsSE_SF_SF_EESI_SY_SJ_SK_SL_EUlSY_E0_NS1_11comp_targetILNS1_3genE4ELNS1_11target_archE910ELNS1_3gpuE8ELNS1_3repE0EEENS1_38merge_mergepath_config_static_selectorELNS0_4arch9wavefront6targetE0EEEvSK_ ; -- Begin function _ZN7rocprim17ROCPRIM_400000_NS6detail17trampoline_kernelINS0_14default_configENS1_38merge_sort_block_merge_config_selectorIsNS0_10empty_typeEEEZZNS1_27merge_sort_block_merge_implIS3_N6thrust23THRUST_200600_302600_NS6detail15normal_iteratorINS9_10device_ptrIsEEEEPS5_m11less_div_10IsEEE10hipError_tT0_T1_T2_jT3_P12ihipStream_tbPNSt15iterator_traitsISJ_E10value_typeEPNSP_ISK_E10value_typeEPSL_NS1_7vsmem_tEENKUlT_SJ_SK_SL_E_clIPsSE_SF_SF_EESI_SY_SJ_SK_SL_EUlSY_E0_NS1_11comp_targetILNS1_3genE4ELNS1_11target_archE910ELNS1_3gpuE8ELNS1_3repE0EEENS1_38merge_mergepath_config_static_selectorELNS0_4arch9wavefront6targetE0EEEvSK_
	.globl	_ZN7rocprim17ROCPRIM_400000_NS6detail17trampoline_kernelINS0_14default_configENS1_38merge_sort_block_merge_config_selectorIsNS0_10empty_typeEEEZZNS1_27merge_sort_block_merge_implIS3_N6thrust23THRUST_200600_302600_NS6detail15normal_iteratorINS9_10device_ptrIsEEEEPS5_m11less_div_10IsEEE10hipError_tT0_T1_T2_jT3_P12ihipStream_tbPNSt15iterator_traitsISJ_E10value_typeEPNSP_ISK_E10value_typeEPSL_NS1_7vsmem_tEENKUlT_SJ_SK_SL_E_clIPsSE_SF_SF_EESI_SY_SJ_SK_SL_EUlSY_E0_NS1_11comp_targetILNS1_3genE4ELNS1_11target_archE910ELNS1_3gpuE8ELNS1_3repE0EEENS1_38merge_mergepath_config_static_selectorELNS0_4arch9wavefront6targetE0EEEvSK_
	.p2align	8
	.type	_ZN7rocprim17ROCPRIM_400000_NS6detail17trampoline_kernelINS0_14default_configENS1_38merge_sort_block_merge_config_selectorIsNS0_10empty_typeEEEZZNS1_27merge_sort_block_merge_implIS3_N6thrust23THRUST_200600_302600_NS6detail15normal_iteratorINS9_10device_ptrIsEEEEPS5_m11less_div_10IsEEE10hipError_tT0_T1_T2_jT3_P12ihipStream_tbPNSt15iterator_traitsISJ_E10value_typeEPNSP_ISK_E10value_typeEPSL_NS1_7vsmem_tEENKUlT_SJ_SK_SL_E_clIPsSE_SF_SF_EESI_SY_SJ_SK_SL_EUlSY_E0_NS1_11comp_targetILNS1_3genE4ELNS1_11target_archE910ELNS1_3gpuE8ELNS1_3repE0EEENS1_38merge_mergepath_config_static_selectorELNS0_4arch9wavefront6targetE0EEEvSK_,@function
_ZN7rocprim17ROCPRIM_400000_NS6detail17trampoline_kernelINS0_14default_configENS1_38merge_sort_block_merge_config_selectorIsNS0_10empty_typeEEEZZNS1_27merge_sort_block_merge_implIS3_N6thrust23THRUST_200600_302600_NS6detail15normal_iteratorINS9_10device_ptrIsEEEEPS5_m11less_div_10IsEEE10hipError_tT0_T1_T2_jT3_P12ihipStream_tbPNSt15iterator_traitsISJ_E10value_typeEPNSP_ISK_E10value_typeEPSL_NS1_7vsmem_tEENKUlT_SJ_SK_SL_E_clIPsSE_SF_SF_EESI_SY_SJ_SK_SL_EUlSY_E0_NS1_11comp_targetILNS1_3genE4ELNS1_11target_archE910ELNS1_3gpuE8ELNS1_3repE0EEENS1_38merge_mergepath_config_static_selectorELNS0_4arch9wavefront6targetE0EEEvSK_: ; @_ZN7rocprim17ROCPRIM_400000_NS6detail17trampoline_kernelINS0_14default_configENS1_38merge_sort_block_merge_config_selectorIsNS0_10empty_typeEEEZZNS1_27merge_sort_block_merge_implIS3_N6thrust23THRUST_200600_302600_NS6detail15normal_iteratorINS9_10device_ptrIsEEEEPS5_m11less_div_10IsEEE10hipError_tT0_T1_T2_jT3_P12ihipStream_tbPNSt15iterator_traitsISJ_E10value_typeEPNSP_ISK_E10value_typeEPSL_NS1_7vsmem_tEENKUlT_SJ_SK_SL_E_clIPsSE_SF_SF_EESI_SY_SJ_SK_SL_EUlSY_E0_NS1_11comp_targetILNS1_3genE4ELNS1_11target_archE910ELNS1_3gpuE8ELNS1_3repE0EEENS1_38merge_mergepath_config_static_selectorELNS0_4arch9wavefront6targetE0EEEvSK_
; %bb.0:
	.section	.rodata,"a",@progbits
	.p2align	6, 0x0
	.amdhsa_kernel _ZN7rocprim17ROCPRIM_400000_NS6detail17trampoline_kernelINS0_14default_configENS1_38merge_sort_block_merge_config_selectorIsNS0_10empty_typeEEEZZNS1_27merge_sort_block_merge_implIS3_N6thrust23THRUST_200600_302600_NS6detail15normal_iteratorINS9_10device_ptrIsEEEEPS5_m11less_div_10IsEEE10hipError_tT0_T1_T2_jT3_P12ihipStream_tbPNSt15iterator_traitsISJ_E10value_typeEPNSP_ISK_E10value_typeEPSL_NS1_7vsmem_tEENKUlT_SJ_SK_SL_E_clIPsSE_SF_SF_EESI_SY_SJ_SK_SL_EUlSY_E0_NS1_11comp_targetILNS1_3genE4ELNS1_11target_archE910ELNS1_3gpuE8ELNS1_3repE0EEENS1_38merge_mergepath_config_static_selectorELNS0_4arch9wavefront6targetE0EEEvSK_
		.amdhsa_group_segment_fixed_size 0
		.amdhsa_private_segment_fixed_size 0
		.amdhsa_kernarg_size 72
		.amdhsa_user_sgpr_count 6
		.amdhsa_user_sgpr_private_segment_buffer 1
		.amdhsa_user_sgpr_dispatch_ptr 0
		.amdhsa_user_sgpr_queue_ptr 0
		.amdhsa_user_sgpr_kernarg_segment_ptr 1
		.amdhsa_user_sgpr_dispatch_id 0
		.amdhsa_user_sgpr_flat_scratch_init 0
		.amdhsa_user_sgpr_private_segment_size 0
		.amdhsa_wavefront_size32 1
		.amdhsa_uses_dynamic_stack 0
		.amdhsa_system_sgpr_private_segment_wavefront_offset 0
		.amdhsa_system_sgpr_workgroup_id_x 1
		.amdhsa_system_sgpr_workgroup_id_y 0
		.amdhsa_system_sgpr_workgroup_id_z 0
		.amdhsa_system_sgpr_workgroup_info 0
		.amdhsa_system_vgpr_workitem_id 0
		.amdhsa_next_free_vgpr 1
		.amdhsa_next_free_sgpr 1
		.amdhsa_reserve_vcc 0
		.amdhsa_reserve_flat_scratch 0
		.amdhsa_float_round_mode_32 0
		.amdhsa_float_round_mode_16_64 0
		.amdhsa_float_denorm_mode_32 3
		.amdhsa_float_denorm_mode_16_64 3
		.amdhsa_dx10_clamp 1
		.amdhsa_ieee_mode 1
		.amdhsa_fp16_overflow 0
		.amdhsa_workgroup_processor_mode 1
		.amdhsa_memory_ordered 1
		.amdhsa_forward_progress 1
		.amdhsa_shared_vgpr_count 0
		.amdhsa_exception_fp_ieee_invalid_op 0
		.amdhsa_exception_fp_denorm_src 0
		.amdhsa_exception_fp_ieee_div_zero 0
		.amdhsa_exception_fp_ieee_overflow 0
		.amdhsa_exception_fp_ieee_underflow 0
		.amdhsa_exception_fp_ieee_inexact 0
		.amdhsa_exception_int_div_zero 0
	.end_amdhsa_kernel
	.section	.text._ZN7rocprim17ROCPRIM_400000_NS6detail17trampoline_kernelINS0_14default_configENS1_38merge_sort_block_merge_config_selectorIsNS0_10empty_typeEEEZZNS1_27merge_sort_block_merge_implIS3_N6thrust23THRUST_200600_302600_NS6detail15normal_iteratorINS9_10device_ptrIsEEEEPS5_m11less_div_10IsEEE10hipError_tT0_T1_T2_jT3_P12ihipStream_tbPNSt15iterator_traitsISJ_E10value_typeEPNSP_ISK_E10value_typeEPSL_NS1_7vsmem_tEENKUlT_SJ_SK_SL_E_clIPsSE_SF_SF_EESI_SY_SJ_SK_SL_EUlSY_E0_NS1_11comp_targetILNS1_3genE4ELNS1_11target_archE910ELNS1_3gpuE8ELNS1_3repE0EEENS1_38merge_mergepath_config_static_selectorELNS0_4arch9wavefront6targetE0EEEvSK_,"axG",@progbits,_ZN7rocprim17ROCPRIM_400000_NS6detail17trampoline_kernelINS0_14default_configENS1_38merge_sort_block_merge_config_selectorIsNS0_10empty_typeEEEZZNS1_27merge_sort_block_merge_implIS3_N6thrust23THRUST_200600_302600_NS6detail15normal_iteratorINS9_10device_ptrIsEEEEPS5_m11less_div_10IsEEE10hipError_tT0_T1_T2_jT3_P12ihipStream_tbPNSt15iterator_traitsISJ_E10value_typeEPNSP_ISK_E10value_typeEPSL_NS1_7vsmem_tEENKUlT_SJ_SK_SL_E_clIPsSE_SF_SF_EESI_SY_SJ_SK_SL_EUlSY_E0_NS1_11comp_targetILNS1_3genE4ELNS1_11target_archE910ELNS1_3gpuE8ELNS1_3repE0EEENS1_38merge_mergepath_config_static_selectorELNS0_4arch9wavefront6targetE0EEEvSK_,comdat
.Lfunc_end535:
	.size	_ZN7rocprim17ROCPRIM_400000_NS6detail17trampoline_kernelINS0_14default_configENS1_38merge_sort_block_merge_config_selectorIsNS0_10empty_typeEEEZZNS1_27merge_sort_block_merge_implIS3_N6thrust23THRUST_200600_302600_NS6detail15normal_iteratorINS9_10device_ptrIsEEEEPS5_m11less_div_10IsEEE10hipError_tT0_T1_T2_jT3_P12ihipStream_tbPNSt15iterator_traitsISJ_E10value_typeEPNSP_ISK_E10value_typeEPSL_NS1_7vsmem_tEENKUlT_SJ_SK_SL_E_clIPsSE_SF_SF_EESI_SY_SJ_SK_SL_EUlSY_E0_NS1_11comp_targetILNS1_3genE4ELNS1_11target_archE910ELNS1_3gpuE8ELNS1_3repE0EEENS1_38merge_mergepath_config_static_selectorELNS0_4arch9wavefront6targetE0EEEvSK_, .Lfunc_end535-_ZN7rocprim17ROCPRIM_400000_NS6detail17trampoline_kernelINS0_14default_configENS1_38merge_sort_block_merge_config_selectorIsNS0_10empty_typeEEEZZNS1_27merge_sort_block_merge_implIS3_N6thrust23THRUST_200600_302600_NS6detail15normal_iteratorINS9_10device_ptrIsEEEEPS5_m11less_div_10IsEEE10hipError_tT0_T1_T2_jT3_P12ihipStream_tbPNSt15iterator_traitsISJ_E10value_typeEPNSP_ISK_E10value_typeEPSL_NS1_7vsmem_tEENKUlT_SJ_SK_SL_E_clIPsSE_SF_SF_EESI_SY_SJ_SK_SL_EUlSY_E0_NS1_11comp_targetILNS1_3genE4ELNS1_11target_archE910ELNS1_3gpuE8ELNS1_3repE0EEENS1_38merge_mergepath_config_static_selectorELNS0_4arch9wavefront6targetE0EEEvSK_
                                        ; -- End function
	.set _ZN7rocprim17ROCPRIM_400000_NS6detail17trampoline_kernelINS0_14default_configENS1_38merge_sort_block_merge_config_selectorIsNS0_10empty_typeEEEZZNS1_27merge_sort_block_merge_implIS3_N6thrust23THRUST_200600_302600_NS6detail15normal_iteratorINS9_10device_ptrIsEEEEPS5_m11less_div_10IsEEE10hipError_tT0_T1_T2_jT3_P12ihipStream_tbPNSt15iterator_traitsISJ_E10value_typeEPNSP_ISK_E10value_typeEPSL_NS1_7vsmem_tEENKUlT_SJ_SK_SL_E_clIPsSE_SF_SF_EESI_SY_SJ_SK_SL_EUlSY_E0_NS1_11comp_targetILNS1_3genE4ELNS1_11target_archE910ELNS1_3gpuE8ELNS1_3repE0EEENS1_38merge_mergepath_config_static_selectorELNS0_4arch9wavefront6targetE0EEEvSK_.num_vgpr, 0
	.set _ZN7rocprim17ROCPRIM_400000_NS6detail17trampoline_kernelINS0_14default_configENS1_38merge_sort_block_merge_config_selectorIsNS0_10empty_typeEEEZZNS1_27merge_sort_block_merge_implIS3_N6thrust23THRUST_200600_302600_NS6detail15normal_iteratorINS9_10device_ptrIsEEEEPS5_m11less_div_10IsEEE10hipError_tT0_T1_T2_jT3_P12ihipStream_tbPNSt15iterator_traitsISJ_E10value_typeEPNSP_ISK_E10value_typeEPSL_NS1_7vsmem_tEENKUlT_SJ_SK_SL_E_clIPsSE_SF_SF_EESI_SY_SJ_SK_SL_EUlSY_E0_NS1_11comp_targetILNS1_3genE4ELNS1_11target_archE910ELNS1_3gpuE8ELNS1_3repE0EEENS1_38merge_mergepath_config_static_selectorELNS0_4arch9wavefront6targetE0EEEvSK_.num_agpr, 0
	.set _ZN7rocprim17ROCPRIM_400000_NS6detail17trampoline_kernelINS0_14default_configENS1_38merge_sort_block_merge_config_selectorIsNS0_10empty_typeEEEZZNS1_27merge_sort_block_merge_implIS3_N6thrust23THRUST_200600_302600_NS6detail15normal_iteratorINS9_10device_ptrIsEEEEPS5_m11less_div_10IsEEE10hipError_tT0_T1_T2_jT3_P12ihipStream_tbPNSt15iterator_traitsISJ_E10value_typeEPNSP_ISK_E10value_typeEPSL_NS1_7vsmem_tEENKUlT_SJ_SK_SL_E_clIPsSE_SF_SF_EESI_SY_SJ_SK_SL_EUlSY_E0_NS1_11comp_targetILNS1_3genE4ELNS1_11target_archE910ELNS1_3gpuE8ELNS1_3repE0EEENS1_38merge_mergepath_config_static_selectorELNS0_4arch9wavefront6targetE0EEEvSK_.numbered_sgpr, 0
	.set _ZN7rocprim17ROCPRIM_400000_NS6detail17trampoline_kernelINS0_14default_configENS1_38merge_sort_block_merge_config_selectorIsNS0_10empty_typeEEEZZNS1_27merge_sort_block_merge_implIS3_N6thrust23THRUST_200600_302600_NS6detail15normal_iteratorINS9_10device_ptrIsEEEEPS5_m11less_div_10IsEEE10hipError_tT0_T1_T2_jT3_P12ihipStream_tbPNSt15iterator_traitsISJ_E10value_typeEPNSP_ISK_E10value_typeEPSL_NS1_7vsmem_tEENKUlT_SJ_SK_SL_E_clIPsSE_SF_SF_EESI_SY_SJ_SK_SL_EUlSY_E0_NS1_11comp_targetILNS1_3genE4ELNS1_11target_archE910ELNS1_3gpuE8ELNS1_3repE0EEENS1_38merge_mergepath_config_static_selectorELNS0_4arch9wavefront6targetE0EEEvSK_.num_named_barrier, 0
	.set _ZN7rocprim17ROCPRIM_400000_NS6detail17trampoline_kernelINS0_14default_configENS1_38merge_sort_block_merge_config_selectorIsNS0_10empty_typeEEEZZNS1_27merge_sort_block_merge_implIS3_N6thrust23THRUST_200600_302600_NS6detail15normal_iteratorINS9_10device_ptrIsEEEEPS5_m11less_div_10IsEEE10hipError_tT0_T1_T2_jT3_P12ihipStream_tbPNSt15iterator_traitsISJ_E10value_typeEPNSP_ISK_E10value_typeEPSL_NS1_7vsmem_tEENKUlT_SJ_SK_SL_E_clIPsSE_SF_SF_EESI_SY_SJ_SK_SL_EUlSY_E0_NS1_11comp_targetILNS1_3genE4ELNS1_11target_archE910ELNS1_3gpuE8ELNS1_3repE0EEENS1_38merge_mergepath_config_static_selectorELNS0_4arch9wavefront6targetE0EEEvSK_.private_seg_size, 0
	.set _ZN7rocprim17ROCPRIM_400000_NS6detail17trampoline_kernelINS0_14default_configENS1_38merge_sort_block_merge_config_selectorIsNS0_10empty_typeEEEZZNS1_27merge_sort_block_merge_implIS3_N6thrust23THRUST_200600_302600_NS6detail15normal_iteratorINS9_10device_ptrIsEEEEPS5_m11less_div_10IsEEE10hipError_tT0_T1_T2_jT3_P12ihipStream_tbPNSt15iterator_traitsISJ_E10value_typeEPNSP_ISK_E10value_typeEPSL_NS1_7vsmem_tEENKUlT_SJ_SK_SL_E_clIPsSE_SF_SF_EESI_SY_SJ_SK_SL_EUlSY_E0_NS1_11comp_targetILNS1_3genE4ELNS1_11target_archE910ELNS1_3gpuE8ELNS1_3repE0EEENS1_38merge_mergepath_config_static_selectorELNS0_4arch9wavefront6targetE0EEEvSK_.uses_vcc, 0
	.set _ZN7rocprim17ROCPRIM_400000_NS6detail17trampoline_kernelINS0_14default_configENS1_38merge_sort_block_merge_config_selectorIsNS0_10empty_typeEEEZZNS1_27merge_sort_block_merge_implIS3_N6thrust23THRUST_200600_302600_NS6detail15normal_iteratorINS9_10device_ptrIsEEEEPS5_m11less_div_10IsEEE10hipError_tT0_T1_T2_jT3_P12ihipStream_tbPNSt15iterator_traitsISJ_E10value_typeEPNSP_ISK_E10value_typeEPSL_NS1_7vsmem_tEENKUlT_SJ_SK_SL_E_clIPsSE_SF_SF_EESI_SY_SJ_SK_SL_EUlSY_E0_NS1_11comp_targetILNS1_3genE4ELNS1_11target_archE910ELNS1_3gpuE8ELNS1_3repE0EEENS1_38merge_mergepath_config_static_selectorELNS0_4arch9wavefront6targetE0EEEvSK_.uses_flat_scratch, 0
	.set _ZN7rocprim17ROCPRIM_400000_NS6detail17trampoline_kernelINS0_14default_configENS1_38merge_sort_block_merge_config_selectorIsNS0_10empty_typeEEEZZNS1_27merge_sort_block_merge_implIS3_N6thrust23THRUST_200600_302600_NS6detail15normal_iteratorINS9_10device_ptrIsEEEEPS5_m11less_div_10IsEEE10hipError_tT0_T1_T2_jT3_P12ihipStream_tbPNSt15iterator_traitsISJ_E10value_typeEPNSP_ISK_E10value_typeEPSL_NS1_7vsmem_tEENKUlT_SJ_SK_SL_E_clIPsSE_SF_SF_EESI_SY_SJ_SK_SL_EUlSY_E0_NS1_11comp_targetILNS1_3genE4ELNS1_11target_archE910ELNS1_3gpuE8ELNS1_3repE0EEENS1_38merge_mergepath_config_static_selectorELNS0_4arch9wavefront6targetE0EEEvSK_.has_dyn_sized_stack, 0
	.set _ZN7rocprim17ROCPRIM_400000_NS6detail17trampoline_kernelINS0_14default_configENS1_38merge_sort_block_merge_config_selectorIsNS0_10empty_typeEEEZZNS1_27merge_sort_block_merge_implIS3_N6thrust23THRUST_200600_302600_NS6detail15normal_iteratorINS9_10device_ptrIsEEEEPS5_m11less_div_10IsEEE10hipError_tT0_T1_T2_jT3_P12ihipStream_tbPNSt15iterator_traitsISJ_E10value_typeEPNSP_ISK_E10value_typeEPSL_NS1_7vsmem_tEENKUlT_SJ_SK_SL_E_clIPsSE_SF_SF_EESI_SY_SJ_SK_SL_EUlSY_E0_NS1_11comp_targetILNS1_3genE4ELNS1_11target_archE910ELNS1_3gpuE8ELNS1_3repE0EEENS1_38merge_mergepath_config_static_selectorELNS0_4arch9wavefront6targetE0EEEvSK_.has_recursion, 0
	.set _ZN7rocprim17ROCPRIM_400000_NS6detail17trampoline_kernelINS0_14default_configENS1_38merge_sort_block_merge_config_selectorIsNS0_10empty_typeEEEZZNS1_27merge_sort_block_merge_implIS3_N6thrust23THRUST_200600_302600_NS6detail15normal_iteratorINS9_10device_ptrIsEEEEPS5_m11less_div_10IsEEE10hipError_tT0_T1_T2_jT3_P12ihipStream_tbPNSt15iterator_traitsISJ_E10value_typeEPNSP_ISK_E10value_typeEPSL_NS1_7vsmem_tEENKUlT_SJ_SK_SL_E_clIPsSE_SF_SF_EESI_SY_SJ_SK_SL_EUlSY_E0_NS1_11comp_targetILNS1_3genE4ELNS1_11target_archE910ELNS1_3gpuE8ELNS1_3repE0EEENS1_38merge_mergepath_config_static_selectorELNS0_4arch9wavefront6targetE0EEEvSK_.has_indirect_call, 0
	.section	.AMDGPU.csdata,"",@progbits
; Kernel info:
; codeLenInByte = 0
; TotalNumSgprs: 0
; NumVgprs: 0
; ScratchSize: 0
; MemoryBound: 0
; FloatMode: 240
; IeeeMode: 1
; LDSByteSize: 0 bytes/workgroup (compile time only)
; SGPRBlocks: 0
; VGPRBlocks: 0
; NumSGPRsForWavesPerEU: 1
; NumVGPRsForWavesPerEU: 1
; Occupancy: 16
; WaveLimiterHint : 0
; COMPUTE_PGM_RSRC2:SCRATCH_EN: 0
; COMPUTE_PGM_RSRC2:USER_SGPR: 6
; COMPUTE_PGM_RSRC2:TRAP_HANDLER: 0
; COMPUTE_PGM_RSRC2:TGID_X_EN: 1
; COMPUTE_PGM_RSRC2:TGID_Y_EN: 0
; COMPUTE_PGM_RSRC2:TGID_Z_EN: 0
; COMPUTE_PGM_RSRC2:TIDIG_COMP_CNT: 0
	.section	.text._ZN7rocprim17ROCPRIM_400000_NS6detail17trampoline_kernelINS0_14default_configENS1_38merge_sort_block_merge_config_selectorIsNS0_10empty_typeEEEZZNS1_27merge_sort_block_merge_implIS3_N6thrust23THRUST_200600_302600_NS6detail15normal_iteratorINS9_10device_ptrIsEEEEPS5_m11less_div_10IsEEE10hipError_tT0_T1_T2_jT3_P12ihipStream_tbPNSt15iterator_traitsISJ_E10value_typeEPNSP_ISK_E10value_typeEPSL_NS1_7vsmem_tEENKUlT_SJ_SK_SL_E_clIPsSE_SF_SF_EESI_SY_SJ_SK_SL_EUlSY_E0_NS1_11comp_targetILNS1_3genE3ELNS1_11target_archE908ELNS1_3gpuE7ELNS1_3repE0EEENS1_38merge_mergepath_config_static_selectorELNS0_4arch9wavefront6targetE0EEEvSK_,"axG",@progbits,_ZN7rocprim17ROCPRIM_400000_NS6detail17trampoline_kernelINS0_14default_configENS1_38merge_sort_block_merge_config_selectorIsNS0_10empty_typeEEEZZNS1_27merge_sort_block_merge_implIS3_N6thrust23THRUST_200600_302600_NS6detail15normal_iteratorINS9_10device_ptrIsEEEEPS5_m11less_div_10IsEEE10hipError_tT0_T1_T2_jT3_P12ihipStream_tbPNSt15iterator_traitsISJ_E10value_typeEPNSP_ISK_E10value_typeEPSL_NS1_7vsmem_tEENKUlT_SJ_SK_SL_E_clIPsSE_SF_SF_EESI_SY_SJ_SK_SL_EUlSY_E0_NS1_11comp_targetILNS1_3genE3ELNS1_11target_archE908ELNS1_3gpuE7ELNS1_3repE0EEENS1_38merge_mergepath_config_static_selectorELNS0_4arch9wavefront6targetE0EEEvSK_,comdat
	.protected	_ZN7rocprim17ROCPRIM_400000_NS6detail17trampoline_kernelINS0_14default_configENS1_38merge_sort_block_merge_config_selectorIsNS0_10empty_typeEEEZZNS1_27merge_sort_block_merge_implIS3_N6thrust23THRUST_200600_302600_NS6detail15normal_iteratorINS9_10device_ptrIsEEEEPS5_m11less_div_10IsEEE10hipError_tT0_T1_T2_jT3_P12ihipStream_tbPNSt15iterator_traitsISJ_E10value_typeEPNSP_ISK_E10value_typeEPSL_NS1_7vsmem_tEENKUlT_SJ_SK_SL_E_clIPsSE_SF_SF_EESI_SY_SJ_SK_SL_EUlSY_E0_NS1_11comp_targetILNS1_3genE3ELNS1_11target_archE908ELNS1_3gpuE7ELNS1_3repE0EEENS1_38merge_mergepath_config_static_selectorELNS0_4arch9wavefront6targetE0EEEvSK_ ; -- Begin function _ZN7rocprim17ROCPRIM_400000_NS6detail17trampoline_kernelINS0_14default_configENS1_38merge_sort_block_merge_config_selectorIsNS0_10empty_typeEEEZZNS1_27merge_sort_block_merge_implIS3_N6thrust23THRUST_200600_302600_NS6detail15normal_iteratorINS9_10device_ptrIsEEEEPS5_m11less_div_10IsEEE10hipError_tT0_T1_T2_jT3_P12ihipStream_tbPNSt15iterator_traitsISJ_E10value_typeEPNSP_ISK_E10value_typeEPSL_NS1_7vsmem_tEENKUlT_SJ_SK_SL_E_clIPsSE_SF_SF_EESI_SY_SJ_SK_SL_EUlSY_E0_NS1_11comp_targetILNS1_3genE3ELNS1_11target_archE908ELNS1_3gpuE7ELNS1_3repE0EEENS1_38merge_mergepath_config_static_selectorELNS0_4arch9wavefront6targetE0EEEvSK_
	.globl	_ZN7rocprim17ROCPRIM_400000_NS6detail17trampoline_kernelINS0_14default_configENS1_38merge_sort_block_merge_config_selectorIsNS0_10empty_typeEEEZZNS1_27merge_sort_block_merge_implIS3_N6thrust23THRUST_200600_302600_NS6detail15normal_iteratorINS9_10device_ptrIsEEEEPS5_m11less_div_10IsEEE10hipError_tT0_T1_T2_jT3_P12ihipStream_tbPNSt15iterator_traitsISJ_E10value_typeEPNSP_ISK_E10value_typeEPSL_NS1_7vsmem_tEENKUlT_SJ_SK_SL_E_clIPsSE_SF_SF_EESI_SY_SJ_SK_SL_EUlSY_E0_NS1_11comp_targetILNS1_3genE3ELNS1_11target_archE908ELNS1_3gpuE7ELNS1_3repE0EEENS1_38merge_mergepath_config_static_selectorELNS0_4arch9wavefront6targetE0EEEvSK_
	.p2align	8
	.type	_ZN7rocprim17ROCPRIM_400000_NS6detail17trampoline_kernelINS0_14default_configENS1_38merge_sort_block_merge_config_selectorIsNS0_10empty_typeEEEZZNS1_27merge_sort_block_merge_implIS3_N6thrust23THRUST_200600_302600_NS6detail15normal_iteratorINS9_10device_ptrIsEEEEPS5_m11less_div_10IsEEE10hipError_tT0_T1_T2_jT3_P12ihipStream_tbPNSt15iterator_traitsISJ_E10value_typeEPNSP_ISK_E10value_typeEPSL_NS1_7vsmem_tEENKUlT_SJ_SK_SL_E_clIPsSE_SF_SF_EESI_SY_SJ_SK_SL_EUlSY_E0_NS1_11comp_targetILNS1_3genE3ELNS1_11target_archE908ELNS1_3gpuE7ELNS1_3repE0EEENS1_38merge_mergepath_config_static_selectorELNS0_4arch9wavefront6targetE0EEEvSK_,@function
_ZN7rocprim17ROCPRIM_400000_NS6detail17trampoline_kernelINS0_14default_configENS1_38merge_sort_block_merge_config_selectorIsNS0_10empty_typeEEEZZNS1_27merge_sort_block_merge_implIS3_N6thrust23THRUST_200600_302600_NS6detail15normal_iteratorINS9_10device_ptrIsEEEEPS5_m11less_div_10IsEEE10hipError_tT0_T1_T2_jT3_P12ihipStream_tbPNSt15iterator_traitsISJ_E10value_typeEPNSP_ISK_E10value_typeEPSL_NS1_7vsmem_tEENKUlT_SJ_SK_SL_E_clIPsSE_SF_SF_EESI_SY_SJ_SK_SL_EUlSY_E0_NS1_11comp_targetILNS1_3genE3ELNS1_11target_archE908ELNS1_3gpuE7ELNS1_3repE0EEENS1_38merge_mergepath_config_static_selectorELNS0_4arch9wavefront6targetE0EEEvSK_: ; @_ZN7rocprim17ROCPRIM_400000_NS6detail17trampoline_kernelINS0_14default_configENS1_38merge_sort_block_merge_config_selectorIsNS0_10empty_typeEEEZZNS1_27merge_sort_block_merge_implIS3_N6thrust23THRUST_200600_302600_NS6detail15normal_iteratorINS9_10device_ptrIsEEEEPS5_m11less_div_10IsEEE10hipError_tT0_T1_T2_jT3_P12ihipStream_tbPNSt15iterator_traitsISJ_E10value_typeEPNSP_ISK_E10value_typeEPSL_NS1_7vsmem_tEENKUlT_SJ_SK_SL_E_clIPsSE_SF_SF_EESI_SY_SJ_SK_SL_EUlSY_E0_NS1_11comp_targetILNS1_3genE3ELNS1_11target_archE908ELNS1_3gpuE7ELNS1_3repE0EEENS1_38merge_mergepath_config_static_selectorELNS0_4arch9wavefront6targetE0EEEvSK_
; %bb.0:
	.section	.rodata,"a",@progbits
	.p2align	6, 0x0
	.amdhsa_kernel _ZN7rocprim17ROCPRIM_400000_NS6detail17trampoline_kernelINS0_14default_configENS1_38merge_sort_block_merge_config_selectorIsNS0_10empty_typeEEEZZNS1_27merge_sort_block_merge_implIS3_N6thrust23THRUST_200600_302600_NS6detail15normal_iteratorINS9_10device_ptrIsEEEEPS5_m11less_div_10IsEEE10hipError_tT0_T1_T2_jT3_P12ihipStream_tbPNSt15iterator_traitsISJ_E10value_typeEPNSP_ISK_E10value_typeEPSL_NS1_7vsmem_tEENKUlT_SJ_SK_SL_E_clIPsSE_SF_SF_EESI_SY_SJ_SK_SL_EUlSY_E0_NS1_11comp_targetILNS1_3genE3ELNS1_11target_archE908ELNS1_3gpuE7ELNS1_3repE0EEENS1_38merge_mergepath_config_static_selectorELNS0_4arch9wavefront6targetE0EEEvSK_
		.amdhsa_group_segment_fixed_size 0
		.amdhsa_private_segment_fixed_size 0
		.amdhsa_kernarg_size 72
		.amdhsa_user_sgpr_count 6
		.amdhsa_user_sgpr_private_segment_buffer 1
		.amdhsa_user_sgpr_dispatch_ptr 0
		.amdhsa_user_sgpr_queue_ptr 0
		.amdhsa_user_sgpr_kernarg_segment_ptr 1
		.amdhsa_user_sgpr_dispatch_id 0
		.amdhsa_user_sgpr_flat_scratch_init 0
		.amdhsa_user_sgpr_private_segment_size 0
		.amdhsa_wavefront_size32 1
		.amdhsa_uses_dynamic_stack 0
		.amdhsa_system_sgpr_private_segment_wavefront_offset 0
		.amdhsa_system_sgpr_workgroup_id_x 1
		.amdhsa_system_sgpr_workgroup_id_y 0
		.amdhsa_system_sgpr_workgroup_id_z 0
		.amdhsa_system_sgpr_workgroup_info 0
		.amdhsa_system_vgpr_workitem_id 0
		.amdhsa_next_free_vgpr 1
		.amdhsa_next_free_sgpr 1
		.amdhsa_reserve_vcc 0
		.amdhsa_reserve_flat_scratch 0
		.amdhsa_float_round_mode_32 0
		.amdhsa_float_round_mode_16_64 0
		.amdhsa_float_denorm_mode_32 3
		.amdhsa_float_denorm_mode_16_64 3
		.amdhsa_dx10_clamp 1
		.amdhsa_ieee_mode 1
		.amdhsa_fp16_overflow 0
		.amdhsa_workgroup_processor_mode 1
		.amdhsa_memory_ordered 1
		.amdhsa_forward_progress 1
		.amdhsa_shared_vgpr_count 0
		.amdhsa_exception_fp_ieee_invalid_op 0
		.amdhsa_exception_fp_denorm_src 0
		.amdhsa_exception_fp_ieee_div_zero 0
		.amdhsa_exception_fp_ieee_overflow 0
		.amdhsa_exception_fp_ieee_underflow 0
		.amdhsa_exception_fp_ieee_inexact 0
		.amdhsa_exception_int_div_zero 0
	.end_amdhsa_kernel
	.section	.text._ZN7rocprim17ROCPRIM_400000_NS6detail17trampoline_kernelINS0_14default_configENS1_38merge_sort_block_merge_config_selectorIsNS0_10empty_typeEEEZZNS1_27merge_sort_block_merge_implIS3_N6thrust23THRUST_200600_302600_NS6detail15normal_iteratorINS9_10device_ptrIsEEEEPS5_m11less_div_10IsEEE10hipError_tT0_T1_T2_jT3_P12ihipStream_tbPNSt15iterator_traitsISJ_E10value_typeEPNSP_ISK_E10value_typeEPSL_NS1_7vsmem_tEENKUlT_SJ_SK_SL_E_clIPsSE_SF_SF_EESI_SY_SJ_SK_SL_EUlSY_E0_NS1_11comp_targetILNS1_3genE3ELNS1_11target_archE908ELNS1_3gpuE7ELNS1_3repE0EEENS1_38merge_mergepath_config_static_selectorELNS0_4arch9wavefront6targetE0EEEvSK_,"axG",@progbits,_ZN7rocprim17ROCPRIM_400000_NS6detail17trampoline_kernelINS0_14default_configENS1_38merge_sort_block_merge_config_selectorIsNS0_10empty_typeEEEZZNS1_27merge_sort_block_merge_implIS3_N6thrust23THRUST_200600_302600_NS6detail15normal_iteratorINS9_10device_ptrIsEEEEPS5_m11less_div_10IsEEE10hipError_tT0_T1_T2_jT3_P12ihipStream_tbPNSt15iterator_traitsISJ_E10value_typeEPNSP_ISK_E10value_typeEPSL_NS1_7vsmem_tEENKUlT_SJ_SK_SL_E_clIPsSE_SF_SF_EESI_SY_SJ_SK_SL_EUlSY_E0_NS1_11comp_targetILNS1_3genE3ELNS1_11target_archE908ELNS1_3gpuE7ELNS1_3repE0EEENS1_38merge_mergepath_config_static_selectorELNS0_4arch9wavefront6targetE0EEEvSK_,comdat
.Lfunc_end536:
	.size	_ZN7rocprim17ROCPRIM_400000_NS6detail17trampoline_kernelINS0_14default_configENS1_38merge_sort_block_merge_config_selectorIsNS0_10empty_typeEEEZZNS1_27merge_sort_block_merge_implIS3_N6thrust23THRUST_200600_302600_NS6detail15normal_iteratorINS9_10device_ptrIsEEEEPS5_m11less_div_10IsEEE10hipError_tT0_T1_T2_jT3_P12ihipStream_tbPNSt15iterator_traitsISJ_E10value_typeEPNSP_ISK_E10value_typeEPSL_NS1_7vsmem_tEENKUlT_SJ_SK_SL_E_clIPsSE_SF_SF_EESI_SY_SJ_SK_SL_EUlSY_E0_NS1_11comp_targetILNS1_3genE3ELNS1_11target_archE908ELNS1_3gpuE7ELNS1_3repE0EEENS1_38merge_mergepath_config_static_selectorELNS0_4arch9wavefront6targetE0EEEvSK_, .Lfunc_end536-_ZN7rocprim17ROCPRIM_400000_NS6detail17trampoline_kernelINS0_14default_configENS1_38merge_sort_block_merge_config_selectorIsNS0_10empty_typeEEEZZNS1_27merge_sort_block_merge_implIS3_N6thrust23THRUST_200600_302600_NS6detail15normal_iteratorINS9_10device_ptrIsEEEEPS5_m11less_div_10IsEEE10hipError_tT0_T1_T2_jT3_P12ihipStream_tbPNSt15iterator_traitsISJ_E10value_typeEPNSP_ISK_E10value_typeEPSL_NS1_7vsmem_tEENKUlT_SJ_SK_SL_E_clIPsSE_SF_SF_EESI_SY_SJ_SK_SL_EUlSY_E0_NS1_11comp_targetILNS1_3genE3ELNS1_11target_archE908ELNS1_3gpuE7ELNS1_3repE0EEENS1_38merge_mergepath_config_static_selectorELNS0_4arch9wavefront6targetE0EEEvSK_
                                        ; -- End function
	.set _ZN7rocprim17ROCPRIM_400000_NS6detail17trampoline_kernelINS0_14default_configENS1_38merge_sort_block_merge_config_selectorIsNS0_10empty_typeEEEZZNS1_27merge_sort_block_merge_implIS3_N6thrust23THRUST_200600_302600_NS6detail15normal_iteratorINS9_10device_ptrIsEEEEPS5_m11less_div_10IsEEE10hipError_tT0_T1_T2_jT3_P12ihipStream_tbPNSt15iterator_traitsISJ_E10value_typeEPNSP_ISK_E10value_typeEPSL_NS1_7vsmem_tEENKUlT_SJ_SK_SL_E_clIPsSE_SF_SF_EESI_SY_SJ_SK_SL_EUlSY_E0_NS1_11comp_targetILNS1_3genE3ELNS1_11target_archE908ELNS1_3gpuE7ELNS1_3repE0EEENS1_38merge_mergepath_config_static_selectorELNS0_4arch9wavefront6targetE0EEEvSK_.num_vgpr, 0
	.set _ZN7rocprim17ROCPRIM_400000_NS6detail17trampoline_kernelINS0_14default_configENS1_38merge_sort_block_merge_config_selectorIsNS0_10empty_typeEEEZZNS1_27merge_sort_block_merge_implIS3_N6thrust23THRUST_200600_302600_NS6detail15normal_iteratorINS9_10device_ptrIsEEEEPS5_m11less_div_10IsEEE10hipError_tT0_T1_T2_jT3_P12ihipStream_tbPNSt15iterator_traitsISJ_E10value_typeEPNSP_ISK_E10value_typeEPSL_NS1_7vsmem_tEENKUlT_SJ_SK_SL_E_clIPsSE_SF_SF_EESI_SY_SJ_SK_SL_EUlSY_E0_NS1_11comp_targetILNS1_3genE3ELNS1_11target_archE908ELNS1_3gpuE7ELNS1_3repE0EEENS1_38merge_mergepath_config_static_selectorELNS0_4arch9wavefront6targetE0EEEvSK_.num_agpr, 0
	.set _ZN7rocprim17ROCPRIM_400000_NS6detail17trampoline_kernelINS0_14default_configENS1_38merge_sort_block_merge_config_selectorIsNS0_10empty_typeEEEZZNS1_27merge_sort_block_merge_implIS3_N6thrust23THRUST_200600_302600_NS6detail15normal_iteratorINS9_10device_ptrIsEEEEPS5_m11less_div_10IsEEE10hipError_tT0_T1_T2_jT3_P12ihipStream_tbPNSt15iterator_traitsISJ_E10value_typeEPNSP_ISK_E10value_typeEPSL_NS1_7vsmem_tEENKUlT_SJ_SK_SL_E_clIPsSE_SF_SF_EESI_SY_SJ_SK_SL_EUlSY_E0_NS1_11comp_targetILNS1_3genE3ELNS1_11target_archE908ELNS1_3gpuE7ELNS1_3repE0EEENS1_38merge_mergepath_config_static_selectorELNS0_4arch9wavefront6targetE0EEEvSK_.numbered_sgpr, 0
	.set _ZN7rocprim17ROCPRIM_400000_NS6detail17trampoline_kernelINS0_14default_configENS1_38merge_sort_block_merge_config_selectorIsNS0_10empty_typeEEEZZNS1_27merge_sort_block_merge_implIS3_N6thrust23THRUST_200600_302600_NS6detail15normal_iteratorINS9_10device_ptrIsEEEEPS5_m11less_div_10IsEEE10hipError_tT0_T1_T2_jT3_P12ihipStream_tbPNSt15iterator_traitsISJ_E10value_typeEPNSP_ISK_E10value_typeEPSL_NS1_7vsmem_tEENKUlT_SJ_SK_SL_E_clIPsSE_SF_SF_EESI_SY_SJ_SK_SL_EUlSY_E0_NS1_11comp_targetILNS1_3genE3ELNS1_11target_archE908ELNS1_3gpuE7ELNS1_3repE0EEENS1_38merge_mergepath_config_static_selectorELNS0_4arch9wavefront6targetE0EEEvSK_.num_named_barrier, 0
	.set _ZN7rocprim17ROCPRIM_400000_NS6detail17trampoline_kernelINS0_14default_configENS1_38merge_sort_block_merge_config_selectorIsNS0_10empty_typeEEEZZNS1_27merge_sort_block_merge_implIS3_N6thrust23THRUST_200600_302600_NS6detail15normal_iteratorINS9_10device_ptrIsEEEEPS5_m11less_div_10IsEEE10hipError_tT0_T1_T2_jT3_P12ihipStream_tbPNSt15iterator_traitsISJ_E10value_typeEPNSP_ISK_E10value_typeEPSL_NS1_7vsmem_tEENKUlT_SJ_SK_SL_E_clIPsSE_SF_SF_EESI_SY_SJ_SK_SL_EUlSY_E0_NS1_11comp_targetILNS1_3genE3ELNS1_11target_archE908ELNS1_3gpuE7ELNS1_3repE0EEENS1_38merge_mergepath_config_static_selectorELNS0_4arch9wavefront6targetE0EEEvSK_.private_seg_size, 0
	.set _ZN7rocprim17ROCPRIM_400000_NS6detail17trampoline_kernelINS0_14default_configENS1_38merge_sort_block_merge_config_selectorIsNS0_10empty_typeEEEZZNS1_27merge_sort_block_merge_implIS3_N6thrust23THRUST_200600_302600_NS6detail15normal_iteratorINS9_10device_ptrIsEEEEPS5_m11less_div_10IsEEE10hipError_tT0_T1_T2_jT3_P12ihipStream_tbPNSt15iterator_traitsISJ_E10value_typeEPNSP_ISK_E10value_typeEPSL_NS1_7vsmem_tEENKUlT_SJ_SK_SL_E_clIPsSE_SF_SF_EESI_SY_SJ_SK_SL_EUlSY_E0_NS1_11comp_targetILNS1_3genE3ELNS1_11target_archE908ELNS1_3gpuE7ELNS1_3repE0EEENS1_38merge_mergepath_config_static_selectorELNS0_4arch9wavefront6targetE0EEEvSK_.uses_vcc, 0
	.set _ZN7rocprim17ROCPRIM_400000_NS6detail17trampoline_kernelINS0_14default_configENS1_38merge_sort_block_merge_config_selectorIsNS0_10empty_typeEEEZZNS1_27merge_sort_block_merge_implIS3_N6thrust23THRUST_200600_302600_NS6detail15normal_iteratorINS9_10device_ptrIsEEEEPS5_m11less_div_10IsEEE10hipError_tT0_T1_T2_jT3_P12ihipStream_tbPNSt15iterator_traitsISJ_E10value_typeEPNSP_ISK_E10value_typeEPSL_NS1_7vsmem_tEENKUlT_SJ_SK_SL_E_clIPsSE_SF_SF_EESI_SY_SJ_SK_SL_EUlSY_E0_NS1_11comp_targetILNS1_3genE3ELNS1_11target_archE908ELNS1_3gpuE7ELNS1_3repE0EEENS1_38merge_mergepath_config_static_selectorELNS0_4arch9wavefront6targetE0EEEvSK_.uses_flat_scratch, 0
	.set _ZN7rocprim17ROCPRIM_400000_NS6detail17trampoline_kernelINS0_14default_configENS1_38merge_sort_block_merge_config_selectorIsNS0_10empty_typeEEEZZNS1_27merge_sort_block_merge_implIS3_N6thrust23THRUST_200600_302600_NS6detail15normal_iteratorINS9_10device_ptrIsEEEEPS5_m11less_div_10IsEEE10hipError_tT0_T1_T2_jT3_P12ihipStream_tbPNSt15iterator_traitsISJ_E10value_typeEPNSP_ISK_E10value_typeEPSL_NS1_7vsmem_tEENKUlT_SJ_SK_SL_E_clIPsSE_SF_SF_EESI_SY_SJ_SK_SL_EUlSY_E0_NS1_11comp_targetILNS1_3genE3ELNS1_11target_archE908ELNS1_3gpuE7ELNS1_3repE0EEENS1_38merge_mergepath_config_static_selectorELNS0_4arch9wavefront6targetE0EEEvSK_.has_dyn_sized_stack, 0
	.set _ZN7rocprim17ROCPRIM_400000_NS6detail17trampoline_kernelINS0_14default_configENS1_38merge_sort_block_merge_config_selectorIsNS0_10empty_typeEEEZZNS1_27merge_sort_block_merge_implIS3_N6thrust23THRUST_200600_302600_NS6detail15normal_iteratorINS9_10device_ptrIsEEEEPS5_m11less_div_10IsEEE10hipError_tT0_T1_T2_jT3_P12ihipStream_tbPNSt15iterator_traitsISJ_E10value_typeEPNSP_ISK_E10value_typeEPSL_NS1_7vsmem_tEENKUlT_SJ_SK_SL_E_clIPsSE_SF_SF_EESI_SY_SJ_SK_SL_EUlSY_E0_NS1_11comp_targetILNS1_3genE3ELNS1_11target_archE908ELNS1_3gpuE7ELNS1_3repE0EEENS1_38merge_mergepath_config_static_selectorELNS0_4arch9wavefront6targetE0EEEvSK_.has_recursion, 0
	.set _ZN7rocprim17ROCPRIM_400000_NS6detail17trampoline_kernelINS0_14default_configENS1_38merge_sort_block_merge_config_selectorIsNS0_10empty_typeEEEZZNS1_27merge_sort_block_merge_implIS3_N6thrust23THRUST_200600_302600_NS6detail15normal_iteratorINS9_10device_ptrIsEEEEPS5_m11less_div_10IsEEE10hipError_tT0_T1_T2_jT3_P12ihipStream_tbPNSt15iterator_traitsISJ_E10value_typeEPNSP_ISK_E10value_typeEPSL_NS1_7vsmem_tEENKUlT_SJ_SK_SL_E_clIPsSE_SF_SF_EESI_SY_SJ_SK_SL_EUlSY_E0_NS1_11comp_targetILNS1_3genE3ELNS1_11target_archE908ELNS1_3gpuE7ELNS1_3repE0EEENS1_38merge_mergepath_config_static_selectorELNS0_4arch9wavefront6targetE0EEEvSK_.has_indirect_call, 0
	.section	.AMDGPU.csdata,"",@progbits
; Kernel info:
; codeLenInByte = 0
; TotalNumSgprs: 0
; NumVgprs: 0
; ScratchSize: 0
; MemoryBound: 0
; FloatMode: 240
; IeeeMode: 1
; LDSByteSize: 0 bytes/workgroup (compile time only)
; SGPRBlocks: 0
; VGPRBlocks: 0
; NumSGPRsForWavesPerEU: 1
; NumVGPRsForWavesPerEU: 1
; Occupancy: 16
; WaveLimiterHint : 0
; COMPUTE_PGM_RSRC2:SCRATCH_EN: 0
; COMPUTE_PGM_RSRC2:USER_SGPR: 6
; COMPUTE_PGM_RSRC2:TRAP_HANDLER: 0
; COMPUTE_PGM_RSRC2:TGID_X_EN: 1
; COMPUTE_PGM_RSRC2:TGID_Y_EN: 0
; COMPUTE_PGM_RSRC2:TGID_Z_EN: 0
; COMPUTE_PGM_RSRC2:TIDIG_COMP_CNT: 0
	.section	.text._ZN7rocprim17ROCPRIM_400000_NS6detail17trampoline_kernelINS0_14default_configENS1_38merge_sort_block_merge_config_selectorIsNS0_10empty_typeEEEZZNS1_27merge_sort_block_merge_implIS3_N6thrust23THRUST_200600_302600_NS6detail15normal_iteratorINS9_10device_ptrIsEEEEPS5_m11less_div_10IsEEE10hipError_tT0_T1_T2_jT3_P12ihipStream_tbPNSt15iterator_traitsISJ_E10value_typeEPNSP_ISK_E10value_typeEPSL_NS1_7vsmem_tEENKUlT_SJ_SK_SL_E_clIPsSE_SF_SF_EESI_SY_SJ_SK_SL_EUlSY_E0_NS1_11comp_targetILNS1_3genE2ELNS1_11target_archE906ELNS1_3gpuE6ELNS1_3repE0EEENS1_38merge_mergepath_config_static_selectorELNS0_4arch9wavefront6targetE0EEEvSK_,"axG",@progbits,_ZN7rocprim17ROCPRIM_400000_NS6detail17trampoline_kernelINS0_14default_configENS1_38merge_sort_block_merge_config_selectorIsNS0_10empty_typeEEEZZNS1_27merge_sort_block_merge_implIS3_N6thrust23THRUST_200600_302600_NS6detail15normal_iteratorINS9_10device_ptrIsEEEEPS5_m11less_div_10IsEEE10hipError_tT0_T1_T2_jT3_P12ihipStream_tbPNSt15iterator_traitsISJ_E10value_typeEPNSP_ISK_E10value_typeEPSL_NS1_7vsmem_tEENKUlT_SJ_SK_SL_E_clIPsSE_SF_SF_EESI_SY_SJ_SK_SL_EUlSY_E0_NS1_11comp_targetILNS1_3genE2ELNS1_11target_archE906ELNS1_3gpuE6ELNS1_3repE0EEENS1_38merge_mergepath_config_static_selectorELNS0_4arch9wavefront6targetE0EEEvSK_,comdat
	.protected	_ZN7rocprim17ROCPRIM_400000_NS6detail17trampoline_kernelINS0_14default_configENS1_38merge_sort_block_merge_config_selectorIsNS0_10empty_typeEEEZZNS1_27merge_sort_block_merge_implIS3_N6thrust23THRUST_200600_302600_NS6detail15normal_iteratorINS9_10device_ptrIsEEEEPS5_m11less_div_10IsEEE10hipError_tT0_T1_T2_jT3_P12ihipStream_tbPNSt15iterator_traitsISJ_E10value_typeEPNSP_ISK_E10value_typeEPSL_NS1_7vsmem_tEENKUlT_SJ_SK_SL_E_clIPsSE_SF_SF_EESI_SY_SJ_SK_SL_EUlSY_E0_NS1_11comp_targetILNS1_3genE2ELNS1_11target_archE906ELNS1_3gpuE6ELNS1_3repE0EEENS1_38merge_mergepath_config_static_selectorELNS0_4arch9wavefront6targetE0EEEvSK_ ; -- Begin function _ZN7rocprim17ROCPRIM_400000_NS6detail17trampoline_kernelINS0_14default_configENS1_38merge_sort_block_merge_config_selectorIsNS0_10empty_typeEEEZZNS1_27merge_sort_block_merge_implIS3_N6thrust23THRUST_200600_302600_NS6detail15normal_iteratorINS9_10device_ptrIsEEEEPS5_m11less_div_10IsEEE10hipError_tT0_T1_T2_jT3_P12ihipStream_tbPNSt15iterator_traitsISJ_E10value_typeEPNSP_ISK_E10value_typeEPSL_NS1_7vsmem_tEENKUlT_SJ_SK_SL_E_clIPsSE_SF_SF_EESI_SY_SJ_SK_SL_EUlSY_E0_NS1_11comp_targetILNS1_3genE2ELNS1_11target_archE906ELNS1_3gpuE6ELNS1_3repE0EEENS1_38merge_mergepath_config_static_selectorELNS0_4arch9wavefront6targetE0EEEvSK_
	.globl	_ZN7rocprim17ROCPRIM_400000_NS6detail17trampoline_kernelINS0_14default_configENS1_38merge_sort_block_merge_config_selectorIsNS0_10empty_typeEEEZZNS1_27merge_sort_block_merge_implIS3_N6thrust23THRUST_200600_302600_NS6detail15normal_iteratorINS9_10device_ptrIsEEEEPS5_m11less_div_10IsEEE10hipError_tT0_T1_T2_jT3_P12ihipStream_tbPNSt15iterator_traitsISJ_E10value_typeEPNSP_ISK_E10value_typeEPSL_NS1_7vsmem_tEENKUlT_SJ_SK_SL_E_clIPsSE_SF_SF_EESI_SY_SJ_SK_SL_EUlSY_E0_NS1_11comp_targetILNS1_3genE2ELNS1_11target_archE906ELNS1_3gpuE6ELNS1_3repE0EEENS1_38merge_mergepath_config_static_selectorELNS0_4arch9wavefront6targetE0EEEvSK_
	.p2align	8
	.type	_ZN7rocprim17ROCPRIM_400000_NS6detail17trampoline_kernelINS0_14default_configENS1_38merge_sort_block_merge_config_selectorIsNS0_10empty_typeEEEZZNS1_27merge_sort_block_merge_implIS3_N6thrust23THRUST_200600_302600_NS6detail15normal_iteratorINS9_10device_ptrIsEEEEPS5_m11less_div_10IsEEE10hipError_tT0_T1_T2_jT3_P12ihipStream_tbPNSt15iterator_traitsISJ_E10value_typeEPNSP_ISK_E10value_typeEPSL_NS1_7vsmem_tEENKUlT_SJ_SK_SL_E_clIPsSE_SF_SF_EESI_SY_SJ_SK_SL_EUlSY_E0_NS1_11comp_targetILNS1_3genE2ELNS1_11target_archE906ELNS1_3gpuE6ELNS1_3repE0EEENS1_38merge_mergepath_config_static_selectorELNS0_4arch9wavefront6targetE0EEEvSK_,@function
_ZN7rocprim17ROCPRIM_400000_NS6detail17trampoline_kernelINS0_14default_configENS1_38merge_sort_block_merge_config_selectorIsNS0_10empty_typeEEEZZNS1_27merge_sort_block_merge_implIS3_N6thrust23THRUST_200600_302600_NS6detail15normal_iteratorINS9_10device_ptrIsEEEEPS5_m11less_div_10IsEEE10hipError_tT0_T1_T2_jT3_P12ihipStream_tbPNSt15iterator_traitsISJ_E10value_typeEPNSP_ISK_E10value_typeEPSL_NS1_7vsmem_tEENKUlT_SJ_SK_SL_E_clIPsSE_SF_SF_EESI_SY_SJ_SK_SL_EUlSY_E0_NS1_11comp_targetILNS1_3genE2ELNS1_11target_archE906ELNS1_3gpuE6ELNS1_3repE0EEENS1_38merge_mergepath_config_static_selectorELNS0_4arch9wavefront6targetE0EEEvSK_: ; @_ZN7rocprim17ROCPRIM_400000_NS6detail17trampoline_kernelINS0_14default_configENS1_38merge_sort_block_merge_config_selectorIsNS0_10empty_typeEEEZZNS1_27merge_sort_block_merge_implIS3_N6thrust23THRUST_200600_302600_NS6detail15normal_iteratorINS9_10device_ptrIsEEEEPS5_m11less_div_10IsEEE10hipError_tT0_T1_T2_jT3_P12ihipStream_tbPNSt15iterator_traitsISJ_E10value_typeEPNSP_ISK_E10value_typeEPSL_NS1_7vsmem_tEENKUlT_SJ_SK_SL_E_clIPsSE_SF_SF_EESI_SY_SJ_SK_SL_EUlSY_E0_NS1_11comp_targetILNS1_3genE2ELNS1_11target_archE906ELNS1_3gpuE6ELNS1_3repE0EEENS1_38merge_mergepath_config_static_selectorELNS0_4arch9wavefront6targetE0EEEvSK_
; %bb.0:
	.section	.rodata,"a",@progbits
	.p2align	6, 0x0
	.amdhsa_kernel _ZN7rocprim17ROCPRIM_400000_NS6detail17trampoline_kernelINS0_14default_configENS1_38merge_sort_block_merge_config_selectorIsNS0_10empty_typeEEEZZNS1_27merge_sort_block_merge_implIS3_N6thrust23THRUST_200600_302600_NS6detail15normal_iteratorINS9_10device_ptrIsEEEEPS5_m11less_div_10IsEEE10hipError_tT0_T1_T2_jT3_P12ihipStream_tbPNSt15iterator_traitsISJ_E10value_typeEPNSP_ISK_E10value_typeEPSL_NS1_7vsmem_tEENKUlT_SJ_SK_SL_E_clIPsSE_SF_SF_EESI_SY_SJ_SK_SL_EUlSY_E0_NS1_11comp_targetILNS1_3genE2ELNS1_11target_archE906ELNS1_3gpuE6ELNS1_3repE0EEENS1_38merge_mergepath_config_static_selectorELNS0_4arch9wavefront6targetE0EEEvSK_
		.amdhsa_group_segment_fixed_size 0
		.amdhsa_private_segment_fixed_size 0
		.amdhsa_kernarg_size 72
		.amdhsa_user_sgpr_count 6
		.amdhsa_user_sgpr_private_segment_buffer 1
		.amdhsa_user_sgpr_dispatch_ptr 0
		.amdhsa_user_sgpr_queue_ptr 0
		.amdhsa_user_sgpr_kernarg_segment_ptr 1
		.amdhsa_user_sgpr_dispatch_id 0
		.amdhsa_user_sgpr_flat_scratch_init 0
		.amdhsa_user_sgpr_private_segment_size 0
		.amdhsa_wavefront_size32 1
		.amdhsa_uses_dynamic_stack 0
		.amdhsa_system_sgpr_private_segment_wavefront_offset 0
		.amdhsa_system_sgpr_workgroup_id_x 1
		.amdhsa_system_sgpr_workgroup_id_y 0
		.amdhsa_system_sgpr_workgroup_id_z 0
		.amdhsa_system_sgpr_workgroup_info 0
		.amdhsa_system_vgpr_workitem_id 0
		.amdhsa_next_free_vgpr 1
		.amdhsa_next_free_sgpr 1
		.amdhsa_reserve_vcc 0
		.amdhsa_reserve_flat_scratch 0
		.amdhsa_float_round_mode_32 0
		.amdhsa_float_round_mode_16_64 0
		.amdhsa_float_denorm_mode_32 3
		.amdhsa_float_denorm_mode_16_64 3
		.amdhsa_dx10_clamp 1
		.amdhsa_ieee_mode 1
		.amdhsa_fp16_overflow 0
		.amdhsa_workgroup_processor_mode 1
		.amdhsa_memory_ordered 1
		.amdhsa_forward_progress 1
		.amdhsa_shared_vgpr_count 0
		.amdhsa_exception_fp_ieee_invalid_op 0
		.amdhsa_exception_fp_denorm_src 0
		.amdhsa_exception_fp_ieee_div_zero 0
		.amdhsa_exception_fp_ieee_overflow 0
		.amdhsa_exception_fp_ieee_underflow 0
		.amdhsa_exception_fp_ieee_inexact 0
		.amdhsa_exception_int_div_zero 0
	.end_amdhsa_kernel
	.section	.text._ZN7rocprim17ROCPRIM_400000_NS6detail17trampoline_kernelINS0_14default_configENS1_38merge_sort_block_merge_config_selectorIsNS0_10empty_typeEEEZZNS1_27merge_sort_block_merge_implIS3_N6thrust23THRUST_200600_302600_NS6detail15normal_iteratorINS9_10device_ptrIsEEEEPS5_m11less_div_10IsEEE10hipError_tT0_T1_T2_jT3_P12ihipStream_tbPNSt15iterator_traitsISJ_E10value_typeEPNSP_ISK_E10value_typeEPSL_NS1_7vsmem_tEENKUlT_SJ_SK_SL_E_clIPsSE_SF_SF_EESI_SY_SJ_SK_SL_EUlSY_E0_NS1_11comp_targetILNS1_3genE2ELNS1_11target_archE906ELNS1_3gpuE6ELNS1_3repE0EEENS1_38merge_mergepath_config_static_selectorELNS0_4arch9wavefront6targetE0EEEvSK_,"axG",@progbits,_ZN7rocprim17ROCPRIM_400000_NS6detail17trampoline_kernelINS0_14default_configENS1_38merge_sort_block_merge_config_selectorIsNS0_10empty_typeEEEZZNS1_27merge_sort_block_merge_implIS3_N6thrust23THRUST_200600_302600_NS6detail15normal_iteratorINS9_10device_ptrIsEEEEPS5_m11less_div_10IsEEE10hipError_tT0_T1_T2_jT3_P12ihipStream_tbPNSt15iterator_traitsISJ_E10value_typeEPNSP_ISK_E10value_typeEPSL_NS1_7vsmem_tEENKUlT_SJ_SK_SL_E_clIPsSE_SF_SF_EESI_SY_SJ_SK_SL_EUlSY_E0_NS1_11comp_targetILNS1_3genE2ELNS1_11target_archE906ELNS1_3gpuE6ELNS1_3repE0EEENS1_38merge_mergepath_config_static_selectorELNS0_4arch9wavefront6targetE0EEEvSK_,comdat
.Lfunc_end537:
	.size	_ZN7rocprim17ROCPRIM_400000_NS6detail17trampoline_kernelINS0_14default_configENS1_38merge_sort_block_merge_config_selectorIsNS0_10empty_typeEEEZZNS1_27merge_sort_block_merge_implIS3_N6thrust23THRUST_200600_302600_NS6detail15normal_iteratorINS9_10device_ptrIsEEEEPS5_m11less_div_10IsEEE10hipError_tT0_T1_T2_jT3_P12ihipStream_tbPNSt15iterator_traitsISJ_E10value_typeEPNSP_ISK_E10value_typeEPSL_NS1_7vsmem_tEENKUlT_SJ_SK_SL_E_clIPsSE_SF_SF_EESI_SY_SJ_SK_SL_EUlSY_E0_NS1_11comp_targetILNS1_3genE2ELNS1_11target_archE906ELNS1_3gpuE6ELNS1_3repE0EEENS1_38merge_mergepath_config_static_selectorELNS0_4arch9wavefront6targetE0EEEvSK_, .Lfunc_end537-_ZN7rocprim17ROCPRIM_400000_NS6detail17trampoline_kernelINS0_14default_configENS1_38merge_sort_block_merge_config_selectorIsNS0_10empty_typeEEEZZNS1_27merge_sort_block_merge_implIS3_N6thrust23THRUST_200600_302600_NS6detail15normal_iteratorINS9_10device_ptrIsEEEEPS5_m11less_div_10IsEEE10hipError_tT0_T1_T2_jT3_P12ihipStream_tbPNSt15iterator_traitsISJ_E10value_typeEPNSP_ISK_E10value_typeEPSL_NS1_7vsmem_tEENKUlT_SJ_SK_SL_E_clIPsSE_SF_SF_EESI_SY_SJ_SK_SL_EUlSY_E0_NS1_11comp_targetILNS1_3genE2ELNS1_11target_archE906ELNS1_3gpuE6ELNS1_3repE0EEENS1_38merge_mergepath_config_static_selectorELNS0_4arch9wavefront6targetE0EEEvSK_
                                        ; -- End function
	.set _ZN7rocprim17ROCPRIM_400000_NS6detail17trampoline_kernelINS0_14default_configENS1_38merge_sort_block_merge_config_selectorIsNS0_10empty_typeEEEZZNS1_27merge_sort_block_merge_implIS3_N6thrust23THRUST_200600_302600_NS6detail15normal_iteratorINS9_10device_ptrIsEEEEPS5_m11less_div_10IsEEE10hipError_tT0_T1_T2_jT3_P12ihipStream_tbPNSt15iterator_traitsISJ_E10value_typeEPNSP_ISK_E10value_typeEPSL_NS1_7vsmem_tEENKUlT_SJ_SK_SL_E_clIPsSE_SF_SF_EESI_SY_SJ_SK_SL_EUlSY_E0_NS1_11comp_targetILNS1_3genE2ELNS1_11target_archE906ELNS1_3gpuE6ELNS1_3repE0EEENS1_38merge_mergepath_config_static_selectorELNS0_4arch9wavefront6targetE0EEEvSK_.num_vgpr, 0
	.set _ZN7rocprim17ROCPRIM_400000_NS6detail17trampoline_kernelINS0_14default_configENS1_38merge_sort_block_merge_config_selectorIsNS0_10empty_typeEEEZZNS1_27merge_sort_block_merge_implIS3_N6thrust23THRUST_200600_302600_NS6detail15normal_iteratorINS9_10device_ptrIsEEEEPS5_m11less_div_10IsEEE10hipError_tT0_T1_T2_jT3_P12ihipStream_tbPNSt15iterator_traitsISJ_E10value_typeEPNSP_ISK_E10value_typeEPSL_NS1_7vsmem_tEENKUlT_SJ_SK_SL_E_clIPsSE_SF_SF_EESI_SY_SJ_SK_SL_EUlSY_E0_NS1_11comp_targetILNS1_3genE2ELNS1_11target_archE906ELNS1_3gpuE6ELNS1_3repE0EEENS1_38merge_mergepath_config_static_selectorELNS0_4arch9wavefront6targetE0EEEvSK_.num_agpr, 0
	.set _ZN7rocprim17ROCPRIM_400000_NS6detail17trampoline_kernelINS0_14default_configENS1_38merge_sort_block_merge_config_selectorIsNS0_10empty_typeEEEZZNS1_27merge_sort_block_merge_implIS3_N6thrust23THRUST_200600_302600_NS6detail15normal_iteratorINS9_10device_ptrIsEEEEPS5_m11less_div_10IsEEE10hipError_tT0_T1_T2_jT3_P12ihipStream_tbPNSt15iterator_traitsISJ_E10value_typeEPNSP_ISK_E10value_typeEPSL_NS1_7vsmem_tEENKUlT_SJ_SK_SL_E_clIPsSE_SF_SF_EESI_SY_SJ_SK_SL_EUlSY_E0_NS1_11comp_targetILNS1_3genE2ELNS1_11target_archE906ELNS1_3gpuE6ELNS1_3repE0EEENS1_38merge_mergepath_config_static_selectorELNS0_4arch9wavefront6targetE0EEEvSK_.numbered_sgpr, 0
	.set _ZN7rocprim17ROCPRIM_400000_NS6detail17trampoline_kernelINS0_14default_configENS1_38merge_sort_block_merge_config_selectorIsNS0_10empty_typeEEEZZNS1_27merge_sort_block_merge_implIS3_N6thrust23THRUST_200600_302600_NS6detail15normal_iteratorINS9_10device_ptrIsEEEEPS5_m11less_div_10IsEEE10hipError_tT0_T1_T2_jT3_P12ihipStream_tbPNSt15iterator_traitsISJ_E10value_typeEPNSP_ISK_E10value_typeEPSL_NS1_7vsmem_tEENKUlT_SJ_SK_SL_E_clIPsSE_SF_SF_EESI_SY_SJ_SK_SL_EUlSY_E0_NS1_11comp_targetILNS1_3genE2ELNS1_11target_archE906ELNS1_3gpuE6ELNS1_3repE0EEENS1_38merge_mergepath_config_static_selectorELNS0_4arch9wavefront6targetE0EEEvSK_.num_named_barrier, 0
	.set _ZN7rocprim17ROCPRIM_400000_NS6detail17trampoline_kernelINS0_14default_configENS1_38merge_sort_block_merge_config_selectorIsNS0_10empty_typeEEEZZNS1_27merge_sort_block_merge_implIS3_N6thrust23THRUST_200600_302600_NS6detail15normal_iteratorINS9_10device_ptrIsEEEEPS5_m11less_div_10IsEEE10hipError_tT0_T1_T2_jT3_P12ihipStream_tbPNSt15iterator_traitsISJ_E10value_typeEPNSP_ISK_E10value_typeEPSL_NS1_7vsmem_tEENKUlT_SJ_SK_SL_E_clIPsSE_SF_SF_EESI_SY_SJ_SK_SL_EUlSY_E0_NS1_11comp_targetILNS1_3genE2ELNS1_11target_archE906ELNS1_3gpuE6ELNS1_3repE0EEENS1_38merge_mergepath_config_static_selectorELNS0_4arch9wavefront6targetE0EEEvSK_.private_seg_size, 0
	.set _ZN7rocprim17ROCPRIM_400000_NS6detail17trampoline_kernelINS0_14default_configENS1_38merge_sort_block_merge_config_selectorIsNS0_10empty_typeEEEZZNS1_27merge_sort_block_merge_implIS3_N6thrust23THRUST_200600_302600_NS6detail15normal_iteratorINS9_10device_ptrIsEEEEPS5_m11less_div_10IsEEE10hipError_tT0_T1_T2_jT3_P12ihipStream_tbPNSt15iterator_traitsISJ_E10value_typeEPNSP_ISK_E10value_typeEPSL_NS1_7vsmem_tEENKUlT_SJ_SK_SL_E_clIPsSE_SF_SF_EESI_SY_SJ_SK_SL_EUlSY_E0_NS1_11comp_targetILNS1_3genE2ELNS1_11target_archE906ELNS1_3gpuE6ELNS1_3repE0EEENS1_38merge_mergepath_config_static_selectorELNS0_4arch9wavefront6targetE0EEEvSK_.uses_vcc, 0
	.set _ZN7rocprim17ROCPRIM_400000_NS6detail17trampoline_kernelINS0_14default_configENS1_38merge_sort_block_merge_config_selectorIsNS0_10empty_typeEEEZZNS1_27merge_sort_block_merge_implIS3_N6thrust23THRUST_200600_302600_NS6detail15normal_iteratorINS9_10device_ptrIsEEEEPS5_m11less_div_10IsEEE10hipError_tT0_T1_T2_jT3_P12ihipStream_tbPNSt15iterator_traitsISJ_E10value_typeEPNSP_ISK_E10value_typeEPSL_NS1_7vsmem_tEENKUlT_SJ_SK_SL_E_clIPsSE_SF_SF_EESI_SY_SJ_SK_SL_EUlSY_E0_NS1_11comp_targetILNS1_3genE2ELNS1_11target_archE906ELNS1_3gpuE6ELNS1_3repE0EEENS1_38merge_mergepath_config_static_selectorELNS0_4arch9wavefront6targetE0EEEvSK_.uses_flat_scratch, 0
	.set _ZN7rocprim17ROCPRIM_400000_NS6detail17trampoline_kernelINS0_14default_configENS1_38merge_sort_block_merge_config_selectorIsNS0_10empty_typeEEEZZNS1_27merge_sort_block_merge_implIS3_N6thrust23THRUST_200600_302600_NS6detail15normal_iteratorINS9_10device_ptrIsEEEEPS5_m11less_div_10IsEEE10hipError_tT0_T1_T2_jT3_P12ihipStream_tbPNSt15iterator_traitsISJ_E10value_typeEPNSP_ISK_E10value_typeEPSL_NS1_7vsmem_tEENKUlT_SJ_SK_SL_E_clIPsSE_SF_SF_EESI_SY_SJ_SK_SL_EUlSY_E0_NS1_11comp_targetILNS1_3genE2ELNS1_11target_archE906ELNS1_3gpuE6ELNS1_3repE0EEENS1_38merge_mergepath_config_static_selectorELNS0_4arch9wavefront6targetE0EEEvSK_.has_dyn_sized_stack, 0
	.set _ZN7rocprim17ROCPRIM_400000_NS6detail17trampoline_kernelINS0_14default_configENS1_38merge_sort_block_merge_config_selectorIsNS0_10empty_typeEEEZZNS1_27merge_sort_block_merge_implIS3_N6thrust23THRUST_200600_302600_NS6detail15normal_iteratorINS9_10device_ptrIsEEEEPS5_m11less_div_10IsEEE10hipError_tT0_T1_T2_jT3_P12ihipStream_tbPNSt15iterator_traitsISJ_E10value_typeEPNSP_ISK_E10value_typeEPSL_NS1_7vsmem_tEENKUlT_SJ_SK_SL_E_clIPsSE_SF_SF_EESI_SY_SJ_SK_SL_EUlSY_E0_NS1_11comp_targetILNS1_3genE2ELNS1_11target_archE906ELNS1_3gpuE6ELNS1_3repE0EEENS1_38merge_mergepath_config_static_selectorELNS0_4arch9wavefront6targetE0EEEvSK_.has_recursion, 0
	.set _ZN7rocprim17ROCPRIM_400000_NS6detail17trampoline_kernelINS0_14default_configENS1_38merge_sort_block_merge_config_selectorIsNS0_10empty_typeEEEZZNS1_27merge_sort_block_merge_implIS3_N6thrust23THRUST_200600_302600_NS6detail15normal_iteratorINS9_10device_ptrIsEEEEPS5_m11less_div_10IsEEE10hipError_tT0_T1_T2_jT3_P12ihipStream_tbPNSt15iterator_traitsISJ_E10value_typeEPNSP_ISK_E10value_typeEPSL_NS1_7vsmem_tEENKUlT_SJ_SK_SL_E_clIPsSE_SF_SF_EESI_SY_SJ_SK_SL_EUlSY_E0_NS1_11comp_targetILNS1_3genE2ELNS1_11target_archE906ELNS1_3gpuE6ELNS1_3repE0EEENS1_38merge_mergepath_config_static_selectorELNS0_4arch9wavefront6targetE0EEEvSK_.has_indirect_call, 0
	.section	.AMDGPU.csdata,"",@progbits
; Kernel info:
; codeLenInByte = 0
; TotalNumSgprs: 0
; NumVgprs: 0
; ScratchSize: 0
; MemoryBound: 0
; FloatMode: 240
; IeeeMode: 1
; LDSByteSize: 0 bytes/workgroup (compile time only)
; SGPRBlocks: 0
; VGPRBlocks: 0
; NumSGPRsForWavesPerEU: 1
; NumVGPRsForWavesPerEU: 1
; Occupancy: 16
; WaveLimiterHint : 0
; COMPUTE_PGM_RSRC2:SCRATCH_EN: 0
; COMPUTE_PGM_RSRC2:USER_SGPR: 6
; COMPUTE_PGM_RSRC2:TRAP_HANDLER: 0
; COMPUTE_PGM_RSRC2:TGID_X_EN: 1
; COMPUTE_PGM_RSRC2:TGID_Y_EN: 0
; COMPUTE_PGM_RSRC2:TGID_Z_EN: 0
; COMPUTE_PGM_RSRC2:TIDIG_COMP_CNT: 0
	.section	.text._ZN7rocprim17ROCPRIM_400000_NS6detail17trampoline_kernelINS0_14default_configENS1_38merge_sort_block_merge_config_selectorIsNS0_10empty_typeEEEZZNS1_27merge_sort_block_merge_implIS3_N6thrust23THRUST_200600_302600_NS6detail15normal_iteratorINS9_10device_ptrIsEEEEPS5_m11less_div_10IsEEE10hipError_tT0_T1_T2_jT3_P12ihipStream_tbPNSt15iterator_traitsISJ_E10value_typeEPNSP_ISK_E10value_typeEPSL_NS1_7vsmem_tEENKUlT_SJ_SK_SL_E_clIPsSE_SF_SF_EESI_SY_SJ_SK_SL_EUlSY_E0_NS1_11comp_targetILNS1_3genE9ELNS1_11target_archE1100ELNS1_3gpuE3ELNS1_3repE0EEENS1_38merge_mergepath_config_static_selectorELNS0_4arch9wavefront6targetE0EEEvSK_,"axG",@progbits,_ZN7rocprim17ROCPRIM_400000_NS6detail17trampoline_kernelINS0_14default_configENS1_38merge_sort_block_merge_config_selectorIsNS0_10empty_typeEEEZZNS1_27merge_sort_block_merge_implIS3_N6thrust23THRUST_200600_302600_NS6detail15normal_iteratorINS9_10device_ptrIsEEEEPS5_m11less_div_10IsEEE10hipError_tT0_T1_T2_jT3_P12ihipStream_tbPNSt15iterator_traitsISJ_E10value_typeEPNSP_ISK_E10value_typeEPSL_NS1_7vsmem_tEENKUlT_SJ_SK_SL_E_clIPsSE_SF_SF_EESI_SY_SJ_SK_SL_EUlSY_E0_NS1_11comp_targetILNS1_3genE9ELNS1_11target_archE1100ELNS1_3gpuE3ELNS1_3repE0EEENS1_38merge_mergepath_config_static_selectorELNS0_4arch9wavefront6targetE0EEEvSK_,comdat
	.protected	_ZN7rocprim17ROCPRIM_400000_NS6detail17trampoline_kernelINS0_14default_configENS1_38merge_sort_block_merge_config_selectorIsNS0_10empty_typeEEEZZNS1_27merge_sort_block_merge_implIS3_N6thrust23THRUST_200600_302600_NS6detail15normal_iteratorINS9_10device_ptrIsEEEEPS5_m11less_div_10IsEEE10hipError_tT0_T1_T2_jT3_P12ihipStream_tbPNSt15iterator_traitsISJ_E10value_typeEPNSP_ISK_E10value_typeEPSL_NS1_7vsmem_tEENKUlT_SJ_SK_SL_E_clIPsSE_SF_SF_EESI_SY_SJ_SK_SL_EUlSY_E0_NS1_11comp_targetILNS1_3genE9ELNS1_11target_archE1100ELNS1_3gpuE3ELNS1_3repE0EEENS1_38merge_mergepath_config_static_selectorELNS0_4arch9wavefront6targetE0EEEvSK_ ; -- Begin function _ZN7rocprim17ROCPRIM_400000_NS6detail17trampoline_kernelINS0_14default_configENS1_38merge_sort_block_merge_config_selectorIsNS0_10empty_typeEEEZZNS1_27merge_sort_block_merge_implIS3_N6thrust23THRUST_200600_302600_NS6detail15normal_iteratorINS9_10device_ptrIsEEEEPS5_m11less_div_10IsEEE10hipError_tT0_T1_T2_jT3_P12ihipStream_tbPNSt15iterator_traitsISJ_E10value_typeEPNSP_ISK_E10value_typeEPSL_NS1_7vsmem_tEENKUlT_SJ_SK_SL_E_clIPsSE_SF_SF_EESI_SY_SJ_SK_SL_EUlSY_E0_NS1_11comp_targetILNS1_3genE9ELNS1_11target_archE1100ELNS1_3gpuE3ELNS1_3repE0EEENS1_38merge_mergepath_config_static_selectorELNS0_4arch9wavefront6targetE0EEEvSK_
	.globl	_ZN7rocprim17ROCPRIM_400000_NS6detail17trampoline_kernelINS0_14default_configENS1_38merge_sort_block_merge_config_selectorIsNS0_10empty_typeEEEZZNS1_27merge_sort_block_merge_implIS3_N6thrust23THRUST_200600_302600_NS6detail15normal_iteratorINS9_10device_ptrIsEEEEPS5_m11less_div_10IsEEE10hipError_tT0_T1_T2_jT3_P12ihipStream_tbPNSt15iterator_traitsISJ_E10value_typeEPNSP_ISK_E10value_typeEPSL_NS1_7vsmem_tEENKUlT_SJ_SK_SL_E_clIPsSE_SF_SF_EESI_SY_SJ_SK_SL_EUlSY_E0_NS1_11comp_targetILNS1_3genE9ELNS1_11target_archE1100ELNS1_3gpuE3ELNS1_3repE0EEENS1_38merge_mergepath_config_static_selectorELNS0_4arch9wavefront6targetE0EEEvSK_
	.p2align	8
	.type	_ZN7rocprim17ROCPRIM_400000_NS6detail17trampoline_kernelINS0_14default_configENS1_38merge_sort_block_merge_config_selectorIsNS0_10empty_typeEEEZZNS1_27merge_sort_block_merge_implIS3_N6thrust23THRUST_200600_302600_NS6detail15normal_iteratorINS9_10device_ptrIsEEEEPS5_m11less_div_10IsEEE10hipError_tT0_T1_T2_jT3_P12ihipStream_tbPNSt15iterator_traitsISJ_E10value_typeEPNSP_ISK_E10value_typeEPSL_NS1_7vsmem_tEENKUlT_SJ_SK_SL_E_clIPsSE_SF_SF_EESI_SY_SJ_SK_SL_EUlSY_E0_NS1_11comp_targetILNS1_3genE9ELNS1_11target_archE1100ELNS1_3gpuE3ELNS1_3repE0EEENS1_38merge_mergepath_config_static_selectorELNS0_4arch9wavefront6targetE0EEEvSK_,@function
_ZN7rocprim17ROCPRIM_400000_NS6detail17trampoline_kernelINS0_14default_configENS1_38merge_sort_block_merge_config_selectorIsNS0_10empty_typeEEEZZNS1_27merge_sort_block_merge_implIS3_N6thrust23THRUST_200600_302600_NS6detail15normal_iteratorINS9_10device_ptrIsEEEEPS5_m11less_div_10IsEEE10hipError_tT0_T1_T2_jT3_P12ihipStream_tbPNSt15iterator_traitsISJ_E10value_typeEPNSP_ISK_E10value_typeEPSL_NS1_7vsmem_tEENKUlT_SJ_SK_SL_E_clIPsSE_SF_SF_EESI_SY_SJ_SK_SL_EUlSY_E0_NS1_11comp_targetILNS1_3genE9ELNS1_11target_archE1100ELNS1_3gpuE3ELNS1_3repE0EEENS1_38merge_mergepath_config_static_selectorELNS0_4arch9wavefront6targetE0EEEvSK_: ; @_ZN7rocprim17ROCPRIM_400000_NS6detail17trampoline_kernelINS0_14default_configENS1_38merge_sort_block_merge_config_selectorIsNS0_10empty_typeEEEZZNS1_27merge_sort_block_merge_implIS3_N6thrust23THRUST_200600_302600_NS6detail15normal_iteratorINS9_10device_ptrIsEEEEPS5_m11less_div_10IsEEE10hipError_tT0_T1_T2_jT3_P12ihipStream_tbPNSt15iterator_traitsISJ_E10value_typeEPNSP_ISK_E10value_typeEPSL_NS1_7vsmem_tEENKUlT_SJ_SK_SL_E_clIPsSE_SF_SF_EESI_SY_SJ_SK_SL_EUlSY_E0_NS1_11comp_targetILNS1_3genE9ELNS1_11target_archE1100ELNS1_3gpuE3ELNS1_3repE0EEENS1_38merge_mergepath_config_static_selectorELNS0_4arch9wavefront6targetE0EEEvSK_
; %bb.0:
	.section	.rodata,"a",@progbits
	.p2align	6, 0x0
	.amdhsa_kernel _ZN7rocprim17ROCPRIM_400000_NS6detail17trampoline_kernelINS0_14default_configENS1_38merge_sort_block_merge_config_selectorIsNS0_10empty_typeEEEZZNS1_27merge_sort_block_merge_implIS3_N6thrust23THRUST_200600_302600_NS6detail15normal_iteratorINS9_10device_ptrIsEEEEPS5_m11less_div_10IsEEE10hipError_tT0_T1_T2_jT3_P12ihipStream_tbPNSt15iterator_traitsISJ_E10value_typeEPNSP_ISK_E10value_typeEPSL_NS1_7vsmem_tEENKUlT_SJ_SK_SL_E_clIPsSE_SF_SF_EESI_SY_SJ_SK_SL_EUlSY_E0_NS1_11comp_targetILNS1_3genE9ELNS1_11target_archE1100ELNS1_3gpuE3ELNS1_3repE0EEENS1_38merge_mergepath_config_static_selectorELNS0_4arch9wavefront6targetE0EEEvSK_
		.amdhsa_group_segment_fixed_size 0
		.amdhsa_private_segment_fixed_size 0
		.amdhsa_kernarg_size 72
		.amdhsa_user_sgpr_count 6
		.amdhsa_user_sgpr_private_segment_buffer 1
		.amdhsa_user_sgpr_dispatch_ptr 0
		.amdhsa_user_sgpr_queue_ptr 0
		.amdhsa_user_sgpr_kernarg_segment_ptr 1
		.amdhsa_user_sgpr_dispatch_id 0
		.amdhsa_user_sgpr_flat_scratch_init 0
		.amdhsa_user_sgpr_private_segment_size 0
		.amdhsa_wavefront_size32 1
		.amdhsa_uses_dynamic_stack 0
		.amdhsa_system_sgpr_private_segment_wavefront_offset 0
		.amdhsa_system_sgpr_workgroup_id_x 1
		.amdhsa_system_sgpr_workgroup_id_y 0
		.amdhsa_system_sgpr_workgroup_id_z 0
		.amdhsa_system_sgpr_workgroup_info 0
		.amdhsa_system_vgpr_workitem_id 0
		.amdhsa_next_free_vgpr 1
		.amdhsa_next_free_sgpr 1
		.amdhsa_reserve_vcc 0
		.amdhsa_reserve_flat_scratch 0
		.amdhsa_float_round_mode_32 0
		.amdhsa_float_round_mode_16_64 0
		.amdhsa_float_denorm_mode_32 3
		.amdhsa_float_denorm_mode_16_64 3
		.amdhsa_dx10_clamp 1
		.amdhsa_ieee_mode 1
		.amdhsa_fp16_overflow 0
		.amdhsa_workgroup_processor_mode 1
		.amdhsa_memory_ordered 1
		.amdhsa_forward_progress 1
		.amdhsa_shared_vgpr_count 0
		.amdhsa_exception_fp_ieee_invalid_op 0
		.amdhsa_exception_fp_denorm_src 0
		.amdhsa_exception_fp_ieee_div_zero 0
		.amdhsa_exception_fp_ieee_overflow 0
		.amdhsa_exception_fp_ieee_underflow 0
		.amdhsa_exception_fp_ieee_inexact 0
		.amdhsa_exception_int_div_zero 0
	.end_amdhsa_kernel
	.section	.text._ZN7rocprim17ROCPRIM_400000_NS6detail17trampoline_kernelINS0_14default_configENS1_38merge_sort_block_merge_config_selectorIsNS0_10empty_typeEEEZZNS1_27merge_sort_block_merge_implIS3_N6thrust23THRUST_200600_302600_NS6detail15normal_iteratorINS9_10device_ptrIsEEEEPS5_m11less_div_10IsEEE10hipError_tT0_T1_T2_jT3_P12ihipStream_tbPNSt15iterator_traitsISJ_E10value_typeEPNSP_ISK_E10value_typeEPSL_NS1_7vsmem_tEENKUlT_SJ_SK_SL_E_clIPsSE_SF_SF_EESI_SY_SJ_SK_SL_EUlSY_E0_NS1_11comp_targetILNS1_3genE9ELNS1_11target_archE1100ELNS1_3gpuE3ELNS1_3repE0EEENS1_38merge_mergepath_config_static_selectorELNS0_4arch9wavefront6targetE0EEEvSK_,"axG",@progbits,_ZN7rocprim17ROCPRIM_400000_NS6detail17trampoline_kernelINS0_14default_configENS1_38merge_sort_block_merge_config_selectorIsNS0_10empty_typeEEEZZNS1_27merge_sort_block_merge_implIS3_N6thrust23THRUST_200600_302600_NS6detail15normal_iteratorINS9_10device_ptrIsEEEEPS5_m11less_div_10IsEEE10hipError_tT0_T1_T2_jT3_P12ihipStream_tbPNSt15iterator_traitsISJ_E10value_typeEPNSP_ISK_E10value_typeEPSL_NS1_7vsmem_tEENKUlT_SJ_SK_SL_E_clIPsSE_SF_SF_EESI_SY_SJ_SK_SL_EUlSY_E0_NS1_11comp_targetILNS1_3genE9ELNS1_11target_archE1100ELNS1_3gpuE3ELNS1_3repE0EEENS1_38merge_mergepath_config_static_selectorELNS0_4arch9wavefront6targetE0EEEvSK_,comdat
.Lfunc_end538:
	.size	_ZN7rocprim17ROCPRIM_400000_NS6detail17trampoline_kernelINS0_14default_configENS1_38merge_sort_block_merge_config_selectorIsNS0_10empty_typeEEEZZNS1_27merge_sort_block_merge_implIS3_N6thrust23THRUST_200600_302600_NS6detail15normal_iteratorINS9_10device_ptrIsEEEEPS5_m11less_div_10IsEEE10hipError_tT0_T1_T2_jT3_P12ihipStream_tbPNSt15iterator_traitsISJ_E10value_typeEPNSP_ISK_E10value_typeEPSL_NS1_7vsmem_tEENKUlT_SJ_SK_SL_E_clIPsSE_SF_SF_EESI_SY_SJ_SK_SL_EUlSY_E0_NS1_11comp_targetILNS1_3genE9ELNS1_11target_archE1100ELNS1_3gpuE3ELNS1_3repE0EEENS1_38merge_mergepath_config_static_selectorELNS0_4arch9wavefront6targetE0EEEvSK_, .Lfunc_end538-_ZN7rocprim17ROCPRIM_400000_NS6detail17trampoline_kernelINS0_14default_configENS1_38merge_sort_block_merge_config_selectorIsNS0_10empty_typeEEEZZNS1_27merge_sort_block_merge_implIS3_N6thrust23THRUST_200600_302600_NS6detail15normal_iteratorINS9_10device_ptrIsEEEEPS5_m11less_div_10IsEEE10hipError_tT0_T1_T2_jT3_P12ihipStream_tbPNSt15iterator_traitsISJ_E10value_typeEPNSP_ISK_E10value_typeEPSL_NS1_7vsmem_tEENKUlT_SJ_SK_SL_E_clIPsSE_SF_SF_EESI_SY_SJ_SK_SL_EUlSY_E0_NS1_11comp_targetILNS1_3genE9ELNS1_11target_archE1100ELNS1_3gpuE3ELNS1_3repE0EEENS1_38merge_mergepath_config_static_selectorELNS0_4arch9wavefront6targetE0EEEvSK_
                                        ; -- End function
	.set _ZN7rocprim17ROCPRIM_400000_NS6detail17trampoline_kernelINS0_14default_configENS1_38merge_sort_block_merge_config_selectorIsNS0_10empty_typeEEEZZNS1_27merge_sort_block_merge_implIS3_N6thrust23THRUST_200600_302600_NS6detail15normal_iteratorINS9_10device_ptrIsEEEEPS5_m11less_div_10IsEEE10hipError_tT0_T1_T2_jT3_P12ihipStream_tbPNSt15iterator_traitsISJ_E10value_typeEPNSP_ISK_E10value_typeEPSL_NS1_7vsmem_tEENKUlT_SJ_SK_SL_E_clIPsSE_SF_SF_EESI_SY_SJ_SK_SL_EUlSY_E0_NS1_11comp_targetILNS1_3genE9ELNS1_11target_archE1100ELNS1_3gpuE3ELNS1_3repE0EEENS1_38merge_mergepath_config_static_selectorELNS0_4arch9wavefront6targetE0EEEvSK_.num_vgpr, 0
	.set _ZN7rocprim17ROCPRIM_400000_NS6detail17trampoline_kernelINS0_14default_configENS1_38merge_sort_block_merge_config_selectorIsNS0_10empty_typeEEEZZNS1_27merge_sort_block_merge_implIS3_N6thrust23THRUST_200600_302600_NS6detail15normal_iteratorINS9_10device_ptrIsEEEEPS5_m11less_div_10IsEEE10hipError_tT0_T1_T2_jT3_P12ihipStream_tbPNSt15iterator_traitsISJ_E10value_typeEPNSP_ISK_E10value_typeEPSL_NS1_7vsmem_tEENKUlT_SJ_SK_SL_E_clIPsSE_SF_SF_EESI_SY_SJ_SK_SL_EUlSY_E0_NS1_11comp_targetILNS1_3genE9ELNS1_11target_archE1100ELNS1_3gpuE3ELNS1_3repE0EEENS1_38merge_mergepath_config_static_selectorELNS0_4arch9wavefront6targetE0EEEvSK_.num_agpr, 0
	.set _ZN7rocprim17ROCPRIM_400000_NS6detail17trampoline_kernelINS0_14default_configENS1_38merge_sort_block_merge_config_selectorIsNS0_10empty_typeEEEZZNS1_27merge_sort_block_merge_implIS3_N6thrust23THRUST_200600_302600_NS6detail15normal_iteratorINS9_10device_ptrIsEEEEPS5_m11less_div_10IsEEE10hipError_tT0_T1_T2_jT3_P12ihipStream_tbPNSt15iterator_traitsISJ_E10value_typeEPNSP_ISK_E10value_typeEPSL_NS1_7vsmem_tEENKUlT_SJ_SK_SL_E_clIPsSE_SF_SF_EESI_SY_SJ_SK_SL_EUlSY_E0_NS1_11comp_targetILNS1_3genE9ELNS1_11target_archE1100ELNS1_3gpuE3ELNS1_3repE0EEENS1_38merge_mergepath_config_static_selectorELNS0_4arch9wavefront6targetE0EEEvSK_.numbered_sgpr, 0
	.set _ZN7rocprim17ROCPRIM_400000_NS6detail17trampoline_kernelINS0_14default_configENS1_38merge_sort_block_merge_config_selectorIsNS0_10empty_typeEEEZZNS1_27merge_sort_block_merge_implIS3_N6thrust23THRUST_200600_302600_NS6detail15normal_iteratorINS9_10device_ptrIsEEEEPS5_m11less_div_10IsEEE10hipError_tT0_T1_T2_jT3_P12ihipStream_tbPNSt15iterator_traitsISJ_E10value_typeEPNSP_ISK_E10value_typeEPSL_NS1_7vsmem_tEENKUlT_SJ_SK_SL_E_clIPsSE_SF_SF_EESI_SY_SJ_SK_SL_EUlSY_E0_NS1_11comp_targetILNS1_3genE9ELNS1_11target_archE1100ELNS1_3gpuE3ELNS1_3repE0EEENS1_38merge_mergepath_config_static_selectorELNS0_4arch9wavefront6targetE0EEEvSK_.num_named_barrier, 0
	.set _ZN7rocprim17ROCPRIM_400000_NS6detail17trampoline_kernelINS0_14default_configENS1_38merge_sort_block_merge_config_selectorIsNS0_10empty_typeEEEZZNS1_27merge_sort_block_merge_implIS3_N6thrust23THRUST_200600_302600_NS6detail15normal_iteratorINS9_10device_ptrIsEEEEPS5_m11less_div_10IsEEE10hipError_tT0_T1_T2_jT3_P12ihipStream_tbPNSt15iterator_traitsISJ_E10value_typeEPNSP_ISK_E10value_typeEPSL_NS1_7vsmem_tEENKUlT_SJ_SK_SL_E_clIPsSE_SF_SF_EESI_SY_SJ_SK_SL_EUlSY_E0_NS1_11comp_targetILNS1_3genE9ELNS1_11target_archE1100ELNS1_3gpuE3ELNS1_3repE0EEENS1_38merge_mergepath_config_static_selectorELNS0_4arch9wavefront6targetE0EEEvSK_.private_seg_size, 0
	.set _ZN7rocprim17ROCPRIM_400000_NS6detail17trampoline_kernelINS0_14default_configENS1_38merge_sort_block_merge_config_selectorIsNS0_10empty_typeEEEZZNS1_27merge_sort_block_merge_implIS3_N6thrust23THRUST_200600_302600_NS6detail15normal_iteratorINS9_10device_ptrIsEEEEPS5_m11less_div_10IsEEE10hipError_tT0_T1_T2_jT3_P12ihipStream_tbPNSt15iterator_traitsISJ_E10value_typeEPNSP_ISK_E10value_typeEPSL_NS1_7vsmem_tEENKUlT_SJ_SK_SL_E_clIPsSE_SF_SF_EESI_SY_SJ_SK_SL_EUlSY_E0_NS1_11comp_targetILNS1_3genE9ELNS1_11target_archE1100ELNS1_3gpuE3ELNS1_3repE0EEENS1_38merge_mergepath_config_static_selectorELNS0_4arch9wavefront6targetE0EEEvSK_.uses_vcc, 0
	.set _ZN7rocprim17ROCPRIM_400000_NS6detail17trampoline_kernelINS0_14default_configENS1_38merge_sort_block_merge_config_selectorIsNS0_10empty_typeEEEZZNS1_27merge_sort_block_merge_implIS3_N6thrust23THRUST_200600_302600_NS6detail15normal_iteratorINS9_10device_ptrIsEEEEPS5_m11less_div_10IsEEE10hipError_tT0_T1_T2_jT3_P12ihipStream_tbPNSt15iterator_traitsISJ_E10value_typeEPNSP_ISK_E10value_typeEPSL_NS1_7vsmem_tEENKUlT_SJ_SK_SL_E_clIPsSE_SF_SF_EESI_SY_SJ_SK_SL_EUlSY_E0_NS1_11comp_targetILNS1_3genE9ELNS1_11target_archE1100ELNS1_3gpuE3ELNS1_3repE0EEENS1_38merge_mergepath_config_static_selectorELNS0_4arch9wavefront6targetE0EEEvSK_.uses_flat_scratch, 0
	.set _ZN7rocprim17ROCPRIM_400000_NS6detail17trampoline_kernelINS0_14default_configENS1_38merge_sort_block_merge_config_selectorIsNS0_10empty_typeEEEZZNS1_27merge_sort_block_merge_implIS3_N6thrust23THRUST_200600_302600_NS6detail15normal_iteratorINS9_10device_ptrIsEEEEPS5_m11less_div_10IsEEE10hipError_tT0_T1_T2_jT3_P12ihipStream_tbPNSt15iterator_traitsISJ_E10value_typeEPNSP_ISK_E10value_typeEPSL_NS1_7vsmem_tEENKUlT_SJ_SK_SL_E_clIPsSE_SF_SF_EESI_SY_SJ_SK_SL_EUlSY_E0_NS1_11comp_targetILNS1_3genE9ELNS1_11target_archE1100ELNS1_3gpuE3ELNS1_3repE0EEENS1_38merge_mergepath_config_static_selectorELNS0_4arch9wavefront6targetE0EEEvSK_.has_dyn_sized_stack, 0
	.set _ZN7rocprim17ROCPRIM_400000_NS6detail17trampoline_kernelINS0_14default_configENS1_38merge_sort_block_merge_config_selectorIsNS0_10empty_typeEEEZZNS1_27merge_sort_block_merge_implIS3_N6thrust23THRUST_200600_302600_NS6detail15normal_iteratorINS9_10device_ptrIsEEEEPS5_m11less_div_10IsEEE10hipError_tT0_T1_T2_jT3_P12ihipStream_tbPNSt15iterator_traitsISJ_E10value_typeEPNSP_ISK_E10value_typeEPSL_NS1_7vsmem_tEENKUlT_SJ_SK_SL_E_clIPsSE_SF_SF_EESI_SY_SJ_SK_SL_EUlSY_E0_NS1_11comp_targetILNS1_3genE9ELNS1_11target_archE1100ELNS1_3gpuE3ELNS1_3repE0EEENS1_38merge_mergepath_config_static_selectorELNS0_4arch9wavefront6targetE0EEEvSK_.has_recursion, 0
	.set _ZN7rocprim17ROCPRIM_400000_NS6detail17trampoline_kernelINS0_14default_configENS1_38merge_sort_block_merge_config_selectorIsNS0_10empty_typeEEEZZNS1_27merge_sort_block_merge_implIS3_N6thrust23THRUST_200600_302600_NS6detail15normal_iteratorINS9_10device_ptrIsEEEEPS5_m11less_div_10IsEEE10hipError_tT0_T1_T2_jT3_P12ihipStream_tbPNSt15iterator_traitsISJ_E10value_typeEPNSP_ISK_E10value_typeEPSL_NS1_7vsmem_tEENKUlT_SJ_SK_SL_E_clIPsSE_SF_SF_EESI_SY_SJ_SK_SL_EUlSY_E0_NS1_11comp_targetILNS1_3genE9ELNS1_11target_archE1100ELNS1_3gpuE3ELNS1_3repE0EEENS1_38merge_mergepath_config_static_selectorELNS0_4arch9wavefront6targetE0EEEvSK_.has_indirect_call, 0
	.section	.AMDGPU.csdata,"",@progbits
; Kernel info:
; codeLenInByte = 0
; TotalNumSgprs: 0
; NumVgprs: 0
; ScratchSize: 0
; MemoryBound: 0
; FloatMode: 240
; IeeeMode: 1
; LDSByteSize: 0 bytes/workgroup (compile time only)
; SGPRBlocks: 0
; VGPRBlocks: 0
; NumSGPRsForWavesPerEU: 1
; NumVGPRsForWavesPerEU: 1
; Occupancy: 16
; WaveLimiterHint : 0
; COMPUTE_PGM_RSRC2:SCRATCH_EN: 0
; COMPUTE_PGM_RSRC2:USER_SGPR: 6
; COMPUTE_PGM_RSRC2:TRAP_HANDLER: 0
; COMPUTE_PGM_RSRC2:TGID_X_EN: 1
; COMPUTE_PGM_RSRC2:TGID_Y_EN: 0
; COMPUTE_PGM_RSRC2:TGID_Z_EN: 0
; COMPUTE_PGM_RSRC2:TIDIG_COMP_CNT: 0
	.section	.text._ZN7rocprim17ROCPRIM_400000_NS6detail17trampoline_kernelINS0_14default_configENS1_38merge_sort_block_merge_config_selectorIsNS0_10empty_typeEEEZZNS1_27merge_sort_block_merge_implIS3_N6thrust23THRUST_200600_302600_NS6detail15normal_iteratorINS9_10device_ptrIsEEEEPS5_m11less_div_10IsEEE10hipError_tT0_T1_T2_jT3_P12ihipStream_tbPNSt15iterator_traitsISJ_E10value_typeEPNSP_ISK_E10value_typeEPSL_NS1_7vsmem_tEENKUlT_SJ_SK_SL_E_clIPsSE_SF_SF_EESI_SY_SJ_SK_SL_EUlSY_E0_NS1_11comp_targetILNS1_3genE8ELNS1_11target_archE1030ELNS1_3gpuE2ELNS1_3repE0EEENS1_38merge_mergepath_config_static_selectorELNS0_4arch9wavefront6targetE0EEEvSK_,"axG",@progbits,_ZN7rocprim17ROCPRIM_400000_NS6detail17trampoline_kernelINS0_14default_configENS1_38merge_sort_block_merge_config_selectorIsNS0_10empty_typeEEEZZNS1_27merge_sort_block_merge_implIS3_N6thrust23THRUST_200600_302600_NS6detail15normal_iteratorINS9_10device_ptrIsEEEEPS5_m11less_div_10IsEEE10hipError_tT0_T1_T2_jT3_P12ihipStream_tbPNSt15iterator_traitsISJ_E10value_typeEPNSP_ISK_E10value_typeEPSL_NS1_7vsmem_tEENKUlT_SJ_SK_SL_E_clIPsSE_SF_SF_EESI_SY_SJ_SK_SL_EUlSY_E0_NS1_11comp_targetILNS1_3genE8ELNS1_11target_archE1030ELNS1_3gpuE2ELNS1_3repE0EEENS1_38merge_mergepath_config_static_selectorELNS0_4arch9wavefront6targetE0EEEvSK_,comdat
	.protected	_ZN7rocprim17ROCPRIM_400000_NS6detail17trampoline_kernelINS0_14default_configENS1_38merge_sort_block_merge_config_selectorIsNS0_10empty_typeEEEZZNS1_27merge_sort_block_merge_implIS3_N6thrust23THRUST_200600_302600_NS6detail15normal_iteratorINS9_10device_ptrIsEEEEPS5_m11less_div_10IsEEE10hipError_tT0_T1_T2_jT3_P12ihipStream_tbPNSt15iterator_traitsISJ_E10value_typeEPNSP_ISK_E10value_typeEPSL_NS1_7vsmem_tEENKUlT_SJ_SK_SL_E_clIPsSE_SF_SF_EESI_SY_SJ_SK_SL_EUlSY_E0_NS1_11comp_targetILNS1_3genE8ELNS1_11target_archE1030ELNS1_3gpuE2ELNS1_3repE0EEENS1_38merge_mergepath_config_static_selectorELNS0_4arch9wavefront6targetE0EEEvSK_ ; -- Begin function _ZN7rocprim17ROCPRIM_400000_NS6detail17trampoline_kernelINS0_14default_configENS1_38merge_sort_block_merge_config_selectorIsNS0_10empty_typeEEEZZNS1_27merge_sort_block_merge_implIS3_N6thrust23THRUST_200600_302600_NS6detail15normal_iteratorINS9_10device_ptrIsEEEEPS5_m11less_div_10IsEEE10hipError_tT0_T1_T2_jT3_P12ihipStream_tbPNSt15iterator_traitsISJ_E10value_typeEPNSP_ISK_E10value_typeEPSL_NS1_7vsmem_tEENKUlT_SJ_SK_SL_E_clIPsSE_SF_SF_EESI_SY_SJ_SK_SL_EUlSY_E0_NS1_11comp_targetILNS1_3genE8ELNS1_11target_archE1030ELNS1_3gpuE2ELNS1_3repE0EEENS1_38merge_mergepath_config_static_selectorELNS0_4arch9wavefront6targetE0EEEvSK_
	.globl	_ZN7rocprim17ROCPRIM_400000_NS6detail17trampoline_kernelINS0_14default_configENS1_38merge_sort_block_merge_config_selectorIsNS0_10empty_typeEEEZZNS1_27merge_sort_block_merge_implIS3_N6thrust23THRUST_200600_302600_NS6detail15normal_iteratorINS9_10device_ptrIsEEEEPS5_m11less_div_10IsEEE10hipError_tT0_T1_T2_jT3_P12ihipStream_tbPNSt15iterator_traitsISJ_E10value_typeEPNSP_ISK_E10value_typeEPSL_NS1_7vsmem_tEENKUlT_SJ_SK_SL_E_clIPsSE_SF_SF_EESI_SY_SJ_SK_SL_EUlSY_E0_NS1_11comp_targetILNS1_3genE8ELNS1_11target_archE1030ELNS1_3gpuE2ELNS1_3repE0EEENS1_38merge_mergepath_config_static_selectorELNS0_4arch9wavefront6targetE0EEEvSK_
	.p2align	8
	.type	_ZN7rocprim17ROCPRIM_400000_NS6detail17trampoline_kernelINS0_14default_configENS1_38merge_sort_block_merge_config_selectorIsNS0_10empty_typeEEEZZNS1_27merge_sort_block_merge_implIS3_N6thrust23THRUST_200600_302600_NS6detail15normal_iteratorINS9_10device_ptrIsEEEEPS5_m11less_div_10IsEEE10hipError_tT0_T1_T2_jT3_P12ihipStream_tbPNSt15iterator_traitsISJ_E10value_typeEPNSP_ISK_E10value_typeEPSL_NS1_7vsmem_tEENKUlT_SJ_SK_SL_E_clIPsSE_SF_SF_EESI_SY_SJ_SK_SL_EUlSY_E0_NS1_11comp_targetILNS1_3genE8ELNS1_11target_archE1030ELNS1_3gpuE2ELNS1_3repE0EEENS1_38merge_mergepath_config_static_selectorELNS0_4arch9wavefront6targetE0EEEvSK_,@function
_ZN7rocprim17ROCPRIM_400000_NS6detail17trampoline_kernelINS0_14default_configENS1_38merge_sort_block_merge_config_selectorIsNS0_10empty_typeEEEZZNS1_27merge_sort_block_merge_implIS3_N6thrust23THRUST_200600_302600_NS6detail15normal_iteratorINS9_10device_ptrIsEEEEPS5_m11less_div_10IsEEE10hipError_tT0_T1_T2_jT3_P12ihipStream_tbPNSt15iterator_traitsISJ_E10value_typeEPNSP_ISK_E10value_typeEPSL_NS1_7vsmem_tEENKUlT_SJ_SK_SL_E_clIPsSE_SF_SF_EESI_SY_SJ_SK_SL_EUlSY_E0_NS1_11comp_targetILNS1_3genE8ELNS1_11target_archE1030ELNS1_3gpuE2ELNS1_3repE0EEENS1_38merge_mergepath_config_static_selectorELNS0_4arch9wavefront6targetE0EEEvSK_: ; @_ZN7rocprim17ROCPRIM_400000_NS6detail17trampoline_kernelINS0_14default_configENS1_38merge_sort_block_merge_config_selectorIsNS0_10empty_typeEEEZZNS1_27merge_sort_block_merge_implIS3_N6thrust23THRUST_200600_302600_NS6detail15normal_iteratorINS9_10device_ptrIsEEEEPS5_m11less_div_10IsEEE10hipError_tT0_T1_T2_jT3_P12ihipStream_tbPNSt15iterator_traitsISJ_E10value_typeEPNSP_ISK_E10value_typeEPSL_NS1_7vsmem_tEENKUlT_SJ_SK_SL_E_clIPsSE_SF_SF_EESI_SY_SJ_SK_SL_EUlSY_E0_NS1_11comp_targetILNS1_3genE8ELNS1_11target_archE1030ELNS1_3gpuE2ELNS1_3repE0EEENS1_38merge_mergepath_config_static_selectorELNS0_4arch9wavefront6targetE0EEEvSK_
; %bb.0:
	s_clause 0x1
	s_load_dwordx2 s[22:23], s[4:5], 0x48
	s_load_dword s0, s[4:5], 0x38
	s_add_u32 s20, s4, 0x48
	s_addc_u32 s21, s5, 0
	s_waitcnt lgkmcnt(0)
	s_mul_i32 s1, s23, s8
	s_add_i32 s1, s1, s7
	s_mul_i32 s1, s1, s22
	s_add_i32 s18, s1, s6
	s_cmp_ge_u32 s18, s0
	s_cbranch_scc1 .LBB539_75
; %bb.1:
	s_clause 0x1
	s_load_dwordx2 s[0:1], s[4:5], 0x40
	s_load_dwordx4 s[8:11], s[4:5], 0x28
	s_mov_b32 s19, 0
	s_lshl_b64 s[2:3], s[18:19], 3
	s_waitcnt lgkmcnt(0)
	s_add_u32 s0, s0, s2
	s_addc_u32 s1, s1, s3
	s_lshr_b64 s[12:13], s[10:11], 9
	s_load_dwordx4 s[0:3], s[0:1], 0x0
	s_and_b32 s7, s12, -2
	s_mov_b32 s13, s19
	s_sub_i32 s30, 0, s7
	s_lshl_b64 s[16:17], s[18:19], 10
	s_and_b32 s12, s18, s30
	s_lshl_b64 s[24:25], s[12:13], 10
	s_sub_u32 s23, s16, s24
	s_subb_u32 s28, s17, s25
	s_lshl_b64 s[26:27], s[12:13], 11
	s_load_dwordx4 s[12:15], s[4:5], 0x8
	s_add_u32 s7, s26, s10
	s_addc_u32 s26, s27, s11
	s_add_u32 s4, s7, s23
	s_addc_u32 s5, s26, s28
	s_waitcnt lgkmcnt(0)
	s_sub_u32 s23, s4, s2
	s_subb_u32 s3, s5, s3
	s_add_u32 s28, s23, 0x400
	s_addc_u32 s29, s3, 0
	v_cmp_lt_u64_e64 s3, s[8:9], s[28:29]
	s_and_b32 s3, s3, exec_lo
	s_cselect_b32 s23, s8, s28
	s_or_b32 s3, s18, s30
	s_cmp_lg_u32 s3, -1
	s_mov_b32 s3, -1
	s_cbranch_scc1 .LBB539_3
; %bb.2:
	s_sub_u32 s24, s7, s24
	s_subb_u32 s25, s26, s25
	v_cmp_lt_u64_e64 s2, s[8:9], s[24:25]
	s_and_b32 s2, s2, exec_lo
	s_cselect_b32 s2, s8, s24
	s_add_u32 s10, s24, s10
	s_addc_u32 s11, s25, s11
	v_cmp_lt_u64_e64 s7, s[8:9], s[10:11]
	s_and_b32 s7, s7, exec_lo
	s_cselect_b32 s23, s8, s10
.LBB539_3:
	s_lshr_b64 s[26:27], s[8:9], 10
	v_mov_b32_e32 v10, 0
	s_cmp_lg_u64 s[26:27], s[18:19]
	v_lshlrev_b32_e32 v11, 1, v0
	s_cselect_b32 s7, -1, 0
	s_sub_u32 s4, s4, s0
	s_subb_u32 s5, s5, s1
	global_load_dword v1, v10, s[20:21] offset:14
	v_cmp_lt_u64_e64 s10, s[8:9], s[4:5]
	s_and_b32 s10, s10, exec_lo
	s_cselect_b32 s4, s8, s4
	s_cselect_b32 s5, s9, s5
	s_sub_i32 s9, s2, s0
	s_lshl_b64 s[0:1], s[0:1], 1
	s_sub_i32 s10, s23, s4
	s_add_u32 s23, s12, s0
	s_addc_u32 s24, s13, s1
	s_lshl_b64 s[0:1], s[4:5], 1
	s_add_u32 s11, s12, s0
	s_addc_u32 s12, s13, s1
	s_cmp_lt_u32 s6, s22
	s_cselect_b32 s0, 12, 18
	s_add_u32 s0, s20, s0
	s_addc_u32 s1, s21, 0
	s_cmp_eq_u64 s[26:27], s[18:19]
	global_load_ushort v2, v10, s[0:1]
	s_waitcnt vmcnt(1)
	v_lshrrev_b32_e32 v3, 16, v1
	v_and_b32_e32 v1, 0xffff, v1
	v_mul_lo_u32 v1, v1, v3
	s_waitcnt vmcnt(0)
	v_mul_lo_u32 v12, v1, v2
	v_add_nc_u32_e32 v7, v12, v0
	v_add_nc_u32_e32 v5, v7, v12
	s_cbranch_scc1 .LBB539_5
; %bb.4:
	v_mov_b32_e32 v8, v10
	v_mov_b32_e32 v6, v10
	v_add_co_u32 v19, s0, s23, v11
	v_add_co_ci_u32_e64 v21, null, s24, 0, s0
	v_lshlrev_b64 v[1:2], 1, v[7:8]
	v_sub_co_u32 v9, vcc_lo, v0, s9
	v_mov_b32_e32 v20, v10
	v_lshlrev_b64 v[3:4], 1, v[9:10]
	v_add_co_u32 v8, s0, s23, v1
	v_add_co_ci_u32_e64 v23, null, s24, v2, s0
	v_lshlrev_b64 v[1:2], 1, v[5:6]
	v_sub_co_u32 v9, s0, v7, s9
	v_add_co_u32 v31, s5, s11, v3
	v_add_co_ci_u32_e64 v22, null, s12, v4, s5
	v_add_co_u32 v6, s1, s23, v1
	v_lshlrev_b64 v[13:14], 1, v[9:10]
	v_add_co_ci_u32_e64 v24, null, s24, v2, s1
	v_sub_co_u32 v9, s1, v5, s9
	v_cndmask_b32_e32 v22, v22, v21, vcc_lo
	v_cndmask_b32_e32 v21, v31, v19, vcc_lo
	v_lshlrev_b64 v[1:2], 1, v[9:10]
	v_add_nc_u32_e32 v9, v5, v12
	v_lshlrev_b64 v[15:16], 1, v[9:10]
	v_add_co_u32 v32, s5, s11, v1
	v_add_co_u32 v25, s2, s23, v15
	v_add_co_ci_u32_e64 v26, null, s24, v16, s2
	v_sub_co_u32 v15, s2, v9, s9
	v_add_nc_u32_e32 v9, v9, v12
	v_lshlrev_b64 v[16:17], 1, v[9:10]
	v_add_co_u32 v27, s3, s23, v16
	v_add_co_ci_u32_e64 v28, null, s24, v17, s3
	v_sub_co_u32 v16, s3, v9, s9
	v_add_nc_u32_e32 v9, v9, v12
	v_lshlrev_b64 v[17:18], 1, v[9:10]
	v_add_co_u32 v29, s4, s23, v17
	v_add_co_ci_u32_e64 v30, null, s24, v18, s4
	v_sub_co_u32 v18, s4, v9, s9
	v_add_nc_u32_e32 v9, v9, v12
	v_mov_b32_e32 v17, v10
	v_lshlrev_b64 v[3:4], 1, v[9:10]
	v_lshlrev_b64 v[16:17], 1, v[16:17]
	v_add_co_u32 v31, vcc_lo, s23, v3
	v_add_co_ci_u32_e64 v4, null, s24, v4, vcc_lo
	v_sub_co_u32 v19, vcc_lo, v9, s9
	v_add_co_ci_u32_e64 v3, null, s12, v2, s5
	v_add_co_u32 v16, s5, s11, v16
	v_lshlrev_b64 v[1:2], 1, v[19:20]
	v_add_co_ci_u32_e64 v17, null, s12, v17, s5
	v_cndmask_b32_e64 v3, v3, v24, s1
	v_cndmask_b32_e64 v16, v16, v27, s3
	v_add_nc_u32_e32 v9, v9, v12
	v_add_co_u32 v1, s5, s11, v1
	v_add_co_ci_u32_e64 v19, null, s12, v2, s5
	v_cndmask_b32_e64 v2, v32, v6, s1
	v_cndmask_b32_e64 v17, v17, v28, s3
	s_add_i32 s1, s9, s10
	v_cndmask_b32_e32 v20, v19, v4, vcc_lo
	v_cndmask_b32_e32 v19, v1, v31, vcc_lo
	global_load_ushort v1, v[21:22], off
	global_load_ushort v2, v[2:3], off
	;; [unrolled: 1-line block ×4, first 2 shown]
	v_add_co_u32 v6, vcc_lo, s11, v13
	v_add_co_ci_u32_e64 v17, null, s12, v14, vcc_lo
	v_lshlrev_b64 v[13:14], 1, v[9:10]
	v_mov_b32_e32 v19, v10
	v_mov_b32_e32 v16, v10
	v_cndmask_b32_e64 v20, v6, v8, s0
	v_cndmask_b32_e64 v21, v17, v23, s0
	v_add_co_u32 v6, vcc_lo, s23, v13
	v_lshlrev_b64 v[17:18], 1, v[18:19]
	v_add_co_ci_u32_e64 v19, null, s24, v14, vcc_lo
	v_sub_co_u32 v9, vcc_lo, v9, s9
	v_lshlrev_b64 v[15:16], 1, v[15:16]
	v_lshlrev_b64 v[8:9], 1, v[9:10]
	v_add_co_u32 v13, s0, s11, v15
	v_add_co_ci_u32_e64 v14, null, s12, v16, s0
	v_add_co_u32 v10, s0, s11, v17
	v_add_co_ci_u32_e64 v15, null, s12, v18, s0
	v_add_co_u32 v17, s0, s11, v8
	v_add_co_ci_u32_e64 v16, null, s12, v9, s0
	v_cndmask_b32_e64 v9, v14, v26, s2
	v_cndmask_b32_e64 v8, v13, v25, s2
	;; [unrolled: 1-line block ×4, first 2 shown]
	v_cndmask_b32_e32 v16, v16, v19, vcc_lo
	v_cndmask_b32_e32 v15, v17, v6, vcc_lo
	global_load_short_d16_hi v1, v[20:21], off
	global_load_short_d16_hi v2, v[8:9], off
	;; [unrolled: 1-line block ×4, first 2 shown]
	s_cbranch_execz .LBB539_6
	s_branch .LBB539_21
.LBB539_5:
                                        ; implicit-def: $vgpr1_vgpr2_vgpr3_vgpr4
                                        ; implicit-def: $sgpr1
	s_andn2_b32 vcc_lo, exec_lo, s3
	s_cbranch_vccnz .LBB539_21
.LBB539_6:
	s_waitcnt vmcnt(3)
	v_mov_b32_e32 v1, 0
	s_add_i32 s1, s9, s10
	s_mov_b32 s2, exec_lo
	s_waitcnt vmcnt(2)
	v_mov_b32_e32 v2, v1
	s_waitcnt vmcnt(1)
	v_mov_b32_e32 v3, v1
	;; [unrolled: 2-line block ×3, first 2 shown]
	v_cmpx_gt_u32_e64 s1, v0
	s_cbranch_execnz .LBB539_76
; %bb.7:
	s_or_b32 exec_lo, exec_lo, s2
	s_mov_b32 s2, exec_lo
	v_cmpx_gt_u32_e64 s1, v7
	s_cbranch_execnz .LBB539_77
.LBB539_8:
	s_or_b32 exec_lo, exec_lo, s2
	s_mov_b32 s2, exec_lo
	v_cmpx_gt_u32_e64 s1, v5
	s_cbranch_execz .LBB539_10
.LBB539_9:
	v_mov_b32_e32 v6, 0
	v_lshlrev_b64 v[7:8], 1, v[5:6]
	v_mov_b32_e32 v9, v6
	v_add_co_u32 v10, vcc_lo, s23, v7
	v_add_co_ci_u32_e64 v13, null, s24, v8, vcc_lo
	v_sub_co_u32 v8, vcc_lo, v5, s9
	v_lshlrev_b64 v[6:7], 1, v[8:9]
	v_add_co_u32 v6, s0, s11, v6
	v_add_co_ci_u32_e64 v7, null, s12, v7, s0
	v_cndmask_b32_e32 v6, v6, v10, vcc_lo
	v_cndmask_b32_e32 v7, v7, v13, vcc_lo
	global_load_short_d16 v2, v[6:7], off
.LBB539_10:
	s_or_b32 exec_lo, exec_lo, s2
	v_add_nc_u32_e32 v5, v5, v12
	s_mov_b32 s2, exec_lo
	v_cmpx_gt_u32_e64 s1, v5
	s_cbranch_execz .LBB539_12
; %bb.11:
	v_mov_b32_e32 v6, 0
	v_lshlrev_b64 v[7:8], 1, v[5:6]
	v_mov_b32_e32 v9, v6
	v_add_co_u32 v10, vcc_lo, s23, v7
	v_add_co_ci_u32_e64 v13, null, s24, v8, vcc_lo
	v_sub_co_u32 v8, vcc_lo, v5, s9
	v_lshlrev_b64 v[6:7], 1, v[8:9]
	v_add_co_u32 v6, s0, s11, v6
	v_add_co_ci_u32_e64 v7, null, s12, v7, s0
	v_cndmask_b32_e32 v6, v6, v10, vcc_lo
	v_cndmask_b32_e32 v7, v7, v13, vcc_lo
	global_load_short_d16_hi v2, v[6:7], off
.LBB539_12:
	s_or_b32 exec_lo, exec_lo, s2
	v_add_nc_u32_e32 v5, v5, v12
	s_mov_b32 s2, exec_lo
	v_cmpx_gt_u32_e64 s1, v5
	s_cbranch_execz .LBB539_14
; %bb.13:
	v_mov_b32_e32 v6, 0
	v_lshlrev_b64 v[7:8], 1, v[5:6]
	v_mov_b32_e32 v9, v6
	v_add_co_u32 v10, vcc_lo, s23, v7
	v_add_co_ci_u32_e64 v13, null, s24, v8, vcc_lo
	v_sub_co_u32 v8, vcc_lo, v5, s9
	v_lshlrev_b64 v[6:7], 1, v[8:9]
	v_add_co_u32 v6, s0, s11, v6
	v_add_co_ci_u32_e64 v7, null, s12, v7, s0
	v_cndmask_b32_e32 v6, v6, v10, vcc_lo
	v_cndmask_b32_e32 v7, v7, v13, vcc_lo
	global_load_short_d16 v3, v[6:7], off
.LBB539_14:
	s_or_b32 exec_lo, exec_lo, s2
	v_add_nc_u32_e32 v5, v5, v12
	s_mov_b32 s2, exec_lo
	v_cmpx_gt_u32_e64 s1, v5
	s_cbranch_execz .LBB539_16
; %bb.15:
	v_mov_b32_e32 v6, 0
	v_lshlrev_b64 v[7:8], 1, v[5:6]
	v_mov_b32_e32 v9, v6
	v_add_co_u32 v10, vcc_lo, s23, v7
	v_add_co_ci_u32_e64 v13, null, s24, v8, vcc_lo
	v_sub_co_u32 v8, vcc_lo, v5, s9
	v_lshlrev_b64 v[6:7], 1, v[8:9]
	v_add_co_u32 v6, s0, s11, v6
	v_add_co_ci_u32_e64 v7, null, s12, v7, s0
	v_cndmask_b32_e32 v6, v6, v10, vcc_lo
	v_cndmask_b32_e32 v7, v7, v13, vcc_lo
	global_load_short_d16_hi v3, v[6:7], off
.LBB539_16:
	s_or_b32 exec_lo, exec_lo, s2
	v_add_nc_u32_e32 v5, v5, v12
	s_mov_b32 s2, exec_lo
	v_cmpx_gt_u32_e64 s1, v5
	s_cbranch_execz .LBB539_18
; %bb.17:
	v_mov_b32_e32 v6, 0
	v_lshlrev_b64 v[7:8], 1, v[5:6]
	v_mov_b32_e32 v9, v6
	v_add_co_u32 v10, vcc_lo, s23, v7
	v_add_co_ci_u32_e64 v13, null, s24, v8, vcc_lo
	v_sub_co_u32 v8, vcc_lo, v5, s9
	v_lshlrev_b64 v[6:7], 1, v[8:9]
	v_add_co_u32 v6, s0, s11, v6
	v_add_co_ci_u32_e64 v7, null, s12, v7, s0
	v_cndmask_b32_e32 v6, v6, v10, vcc_lo
	v_cndmask_b32_e32 v7, v7, v13, vcc_lo
	global_load_short_d16 v4, v[6:7], off
.LBB539_18:
	s_or_b32 exec_lo, exec_lo, s2
	v_add_nc_u32_e32 v5, v5, v12
	s_mov_b32 s2, exec_lo
	v_cmpx_gt_u32_e64 s1, v5
	s_cbranch_execz .LBB539_20
; %bb.19:
	v_mov_b32_e32 v6, 0
	v_lshlrev_b64 v[7:8], 1, v[5:6]
	v_add_co_u32 v7, vcc_lo, s23, v7
	v_add_co_ci_u32_e64 v8, null, s24, v8, vcc_lo
	v_sub_co_u32 v5, vcc_lo, v5, s9
	v_lshlrev_b64 v[5:6], 1, v[5:6]
	v_add_co_u32 v5, s0, s11, v5
	v_add_co_ci_u32_e64 v6, null, s12, v6, s0
	v_cndmask_b32_e32 v5, v5, v7, vcc_lo
	v_cndmask_b32_e32 v6, v6, v8, vcc_lo
	global_load_short_d16_hi v4, v[5:6], off
.LBB539_20:
	s_or_b32 exec_lo, exec_lo, s2
.LBB539_21:
	v_lshlrev_b32_e32 v5, 3, v0
	s_waitcnt vmcnt(0)
	v_lshrrev_b32_e32 v7, 16, v1
	v_lshrrev_b32_e32 v9, 16, v2
	;; [unrolled: 1-line block ×4, first 2 shown]
	v_min_u32_e32 v8, s1, v5
	s_mov_b32 s0, exec_lo
	ds_write_b16 v11, v1
	ds_write_b16 v11, v2 offset:512
	ds_write_b16 v11, v7 offset:256
	;; [unrolled: 1-line block ×3, first 2 shown]
	v_sub_nc_u32_e64 v6, v8, s10 clamp
	v_min_u32_e32 v10, s9, v8
	ds_write_b16 v11, v3 offset:1024
	ds_write_b16 v11, v14 offset:1280
	;; [unrolled: 1-line block ×4, first 2 shown]
	s_waitcnt lgkmcnt(0)
	s_barrier
	buffer_gl0_inv
	v_cmpx_lt_u32_e64 v6, v10
	s_cbranch_execz .LBB539_25
; %bb.22:
	v_lshlrev_b32_e32 v12, 1, v8
	s_mov_b32 s2, 0
	v_lshl_add_u32 v12, s9, 1, v12
	.p2align	6
.LBB539_23:                             ; =>This Inner Loop Header: Depth=1
	v_add_nc_u32_e32 v15, v10, v6
	v_lshrrev_b32_e32 v16, 1, v15
	v_and_b32_e32 v15, -2, v15
	v_not_b32_e32 v17, v16
	v_lshl_add_u32 v17, v17, 1, v12
	ds_read_i16 v15, v15
	ds_read_i16 v17, v17
	s_waitcnt lgkmcnt(1)
	v_mul_i32_i24_e32 v15, 0x6667, v15
	s_waitcnt lgkmcnt(0)
	v_mul_i32_i24_e32 v17, 0x6667, v17
	v_lshrrev_b32_e32 v18, 31, v15
	v_ashrrev_i32_e32 v15, 18, v15
	v_lshrrev_b32_e32 v19, 31, v17
	v_ashrrev_i32_e32 v17, 18, v17
	v_add_nc_u16 v15, v15, v18
	v_add_nc_u32_e32 v18, 1, v16
	v_add_nc_u16 v17, v17, v19
	v_cmp_lt_i16_e32 vcc_lo, v17, v15
	v_cndmask_b32_e32 v10, v10, v16, vcc_lo
	v_cndmask_b32_e32 v6, v18, v6, vcc_lo
	v_cmp_ge_u32_e32 vcc_lo, v6, v10
	s_or_b32 s2, vcc_lo, s2
	s_andn2_b32 exec_lo, exec_lo, s2
	s_cbranch_execnz .LBB539_23
; %bb.24:
	s_or_b32 exec_lo, exec_lo, s2
.LBB539_25:
	s_or_b32 exec_lo, exec_lo, s0
	v_sub_nc_u32_e32 v8, v8, v6
	v_cmp_ge_u32_e32 vcc_lo, s9, v6
	v_add_nc_u32_e32 v8, s9, v8
	v_cmp_ge_u32_e64 s0, s1, v8
	s_or_b32 s0, vcc_lo, s0
	s_and_saveexec_b32 s2, s0
	s_cbranch_execz .LBB539_61
; %bb.26:
	s_mov_b32 s3, exec_lo
	v_cmp_le_u32_e32 vcc_lo, s9, v6
                                        ; implicit-def: $vgpr1
	v_cmpx_gt_u32_e64 s9, v6
; %bb.27:
	v_lshlrev_b32_e32 v1, 1, v6
	ds_read_u16 v1, v1
; %bb.28:
	s_or_b32 exec_lo, exec_lo, s3
	v_cmp_le_u32_e64 s3, s1, v8
	s_mov_b32 s4, exec_lo
                                        ; implicit-def: $vgpr4
	v_cmpx_gt_u32_e64 s1, v8
; %bb.29:
	v_lshlrev_b32_e32 v2, 1, v8
	ds_read_u16 v4, v2
; %bb.30:
	s_or_b32 exec_lo, exec_lo, s4
	s_nor_b32 s4, vcc_lo, s3
	s_and_saveexec_b32 s0, s4
	s_cbranch_execz .LBB539_32
; %bb.31:
	v_mov_b32_e32 v2, 0x6667
	s_andn2_b32 s3, s3, exec_lo
	s_waitcnt lgkmcnt(0)
	v_mul_i32_i24_sdwa v3, sext(v4), v2 dst_sel:DWORD dst_unused:UNUSED_PAD src0_sel:WORD_0 src1_sel:DWORD
	v_mul_i32_i24_sdwa v2, sext(v1), v2 dst_sel:DWORD dst_unused:UNUSED_PAD src0_sel:WORD_0 src1_sel:DWORD
	v_lshrrev_b32_e32 v7, 31, v3
	v_ashrrev_i32_e32 v3, 18, v3
	v_lshrrev_b32_e32 v9, 31, v2
	v_ashrrev_i32_e32 v2, 18, v2
	v_add_nc_u16 v3, v3, v7
	v_add_nc_u16 v2, v2, v9
	v_cmp_ge_i16_e32 vcc_lo, v3, v2
	s_and_b32 s4, vcc_lo, exec_lo
	s_or_b32 s3, s3, s4
.LBB539_32:
	s_or_b32 exec_lo, exec_lo, s0
	v_mov_b32_e32 v2, s9
	v_cndmask_b32_e64 v3, v8, v6, s3
	s_mov_b32 s4, -1
	s_mov_b32 s0, -1
	s_mov_b32 s5, exec_lo
	v_cndmask_b32_e64 v2, s1, v2, s3
	v_add_nc_u32_e32 v3, 1, v3
	v_add_nc_u32_e32 v2, -1, v2
	v_min_u32_e32 v2, v3, v2
	v_lshlrev_b32_e32 v2, 1, v2
	ds_read_u16 v7, v2
	v_cndmask_b32_e64 v2, v3, v8, s3
	v_cndmask_b32_e64 v3, v6, v3, s3
	s_waitcnt lgkmcnt(0)
	v_cndmask_b32_e64 v6, v7, v4, s3
	v_cndmask_b32_e64 v7, v1, v7, s3
	v_cmpx_gt_u32_e64 s1, v2
	s_cbranch_execz .LBB539_36
; %bb.33:
	s_mov_b32 s6, 0
	s_mov_b32 s0, exec_lo
	v_cmpx_gt_u32_e64 s9, v3
	s_cbranch_execz .LBB539_35
; %bb.34:
	v_mov_b32_e32 v8, 0x6667
	v_mul_i32_i24_sdwa v9, sext(v6), v8 dst_sel:DWORD dst_unused:UNUSED_PAD src0_sel:WORD_0 src1_sel:DWORD
	v_mul_i32_i24_sdwa v8, sext(v7), v8 dst_sel:DWORD dst_unused:UNUSED_PAD src0_sel:WORD_0 src1_sel:DWORD
	v_lshrrev_b32_e32 v10, 31, v9
	v_ashrrev_i32_e32 v9, 18, v9
	v_lshrrev_b32_e32 v12, 31, v8
	v_ashrrev_i32_e32 v8, 18, v8
	v_add_nc_u16 v9, v9, v10
	v_add_nc_u16 v8, v8, v12
	v_cmp_ge_i16_e32 vcc_lo, v9, v8
	s_and_b32 s6, vcc_lo, exec_lo
.LBB539_35:
	s_or_b32 exec_lo, exec_lo, s0
	s_orn2_b32 s0, s6, exec_lo
.LBB539_36:
	s_or_b32 exec_lo, exec_lo, s5
	v_mov_b32_e32 v8, s9
	v_cndmask_b32_e64 v9, v2, v3, s0
	s_mov_b32 s5, exec_lo
	v_cndmask_b32_e64 v8, s1, v8, s0
	v_add_nc_u32_e32 v10, 1, v9
	v_add_nc_u32_e32 v8, -1, v8
	v_cndmask_b32_e64 v9, v10, v2, s0
	v_cndmask_b32_e64 v3, v3, v10, s0
	v_min_u32_e32 v8, v10, v8
	v_lshlrev_b32_e32 v8, 1, v8
	ds_read_u16 v8, v8
	s_waitcnt lgkmcnt(0)
	v_cndmask_b32_e64 v2, v8, v6, s0
	v_cndmask_b32_e64 v8, v7, v8, s0
	v_cmpx_gt_u32_e64 s1, v9
	s_cbranch_execz .LBB539_40
; %bb.37:
	s_mov_b32 s6, 0
	s_mov_b32 s4, exec_lo
	v_cmpx_gt_u32_e64 s9, v3
	s_cbranch_execz .LBB539_39
; %bb.38:
	v_mov_b32_e32 v10, 0x6667
	v_mul_i32_i24_sdwa v12, sext(v2), v10 dst_sel:DWORD dst_unused:UNUSED_PAD src0_sel:WORD_0 src1_sel:DWORD
	v_mul_i32_i24_sdwa v10, sext(v8), v10 dst_sel:DWORD dst_unused:UNUSED_PAD src0_sel:WORD_0 src1_sel:DWORD
	v_lshrrev_b32_e32 v13, 31, v12
	v_ashrrev_i32_e32 v12, 18, v12
	v_lshrrev_b32_e32 v14, 31, v10
	v_ashrrev_i32_e32 v10, 18, v10
	v_add_nc_u16 v12, v12, v13
	v_add_nc_u16 v10, v10, v14
	v_cmp_ge_i16_e32 vcc_lo, v12, v10
	s_and_b32 s6, vcc_lo, exec_lo
.LBB539_39:
	s_or_b32 exec_lo, exec_lo, s4
	s_orn2_b32 s4, s6, exec_lo
.LBB539_40:
	s_or_b32 exec_lo, exec_lo, s5
	v_mov_b32_e32 v10, s9
	v_cndmask_b32_e64 v12, v9, v3, s4
	s_mov_b32 s6, -1
	s_mov_b32 s5, -1
	s_mov_b32 s10, exec_lo
	v_cndmask_b32_e64 v10, s1, v10, s4
	v_add_nc_u32_e32 v13, 1, v12
	v_add_nc_u32_e32 v10, -1, v10
	v_cndmask_b32_e64 v12, v13, v9, s4
	v_cndmask_b32_e64 v3, v3, v13, s4
	v_min_u32_e32 v10, v13, v10
	v_lshlrev_b32_e32 v10, 1, v10
	ds_read_u16 v10, v10
	s_waitcnt lgkmcnt(0)
	v_cndmask_b32_e64 v9, v10, v2, s4
	v_cndmask_b32_e64 v10, v8, v10, s4
	v_cmpx_gt_u32_e64 s1, v12
	s_cbranch_execz .LBB539_44
; %bb.41:
	s_mov_b32 s11, 0
	s_mov_b32 s5, exec_lo
	v_cmpx_gt_u32_e64 s9, v3
	s_cbranch_execz .LBB539_43
; %bb.42:
	v_mov_b32_e32 v13, 0x6667
	v_mul_i32_i24_sdwa v14, sext(v9), v13 dst_sel:DWORD dst_unused:UNUSED_PAD src0_sel:WORD_0 src1_sel:DWORD
	v_mul_i32_i24_sdwa v13, sext(v10), v13 dst_sel:DWORD dst_unused:UNUSED_PAD src0_sel:WORD_0 src1_sel:DWORD
	v_lshrrev_b32_e32 v15, 31, v14
	v_ashrrev_i32_e32 v14, 18, v14
	v_lshrrev_b32_e32 v16, 31, v13
	v_ashrrev_i32_e32 v13, 18, v13
	v_add_nc_u16 v14, v14, v15
	v_add_nc_u16 v13, v13, v16
	v_cmp_ge_i16_e32 vcc_lo, v14, v13
	s_and_b32 s11, vcc_lo, exec_lo
.LBB539_43:
	s_or_b32 exec_lo, exec_lo, s5
	s_orn2_b32 s5, s11, exec_lo
.LBB539_44:
	s_or_b32 exec_lo, exec_lo, s10
	v_mov_b32_e32 v13, s9
	v_cndmask_b32_e64 v14, v12, v3, s5
	s_mov_b32 s10, exec_lo
	v_cndmask_b32_e64 v13, s1, v13, s5
	v_add_nc_u32_e32 v14, 1, v14
	v_add_nc_u32_e32 v13, -1, v13
	v_min_u32_e32 v13, v14, v13
	v_lshlrev_b32_e32 v13, 1, v13
	ds_read_u16 v15, v13
	v_cndmask_b32_e64 v13, v14, v12, s5
	v_cndmask_b32_e64 v14, v3, v14, s5
	s_waitcnt lgkmcnt(0)
	v_cndmask_b32_e64 v3, v15, v9, s5
	v_cndmask_b32_e64 v12, v10, v15, s5
	v_cmpx_gt_u32_e64 s1, v13
	s_cbranch_execz .LBB539_48
; %bb.45:
	s_mov_b32 s11, 0
	s_mov_b32 s6, exec_lo
	v_cmpx_gt_u32_e64 s9, v14
	s_cbranch_execz .LBB539_47
; %bb.46:
	v_mov_b32_e32 v15, 0x6667
	v_mul_i32_i24_sdwa v16, sext(v3), v15 dst_sel:DWORD dst_unused:UNUSED_PAD src0_sel:WORD_0 src1_sel:DWORD
	v_mul_i32_i24_sdwa v15, sext(v12), v15 dst_sel:DWORD dst_unused:UNUSED_PAD src0_sel:WORD_0 src1_sel:DWORD
	v_lshrrev_b32_e32 v17, 31, v16
	v_ashrrev_i32_e32 v16, 18, v16
	v_lshrrev_b32_e32 v18, 31, v15
	v_ashrrev_i32_e32 v15, 18, v15
	v_add_nc_u16 v16, v16, v17
	v_add_nc_u16 v15, v15, v18
	v_cmp_ge_i16_e32 vcc_lo, v16, v15
	s_and_b32 s11, vcc_lo, exec_lo
.LBB539_47:
	s_or_b32 exec_lo, exec_lo, s6
	s_orn2_b32 s6, s11, exec_lo
.LBB539_48:
	s_or_b32 exec_lo, exec_lo, s10
	v_mov_b32_e32 v15, s9
	v_cndmask_b32_e64 v16, v13, v14, s6
	s_mov_b32 s10, -1
	s_mov_b32 s11, -1
	s_mov_b32 s12, exec_lo
	v_cndmask_b32_e64 v15, s1, v15, s6
	v_add_nc_u32_e32 v16, 1, v16
	v_add_nc_u32_e32 v15, -1, v15
	v_cndmask_b32_e64 v13, v16, v13, s6
	v_min_u32_e32 v15, v16, v15
	v_cndmask_b32_e64 v16, v14, v16, s6
	v_lshlrev_b32_e32 v15, 1, v15
	ds_read_u16 v15, v15
	s_waitcnt lgkmcnt(0)
	v_cndmask_b32_e64 v14, v15, v3, s6
	v_cndmask_b32_e64 v15, v12, v15, s6
	v_cmpx_gt_u32_e64 s1, v13
	s_cbranch_execz .LBB539_52
; %bb.49:
	s_mov_b32 s13, 0
	s_mov_b32 s11, exec_lo
	v_cmpx_gt_u32_e64 s9, v16
	s_cbranch_execz .LBB539_51
; %bb.50:
	v_mov_b32_e32 v17, 0x6667
	v_mul_i32_i24_sdwa v18, sext(v14), v17 dst_sel:DWORD dst_unused:UNUSED_PAD src0_sel:WORD_0 src1_sel:DWORD
	v_mul_i32_i24_sdwa v17, sext(v15), v17 dst_sel:DWORD dst_unused:UNUSED_PAD src0_sel:WORD_0 src1_sel:DWORD
	v_lshrrev_b32_e32 v19, 31, v18
	v_ashrrev_i32_e32 v18, 18, v18
	v_lshrrev_b32_e32 v20, 31, v17
	v_ashrrev_i32_e32 v17, 18, v17
	v_add_nc_u16 v18, v18, v19
	v_add_nc_u16 v17, v17, v20
	v_cmp_ge_i16_e32 vcc_lo, v18, v17
	s_and_b32 s13, vcc_lo, exec_lo
.LBB539_51:
	s_or_b32 exec_lo, exec_lo, s11
	s_orn2_b32 s11, s13, exec_lo
.LBB539_52:
	s_or_b32 exec_lo, exec_lo, s12
	v_mov_b32_e32 v17, s9
	v_cndmask_b32_e64 v18, v13, v16, s11
	s_mov_b32 s12, exec_lo
	v_cndmask_b32_e64 v17, s1, v17, s11
	v_add_nc_u32_e32 v18, 1, v18
	v_add_nc_u32_e32 v17, -1, v17
	v_cndmask_b32_e64 v13, v18, v13, s11
	v_min_u32_e32 v17, v18, v17
	v_cndmask_b32_e64 v18, v16, v18, s11
	v_lshlrev_b32_e32 v17, 1, v17
	ds_read_u16 v17, v17
	s_waitcnt lgkmcnt(0)
	v_cndmask_b32_e64 v16, v17, v14, s11
	v_cndmask_b32_e64 v17, v15, v17, s11
	v_cmpx_gt_u32_e64 s1, v13
	s_cbranch_execz .LBB539_56
; %bb.53:
	s_mov_b32 s13, 0
	s_mov_b32 s10, exec_lo
	v_cmpx_gt_u32_e64 s9, v18
	s_cbranch_execz .LBB539_55
; %bb.54:
	v_mov_b32_e32 v19, 0x6667
	v_mul_i32_i24_sdwa v20, sext(v16), v19 dst_sel:DWORD dst_unused:UNUSED_PAD src0_sel:WORD_0 src1_sel:DWORD
	v_mul_i32_i24_sdwa v19, sext(v17), v19 dst_sel:DWORD dst_unused:UNUSED_PAD src0_sel:WORD_0 src1_sel:DWORD
	v_lshrrev_b32_e32 v21, 31, v20
	v_ashrrev_i32_e32 v20, 18, v20
	v_lshrrev_b32_e32 v22, 31, v19
	v_ashrrev_i32_e32 v19, 18, v19
	v_add_nc_u16 v20, v20, v21
	v_add_nc_u16 v19, v19, v22
	v_cmp_ge_i16_e32 vcc_lo, v20, v19
	s_and_b32 s13, vcc_lo, exec_lo
.LBB539_55:
	s_or_b32 exec_lo, exec_lo, s10
	s_orn2_b32 s10, s13, exec_lo
.LBB539_56:
	s_or_b32 exec_lo, exec_lo, s12
	v_mov_b32_e32 v19, s9
	v_cndmask_b32_e64 v20, v13, v18, s10
	v_cndmask_b32_e64 v21, s1, v19, s10
	v_add_nc_u32_e32 v19, 1, v20
	v_add_nc_u32_e32 v20, -1, v21
	v_cndmask_b32_e64 v21, v19, v13, s10
	v_min_u32_e32 v20, v19, v20
	v_cmp_gt_u32_e32 vcc_lo, s1, v21
	v_lshlrev_b32_e32 v20, 1, v20
	ds_read_u16 v20, v20
	s_waitcnt lgkmcnt(0)
	v_cndmask_b32_e64 v13, v17, v20, s10
	s_and_saveexec_b32 s1, vcc_lo
	s_cbranch_execz .LBB539_60
; %bb.57:
	v_cndmask_b32_e64 v19, v18, v19, s10
	v_cndmask_b32_e64 v18, v20, v16, s10
	v_cmp_gt_u32_e32 vcc_lo, s9, v19
	s_and_saveexec_b32 s9, vcc_lo
	s_cbranch_execz .LBB539_59
; %bb.58:
	v_mov_b32_e32 v19, 0x6667
	v_mul_i32_i24_sdwa v20, sext(v18), v19 dst_sel:DWORD dst_unused:UNUSED_PAD src0_sel:WORD_0 src1_sel:DWORD
	v_mul_i32_i24_sdwa v19, sext(v13), v19 dst_sel:DWORD dst_unused:UNUSED_PAD src0_sel:WORD_0 src1_sel:DWORD
	v_lshrrev_b32_e32 v21, 31, v20
	v_ashrrev_i32_e32 v20, 18, v20
	v_lshrrev_b32_e32 v22, 31, v19
	v_ashrrev_i32_e32 v19, 18, v19
	v_add_nc_u16 v20, v20, v21
	v_add_nc_u16 v19, v19, v22
	v_cmp_lt_i16_e32 vcc_lo, v20, v19
	v_cndmask_b32_e32 v18, v13, v18, vcc_lo
.LBB539_59:
	s_or_b32 exec_lo, exec_lo, s9
	v_mov_b32_e32 v13, v18
.LBB539_60:
	s_or_b32 exec_lo, exec_lo, s1
	v_cndmask_b32_e64 v14, v14, v15, s11
	v_cndmask_b32_e64 v3, v3, v12, s6
	;; [unrolled: 1-line block ×7, first 2 shown]
.LBB539_61:
	s_or_b32 exec_lo, exec_lo, s2
	v_lshrrev_b32_e32 v6, 1, v0
	v_or_b32_e32 v8, 0x80, v0
	v_perm_b32 v2, v9, v2, 0x5040100
	v_perm_b32 v1, v7, v1, 0x5040100
	v_lshrrev_b32_e32 v7, 4, v0
	v_and_b32_e32 v6, 60, v6
	v_lshrrev_b32_e32 v9, 4, v8
	v_perm_b32 v4, v13, v4, 0x5040100
	v_perm_b32 v3, v14, v3, 0x5040100
	v_and_b32_e32 v7, 4, v7
	v_lshl_add_u32 v5, v5, 1, v6
	v_or_b32_e32 v6, 0x100, v0
	v_and_b32_e32 v9, 12, v9
	s_barrier
	buffer_gl0_inv
	v_lshrrev_b32_e32 v10, 4, v6
	v_add_nc_u32_e32 v12, v9, v11
	v_or_b32_e32 v9, 0x180, v0
	s_barrier
	buffer_gl0_inv
	v_and_b32_e32 v13, 20, v10
	ds_write2_b32 v5, v1, v2 offset1:1
	ds_write2_b32 v5, v3, v4 offset0:2 offset1:3
	v_add_nc_u32_e32 v10, v7, v11
	v_or_b32_e32 v7, 0x200, v0
	v_or_b32_e32 v5, 0x280, v0
	;; [unrolled: 1-line block ×4, first 2 shown]
	v_lshrrev_b32_e32 v1, 4, v9
	v_lshrrev_b32_e32 v2, 4, v7
	;; [unrolled: 1-line block ×5, first 2 shown]
	v_and_b32_e32 v1, 28, v1
	s_lshl_b64 s[0:1], s[16:17], 1
	v_and_b32_e32 v2, 36, v2
	v_and_b32_e32 v17, 44, v14
	;; [unrolled: 1-line block ×4, first 2 shown]
	s_add_u32 s0, s14, s0
	s_addc_u32 s1, s15, s1
	v_add_nc_u32_e32 v14, v1, v11
	v_add_co_u32 v1, s0, s0, v11
	v_add_nc_u32_e32 v13, v13, v11
	v_add_nc_u32_e32 v15, v2, v11
	;; [unrolled: 1-line block ×5, first 2 shown]
	v_add_co_ci_u32_e64 v2, null, s1, 0, s0
	s_and_b32 vcc_lo, exec_lo, s7
	s_waitcnt lgkmcnt(0)
	s_cbranch_vccz .LBB539_63
; %bb.62:
	s_barrier
	buffer_gl0_inv
	ds_read_u16 v19, v17 offset:1536
	s_mov_b32 s0, -1
	s_waitcnt lgkmcnt(0)
	v_mov_b32_e32 v11, v19
	ds_read_u16 v20, v10
	ds_read_u16 v21, v12 offset:256
	ds_read_u16 v22, v13 offset:512
	;; [unrolled: 1-line block ×5, first 2 shown]
	ds_read_u16_d16_hi v11, v18 offset:1792
	s_waitcnt lgkmcnt(6)
	global_store_short v[1:2], v20, off
	s_waitcnt lgkmcnt(5)
	global_store_short v[1:2], v21, off offset:256
	s_waitcnt lgkmcnt(4)
	global_store_short v[1:2], v22, off offset:512
	;; [unrolled: 2-line block ×5, first 2 shown]
	global_store_short v[1:2], v19, off offset:1536
	s_cbranch_execz .LBB539_64
	s_branch .LBB539_73
.LBB539_63:
	s_mov_b32 s0, 0
                                        ; implicit-def: $vgpr11
.LBB539_64:
	s_barrier
	s_waitcnt lgkmcnt(0)
	s_waitcnt_vscnt null, 0x0
	buffer_gl0_inv
	ds_read_u16 v21, v10
	ds_read_u16 v20, v12 offset:256
	ds_read_u16 v19, v13 offset:512
	;; [unrolled: 1-line block ×7, first 2 shown]
	s_sub_i32 s0, s8, s16
	s_mov_b32 s1, exec_lo
	v_cmpx_gt_u32_e64 s0, v0
	s_cbranch_execnz .LBB539_78
; %bb.65:
	s_or_b32 exec_lo, exec_lo, s1
	s_mov_b32 s1, exec_lo
	v_cmpx_gt_u32_e64 s0, v8
	s_cbranch_execnz .LBB539_79
.LBB539_66:
	s_or_b32 exec_lo, exec_lo, s1
	s_mov_b32 s1, exec_lo
	v_cmpx_gt_u32_e64 s0, v6
	s_cbranch_execnz .LBB539_80
.LBB539_67:
	s_or_b32 exec_lo, exec_lo, s1
	s_mov_b32 s1, exec_lo
	v_cmpx_gt_u32_e64 s0, v9
	s_cbranch_execnz .LBB539_81
.LBB539_68:
	s_or_b32 exec_lo, exec_lo, s1
	s_mov_b32 s1, exec_lo
	v_cmpx_gt_u32_e64 s0, v7
	s_cbranch_execnz .LBB539_82
.LBB539_69:
	s_or_b32 exec_lo, exec_lo, s1
	s_mov_b32 s1, exec_lo
	v_cmpx_gt_u32_e64 s0, v5
	s_cbranch_execnz .LBB539_83
.LBB539_70:
	s_or_b32 exec_lo, exec_lo, s1
	s_mov_b32 s1, exec_lo
	v_cmpx_gt_u32_e64 s0, v4
	s_cbranch_execz .LBB539_72
.LBB539_71:
	s_waitcnt lgkmcnt(1)
	global_store_short v[1:2], v10, off offset:1536
.LBB539_72:
	s_or_b32 exec_lo, exec_lo, s1
	v_cmp_gt_u32_e64 s0, s0, v3
	s_waitcnt lgkmcnt(0)
	v_perm_b32 v11, v11, v10, 0x5040100
.LBB539_73:
	s_and_saveexec_b32 s1, s0
	s_cbranch_execz .LBB539_75
; %bb.74:
	s_waitcnt lgkmcnt(0)
	global_store_short_d16_hi v[1:2], v11, off offset:1792
.LBB539_75:
	s_endpgm
.LBB539_76:
	v_sub_co_u32 v2, vcc_lo, v0, s9
	v_mov_b32_e32 v3, v1
	v_add_co_u32 v4, s0, s23, v11
	v_add_co_ci_u32_e64 v6, null, s24, 0, s0
	v_lshlrev_b64 v[2:3], 1, v[2:3]
	v_mov_b32_e32 v13, v1
	v_mov_b32_e32 v14, v1
	;; [unrolled: 1-line block ×4, first 2 shown]
	v_add_co_u32 v2, s0, s11, v2
	v_add_co_ci_u32_e64 v3, null, s12, v3, s0
	v_cndmask_b32_e32 v2, v2, v4, vcc_lo
	v_cndmask_b32_e32 v3, v3, v6, vcc_lo
	global_load_short_d16 v13, v[2:3], off
	s_waitcnt vmcnt(0)
	v_mov_b32_e32 v1, v13
	v_mov_b32_e32 v2, v14
	;; [unrolled: 1-line block ×4, first 2 shown]
	s_or_b32 exec_lo, exec_lo, s2
	s_mov_b32 s2, exec_lo
	v_cmpx_gt_u32_e64 s1, v7
	s_cbranch_execz .LBB539_8
.LBB539_77:
	v_mov_b32_e32 v8, 0
	v_lshlrev_b64 v[9:10], 1, v[7:8]
	v_add_co_u32 v9, vcc_lo, s23, v9
	v_add_co_ci_u32_e64 v10, null, s24, v10, vcc_lo
	v_sub_co_u32 v7, vcc_lo, v7, s9
	v_lshlrev_b64 v[6:7], 1, v[7:8]
	v_add_co_u32 v6, s0, s11, v6
	v_add_co_ci_u32_e64 v7, null, s12, v7, s0
	v_cndmask_b32_e32 v6, v6, v9, vcc_lo
	v_cndmask_b32_e32 v7, v7, v10, vcc_lo
	global_load_short_d16_hi v1, v[6:7], off
	s_or_b32 exec_lo, exec_lo, s2
	s_mov_b32 s2, exec_lo
	v_cmpx_gt_u32_e64 s1, v5
	s_cbranch_execnz .LBB539_9
	s_branch .LBB539_10
.LBB539_78:
	s_waitcnt lgkmcnt(7)
	global_store_short v[1:2], v21, off
	s_or_b32 exec_lo, exec_lo, s1
	s_mov_b32 s1, exec_lo
	v_cmpx_gt_u32_e64 s0, v8
	s_cbranch_execz .LBB539_66
.LBB539_79:
	s_waitcnt lgkmcnt(6)
	global_store_short v[1:2], v20, off offset:256
	s_or_b32 exec_lo, exec_lo, s1
	s_mov_b32 s1, exec_lo
	v_cmpx_gt_u32_e64 s0, v6
	s_cbranch_execz .LBB539_67
.LBB539_80:
	s_waitcnt lgkmcnt(5)
	global_store_short v[1:2], v19, off offset:512
	s_or_b32 exec_lo, exec_lo, s1
	s_mov_b32 s1, exec_lo
	v_cmpx_gt_u32_e64 s0, v9
	s_cbranch_execz .LBB539_68
.LBB539_81:
	s_waitcnt lgkmcnt(4)
	global_store_short v[1:2], v14, off offset:768
	s_or_b32 exec_lo, exec_lo, s1
	s_mov_b32 s1, exec_lo
	v_cmpx_gt_u32_e64 s0, v7
	s_cbranch_execz .LBB539_69
.LBB539_82:
	s_waitcnt lgkmcnt(3)
	global_store_short v[1:2], v13, off offset:1024
	s_or_b32 exec_lo, exec_lo, s1
	s_mov_b32 s1, exec_lo
	v_cmpx_gt_u32_e64 s0, v5
	s_cbranch_execz .LBB539_70
.LBB539_83:
	s_waitcnt lgkmcnt(2)
	global_store_short v[1:2], v12, off offset:1280
	s_or_b32 exec_lo, exec_lo, s1
	s_mov_b32 s1, exec_lo
	v_cmpx_gt_u32_e64 s0, v4
	s_cbranch_execnz .LBB539_71
	s_branch .LBB539_72
	.section	.rodata,"a",@progbits
	.p2align	6, 0x0
	.amdhsa_kernel _ZN7rocprim17ROCPRIM_400000_NS6detail17trampoline_kernelINS0_14default_configENS1_38merge_sort_block_merge_config_selectorIsNS0_10empty_typeEEEZZNS1_27merge_sort_block_merge_implIS3_N6thrust23THRUST_200600_302600_NS6detail15normal_iteratorINS9_10device_ptrIsEEEEPS5_m11less_div_10IsEEE10hipError_tT0_T1_T2_jT3_P12ihipStream_tbPNSt15iterator_traitsISJ_E10value_typeEPNSP_ISK_E10value_typeEPSL_NS1_7vsmem_tEENKUlT_SJ_SK_SL_E_clIPsSE_SF_SF_EESI_SY_SJ_SK_SL_EUlSY_E0_NS1_11comp_targetILNS1_3genE8ELNS1_11target_archE1030ELNS1_3gpuE2ELNS1_3repE0EEENS1_38merge_mergepath_config_static_selectorELNS0_4arch9wavefront6targetE0EEEvSK_
		.amdhsa_group_segment_fixed_size 2112
		.amdhsa_private_segment_fixed_size 0
		.amdhsa_kernarg_size 328
		.amdhsa_user_sgpr_count 6
		.amdhsa_user_sgpr_private_segment_buffer 1
		.amdhsa_user_sgpr_dispatch_ptr 0
		.amdhsa_user_sgpr_queue_ptr 0
		.amdhsa_user_sgpr_kernarg_segment_ptr 1
		.amdhsa_user_sgpr_dispatch_id 0
		.amdhsa_user_sgpr_flat_scratch_init 0
		.amdhsa_user_sgpr_private_segment_size 0
		.amdhsa_wavefront_size32 1
		.amdhsa_uses_dynamic_stack 0
		.amdhsa_system_sgpr_private_segment_wavefront_offset 0
		.amdhsa_system_sgpr_workgroup_id_x 1
		.amdhsa_system_sgpr_workgroup_id_y 1
		.amdhsa_system_sgpr_workgroup_id_z 1
		.amdhsa_system_sgpr_workgroup_info 0
		.amdhsa_system_vgpr_workitem_id 0
		.amdhsa_next_free_vgpr 33
		.amdhsa_next_free_sgpr 31
		.amdhsa_reserve_vcc 1
		.amdhsa_reserve_flat_scratch 0
		.amdhsa_float_round_mode_32 0
		.amdhsa_float_round_mode_16_64 0
		.amdhsa_float_denorm_mode_32 3
		.amdhsa_float_denorm_mode_16_64 3
		.amdhsa_dx10_clamp 1
		.amdhsa_ieee_mode 1
		.amdhsa_fp16_overflow 0
		.amdhsa_workgroup_processor_mode 1
		.amdhsa_memory_ordered 1
		.amdhsa_forward_progress 1
		.amdhsa_shared_vgpr_count 0
		.amdhsa_exception_fp_ieee_invalid_op 0
		.amdhsa_exception_fp_denorm_src 0
		.amdhsa_exception_fp_ieee_div_zero 0
		.amdhsa_exception_fp_ieee_overflow 0
		.amdhsa_exception_fp_ieee_underflow 0
		.amdhsa_exception_fp_ieee_inexact 0
		.amdhsa_exception_int_div_zero 0
	.end_amdhsa_kernel
	.section	.text._ZN7rocprim17ROCPRIM_400000_NS6detail17trampoline_kernelINS0_14default_configENS1_38merge_sort_block_merge_config_selectorIsNS0_10empty_typeEEEZZNS1_27merge_sort_block_merge_implIS3_N6thrust23THRUST_200600_302600_NS6detail15normal_iteratorINS9_10device_ptrIsEEEEPS5_m11less_div_10IsEEE10hipError_tT0_T1_T2_jT3_P12ihipStream_tbPNSt15iterator_traitsISJ_E10value_typeEPNSP_ISK_E10value_typeEPSL_NS1_7vsmem_tEENKUlT_SJ_SK_SL_E_clIPsSE_SF_SF_EESI_SY_SJ_SK_SL_EUlSY_E0_NS1_11comp_targetILNS1_3genE8ELNS1_11target_archE1030ELNS1_3gpuE2ELNS1_3repE0EEENS1_38merge_mergepath_config_static_selectorELNS0_4arch9wavefront6targetE0EEEvSK_,"axG",@progbits,_ZN7rocprim17ROCPRIM_400000_NS6detail17trampoline_kernelINS0_14default_configENS1_38merge_sort_block_merge_config_selectorIsNS0_10empty_typeEEEZZNS1_27merge_sort_block_merge_implIS3_N6thrust23THRUST_200600_302600_NS6detail15normal_iteratorINS9_10device_ptrIsEEEEPS5_m11less_div_10IsEEE10hipError_tT0_T1_T2_jT3_P12ihipStream_tbPNSt15iterator_traitsISJ_E10value_typeEPNSP_ISK_E10value_typeEPSL_NS1_7vsmem_tEENKUlT_SJ_SK_SL_E_clIPsSE_SF_SF_EESI_SY_SJ_SK_SL_EUlSY_E0_NS1_11comp_targetILNS1_3genE8ELNS1_11target_archE1030ELNS1_3gpuE2ELNS1_3repE0EEENS1_38merge_mergepath_config_static_selectorELNS0_4arch9wavefront6targetE0EEEvSK_,comdat
.Lfunc_end539:
	.size	_ZN7rocprim17ROCPRIM_400000_NS6detail17trampoline_kernelINS0_14default_configENS1_38merge_sort_block_merge_config_selectorIsNS0_10empty_typeEEEZZNS1_27merge_sort_block_merge_implIS3_N6thrust23THRUST_200600_302600_NS6detail15normal_iteratorINS9_10device_ptrIsEEEEPS5_m11less_div_10IsEEE10hipError_tT0_T1_T2_jT3_P12ihipStream_tbPNSt15iterator_traitsISJ_E10value_typeEPNSP_ISK_E10value_typeEPSL_NS1_7vsmem_tEENKUlT_SJ_SK_SL_E_clIPsSE_SF_SF_EESI_SY_SJ_SK_SL_EUlSY_E0_NS1_11comp_targetILNS1_3genE8ELNS1_11target_archE1030ELNS1_3gpuE2ELNS1_3repE0EEENS1_38merge_mergepath_config_static_selectorELNS0_4arch9wavefront6targetE0EEEvSK_, .Lfunc_end539-_ZN7rocprim17ROCPRIM_400000_NS6detail17trampoline_kernelINS0_14default_configENS1_38merge_sort_block_merge_config_selectorIsNS0_10empty_typeEEEZZNS1_27merge_sort_block_merge_implIS3_N6thrust23THRUST_200600_302600_NS6detail15normal_iteratorINS9_10device_ptrIsEEEEPS5_m11less_div_10IsEEE10hipError_tT0_T1_T2_jT3_P12ihipStream_tbPNSt15iterator_traitsISJ_E10value_typeEPNSP_ISK_E10value_typeEPSL_NS1_7vsmem_tEENKUlT_SJ_SK_SL_E_clIPsSE_SF_SF_EESI_SY_SJ_SK_SL_EUlSY_E0_NS1_11comp_targetILNS1_3genE8ELNS1_11target_archE1030ELNS1_3gpuE2ELNS1_3repE0EEENS1_38merge_mergepath_config_static_selectorELNS0_4arch9wavefront6targetE0EEEvSK_
                                        ; -- End function
	.set _ZN7rocprim17ROCPRIM_400000_NS6detail17trampoline_kernelINS0_14default_configENS1_38merge_sort_block_merge_config_selectorIsNS0_10empty_typeEEEZZNS1_27merge_sort_block_merge_implIS3_N6thrust23THRUST_200600_302600_NS6detail15normal_iteratorINS9_10device_ptrIsEEEEPS5_m11less_div_10IsEEE10hipError_tT0_T1_T2_jT3_P12ihipStream_tbPNSt15iterator_traitsISJ_E10value_typeEPNSP_ISK_E10value_typeEPSL_NS1_7vsmem_tEENKUlT_SJ_SK_SL_E_clIPsSE_SF_SF_EESI_SY_SJ_SK_SL_EUlSY_E0_NS1_11comp_targetILNS1_3genE8ELNS1_11target_archE1030ELNS1_3gpuE2ELNS1_3repE0EEENS1_38merge_mergepath_config_static_selectorELNS0_4arch9wavefront6targetE0EEEvSK_.num_vgpr, 33
	.set _ZN7rocprim17ROCPRIM_400000_NS6detail17trampoline_kernelINS0_14default_configENS1_38merge_sort_block_merge_config_selectorIsNS0_10empty_typeEEEZZNS1_27merge_sort_block_merge_implIS3_N6thrust23THRUST_200600_302600_NS6detail15normal_iteratorINS9_10device_ptrIsEEEEPS5_m11less_div_10IsEEE10hipError_tT0_T1_T2_jT3_P12ihipStream_tbPNSt15iterator_traitsISJ_E10value_typeEPNSP_ISK_E10value_typeEPSL_NS1_7vsmem_tEENKUlT_SJ_SK_SL_E_clIPsSE_SF_SF_EESI_SY_SJ_SK_SL_EUlSY_E0_NS1_11comp_targetILNS1_3genE8ELNS1_11target_archE1030ELNS1_3gpuE2ELNS1_3repE0EEENS1_38merge_mergepath_config_static_selectorELNS0_4arch9wavefront6targetE0EEEvSK_.num_agpr, 0
	.set _ZN7rocprim17ROCPRIM_400000_NS6detail17trampoline_kernelINS0_14default_configENS1_38merge_sort_block_merge_config_selectorIsNS0_10empty_typeEEEZZNS1_27merge_sort_block_merge_implIS3_N6thrust23THRUST_200600_302600_NS6detail15normal_iteratorINS9_10device_ptrIsEEEEPS5_m11less_div_10IsEEE10hipError_tT0_T1_T2_jT3_P12ihipStream_tbPNSt15iterator_traitsISJ_E10value_typeEPNSP_ISK_E10value_typeEPSL_NS1_7vsmem_tEENKUlT_SJ_SK_SL_E_clIPsSE_SF_SF_EESI_SY_SJ_SK_SL_EUlSY_E0_NS1_11comp_targetILNS1_3genE8ELNS1_11target_archE1030ELNS1_3gpuE2ELNS1_3repE0EEENS1_38merge_mergepath_config_static_selectorELNS0_4arch9wavefront6targetE0EEEvSK_.numbered_sgpr, 31
	.set _ZN7rocprim17ROCPRIM_400000_NS6detail17trampoline_kernelINS0_14default_configENS1_38merge_sort_block_merge_config_selectorIsNS0_10empty_typeEEEZZNS1_27merge_sort_block_merge_implIS3_N6thrust23THRUST_200600_302600_NS6detail15normal_iteratorINS9_10device_ptrIsEEEEPS5_m11less_div_10IsEEE10hipError_tT0_T1_T2_jT3_P12ihipStream_tbPNSt15iterator_traitsISJ_E10value_typeEPNSP_ISK_E10value_typeEPSL_NS1_7vsmem_tEENKUlT_SJ_SK_SL_E_clIPsSE_SF_SF_EESI_SY_SJ_SK_SL_EUlSY_E0_NS1_11comp_targetILNS1_3genE8ELNS1_11target_archE1030ELNS1_3gpuE2ELNS1_3repE0EEENS1_38merge_mergepath_config_static_selectorELNS0_4arch9wavefront6targetE0EEEvSK_.num_named_barrier, 0
	.set _ZN7rocprim17ROCPRIM_400000_NS6detail17trampoline_kernelINS0_14default_configENS1_38merge_sort_block_merge_config_selectorIsNS0_10empty_typeEEEZZNS1_27merge_sort_block_merge_implIS3_N6thrust23THRUST_200600_302600_NS6detail15normal_iteratorINS9_10device_ptrIsEEEEPS5_m11less_div_10IsEEE10hipError_tT0_T1_T2_jT3_P12ihipStream_tbPNSt15iterator_traitsISJ_E10value_typeEPNSP_ISK_E10value_typeEPSL_NS1_7vsmem_tEENKUlT_SJ_SK_SL_E_clIPsSE_SF_SF_EESI_SY_SJ_SK_SL_EUlSY_E0_NS1_11comp_targetILNS1_3genE8ELNS1_11target_archE1030ELNS1_3gpuE2ELNS1_3repE0EEENS1_38merge_mergepath_config_static_selectorELNS0_4arch9wavefront6targetE0EEEvSK_.private_seg_size, 0
	.set _ZN7rocprim17ROCPRIM_400000_NS6detail17trampoline_kernelINS0_14default_configENS1_38merge_sort_block_merge_config_selectorIsNS0_10empty_typeEEEZZNS1_27merge_sort_block_merge_implIS3_N6thrust23THRUST_200600_302600_NS6detail15normal_iteratorINS9_10device_ptrIsEEEEPS5_m11less_div_10IsEEE10hipError_tT0_T1_T2_jT3_P12ihipStream_tbPNSt15iterator_traitsISJ_E10value_typeEPNSP_ISK_E10value_typeEPSL_NS1_7vsmem_tEENKUlT_SJ_SK_SL_E_clIPsSE_SF_SF_EESI_SY_SJ_SK_SL_EUlSY_E0_NS1_11comp_targetILNS1_3genE8ELNS1_11target_archE1030ELNS1_3gpuE2ELNS1_3repE0EEENS1_38merge_mergepath_config_static_selectorELNS0_4arch9wavefront6targetE0EEEvSK_.uses_vcc, 1
	.set _ZN7rocprim17ROCPRIM_400000_NS6detail17trampoline_kernelINS0_14default_configENS1_38merge_sort_block_merge_config_selectorIsNS0_10empty_typeEEEZZNS1_27merge_sort_block_merge_implIS3_N6thrust23THRUST_200600_302600_NS6detail15normal_iteratorINS9_10device_ptrIsEEEEPS5_m11less_div_10IsEEE10hipError_tT0_T1_T2_jT3_P12ihipStream_tbPNSt15iterator_traitsISJ_E10value_typeEPNSP_ISK_E10value_typeEPSL_NS1_7vsmem_tEENKUlT_SJ_SK_SL_E_clIPsSE_SF_SF_EESI_SY_SJ_SK_SL_EUlSY_E0_NS1_11comp_targetILNS1_3genE8ELNS1_11target_archE1030ELNS1_3gpuE2ELNS1_3repE0EEENS1_38merge_mergepath_config_static_selectorELNS0_4arch9wavefront6targetE0EEEvSK_.uses_flat_scratch, 0
	.set _ZN7rocprim17ROCPRIM_400000_NS6detail17trampoline_kernelINS0_14default_configENS1_38merge_sort_block_merge_config_selectorIsNS0_10empty_typeEEEZZNS1_27merge_sort_block_merge_implIS3_N6thrust23THRUST_200600_302600_NS6detail15normal_iteratorINS9_10device_ptrIsEEEEPS5_m11less_div_10IsEEE10hipError_tT0_T1_T2_jT3_P12ihipStream_tbPNSt15iterator_traitsISJ_E10value_typeEPNSP_ISK_E10value_typeEPSL_NS1_7vsmem_tEENKUlT_SJ_SK_SL_E_clIPsSE_SF_SF_EESI_SY_SJ_SK_SL_EUlSY_E0_NS1_11comp_targetILNS1_3genE8ELNS1_11target_archE1030ELNS1_3gpuE2ELNS1_3repE0EEENS1_38merge_mergepath_config_static_selectorELNS0_4arch9wavefront6targetE0EEEvSK_.has_dyn_sized_stack, 0
	.set _ZN7rocprim17ROCPRIM_400000_NS6detail17trampoline_kernelINS0_14default_configENS1_38merge_sort_block_merge_config_selectorIsNS0_10empty_typeEEEZZNS1_27merge_sort_block_merge_implIS3_N6thrust23THRUST_200600_302600_NS6detail15normal_iteratorINS9_10device_ptrIsEEEEPS5_m11less_div_10IsEEE10hipError_tT0_T1_T2_jT3_P12ihipStream_tbPNSt15iterator_traitsISJ_E10value_typeEPNSP_ISK_E10value_typeEPSL_NS1_7vsmem_tEENKUlT_SJ_SK_SL_E_clIPsSE_SF_SF_EESI_SY_SJ_SK_SL_EUlSY_E0_NS1_11comp_targetILNS1_3genE8ELNS1_11target_archE1030ELNS1_3gpuE2ELNS1_3repE0EEENS1_38merge_mergepath_config_static_selectorELNS0_4arch9wavefront6targetE0EEEvSK_.has_recursion, 0
	.set _ZN7rocprim17ROCPRIM_400000_NS6detail17trampoline_kernelINS0_14default_configENS1_38merge_sort_block_merge_config_selectorIsNS0_10empty_typeEEEZZNS1_27merge_sort_block_merge_implIS3_N6thrust23THRUST_200600_302600_NS6detail15normal_iteratorINS9_10device_ptrIsEEEEPS5_m11less_div_10IsEEE10hipError_tT0_T1_T2_jT3_P12ihipStream_tbPNSt15iterator_traitsISJ_E10value_typeEPNSP_ISK_E10value_typeEPSL_NS1_7vsmem_tEENKUlT_SJ_SK_SL_E_clIPsSE_SF_SF_EESI_SY_SJ_SK_SL_EUlSY_E0_NS1_11comp_targetILNS1_3genE8ELNS1_11target_archE1030ELNS1_3gpuE2ELNS1_3repE0EEENS1_38merge_mergepath_config_static_selectorELNS0_4arch9wavefront6targetE0EEEvSK_.has_indirect_call, 0
	.section	.AMDGPU.csdata,"",@progbits
; Kernel info:
; codeLenInByte = 4912
; TotalNumSgprs: 33
; NumVgprs: 33
; ScratchSize: 0
; MemoryBound: 0
; FloatMode: 240
; IeeeMode: 1
; LDSByteSize: 2112 bytes/workgroup (compile time only)
; SGPRBlocks: 0
; VGPRBlocks: 4
; NumSGPRsForWavesPerEU: 33
; NumVGPRsForWavesPerEU: 33
; Occupancy: 16
; WaveLimiterHint : 1
; COMPUTE_PGM_RSRC2:SCRATCH_EN: 0
; COMPUTE_PGM_RSRC2:USER_SGPR: 6
; COMPUTE_PGM_RSRC2:TRAP_HANDLER: 0
; COMPUTE_PGM_RSRC2:TGID_X_EN: 1
; COMPUTE_PGM_RSRC2:TGID_Y_EN: 1
; COMPUTE_PGM_RSRC2:TGID_Z_EN: 1
; COMPUTE_PGM_RSRC2:TIDIG_COMP_CNT: 0
	.section	.text._ZN7rocprim17ROCPRIM_400000_NS6detail17trampoline_kernelINS0_14default_configENS1_38merge_sort_block_merge_config_selectorIsNS0_10empty_typeEEEZZNS1_27merge_sort_block_merge_implIS3_N6thrust23THRUST_200600_302600_NS6detail15normal_iteratorINS9_10device_ptrIsEEEEPS5_m11less_div_10IsEEE10hipError_tT0_T1_T2_jT3_P12ihipStream_tbPNSt15iterator_traitsISJ_E10value_typeEPNSP_ISK_E10value_typeEPSL_NS1_7vsmem_tEENKUlT_SJ_SK_SL_E_clIPsSE_SF_SF_EESI_SY_SJ_SK_SL_EUlSY_E1_NS1_11comp_targetILNS1_3genE0ELNS1_11target_archE4294967295ELNS1_3gpuE0ELNS1_3repE0EEENS1_36merge_oddeven_config_static_selectorELNS0_4arch9wavefront6targetE0EEEvSK_,"axG",@progbits,_ZN7rocprim17ROCPRIM_400000_NS6detail17trampoline_kernelINS0_14default_configENS1_38merge_sort_block_merge_config_selectorIsNS0_10empty_typeEEEZZNS1_27merge_sort_block_merge_implIS3_N6thrust23THRUST_200600_302600_NS6detail15normal_iteratorINS9_10device_ptrIsEEEEPS5_m11less_div_10IsEEE10hipError_tT0_T1_T2_jT3_P12ihipStream_tbPNSt15iterator_traitsISJ_E10value_typeEPNSP_ISK_E10value_typeEPSL_NS1_7vsmem_tEENKUlT_SJ_SK_SL_E_clIPsSE_SF_SF_EESI_SY_SJ_SK_SL_EUlSY_E1_NS1_11comp_targetILNS1_3genE0ELNS1_11target_archE4294967295ELNS1_3gpuE0ELNS1_3repE0EEENS1_36merge_oddeven_config_static_selectorELNS0_4arch9wavefront6targetE0EEEvSK_,comdat
	.protected	_ZN7rocprim17ROCPRIM_400000_NS6detail17trampoline_kernelINS0_14default_configENS1_38merge_sort_block_merge_config_selectorIsNS0_10empty_typeEEEZZNS1_27merge_sort_block_merge_implIS3_N6thrust23THRUST_200600_302600_NS6detail15normal_iteratorINS9_10device_ptrIsEEEEPS5_m11less_div_10IsEEE10hipError_tT0_T1_T2_jT3_P12ihipStream_tbPNSt15iterator_traitsISJ_E10value_typeEPNSP_ISK_E10value_typeEPSL_NS1_7vsmem_tEENKUlT_SJ_SK_SL_E_clIPsSE_SF_SF_EESI_SY_SJ_SK_SL_EUlSY_E1_NS1_11comp_targetILNS1_3genE0ELNS1_11target_archE4294967295ELNS1_3gpuE0ELNS1_3repE0EEENS1_36merge_oddeven_config_static_selectorELNS0_4arch9wavefront6targetE0EEEvSK_ ; -- Begin function _ZN7rocprim17ROCPRIM_400000_NS6detail17trampoline_kernelINS0_14default_configENS1_38merge_sort_block_merge_config_selectorIsNS0_10empty_typeEEEZZNS1_27merge_sort_block_merge_implIS3_N6thrust23THRUST_200600_302600_NS6detail15normal_iteratorINS9_10device_ptrIsEEEEPS5_m11less_div_10IsEEE10hipError_tT0_T1_T2_jT3_P12ihipStream_tbPNSt15iterator_traitsISJ_E10value_typeEPNSP_ISK_E10value_typeEPSL_NS1_7vsmem_tEENKUlT_SJ_SK_SL_E_clIPsSE_SF_SF_EESI_SY_SJ_SK_SL_EUlSY_E1_NS1_11comp_targetILNS1_3genE0ELNS1_11target_archE4294967295ELNS1_3gpuE0ELNS1_3repE0EEENS1_36merge_oddeven_config_static_selectorELNS0_4arch9wavefront6targetE0EEEvSK_
	.globl	_ZN7rocprim17ROCPRIM_400000_NS6detail17trampoline_kernelINS0_14default_configENS1_38merge_sort_block_merge_config_selectorIsNS0_10empty_typeEEEZZNS1_27merge_sort_block_merge_implIS3_N6thrust23THRUST_200600_302600_NS6detail15normal_iteratorINS9_10device_ptrIsEEEEPS5_m11less_div_10IsEEE10hipError_tT0_T1_T2_jT3_P12ihipStream_tbPNSt15iterator_traitsISJ_E10value_typeEPNSP_ISK_E10value_typeEPSL_NS1_7vsmem_tEENKUlT_SJ_SK_SL_E_clIPsSE_SF_SF_EESI_SY_SJ_SK_SL_EUlSY_E1_NS1_11comp_targetILNS1_3genE0ELNS1_11target_archE4294967295ELNS1_3gpuE0ELNS1_3repE0EEENS1_36merge_oddeven_config_static_selectorELNS0_4arch9wavefront6targetE0EEEvSK_
	.p2align	8
	.type	_ZN7rocprim17ROCPRIM_400000_NS6detail17trampoline_kernelINS0_14default_configENS1_38merge_sort_block_merge_config_selectorIsNS0_10empty_typeEEEZZNS1_27merge_sort_block_merge_implIS3_N6thrust23THRUST_200600_302600_NS6detail15normal_iteratorINS9_10device_ptrIsEEEEPS5_m11less_div_10IsEEE10hipError_tT0_T1_T2_jT3_P12ihipStream_tbPNSt15iterator_traitsISJ_E10value_typeEPNSP_ISK_E10value_typeEPSL_NS1_7vsmem_tEENKUlT_SJ_SK_SL_E_clIPsSE_SF_SF_EESI_SY_SJ_SK_SL_EUlSY_E1_NS1_11comp_targetILNS1_3genE0ELNS1_11target_archE4294967295ELNS1_3gpuE0ELNS1_3repE0EEENS1_36merge_oddeven_config_static_selectorELNS0_4arch9wavefront6targetE0EEEvSK_,@function
_ZN7rocprim17ROCPRIM_400000_NS6detail17trampoline_kernelINS0_14default_configENS1_38merge_sort_block_merge_config_selectorIsNS0_10empty_typeEEEZZNS1_27merge_sort_block_merge_implIS3_N6thrust23THRUST_200600_302600_NS6detail15normal_iteratorINS9_10device_ptrIsEEEEPS5_m11less_div_10IsEEE10hipError_tT0_T1_T2_jT3_P12ihipStream_tbPNSt15iterator_traitsISJ_E10value_typeEPNSP_ISK_E10value_typeEPSL_NS1_7vsmem_tEENKUlT_SJ_SK_SL_E_clIPsSE_SF_SF_EESI_SY_SJ_SK_SL_EUlSY_E1_NS1_11comp_targetILNS1_3genE0ELNS1_11target_archE4294967295ELNS1_3gpuE0ELNS1_3repE0EEENS1_36merge_oddeven_config_static_selectorELNS0_4arch9wavefront6targetE0EEEvSK_: ; @_ZN7rocprim17ROCPRIM_400000_NS6detail17trampoline_kernelINS0_14default_configENS1_38merge_sort_block_merge_config_selectorIsNS0_10empty_typeEEEZZNS1_27merge_sort_block_merge_implIS3_N6thrust23THRUST_200600_302600_NS6detail15normal_iteratorINS9_10device_ptrIsEEEEPS5_m11less_div_10IsEEE10hipError_tT0_T1_T2_jT3_P12ihipStream_tbPNSt15iterator_traitsISJ_E10value_typeEPNSP_ISK_E10value_typeEPSL_NS1_7vsmem_tEENKUlT_SJ_SK_SL_E_clIPsSE_SF_SF_EESI_SY_SJ_SK_SL_EUlSY_E1_NS1_11comp_targetILNS1_3genE0ELNS1_11target_archE4294967295ELNS1_3gpuE0ELNS1_3repE0EEENS1_36merge_oddeven_config_static_selectorELNS0_4arch9wavefront6targetE0EEEvSK_
; %bb.0:
	.section	.rodata,"a",@progbits
	.p2align	6, 0x0
	.amdhsa_kernel _ZN7rocprim17ROCPRIM_400000_NS6detail17trampoline_kernelINS0_14default_configENS1_38merge_sort_block_merge_config_selectorIsNS0_10empty_typeEEEZZNS1_27merge_sort_block_merge_implIS3_N6thrust23THRUST_200600_302600_NS6detail15normal_iteratorINS9_10device_ptrIsEEEEPS5_m11less_div_10IsEEE10hipError_tT0_T1_T2_jT3_P12ihipStream_tbPNSt15iterator_traitsISJ_E10value_typeEPNSP_ISK_E10value_typeEPSL_NS1_7vsmem_tEENKUlT_SJ_SK_SL_E_clIPsSE_SF_SF_EESI_SY_SJ_SK_SL_EUlSY_E1_NS1_11comp_targetILNS1_3genE0ELNS1_11target_archE4294967295ELNS1_3gpuE0ELNS1_3repE0EEENS1_36merge_oddeven_config_static_selectorELNS0_4arch9wavefront6targetE0EEEvSK_
		.amdhsa_group_segment_fixed_size 0
		.amdhsa_private_segment_fixed_size 0
		.amdhsa_kernarg_size 56
		.amdhsa_user_sgpr_count 6
		.amdhsa_user_sgpr_private_segment_buffer 1
		.amdhsa_user_sgpr_dispatch_ptr 0
		.amdhsa_user_sgpr_queue_ptr 0
		.amdhsa_user_sgpr_kernarg_segment_ptr 1
		.amdhsa_user_sgpr_dispatch_id 0
		.amdhsa_user_sgpr_flat_scratch_init 0
		.amdhsa_user_sgpr_private_segment_size 0
		.amdhsa_wavefront_size32 1
		.amdhsa_uses_dynamic_stack 0
		.amdhsa_system_sgpr_private_segment_wavefront_offset 0
		.amdhsa_system_sgpr_workgroup_id_x 1
		.amdhsa_system_sgpr_workgroup_id_y 0
		.amdhsa_system_sgpr_workgroup_id_z 0
		.amdhsa_system_sgpr_workgroup_info 0
		.amdhsa_system_vgpr_workitem_id 0
		.amdhsa_next_free_vgpr 1
		.amdhsa_next_free_sgpr 1
		.amdhsa_reserve_vcc 0
		.amdhsa_reserve_flat_scratch 0
		.amdhsa_float_round_mode_32 0
		.amdhsa_float_round_mode_16_64 0
		.amdhsa_float_denorm_mode_32 3
		.amdhsa_float_denorm_mode_16_64 3
		.amdhsa_dx10_clamp 1
		.amdhsa_ieee_mode 1
		.amdhsa_fp16_overflow 0
		.amdhsa_workgroup_processor_mode 1
		.amdhsa_memory_ordered 1
		.amdhsa_forward_progress 1
		.amdhsa_shared_vgpr_count 0
		.amdhsa_exception_fp_ieee_invalid_op 0
		.amdhsa_exception_fp_denorm_src 0
		.amdhsa_exception_fp_ieee_div_zero 0
		.amdhsa_exception_fp_ieee_overflow 0
		.amdhsa_exception_fp_ieee_underflow 0
		.amdhsa_exception_fp_ieee_inexact 0
		.amdhsa_exception_int_div_zero 0
	.end_amdhsa_kernel
	.section	.text._ZN7rocprim17ROCPRIM_400000_NS6detail17trampoline_kernelINS0_14default_configENS1_38merge_sort_block_merge_config_selectorIsNS0_10empty_typeEEEZZNS1_27merge_sort_block_merge_implIS3_N6thrust23THRUST_200600_302600_NS6detail15normal_iteratorINS9_10device_ptrIsEEEEPS5_m11less_div_10IsEEE10hipError_tT0_T1_T2_jT3_P12ihipStream_tbPNSt15iterator_traitsISJ_E10value_typeEPNSP_ISK_E10value_typeEPSL_NS1_7vsmem_tEENKUlT_SJ_SK_SL_E_clIPsSE_SF_SF_EESI_SY_SJ_SK_SL_EUlSY_E1_NS1_11comp_targetILNS1_3genE0ELNS1_11target_archE4294967295ELNS1_3gpuE0ELNS1_3repE0EEENS1_36merge_oddeven_config_static_selectorELNS0_4arch9wavefront6targetE0EEEvSK_,"axG",@progbits,_ZN7rocprim17ROCPRIM_400000_NS6detail17trampoline_kernelINS0_14default_configENS1_38merge_sort_block_merge_config_selectorIsNS0_10empty_typeEEEZZNS1_27merge_sort_block_merge_implIS3_N6thrust23THRUST_200600_302600_NS6detail15normal_iteratorINS9_10device_ptrIsEEEEPS5_m11less_div_10IsEEE10hipError_tT0_T1_T2_jT3_P12ihipStream_tbPNSt15iterator_traitsISJ_E10value_typeEPNSP_ISK_E10value_typeEPSL_NS1_7vsmem_tEENKUlT_SJ_SK_SL_E_clIPsSE_SF_SF_EESI_SY_SJ_SK_SL_EUlSY_E1_NS1_11comp_targetILNS1_3genE0ELNS1_11target_archE4294967295ELNS1_3gpuE0ELNS1_3repE0EEENS1_36merge_oddeven_config_static_selectorELNS0_4arch9wavefront6targetE0EEEvSK_,comdat
.Lfunc_end540:
	.size	_ZN7rocprim17ROCPRIM_400000_NS6detail17trampoline_kernelINS0_14default_configENS1_38merge_sort_block_merge_config_selectorIsNS0_10empty_typeEEEZZNS1_27merge_sort_block_merge_implIS3_N6thrust23THRUST_200600_302600_NS6detail15normal_iteratorINS9_10device_ptrIsEEEEPS5_m11less_div_10IsEEE10hipError_tT0_T1_T2_jT3_P12ihipStream_tbPNSt15iterator_traitsISJ_E10value_typeEPNSP_ISK_E10value_typeEPSL_NS1_7vsmem_tEENKUlT_SJ_SK_SL_E_clIPsSE_SF_SF_EESI_SY_SJ_SK_SL_EUlSY_E1_NS1_11comp_targetILNS1_3genE0ELNS1_11target_archE4294967295ELNS1_3gpuE0ELNS1_3repE0EEENS1_36merge_oddeven_config_static_selectorELNS0_4arch9wavefront6targetE0EEEvSK_, .Lfunc_end540-_ZN7rocprim17ROCPRIM_400000_NS6detail17trampoline_kernelINS0_14default_configENS1_38merge_sort_block_merge_config_selectorIsNS0_10empty_typeEEEZZNS1_27merge_sort_block_merge_implIS3_N6thrust23THRUST_200600_302600_NS6detail15normal_iteratorINS9_10device_ptrIsEEEEPS5_m11less_div_10IsEEE10hipError_tT0_T1_T2_jT3_P12ihipStream_tbPNSt15iterator_traitsISJ_E10value_typeEPNSP_ISK_E10value_typeEPSL_NS1_7vsmem_tEENKUlT_SJ_SK_SL_E_clIPsSE_SF_SF_EESI_SY_SJ_SK_SL_EUlSY_E1_NS1_11comp_targetILNS1_3genE0ELNS1_11target_archE4294967295ELNS1_3gpuE0ELNS1_3repE0EEENS1_36merge_oddeven_config_static_selectorELNS0_4arch9wavefront6targetE0EEEvSK_
                                        ; -- End function
	.set _ZN7rocprim17ROCPRIM_400000_NS6detail17trampoline_kernelINS0_14default_configENS1_38merge_sort_block_merge_config_selectorIsNS0_10empty_typeEEEZZNS1_27merge_sort_block_merge_implIS3_N6thrust23THRUST_200600_302600_NS6detail15normal_iteratorINS9_10device_ptrIsEEEEPS5_m11less_div_10IsEEE10hipError_tT0_T1_T2_jT3_P12ihipStream_tbPNSt15iterator_traitsISJ_E10value_typeEPNSP_ISK_E10value_typeEPSL_NS1_7vsmem_tEENKUlT_SJ_SK_SL_E_clIPsSE_SF_SF_EESI_SY_SJ_SK_SL_EUlSY_E1_NS1_11comp_targetILNS1_3genE0ELNS1_11target_archE4294967295ELNS1_3gpuE0ELNS1_3repE0EEENS1_36merge_oddeven_config_static_selectorELNS0_4arch9wavefront6targetE0EEEvSK_.num_vgpr, 0
	.set _ZN7rocprim17ROCPRIM_400000_NS6detail17trampoline_kernelINS0_14default_configENS1_38merge_sort_block_merge_config_selectorIsNS0_10empty_typeEEEZZNS1_27merge_sort_block_merge_implIS3_N6thrust23THRUST_200600_302600_NS6detail15normal_iteratorINS9_10device_ptrIsEEEEPS5_m11less_div_10IsEEE10hipError_tT0_T1_T2_jT3_P12ihipStream_tbPNSt15iterator_traitsISJ_E10value_typeEPNSP_ISK_E10value_typeEPSL_NS1_7vsmem_tEENKUlT_SJ_SK_SL_E_clIPsSE_SF_SF_EESI_SY_SJ_SK_SL_EUlSY_E1_NS1_11comp_targetILNS1_3genE0ELNS1_11target_archE4294967295ELNS1_3gpuE0ELNS1_3repE0EEENS1_36merge_oddeven_config_static_selectorELNS0_4arch9wavefront6targetE0EEEvSK_.num_agpr, 0
	.set _ZN7rocprim17ROCPRIM_400000_NS6detail17trampoline_kernelINS0_14default_configENS1_38merge_sort_block_merge_config_selectorIsNS0_10empty_typeEEEZZNS1_27merge_sort_block_merge_implIS3_N6thrust23THRUST_200600_302600_NS6detail15normal_iteratorINS9_10device_ptrIsEEEEPS5_m11less_div_10IsEEE10hipError_tT0_T1_T2_jT3_P12ihipStream_tbPNSt15iterator_traitsISJ_E10value_typeEPNSP_ISK_E10value_typeEPSL_NS1_7vsmem_tEENKUlT_SJ_SK_SL_E_clIPsSE_SF_SF_EESI_SY_SJ_SK_SL_EUlSY_E1_NS1_11comp_targetILNS1_3genE0ELNS1_11target_archE4294967295ELNS1_3gpuE0ELNS1_3repE0EEENS1_36merge_oddeven_config_static_selectorELNS0_4arch9wavefront6targetE0EEEvSK_.numbered_sgpr, 0
	.set _ZN7rocprim17ROCPRIM_400000_NS6detail17trampoline_kernelINS0_14default_configENS1_38merge_sort_block_merge_config_selectorIsNS0_10empty_typeEEEZZNS1_27merge_sort_block_merge_implIS3_N6thrust23THRUST_200600_302600_NS6detail15normal_iteratorINS9_10device_ptrIsEEEEPS5_m11less_div_10IsEEE10hipError_tT0_T1_T2_jT3_P12ihipStream_tbPNSt15iterator_traitsISJ_E10value_typeEPNSP_ISK_E10value_typeEPSL_NS1_7vsmem_tEENKUlT_SJ_SK_SL_E_clIPsSE_SF_SF_EESI_SY_SJ_SK_SL_EUlSY_E1_NS1_11comp_targetILNS1_3genE0ELNS1_11target_archE4294967295ELNS1_3gpuE0ELNS1_3repE0EEENS1_36merge_oddeven_config_static_selectorELNS0_4arch9wavefront6targetE0EEEvSK_.num_named_barrier, 0
	.set _ZN7rocprim17ROCPRIM_400000_NS6detail17trampoline_kernelINS0_14default_configENS1_38merge_sort_block_merge_config_selectorIsNS0_10empty_typeEEEZZNS1_27merge_sort_block_merge_implIS3_N6thrust23THRUST_200600_302600_NS6detail15normal_iteratorINS9_10device_ptrIsEEEEPS5_m11less_div_10IsEEE10hipError_tT0_T1_T2_jT3_P12ihipStream_tbPNSt15iterator_traitsISJ_E10value_typeEPNSP_ISK_E10value_typeEPSL_NS1_7vsmem_tEENKUlT_SJ_SK_SL_E_clIPsSE_SF_SF_EESI_SY_SJ_SK_SL_EUlSY_E1_NS1_11comp_targetILNS1_3genE0ELNS1_11target_archE4294967295ELNS1_3gpuE0ELNS1_3repE0EEENS1_36merge_oddeven_config_static_selectorELNS0_4arch9wavefront6targetE0EEEvSK_.private_seg_size, 0
	.set _ZN7rocprim17ROCPRIM_400000_NS6detail17trampoline_kernelINS0_14default_configENS1_38merge_sort_block_merge_config_selectorIsNS0_10empty_typeEEEZZNS1_27merge_sort_block_merge_implIS3_N6thrust23THRUST_200600_302600_NS6detail15normal_iteratorINS9_10device_ptrIsEEEEPS5_m11less_div_10IsEEE10hipError_tT0_T1_T2_jT3_P12ihipStream_tbPNSt15iterator_traitsISJ_E10value_typeEPNSP_ISK_E10value_typeEPSL_NS1_7vsmem_tEENKUlT_SJ_SK_SL_E_clIPsSE_SF_SF_EESI_SY_SJ_SK_SL_EUlSY_E1_NS1_11comp_targetILNS1_3genE0ELNS1_11target_archE4294967295ELNS1_3gpuE0ELNS1_3repE0EEENS1_36merge_oddeven_config_static_selectorELNS0_4arch9wavefront6targetE0EEEvSK_.uses_vcc, 0
	.set _ZN7rocprim17ROCPRIM_400000_NS6detail17trampoline_kernelINS0_14default_configENS1_38merge_sort_block_merge_config_selectorIsNS0_10empty_typeEEEZZNS1_27merge_sort_block_merge_implIS3_N6thrust23THRUST_200600_302600_NS6detail15normal_iteratorINS9_10device_ptrIsEEEEPS5_m11less_div_10IsEEE10hipError_tT0_T1_T2_jT3_P12ihipStream_tbPNSt15iterator_traitsISJ_E10value_typeEPNSP_ISK_E10value_typeEPSL_NS1_7vsmem_tEENKUlT_SJ_SK_SL_E_clIPsSE_SF_SF_EESI_SY_SJ_SK_SL_EUlSY_E1_NS1_11comp_targetILNS1_3genE0ELNS1_11target_archE4294967295ELNS1_3gpuE0ELNS1_3repE0EEENS1_36merge_oddeven_config_static_selectorELNS0_4arch9wavefront6targetE0EEEvSK_.uses_flat_scratch, 0
	.set _ZN7rocprim17ROCPRIM_400000_NS6detail17trampoline_kernelINS0_14default_configENS1_38merge_sort_block_merge_config_selectorIsNS0_10empty_typeEEEZZNS1_27merge_sort_block_merge_implIS3_N6thrust23THRUST_200600_302600_NS6detail15normal_iteratorINS9_10device_ptrIsEEEEPS5_m11less_div_10IsEEE10hipError_tT0_T1_T2_jT3_P12ihipStream_tbPNSt15iterator_traitsISJ_E10value_typeEPNSP_ISK_E10value_typeEPSL_NS1_7vsmem_tEENKUlT_SJ_SK_SL_E_clIPsSE_SF_SF_EESI_SY_SJ_SK_SL_EUlSY_E1_NS1_11comp_targetILNS1_3genE0ELNS1_11target_archE4294967295ELNS1_3gpuE0ELNS1_3repE0EEENS1_36merge_oddeven_config_static_selectorELNS0_4arch9wavefront6targetE0EEEvSK_.has_dyn_sized_stack, 0
	.set _ZN7rocprim17ROCPRIM_400000_NS6detail17trampoline_kernelINS0_14default_configENS1_38merge_sort_block_merge_config_selectorIsNS0_10empty_typeEEEZZNS1_27merge_sort_block_merge_implIS3_N6thrust23THRUST_200600_302600_NS6detail15normal_iteratorINS9_10device_ptrIsEEEEPS5_m11less_div_10IsEEE10hipError_tT0_T1_T2_jT3_P12ihipStream_tbPNSt15iterator_traitsISJ_E10value_typeEPNSP_ISK_E10value_typeEPSL_NS1_7vsmem_tEENKUlT_SJ_SK_SL_E_clIPsSE_SF_SF_EESI_SY_SJ_SK_SL_EUlSY_E1_NS1_11comp_targetILNS1_3genE0ELNS1_11target_archE4294967295ELNS1_3gpuE0ELNS1_3repE0EEENS1_36merge_oddeven_config_static_selectorELNS0_4arch9wavefront6targetE0EEEvSK_.has_recursion, 0
	.set _ZN7rocprim17ROCPRIM_400000_NS6detail17trampoline_kernelINS0_14default_configENS1_38merge_sort_block_merge_config_selectorIsNS0_10empty_typeEEEZZNS1_27merge_sort_block_merge_implIS3_N6thrust23THRUST_200600_302600_NS6detail15normal_iteratorINS9_10device_ptrIsEEEEPS5_m11less_div_10IsEEE10hipError_tT0_T1_T2_jT3_P12ihipStream_tbPNSt15iterator_traitsISJ_E10value_typeEPNSP_ISK_E10value_typeEPSL_NS1_7vsmem_tEENKUlT_SJ_SK_SL_E_clIPsSE_SF_SF_EESI_SY_SJ_SK_SL_EUlSY_E1_NS1_11comp_targetILNS1_3genE0ELNS1_11target_archE4294967295ELNS1_3gpuE0ELNS1_3repE0EEENS1_36merge_oddeven_config_static_selectorELNS0_4arch9wavefront6targetE0EEEvSK_.has_indirect_call, 0
	.section	.AMDGPU.csdata,"",@progbits
; Kernel info:
; codeLenInByte = 0
; TotalNumSgprs: 0
; NumVgprs: 0
; ScratchSize: 0
; MemoryBound: 0
; FloatMode: 240
; IeeeMode: 1
; LDSByteSize: 0 bytes/workgroup (compile time only)
; SGPRBlocks: 0
; VGPRBlocks: 0
; NumSGPRsForWavesPerEU: 1
; NumVGPRsForWavesPerEU: 1
; Occupancy: 16
; WaveLimiterHint : 0
; COMPUTE_PGM_RSRC2:SCRATCH_EN: 0
; COMPUTE_PGM_RSRC2:USER_SGPR: 6
; COMPUTE_PGM_RSRC2:TRAP_HANDLER: 0
; COMPUTE_PGM_RSRC2:TGID_X_EN: 1
; COMPUTE_PGM_RSRC2:TGID_Y_EN: 0
; COMPUTE_PGM_RSRC2:TGID_Z_EN: 0
; COMPUTE_PGM_RSRC2:TIDIG_COMP_CNT: 0
	.section	.text._ZN7rocprim17ROCPRIM_400000_NS6detail17trampoline_kernelINS0_14default_configENS1_38merge_sort_block_merge_config_selectorIsNS0_10empty_typeEEEZZNS1_27merge_sort_block_merge_implIS3_N6thrust23THRUST_200600_302600_NS6detail15normal_iteratorINS9_10device_ptrIsEEEEPS5_m11less_div_10IsEEE10hipError_tT0_T1_T2_jT3_P12ihipStream_tbPNSt15iterator_traitsISJ_E10value_typeEPNSP_ISK_E10value_typeEPSL_NS1_7vsmem_tEENKUlT_SJ_SK_SL_E_clIPsSE_SF_SF_EESI_SY_SJ_SK_SL_EUlSY_E1_NS1_11comp_targetILNS1_3genE10ELNS1_11target_archE1201ELNS1_3gpuE5ELNS1_3repE0EEENS1_36merge_oddeven_config_static_selectorELNS0_4arch9wavefront6targetE0EEEvSK_,"axG",@progbits,_ZN7rocprim17ROCPRIM_400000_NS6detail17trampoline_kernelINS0_14default_configENS1_38merge_sort_block_merge_config_selectorIsNS0_10empty_typeEEEZZNS1_27merge_sort_block_merge_implIS3_N6thrust23THRUST_200600_302600_NS6detail15normal_iteratorINS9_10device_ptrIsEEEEPS5_m11less_div_10IsEEE10hipError_tT0_T1_T2_jT3_P12ihipStream_tbPNSt15iterator_traitsISJ_E10value_typeEPNSP_ISK_E10value_typeEPSL_NS1_7vsmem_tEENKUlT_SJ_SK_SL_E_clIPsSE_SF_SF_EESI_SY_SJ_SK_SL_EUlSY_E1_NS1_11comp_targetILNS1_3genE10ELNS1_11target_archE1201ELNS1_3gpuE5ELNS1_3repE0EEENS1_36merge_oddeven_config_static_selectorELNS0_4arch9wavefront6targetE0EEEvSK_,comdat
	.protected	_ZN7rocprim17ROCPRIM_400000_NS6detail17trampoline_kernelINS0_14default_configENS1_38merge_sort_block_merge_config_selectorIsNS0_10empty_typeEEEZZNS1_27merge_sort_block_merge_implIS3_N6thrust23THRUST_200600_302600_NS6detail15normal_iteratorINS9_10device_ptrIsEEEEPS5_m11less_div_10IsEEE10hipError_tT0_T1_T2_jT3_P12ihipStream_tbPNSt15iterator_traitsISJ_E10value_typeEPNSP_ISK_E10value_typeEPSL_NS1_7vsmem_tEENKUlT_SJ_SK_SL_E_clIPsSE_SF_SF_EESI_SY_SJ_SK_SL_EUlSY_E1_NS1_11comp_targetILNS1_3genE10ELNS1_11target_archE1201ELNS1_3gpuE5ELNS1_3repE0EEENS1_36merge_oddeven_config_static_selectorELNS0_4arch9wavefront6targetE0EEEvSK_ ; -- Begin function _ZN7rocprim17ROCPRIM_400000_NS6detail17trampoline_kernelINS0_14default_configENS1_38merge_sort_block_merge_config_selectorIsNS0_10empty_typeEEEZZNS1_27merge_sort_block_merge_implIS3_N6thrust23THRUST_200600_302600_NS6detail15normal_iteratorINS9_10device_ptrIsEEEEPS5_m11less_div_10IsEEE10hipError_tT0_T1_T2_jT3_P12ihipStream_tbPNSt15iterator_traitsISJ_E10value_typeEPNSP_ISK_E10value_typeEPSL_NS1_7vsmem_tEENKUlT_SJ_SK_SL_E_clIPsSE_SF_SF_EESI_SY_SJ_SK_SL_EUlSY_E1_NS1_11comp_targetILNS1_3genE10ELNS1_11target_archE1201ELNS1_3gpuE5ELNS1_3repE0EEENS1_36merge_oddeven_config_static_selectorELNS0_4arch9wavefront6targetE0EEEvSK_
	.globl	_ZN7rocprim17ROCPRIM_400000_NS6detail17trampoline_kernelINS0_14default_configENS1_38merge_sort_block_merge_config_selectorIsNS0_10empty_typeEEEZZNS1_27merge_sort_block_merge_implIS3_N6thrust23THRUST_200600_302600_NS6detail15normal_iteratorINS9_10device_ptrIsEEEEPS5_m11less_div_10IsEEE10hipError_tT0_T1_T2_jT3_P12ihipStream_tbPNSt15iterator_traitsISJ_E10value_typeEPNSP_ISK_E10value_typeEPSL_NS1_7vsmem_tEENKUlT_SJ_SK_SL_E_clIPsSE_SF_SF_EESI_SY_SJ_SK_SL_EUlSY_E1_NS1_11comp_targetILNS1_3genE10ELNS1_11target_archE1201ELNS1_3gpuE5ELNS1_3repE0EEENS1_36merge_oddeven_config_static_selectorELNS0_4arch9wavefront6targetE0EEEvSK_
	.p2align	8
	.type	_ZN7rocprim17ROCPRIM_400000_NS6detail17trampoline_kernelINS0_14default_configENS1_38merge_sort_block_merge_config_selectorIsNS0_10empty_typeEEEZZNS1_27merge_sort_block_merge_implIS3_N6thrust23THRUST_200600_302600_NS6detail15normal_iteratorINS9_10device_ptrIsEEEEPS5_m11less_div_10IsEEE10hipError_tT0_T1_T2_jT3_P12ihipStream_tbPNSt15iterator_traitsISJ_E10value_typeEPNSP_ISK_E10value_typeEPSL_NS1_7vsmem_tEENKUlT_SJ_SK_SL_E_clIPsSE_SF_SF_EESI_SY_SJ_SK_SL_EUlSY_E1_NS1_11comp_targetILNS1_3genE10ELNS1_11target_archE1201ELNS1_3gpuE5ELNS1_3repE0EEENS1_36merge_oddeven_config_static_selectorELNS0_4arch9wavefront6targetE0EEEvSK_,@function
_ZN7rocprim17ROCPRIM_400000_NS6detail17trampoline_kernelINS0_14default_configENS1_38merge_sort_block_merge_config_selectorIsNS0_10empty_typeEEEZZNS1_27merge_sort_block_merge_implIS3_N6thrust23THRUST_200600_302600_NS6detail15normal_iteratorINS9_10device_ptrIsEEEEPS5_m11less_div_10IsEEE10hipError_tT0_T1_T2_jT3_P12ihipStream_tbPNSt15iterator_traitsISJ_E10value_typeEPNSP_ISK_E10value_typeEPSL_NS1_7vsmem_tEENKUlT_SJ_SK_SL_E_clIPsSE_SF_SF_EESI_SY_SJ_SK_SL_EUlSY_E1_NS1_11comp_targetILNS1_3genE10ELNS1_11target_archE1201ELNS1_3gpuE5ELNS1_3repE0EEENS1_36merge_oddeven_config_static_selectorELNS0_4arch9wavefront6targetE0EEEvSK_: ; @_ZN7rocprim17ROCPRIM_400000_NS6detail17trampoline_kernelINS0_14default_configENS1_38merge_sort_block_merge_config_selectorIsNS0_10empty_typeEEEZZNS1_27merge_sort_block_merge_implIS3_N6thrust23THRUST_200600_302600_NS6detail15normal_iteratorINS9_10device_ptrIsEEEEPS5_m11less_div_10IsEEE10hipError_tT0_T1_T2_jT3_P12ihipStream_tbPNSt15iterator_traitsISJ_E10value_typeEPNSP_ISK_E10value_typeEPSL_NS1_7vsmem_tEENKUlT_SJ_SK_SL_E_clIPsSE_SF_SF_EESI_SY_SJ_SK_SL_EUlSY_E1_NS1_11comp_targetILNS1_3genE10ELNS1_11target_archE1201ELNS1_3gpuE5ELNS1_3repE0EEENS1_36merge_oddeven_config_static_selectorELNS0_4arch9wavefront6targetE0EEEvSK_
; %bb.0:
	.section	.rodata,"a",@progbits
	.p2align	6, 0x0
	.amdhsa_kernel _ZN7rocprim17ROCPRIM_400000_NS6detail17trampoline_kernelINS0_14default_configENS1_38merge_sort_block_merge_config_selectorIsNS0_10empty_typeEEEZZNS1_27merge_sort_block_merge_implIS3_N6thrust23THRUST_200600_302600_NS6detail15normal_iteratorINS9_10device_ptrIsEEEEPS5_m11less_div_10IsEEE10hipError_tT0_T1_T2_jT3_P12ihipStream_tbPNSt15iterator_traitsISJ_E10value_typeEPNSP_ISK_E10value_typeEPSL_NS1_7vsmem_tEENKUlT_SJ_SK_SL_E_clIPsSE_SF_SF_EESI_SY_SJ_SK_SL_EUlSY_E1_NS1_11comp_targetILNS1_3genE10ELNS1_11target_archE1201ELNS1_3gpuE5ELNS1_3repE0EEENS1_36merge_oddeven_config_static_selectorELNS0_4arch9wavefront6targetE0EEEvSK_
		.amdhsa_group_segment_fixed_size 0
		.amdhsa_private_segment_fixed_size 0
		.amdhsa_kernarg_size 56
		.amdhsa_user_sgpr_count 6
		.amdhsa_user_sgpr_private_segment_buffer 1
		.amdhsa_user_sgpr_dispatch_ptr 0
		.amdhsa_user_sgpr_queue_ptr 0
		.amdhsa_user_sgpr_kernarg_segment_ptr 1
		.amdhsa_user_sgpr_dispatch_id 0
		.amdhsa_user_sgpr_flat_scratch_init 0
		.amdhsa_user_sgpr_private_segment_size 0
		.amdhsa_wavefront_size32 1
		.amdhsa_uses_dynamic_stack 0
		.amdhsa_system_sgpr_private_segment_wavefront_offset 0
		.amdhsa_system_sgpr_workgroup_id_x 1
		.amdhsa_system_sgpr_workgroup_id_y 0
		.amdhsa_system_sgpr_workgroup_id_z 0
		.amdhsa_system_sgpr_workgroup_info 0
		.amdhsa_system_vgpr_workitem_id 0
		.amdhsa_next_free_vgpr 1
		.amdhsa_next_free_sgpr 1
		.amdhsa_reserve_vcc 0
		.amdhsa_reserve_flat_scratch 0
		.amdhsa_float_round_mode_32 0
		.amdhsa_float_round_mode_16_64 0
		.amdhsa_float_denorm_mode_32 3
		.amdhsa_float_denorm_mode_16_64 3
		.amdhsa_dx10_clamp 1
		.amdhsa_ieee_mode 1
		.amdhsa_fp16_overflow 0
		.amdhsa_workgroup_processor_mode 1
		.amdhsa_memory_ordered 1
		.amdhsa_forward_progress 1
		.amdhsa_shared_vgpr_count 0
		.amdhsa_exception_fp_ieee_invalid_op 0
		.amdhsa_exception_fp_denorm_src 0
		.amdhsa_exception_fp_ieee_div_zero 0
		.amdhsa_exception_fp_ieee_overflow 0
		.amdhsa_exception_fp_ieee_underflow 0
		.amdhsa_exception_fp_ieee_inexact 0
		.amdhsa_exception_int_div_zero 0
	.end_amdhsa_kernel
	.section	.text._ZN7rocprim17ROCPRIM_400000_NS6detail17trampoline_kernelINS0_14default_configENS1_38merge_sort_block_merge_config_selectorIsNS0_10empty_typeEEEZZNS1_27merge_sort_block_merge_implIS3_N6thrust23THRUST_200600_302600_NS6detail15normal_iteratorINS9_10device_ptrIsEEEEPS5_m11less_div_10IsEEE10hipError_tT0_T1_T2_jT3_P12ihipStream_tbPNSt15iterator_traitsISJ_E10value_typeEPNSP_ISK_E10value_typeEPSL_NS1_7vsmem_tEENKUlT_SJ_SK_SL_E_clIPsSE_SF_SF_EESI_SY_SJ_SK_SL_EUlSY_E1_NS1_11comp_targetILNS1_3genE10ELNS1_11target_archE1201ELNS1_3gpuE5ELNS1_3repE0EEENS1_36merge_oddeven_config_static_selectorELNS0_4arch9wavefront6targetE0EEEvSK_,"axG",@progbits,_ZN7rocprim17ROCPRIM_400000_NS6detail17trampoline_kernelINS0_14default_configENS1_38merge_sort_block_merge_config_selectorIsNS0_10empty_typeEEEZZNS1_27merge_sort_block_merge_implIS3_N6thrust23THRUST_200600_302600_NS6detail15normal_iteratorINS9_10device_ptrIsEEEEPS5_m11less_div_10IsEEE10hipError_tT0_T1_T2_jT3_P12ihipStream_tbPNSt15iterator_traitsISJ_E10value_typeEPNSP_ISK_E10value_typeEPSL_NS1_7vsmem_tEENKUlT_SJ_SK_SL_E_clIPsSE_SF_SF_EESI_SY_SJ_SK_SL_EUlSY_E1_NS1_11comp_targetILNS1_3genE10ELNS1_11target_archE1201ELNS1_3gpuE5ELNS1_3repE0EEENS1_36merge_oddeven_config_static_selectorELNS0_4arch9wavefront6targetE0EEEvSK_,comdat
.Lfunc_end541:
	.size	_ZN7rocprim17ROCPRIM_400000_NS6detail17trampoline_kernelINS0_14default_configENS1_38merge_sort_block_merge_config_selectorIsNS0_10empty_typeEEEZZNS1_27merge_sort_block_merge_implIS3_N6thrust23THRUST_200600_302600_NS6detail15normal_iteratorINS9_10device_ptrIsEEEEPS5_m11less_div_10IsEEE10hipError_tT0_T1_T2_jT3_P12ihipStream_tbPNSt15iterator_traitsISJ_E10value_typeEPNSP_ISK_E10value_typeEPSL_NS1_7vsmem_tEENKUlT_SJ_SK_SL_E_clIPsSE_SF_SF_EESI_SY_SJ_SK_SL_EUlSY_E1_NS1_11comp_targetILNS1_3genE10ELNS1_11target_archE1201ELNS1_3gpuE5ELNS1_3repE0EEENS1_36merge_oddeven_config_static_selectorELNS0_4arch9wavefront6targetE0EEEvSK_, .Lfunc_end541-_ZN7rocprim17ROCPRIM_400000_NS6detail17trampoline_kernelINS0_14default_configENS1_38merge_sort_block_merge_config_selectorIsNS0_10empty_typeEEEZZNS1_27merge_sort_block_merge_implIS3_N6thrust23THRUST_200600_302600_NS6detail15normal_iteratorINS9_10device_ptrIsEEEEPS5_m11less_div_10IsEEE10hipError_tT0_T1_T2_jT3_P12ihipStream_tbPNSt15iterator_traitsISJ_E10value_typeEPNSP_ISK_E10value_typeEPSL_NS1_7vsmem_tEENKUlT_SJ_SK_SL_E_clIPsSE_SF_SF_EESI_SY_SJ_SK_SL_EUlSY_E1_NS1_11comp_targetILNS1_3genE10ELNS1_11target_archE1201ELNS1_3gpuE5ELNS1_3repE0EEENS1_36merge_oddeven_config_static_selectorELNS0_4arch9wavefront6targetE0EEEvSK_
                                        ; -- End function
	.set _ZN7rocprim17ROCPRIM_400000_NS6detail17trampoline_kernelINS0_14default_configENS1_38merge_sort_block_merge_config_selectorIsNS0_10empty_typeEEEZZNS1_27merge_sort_block_merge_implIS3_N6thrust23THRUST_200600_302600_NS6detail15normal_iteratorINS9_10device_ptrIsEEEEPS5_m11less_div_10IsEEE10hipError_tT0_T1_T2_jT3_P12ihipStream_tbPNSt15iterator_traitsISJ_E10value_typeEPNSP_ISK_E10value_typeEPSL_NS1_7vsmem_tEENKUlT_SJ_SK_SL_E_clIPsSE_SF_SF_EESI_SY_SJ_SK_SL_EUlSY_E1_NS1_11comp_targetILNS1_3genE10ELNS1_11target_archE1201ELNS1_3gpuE5ELNS1_3repE0EEENS1_36merge_oddeven_config_static_selectorELNS0_4arch9wavefront6targetE0EEEvSK_.num_vgpr, 0
	.set _ZN7rocprim17ROCPRIM_400000_NS6detail17trampoline_kernelINS0_14default_configENS1_38merge_sort_block_merge_config_selectorIsNS0_10empty_typeEEEZZNS1_27merge_sort_block_merge_implIS3_N6thrust23THRUST_200600_302600_NS6detail15normal_iteratorINS9_10device_ptrIsEEEEPS5_m11less_div_10IsEEE10hipError_tT0_T1_T2_jT3_P12ihipStream_tbPNSt15iterator_traitsISJ_E10value_typeEPNSP_ISK_E10value_typeEPSL_NS1_7vsmem_tEENKUlT_SJ_SK_SL_E_clIPsSE_SF_SF_EESI_SY_SJ_SK_SL_EUlSY_E1_NS1_11comp_targetILNS1_3genE10ELNS1_11target_archE1201ELNS1_3gpuE5ELNS1_3repE0EEENS1_36merge_oddeven_config_static_selectorELNS0_4arch9wavefront6targetE0EEEvSK_.num_agpr, 0
	.set _ZN7rocprim17ROCPRIM_400000_NS6detail17trampoline_kernelINS0_14default_configENS1_38merge_sort_block_merge_config_selectorIsNS0_10empty_typeEEEZZNS1_27merge_sort_block_merge_implIS3_N6thrust23THRUST_200600_302600_NS6detail15normal_iteratorINS9_10device_ptrIsEEEEPS5_m11less_div_10IsEEE10hipError_tT0_T1_T2_jT3_P12ihipStream_tbPNSt15iterator_traitsISJ_E10value_typeEPNSP_ISK_E10value_typeEPSL_NS1_7vsmem_tEENKUlT_SJ_SK_SL_E_clIPsSE_SF_SF_EESI_SY_SJ_SK_SL_EUlSY_E1_NS1_11comp_targetILNS1_3genE10ELNS1_11target_archE1201ELNS1_3gpuE5ELNS1_3repE0EEENS1_36merge_oddeven_config_static_selectorELNS0_4arch9wavefront6targetE0EEEvSK_.numbered_sgpr, 0
	.set _ZN7rocprim17ROCPRIM_400000_NS6detail17trampoline_kernelINS0_14default_configENS1_38merge_sort_block_merge_config_selectorIsNS0_10empty_typeEEEZZNS1_27merge_sort_block_merge_implIS3_N6thrust23THRUST_200600_302600_NS6detail15normal_iteratorINS9_10device_ptrIsEEEEPS5_m11less_div_10IsEEE10hipError_tT0_T1_T2_jT3_P12ihipStream_tbPNSt15iterator_traitsISJ_E10value_typeEPNSP_ISK_E10value_typeEPSL_NS1_7vsmem_tEENKUlT_SJ_SK_SL_E_clIPsSE_SF_SF_EESI_SY_SJ_SK_SL_EUlSY_E1_NS1_11comp_targetILNS1_3genE10ELNS1_11target_archE1201ELNS1_3gpuE5ELNS1_3repE0EEENS1_36merge_oddeven_config_static_selectorELNS0_4arch9wavefront6targetE0EEEvSK_.num_named_barrier, 0
	.set _ZN7rocprim17ROCPRIM_400000_NS6detail17trampoline_kernelINS0_14default_configENS1_38merge_sort_block_merge_config_selectorIsNS0_10empty_typeEEEZZNS1_27merge_sort_block_merge_implIS3_N6thrust23THRUST_200600_302600_NS6detail15normal_iteratorINS9_10device_ptrIsEEEEPS5_m11less_div_10IsEEE10hipError_tT0_T1_T2_jT3_P12ihipStream_tbPNSt15iterator_traitsISJ_E10value_typeEPNSP_ISK_E10value_typeEPSL_NS1_7vsmem_tEENKUlT_SJ_SK_SL_E_clIPsSE_SF_SF_EESI_SY_SJ_SK_SL_EUlSY_E1_NS1_11comp_targetILNS1_3genE10ELNS1_11target_archE1201ELNS1_3gpuE5ELNS1_3repE0EEENS1_36merge_oddeven_config_static_selectorELNS0_4arch9wavefront6targetE0EEEvSK_.private_seg_size, 0
	.set _ZN7rocprim17ROCPRIM_400000_NS6detail17trampoline_kernelINS0_14default_configENS1_38merge_sort_block_merge_config_selectorIsNS0_10empty_typeEEEZZNS1_27merge_sort_block_merge_implIS3_N6thrust23THRUST_200600_302600_NS6detail15normal_iteratorINS9_10device_ptrIsEEEEPS5_m11less_div_10IsEEE10hipError_tT0_T1_T2_jT3_P12ihipStream_tbPNSt15iterator_traitsISJ_E10value_typeEPNSP_ISK_E10value_typeEPSL_NS1_7vsmem_tEENKUlT_SJ_SK_SL_E_clIPsSE_SF_SF_EESI_SY_SJ_SK_SL_EUlSY_E1_NS1_11comp_targetILNS1_3genE10ELNS1_11target_archE1201ELNS1_3gpuE5ELNS1_3repE0EEENS1_36merge_oddeven_config_static_selectorELNS0_4arch9wavefront6targetE0EEEvSK_.uses_vcc, 0
	.set _ZN7rocprim17ROCPRIM_400000_NS6detail17trampoline_kernelINS0_14default_configENS1_38merge_sort_block_merge_config_selectorIsNS0_10empty_typeEEEZZNS1_27merge_sort_block_merge_implIS3_N6thrust23THRUST_200600_302600_NS6detail15normal_iteratorINS9_10device_ptrIsEEEEPS5_m11less_div_10IsEEE10hipError_tT0_T1_T2_jT3_P12ihipStream_tbPNSt15iterator_traitsISJ_E10value_typeEPNSP_ISK_E10value_typeEPSL_NS1_7vsmem_tEENKUlT_SJ_SK_SL_E_clIPsSE_SF_SF_EESI_SY_SJ_SK_SL_EUlSY_E1_NS1_11comp_targetILNS1_3genE10ELNS1_11target_archE1201ELNS1_3gpuE5ELNS1_3repE0EEENS1_36merge_oddeven_config_static_selectorELNS0_4arch9wavefront6targetE0EEEvSK_.uses_flat_scratch, 0
	.set _ZN7rocprim17ROCPRIM_400000_NS6detail17trampoline_kernelINS0_14default_configENS1_38merge_sort_block_merge_config_selectorIsNS0_10empty_typeEEEZZNS1_27merge_sort_block_merge_implIS3_N6thrust23THRUST_200600_302600_NS6detail15normal_iteratorINS9_10device_ptrIsEEEEPS5_m11less_div_10IsEEE10hipError_tT0_T1_T2_jT3_P12ihipStream_tbPNSt15iterator_traitsISJ_E10value_typeEPNSP_ISK_E10value_typeEPSL_NS1_7vsmem_tEENKUlT_SJ_SK_SL_E_clIPsSE_SF_SF_EESI_SY_SJ_SK_SL_EUlSY_E1_NS1_11comp_targetILNS1_3genE10ELNS1_11target_archE1201ELNS1_3gpuE5ELNS1_3repE0EEENS1_36merge_oddeven_config_static_selectorELNS0_4arch9wavefront6targetE0EEEvSK_.has_dyn_sized_stack, 0
	.set _ZN7rocprim17ROCPRIM_400000_NS6detail17trampoline_kernelINS0_14default_configENS1_38merge_sort_block_merge_config_selectorIsNS0_10empty_typeEEEZZNS1_27merge_sort_block_merge_implIS3_N6thrust23THRUST_200600_302600_NS6detail15normal_iteratorINS9_10device_ptrIsEEEEPS5_m11less_div_10IsEEE10hipError_tT0_T1_T2_jT3_P12ihipStream_tbPNSt15iterator_traitsISJ_E10value_typeEPNSP_ISK_E10value_typeEPSL_NS1_7vsmem_tEENKUlT_SJ_SK_SL_E_clIPsSE_SF_SF_EESI_SY_SJ_SK_SL_EUlSY_E1_NS1_11comp_targetILNS1_3genE10ELNS1_11target_archE1201ELNS1_3gpuE5ELNS1_3repE0EEENS1_36merge_oddeven_config_static_selectorELNS0_4arch9wavefront6targetE0EEEvSK_.has_recursion, 0
	.set _ZN7rocprim17ROCPRIM_400000_NS6detail17trampoline_kernelINS0_14default_configENS1_38merge_sort_block_merge_config_selectorIsNS0_10empty_typeEEEZZNS1_27merge_sort_block_merge_implIS3_N6thrust23THRUST_200600_302600_NS6detail15normal_iteratorINS9_10device_ptrIsEEEEPS5_m11less_div_10IsEEE10hipError_tT0_T1_T2_jT3_P12ihipStream_tbPNSt15iterator_traitsISJ_E10value_typeEPNSP_ISK_E10value_typeEPSL_NS1_7vsmem_tEENKUlT_SJ_SK_SL_E_clIPsSE_SF_SF_EESI_SY_SJ_SK_SL_EUlSY_E1_NS1_11comp_targetILNS1_3genE10ELNS1_11target_archE1201ELNS1_3gpuE5ELNS1_3repE0EEENS1_36merge_oddeven_config_static_selectorELNS0_4arch9wavefront6targetE0EEEvSK_.has_indirect_call, 0
	.section	.AMDGPU.csdata,"",@progbits
; Kernel info:
; codeLenInByte = 0
; TotalNumSgprs: 0
; NumVgprs: 0
; ScratchSize: 0
; MemoryBound: 0
; FloatMode: 240
; IeeeMode: 1
; LDSByteSize: 0 bytes/workgroup (compile time only)
; SGPRBlocks: 0
; VGPRBlocks: 0
; NumSGPRsForWavesPerEU: 1
; NumVGPRsForWavesPerEU: 1
; Occupancy: 16
; WaveLimiterHint : 0
; COMPUTE_PGM_RSRC2:SCRATCH_EN: 0
; COMPUTE_PGM_RSRC2:USER_SGPR: 6
; COMPUTE_PGM_RSRC2:TRAP_HANDLER: 0
; COMPUTE_PGM_RSRC2:TGID_X_EN: 1
; COMPUTE_PGM_RSRC2:TGID_Y_EN: 0
; COMPUTE_PGM_RSRC2:TGID_Z_EN: 0
; COMPUTE_PGM_RSRC2:TIDIG_COMP_CNT: 0
	.section	.text._ZN7rocprim17ROCPRIM_400000_NS6detail17trampoline_kernelINS0_14default_configENS1_38merge_sort_block_merge_config_selectorIsNS0_10empty_typeEEEZZNS1_27merge_sort_block_merge_implIS3_N6thrust23THRUST_200600_302600_NS6detail15normal_iteratorINS9_10device_ptrIsEEEEPS5_m11less_div_10IsEEE10hipError_tT0_T1_T2_jT3_P12ihipStream_tbPNSt15iterator_traitsISJ_E10value_typeEPNSP_ISK_E10value_typeEPSL_NS1_7vsmem_tEENKUlT_SJ_SK_SL_E_clIPsSE_SF_SF_EESI_SY_SJ_SK_SL_EUlSY_E1_NS1_11comp_targetILNS1_3genE5ELNS1_11target_archE942ELNS1_3gpuE9ELNS1_3repE0EEENS1_36merge_oddeven_config_static_selectorELNS0_4arch9wavefront6targetE0EEEvSK_,"axG",@progbits,_ZN7rocprim17ROCPRIM_400000_NS6detail17trampoline_kernelINS0_14default_configENS1_38merge_sort_block_merge_config_selectorIsNS0_10empty_typeEEEZZNS1_27merge_sort_block_merge_implIS3_N6thrust23THRUST_200600_302600_NS6detail15normal_iteratorINS9_10device_ptrIsEEEEPS5_m11less_div_10IsEEE10hipError_tT0_T1_T2_jT3_P12ihipStream_tbPNSt15iterator_traitsISJ_E10value_typeEPNSP_ISK_E10value_typeEPSL_NS1_7vsmem_tEENKUlT_SJ_SK_SL_E_clIPsSE_SF_SF_EESI_SY_SJ_SK_SL_EUlSY_E1_NS1_11comp_targetILNS1_3genE5ELNS1_11target_archE942ELNS1_3gpuE9ELNS1_3repE0EEENS1_36merge_oddeven_config_static_selectorELNS0_4arch9wavefront6targetE0EEEvSK_,comdat
	.protected	_ZN7rocprim17ROCPRIM_400000_NS6detail17trampoline_kernelINS0_14default_configENS1_38merge_sort_block_merge_config_selectorIsNS0_10empty_typeEEEZZNS1_27merge_sort_block_merge_implIS3_N6thrust23THRUST_200600_302600_NS6detail15normal_iteratorINS9_10device_ptrIsEEEEPS5_m11less_div_10IsEEE10hipError_tT0_T1_T2_jT3_P12ihipStream_tbPNSt15iterator_traitsISJ_E10value_typeEPNSP_ISK_E10value_typeEPSL_NS1_7vsmem_tEENKUlT_SJ_SK_SL_E_clIPsSE_SF_SF_EESI_SY_SJ_SK_SL_EUlSY_E1_NS1_11comp_targetILNS1_3genE5ELNS1_11target_archE942ELNS1_3gpuE9ELNS1_3repE0EEENS1_36merge_oddeven_config_static_selectorELNS0_4arch9wavefront6targetE0EEEvSK_ ; -- Begin function _ZN7rocprim17ROCPRIM_400000_NS6detail17trampoline_kernelINS0_14default_configENS1_38merge_sort_block_merge_config_selectorIsNS0_10empty_typeEEEZZNS1_27merge_sort_block_merge_implIS3_N6thrust23THRUST_200600_302600_NS6detail15normal_iteratorINS9_10device_ptrIsEEEEPS5_m11less_div_10IsEEE10hipError_tT0_T1_T2_jT3_P12ihipStream_tbPNSt15iterator_traitsISJ_E10value_typeEPNSP_ISK_E10value_typeEPSL_NS1_7vsmem_tEENKUlT_SJ_SK_SL_E_clIPsSE_SF_SF_EESI_SY_SJ_SK_SL_EUlSY_E1_NS1_11comp_targetILNS1_3genE5ELNS1_11target_archE942ELNS1_3gpuE9ELNS1_3repE0EEENS1_36merge_oddeven_config_static_selectorELNS0_4arch9wavefront6targetE0EEEvSK_
	.globl	_ZN7rocprim17ROCPRIM_400000_NS6detail17trampoline_kernelINS0_14default_configENS1_38merge_sort_block_merge_config_selectorIsNS0_10empty_typeEEEZZNS1_27merge_sort_block_merge_implIS3_N6thrust23THRUST_200600_302600_NS6detail15normal_iteratorINS9_10device_ptrIsEEEEPS5_m11less_div_10IsEEE10hipError_tT0_T1_T2_jT3_P12ihipStream_tbPNSt15iterator_traitsISJ_E10value_typeEPNSP_ISK_E10value_typeEPSL_NS1_7vsmem_tEENKUlT_SJ_SK_SL_E_clIPsSE_SF_SF_EESI_SY_SJ_SK_SL_EUlSY_E1_NS1_11comp_targetILNS1_3genE5ELNS1_11target_archE942ELNS1_3gpuE9ELNS1_3repE0EEENS1_36merge_oddeven_config_static_selectorELNS0_4arch9wavefront6targetE0EEEvSK_
	.p2align	8
	.type	_ZN7rocprim17ROCPRIM_400000_NS6detail17trampoline_kernelINS0_14default_configENS1_38merge_sort_block_merge_config_selectorIsNS0_10empty_typeEEEZZNS1_27merge_sort_block_merge_implIS3_N6thrust23THRUST_200600_302600_NS6detail15normal_iteratorINS9_10device_ptrIsEEEEPS5_m11less_div_10IsEEE10hipError_tT0_T1_T2_jT3_P12ihipStream_tbPNSt15iterator_traitsISJ_E10value_typeEPNSP_ISK_E10value_typeEPSL_NS1_7vsmem_tEENKUlT_SJ_SK_SL_E_clIPsSE_SF_SF_EESI_SY_SJ_SK_SL_EUlSY_E1_NS1_11comp_targetILNS1_3genE5ELNS1_11target_archE942ELNS1_3gpuE9ELNS1_3repE0EEENS1_36merge_oddeven_config_static_selectorELNS0_4arch9wavefront6targetE0EEEvSK_,@function
_ZN7rocprim17ROCPRIM_400000_NS6detail17trampoline_kernelINS0_14default_configENS1_38merge_sort_block_merge_config_selectorIsNS0_10empty_typeEEEZZNS1_27merge_sort_block_merge_implIS3_N6thrust23THRUST_200600_302600_NS6detail15normal_iteratorINS9_10device_ptrIsEEEEPS5_m11less_div_10IsEEE10hipError_tT0_T1_T2_jT3_P12ihipStream_tbPNSt15iterator_traitsISJ_E10value_typeEPNSP_ISK_E10value_typeEPSL_NS1_7vsmem_tEENKUlT_SJ_SK_SL_E_clIPsSE_SF_SF_EESI_SY_SJ_SK_SL_EUlSY_E1_NS1_11comp_targetILNS1_3genE5ELNS1_11target_archE942ELNS1_3gpuE9ELNS1_3repE0EEENS1_36merge_oddeven_config_static_selectorELNS0_4arch9wavefront6targetE0EEEvSK_: ; @_ZN7rocprim17ROCPRIM_400000_NS6detail17trampoline_kernelINS0_14default_configENS1_38merge_sort_block_merge_config_selectorIsNS0_10empty_typeEEEZZNS1_27merge_sort_block_merge_implIS3_N6thrust23THRUST_200600_302600_NS6detail15normal_iteratorINS9_10device_ptrIsEEEEPS5_m11less_div_10IsEEE10hipError_tT0_T1_T2_jT3_P12ihipStream_tbPNSt15iterator_traitsISJ_E10value_typeEPNSP_ISK_E10value_typeEPSL_NS1_7vsmem_tEENKUlT_SJ_SK_SL_E_clIPsSE_SF_SF_EESI_SY_SJ_SK_SL_EUlSY_E1_NS1_11comp_targetILNS1_3genE5ELNS1_11target_archE942ELNS1_3gpuE9ELNS1_3repE0EEENS1_36merge_oddeven_config_static_selectorELNS0_4arch9wavefront6targetE0EEEvSK_
; %bb.0:
	.section	.rodata,"a",@progbits
	.p2align	6, 0x0
	.amdhsa_kernel _ZN7rocprim17ROCPRIM_400000_NS6detail17trampoline_kernelINS0_14default_configENS1_38merge_sort_block_merge_config_selectorIsNS0_10empty_typeEEEZZNS1_27merge_sort_block_merge_implIS3_N6thrust23THRUST_200600_302600_NS6detail15normal_iteratorINS9_10device_ptrIsEEEEPS5_m11less_div_10IsEEE10hipError_tT0_T1_T2_jT3_P12ihipStream_tbPNSt15iterator_traitsISJ_E10value_typeEPNSP_ISK_E10value_typeEPSL_NS1_7vsmem_tEENKUlT_SJ_SK_SL_E_clIPsSE_SF_SF_EESI_SY_SJ_SK_SL_EUlSY_E1_NS1_11comp_targetILNS1_3genE5ELNS1_11target_archE942ELNS1_3gpuE9ELNS1_3repE0EEENS1_36merge_oddeven_config_static_selectorELNS0_4arch9wavefront6targetE0EEEvSK_
		.amdhsa_group_segment_fixed_size 0
		.amdhsa_private_segment_fixed_size 0
		.amdhsa_kernarg_size 56
		.amdhsa_user_sgpr_count 6
		.amdhsa_user_sgpr_private_segment_buffer 1
		.amdhsa_user_sgpr_dispatch_ptr 0
		.amdhsa_user_sgpr_queue_ptr 0
		.amdhsa_user_sgpr_kernarg_segment_ptr 1
		.amdhsa_user_sgpr_dispatch_id 0
		.amdhsa_user_sgpr_flat_scratch_init 0
		.amdhsa_user_sgpr_private_segment_size 0
		.amdhsa_wavefront_size32 1
		.amdhsa_uses_dynamic_stack 0
		.amdhsa_system_sgpr_private_segment_wavefront_offset 0
		.amdhsa_system_sgpr_workgroup_id_x 1
		.amdhsa_system_sgpr_workgroup_id_y 0
		.amdhsa_system_sgpr_workgroup_id_z 0
		.amdhsa_system_sgpr_workgroup_info 0
		.amdhsa_system_vgpr_workitem_id 0
		.amdhsa_next_free_vgpr 1
		.amdhsa_next_free_sgpr 1
		.amdhsa_reserve_vcc 0
		.amdhsa_reserve_flat_scratch 0
		.amdhsa_float_round_mode_32 0
		.amdhsa_float_round_mode_16_64 0
		.amdhsa_float_denorm_mode_32 3
		.amdhsa_float_denorm_mode_16_64 3
		.amdhsa_dx10_clamp 1
		.amdhsa_ieee_mode 1
		.amdhsa_fp16_overflow 0
		.amdhsa_workgroup_processor_mode 1
		.amdhsa_memory_ordered 1
		.amdhsa_forward_progress 1
		.amdhsa_shared_vgpr_count 0
		.amdhsa_exception_fp_ieee_invalid_op 0
		.amdhsa_exception_fp_denorm_src 0
		.amdhsa_exception_fp_ieee_div_zero 0
		.amdhsa_exception_fp_ieee_overflow 0
		.amdhsa_exception_fp_ieee_underflow 0
		.amdhsa_exception_fp_ieee_inexact 0
		.amdhsa_exception_int_div_zero 0
	.end_amdhsa_kernel
	.section	.text._ZN7rocprim17ROCPRIM_400000_NS6detail17trampoline_kernelINS0_14default_configENS1_38merge_sort_block_merge_config_selectorIsNS0_10empty_typeEEEZZNS1_27merge_sort_block_merge_implIS3_N6thrust23THRUST_200600_302600_NS6detail15normal_iteratorINS9_10device_ptrIsEEEEPS5_m11less_div_10IsEEE10hipError_tT0_T1_T2_jT3_P12ihipStream_tbPNSt15iterator_traitsISJ_E10value_typeEPNSP_ISK_E10value_typeEPSL_NS1_7vsmem_tEENKUlT_SJ_SK_SL_E_clIPsSE_SF_SF_EESI_SY_SJ_SK_SL_EUlSY_E1_NS1_11comp_targetILNS1_3genE5ELNS1_11target_archE942ELNS1_3gpuE9ELNS1_3repE0EEENS1_36merge_oddeven_config_static_selectorELNS0_4arch9wavefront6targetE0EEEvSK_,"axG",@progbits,_ZN7rocprim17ROCPRIM_400000_NS6detail17trampoline_kernelINS0_14default_configENS1_38merge_sort_block_merge_config_selectorIsNS0_10empty_typeEEEZZNS1_27merge_sort_block_merge_implIS3_N6thrust23THRUST_200600_302600_NS6detail15normal_iteratorINS9_10device_ptrIsEEEEPS5_m11less_div_10IsEEE10hipError_tT0_T1_T2_jT3_P12ihipStream_tbPNSt15iterator_traitsISJ_E10value_typeEPNSP_ISK_E10value_typeEPSL_NS1_7vsmem_tEENKUlT_SJ_SK_SL_E_clIPsSE_SF_SF_EESI_SY_SJ_SK_SL_EUlSY_E1_NS1_11comp_targetILNS1_3genE5ELNS1_11target_archE942ELNS1_3gpuE9ELNS1_3repE0EEENS1_36merge_oddeven_config_static_selectorELNS0_4arch9wavefront6targetE0EEEvSK_,comdat
.Lfunc_end542:
	.size	_ZN7rocprim17ROCPRIM_400000_NS6detail17trampoline_kernelINS0_14default_configENS1_38merge_sort_block_merge_config_selectorIsNS0_10empty_typeEEEZZNS1_27merge_sort_block_merge_implIS3_N6thrust23THRUST_200600_302600_NS6detail15normal_iteratorINS9_10device_ptrIsEEEEPS5_m11less_div_10IsEEE10hipError_tT0_T1_T2_jT3_P12ihipStream_tbPNSt15iterator_traitsISJ_E10value_typeEPNSP_ISK_E10value_typeEPSL_NS1_7vsmem_tEENKUlT_SJ_SK_SL_E_clIPsSE_SF_SF_EESI_SY_SJ_SK_SL_EUlSY_E1_NS1_11comp_targetILNS1_3genE5ELNS1_11target_archE942ELNS1_3gpuE9ELNS1_3repE0EEENS1_36merge_oddeven_config_static_selectorELNS0_4arch9wavefront6targetE0EEEvSK_, .Lfunc_end542-_ZN7rocprim17ROCPRIM_400000_NS6detail17trampoline_kernelINS0_14default_configENS1_38merge_sort_block_merge_config_selectorIsNS0_10empty_typeEEEZZNS1_27merge_sort_block_merge_implIS3_N6thrust23THRUST_200600_302600_NS6detail15normal_iteratorINS9_10device_ptrIsEEEEPS5_m11less_div_10IsEEE10hipError_tT0_T1_T2_jT3_P12ihipStream_tbPNSt15iterator_traitsISJ_E10value_typeEPNSP_ISK_E10value_typeEPSL_NS1_7vsmem_tEENKUlT_SJ_SK_SL_E_clIPsSE_SF_SF_EESI_SY_SJ_SK_SL_EUlSY_E1_NS1_11comp_targetILNS1_3genE5ELNS1_11target_archE942ELNS1_3gpuE9ELNS1_3repE0EEENS1_36merge_oddeven_config_static_selectorELNS0_4arch9wavefront6targetE0EEEvSK_
                                        ; -- End function
	.set _ZN7rocprim17ROCPRIM_400000_NS6detail17trampoline_kernelINS0_14default_configENS1_38merge_sort_block_merge_config_selectorIsNS0_10empty_typeEEEZZNS1_27merge_sort_block_merge_implIS3_N6thrust23THRUST_200600_302600_NS6detail15normal_iteratorINS9_10device_ptrIsEEEEPS5_m11less_div_10IsEEE10hipError_tT0_T1_T2_jT3_P12ihipStream_tbPNSt15iterator_traitsISJ_E10value_typeEPNSP_ISK_E10value_typeEPSL_NS1_7vsmem_tEENKUlT_SJ_SK_SL_E_clIPsSE_SF_SF_EESI_SY_SJ_SK_SL_EUlSY_E1_NS1_11comp_targetILNS1_3genE5ELNS1_11target_archE942ELNS1_3gpuE9ELNS1_3repE0EEENS1_36merge_oddeven_config_static_selectorELNS0_4arch9wavefront6targetE0EEEvSK_.num_vgpr, 0
	.set _ZN7rocprim17ROCPRIM_400000_NS6detail17trampoline_kernelINS0_14default_configENS1_38merge_sort_block_merge_config_selectorIsNS0_10empty_typeEEEZZNS1_27merge_sort_block_merge_implIS3_N6thrust23THRUST_200600_302600_NS6detail15normal_iteratorINS9_10device_ptrIsEEEEPS5_m11less_div_10IsEEE10hipError_tT0_T1_T2_jT3_P12ihipStream_tbPNSt15iterator_traitsISJ_E10value_typeEPNSP_ISK_E10value_typeEPSL_NS1_7vsmem_tEENKUlT_SJ_SK_SL_E_clIPsSE_SF_SF_EESI_SY_SJ_SK_SL_EUlSY_E1_NS1_11comp_targetILNS1_3genE5ELNS1_11target_archE942ELNS1_3gpuE9ELNS1_3repE0EEENS1_36merge_oddeven_config_static_selectorELNS0_4arch9wavefront6targetE0EEEvSK_.num_agpr, 0
	.set _ZN7rocprim17ROCPRIM_400000_NS6detail17trampoline_kernelINS0_14default_configENS1_38merge_sort_block_merge_config_selectorIsNS0_10empty_typeEEEZZNS1_27merge_sort_block_merge_implIS3_N6thrust23THRUST_200600_302600_NS6detail15normal_iteratorINS9_10device_ptrIsEEEEPS5_m11less_div_10IsEEE10hipError_tT0_T1_T2_jT3_P12ihipStream_tbPNSt15iterator_traitsISJ_E10value_typeEPNSP_ISK_E10value_typeEPSL_NS1_7vsmem_tEENKUlT_SJ_SK_SL_E_clIPsSE_SF_SF_EESI_SY_SJ_SK_SL_EUlSY_E1_NS1_11comp_targetILNS1_3genE5ELNS1_11target_archE942ELNS1_3gpuE9ELNS1_3repE0EEENS1_36merge_oddeven_config_static_selectorELNS0_4arch9wavefront6targetE0EEEvSK_.numbered_sgpr, 0
	.set _ZN7rocprim17ROCPRIM_400000_NS6detail17trampoline_kernelINS0_14default_configENS1_38merge_sort_block_merge_config_selectorIsNS0_10empty_typeEEEZZNS1_27merge_sort_block_merge_implIS3_N6thrust23THRUST_200600_302600_NS6detail15normal_iteratorINS9_10device_ptrIsEEEEPS5_m11less_div_10IsEEE10hipError_tT0_T1_T2_jT3_P12ihipStream_tbPNSt15iterator_traitsISJ_E10value_typeEPNSP_ISK_E10value_typeEPSL_NS1_7vsmem_tEENKUlT_SJ_SK_SL_E_clIPsSE_SF_SF_EESI_SY_SJ_SK_SL_EUlSY_E1_NS1_11comp_targetILNS1_3genE5ELNS1_11target_archE942ELNS1_3gpuE9ELNS1_3repE0EEENS1_36merge_oddeven_config_static_selectorELNS0_4arch9wavefront6targetE0EEEvSK_.num_named_barrier, 0
	.set _ZN7rocprim17ROCPRIM_400000_NS6detail17trampoline_kernelINS0_14default_configENS1_38merge_sort_block_merge_config_selectorIsNS0_10empty_typeEEEZZNS1_27merge_sort_block_merge_implIS3_N6thrust23THRUST_200600_302600_NS6detail15normal_iteratorINS9_10device_ptrIsEEEEPS5_m11less_div_10IsEEE10hipError_tT0_T1_T2_jT3_P12ihipStream_tbPNSt15iterator_traitsISJ_E10value_typeEPNSP_ISK_E10value_typeEPSL_NS1_7vsmem_tEENKUlT_SJ_SK_SL_E_clIPsSE_SF_SF_EESI_SY_SJ_SK_SL_EUlSY_E1_NS1_11comp_targetILNS1_3genE5ELNS1_11target_archE942ELNS1_3gpuE9ELNS1_3repE0EEENS1_36merge_oddeven_config_static_selectorELNS0_4arch9wavefront6targetE0EEEvSK_.private_seg_size, 0
	.set _ZN7rocprim17ROCPRIM_400000_NS6detail17trampoline_kernelINS0_14default_configENS1_38merge_sort_block_merge_config_selectorIsNS0_10empty_typeEEEZZNS1_27merge_sort_block_merge_implIS3_N6thrust23THRUST_200600_302600_NS6detail15normal_iteratorINS9_10device_ptrIsEEEEPS5_m11less_div_10IsEEE10hipError_tT0_T1_T2_jT3_P12ihipStream_tbPNSt15iterator_traitsISJ_E10value_typeEPNSP_ISK_E10value_typeEPSL_NS1_7vsmem_tEENKUlT_SJ_SK_SL_E_clIPsSE_SF_SF_EESI_SY_SJ_SK_SL_EUlSY_E1_NS1_11comp_targetILNS1_3genE5ELNS1_11target_archE942ELNS1_3gpuE9ELNS1_3repE0EEENS1_36merge_oddeven_config_static_selectorELNS0_4arch9wavefront6targetE0EEEvSK_.uses_vcc, 0
	.set _ZN7rocprim17ROCPRIM_400000_NS6detail17trampoline_kernelINS0_14default_configENS1_38merge_sort_block_merge_config_selectorIsNS0_10empty_typeEEEZZNS1_27merge_sort_block_merge_implIS3_N6thrust23THRUST_200600_302600_NS6detail15normal_iteratorINS9_10device_ptrIsEEEEPS5_m11less_div_10IsEEE10hipError_tT0_T1_T2_jT3_P12ihipStream_tbPNSt15iterator_traitsISJ_E10value_typeEPNSP_ISK_E10value_typeEPSL_NS1_7vsmem_tEENKUlT_SJ_SK_SL_E_clIPsSE_SF_SF_EESI_SY_SJ_SK_SL_EUlSY_E1_NS1_11comp_targetILNS1_3genE5ELNS1_11target_archE942ELNS1_3gpuE9ELNS1_3repE0EEENS1_36merge_oddeven_config_static_selectorELNS0_4arch9wavefront6targetE0EEEvSK_.uses_flat_scratch, 0
	.set _ZN7rocprim17ROCPRIM_400000_NS6detail17trampoline_kernelINS0_14default_configENS1_38merge_sort_block_merge_config_selectorIsNS0_10empty_typeEEEZZNS1_27merge_sort_block_merge_implIS3_N6thrust23THRUST_200600_302600_NS6detail15normal_iteratorINS9_10device_ptrIsEEEEPS5_m11less_div_10IsEEE10hipError_tT0_T1_T2_jT3_P12ihipStream_tbPNSt15iterator_traitsISJ_E10value_typeEPNSP_ISK_E10value_typeEPSL_NS1_7vsmem_tEENKUlT_SJ_SK_SL_E_clIPsSE_SF_SF_EESI_SY_SJ_SK_SL_EUlSY_E1_NS1_11comp_targetILNS1_3genE5ELNS1_11target_archE942ELNS1_3gpuE9ELNS1_3repE0EEENS1_36merge_oddeven_config_static_selectorELNS0_4arch9wavefront6targetE0EEEvSK_.has_dyn_sized_stack, 0
	.set _ZN7rocprim17ROCPRIM_400000_NS6detail17trampoline_kernelINS0_14default_configENS1_38merge_sort_block_merge_config_selectorIsNS0_10empty_typeEEEZZNS1_27merge_sort_block_merge_implIS3_N6thrust23THRUST_200600_302600_NS6detail15normal_iteratorINS9_10device_ptrIsEEEEPS5_m11less_div_10IsEEE10hipError_tT0_T1_T2_jT3_P12ihipStream_tbPNSt15iterator_traitsISJ_E10value_typeEPNSP_ISK_E10value_typeEPSL_NS1_7vsmem_tEENKUlT_SJ_SK_SL_E_clIPsSE_SF_SF_EESI_SY_SJ_SK_SL_EUlSY_E1_NS1_11comp_targetILNS1_3genE5ELNS1_11target_archE942ELNS1_3gpuE9ELNS1_3repE0EEENS1_36merge_oddeven_config_static_selectorELNS0_4arch9wavefront6targetE0EEEvSK_.has_recursion, 0
	.set _ZN7rocprim17ROCPRIM_400000_NS6detail17trampoline_kernelINS0_14default_configENS1_38merge_sort_block_merge_config_selectorIsNS0_10empty_typeEEEZZNS1_27merge_sort_block_merge_implIS3_N6thrust23THRUST_200600_302600_NS6detail15normal_iteratorINS9_10device_ptrIsEEEEPS5_m11less_div_10IsEEE10hipError_tT0_T1_T2_jT3_P12ihipStream_tbPNSt15iterator_traitsISJ_E10value_typeEPNSP_ISK_E10value_typeEPSL_NS1_7vsmem_tEENKUlT_SJ_SK_SL_E_clIPsSE_SF_SF_EESI_SY_SJ_SK_SL_EUlSY_E1_NS1_11comp_targetILNS1_3genE5ELNS1_11target_archE942ELNS1_3gpuE9ELNS1_3repE0EEENS1_36merge_oddeven_config_static_selectorELNS0_4arch9wavefront6targetE0EEEvSK_.has_indirect_call, 0
	.section	.AMDGPU.csdata,"",@progbits
; Kernel info:
; codeLenInByte = 0
; TotalNumSgprs: 0
; NumVgprs: 0
; ScratchSize: 0
; MemoryBound: 0
; FloatMode: 240
; IeeeMode: 1
; LDSByteSize: 0 bytes/workgroup (compile time only)
; SGPRBlocks: 0
; VGPRBlocks: 0
; NumSGPRsForWavesPerEU: 1
; NumVGPRsForWavesPerEU: 1
; Occupancy: 16
; WaveLimiterHint : 0
; COMPUTE_PGM_RSRC2:SCRATCH_EN: 0
; COMPUTE_PGM_RSRC2:USER_SGPR: 6
; COMPUTE_PGM_RSRC2:TRAP_HANDLER: 0
; COMPUTE_PGM_RSRC2:TGID_X_EN: 1
; COMPUTE_PGM_RSRC2:TGID_Y_EN: 0
; COMPUTE_PGM_RSRC2:TGID_Z_EN: 0
; COMPUTE_PGM_RSRC2:TIDIG_COMP_CNT: 0
	.section	.text._ZN7rocprim17ROCPRIM_400000_NS6detail17trampoline_kernelINS0_14default_configENS1_38merge_sort_block_merge_config_selectorIsNS0_10empty_typeEEEZZNS1_27merge_sort_block_merge_implIS3_N6thrust23THRUST_200600_302600_NS6detail15normal_iteratorINS9_10device_ptrIsEEEEPS5_m11less_div_10IsEEE10hipError_tT0_T1_T2_jT3_P12ihipStream_tbPNSt15iterator_traitsISJ_E10value_typeEPNSP_ISK_E10value_typeEPSL_NS1_7vsmem_tEENKUlT_SJ_SK_SL_E_clIPsSE_SF_SF_EESI_SY_SJ_SK_SL_EUlSY_E1_NS1_11comp_targetILNS1_3genE4ELNS1_11target_archE910ELNS1_3gpuE8ELNS1_3repE0EEENS1_36merge_oddeven_config_static_selectorELNS0_4arch9wavefront6targetE0EEEvSK_,"axG",@progbits,_ZN7rocprim17ROCPRIM_400000_NS6detail17trampoline_kernelINS0_14default_configENS1_38merge_sort_block_merge_config_selectorIsNS0_10empty_typeEEEZZNS1_27merge_sort_block_merge_implIS3_N6thrust23THRUST_200600_302600_NS6detail15normal_iteratorINS9_10device_ptrIsEEEEPS5_m11less_div_10IsEEE10hipError_tT0_T1_T2_jT3_P12ihipStream_tbPNSt15iterator_traitsISJ_E10value_typeEPNSP_ISK_E10value_typeEPSL_NS1_7vsmem_tEENKUlT_SJ_SK_SL_E_clIPsSE_SF_SF_EESI_SY_SJ_SK_SL_EUlSY_E1_NS1_11comp_targetILNS1_3genE4ELNS1_11target_archE910ELNS1_3gpuE8ELNS1_3repE0EEENS1_36merge_oddeven_config_static_selectorELNS0_4arch9wavefront6targetE0EEEvSK_,comdat
	.protected	_ZN7rocprim17ROCPRIM_400000_NS6detail17trampoline_kernelINS0_14default_configENS1_38merge_sort_block_merge_config_selectorIsNS0_10empty_typeEEEZZNS1_27merge_sort_block_merge_implIS3_N6thrust23THRUST_200600_302600_NS6detail15normal_iteratorINS9_10device_ptrIsEEEEPS5_m11less_div_10IsEEE10hipError_tT0_T1_T2_jT3_P12ihipStream_tbPNSt15iterator_traitsISJ_E10value_typeEPNSP_ISK_E10value_typeEPSL_NS1_7vsmem_tEENKUlT_SJ_SK_SL_E_clIPsSE_SF_SF_EESI_SY_SJ_SK_SL_EUlSY_E1_NS1_11comp_targetILNS1_3genE4ELNS1_11target_archE910ELNS1_3gpuE8ELNS1_3repE0EEENS1_36merge_oddeven_config_static_selectorELNS0_4arch9wavefront6targetE0EEEvSK_ ; -- Begin function _ZN7rocprim17ROCPRIM_400000_NS6detail17trampoline_kernelINS0_14default_configENS1_38merge_sort_block_merge_config_selectorIsNS0_10empty_typeEEEZZNS1_27merge_sort_block_merge_implIS3_N6thrust23THRUST_200600_302600_NS6detail15normal_iteratorINS9_10device_ptrIsEEEEPS5_m11less_div_10IsEEE10hipError_tT0_T1_T2_jT3_P12ihipStream_tbPNSt15iterator_traitsISJ_E10value_typeEPNSP_ISK_E10value_typeEPSL_NS1_7vsmem_tEENKUlT_SJ_SK_SL_E_clIPsSE_SF_SF_EESI_SY_SJ_SK_SL_EUlSY_E1_NS1_11comp_targetILNS1_3genE4ELNS1_11target_archE910ELNS1_3gpuE8ELNS1_3repE0EEENS1_36merge_oddeven_config_static_selectorELNS0_4arch9wavefront6targetE0EEEvSK_
	.globl	_ZN7rocprim17ROCPRIM_400000_NS6detail17trampoline_kernelINS0_14default_configENS1_38merge_sort_block_merge_config_selectorIsNS0_10empty_typeEEEZZNS1_27merge_sort_block_merge_implIS3_N6thrust23THRUST_200600_302600_NS6detail15normal_iteratorINS9_10device_ptrIsEEEEPS5_m11less_div_10IsEEE10hipError_tT0_T1_T2_jT3_P12ihipStream_tbPNSt15iterator_traitsISJ_E10value_typeEPNSP_ISK_E10value_typeEPSL_NS1_7vsmem_tEENKUlT_SJ_SK_SL_E_clIPsSE_SF_SF_EESI_SY_SJ_SK_SL_EUlSY_E1_NS1_11comp_targetILNS1_3genE4ELNS1_11target_archE910ELNS1_3gpuE8ELNS1_3repE0EEENS1_36merge_oddeven_config_static_selectorELNS0_4arch9wavefront6targetE0EEEvSK_
	.p2align	8
	.type	_ZN7rocprim17ROCPRIM_400000_NS6detail17trampoline_kernelINS0_14default_configENS1_38merge_sort_block_merge_config_selectorIsNS0_10empty_typeEEEZZNS1_27merge_sort_block_merge_implIS3_N6thrust23THRUST_200600_302600_NS6detail15normal_iteratorINS9_10device_ptrIsEEEEPS5_m11less_div_10IsEEE10hipError_tT0_T1_T2_jT3_P12ihipStream_tbPNSt15iterator_traitsISJ_E10value_typeEPNSP_ISK_E10value_typeEPSL_NS1_7vsmem_tEENKUlT_SJ_SK_SL_E_clIPsSE_SF_SF_EESI_SY_SJ_SK_SL_EUlSY_E1_NS1_11comp_targetILNS1_3genE4ELNS1_11target_archE910ELNS1_3gpuE8ELNS1_3repE0EEENS1_36merge_oddeven_config_static_selectorELNS0_4arch9wavefront6targetE0EEEvSK_,@function
_ZN7rocprim17ROCPRIM_400000_NS6detail17trampoline_kernelINS0_14default_configENS1_38merge_sort_block_merge_config_selectorIsNS0_10empty_typeEEEZZNS1_27merge_sort_block_merge_implIS3_N6thrust23THRUST_200600_302600_NS6detail15normal_iteratorINS9_10device_ptrIsEEEEPS5_m11less_div_10IsEEE10hipError_tT0_T1_T2_jT3_P12ihipStream_tbPNSt15iterator_traitsISJ_E10value_typeEPNSP_ISK_E10value_typeEPSL_NS1_7vsmem_tEENKUlT_SJ_SK_SL_E_clIPsSE_SF_SF_EESI_SY_SJ_SK_SL_EUlSY_E1_NS1_11comp_targetILNS1_3genE4ELNS1_11target_archE910ELNS1_3gpuE8ELNS1_3repE0EEENS1_36merge_oddeven_config_static_selectorELNS0_4arch9wavefront6targetE0EEEvSK_: ; @_ZN7rocprim17ROCPRIM_400000_NS6detail17trampoline_kernelINS0_14default_configENS1_38merge_sort_block_merge_config_selectorIsNS0_10empty_typeEEEZZNS1_27merge_sort_block_merge_implIS3_N6thrust23THRUST_200600_302600_NS6detail15normal_iteratorINS9_10device_ptrIsEEEEPS5_m11less_div_10IsEEE10hipError_tT0_T1_T2_jT3_P12ihipStream_tbPNSt15iterator_traitsISJ_E10value_typeEPNSP_ISK_E10value_typeEPSL_NS1_7vsmem_tEENKUlT_SJ_SK_SL_E_clIPsSE_SF_SF_EESI_SY_SJ_SK_SL_EUlSY_E1_NS1_11comp_targetILNS1_3genE4ELNS1_11target_archE910ELNS1_3gpuE8ELNS1_3repE0EEENS1_36merge_oddeven_config_static_selectorELNS0_4arch9wavefront6targetE0EEEvSK_
; %bb.0:
	.section	.rodata,"a",@progbits
	.p2align	6, 0x0
	.amdhsa_kernel _ZN7rocprim17ROCPRIM_400000_NS6detail17trampoline_kernelINS0_14default_configENS1_38merge_sort_block_merge_config_selectorIsNS0_10empty_typeEEEZZNS1_27merge_sort_block_merge_implIS3_N6thrust23THRUST_200600_302600_NS6detail15normal_iteratorINS9_10device_ptrIsEEEEPS5_m11less_div_10IsEEE10hipError_tT0_T1_T2_jT3_P12ihipStream_tbPNSt15iterator_traitsISJ_E10value_typeEPNSP_ISK_E10value_typeEPSL_NS1_7vsmem_tEENKUlT_SJ_SK_SL_E_clIPsSE_SF_SF_EESI_SY_SJ_SK_SL_EUlSY_E1_NS1_11comp_targetILNS1_3genE4ELNS1_11target_archE910ELNS1_3gpuE8ELNS1_3repE0EEENS1_36merge_oddeven_config_static_selectorELNS0_4arch9wavefront6targetE0EEEvSK_
		.amdhsa_group_segment_fixed_size 0
		.amdhsa_private_segment_fixed_size 0
		.amdhsa_kernarg_size 56
		.amdhsa_user_sgpr_count 6
		.amdhsa_user_sgpr_private_segment_buffer 1
		.amdhsa_user_sgpr_dispatch_ptr 0
		.amdhsa_user_sgpr_queue_ptr 0
		.amdhsa_user_sgpr_kernarg_segment_ptr 1
		.amdhsa_user_sgpr_dispatch_id 0
		.amdhsa_user_sgpr_flat_scratch_init 0
		.amdhsa_user_sgpr_private_segment_size 0
		.amdhsa_wavefront_size32 1
		.amdhsa_uses_dynamic_stack 0
		.amdhsa_system_sgpr_private_segment_wavefront_offset 0
		.amdhsa_system_sgpr_workgroup_id_x 1
		.amdhsa_system_sgpr_workgroup_id_y 0
		.amdhsa_system_sgpr_workgroup_id_z 0
		.amdhsa_system_sgpr_workgroup_info 0
		.amdhsa_system_vgpr_workitem_id 0
		.amdhsa_next_free_vgpr 1
		.amdhsa_next_free_sgpr 1
		.amdhsa_reserve_vcc 0
		.amdhsa_reserve_flat_scratch 0
		.amdhsa_float_round_mode_32 0
		.amdhsa_float_round_mode_16_64 0
		.amdhsa_float_denorm_mode_32 3
		.amdhsa_float_denorm_mode_16_64 3
		.amdhsa_dx10_clamp 1
		.amdhsa_ieee_mode 1
		.amdhsa_fp16_overflow 0
		.amdhsa_workgroup_processor_mode 1
		.amdhsa_memory_ordered 1
		.amdhsa_forward_progress 1
		.amdhsa_shared_vgpr_count 0
		.amdhsa_exception_fp_ieee_invalid_op 0
		.amdhsa_exception_fp_denorm_src 0
		.amdhsa_exception_fp_ieee_div_zero 0
		.amdhsa_exception_fp_ieee_overflow 0
		.amdhsa_exception_fp_ieee_underflow 0
		.amdhsa_exception_fp_ieee_inexact 0
		.amdhsa_exception_int_div_zero 0
	.end_amdhsa_kernel
	.section	.text._ZN7rocprim17ROCPRIM_400000_NS6detail17trampoline_kernelINS0_14default_configENS1_38merge_sort_block_merge_config_selectorIsNS0_10empty_typeEEEZZNS1_27merge_sort_block_merge_implIS3_N6thrust23THRUST_200600_302600_NS6detail15normal_iteratorINS9_10device_ptrIsEEEEPS5_m11less_div_10IsEEE10hipError_tT0_T1_T2_jT3_P12ihipStream_tbPNSt15iterator_traitsISJ_E10value_typeEPNSP_ISK_E10value_typeEPSL_NS1_7vsmem_tEENKUlT_SJ_SK_SL_E_clIPsSE_SF_SF_EESI_SY_SJ_SK_SL_EUlSY_E1_NS1_11comp_targetILNS1_3genE4ELNS1_11target_archE910ELNS1_3gpuE8ELNS1_3repE0EEENS1_36merge_oddeven_config_static_selectorELNS0_4arch9wavefront6targetE0EEEvSK_,"axG",@progbits,_ZN7rocprim17ROCPRIM_400000_NS6detail17trampoline_kernelINS0_14default_configENS1_38merge_sort_block_merge_config_selectorIsNS0_10empty_typeEEEZZNS1_27merge_sort_block_merge_implIS3_N6thrust23THRUST_200600_302600_NS6detail15normal_iteratorINS9_10device_ptrIsEEEEPS5_m11less_div_10IsEEE10hipError_tT0_T1_T2_jT3_P12ihipStream_tbPNSt15iterator_traitsISJ_E10value_typeEPNSP_ISK_E10value_typeEPSL_NS1_7vsmem_tEENKUlT_SJ_SK_SL_E_clIPsSE_SF_SF_EESI_SY_SJ_SK_SL_EUlSY_E1_NS1_11comp_targetILNS1_3genE4ELNS1_11target_archE910ELNS1_3gpuE8ELNS1_3repE0EEENS1_36merge_oddeven_config_static_selectorELNS0_4arch9wavefront6targetE0EEEvSK_,comdat
.Lfunc_end543:
	.size	_ZN7rocprim17ROCPRIM_400000_NS6detail17trampoline_kernelINS0_14default_configENS1_38merge_sort_block_merge_config_selectorIsNS0_10empty_typeEEEZZNS1_27merge_sort_block_merge_implIS3_N6thrust23THRUST_200600_302600_NS6detail15normal_iteratorINS9_10device_ptrIsEEEEPS5_m11less_div_10IsEEE10hipError_tT0_T1_T2_jT3_P12ihipStream_tbPNSt15iterator_traitsISJ_E10value_typeEPNSP_ISK_E10value_typeEPSL_NS1_7vsmem_tEENKUlT_SJ_SK_SL_E_clIPsSE_SF_SF_EESI_SY_SJ_SK_SL_EUlSY_E1_NS1_11comp_targetILNS1_3genE4ELNS1_11target_archE910ELNS1_3gpuE8ELNS1_3repE0EEENS1_36merge_oddeven_config_static_selectorELNS0_4arch9wavefront6targetE0EEEvSK_, .Lfunc_end543-_ZN7rocprim17ROCPRIM_400000_NS6detail17trampoline_kernelINS0_14default_configENS1_38merge_sort_block_merge_config_selectorIsNS0_10empty_typeEEEZZNS1_27merge_sort_block_merge_implIS3_N6thrust23THRUST_200600_302600_NS6detail15normal_iteratorINS9_10device_ptrIsEEEEPS5_m11less_div_10IsEEE10hipError_tT0_T1_T2_jT3_P12ihipStream_tbPNSt15iterator_traitsISJ_E10value_typeEPNSP_ISK_E10value_typeEPSL_NS1_7vsmem_tEENKUlT_SJ_SK_SL_E_clIPsSE_SF_SF_EESI_SY_SJ_SK_SL_EUlSY_E1_NS1_11comp_targetILNS1_3genE4ELNS1_11target_archE910ELNS1_3gpuE8ELNS1_3repE0EEENS1_36merge_oddeven_config_static_selectorELNS0_4arch9wavefront6targetE0EEEvSK_
                                        ; -- End function
	.set _ZN7rocprim17ROCPRIM_400000_NS6detail17trampoline_kernelINS0_14default_configENS1_38merge_sort_block_merge_config_selectorIsNS0_10empty_typeEEEZZNS1_27merge_sort_block_merge_implIS3_N6thrust23THRUST_200600_302600_NS6detail15normal_iteratorINS9_10device_ptrIsEEEEPS5_m11less_div_10IsEEE10hipError_tT0_T1_T2_jT3_P12ihipStream_tbPNSt15iterator_traitsISJ_E10value_typeEPNSP_ISK_E10value_typeEPSL_NS1_7vsmem_tEENKUlT_SJ_SK_SL_E_clIPsSE_SF_SF_EESI_SY_SJ_SK_SL_EUlSY_E1_NS1_11comp_targetILNS1_3genE4ELNS1_11target_archE910ELNS1_3gpuE8ELNS1_3repE0EEENS1_36merge_oddeven_config_static_selectorELNS0_4arch9wavefront6targetE0EEEvSK_.num_vgpr, 0
	.set _ZN7rocprim17ROCPRIM_400000_NS6detail17trampoline_kernelINS0_14default_configENS1_38merge_sort_block_merge_config_selectorIsNS0_10empty_typeEEEZZNS1_27merge_sort_block_merge_implIS3_N6thrust23THRUST_200600_302600_NS6detail15normal_iteratorINS9_10device_ptrIsEEEEPS5_m11less_div_10IsEEE10hipError_tT0_T1_T2_jT3_P12ihipStream_tbPNSt15iterator_traitsISJ_E10value_typeEPNSP_ISK_E10value_typeEPSL_NS1_7vsmem_tEENKUlT_SJ_SK_SL_E_clIPsSE_SF_SF_EESI_SY_SJ_SK_SL_EUlSY_E1_NS1_11comp_targetILNS1_3genE4ELNS1_11target_archE910ELNS1_3gpuE8ELNS1_3repE0EEENS1_36merge_oddeven_config_static_selectorELNS0_4arch9wavefront6targetE0EEEvSK_.num_agpr, 0
	.set _ZN7rocprim17ROCPRIM_400000_NS6detail17trampoline_kernelINS0_14default_configENS1_38merge_sort_block_merge_config_selectorIsNS0_10empty_typeEEEZZNS1_27merge_sort_block_merge_implIS3_N6thrust23THRUST_200600_302600_NS6detail15normal_iteratorINS9_10device_ptrIsEEEEPS5_m11less_div_10IsEEE10hipError_tT0_T1_T2_jT3_P12ihipStream_tbPNSt15iterator_traitsISJ_E10value_typeEPNSP_ISK_E10value_typeEPSL_NS1_7vsmem_tEENKUlT_SJ_SK_SL_E_clIPsSE_SF_SF_EESI_SY_SJ_SK_SL_EUlSY_E1_NS1_11comp_targetILNS1_3genE4ELNS1_11target_archE910ELNS1_3gpuE8ELNS1_3repE0EEENS1_36merge_oddeven_config_static_selectorELNS0_4arch9wavefront6targetE0EEEvSK_.numbered_sgpr, 0
	.set _ZN7rocprim17ROCPRIM_400000_NS6detail17trampoline_kernelINS0_14default_configENS1_38merge_sort_block_merge_config_selectorIsNS0_10empty_typeEEEZZNS1_27merge_sort_block_merge_implIS3_N6thrust23THRUST_200600_302600_NS6detail15normal_iteratorINS9_10device_ptrIsEEEEPS5_m11less_div_10IsEEE10hipError_tT0_T1_T2_jT3_P12ihipStream_tbPNSt15iterator_traitsISJ_E10value_typeEPNSP_ISK_E10value_typeEPSL_NS1_7vsmem_tEENKUlT_SJ_SK_SL_E_clIPsSE_SF_SF_EESI_SY_SJ_SK_SL_EUlSY_E1_NS1_11comp_targetILNS1_3genE4ELNS1_11target_archE910ELNS1_3gpuE8ELNS1_3repE0EEENS1_36merge_oddeven_config_static_selectorELNS0_4arch9wavefront6targetE0EEEvSK_.num_named_barrier, 0
	.set _ZN7rocprim17ROCPRIM_400000_NS6detail17trampoline_kernelINS0_14default_configENS1_38merge_sort_block_merge_config_selectorIsNS0_10empty_typeEEEZZNS1_27merge_sort_block_merge_implIS3_N6thrust23THRUST_200600_302600_NS6detail15normal_iteratorINS9_10device_ptrIsEEEEPS5_m11less_div_10IsEEE10hipError_tT0_T1_T2_jT3_P12ihipStream_tbPNSt15iterator_traitsISJ_E10value_typeEPNSP_ISK_E10value_typeEPSL_NS1_7vsmem_tEENKUlT_SJ_SK_SL_E_clIPsSE_SF_SF_EESI_SY_SJ_SK_SL_EUlSY_E1_NS1_11comp_targetILNS1_3genE4ELNS1_11target_archE910ELNS1_3gpuE8ELNS1_3repE0EEENS1_36merge_oddeven_config_static_selectorELNS0_4arch9wavefront6targetE0EEEvSK_.private_seg_size, 0
	.set _ZN7rocprim17ROCPRIM_400000_NS6detail17trampoline_kernelINS0_14default_configENS1_38merge_sort_block_merge_config_selectorIsNS0_10empty_typeEEEZZNS1_27merge_sort_block_merge_implIS3_N6thrust23THRUST_200600_302600_NS6detail15normal_iteratorINS9_10device_ptrIsEEEEPS5_m11less_div_10IsEEE10hipError_tT0_T1_T2_jT3_P12ihipStream_tbPNSt15iterator_traitsISJ_E10value_typeEPNSP_ISK_E10value_typeEPSL_NS1_7vsmem_tEENKUlT_SJ_SK_SL_E_clIPsSE_SF_SF_EESI_SY_SJ_SK_SL_EUlSY_E1_NS1_11comp_targetILNS1_3genE4ELNS1_11target_archE910ELNS1_3gpuE8ELNS1_3repE0EEENS1_36merge_oddeven_config_static_selectorELNS0_4arch9wavefront6targetE0EEEvSK_.uses_vcc, 0
	.set _ZN7rocprim17ROCPRIM_400000_NS6detail17trampoline_kernelINS0_14default_configENS1_38merge_sort_block_merge_config_selectorIsNS0_10empty_typeEEEZZNS1_27merge_sort_block_merge_implIS3_N6thrust23THRUST_200600_302600_NS6detail15normal_iteratorINS9_10device_ptrIsEEEEPS5_m11less_div_10IsEEE10hipError_tT0_T1_T2_jT3_P12ihipStream_tbPNSt15iterator_traitsISJ_E10value_typeEPNSP_ISK_E10value_typeEPSL_NS1_7vsmem_tEENKUlT_SJ_SK_SL_E_clIPsSE_SF_SF_EESI_SY_SJ_SK_SL_EUlSY_E1_NS1_11comp_targetILNS1_3genE4ELNS1_11target_archE910ELNS1_3gpuE8ELNS1_3repE0EEENS1_36merge_oddeven_config_static_selectorELNS0_4arch9wavefront6targetE0EEEvSK_.uses_flat_scratch, 0
	.set _ZN7rocprim17ROCPRIM_400000_NS6detail17trampoline_kernelINS0_14default_configENS1_38merge_sort_block_merge_config_selectorIsNS0_10empty_typeEEEZZNS1_27merge_sort_block_merge_implIS3_N6thrust23THRUST_200600_302600_NS6detail15normal_iteratorINS9_10device_ptrIsEEEEPS5_m11less_div_10IsEEE10hipError_tT0_T1_T2_jT3_P12ihipStream_tbPNSt15iterator_traitsISJ_E10value_typeEPNSP_ISK_E10value_typeEPSL_NS1_7vsmem_tEENKUlT_SJ_SK_SL_E_clIPsSE_SF_SF_EESI_SY_SJ_SK_SL_EUlSY_E1_NS1_11comp_targetILNS1_3genE4ELNS1_11target_archE910ELNS1_3gpuE8ELNS1_3repE0EEENS1_36merge_oddeven_config_static_selectorELNS0_4arch9wavefront6targetE0EEEvSK_.has_dyn_sized_stack, 0
	.set _ZN7rocprim17ROCPRIM_400000_NS6detail17trampoline_kernelINS0_14default_configENS1_38merge_sort_block_merge_config_selectorIsNS0_10empty_typeEEEZZNS1_27merge_sort_block_merge_implIS3_N6thrust23THRUST_200600_302600_NS6detail15normal_iteratorINS9_10device_ptrIsEEEEPS5_m11less_div_10IsEEE10hipError_tT0_T1_T2_jT3_P12ihipStream_tbPNSt15iterator_traitsISJ_E10value_typeEPNSP_ISK_E10value_typeEPSL_NS1_7vsmem_tEENKUlT_SJ_SK_SL_E_clIPsSE_SF_SF_EESI_SY_SJ_SK_SL_EUlSY_E1_NS1_11comp_targetILNS1_3genE4ELNS1_11target_archE910ELNS1_3gpuE8ELNS1_3repE0EEENS1_36merge_oddeven_config_static_selectorELNS0_4arch9wavefront6targetE0EEEvSK_.has_recursion, 0
	.set _ZN7rocprim17ROCPRIM_400000_NS6detail17trampoline_kernelINS0_14default_configENS1_38merge_sort_block_merge_config_selectorIsNS0_10empty_typeEEEZZNS1_27merge_sort_block_merge_implIS3_N6thrust23THRUST_200600_302600_NS6detail15normal_iteratorINS9_10device_ptrIsEEEEPS5_m11less_div_10IsEEE10hipError_tT0_T1_T2_jT3_P12ihipStream_tbPNSt15iterator_traitsISJ_E10value_typeEPNSP_ISK_E10value_typeEPSL_NS1_7vsmem_tEENKUlT_SJ_SK_SL_E_clIPsSE_SF_SF_EESI_SY_SJ_SK_SL_EUlSY_E1_NS1_11comp_targetILNS1_3genE4ELNS1_11target_archE910ELNS1_3gpuE8ELNS1_3repE0EEENS1_36merge_oddeven_config_static_selectorELNS0_4arch9wavefront6targetE0EEEvSK_.has_indirect_call, 0
	.section	.AMDGPU.csdata,"",@progbits
; Kernel info:
; codeLenInByte = 0
; TotalNumSgprs: 0
; NumVgprs: 0
; ScratchSize: 0
; MemoryBound: 0
; FloatMode: 240
; IeeeMode: 1
; LDSByteSize: 0 bytes/workgroup (compile time only)
; SGPRBlocks: 0
; VGPRBlocks: 0
; NumSGPRsForWavesPerEU: 1
; NumVGPRsForWavesPerEU: 1
; Occupancy: 16
; WaveLimiterHint : 0
; COMPUTE_PGM_RSRC2:SCRATCH_EN: 0
; COMPUTE_PGM_RSRC2:USER_SGPR: 6
; COMPUTE_PGM_RSRC2:TRAP_HANDLER: 0
; COMPUTE_PGM_RSRC2:TGID_X_EN: 1
; COMPUTE_PGM_RSRC2:TGID_Y_EN: 0
; COMPUTE_PGM_RSRC2:TGID_Z_EN: 0
; COMPUTE_PGM_RSRC2:TIDIG_COMP_CNT: 0
	.section	.text._ZN7rocprim17ROCPRIM_400000_NS6detail17trampoline_kernelINS0_14default_configENS1_38merge_sort_block_merge_config_selectorIsNS0_10empty_typeEEEZZNS1_27merge_sort_block_merge_implIS3_N6thrust23THRUST_200600_302600_NS6detail15normal_iteratorINS9_10device_ptrIsEEEEPS5_m11less_div_10IsEEE10hipError_tT0_T1_T2_jT3_P12ihipStream_tbPNSt15iterator_traitsISJ_E10value_typeEPNSP_ISK_E10value_typeEPSL_NS1_7vsmem_tEENKUlT_SJ_SK_SL_E_clIPsSE_SF_SF_EESI_SY_SJ_SK_SL_EUlSY_E1_NS1_11comp_targetILNS1_3genE3ELNS1_11target_archE908ELNS1_3gpuE7ELNS1_3repE0EEENS1_36merge_oddeven_config_static_selectorELNS0_4arch9wavefront6targetE0EEEvSK_,"axG",@progbits,_ZN7rocprim17ROCPRIM_400000_NS6detail17trampoline_kernelINS0_14default_configENS1_38merge_sort_block_merge_config_selectorIsNS0_10empty_typeEEEZZNS1_27merge_sort_block_merge_implIS3_N6thrust23THRUST_200600_302600_NS6detail15normal_iteratorINS9_10device_ptrIsEEEEPS5_m11less_div_10IsEEE10hipError_tT0_T1_T2_jT3_P12ihipStream_tbPNSt15iterator_traitsISJ_E10value_typeEPNSP_ISK_E10value_typeEPSL_NS1_7vsmem_tEENKUlT_SJ_SK_SL_E_clIPsSE_SF_SF_EESI_SY_SJ_SK_SL_EUlSY_E1_NS1_11comp_targetILNS1_3genE3ELNS1_11target_archE908ELNS1_3gpuE7ELNS1_3repE0EEENS1_36merge_oddeven_config_static_selectorELNS0_4arch9wavefront6targetE0EEEvSK_,comdat
	.protected	_ZN7rocprim17ROCPRIM_400000_NS6detail17trampoline_kernelINS0_14default_configENS1_38merge_sort_block_merge_config_selectorIsNS0_10empty_typeEEEZZNS1_27merge_sort_block_merge_implIS3_N6thrust23THRUST_200600_302600_NS6detail15normal_iteratorINS9_10device_ptrIsEEEEPS5_m11less_div_10IsEEE10hipError_tT0_T1_T2_jT3_P12ihipStream_tbPNSt15iterator_traitsISJ_E10value_typeEPNSP_ISK_E10value_typeEPSL_NS1_7vsmem_tEENKUlT_SJ_SK_SL_E_clIPsSE_SF_SF_EESI_SY_SJ_SK_SL_EUlSY_E1_NS1_11comp_targetILNS1_3genE3ELNS1_11target_archE908ELNS1_3gpuE7ELNS1_3repE0EEENS1_36merge_oddeven_config_static_selectorELNS0_4arch9wavefront6targetE0EEEvSK_ ; -- Begin function _ZN7rocprim17ROCPRIM_400000_NS6detail17trampoline_kernelINS0_14default_configENS1_38merge_sort_block_merge_config_selectorIsNS0_10empty_typeEEEZZNS1_27merge_sort_block_merge_implIS3_N6thrust23THRUST_200600_302600_NS6detail15normal_iteratorINS9_10device_ptrIsEEEEPS5_m11less_div_10IsEEE10hipError_tT0_T1_T2_jT3_P12ihipStream_tbPNSt15iterator_traitsISJ_E10value_typeEPNSP_ISK_E10value_typeEPSL_NS1_7vsmem_tEENKUlT_SJ_SK_SL_E_clIPsSE_SF_SF_EESI_SY_SJ_SK_SL_EUlSY_E1_NS1_11comp_targetILNS1_3genE3ELNS1_11target_archE908ELNS1_3gpuE7ELNS1_3repE0EEENS1_36merge_oddeven_config_static_selectorELNS0_4arch9wavefront6targetE0EEEvSK_
	.globl	_ZN7rocprim17ROCPRIM_400000_NS6detail17trampoline_kernelINS0_14default_configENS1_38merge_sort_block_merge_config_selectorIsNS0_10empty_typeEEEZZNS1_27merge_sort_block_merge_implIS3_N6thrust23THRUST_200600_302600_NS6detail15normal_iteratorINS9_10device_ptrIsEEEEPS5_m11less_div_10IsEEE10hipError_tT0_T1_T2_jT3_P12ihipStream_tbPNSt15iterator_traitsISJ_E10value_typeEPNSP_ISK_E10value_typeEPSL_NS1_7vsmem_tEENKUlT_SJ_SK_SL_E_clIPsSE_SF_SF_EESI_SY_SJ_SK_SL_EUlSY_E1_NS1_11comp_targetILNS1_3genE3ELNS1_11target_archE908ELNS1_3gpuE7ELNS1_3repE0EEENS1_36merge_oddeven_config_static_selectorELNS0_4arch9wavefront6targetE0EEEvSK_
	.p2align	8
	.type	_ZN7rocprim17ROCPRIM_400000_NS6detail17trampoline_kernelINS0_14default_configENS1_38merge_sort_block_merge_config_selectorIsNS0_10empty_typeEEEZZNS1_27merge_sort_block_merge_implIS3_N6thrust23THRUST_200600_302600_NS6detail15normal_iteratorINS9_10device_ptrIsEEEEPS5_m11less_div_10IsEEE10hipError_tT0_T1_T2_jT3_P12ihipStream_tbPNSt15iterator_traitsISJ_E10value_typeEPNSP_ISK_E10value_typeEPSL_NS1_7vsmem_tEENKUlT_SJ_SK_SL_E_clIPsSE_SF_SF_EESI_SY_SJ_SK_SL_EUlSY_E1_NS1_11comp_targetILNS1_3genE3ELNS1_11target_archE908ELNS1_3gpuE7ELNS1_3repE0EEENS1_36merge_oddeven_config_static_selectorELNS0_4arch9wavefront6targetE0EEEvSK_,@function
_ZN7rocprim17ROCPRIM_400000_NS6detail17trampoline_kernelINS0_14default_configENS1_38merge_sort_block_merge_config_selectorIsNS0_10empty_typeEEEZZNS1_27merge_sort_block_merge_implIS3_N6thrust23THRUST_200600_302600_NS6detail15normal_iteratorINS9_10device_ptrIsEEEEPS5_m11less_div_10IsEEE10hipError_tT0_T1_T2_jT3_P12ihipStream_tbPNSt15iterator_traitsISJ_E10value_typeEPNSP_ISK_E10value_typeEPSL_NS1_7vsmem_tEENKUlT_SJ_SK_SL_E_clIPsSE_SF_SF_EESI_SY_SJ_SK_SL_EUlSY_E1_NS1_11comp_targetILNS1_3genE3ELNS1_11target_archE908ELNS1_3gpuE7ELNS1_3repE0EEENS1_36merge_oddeven_config_static_selectorELNS0_4arch9wavefront6targetE0EEEvSK_: ; @_ZN7rocprim17ROCPRIM_400000_NS6detail17trampoline_kernelINS0_14default_configENS1_38merge_sort_block_merge_config_selectorIsNS0_10empty_typeEEEZZNS1_27merge_sort_block_merge_implIS3_N6thrust23THRUST_200600_302600_NS6detail15normal_iteratorINS9_10device_ptrIsEEEEPS5_m11less_div_10IsEEE10hipError_tT0_T1_T2_jT3_P12ihipStream_tbPNSt15iterator_traitsISJ_E10value_typeEPNSP_ISK_E10value_typeEPSL_NS1_7vsmem_tEENKUlT_SJ_SK_SL_E_clIPsSE_SF_SF_EESI_SY_SJ_SK_SL_EUlSY_E1_NS1_11comp_targetILNS1_3genE3ELNS1_11target_archE908ELNS1_3gpuE7ELNS1_3repE0EEENS1_36merge_oddeven_config_static_selectorELNS0_4arch9wavefront6targetE0EEEvSK_
; %bb.0:
	.section	.rodata,"a",@progbits
	.p2align	6, 0x0
	.amdhsa_kernel _ZN7rocprim17ROCPRIM_400000_NS6detail17trampoline_kernelINS0_14default_configENS1_38merge_sort_block_merge_config_selectorIsNS0_10empty_typeEEEZZNS1_27merge_sort_block_merge_implIS3_N6thrust23THRUST_200600_302600_NS6detail15normal_iteratorINS9_10device_ptrIsEEEEPS5_m11less_div_10IsEEE10hipError_tT0_T1_T2_jT3_P12ihipStream_tbPNSt15iterator_traitsISJ_E10value_typeEPNSP_ISK_E10value_typeEPSL_NS1_7vsmem_tEENKUlT_SJ_SK_SL_E_clIPsSE_SF_SF_EESI_SY_SJ_SK_SL_EUlSY_E1_NS1_11comp_targetILNS1_3genE3ELNS1_11target_archE908ELNS1_3gpuE7ELNS1_3repE0EEENS1_36merge_oddeven_config_static_selectorELNS0_4arch9wavefront6targetE0EEEvSK_
		.amdhsa_group_segment_fixed_size 0
		.amdhsa_private_segment_fixed_size 0
		.amdhsa_kernarg_size 56
		.amdhsa_user_sgpr_count 6
		.amdhsa_user_sgpr_private_segment_buffer 1
		.amdhsa_user_sgpr_dispatch_ptr 0
		.amdhsa_user_sgpr_queue_ptr 0
		.amdhsa_user_sgpr_kernarg_segment_ptr 1
		.amdhsa_user_sgpr_dispatch_id 0
		.amdhsa_user_sgpr_flat_scratch_init 0
		.amdhsa_user_sgpr_private_segment_size 0
		.amdhsa_wavefront_size32 1
		.amdhsa_uses_dynamic_stack 0
		.amdhsa_system_sgpr_private_segment_wavefront_offset 0
		.amdhsa_system_sgpr_workgroup_id_x 1
		.amdhsa_system_sgpr_workgroup_id_y 0
		.amdhsa_system_sgpr_workgroup_id_z 0
		.amdhsa_system_sgpr_workgroup_info 0
		.amdhsa_system_vgpr_workitem_id 0
		.amdhsa_next_free_vgpr 1
		.amdhsa_next_free_sgpr 1
		.amdhsa_reserve_vcc 0
		.amdhsa_reserve_flat_scratch 0
		.amdhsa_float_round_mode_32 0
		.amdhsa_float_round_mode_16_64 0
		.amdhsa_float_denorm_mode_32 3
		.amdhsa_float_denorm_mode_16_64 3
		.amdhsa_dx10_clamp 1
		.amdhsa_ieee_mode 1
		.amdhsa_fp16_overflow 0
		.amdhsa_workgroup_processor_mode 1
		.amdhsa_memory_ordered 1
		.amdhsa_forward_progress 1
		.amdhsa_shared_vgpr_count 0
		.amdhsa_exception_fp_ieee_invalid_op 0
		.amdhsa_exception_fp_denorm_src 0
		.amdhsa_exception_fp_ieee_div_zero 0
		.amdhsa_exception_fp_ieee_overflow 0
		.amdhsa_exception_fp_ieee_underflow 0
		.amdhsa_exception_fp_ieee_inexact 0
		.amdhsa_exception_int_div_zero 0
	.end_amdhsa_kernel
	.section	.text._ZN7rocprim17ROCPRIM_400000_NS6detail17trampoline_kernelINS0_14default_configENS1_38merge_sort_block_merge_config_selectorIsNS0_10empty_typeEEEZZNS1_27merge_sort_block_merge_implIS3_N6thrust23THRUST_200600_302600_NS6detail15normal_iteratorINS9_10device_ptrIsEEEEPS5_m11less_div_10IsEEE10hipError_tT0_T1_T2_jT3_P12ihipStream_tbPNSt15iterator_traitsISJ_E10value_typeEPNSP_ISK_E10value_typeEPSL_NS1_7vsmem_tEENKUlT_SJ_SK_SL_E_clIPsSE_SF_SF_EESI_SY_SJ_SK_SL_EUlSY_E1_NS1_11comp_targetILNS1_3genE3ELNS1_11target_archE908ELNS1_3gpuE7ELNS1_3repE0EEENS1_36merge_oddeven_config_static_selectorELNS0_4arch9wavefront6targetE0EEEvSK_,"axG",@progbits,_ZN7rocprim17ROCPRIM_400000_NS6detail17trampoline_kernelINS0_14default_configENS1_38merge_sort_block_merge_config_selectorIsNS0_10empty_typeEEEZZNS1_27merge_sort_block_merge_implIS3_N6thrust23THRUST_200600_302600_NS6detail15normal_iteratorINS9_10device_ptrIsEEEEPS5_m11less_div_10IsEEE10hipError_tT0_T1_T2_jT3_P12ihipStream_tbPNSt15iterator_traitsISJ_E10value_typeEPNSP_ISK_E10value_typeEPSL_NS1_7vsmem_tEENKUlT_SJ_SK_SL_E_clIPsSE_SF_SF_EESI_SY_SJ_SK_SL_EUlSY_E1_NS1_11comp_targetILNS1_3genE3ELNS1_11target_archE908ELNS1_3gpuE7ELNS1_3repE0EEENS1_36merge_oddeven_config_static_selectorELNS0_4arch9wavefront6targetE0EEEvSK_,comdat
.Lfunc_end544:
	.size	_ZN7rocprim17ROCPRIM_400000_NS6detail17trampoline_kernelINS0_14default_configENS1_38merge_sort_block_merge_config_selectorIsNS0_10empty_typeEEEZZNS1_27merge_sort_block_merge_implIS3_N6thrust23THRUST_200600_302600_NS6detail15normal_iteratorINS9_10device_ptrIsEEEEPS5_m11less_div_10IsEEE10hipError_tT0_T1_T2_jT3_P12ihipStream_tbPNSt15iterator_traitsISJ_E10value_typeEPNSP_ISK_E10value_typeEPSL_NS1_7vsmem_tEENKUlT_SJ_SK_SL_E_clIPsSE_SF_SF_EESI_SY_SJ_SK_SL_EUlSY_E1_NS1_11comp_targetILNS1_3genE3ELNS1_11target_archE908ELNS1_3gpuE7ELNS1_3repE0EEENS1_36merge_oddeven_config_static_selectorELNS0_4arch9wavefront6targetE0EEEvSK_, .Lfunc_end544-_ZN7rocprim17ROCPRIM_400000_NS6detail17trampoline_kernelINS0_14default_configENS1_38merge_sort_block_merge_config_selectorIsNS0_10empty_typeEEEZZNS1_27merge_sort_block_merge_implIS3_N6thrust23THRUST_200600_302600_NS6detail15normal_iteratorINS9_10device_ptrIsEEEEPS5_m11less_div_10IsEEE10hipError_tT0_T1_T2_jT3_P12ihipStream_tbPNSt15iterator_traitsISJ_E10value_typeEPNSP_ISK_E10value_typeEPSL_NS1_7vsmem_tEENKUlT_SJ_SK_SL_E_clIPsSE_SF_SF_EESI_SY_SJ_SK_SL_EUlSY_E1_NS1_11comp_targetILNS1_3genE3ELNS1_11target_archE908ELNS1_3gpuE7ELNS1_3repE0EEENS1_36merge_oddeven_config_static_selectorELNS0_4arch9wavefront6targetE0EEEvSK_
                                        ; -- End function
	.set _ZN7rocprim17ROCPRIM_400000_NS6detail17trampoline_kernelINS0_14default_configENS1_38merge_sort_block_merge_config_selectorIsNS0_10empty_typeEEEZZNS1_27merge_sort_block_merge_implIS3_N6thrust23THRUST_200600_302600_NS6detail15normal_iteratorINS9_10device_ptrIsEEEEPS5_m11less_div_10IsEEE10hipError_tT0_T1_T2_jT3_P12ihipStream_tbPNSt15iterator_traitsISJ_E10value_typeEPNSP_ISK_E10value_typeEPSL_NS1_7vsmem_tEENKUlT_SJ_SK_SL_E_clIPsSE_SF_SF_EESI_SY_SJ_SK_SL_EUlSY_E1_NS1_11comp_targetILNS1_3genE3ELNS1_11target_archE908ELNS1_3gpuE7ELNS1_3repE0EEENS1_36merge_oddeven_config_static_selectorELNS0_4arch9wavefront6targetE0EEEvSK_.num_vgpr, 0
	.set _ZN7rocprim17ROCPRIM_400000_NS6detail17trampoline_kernelINS0_14default_configENS1_38merge_sort_block_merge_config_selectorIsNS0_10empty_typeEEEZZNS1_27merge_sort_block_merge_implIS3_N6thrust23THRUST_200600_302600_NS6detail15normal_iteratorINS9_10device_ptrIsEEEEPS5_m11less_div_10IsEEE10hipError_tT0_T1_T2_jT3_P12ihipStream_tbPNSt15iterator_traitsISJ_E10value_typeEPNSP_ISK_E10value_typeEPSL_NS1_7vsmem_tEENKUlT_SJ_SK_SL_E_clIPsSE_SF_SF_EESI_SY_SJ_SK_SL_EUlSY_E1_NS1_11comp_targetILNS1_3genE3ELNS1_11target_archE908ELNS1_3gpuE7ELNS1_3repE0EEENS1_36merge_oddeven_config_static_selectorELNS0_4arch9wavefront6targetE0EEEvSK_.num_agpr, 0
	.set _ZN7rocprim17ROCPRIM_400000_NS6detail17trampoline_kernelINS0_14default_configENS1_38merge_sort_block_merge_config_selectorIsNS0_10empty_typeEEEZZNS1_27merge_sort_block_merge_implIS3_N6thrust23THRUST_200600_302600_NS6detail15normal_iteratorINS9_10device_ptrIsEEEEPS5_m11less_div_10IsEEE10hipError_tT0_T1_T2_jT3_P12ihipStream_tbPNSt15iterator_traitsISJ_E10value_typeEPNSP_ISK_E10value_typeEPSL_NS1_7vsmem_tEENKUlT_SJ_SK_SL_E_clIPsSE_SF_SF_EESI_SY_SJ_SK_SL_EUlSY_E1_NS1_11comp_targetILNS1_3genE3ELNS1_11target_archE908ELNS1_3gpuE7ELNS1_3repE0EEENS1_36merge_oddeven_config_static_selectorELNS0_4arch9wavefront6targetE0EEEvSK_.numbered_sgpr, 0
	.set _ZN7rocprim17ROCPRIM_400000_NS6detail17trampoline_kernelINS0_14default_configENS1_38merge_sort_block_merge_config_selectorIsNS0_10empty_typeEEEZZNS1_27merge_sort_block_merge_implIS3_N6thrust23THRUST_200600_302600_NS6detail15normal_iteratorINS9_10device_ptrIsEEEEPS5_m11less_div_10IsEEE10hipError_tT0_T1_T2_jT3_P12ihipStream_tbPNSt15iterator_traitsISJ_E10value_typeEPNSP_ISK_E10value_typeEPSL_NS1_7vsmem_tEENKUlT_SJ_SK_SL_E_clIPsSE_SF_SF_EESI_SY_SJ_SK_SL_EUlSY_E1_NS1_11comp_targetILNS1_3genE3ELNS1_11target_archE908ELNS1_3gpuE7ELNS1_3repE0EEENS1_36merge_oddeven_config_static_selectorELNS0_4arch9wavefront6targetE0EEEvSK_.num_named_barrier, 0
	.set _ZN7rocprim17ROCPRIM_400000_NS6detail17trampoline_kernelINS0_14default_configENS1_38merge_sort_block_merge_config_selectorIsNS0_10empty_typeEEEZZNS1_27merge_sort_block_merge_implIS3_N6thrust23THRUST_200600_302600_NS6detail15normal_iteratorINS9_10device_ptrIsEEEEPS5_m11less_div_10IsEEE10hipError_tT0_T1_T2_jT3_P12ihipStream_tbPNSt15iterator_traitsISJ_E10value_typeEPNSP_ISK_E10value_typeEPSL_NS1_7vsmem_tEENKUlT_SJ_SK_SL_E_clIPsSE_SF_SF_EESI_SY_SJ_SK_SL_EUlSY_E1_NS1_11comp_targetILNS1_3genE3ELNS1_11target_archE908ELNS1_3gpuE7ELNS1_3repE0EEENS1_36merge_oddeven_config_static_selectorELNS0_4arch9wavefront6targetE0EEEvSK_.private_seg_size, 0
	.set _ZN7rocprim17ROCPRIM_400000_NS6detail17trampoline_kernelINS0_14default_configENS1_38merge_sort_block_merge_config_selectorIsNS0_10empty_typeEEEZZNS1_27merge_sort_block_merge_implIS3_N6thrust23THRUST_200600_302600_NS6detail15normal_iteratorINS9_10device_ptrIsEEEEPS5_m11less_div_10IsEEE10hipError_tT0_T1_T2_jT3_P12ihipStream_tbPNSt15iterator_traitsISJ_E10value_typeEPNSP_ISK_E10value_typeEPSL_NS1_7vsmem_tEENKUlT_SJ_SK_SL_E_clIPsSE_SF_SF_EESI_SY_SJ_SK_SL_EUlSY_E1_NS1_11comp_targetILNS1_3genE3ELNS1_11target_archE908ELNS1_3gpuE7ELNS1_3repE0EEENS1_36merge_oddeven_config_static_selectorELNS0_4arch9wavefront6targetE0EEEvSK_.uses_vcc, 0
	.set _ZN7rocprim17ROCPRIM_400000_NS6detail17trampoline_kernelINS0_14default_configENS1_38merge_sort_block_merge_config_selectorIsNS0_10empty_typeEEEZZNS1_27merge_sort_block_merge_implIS3_N6thrust23THRUST_200600_302600_NS6detail15normal_iteratorINS9_10device_ptrIsEEEEPS5_m11less_div_10IsEEE10hipError_tT0_T1_T2_jT3_P12ihipStream_tbPNSt15iterator_traitsISJ_E10value_typeEPNSP_ISK_E10value_typeEPSL_NS1_7vsmem_tEENKUlT_SJ_SK_SL_E_clIPsSE_SF_SF_EESI_SY_SJ_SK_SL_EUlSY_E1_NS1_11comp_targetILNS1_3genE3ELNS1_11target_archE908ELNS1_3gpuE7ELNS1_3repE0EEENS1_36merge_oddeven_config_static_selectorELNS0_4arch9wavefront6targetE0EEEvSK_.uses_flat_scratch, 0
	.set _ZN7rocprim17ROCPRIM_400000_NS6detail17trampoline_kernelINS0_14default_configENS1_38merge_sort_block_merge_config_selectorIsNS0_10empty_typeEEEZZNS1_27merge_sort_block_merge_implIS3_N6thrust23THRUST_200600_302600_NS6detail15normal_iteratorINS9_10device_ptrIsEEEEPS5_m11less_div_10IsEEE10hipError_tT0_T1_T2_jT3_P12ihipStream_tbPNSt15iterator_traitsISJ_E10value_typeEPNSP_ISK_E10value_typeEPSL_NS1_7vsmem_tEENKUlT_SJ_SK_SL_E_clIPsSE_SF_SF_EESI_SY_SJ_SK_SL_EUlSY_E1_NS1_11comp_targetILNS1_3genE3ELNS1_11target_archE908ELNS1_3gpuE7ELNS1_3repE0EEENS1_36merge_oddeven_config_static_selectorELNS0_4arch9wavefront6targetE0EEEvSK_.has_dyn_sized_stack, 0
	.set _ZN7rocprim17ROCPRIM_400000_NS6detail17trampoline_kernelINS0_14default_configENS1_38merge_sort_block_merge_config_selectorIsNS0_10empty_typeEEEZZNS1_27merge_sort_block_merge_implIS3_N6thrust23THRUST_200600_302600_NS6detail15normal_iteratorINS9_10device_ptrIsEEEEPS5_m11less_div_10IsEEE10hipError_tT0_T1_T2_jT3_P12ihipStream_tbPNSt15iterator_traitsISJ_E10value_typeEPNSP_ISK_E10value_typeEPSL_NS1_7vsmem_tEENKUlT_SJ_SK_SL_E_clIPsSE_SF_SF_EESI_SY_SJ_SK_SL_EUlSY_E1_NS1_11comp_targetILNS1_3genE3ELNS1_11target_archE908ELNS1_3gpuE7ELNS1_3repE0EEENS1_36merge_oddeven_config_static_selectorELNS0_4arch9wavefront6targetE0EEEvSK_.has_recursion, 0
	.set _ZN7rocprim17ROCPRIM_400000_NS6detail17trampoline_kernelINS0_14default_configENS1_38merge_sort_block_merge_config_selectorIsNS0_10empty_typeEEEZZNS1_27merge_sort_block_merge_implIS3_N6thrust23THRUST_200600_302600_NS6detail15normal_iteratorINS9_10device_ptrIsEEEEPS5_m11less_div_10IsEEE10hipError_tT0_T1_T2_jT3_P12ihipStream_tbPNSt15iterator_traitsISJ_E10value_typeEPNSP_ISK_E10value_typeEPSL_NS1_7vsmem_tEENKUlT_SJ_SK_SL_E_clIPsSE_SF_SF_EESI_SY_SJ_SK_SL_EUlSY_E1_NS1_11comp_targetILNS1_3genE3ELNS1_11target_archE908ELNS1_3gpuE7ELNS1_3repE0EEENS1_36merge_oddeven_config_static_selectorELNS0_4arch9wavefront6targetE0EEEvSK_.has_indirect_call, 0
	.section	.AMDGPU.csdata,"",@progbits
; Kernel info:
; codeLenInByte = 0
; TotalNumSgprs: 0
; NumVgprs: 0
; ScratchSize: 0
; MemoryBound: 0
; FloatMode: 240
; IeeeMode: 1
; LDSByteSize: 0 bytes/workgroup (compile time only)
; SGPRBlocks: 0
; VGPRBlocks: 0
; NumSGPRsForWavesPerEU: 1
; NumVGPRsForWavesPerEU: 1
; Occupancy: 16
; WaveLimiterHint : 0
; COMPUTE_PGM_RSRC2:SCRATCH_EN: 0
; COMPUTE_PGM_RSRC2:USER_SGPR: 6
; COMPUTE_PGM_RSRC2:TRAP_HANDLER: 0
; COMPUTE_PGM_RSRC2:TGID_X_EN: 1
; COMPUTE_PGM_RSRC2:TGID_Y_EN: 0
; COMPUTE_PGM_RSRC2:TGID_Z_EN: 0
; COMPUTE_PGM_RSRC2:TIDIG_COMP_CNT: 0
	.section	.text._ZN7rocprim17ROCPRIM_400000_NS6detail17trampoline_kernelINS0_14default_configENS1_38merge_sort_block_merge_config_selectorIsNS0_10empty_typeEEEZZNS1_27merge_sort_block_merge_implIS3_N6thrust23THRUST_200600_302600_NS6detail15normal_iteratorINS9_10device_ptrIsEEEEPS5_m11less_div_10IsEEE10hipError_tT0_T1_T2_jT3_P12ihipStream_tbPNSt15iterator_traitsISJ_E10value_typeEPNSP_ISK_E10value_typeEPSL_NS1_7vsmem_tEENKUlT_SJ_SK_SL_E_clIPsSE_SF_SF_EESI_SY_SJ_SK_SL_EUlSY_E1_NS1_11comp_targetILNS1_3genE2ELNS1_11target_archE906ELNS1_3gpuE6ELNS1_3repE0EEENS1_36merge_oddeven_config_static_selectorELNS0_4arch9wavefront6targetE0EEEvSK_,"axG",@progbits,_ZN7rocprim17ROCPRIM_400000_NS6detail17trampoline_kernelINS0_14default_configENS1_38merge_sort_block_merge_config_selectorIsNS0_10empty_typeEEEZZNS1_27merge_sort_block_merge_implIS3_N6thrust23THRUST_200600_302600_NS6detail15normal_iteratorINS9_10device_ptrIsEEEEPS5_m11less_div_10IsEEE10hipError_tT0_T1_T2_jT3_P12ihipStream_tbPNSt15iterator_traitsISJ_E10value_typeEPNSP_ISK_E10value_typeEPSL_NS1_7vsmem_tEENKUlT_SJ_SK_SL_E_clIPsSE_SF_SF_EESI_SY_SJ_SK_SL_EUlSY_E1_NS1_11comp_targetILNS1_3genE2ELNS1_11target_archE906ELNS1_3gpuE6ELNS1_3repE0EEENS1_36merge_oddeven_config_static_selectorELNS0_4arch9wavefront6targetE0EEEvSK_,comdat
	.protected	_ZN7rocprim17ROCPRIM_400000_NS6detail17trampoline_kernelINS0_14default_configENS1_38merge_sort_block_merge_config_selectorIsNS0_10empty_typeEEEZZNS1_27merge_sort_block_merge_implIS3_N6thrust23THRUST_200600_302600_NS6detail15normal_iteratorINS9_10device_ptrIsEEEEPS5_m11less_div_10IsEEE10hipError_tT0_T1_T2_jT3_P12ihipStream_tbPNSt15iterator_traitsISJ_E10value_typeEPNSP_ISK_E10value_typeEPSL_NS1_7vsmem_tEENKUlT_SJ_SK_SL_E_clIPsSE_SF_SF_EESI_SY_SJ_SK_SL_EUlSY_E1_NS1_11comp_targetILNS1_3genE2ELNS1_11target_archE906ELNS1_3gpuE6ELNS1_3repE0EEENS1_36merge_oddeven_config_static_selectorELNS0_4arch9wavefront6targetE0EEEvSK_ ; -- Begin function _ZN7rocprim17ROCPRIM_400000_NS6detail17trampoline_kernelINS0_14default_configENS1_38merge_sort_block_merge_config_selectorIsNS0_10empty_typeEEEZZNS1_27merge_sort_block_merge_implIS3_N6thrust23THRUST_200600_302600_NS6detail15normal_iteratorINS9_10device_ptrIsEEEEPS5_m11less_div_10IsEEE10hipError_tT0_T1_T2_jT3_P12ihipStream_tbPNSt15iterator_traitsISJ_E10value_typeEPNSP_ISK_E10value_typeEPSL_NS1_7vsmem_tEENKUlT_SJ_SK_SL_E_clIPsSE_SF_SF_EESI_SY_SJ_SK_SL_EUlSY_E1_NS1_11comp_targetILNS1_3genE2ELNS1_11target_archE906ELNS1_3gpuE6ELNS1_3repE0EEENS1_36merge_oddeven_config_static_selectorELNS0_4arch9wavefront6targetE0EEEvSK_
	.globl	_ZN7rocprim17ROCPRIM_400000_NS6detail17trampoline_kernelINS0_14default_configENS1_38merge_sort_block_merge_config_selectorIsNS0_10empty_typeEEEZZNS1_27merge_sort_block_merge_implIS3_N6thrust23THRUST_200600_302600_NS6detail15normal_iteratorINS9_10device_ptrIsEEEEPS5_m11less_div_10IsEEE10hipError_tT0_T1_T2_jT3_P12ihipStream_tbPNSt15iterator_traitsISJ_E10value_typeEPNSP_ISK_E10value_typeEPSL_NS1_7vsmem_tEENKUlT_SJ_SK_SL_E_clIPsSE_SF_SF_EESI_SY_SJ_SK_SL_EUlSY_E1_NS1_11comp_targetILNS1_3genE2ELNS1_11target_archE906ELNS1_3gpuE6ELNS1_3repE0EEENS1_36merge_oddeven_config_static_selectorELNS0_4arch9wavefront6targetE0EEEvSK_
	.p2align	8
	.type	_ZN7rocprim17ROCPRIM_400000_NS6detail17trampoline_kernelINS0_14default_configENS1_38merge_sort_block_merge_config_selectorIsNS0_10empty_typeEEEZZNS1_27merge_sort_block_merge_implIS3_N6thrust23THRUST_200600_302600_NS6detail15normal_iteratorINS9_10device_ptrIsEEEEPS5_m11less_div_10IsEEE10hipError_tT0_T1_T2_jT3_P12ihipStream_tbPNSt15iterator_traitsISJ_E10value_typeEPNSP_ISK_E10value_typeEPSL_NS1_7vsmem_tEENKUlT_SJ_SK_SL_E_clIPsSE_SF_SF_EESI_SY_SJ_SK_SL_EUlSY_E1_NS1_11comp_targetILNS1_3genE2ELNS1_11target_archE906ELNS1_3gpuE6ELNS1_3repE0EEENS1_36merge_oddeven_config_static_selectorELNS0_4arch9wavefront6targetE0EEEvSK_,@function
_ZN7rocprim17ROCPRIM_400000_NS6detail17trampoline_kernelINS0_14default_configENS1_38merge_sort_block_merge_config_selectorIsNS0_10empty_typeEEEZZNS1_27merge_sort_block_merge_implIS3_N6thrust23THRUST_200600_302600_NS6detail15normal_iteratorINS9_10device_ptrIsEEEEPS5_m11less_div_10IsEEE10hipError_tT0_T1_T2_jT3_P12ihipStream_tbPNSt15iterator_traitsISJ_E10value_typeEPNSP_ISK_E10value_typeEPSL_NS1_7vsmem_tEENKUlT_SJ_SK_SL_E_clIPsSE_SF_SF_EESI_SY_SJ_SK_SL_EUlSY_E1_NS1_11comp_targetILNS1_3genE2ELNS1_11target_archE906ELNS1_3gpuE6ELNS1_3repE0EEENS1_36merge_oddeven_config_static_selectorELNS0_4arch9wavefront6targetE0EEEvSK_: ; @_ZN7rocprim17ROCPRIM_400000_NS6detail17trampoline_kernelINS0_14default_configENS1_38merge_sort_block_merge_config_selectorIsNS0_10empty_typeEEEZZNS1_27merge_sort_block_merge_implIS3_N6thrust23THRUST_200600_302600_NS6detail15normal_iteratorINS9_10device_ptrIsEEEEPS5_m11less_div_10IsEEE10hipError_tT0_T1_T2_jT3_P12ihipStream_tbPNSt15iterator_traitsISJ_E10value_typeEPNSP_ISK_E10value_typeEPSL_NS1_7vsmem_tEENKUlT_SJ_SK_SL_E_clIPsSE_SF_SF_EESI_SY_SJ_SK_SL_EUlSY_E1_NS1_11comp_targetILNS1_3genE2ELNS1_11target_archE906ELNS1_3gpuE6ELNS1_3repE0EEENS1_36merge_oddeven_config_static_selectorELNS0_4arch9wavefront6targetE0EEEvSK_
; %bb.0:
	.section	.rodata,"a",@progbits
	.p2align	6, 0x0
	.amdhsa_kernel _ZN7rocprim17ROCPRIM_400000_NS6detail17trampoline_kernelINS0_14default_configENS1_38merge_sort_block_merge_config_selectorIsNS0_10empty_typeEEEZZNS1_27merge_sort_block_merge_implIS3_N6thrust23THRUST_200600_302600_NS6detail15normal_iteratorINS9_10device_ptrIsEEEEPS5_m11less_div_10IsEEE10hipError_tT0_T1_T2_jT3_P12ihipStream_tbPNSt15iterator_traitsISJ_E10value_typeEPNSP_ISK_E10value_typeEPSL_NS1_7vsmem_tEENKUlT_SJ_SK_SL_E_clIPsSE_SF_SF_EESI_SY_SJ_SK_SL_EUlSY_E1_NS1_11comp_targetILNS1_3genE2ELNS1_11target_archE906ELNS1_3gpuE6ELNS1_3repE0EEENS1_36merge_oddeven_config_static_selectorELNS0_4arch9wavefront6targetE0EEEvSK_
		.amdhsa_group_segment_fixed_size 0
		.amdhsa_private_segment_fixed_size 0
		.amdhsa_kernarg_size 56
		.amdhsa_user_sgpr_count 6
		.amdhsa_user_sgpr_private_segment_buffer 1
		.amdhsa_user_sgpr_dispatch_ptr 0
		.amdhsa_user_sgpr_queue_ptr 0
		.amdhsa_user_sgpr_kernarg_segment_ptr 1
		.amdhsa_user_sgpr_dispatch_id 0
		.amdhsa_user_sgpr_flat_scratch_init 0
		.amdhsa_user_sgpr_private_segment_size 0
		.amdhsa_wavefront_size32 1
		.amdhsa_uses_dynamic_stack 0
		.amdhsa_system_sgpr_private_segment_wavefront_offset 0
		.amdhsa_system_sgpr_workgroup_id_x 1
		.amdhsa_system_sgpr_workgroup_id_y 0
		.amdhsa_system_sgpr_workgroup_id_z 0
		.amdhsa_system_sgpr_workgroup_info 0
		.amdhsa_system_vgpr_workitem_id 0
		.amdhsa_next_free_vgpr 1
		.amdhsa_next_free_sgpr 1
		.amdhsa_reserve_vcc 0
		.amdhsa_reserve_flat_scratch 0
		.amdhsa_float_round_mode_32 0
		.amdhsa_float_round_mode_16_64 0
		.amdhsa_float_denorm_mode_32 3
		.amdhsa_float_denorm_mode_16_64 3
		.amdhsa_dx10_clamp 1
		.amdhsa_ieee_mode 1
		.amdhsa_fp16_overflow 0
		.amdhsa_workgroup_processor_mode 1
		.amdhsa_memory_ordered 1
		.amdhsa_forward_progress 1
		.amdhsa_shared_vgpr_count 0
		.amdhsa_exception_fp_ieee_invalid_op 0
		.amdhsa_exception_fp_denorm_src 0
		.amdhsa_exception_fp_ieee_div_zero 0
		.amdhsa_exception_fp_ieee_overflow 0
		.amdhsa_exception_fp_ieee_underflow 0
		.amdhsa_exception_fp_ieee_inexact 0
		.amdhsa_exception_int_div_zero 0
	.end_amdhsa_kernel
	.section	.text._ZN7rocprim17ROCPRIM_400000_NS6detail17trampoline_kernelINS0_14default_configENS1_38merge_sort_block_merge_config_selectorIsNS0_10empty_typeEEEZZNS1_27merge_sort_block_merge_implIS3_N6thrust23THRUST_200600_302600_NS6detail15normal_iteratorINS9_10device_ptrIsEEEEPS5_m11less_div_10IsEEE10hipError_tT0_T1_T2_jT3_P12ihipStream_tbPNSt15iterator_traitsISJ_E10value_typeEPNSP_ISK_E10value_typeEPSL_NS1_7vsmem_tEENKUlT_SJ_SK_SL_E_clIPsSE_SF_SF_EESI_SY_SJ_SK_SL_EUlSY_E1_NS1_11comp_targetILNS1_3genE2ELNS1_11target_archE906ELNS1_3gpuE6ELNS1_3repE0EEENS1_36merge_oddeven_config_static_selectorELNS0_4arch9wavefront6targetE0EEEvSK_,"axG",@progbits,_ZN7rocprim17ROCPRIM_400000_NS6detail17trampoline_kernelINS0_14default_configENS1_38merge_sort_block_merge_config_selectorIsNS0_10empty_typeEEEZZNS1_27merge_sort_block_merge_implIS3_N6thrust23THRUST_200600_302600_NS6detail15normal_iteratorINS9_10device_ptrIsEEEEPS5_m11less_div_10IsEEE10hipError_tT0_T1_T2_jT3_P12ihipStream_tbPNSt15iterator_traitsISJ_E10value_typeEPNSP_ISK_E10value_typeEPSL_NS1_7vsmem_tEENKUlT_SJ_SK_SL_E_clIPsSE_SF_SF_EESI_SY_SJ_SK_SL_EUlSY_E1_NS1_11comp_targetILNS1_3genE2ELNS1_11target_archE906ELNS1_3gpuE6ELNS1_3repE0EEENS1_36merge_oddeven_config_static_selectorELNS0_4arch9wavefront6targetE0EEEvSK_,comdat
.Lfunc_end545:
	.size	_ZN7rocprim17ROCPRIM_400000_NS6detail17trampoline_kernelINS0_14default_configENS1_38merge_sort_block_merge_config_selectorIsNS0_10empty_typeEEEZZNS1_27merge_sort_block_merge_implIS3_N6thrust23THRUST_200600_302600_NS6detail15normal_iteratorINS9_10device_ptrIsEEEEPS5_m11less_div_10IsEEE10hipError_tT0_T1_T2_jT3_P12ihipStream_tbPNSt15iterator_traitsISJ_E10value_typeEPNSP_ISK_E10value_typeEPSL_NS1_7vsmem_tEENKUlT_SJ_SK_SL_E_clIPsSE_SF_SF_EESI_SY_SJ_SK_SL_EUlSY_E1_NS1_11comp_targetILNS1_3genE2ELNS1_11target_archE906ELNS1_3gpuE6ELNS1_3repE0EEENS1_36merge_oddeven_config_static_selectorELNS0_4arch9wavefront6targetE0EEEvSK_, .Lfunc_end545-_ZN7rocprim17ROCPRIM_400000_NS6detail17trampoline_kernelINS0_14default_configENS1_38merge_sort_block_merge_config_selectorIsNS0_10empty_typeEEEZZNS1_27merge_sort_block_merge_implIS3_N6thrust23THRUST_200600_302600_NS6detail15normal_iteratorINS9_10device_ptrIsEEEEPS5_m11less_div_10IsEEE10hipError_tT0_T1_T2_jT3_P12ihipStream_tbPNSt15iterator_traitsISJ_E10value_typeEPNSP_ISK_E10value_typeEPSL_NS1_7vsmem_tEENKUlT_SJ_SK_SL_E_clIPsSE_SF_SF_EESI_SY_SJ_SK_SL_EUlSY_E1_NS1_11comp_targetILNS1_3genE2ELNS1_11target_archE906ELNS1_3gpuE6ELNS1_3repE0EEENS1_36merge_oddeven_config_static_selectorELNS0_4arch9wavefront6targetE0EEEvSK_
                                        ; -- End function
	.set _ZN7rocprim17ROCPRIM_400000_NS6detail17trampoline_kernelINS0_14default_configENS1_38merge_sort_block_merge_config_selectorIsNS0_10empty_typeEEEZZNS1_27merge_sort_block_merge_implIS3_N6thrust23THRUST_200600_302600_NS6detail15normal_iteratorINS9_10device_ptrIsEEEEPS5_m11less_div_10IsEEE10hipError_tT0_T1_T2_jT3_P12ihipStream_tbPNSt15iterator_traitsISJ_E10value_typeEPNSP_ISK_E10value_typeEPSL_NS1_7vsmem_tEENKUlT_SJ_SK_SL_E_clIPsSE_SF_SF_EESI_SY_SJ_SK_SL_EUlSY_E1_NS1_11comp_targetILNS1_3genE2ELNS1_11target_archE906ELNS1_3gpuE6ELNS1_3repE0EEENS1_36merge_oddeven_config_static_selectorELNS0_4arch9wavefront6targetE0EEEvSK_.num_vgpr, 0
	.set _ZN7rocprim17ROCPRIM_400000_NS6detail17trampoline_kernelINS0_14default_configENS1_38merge_sort_block_merge_config_selectorIsNS0_10empty_typeEEEZZNS1_27merge_sort_block_merge_implIS3_N6thrust23THRUST_200600_302600_NS6detail15normal_iteratorINS9_10device_ptrIsEEEEPS5_m11less_div_10IsEEE10hipError_tT0_T1_T2_jT3_P12ihipStream_tbPNSt15iterator_traitsISJ_E10value_typeEPNSP_ISK_E10value_typeEPSL_NS1_7vsmem_tEENKUlT_SJ_SK_SL_E_clIPsSE_SF_SF_EESI_SY_SJ_SK_SL_EUlSY_E1_NS1_11comp_targetILNS1_3genE2ELNS1_11target_archE906ELNS1_3gpuE6ELNS1_3repE0EEENS1_36merge_oddeven_config_static_selectorELNS0_4arch9wavefront6targetE0EEEvSK_.num_agpr, 0
	.set _ZN7rocprim17ROCPRIM_400000_NS6detail17trampoline_kernelINS0_14default_configENS1_38merge_sort_block_merge_config_selectorIsNS0_10empty_typeEEEZZNS1_27merge_sort_block_merge_implIS3_N6thrust23THRUST_200600_302600_NS6detail15normal_iteratorINS9_10device_ptrIsEEEEPS5_m11less_div_10IsEEE10hipError_tT0_T1_T2_jT3_P12ihipStream_tbPNSt15iterator_traitsISJ_E10value_typeEPNSP_ISK_E10value_typeEPSL_NS1_7vsmem_tEENKUlT_SJ_SK_SL_E_clIPsSE_SF_SF_EESI_SY_SJ_SK_SL_EUlSY_E1_NS1_11comp_targetILNS1_3genE2ELNS1_11target_archE906ELNS1_3gpuE6ELNS1_3repE0EEENS1_36merge_oddeven_config_static_selectorELNS0_4arch9wavefront6targetE0EEEvSK_.numbered_sgpr, 0
	.set _ZN7rocprim17ROCPRIM_400000_NS6detail17trampoline_kernelINS0_14default_configENS1_38merge_sort_block_merge_config_selectorIsNS0_10empty_typeEEEZZNS1_27merge_sort_block_merge_implIS3_N6thrust23THRUST_200600_302600_NS6detail15normal_iteratorINS9_10device_ptrIsEEEEPS5_m11less_div_10IsEEE10hipError_tT0_T1_T2_jT3_P12ihipStream_tbPNSt15iterator_traitsISJ_E10value_typeEPNSP_ISK_E10value_typeEPSL_NS1_7vsmem_tEENKUlT_SJ_SK_SL_E_clIPsSE_SF_SF_EESI_SY_SJ_SK_SL_EUlSY_E1_NS1_11comp_targetILNS1_3genE2ELNS1_11target_archE906ELNS1_3gpuE6ELNS1_3repE0EEENS1_36merge_oddeven_config_static_selectorELNS0_4arch9wavefront6targetE0EEEvSK_.num_named_barrier, 0
	.set _ZN7rocprim17ROCPRIM_400000_NS6detail17trampoline_kernelINS0_14default_configENS1_38merge_sort_block_merge_config_selectorIsNS0_10empty_typeEEEZZNS1_27merge_sort_block_merge_implIS3_N6thrust23THRUST_200600_302600_NS6detail15normal_iteratorINS9_10device_ptrIsEEEEPS5_m11less_div_10IsEEE10hipError_tT0_T1_T2_jT3_P12ihipStream_tbPNSt15iterator_traitsISJ_E10value_typeEPNSP_ISK_E10value_typeEPSL_NS1_7vsmem_tEENKUlT_SJ_SK_SL_E_clIPsSE_SF_SF_EESI_SY_SJ_SK_SL_EUlSY_E1_NS1_11comp_targetILNS1_3genE2ELNS1_11target_archE906ELNS1_3gpuE6ELNS1_3repE0EEENS1_36merge_oddeven_config_static_selectorELNS0_4arch9wavefront6targetE0EEEvSK_.private_seg_size, 0
	.set _ZN7rocprim17ROCPRIM_400000_NS6detail17trampoline_kernelINS0_14default_configENS1_38merge_sort_block_merge_config_selectorIsNS0_10empty_typeEEEZZNS1_27merge_sort_block_merge_implIS3_N6thrust23THRUST_200600_302600_NS6detail15normal_iteratorINS9_10device_ptrIsEEEEPS5_m11less_div_10IsEEE10hipError_tT0_T1_T2_jT3_P12ihipStream_tbPNSt15iterator_traitsISJ_E10value_typeEPNSP_ISK_E10value_typeEPSL_NS1_7vsmem_tEENKUlT_SJ_SK_SL_E_clIPsSE_SF_SF_EESI_SY_SJ_SK_SL_EUlSY_E1_NS1_11comp_targetILNS1_3genE2ELNS1_11target_archE906ELNS1_3gpuE6ELNS1_3repE0EEENS1_36merge_oddeven_config_static_selectorELNS0_4arch9wavefront6targetE0EEEvSK_.uses_vcc, 0
	.set _ZN7rocprim17ROCPRIM_400000_NS6detail17trampoline_kernelINS0_14default_configENS1_38merge_sort_block_merge_config_selectorIsNS0_10empty_typeEEEZZNS1_27merge_sort_block_merge_implIS3_N6thrust23THRUST_200600_302600_NS6detail15normal_iteratorINS9_10device_ptrIsEEEEPS5_m11less_div_10IsEEE10hipError_tT0_T1_T2_jT3_P12ihipStream_tbPNSt15iterator_traitsISJ_E10value_typeEPNSP_ISK_E10value_typeEPSL_NS1_7vsmem_tEENKUlT_SJ_SK_SL_E_clIPsSE_SF_SF_EESI_SY_SJ_SK_SL_EUlSY_E1_NS1_11comp_targetILNS1_3genE2ELNS1_11target_archE906ELNS1_3gpuE6ELNS1_3repE0EEENS1_36merge_oddeven_config_static_selectorELNS0_4arch9wavefront6targetE0EEEvSK_.uses_flat_scratch, 0
	.set _ZN7rocprim17ROCPRIM_400000_NS6detail17trampoline_kernelINS0_14default_configENS1_38merge_sort_block_merge_config_selectorIsNS0_10empty_typeEEEZZNS1_27merge_sort_block_merge_implIS3_N6thrust23THRUST_200600_302600_NS6detail15normal_iteratorINS9_10device_ptrIsEEEEPS5_m11less_div_10IsEEE10hipError_tT0_T1_T2_jT3_P12ihipStream_tbPNSt15iterator_traitsISJ_E10value_typeEPNSP_ISK_E10value_typeEPSL_NS1_7vsmem_tEENKUlT_SJ_SK_SL_E_clIPsSE_SF_SF_EESI_SY_SJ_SK_SL_EUlSY_E1_NS1_11comp_targetILNS1_3genE2ELNS1_11target_archE906ELNS1_3gpuE6ELNS1_3repE0EEENS1_36merge_oddeven_config_static_selectorELNS0_4arch9wavefront6targetE0EEEvSK_.has_dyn_sized_stack, 0
	.set _ZN7rocprim17ROCPRIM_400000_NS6detail17trampoline_kernelINS0_14default_configENS1_38merge_sort_block_merge_config_selectorIsNS0_10empty_typeEEEZZNS1_27merge_sort_block_merge_implIS3_N6thrust23THRUST_200600_302600_NS6detail15normal_iteratorINS9_10device_ptrIsEEEEPS5_m11less_div_10IsEEE10hipError_tT0_T1_T2_jT3_P12ihipStream_tbPNSt15iterator_traitsISJ_E10value_typeEPNSP_ISK_E10value_typeEPSL_NS1_7vsmem_tEENKUlT_SJ_SK_SL_E_clIPsSE_SF_SF_EESI_SY_SJ_SK_SL_EUlSY_E1_NS1_11comp_targetILNS1_3genE2ELNS1_11target_archE906ELNS1_3gpuE6ELNS1_3repE0EEENS1_36merge_oddeven_config_static_selectorELNS0_4arch9wavefront6targetE0EEEvSK_.has_recursion, 0
	.set _ZN7rocprim17ROCPRIM_400000_NS6detail17trampoline_kernelINS0_14default_configENS1_38merge_sort_block_merge_config_selectorIsNS0_10empty_typeEEEZZNS1_27merge_sort_block_merge_implIS3_N6thrust23THRUST_200600_302600_NS6detail15normal_iteratorINS9_10device_ptrIsEEEEPS5_m11less_div_10IsEEE10hipError_tT0_T1_T2_jT3_P12ihipStream_tbPNSt15iterator_traitsISJ_E10value_typeEPNSP_ISK_E10value_typeEPSL_NS1_7vsmem_tEENKUlT_SJ_SK_SL_E_clIPsSE_SF_SF_EESI_SY_SJ_SK_SL_EUlSY_E1_NS1_11comp_targetILNS1_3genE2ELNS1_11target_archE906ELNS1_3gpuE6ELNS1_3repE0EEENS1_36merge_oddeven_config_static_selectorELNS0_4arch9wavefront6targetE0EEEvSK_.has_indirect_call, 0
	.section	.AMDGPU.csdata,"",@progbits
; Kernel info:
; codeLenInByte = 0
; TotalNumSgprs: 0
; NumVgprs: 0
; ScratchSize: 0
; MemoryBound: 0
; FloatMode: 240
; IeeeMode: 1
; LDSByteSize: 0 bytes/workgroup (compile time only)
; SGPRBlocks: 0
; VGPRBlocks: 0
; NumSGPRsForWavesPerEU: 1
; NumVGPRsForWavesPerEU: 1
; Occupancy: 16
; WaveLimiterHint : 0
; COMPUTE_PGM_RSRC2:SCRATCH_EN: 0
; COMPUTE_PGM_RSRC2:USER_SGPR: 6
; COMPUTE_PGM_RSRC2:TRAP_HANDLER: 0
; COMPUTE_PGM_RSRC2:TGID_X_EN: 1
; COMPUTE_PGM_RSRC2:TGID_Y_EN: 0
; COMPUTE_PGM_RSRC2:TGID_Z_EN: 0
; COMPUTE_PGM_RSRC2:TIDIG_COMP_CNT: 0
	.section	.text._ZN7rocprim17ROCPRIM_400000_NS6detail17trampoline_kernelINS0_14default_configENS1_38merge_sort_block_merge_config_selectorIsNS0_10empty_typeEEEZZNS1_27merge_sort_block_merge_implIS3_N6thrust23THRUST_200600_302600_NS6detail15normal_iteratorINS9_10device_ptrIsEEEEPS5_m11less_div_10IsEEE10hipError_tT0_T1_T2_jT3_P12ihipStream_tbPNSt15iterator_traitsISJ_E10value_typeEPNSP_ISK_E10value_typeEPSL_NS1_7vsmem_tEENKUlT_SJ_SK_SL_E_clIPsSE_SF_SF_EESI_SY_SJ_SK_SL_EUlSY_E1_NS1_11comp_targetILNS1_3genE9ELNS1_11target_archE1100ELNS1_3gpuE3ELNS1_3repE0EEENS1_36merge_oddeven_config_static_selectorELNS0_4arch9wavefront6targetE0EEEvSK_,"axG",@progbits,_ZN7rocprim17ROCPRIM_400000_NS6detail17trampoline_kernelINS0_14default_configENS1_38merge_sort_block_merge_config_selectorIsNS0_10empty_typeEEEZZNS1_27merge_sort_block_merge_implIS3_N6thrust23THRUST_200600_302600_NS6detail15normal_iteratorINS9_10device_ptrIsEEEEPS5_m11less_div_10IsEEE10hipError_tT0_T1_T2_jT3_P12ihipStream_tbPNSt15iterator_traitsISJ_E10value_typeEPNSP_ISK_E10value_typeEPSL_NS1_7vsmem_tEENKUlT_SJ_SK_SL_E_clIPsSE_SF_SF_EESI_SY_SJ_SK_SL_EUlSY_E1_NS1_11comp_targetILNS1_3genE9ELNS1_11target_archE1100ELNS1_3gpuE3ELNS1_3repE0EEENS1_36merge_oddeven_config_static_selectorELNS0_4arch9wavefront6targetE0EEEvSK_,comdat
	.protected	_ZN7rocprim17ROCPRIM_400000_NS6detail17trampoline_kernelINS0_14default_configENS1_38merge_sort_block_merge_config_selectorIsNS0_10empty_typeEEEZZNS1_27merge_sort_block_merge_implIS3_N6thrust23THRUST_200600_302600_NS6detail15normal_iteratorINS9_10device_ptrIsEEEEPS5_m11less_div_10IsEEE10hipError_tT0_T1_T2_jT3_P12ihipStream_tbPNSt15iterator_traitsISJ_E10value_typeEPNSP_ISK_E10value_typeEPSL_NS1_7vsmem_tEENKUlT_SJ_SK_SL_E_clIPsSE_SF_SF_EESI_SY_SJ_SK_SL_EUlSY_E1_NS1_11comp_targetILNS1_3genE9ELNS1_11target_archE1100ELNS1_3gpuE3ELNS1_3repE0EEENS1_36merge_oddeven_config_static_selectorELNS0_4arch9wavefront6targetE0EEEvSK_ ; -- Begin function _ZN7rocprim17ROCPRIM_400000_NS6detail17trampoline_kernelINS0_14default_configENS1_38merge_sort_block_merge_config_selectorIsNS0_10empty_typeEEEZZNS1_27merge_sort_block_merge_implIS3_N6thrust23THRUST_200600_302600_NS6detail15normal_iteratorINS9_10device_ptrIsEEEEPS5_m11less_div_10IsEEE10hipError_tT0_T1_T2_jT3_P12ihipStream_tbPNSt15iterator_traitsISJ_E10value_typeEPNSP_ISK_E10value_typeEPSL_NS1_7vsmem_tEENKUlT_SJ_SK_SL_E_clIPsSE_SF_SF_EESI_SY_SJ_SK_SL_EUlSY_E1_NS1_11comp_targetILNS1_3genE9ELNS1_11target_archE1100ELNS1_3gpuE3ELNS1_3repE0EEENS1_36merge_oddeven_config_static_selectorELNS0_4arch9wavefront6targetE0EEEvSK_
	.globl	_ZN7rocprim17ROCPRIM_400000_NS6detail17trampoline_kernelINS0_14default_configENS1_38merge_sort_block_merge_config_selectorIsNS0_10empty_typeEEEZZNS1_27merge_sort_block_merge_implIS3_N6thrust23THRUST_200600_302600_NS6detail15normal_iteratorINS9_10device_ptrIsEEEEPS5_m11less_div_10IsEEE10hipError_tT0_T1_T2_jT3_P12ihipStream_tbPNSt15iterator_traitsISJ_E10value_typeEPNSP_ISK_E10value_typeEPSL_NS1_7vsmem_tEENKUlT_SJ_SK_SL_E_clIPsSE_SF_SF_EESI_SY_SJ_SK_SL_EUlSY_E1_NS1_11comp_targetILNS1_3genE9ELNS1_11target_archE1100ELNS1_3gpuE3ELNS1_3repE0EEENS1_36merge_oddeven_config_static_selectorELNS0_4arch9wavefront6targetE0EEEvSK_
	.p2align	8
	.type	_ZN7rocprim17ROCPRIM_400000_NS6detail17trampoline_kernelINS0_14default_configENS1_38merge_sort_block_merge_config_selectorIsNS0_10empty_typeEEEZZNS1_27merge_sort_block_merge_implIS3_N6thrust23THRUST_200600_302600_NS6detail15normal_iteratorINS9_10device_ptrIsEEEEPS5_m11less_div_10IsEEE10hipError_tT0_T1_T2_jT3_P12ihipStream_tbPNSt15iterator_traitsISJ_E10value_typeEPNSP_ISK_E10value_typeEPSL_NS1_7vsmem_tEENKUlT_SJ_SK_SL_E_clIPsSE_SF_SF_EESI_SY_SJ_SK_SL_EUlSY_E1_NS1_11comp_targetILNS1_3genE9ELNS1_11target_archE1100ELNS1_3gpuE3ELNS1_3repE0EEENS1_36merge_oddeven_config_static_selectorELNS0_4arch9wavefront6targetE0EEEvSK_,@function
_ZN7rocprim17ROCPRIM_400000_NS6detail17trampoline_kernelINS0_14default_configENS1_38merge_sort_block_merge_config_selectorIsNS0_10empty_typeEEEZZNS1_27merge_sort_block_merge_implIS3_N6thrust23THRUST_200600_302600_NS6detail15normal_iteratorINS9_10device_ptrIsEEEEPS5_m11less_div_10IsEEE10hipError_tT0_T1_T2_jT3_P12ihipStream_tbPNSt15iterator_traitsISJ_E10value_typeEPNSP_ISK_E10value_typeEPSL_NS1_7vsmem_tEENKUlT_SJ_SK_SL_E_clIPsSE_SF_SF_EESI_SY_SJ_SK_SL_EUlSY_E1_NS1_11comp_targetILNS1_3genE9ELNS1_11target_archE1100ELNS1_3gpuE3ELNS1_3repE0EEENS1_36merge_oddeven_config_static_selectorELNS0_4arch9wavefront6targetE0EEEvSK_: ; @_ZN7rocprim17ROCPRIM_400000_NS6detail17trampoline_kernelINS0_14default_configENS1_38merge_sort_block_merge_config_selectorIsNS0_10empty_typeEEEZZNS1_27merge_sort_block_merge_implIS3_N6thrust23THRUST_200600_302600_NS6detail15normal_iteratorINS9_10device_ptrIsEEEEPS5_m11less_div_10IsEEE10hipError_tT0_T1_T2_jT3_P12ihipStream_tbPNSt15iterator_traitsISJ_E10value_typeEPNSP_ISK_E10value_typeEPSL_NS1_7vsmem_tEENKUlT_SJ_SK_SL_E_clIPsSE_SF_SF_EESI_SY_SJ_SK_SL_EUlSY_E1_NS1_11comp_targetILNS1_3genE9ELNS1_11target_archE1100ELNS1_3gpuE3ELNS1_3repE0EEENS1_36merge_oddeven_config_static_selectorELNS0_4arch9wavefront6targetE0EEEvSK_
; %bb.0:
	.section	.rodata,"a",@progbits
	.p2align	6, 0x0
	.amdhsa_kernel _ZN7rocprim17ROCPRIM_400000_NS6detail17trampoline_kernelINS0_14default_configENS1_38merge_sort_block_merge_config_selectorIsNS0_10empty_typeEEEZZNS1_27merge_sort_block_merge_implIS3_N6thrust23THRUST_200600_302600_NS6detail15normal_iteratorINS9_10device_ptrIsEEEEPS5_m11less_div_10IsEEE10hipError_tT0_T1_T2_jT3_P12ihipStream_tbPNSt15iterator_traitsISJ_E10value_typeEPNSP_ISK_E10value_typeEPSL_NS1_7vsmem_tEENKUlT_SJ_SK_SL_E_clIPsSE_SF_SF_EESI_SY_SJ_SK_SL_EUlSY_E1_NS1_11comp_targetILNS1_3genE9ELNS1_11target_archE1100ELNS1_3gpuE3ELNS1_3repE0EEENS1_36merge_oddeven_config_static_selectorELNS0_4arch9wavefront6targetE0EEEvSK_
		.amdhsa_group_segment_fixed_size 0
		.amdhsa_private_segment_fixed_size 0
		.amdhsa_kernarg_size 56
		.amdhsa_user_sgpr_count 6
		.amdhsa_user_sgpr_private_segment_buffer 1
		.amdhsa_user_sgpr_dispatch_ptr 0
		.amdhsa_user_sgpr_queue_ptr 0
		.amdhsa_user_sgpr_kernarg_segment_ptr 1
		.amdhsa_user_sgpr_dispatch_id 0
		.amdhsa_user_sgpr_flat_scratch_init 0
		.amdhsa_user_sgpr_private_segment_size 0
		.amdhsa_wavefront_size32 1
		.amdhsa_uses_dynamic_stack 0
		.amdhsa_system_sgpr_private_segment_wavefront_offset 0
		.amdhsa_system_sgpr_workgroup_id_x 1
		.amdhsa_system_sgpr_workgroup_id_y 0
		.amdhsa_system_sgpr_workgroup_id_z 0
		.amdhsa_system_sgpr_workgroup_info 0
		.amdhsa_system_vgpr_workitem_id 0
		.amdhsa_next_free_vgpr 1
		.amdhsa_next_free_sgpr 1
		.amdhsa_reserve_vcc 0
		.amdhsa_reserve_flat_scratch 0
		.amdhsa_float_round_mode_32 0
		.amdhsa_float_round_mode_16_64 0
		.amdhsa_float_denorm_mode_32 3
		.amdhsa_float_denorm_mode_16_64 3
		.amdhsa_dx10_clamp 1
		.amdhsa_ieee_mode 1
		.amdhsa_fp16_overflow 0
		.amdhsa_workgroup_processor_mode 1
		.amdhsa_memory_ordered 1
		.amdhsa_forward_progress 1
		.amdhsa_shared_vgpr_count 0
		.amdhsa_exception_fp_ieee_invalid_op 0
		.amdhsa_exception_fp_denorm_src 0
		.amdhsa_exception_fp_ieee_div_zero 0
		.amdhsa_exception_fp_ieee_overflow 0
		.amdhsa_exception_fp_ieee_underflow 0
		.amdhsa_exception_fp_ieee_inexact 0
		.amdhsa_exception_int_div_zero 0
	.end_amdhsa_kernel
	.section	.text._ZN7rocprim17ROCPRIM_400000_NS6detail17trampoline_kernelINS0_14default_configENS1_38merge_sort_block_merge_config_selectorIsNS0_10empty_typeEEEZZNS1_27merge_sort_block_merge_implIS3_N6thrust23THRUST_200600_302600_NS6detail15normal_iteratorINS9_10device_ptrIsEEEEPS5_m11less_div_10IsEEE10hipError_tT0_T1_T2_jT3_P12ihipStream_tbPNSt15iterator_traitsISJ_E10value_typeEPNSP_ISK_E10value_typeEPSL_NS1_7vsmem_tEENKUlT_SJ_SK_SL_E_clIPsSE_SF_SF_EESI_SY_SJ_SK_SL_EUlSY_E1_NS1_11comp_targetILNS1_3genE9ELNS1_11target_archE1100ELNS1_3gpuE3ELNS1_3repE0EEENS1_36merge_oddeven_config_static_selectorELNS0_4arch9wavefront6targetE0EEEvSK_,"axG",@progbits,_ZN7rocprim17ROCPRIM_400000_NS6detail17trampoline_kernelINS0_14default_configENS1_38merge_sort_block_merge_config_selectorIsNS0_10empty_typeEEEZZNS1_27merge_sort_block_merge_implIS3_N6thrust23THRUST_200600_302600_NS6detail15normal_iteratorINS9_10device_ptrIsEEEEPS5_m11less_div_10IsEEE10hipError_tT0_T1_T2_jT3_P12ihipStream_tbPNSt15iterator_traitsISJ_E10value_typeEPNSP_ISK_E10value_typeEPSL_NS1_7vsmem_tEENKUlT_SJ_SK_SL_E_clIPsSE_SF_SF_EESI_SY_SJ_SK_SL_EUlSY_E1_NS1_11comp_targetILNS1_3genE9ELNS1_11target_archE1100ELNS1_3gpuE3ELNS1_3repE0EEENS1_36merge_oddeven_config_static_selectorELNS0_4arch9wavefront6targetE0EEEvSK_,comdat
.Lfunc_end546:
	.size	_ZN7rocprim17ROCPRIM_400000_NS6detail17trampoline_kernelINS0_14default_configENS1_38merge_sort_block_merge_config_selectorIsNS0_10empty_typeEEEZZNS1_27merge_sort_block_merge_implIS3_N6thrust23THRUST_200600_302600_NS6detail15normal_iteratorINS9_10device_ptrIsEEEEPS5_m11less_div_10IsEEE10hipError_tT0_T1_T2_jT3_P12ihipStream_tbPNSt15iterator_traitsISJ_E10value_typeEPNSP_ISK_E10value_typeEPSL_NS1_7vsmem_tEENKUlT_SJ_SK_SL_E_clIPsSE_SF_SF_EESI_SY_SJ_SK_SL_EUlSY_E1_NS1_11comp_targetILNS1_3genE9ELNS1_11target_archE1100ELNS1_3gpuE3ELNS1_3repE0EEENS1_36merge_oddeven_config_static_selectorELNS0_4arch9wavefront6targetE0EEEvSK_, .Lfunc_end546-_ZN7rocprim17ROCPRIM_400000_NS6detail17trampoline_kernelINS0_14default_configENS1_38merge_sort_block_merge_config_selectorIsNS0_10empty_typeEEEZZNS1_27merge_sort_block_merge_implIS3_N6thrust23THRUST_200600_302600_NS6detail15normal_iteratorINS9_10device_ptrIsEEEEPS5_m11less_div_10IsEEE10hipError_tT0_T1_T2_jT3_P12ihipStream_tbPNSt15iterator_traitsISJ_E10value_typeEPNSP_ISK_E10value_typeEPSL_NS1_7vsmem_tEENKUlT_SJ_SK_SL_E_clIPsSE_SF_SF_EESI_SY_SJ_SK_SL_EUlSY_E1_NS1_11comp_targetILNS1_3genE9ELNS1_11target_archE1100ELNS1_3gpuE3ELNS1_3repE0EEENS1_36merge_oddeven_config_static_selectorELNS0_4arch9wavefront6targetE0EEEvSK_
                                        ; -- End function
	.set _ZN7rocprim17ROCPRIM_400000_NS6detail17trampoline_kernelINS0_14default_configENS1_38merge_sort_block_merge_config_selectorIsNS0_10empty_typeEEEZZNS1_27merge_sort_block_merge_implIS3_N6thrust23THRUST_200600_302600_NS6detail15normal_iteratorINS9_10device_ptrIsEEEEPS5_m11less_div_10IsEEE10hipError_tT0_T1_T2_jT3_P12ihipStream_tbPNSt15iterator_traitsISJ_E10value_typeEPNSP_ISK_E10value_typeEPSL_NS1_7vsmem_tEENKUlT_SJ_SK_SL_E_clIPsSE_SF_SF_EESI_SY_SJ_SK_SL_EUlSY_E1_NS1_11comp_targetILNS1_3genE9ELNS1_11target_archE1100ELNS1_3gpuE3ELNS1_3repE0EEENS1_36merge_oddeven_config_static_selectorELNS0_4arch9wavefront6targetE0EEEvSK_.num_vgpr, 0
	.set _ZN7rocprim17ROCPRIM_400000_NS6detail17trampoline_kernelINS0_14default_configENS1_38merge_sort_block_merge_config_selectorIsNS0_10empty_typeEEEZZNS1_27merge_sort_block_merge_implIS3_N6thrust23THRUST_200600_302600_NS6detail15normal_iteratorINS9_10device_ptrIsEEEEPS5_m11less_div_10IsEEE10hipError_tT0_T1_T2_jT3_P12ihipStream_tbPNSt15iterator_traitsISJ_E10value_typeEPNSP_ISK_E10value_typeEPSL_NS1_7vsmem_tEENKUlT_SJ_SK_SL_E_clIPsSE_SF_SF_EESI_SY_SJ_SK_SL_EUlSY_E1_NS1_11comp_targetILNS1_3genE9ELNS1_11target_archE1100ELNS1_3gpuE3ELNS1_3repE0EEENS1_36merge_oddeven_config_static_selectorELNS0_4arch9wavefront6targetE0EEEvSK_.num_agpr, 0
	.set _ZN7rocprim17ROCPRIM_400000_NS6detail17trampoline_kernelINS0_14default_configENS1_38merge_sort_block_merge_config_selectorIsNS0_10empty_typeEEEZZNS1_27merge_sort_block_merge_implIS3_N6thrust23THRUST_200600_302600_NS6detail15normal_iteratorINS9_10device_ptrIsEEEEPS5_m11less_div_10IsEEE10hipError_tT0_T1_T2_jT3_P12ihipStream_tbPNSt15iterator_traitsISJ_E10value_typeEPNSP_ISK_E10value_typeEPSL_NS1_7vsmem_tEENKUlT_SJ_SK_SL_E_clIPsSE_SF_SF_EESI_SY_SJ_SK_SL_EUlSY_E1_NS1_11comp_targetILNS1_3genE9ELNS1_11target_archE1100ELNS1_3gpuE3ELNS1_3repE0EEENS1_36merge_oddeven_config_static_selectorELNS0_4arch9wavefront6targetE0EEEvSK_.numbered_sgpr, 0
	.set _ZN7rocprim17ROCPRIM_400000_NS6detail17trampoline_kernelINS0_14default_configENS1_38merge_sort_block_merge_config_selectorIsNS0_10empty_typeEEEZZNS1_27merge_sort_block_merge_implIS3_N6thrust23THRUST_200600_302600_NS6detail15normal_iteratorINS9_10device_ptrIsEEEEPS5_m11less_div_10IsEEE10hipError_tT0_T1_T2_jT3_P12ihipStream_tbPNSt15iterator_traitsISJ_E10value_typeEPNSP_ISK_E10value_typeEPSL_NS1_7vsmem_tEENKUlT_SJ_SK_SL_E_clIPsSE_SF_SF_EESI_SY_SJ_SK_SL_EUlSY_E1_NS1_11comp_targetILNS1_3genE9ELNS1_11target_archE1100ELNS1_3gpuE3ELNS1_3repE0EEENS1_36merge_oddeven_config_static_selectorELNS0_4arch9wavefront6targetE0EEEvSK_.num_named_barrier, 0
	.set _ZN7rocprim17ROCPRIM_400000_NS6detail17trampoline_kernelINS0_14default_configENS1_38merge_sort_block_merge_config_selectorIsNS0_10empty_typeEEEZZNS1_27merge_sort_block_merge_implIS3_N6thrust23THRUST_200600_302600_NS6detail15normal_iteratorINS9_10device_ptrIsEEEEPS5_m11less_div_10IsEEE10hipError_tT0_T1_T2_jT3_P12ihipStream_tbPNSt15iterator_traitsISJ_E10value_typeEPNSP_ISK_E10value_typeEPSL_NS1_7vsmem_tEENKUlT_SJ_SK_SL_E_clIPsSE_SF_SF_EESI_SY_SJ_SK_SL_EUlSY_E1_NS1_11comp_targetILNS1_3genE9ELNS1_11target_archE1100ELNS1_3gpuE3ELNS1_3repE0EEENS1_36merge_oddeven_config_static_selectorELNS0_4arch9wavefront6targetE0EEEvSK_.private_seg_size, 0
	.set _ZN7rocprim17ROCPRIM_400000_NS6detail17trampoline_kernelINS0_14default_configENS1_38merge_sort_block_merge_config_selectorIsNS0_10empty_typeEEEZZNS1_27merge_sort_block_merge_implIS3_N6thrust23THRUST_200600_302600_NS6detail15normal_iteratorINS9_10device_ptrIsEEEEPS5_m11less_div_10IsEEE10hipError_tT0_T1_T2_jT3_P12ihipStream_tbPNSt15iterator_traitsISJ_E10value_typeEPNSP_ISK_E10value_typeEPSL_NS1_7vsmem_tEENKUlT_SJ_SK_SL_E_clIPsSE_SF_SF_EESI_SY_SJ_SK_SL_EUlSY_E1_NS1_11comp_targetILNS1_3genE9ELNS1_11target_archE1100ELNS1_3gpuE3ELNS1_3repE0EEENS1_36merge_oddeven_config_static_selectorELNS0_4arch9wavefront6targetE0EEEvSK_.uses_vcc, 0
	.set _ZN7rocprim17ROCPRIM_400000_NS6detail17trampoline_kernelINS0_14default_configENS1_38merge_sort_block_merge_config_selectorIsNS0_10empty_typeEEEZZNS1_27merge_sort_block_merge_implIS3_N6thrust23THRUST_200600_302600_NS6detail15normal_iteratorINS9_10device_ptrIsEEEEPS5_m11less_div_10IsEEE10hipError_tT0_T1_T2_jT3_P12ihipStream_tbPNSt15iterator_traitsISJ_E10value_typeEPNSP_ISK_E10value_typeEPSL_NS1_7vsmem_tEENKUlT_SJ_SK_SL_E_clIPsSE_SF_SF_EESI_SY_SJ_SK_SL_EUlSY_E1_NS1_11comp_targetILNS1_3genE9ELNS1_11target_archE1100ELNS1_3gpuE3ELNS1_3repE0EEENS1_36merge_oddeven_config_static_selectorELNS0_4arch9wavefront6targetE0EEEvSK_.uses_flat_scratch, 0
	.set _ZN7rocprim17ROCPRIM_400000_NS6detail17trampoline_kernelINS0_14default_configENS1_38merge_sort_block_merge_config_selectorIsNS0_10empty_typeEEEZZNS1_27merge_sort_block_merge_implIS3_N6thrust23THRUST_200600_302600_NS6detail15normal_iteratorINS9_10device_ptrIsEEEEPS5_m11less_div_10IsEEE10hipError_tT0_T1_T2_jT3_P12ihipStream_tbPNSt15iterator_traitsISJ_E10value_typeEPNSP_ISK_E10value_typeEPSL_NS1_7vsmem_tEENKUlT_SJ_SK_SL_E_clIPsSE_SF_SF_EESI_SY_SJ_SK_SL_EUlSY_E1_NS1_11comp_targetILNS1_3genE9ELNS1_11target_archE1100ELNS1_3gpuE3ELNS1_3repE0EEENS1_36merge_oddeven_config_static_selectorELNS0_4arch9wavefront6targetE0EEEvSK_.has_dyn_sized_stack, 0
	.set _ZN7rocprim17ROCPRIM_400000_NS6detail17trampoline_kernelINS0_14default_configENS1_38merge_sort_block_merge_config_selectorIsNS0_10empty_typeEEEZZNS1_27merge_sort_block_merge_implIS3_N6thrust23THRUST_200600_302600_NS6detail15normal_iteratorINS9_10device_ptrIsEEEEPS5_m11less_div_10IsEEE10hipError_tT0_T1_T2_jT3_P12ihipStream_tbPNSt15iterator_traitsISJ_E10value_typeEPNSP_ISK_E10value_typeEPSL_NS1_7vsmem_tEENKUlT_SJ_SK_SL_E_clIPsSE_SF_SF_EESI_SY_SJ_SK_SL_EUlSY_E1_NS1_11comp_targetILNS1_3genE9ELNS1_11target_archE1100ELNS1_3gpuE3ELNS1_3repE0EEENS1_36merge_oddeven_config_static_selectorELNS0_4arch9wavefront6targetE0EEEvSK_.has_recursion, 0
	.set _ZN7rocprim17ROCPRIM_400000_NS6detail17trampoline_kernelINS0_14default_configENS1_38merge_sort_block_merge_config_selectorIsNS0_10empty_typeEEEZZNS1_27merge_sort_block_merge_implIS3_N6thrust23THRUST_200600_302600_NS6detail15normal_iteratorINS9_10device_ptrIsEEEEPS5_m11less_div_10IsEEE10hipError_tT0_T1_T2_jT3_P12ihipStream_tbPNSt15iterator_traitsISJ_E10value_typeEPNSP_ISK_E10value_typeEPSL_NS1_7vsmem_tEENKUlT_SJ_SK_SL_E_clIPsSE_SF_SF_EESI_SY_SJ_SK_SL_EUlSY_E1_NS1_11comp_targetILNS1_3genE9ELNS1_11target_archE1100ELNS1_3gpuE3ELNS1_3repE0EEENS1_36merge_oddeven_config_static_selectorELNS0_4arch9wavefront6targetE0EEEvSK_.has_indirect_call, 0
	.section	.AMDGPU.csdata,"",@progbits
; Kernel info:
; codeLenInByte = 0
; TotalNumSgprs: 0
; NumVgprs: 0
; ScratchSize: 0
; MemoryBound: 0
; FloatMode: 240
; IeeeMode: 1
; LDSByteSize: 0 bytes/workgroup (compile time only)
; SGPRBlocks: 0
; VGPRBlocks: 0
; NumSGPRsForWavesPerEU: 1
; NumVGPRsForWavesPerEU: 1
; Occupancy: 16
; WaveLimiterHint : 0
; COMPUTE_PGM_RSRC2:SCRATCH_EN: 0
; COMPUTE_PGM_RSRC2:USER_SGPR: 6
; COMPUTE_PGM_RSRC2:TRAP_HANDLER: 0
; COMPUTE_PGM_RSRC2:TGID_X_EN: 1
; COMPUTE_PGM_RSRC2:TGID_Y_EN: 0
; COMPUTE_PGM_RSRC2:TGID_Z_EN: 0
; COMPUTE_PGM_RSRC2:TIDIG_COMP_CNT: 0
	.section	.text._ZN7rocprim17ROCPRIM_400000_NS6detail17trampoline_kernelINS0_14default_configENS1_38merge_sort_block_merge_config_selectorIsNS0_10empty_typeEEEZZNS1_27merge_sort_block_merge_implIS3_N6thrust23THRUST_200600_302600_NS6detail15normal_iteratorINS9_10device_ptrIsEEEEPS5_m11less_div_10IsEEE10hipError_tT0_T1_T2_jT3_P12ihipStream_tbPNSt15iterator_traitsISJ_E10value_typeEPNSP_ISK_E10value_typeEPSL_NS1_7vsmem_tEENKUlT_SJ_SK_SL_E_clIPsSE_SF_SF_EESI_SY_SJ_SK_SL_EUlSY_E1_NS1_11comp_targetILNS1_3genE8ELNS1_11target_archE1030ELNS1_3gpuE2ELNS1_3repE0EEENS1_36merge_oddeven_config_static_selectorELNS0_4arch9wavefront6targetE0EEEvSK_,"axG",@progbits,_ZN7rocprim17ROCPRIM_400000_NS6detail17trampoline_kernelINS0_14default_configENS1_38merge_sort_block_merge_config_selectorIsNS0_10empty_typeEEEZZNS1_27merge_sort_block_merge_implIS3_N6thrust23THRUST_200600_302600_NS6detail15normal_iteratorINS9_10device_ptrIsEEEEPS5_m11less_div_10IsEEE10hipError_tT0_T1_T2_jT3_P12ihipStream_tbPNSt15iterator_traitsISJ_E10value_typeEPNSP_ISK_E10value_typeEPSL_NS1_7vsmem_tEENKUlT_SJ_SK_SL_E_clIPsSE_SF_SF_EESI_SY_SJ_SK_SL_EUlSY_E1_NS1_11comp_targetILNS1_3genE8ELNS1_11target_archE1030ELNS1_3gpuE2ELNS1_3repE0EEENS1_36merge_oddeven_config_static_selectorELNS0_4arch9wavefront6targetE0EEEvSK_,comdat
	.protected	_ZN7rocprim17ROCPRIM_400000_NS6detail17trampoline_kernelINS0_14default_configENS1_38merge_sort_block_merge_config_selectorIsNS0_10empty_typeEEEZZNS1_27merge_sort_block_merge_implIS3_N6thrust23THRUST_200600_302600_NS6detail15normal_iteratorINS9_10device_ptrIsEEEEPS5_m11less_div_10IsEEE10hipError_tT0_T1_T2_jT3_P12ihipStream_tbPNSt15iterator_traitsISJ_E10value_typeEPNSP_ISK_E10value_typeEPSL_NS1_7vsmem_tEENKUlT_SJ_SK_SL_E_clIPsSE_SF_SF_EESI_SY_SJ_SK_SL_EUlSY_E1_NS1_11comp_targetILNS1_3genE8ELNS1_11target_archE1030ELNS1_3gpuE2ELNS1_3repE0EEENS1_36merge_oddeven_config_static_selectorELNS0_4arch9wavefront6targetE0EEEvSK_ ; -- Begin function _ZN7rocprim17ROCPRIM_400000_NS6detail17trampoline_kernelINS0_14default_configENS1_38merge_sort_block_merge_config_selectorIsNS0_10empty_typeEEEZZNS1_27merge_sort_block_merge_implIS3_N6thrust23THRUST_200600_302600_NS6detail15normal_iteratorINS9_10device_ptrIsEEEEPS5_m11less_div_10IsEEE10hipError_tT0_T1_T2_jT3_P12ihipStream_tbPNSt15iterator_traitsISJ_E10value_typeEPNSP_ISK_E10value_typeEPSL_NS1_7vsmem_tEENKUlT_SJ_SK_SL_E_clIPsSE_SF_SF_EESI_SY_SJ_SK_SL_EUlSY_E1_NS1_11comp_targetILNS1_3genE8ELNS1_11target_archE1030ELNS1_3gpuE2ELNS1_3repE0EEENS1_36merge_oddeven_config_static_selectorELNS0_4arch9wavefront6targetE0EEEvSK_
	.globl	_ZN7rocprim17ROCPRIM_400000_NS6detail17trampoline_kernelINS0_14default_configENS1_38merge_sort_block_merge_config_selectorIsNS0_10empty_typeEEEZZNS1_27merge_sort_block_merge_implIS3_N6thrust23THRUST_200600_302600_NS6detail15normal_iteratorINS9_10device_ptrIsEEEEPS5_m11less_div_10IsEEE10hipError_tT0_T1_T2_jT3_P12ihipStream_tbPNSt15iterator_traitsISJ_E10value_typeEPNSP_ISK_E10value_typeEPSL_NS1_7vsmem_tEENKUlT_SJ_SK_SL_E_clIPsSE_SF_SF_EESI_SY_SJ_SK_SL_EUlSY_E1_NS1_11comp_targetILNS1_3genE8ELNS1_11target_archE1030ELNS1_3gpuE2ELNS1_3repE0EEENS1_36merge_oddeven_config_static_selectorELNS0_4arch9wavefront6targetE0EEEvSK_
	.p2align	8
	.type	_ZN7rocprim17ROCPRIM_400000_NS6detail17trampoline_kernelINS0_14default_configENS1_38merge_sort_block_merge_config_selectorIsNS0_10empty_typeEEEZZNS1_27merge_sort_block_merge_implIS3_N6thrust23THRUST_200600_302600_NS6detail15normal_iteratorINS9_10device_ptrIsEEEEPS5_m11less_div_10IsEEE10hipError_tT0_T1_T2_jT3_P12ihipStream_tbPNSt15iterator_traitsISJ_E10value_typeEPNSP_ISK_E10value_typeEPSL_NS1_7vsmem_tEENKUlT_SJ_SK_SL_E_clIPsSE_SF_SF_EESI_SY_SJ_SK_SL_EUlSY_E1_NS1_11comp_targetILNS1_3genE8ELNS1_11target_archE1030ELNS1_3gpuE2ELNS1_3repE0EEENS1_36merge_oddeven_config_static_selectorELNS0_4arch9wavefront6targetE0EEEvSK_,@function
_ZN7rocprim17ROCPRIM_400000_NS6detail17trampoline_kernelINS0_14default_configENS1_38merge_sort_block_merge_config_selectorIsNS0_10empty_typeEEEZZNS1_27merge_sort_block_merge_implIS3_N6thrust23THRUST_200600_302600_NS6detail15normal_iteratorINS9_10device_ptrIsEEEEPS5_m11less_div_10IsEEE10hipError_tT0_T1_T2_jT3_P12ihipStream_tbPNSt15iterator_traitsISJ_E10value_typeEPNSP_ISK_E10value_typeEPSL_NS1_7vsmem_tEENKUlT_SJ_SK_SL_E_clIPsSE_SF_SF_EESI_SY_SJ_SK_SL_EUlSY_E1_NS1_11comp_targetILNS1_3genE8ELNS1_11target_archE1030ELNS1_3gpuE2ELNS1_3repE0EEENS1_36merge_oddeven_config_static_selectorELNS0_4arch9wavefront6targetE0EEEvSK_: ; @_ZN7rocprim17ROCPRIM_400000_NS6detail17trampoline_kernelINS0_14default_configENS1_38merge_sort_block_merge_config_selectorIsNS0_10empty_typeEEEZZNS1_27merge_sort_block_merge_implIS3_N6thrust23THRUST_200600_302600_NS6detail15normal_iteratorINS9_10device_ptrIsEEEEPS5_m11less_div_10IsEEE10hipError_tT0_T1_T2_jT3_P12ihipStream_tbPNSt15iterator_traitsISJ_E10value_typeEPNSP_ISK_E10value_typeEPSL_NS1_7vsmem_tEENKUlT_SJ_SK_SL_E_clIPsSE_SF_SF_EESI_SY_SJ_SK_SL_EUlSY_E1_NS1_11comp_targetILNS1_3genE8ELNS1_11target_archE1030ELNS1_3gpuE2ELNS1_3repE0EEENS1_36merge_oddeven_config_static_selectorELNS0_4arch9wavefront6targetE0EEEvSK_
; %bb.0:
	s_load_dword s7, s[4:5], 0x20
	s_waitcnt lgkmcnt(0)
	s_lshr_b32 s0, s7, 8
	s_cmp_lg_u32 s6, s0
	s_cselect_b32 s13, -1, 0
	s_cmp_eq_u32 s6, s0
	s_cselect_b32 s12, -1, 0
	s_lshl_b32 s2, s6, 8
	s_sub_i32 s0, s7, s2
	v_cmp_gt_u32_e64 s1, s0, v0
	s_or_b32 s0, s13, s1
	s_and_saveexec_b32 s3, s0
	s_cbranch_execz .LBB547_20
; %bb.1:
	s_load_dwordx4 s[8:11], s[4:5], 0x0
	s_mov_b32 s3, 0
	v_lshlrev_b32_e32 v1, 1, v0
	s_lshl_b64 s[14:15], s[2:3], 1
	s_load_dword s5, s[4:5], 0x28
	v_add_nc_u32_e32 v0, s2, v0
	s_waitcnt lgkmcnt(0)
	s_add_u32 s14, s8, s14
	s_addc_u32 s15, s9, s15
	global_load_ushort v2, v1, s[14:15]
	s_lshr_b32 s0, s5, 8
	s_sub_i32 s4, 0, s0
	s_and_b32 s4, s6, s4
	s_and_b32 s0, s4, s0
	s_lshl_b32 s6, s4, 8
	s_sub_i32 s4, 0, s5
	s_cmp_eq_u32 s0, 0
	s_cselect_b32 s0, -1, 0
	s_and_b32 s14, s0, exec_lo
	s_cselect_b32 s4, s5, s4
	s_add_i32 s4, s4, s6
	s_cmp_lt_u32 s4, s7
	s_cbranch_scc1 .LBB547_3
; %bb.2:
	v_cmp_gt_u32_e32 vcc_lo, s7, v0
	s_or_b32 s3, vcc_lo, s13
	s_and_b32 s3, s3, exec_lo
	s_cbranch_execz .LBB547_4
	s_branch .LBB547_18
.LBB547_3:
.LBB547_4:
	v_mov_b32_e32 v1, 0x6667
	s_min_u32 s2, s4, s7
	s_and_b32 vcc_lo, exec_lo, s12
	s_add_i32 s13, s6, s2
	s_min_u32 s6, s6, s2
	s_waitcnt vmcnt(0)
	v_mul_i32_i24_sdwa v1, sext(v2), v1 dst_sel:DWORD dst_unused:UNUSED_PAD src0_sel:WORD_0 src1_sel:DWORD
	v_subrev_nc_u32_e32 v0, s13, v0
	s_add_i32 s5, s2, s5
	s_min_u32 s5, s5, s7
	v_lshrrev_b32_e32 v3, 31, v1
	v_ashrrev_i32_e32 v4, 18, v1
	v_add_nc_u32_e32 v1, s6, v0
	v_add_nc_u16 v3, v4, v3
	s_cbranch_vccz .LBB547_12
; %bb.5:
                                        ; implicit-def: $vgpr0
	s_and_saveexec_b32 s6, s1
	s_cbranch_execz .LBB547_11
; %bb.6:
	v_mov_b32_e32 v0, s2
	s_cmp_ge_u32 s4, s5
	s_cbranch_scc1 .LBB547_10
; %bb.7:
	v_mov_b32_e32 v4, s5
	v_mov_b32_e32 v0, s2
	s_mov_b32 s1, 0
	.p2align	6
.LBB547_8:                              ; =>This Inner Loop Header: Depth=1
	v_add_nc_u32_e32 v5, v0, v4
	v_and_b32_e32 v6, -2, v5
	v_lshrrev_b32_e32 v5, 1, v5
	global_load_sshort v6, v6, s[8:9]
	s_waitcnt vmcnt(0)
	v_mul_i32_i24_e32 v6, 0x6667, v6
	v_lshrrev_b32_e32 v7, 31, v6
	v_ashrrev_i32_e32 v6, 18, v6
	v_add_nc_u16 v6, v6, v7
	v_cmp_lt_i16_e32 vcc_lo, v6, v3
	v_cndmask_b32_e64 v7, 0, 1, vcc_lo
	v_cmp_ge_i16_e32 vcc_lo, v3, v6
	v_cndmask_b32_e64 v6, 0, 1, vcc_lo
	v_cndmask_b32_e64 v6, v6, v7, s0
	v_add_nc_u32_e32 v7, 1, v5
	v_and_b32_e32 v6, 1, v6
	v_cmp_eq_u32_e32 vcc_lo, 1, v6
	v_cndmask_b32_e32 v4, v5, v4, vcc_lo
	v_cndmask_b32_e32 v0, v0, v7, vcc_lo
	v_cmp_ge_u32_e32 vcc_lo, v0, v4
	s_or_b32 s1, vcc_lo, s1
	s_andn2_b32 exec_lo, exec_lo, s1
	s_cbranch_execnz .LBB547_8
; %bb.9:
	s_or_b32 exec_lo, exec_lo, s1
.LBB547_10:
	v_add_nc_u32_e32 v0, v0, v1
	s_or_b32 s3, s3, exec_lo
.LBB547_11:
	s_or_b32 exec_lo, exec_lo, s6
	s_branch .LBB547_18
.LBB547_12:
                                        ; implicit-def: $vgpr0
	s_cbranch_execz .LBB547_18
; %bb.13:
	v_mov_b32_e32 v0, s2
	s_cmp_ge_u32 s4, s5
	s_cbranch_scc1 .LBB547_17
; %bb.14:
	v_mov_b32_e32 v4, s5
	v_mov_b32_e32 v0, s2
	s_mov_b32 s1, 0
	.p2align	6
.LBB547_15:                             ; =>This Inner Loop Header: Depth=1
	v_add_nc_u32_e32 v5, v0, v4
	v_and_b32_e32 v6, -2, v5
	v_lshrrev_b32_e32 v5, 1, v5
	global_load_sshort v6, v6, s[8:9]
	s_waitcnt vmcnt(0)
	v_mul_i32_i24_e32 v6, 0x6667, v6
	v_lshrrev_b32_e32 v7, 31, v6
	v_ashrrev_i32_e32 v6, 18, v6
	v_add_nc_u16 v6, v6, v7
	v_cmp_lt_i16_e32 vcc_lo, v6, v3
	v_cndmask_b32_e64 v7, 0, 1, vcc_lo
	v_cmp_ge_i16_e32 vcc_lo, v3, v6
	v_cndmask_b32_e64 v6, 0, 1, vcc_lo
	v_cndmask_b32_e64 v6, v6, v7, s0
	v_add_nc_u32_e32 v7, 1, v5
	v_and_b32_e32 v6, 1, v6
	v_cmp_eq_u32_e32 vcc_lo, 1, v6
	v_cndmask_b32_e32 v4, v5, v4, vcc_lo
	v_cndmask_b32_e32 v0, v0, v7, vcc_lo
	v_cmp_ge_u32_e32 vcc_lo, v0, v4
	s_or_b32 s1, vcc_lo, s1
	s_andn2_b32 exec_lo, exec_lo, s1
	s_cbranch_execnz .LBB547_15
; %bb.16:
	s_or_b32 exec_lo, exec_lo, s1
.LBB547_17:
	v_add_nc_u32_e32 v0, v0, v1
	s_mov_b32 s3, -1
.LBB547_18:
	s_and_b32 exec_lo, exec_lo, s3
	s_cbranch_execz .LBB547_20
; %bb.19:
	v_mov_b32_e32 v1, 0
	v_lshlrev_b64 v[0:1], 1, v[0:1]
	v_add_co_u32 v0, vcc_lo, s10, v0
	v_add_co_ci_u32_e64 v1, null, s11, v1, vcc_lo
	s_waitcnt vmcnt(0)
	global_store_short v[0:1], v2, off
.LBB547_20:
	s_endpgm
	.section	.rodata,"a",@progbits
	.p2align	6, 0x0
	.amdhsa_kernel _ZN7rocprim17ROCPRIM_400000_NS6detail17trampoline_kernelINS0_14default_configENS1_38merge_sort_block_merge_config_selectorIsNS0_10empty_typeEEEZZNS1_27merge_sort_block_merge_implIS3_N6thrust23THRUST_200600_302600_NS6detail15normal_iteratorINS9_10device_ptrIsEEEEPS5_m11less_div_10IsEEE10hipError_tT0_T1_T2_jT3_P12ihipStream_tbPNSt15iterator_traitsISJ_E10value_typeEPNSP_ISK_E10value_typeEPSL_NS1_7vsmem_tEENKUlT_SJ_SK_SL_E_clIPsSE_SF_SF_EESI_SY_SJ_SK_SL_EUlSY_E1_NS1_11comp_targetILNS1_3genE8ELNS1_11target_archE1030ELNS1_3gpuE2ELNS1_3repE0EEENS1_36merge_oddeven_config_static_selectorELNS0_4arch9wavefront6targetE0EEEvSK_
		.amdhsa_group_segment_fixed_size 0
		.amdhsa_private_segment_fixed_size 0
		.amdhsa_kernarg_size 56
		.amdhsa_user_sgpr_count 6
		.amdhsa_user_sgpr_private_segment_buffer 1
		.amdhsa_user_sgpr_dispatch_ptr 0
		.amdhsa_user_sgpr_queue_ptr 0
		.amdhsa_user_sgpr_kernarg_segment_ptr 1
		.amdhsa_user_sgpr_dispatch_id 0
		.amdhsa_user_sgpr_flat_scratch_init 0
		.amdhsa_user_sgpr_private_segment_size 0
		.amdhsa_wavefront_size32 1
		.amdhsa_uses_dynamic_stack 0
		.amdhsa_system_sgpr_private_segment_wavefront_offset 0
		.amdhsa_system_sgpr_workgroup_id_x 1
		.amdhsa_system_sgpr_workgroup_id_y 0
		.amdhsa_system_sgpr_workgroup_id_z 0
		.amdhsa_system_sgpr_workgroup_info 0
		.amdhsa_system_vgpr_workitem_id 0
		.amdhsa_next_free_vgpr 8
		.amdhsa_next_free_sgpr 16
		.amdhsa_reserve_vcc 1
		.amdhsa_reserve_flat_scratch 0
		.amdhsa_float_round_mode_32 0
		.amdhsa_float_round_mode_16_64 0
		.amdhsa_float_denorm_mode_32 3
		.amdhsa_float_denorm_mode_16_64 3
		.amdhsa_dx10_clamp 1
		.amdhsa_ieee_mode 1
		.amdhsa_fp16_overflow 0
		.amdhsa_workgroup_processor_mode 1
		.amdhsa_memory_ordered 1
		.amdhsa_forward_progress 1
		.amdhsa_shared_vgpr_count 0
		.amdhsa_exception_fp_ieee_invalid_op 0
		.amdhsa_exception_fp_denorm_src 0
		.amdhsa_exception_fp_ieee_div_zero 0
		.amdhsa_exception_fp_ieee_overflow 0
		.amdhsa_exception_fp_ieee_underflow 0
		.amdhsa_exception_fp_ieee_inexact 0
		.amdhsa_exception_int_div_zero 0
	.end_amdhsa_kernel
	.section	.text._ZN7rocprim17ROCPRIM_400000_NS6detail17trampoline_kernelINS0_14default_configENS1_38merge_sort_block_merge_config_selectorIsNS0_10empty_typeEEEZZNS1_27merge_sort_block_merge_implIS3_N6thrust23THRUST_200600_302600_NS6detail15normal_iteratorINS9_10device_ptrIsEEEEPS5_m11less_div_10IsEEE10hipError_tT0_T1_T2_jT3_P12ihipStream_tbPNSt15iterator_traitsISJ_E10value_typeEPNSP_ISK_E10value_typeEPSL_NS1_7vsmem_tEENKUlT_SJ_SK_SL_E_clIPsSE_SF_SF_EESI_SY_SJ_SK_SL_EUlSY_E1_NS1_11comp_targetILNS1_3genE8ELNS1_11target_archE1030ELNS1_3gpuE2ELNS1_3repE0EEENS1_36merge_oddeven_config_static_selectorELNS0_4arch9wavefront6targetE0EEEvSK_,"axG",@progbits,_ZN7rocprim17ROCPRIM_400000_NS6detail17trampoline_kernelINS0_14default_configENS1_38merge_sort_block_merge_config_selectorIsNS0_10empty_typeEEEZZNS1_27merge_sort_block_merge_implIS3_N6thrust23THRUST_200600_302600_NS6detail15normal_iteratorINS9_10device_ptrIsEEEEPS5_m11less_div_10IsEEE10hipError_tT0_T1_T2_jT3_P12ihipStream_tbPNSt15iterator_traitsISJ_E10value_typeEPNSP_ISK_E10value_typeEPSL_NS1_7vsmem_tEENKUlT_SJ_SK_SL_E_clIPsSE_SF_SF_EESI_SY_SJ_SK_SL_EUlSY_E1_NS1_11comp_targetILNS1_3genE8ELNS1_11target_archE1030ELNS1_3gpuE2ELNS1_3repE0EEENS1_36merge_oddeven_config_static_selectorELNS0_4arch9wavefront6targetE0EEEvSK_,comdat
.Lfunc_end547:
	.size	_ZN7rocprim17ROCPRIM_400000_NS6detail17trampoline_kernelINS0_14default_configENS1_38merge_sort_block_merge_config_selectorIsNS0_10empty_typeEEEZZNS1_27merge_sort_block_merge_implIS3_N6thrust23THRUST_200600_302600_NS6detail15normal_iteratorINS9_10device_ptrIsEEEEPS5_m11less_div_10IsEEE10hipError_tT0_T1_T2_jT3_P12ihipStream_tbPNSt15iterator_traitsISJ_E10value_typeEPNSP_ISK_E10value_typeEPSL_NS1_7vsmem_tEENKUlT_SJ_SK_SL_E_clIPsSE_SF_SF_EESI_SY_SJ_SK_SL_EUlSY_E1_NS1_11comp_targetILNS1_3genE8ELNS1_11target_archE1030ELNS1_3gpuE2ELNS1_3repE0EEENS1_36merge_oddeven_config_static_selectorELNS0_4arch9wavefront6targetE0EEEvSK_, .Lfunc_end547-_ZN7rocprim17ROCPRIM_400000_NS6detail17trampoline_kernelINS0_14default_configENS1_38merge_sort_block_merge_config_selectorIsNS0_10empty_typeEEEZZNS1_27merge_sort_block_merge_implIS3_N6thrust23THRUST_200600_302600_NS6detail15normal_iteratorINS9_10device_ptrIsEEEEPS5_m11less_div_10IsEEE10hipError_tT0_T1_T2_jT3_P12ihipStream_tbPNSt15iterator_traitsISJ_E10value_typeEPNSP_ISK_E10value_typeEPSL_NS1_7vsmem_tEENKUlT_SJ_SK_SL_E_clIPsSE_SF_SF_EESI_SY_SJ_SK_SL_EUlSY_E1_NS1_11comp_targetILNS1_3genE8ELNS1_11target_archE1030ELNS1_3gpuE2ELNS1_3repE0EEENS1_36merge_oddeven_config_static_selectorELNS0_4arch9wavefront6targetE0EEEvSK_
                                        ; -- End function
	.set _ZN7rocprim17ROCPRIM_400000_NS6detail17trampoline_kernelINS0_14default_configENS1_38merge_sort_block_merge_config_selectorIsNS0_10empty_typeEEEZZNS1_27merge_sort_block_merge_implIS3_N6thrust23THRUST_200600_302600_NS6detail15normal_iteratorINS9_10device_ptrIsEEEEPS5_m11less_div_10IsEEE10hipError_tT0_T1_T2_jT3_P12ihipStream_tbPNSt15iterator_traitsISJ_E10value_typeEPNSP_ISK_E10value_typeEPSL_NS1_7vsmem_tEENKUlT_SJ_SK_SL_E_clIPsSE_SF_SF_EESI_SY_SJ_SK_SL_EUlSY_E1_NS1_11comp_targetILNS1_3genE8ELNS1_11target_archE1030ELNS1_3gpuE2ELNS1_3repE0EEENS1_36merge_oddeven_config_static_selectorELNS0_4arch9wavefront6targetE0EEEvSK_.num_vgpr, 8
	.set _ZN7rocprim17ROCPRIM_400000_NS6detail17trampoline_kernelINS0_14default_configENS1_38merge_sort_block_merge_config_selectorIsNS0_10empty_typeEEEZZNS1_27merge_sort_block_merge_implIS3_N6thrust23THRUST_200600_302600_NS6detail15normal_iteratorINS9_10device_ptrIsEEEEPS5_m11less_div_10IsEEE10hipError_tT0_T1_T2_jT3_P12ihipStream_tbPNSt15iterator_traitsISJ_E10value_typeEPNSP_ISK_E10value_typeEPSL_NS1_7vsmem_tEENKUlT_SJ_SK_SL_E_clIPsSE_SF_SF_EESI_SY_SJ_SK_SL_EUlSY_E1_NS1_11comp_targetILNS1_3genE8ELNS1_11target_archE1030ELNS1_3gpuE2ELNS1_3repE0EEENS1_36merge_oddeven_config_static_selectorELNS0_4arch9wavefront6targetE0EEEvSK_.num_agpr, 0
	.set _ZN7rocprim17ROCPRIM_400000_NS6detail17trampoline_kernelINS0_14default_configENS1_38merge_sort_block_merge_config_selectorIsNS0_10empty_typeEEEZZNS1_27merge_sort_block_merge_implIS3_N6thrust23THRUST_200600_302600_NS6detail15normal_iteratorINS9_10device_ptrIsEEEEPS5_m11less_div_10IsEEE10hipError_tT0_T1_T2_jT3_P12ihipStream_tbPNSt15iterator_traitsISJ_E10value_typeEPNSP_ISK_E10value_typeEPSL_NS1_7vsmem_tEENKUlT_SJ_SK_SL_E_clIPsSE_SF_SF_EESI_SY_SJ_SK_SL_EUlSY_E1_NS1_11comp_targetILNS1_3genE8ELNS1_11target_archE1030ELNS1_3gpuE2ELNS1_3repE0EEENS1_36merge_oddeven_config_static_selectorELNS0_4arch9wavefront6targetE0EEEvSK_.numbered_sgpr, 16
	.set _ZN7rocprim17ROCPRIM_400000_NS6detail17trampoline_kernelINS0_14default_configENS1_38merge_sort_block_merge_config_selectorIsNS0_10empty_typeEEEZZNS1_27merge_sort_block_merge_implIS3_N6thrust23THRUST_200600_302600_NS6detail15normal_iteratorINS9_10device_ptrIsEEEEPS5_m11less_div_10IsEEE10hipError_tT0_T1_T2_jT3_P12ihipStream_tbPNSt15iterator_traitsISJ_E10value_typeEPNSP_ISK_E10value_typeEPSL_NS1_7vsmem_tEENKUlT_SJ_SK_SL_E_clIPsSE_SF_SF_EESI_SY_SJ_SK_SL_EUlSY_E1_NS1_11comp_targetILNS1_3genE8ELNS1_11target_archE1030ELNS1_3gpuE2ELNS1_3repE0EEENS1_36merge_oddeven_config_static_selectorELNS0_4arch9wavefront6targetE0EEEvSK_.num_named_barrier, 0
	.set _ZN7rocprim17ROCPRIM_400000_NS6detail17trampoline_kernelINS0_14default_configENS1_38merge_sort_block_merge_config_selectorIsNS0_10empty_typeEEEZZNS1_27merge_sort_block_merge_implIS3_N6thrust23THRUST_200600_302600_NS6detail15normal_iteratorINS9_10device_ptrIsEEEEPS5_m11less_div_10IsEEE10hipError_tT0_T1_T2_jT3_P12ihipStream_tbPNSt15iterator_traitsISJ_E10value_typeEPNSP_ISK_E10value_typeEPSL_NS1_7vsmem_tEENKUlT_SJ_SK_SL_E_clIPsSE_SF_SF_EESI_SY_SJ_SK_SL_EUlSY_E1_NS1_11comp_targetILNS1_3genE8ELNS1_11target_archE1030ELNS1_3gpuE2ELNS1_3repE0EEENS1_36merge_oddeven_config_static_selectorELNS0_4arch9wavefront6targetE0EEEvSK_.private_seg_size, 0
	.set _ZN7rocprim17ROCPRIM_400000_NS6detail17trampoline_kernelINS0_14default_configENS1_38merge_sort_block_merge_config_selectorIsNS0_10empty_typeEEEZZNS1_27merge_sort_block_merge_implIS3_N6thrust23THRUST_200600_302600_NS6detail15normal_iteratorINS9_10device_ptrIsEEEEPS5_m11less_div_10IsEEE10hipError_tT0_T1_T2_jT3_P12ihipStream_tbPNSt15iterator_traitsISJ_E10value_typeEPNSP_ISK_E10value_typeEPSL_NS1_7vsmem_tEENKUlT_SJ_SK_SL_E_clIPsSE_SF_SF_EESI_SY_SJ_SK_SL_EUlSY_E1_NS1_11comp_targetILNS1_3genE8ELNS1_11target_archE1030ELNS1_3gpuE2ELNS1_3repE0EEENS1_36merge_oddeven_config_static_selectorELNS0_4arch9wavefront6targetE0EEEvSK_.uses_vcc, 1
	.set _ZN7rocprim17ROCPRIM_400000_NS6detail17trampoline_kernelINS0_14default_configENS1_38merge_sort_block_merge_config_selectorIsNS0_10empty_typeEEEZZNS1_27merge_sort_block_merge_implIS3_N6thrust23THRUST_200600_302600_NS6detail15normal_iteratorINS9_10device_ptrIsEEEEPS5_m11less_div_10IsEEE10hipError_tT0_T1_T2_jT3_P12ihipStream_tbPNSt15iterator_traitsISJ_E10value_typeEPNSP_ISK_E10value_typeEPSL_NS1_7vsmem_tEENKUlT_SJ_SK_SL_E_clIPsSE_SF_SF_EESI_SY_SJ_SK_SL_EUlSY_E1_NS1_11comp_targetILNS1_3genE8ELNS1_11target_archE1030ELNS1_3gpuE2ELNS1_3repE0EEENS1_36merge_oddeven_config_static_selectorELNS0_4arch9wavefront6targetE0EEEvSK_.uses_flat_scratch, 0
	.set _ZN7rocprim17ROCPRIM_400000_NS6detail17trampoline_kernelINS0_14default_configENS1_38merge_sort_block_merge_config_selectorIsNS0_10empty_typeEEEZZNS1_27merge_sort_block_merge_implIS3_N6thrust23THRUST_200600_302600_NS6detail15normal_iteratorINS9_10device_ptrIsEEEEPS5_m11less_div_10IsEEE10hipError_tT0_T1_T2_jT3_P12ihipStream_tbPNSt15iterator_traitsISJ_E10value_typeEPNSP_ISK_E10value_typeEPSL_NS1_7vsmem_tEENKUlT_SJ_SK_SL_E_clIPsSE_SF_SF_EESI_SY_SJ_SK_SL_EUlSY_E1_NS1_11comp_targetILNS1_3genE8ELNS1_11target_archE1030ELNS1_3gpuE2ELNS1_3repE0EEENS1_36merge_oddeven_config_static_selectorELNS0_4arch9wavefront6targetE0EEEvSK_.has_dyn_sized_stack, 0
	.set _ZN7rocprim17ROCPRIM_400000_NS6detail17trampoline_kernelINS0_14default_configENS1_38merge_sort_block_merge_config_selectorIsNS0_10empty_typeEEEZZNS1_27merge_sort_block_merge_implIS3_N6thrust23THRUST_200600_302600_NS6detail15normal_iteratorINS9_10device_ptrIsEEEEPS5_m11less_div_10IsEEE10hipError_tT0_T1_T2_jT3_P12ihipStream_tbPNSt15iterator_traitsISJ_E10value_typeEPNSP_ISK_E10value_typeEPSL_NS1_7vsmem_tEENKUlT_SJ_SK_SL_E_clIPsSE_SF_SF_EESI_SY_SJ_SK_SL_EUlSY_E1_NS1_11comp_targetILNS1_3genE8ELNS1_11target_archE1030ELNS1_3gpuE2ELNS1_3repE0EEENS1_36merge_oddeven_config_static_selectorELNS0_4arch9wavefront6targetE0EEEvSK_.has_recursion, 0
	.set _ZN7rocprim17ROCPRIM_400000_NS6detail17trampoline_kernelINS0_14default_configENS1_38merge_sort_block_merge_config_selectorIsNS0_10empty_typeEEEZZNS1_27merge_sort_block_merge_implIS3_N6thrust23THRUST_200600_302600_NS6detail15normal_iteratorINS9_10device_ptrIsEEEEPS5_m11less_div_10IsEEE10hipError_tT0_T1_T2_jT3_P12ihipStream_tbPNSt15iterator_traitsISJ_E10value_typeEPNSP_ISK_E10value_typeEPSL_NS1_7vsmem_tEENKUlT_SJ_SK_SL_E_clIPsSE_SF_SF_EESI_SY_SJ_SK_SL_EUlSY_E1_NS1_11comp_targetILNS1_3genE8ELNS1_11target_archE1030ELNS1_3gpuE2ELNS1_3repE0EEENS1_36merge_oddeven_config_static_selectorELNS0_4arch9wavefront6targetE0EEEvSK_.has_indirect_call, 0
	.section	.AMDGPU.csdata,"",@progbits
; Kernel info:
; codeLenInByte = 692
; TotalNumSgprs: 18
; NumVgprs: 8
; ScratchSize: 0
; MemoryBound: 0
; FloatMode: 240
; IeeeMode: 1
; LDSByteSize: 0 bytes/workgroup (compile time only)
; SGPRBlocks: 0
; VGPRBlocks: 0
; NumSGPRsForWavesPerEU: 18
; NumVGPRsForWavesPerEU: 8
; Occupancy: 16
; WaveLimiterHint : 0
; COMPUTE_PGM_RSRC2:SCRATCH_EN: 0
; COMPUTE_PGM_RSRC2:USER_SGPR: 6
; COMPUTE_PGM_RSRC2:TRAP_HANDLER: 0
; COMPUTE_PGM_RSRC2:TGID_X_EN: 1
; COMPUTE_PGM_RSRC2:TGID_Y_EN: 0
; COMPUTE_PGM_RSRC2:TGID_Z_EN: 0
; COMPUTE_PGM_RSRC2:TIDIG_COMP_CNT: 0
	.section	.text._ZN7rocprim17ROCPRIM_400000_NS6detail17trampoline_kernelINS0_14default_configENS1_38merge_sort_block_merge_config_selectorIsNS0_10empty_typeEEEZZNS1_27merge_sort_block_merge_implIS3_N6thrust23THRUST_200600_302600_NS6detail15normal_iteratorINS9_10device_ptrIsEEEEPS5_m11less_div_10IsEEE10hipError_tT0_T1_T2_jT3_P12ihipStream_tbPNSt15iterator_traitsISJ_E10value_typeEPNSP_ISK_E10value_typeEPSL_NS1_7vsmem_tEENKUlT_SJ_SK_SL_E_clISE_PsSF_SF_EESI_SY_SJ_SK_SL_EUlSY_E_NS1_11comp_targetILNS1_3genE0ELNS1_11target_archE4294967295ELNS1_3gpuE0ELNS1_3repE0EEENS1_48merge_mergepath_partition_config_static_selectorELNS0_4arch9wavefront6targetE0EEEvSK_,"axG",@progbits,_ZN7rocprim17ROCPRIM_400000_NS6detail17trampoline_kernelINS0_14default_configENS1_38merge_sort_block_merge_config_selectorIsNS0_10empty_typeEEEZZNS1_27merge_sort_block_merge_implIS3_N6thrust23THRUST_200600_302600_NS6detail15normal_iteratorINS9_10device_ptrIsEEEEPS5_m11less_div_10IsEEE10hipError_tT0_T1_T2_jT3_P12ihipStream_tbPNSt15iterator_traitsISJ_E10value_typeEPNSP_ISK_E10value_typeEPSL_NS1_7vsmem_tEENKUlT_SJ_SK_SL_E_clISE_PsSF_SF_EESI_SY_SJ_SK_SL_EUlSY_E_NS1_11comp_targetILNS1_3genE0ELNS1_11target_archE4294967295ELNS1_3gpuE0ELNS1_3repE0EEENS1_48merge_mergepath_partition_config_static_selectorELNS0_4arch9wavefront6targetE0EEEvSK_,comdat
	.protected	_ZN7rocprim17ROCPRIM_400000_NS6detail17trampoline_kernelINS0_14default_configENS1_38merge_sort_block_merge_config_selectorIsNS0_10empty_typeEEEZZNS1_27merge_sort_block_merge_implIS3_N6thrust23THRUST_200600_302600_NS6detail15normal_iteratorINS9_10device_ptrIsEEEEPS5_m11less_div_10IsEEE10hipError_tT0_T1_T2_jT3_P12ihipStream_tbPNSt15iterator_traitsISJ_E10value_typeEPNSP_ISK_E10value_typeEPSL_NS1_7vsmem_tEENKUlT_SJ_SK_SL_E_clISE_PsSF_SF_EESI_SY_SJ_SK_SL_EUlSY_E_NS1_11comp_targetILNS1_3genE0ELNS1_11target_archE4294967295ELNS1_3gpuE0ELNS1_3repE0EEENS1_48merge_mergepath_partition_config_static_selectorELNS0_4arch9wavefront6targetE0EEEvSK_ ; -- Begin function _ZN7rocprim17ROCPRIM_400000_NS6detail17trampoline_kernelINS0_14default_configENS1_38merge_sort_block_merge_config_selectorIsNS0_10empty_typeEEEZZNS1_27merge_sort_block_merge_implIS3_N6thrust23THRUST_200600_302600_NS6detail15normal_iteratorINS9_10device_ptrIsEEEEPS5_m11less_div_10IsEEE10hipError_tT0_T1_T2_jT3_P12ihipStream_tbPNSt15iterator_traitsISJ_E10value_typeEPNSP_ISK_E10value_typeEPSL_NS1_7vsmem_tEENKUlT_SJ_SK_SL_E_clISE_PsSF_SF_EESI_SY_SJ_SK_SL_EUlSY_E_NS1_11comp_targetILNS1_3genE0ELNS1_11target_archE4294967295ELNS1_3gpuE0ELNS1_3repE0EEENS1_48merge_mergepath_partition_config_static_selectorELNS0_4arch9wavefront6targetE0EEEvSK_
	.globl	_ZN7rocprim17ROCPRIM_400000_NS6detail17trampoline_kernelINS0_14default_configENS1_38merge_sort_block_merge_config_selectorIsNS0_10empty_typeEEEZZNS1_27merge_sort_block_merge_implIS3_N6thrust23THRUST_200600_302600_NS6detail15normal_iteratorINS9_10device_ptrIsEEEEPS5_m11less_div_10IsEEE10hipError_tT0_T1_T2_jT3_P12ihipStream_tbPNSt15iterator_traitsISJ_E10value_typeEPNSP_ISK_E10value_typeEPSL_NS1_7vsmem_tEENKUlT_SJ_SK_SL_E_clISE_PsSF_SF_EESI_SY_SJ_SK_SL_EUlSY_E_NS1_11comp_targetILNS1_3genE0ELNS1_11target_archE4294967295ELNS1_3gpuE0ELNS1_3repE0EEENS1_48merge_mergepath_partition_config_static_selectorELNS0_4arch9wavefront6targetE0EEEvSK_
	.p2align	8
	.type	_ZN7rocprim17ROCPRIM_400000_NS6detail17trampoline_kernelINS0_14default_configENS1_38merge_sort_block_merge_config_selectorIsNS0_10empty_typeEEEZZNS1_27merge_sort_block_merge_implIS3_N6thrust23THRUST_200600_302600_NS6detail15normal_iteratorINS9_10device_ptrIsEEEEPS5_m11less_div_10IsEEE10hipError_tT0_T1_T2_jT3_P12ihipStream_tbPNSt15iterator_traitsISJ_E10value_typeEPNSP_ISK_E10value_typeEPSL_NS1_7vsmem_tEENKUlT_SJ_SK_SL_E_clISE_PsSF_SF_EESI_SY_SJ_SK_SL_EUlSY_E_NS1_11comp_targetILNS1_3genE0ELNS1_11target_archE4294967295ELNS1_3gpuE0ELNS1_3repE0EEENS1_48merge_mergepath_partition_config_static_selectorELNS0_4arch9wavefront6targetE0EEEvSK_,@function
_ZN7rocprim17ROCPRIM_400000_NS6detail17trampoline_kernelINS0_14default_configENS1_38merge_sort_block_merge_config_selectorIsNS0_10empty_typeEEEZZNS1_27merge_sort_block_merge_implIS3_N6thrust23THRUST_200600_302600_NS6detail15normal_iteratorINS9_10device_ptrIsEEEEPS5_m11less_div_10IsEEE10hipError_tT0_T1_T2_jT3_P12ihipStream_tbPNSt15iterator_traitsISJ_E10value_typeEPNSP_ISK_E10value_typeEPSL_NS1_7vsmem_tEENKUlT_SJ_SK_SL_E_clISE_PsSF_SF_EESI_SY_SJ_SK_SL_EUlSY_E_NS1_11comp_targetILNS1_3genE0ELNS1_11target_archE4294967295ELNS1_3gpuE0ELNS1_3repE0EEENS1_48merge_mergepath_partition_config_static_selectorELNS0_4arch9wavefront6targetE0EEEvSK_: ; @_ZN7rocprim17ROCPRIM_400000_NS6detail17trampoline_kernelINS0_14default_configENS1_38merge_sort_block_merge_config_selectorIsNS0_10empty_typeEEEZZNS1_27merge_sort_block_merge_implIS3_N6thrust23THRUST_200600_302600_NS6detail15normal_iteratorINS9_10device_ptrIsEEEEPS5_m11less_div_10IsEEE10hipError_tT0_T1_T2_jT3_P12ihipStream_tbPNSt15iterator_traitsISJ_E10value_typeEPNSP_ISK_E10value_typeEPSL_NS1_7vsmem_tEENKUlT_SJ_SK_SL_E_clISE_PsSF_SF_EESI_SY_SJ_SK_SL_EUlSY_E_NS1_11comp_targetILNS1_3genE0ELNS1_11target_archE4294967295ELNS1_3gpuE0ELNS1_3repE0EEENS1_48merge_mergepath_partition_config_static_selectorELNS0_4arch9wavefront6targetE0EEEvSK_
; %bb.0:
	.section	.rodata,"a",@progbits
	.p2align	6, 0x0
	.amdhsa_kernel _ZN7rocprim17ROCPRIM_400000_NS6detail17trampoline_kernelINS0_14default_configENS1_38merge_sort_block_merge_config_selectorIsNS0_10empty_typeEEEZZNS1_27merge_sort_block_merge_implIS3_N6thrust23THRUST_200600_302600_NS6detail15normal_iteratorINS9_10device_ptrIsEEEEPS5_m11less_div_10IsEEE10hipError_tT0_T1_T2_jT3_P12ihipStream_tbPNSt15iterator_traitsISJ_E10value_typeEPNSP_ISK_E10value_typeEPSL_NS1_7vsmem_tEENKUlT_SJ_SK_SL_E_clISE_PsSF_SF_EESI_SY_SJ_SK_SL_EUlSY_E_NS1_11comp_targetILNS1_3genE0ELNS1_11target_archE4294967295ELNS1_3gpuE0ELNS1_3repE0EEENS1_48merge_mergepath_partition_config_static_selectorELNS0_4arch9wavefront6targetE0EEEvSK_
		.amdhsa_group_segment_fixed_size 0
		.amdhsa_private_segment_fixed_size 0
		.amdhsa_kernarg_size 48
		.amdhsa_user_sgpr_count 6
		.amdhsa_user_sgpr_private_segment_buffer 1
		.amdhsa_user_sgpr_dispatch_ptr 0
		.amdhsa_user_sgpr_queue_ptr 0
		.amdhsa_user_sgpr_kernarg_segment_ptr 1
		.amdhsa_user_sgpr_dispatch_id 0
		.amdhsa_user_sgpr_flat_scratch_init 0
		.amdhsa_user_sgpr_private_segment_size 0
		.amdhsa_wavefront_size32 1
		.amdhsa_uses_dynamic_stack 0
		.amdhsa_system_sgpr_private_segment_wavefront_offset 0
		.amdhsa_system_sgpr_workgroup_id_x 1
		.amdhsa_system_sgpr_workgroup_id_y 0
		.amdhsa_system_sgpr_workgroup_id_z 0
		.amdhsa_system_sgpr_workgroup_info 0
		.amdhsa_system_vgpr_workitem_id 0
		.amdhsa_next_free_vgpr 1
		.amdhsa_next_free_sgpr 1
		.amdhsa_reserve_vcc 0
		.amdhsa_reserve_flat_scratch 0
		.amdhsa_float_round_mode_32 0
		.amdhsa_float_round_mode_16_64 0
		.amdhsa_float_denorm_mode_32 3
		.amdhsa_float_denorm_mode_16_64 3
		.amdhsa_dx10_clamp 1
		.amdhsa_ieee_mode 1
		.amdhsa_fp16_overflow 0
		.amdhsa_workgroup_processor_mode 1
		.amdhsa_memory_ordered 1
		.amdhsa_forward_progress 1
		.amdhsa_shared_vgpr_count 0
		.amdhsa_exception_fp_ieee_invalid_op 0
		.amdhsa_exception_fp_denorm_src 0
		.amdhsa_exception_fp_ieee_div_zero 0
		.amdhsa_exception_fp_ieee_overflow 0
		.amdhsa_exception_fp_ieee_underflow 0
		.amdhsa_exception_fp_ieee_inexact 0
		.amdhsa_exception_int_div_zero 0
	.end_amdhsa_kernel
	.section	.text._ZN7rocprim17ROCPRIM_400000_NS6detail17trampoline_kernelINS0_14default_configENS1_38merge_sort_block_merge_config_selectorIsNS0_10empty_typeEEEZZNS1_27merge_sort_block_merge_implIS3_N6thrust23THRUST_200600_302600_NS6detail15normal_iteratorINS9_10device_ptrIsEEEEPS5_m11less_div_10IsEEE10hipError_tT0_T1_T2_jT3_P12ihipStream_tbPNSt15iterator_traitsISJ_E10value_typeEPNSP_ISK_E10value_typeEPSL_NS1_7vsmem_tEENKUlT_SJ_SK_SL_E_clISE_PsSF_SF_EESI_SY_SJ_SK_SL_EUlSY_E_NS1_11comp_targetILNS1_3genE0ELNS1_11target_archE4294967295ELNS1_3gpuE0ELNS1_3repE0EEENS1_48merge_mergepath_partition_config_static_selectorELNS0_4arch9wavefront6targetE0EEEvSK_,"axG",@progbits,_ZN7rocprim17ROCPRIM_400000_NS6detail17trampoline_kernelINS0_14default_configENS1_38merge_sort_block_merge_config_selectorIsNS0_10empty_typeEEEZZNS1_27merge_sort_block_merge_implIS3_N6thrust23THRUST_200600_302600_NS6detail15normal_iteratorINS9_10device_ptrIsEEEEPS5_m11less_div_10IsEEE10hipError_tT0_T1_T2_jT3_P12ihipStream_tbPNSt15iterator_traitsISJ_E10value_typeEPNSP_ISK_E10value_typeEPSL_NS1_7vsmem_tEENKUlT_SJ_SK_SL_E_clISE_PsSF_SF_EESI_SY_SJ_SK_SL_EUlSY_E_NS1_11comp_targetILNS1_3genE0ELNS1_11target_archE4294967295ELNS1_3gpuE0ELNS1_3repE0EEENS1_48merge_mergepath_partition_config_static_selectorELNS0_4arch9wavefront6targetE0EEEvSK_,comdat
.Lfunc_end548:
	.size	_ZN7rocprim17ROCPRIM_400000_NS6detail17trampoline_kernelINS0_14default_configENS1_38merge_sort_block_merge_config_selectorIsNS0_10empty_typeEEEZZNS1_27merge_sort_block_merge_implIS3_N6thrust23THRUST_200600_302600_NS6detail15normal_iteratorINS9_10device_ptrIsEEEEPS5_m11less_div_10IsEEE10hipError_tT0_T1_T2_jT3_P12ihipStream_tbPNSt15iterator_traitsISJ_E10value_typeEPNSP_ISK_E10value_typeEPSL_NS1_7vsmem_tEENKUlT_SJ_SK_SL_E_clISE_PsSF_SF_EESI_SY_SJ_SK_SL_EUlSY_E_NS1_11comp_targetILNS1_3genE0ELNS1_11target_archE4294967295ELNS1_3gpuE0ELNS1_3repE0EEENS1_48merge_mergepath_partition_config_static_selectorELNS0_4arch9wavefront6targetE0EEEvSK_, .Lfunc_end548-_ZN7rocprim17ROCPRIM_400000_NS6detail17trampoline_kernelINS0_14default_configENS1_38merge_sort_block_merge_config_selectorIsNS0_10empty_typeEEEZZNS1_27merge_sort_block_merge_implIS3_N6thrust23THRUST_200600_302600_NS6detail15normal_iteratorINS9_10device_ptrIsEEEEPS5_m11less_div_10IsEEE10hipError_tT0_T1_T2_jT3_P12ihipStream_tbPNSt15iterator_traitsISJ_E10value_typeEPNSP_ISK_E10value_typeEPSL_NS1_7vsmem_tEENKUlT_SJ_SK_SL_E_clISE_PsSF_SF_EESI_SY_SJ_SK_SL_EUlSY_E_NS1_11comp_targetILNS1_3genE0ELNS1_11target_archE4294967295ELNS1_3gpuE0ELNS1_3repE0EEENS1_48merge_mergepath_partition_config_static_selectorELNS0_4arch9wavefront6targetE0EEEvSK_
                                        ; -- End function
	.set _ZN7rocprim17ROCPRIM_400000_NS6detail17trampoline_kernelINS0_14default_configENS1_38merge_sort_block_merge_config_selectorIsNS0_10empty_typeEEEZZNS1_27merge_sort_block_merge_implIS3_N6thrust23THRUST_200600_302600_NS6detail15normal_iteratorINS9_10device_ptrIsEEEEPS5_m11less_div_10IsEEE10hipError_tT0_T1_T2_jT3_P12ihipStream_tbPNSt15iterator_traitsISJ_E10value_typeEPNSP_ISK_E10value_typeEPSL_NS1_7vsmem_tEENKUlT_SJ_SK_SL_E_clISE_PsSF_SF_EESI_SY_SJ_SK_SL_EUlSY_E_NS1_11comp_targetILNS1_3genE0ELNS1_11target_archE4294967295ELNS1_3gpuE0ELNS1_3repE0EEENS1_48merge_mergepath_partition_config_static_selectorELNS0_4arch9wavefront6targetE0EEEvSK_.num_vgpr, 0
	.set _ZN7rocprim17ROCPRIM_400000_NS6detail17trampoline_kernelINS0_14default_configENS1_38merge_sort_block_merge_config_selectorIsNS0_10empty_typeEEEZZNS1_27merge_sort_block_merge_implIS3_N6thrust23THRUST_200600_302600_NS6detail15normal_iteratorINS9_10device_ptrIsEEEEPS5_m11less_div_10IsEEE10hipError_tT0_T1_T2_jT3_P12ihipStream_tbPNSt15iterator_traitsISJ_E10value_typeEPNSP_ISK_E10value_typeEPSL_NS1_7vsmem_tEENKUlT_SJ_SK_SL_E_clISE_PsSF_SF_EESI_SY_SJ_SK_SL_EUlSY_E_NS1_11comp_targetILNS1_3genE0ELNS1_11target_archE4294967295ELNS1_3gpuE0ELNS1_3repE0EEENS1_48merge_mergepath_partition_config_static_selectorELNS0_4arch9wavefront6targetE0EEEvSK_.num_agpr, 0
	.set _ZN7rocprim17ROCPRIM_400000_NS6detail17trampoline_kernelINS0_14default_configENS1_38merge_sort_block_merge_config_selectorIsNS0_10empty_typeEEEZZNS1_27merge_sort_block_merge_implIS3_N6thrust23THRUST_200600_302600_NS6detail15normal_iteratorINS9_10device_ptrIsEEEEPS5_m11less_div_10IsEEE10hipError_tT0_T1_T2_jT3_P12ihipStream_tbPNSt15iterator_traitsISJ_E10value_typeEPNSP_ISK_E10value_typeEPSL_NS1_7vsmem_tEENKUlT_SJ_SK_SL_E_clISE_PsSF_SF_EESI_SY_SJ_SK_SL_EUlSY_E_NS1_11comp_targetILNS1_3genE0ELNS1_11target_archE4294967295ELNS1_3gpuE0ELNS1_3repE0EEENS1_48merge_mergepath_partition_config_static_selectorELNS0_4arch9wavefront6targetE0EEEvSK_.numbered_sgpr, 0
	.set _ZN7rocprim17ROCPRIM_400000_NS6detail17trampoline_kernelINS0_14default_configENS1_38merge_sort_block_merge_config_selectorIsNS0_10empty_typeEEEZZNS1_27merge_sort_block_merge_implIS3_N6thrust23THRUST_200600_302600_NS6detail15normal_iteratorINS9_10device_ptrIsEEEEPS5_m11less_div_10IsEEE10hipError_tT0_T1_T2_jT3_P12ihipStream_tbPNSt15iterator_traitsISJ_E10value_typeEPNSP_ISK_E10value_typeEPSL_NS1_7vsmem_tEENKUlT_SJ_SK_SL_E_clISE_PsSF_SF_EESI_SY_SJ_SK_SL_EUlSY_E_NS1_11comp_targetILNS1_3genE0ELNS1_11target_archE4294967295ELNS1_3gpuE0ELNS1_3repE0EEENS1_48merge_mergepath_partition_config_static_selectorELNS0_4arch9wavefront6targetE0EEEvSK_.num_named_barrier, 0
	.set _ZN7rocprim17ROCPRIM_400000_NS6detail17trampoline_kernelINS0_14default_configENS1_38merge_sort_block_merge_config_selectorIsNS0_10empty_typeEEEZZNS1_27merge_sort_block_merge_implIS3_N6thrust23THRUST_200600_302600_NS6detail15normal_iteratorINS9_10device_ptrIsEEEEPS5_m11less_div_10IsEEE10hipError_tT0_T1_T2_jT3_P12ihipStream_tbPNSt15iterator_traitsISJ_E10value_typeEPNSP_ISK_E10value_typeEPSL_NS1_7vsmem_tEENKUlT_SJ_SK_SL_E_clISE_PsSF_SF_EESI_SY_SJ_SK_SL_EUlSY_E_NS1_11comp_targetILNS1_3genE0ELNS1_11target_archE4294967295ELNS1_3gpuE0ELNS1_3repE0EEENS1_48merge_mergepath_partition_config_static_selectorELNS0_4arch9wavefront6targetE0EEEvSK_.private_seg_size, 0
	.set _ZN7rocprim17ROCPRIM_400000_NS6detail17trampoline_kernelINS0_14default_configENS1_38merge_sort_block_merge_config_selectorIsNS0_10empty_typeEEEZZNS1_27merge_sort_block_merge_implIS3_N6thrust23THRUST_200600_302600_NS6detail15normal_iteratorINS9_10device_ptrIsEEEEPS5_m11less_div_10IsEEE10hipError_tT0_T1_T2_jT3_P12ihipStream_tbPNSt15iterator_traitsISJ_E10value_typeEPNSP_ISK_E10value_typeEPSL_NS1_7vsmem_tEENKUlT_SJ_SK_SL_E_clISE_PsSF_SF_EESI_SY_SJ_SK_SL_EUlSY_E_NS1_11comp_targetILNS1_3genE0ELNS1_11target_archE4294967295ELNS1_3gpuE0ELNS1_3repE0EEENS1_48merge_mergepath_partition_config_static_selectorELNS0_4arch9wavefront6targetE0EEEvSK_.uses_vcc, 0
	.set _ZN7rocprim17ROCPRIM_400000_NS6detail17trampoline_kernelINS0_14default_configENS1_38merge_sort_block_merge_config_selectorIsNS0_10empty_typeEEEZZNS1_27merge_sort_block_merge_implIS3_N6thrust23THRUST_200600_302600_NS6detail15normal_iteratorINS9_10device_ptrIsEEEEPS5_m11less_div_10IsEEE10hipError_tT0_T1_T2_jT3_P12ihipStream_tbPNSt15iterator_traitsISJ_E10value_typeEPNSP_ISK_E10value_typeEPSL_NS1_7vsmem_tEENKUlT_SJ_SK_SL_E_clISE_PsSF_SF_EESI_SY_SJ_SK_SL_EUlSY_E_NS1_11comp_targetILNS1_3genE0ELNS1_11target_archE4294967295ELNS1_3gpuE0ELNS1_3repE0EEENS1_48merge_mergepath_partition_config_static_selectorELNS0_4arch9wavefront6targetE0EEEvSK_.uses_flat_scratch, 0
	.set _ZN7rocprim17ROCPRIM_400000_NS6detail17trampoline_kernelINS0_14default_configENS1_38merge_sort_block_merge_config_selectorIsNS0_10empty_typeEEEZZNS1_27merge_sort_block_merge_implIS3_N6thrust23THRUST_200600_302600_NS6detail15normal_iteratorINS9_10device_ptrIsEEEEPS5_m11less_div_10IsEEE10hipError_tT0_T1_T2_jT3_P12ihipStream_tbPNSt15iterator_traitsISJ_E10value_typeEPNSP_ISK_E10value_typeEPSL_NS1_7vsmem_tEENKUlT_SJ_SK_SL_E_clISE_PsSF_SF_EESI_SY_SJ_SK_SL_EUlSY_E_NS1_11comp_targetILNS1_3genE0ELNS1_11target_archE4294967295ELNS1_3gpuE0ELNS1_3repE0EEENS1_48merge_mergepath_partition_config_static_selectorELNS0_4arch9wavefront6targetE0EEEvSK_.has_dyn_sized_stack, 0
	.set _ZN7rocprim17ROCPRIM_400000_NS6detail17trampoline_kernelINS0_14default_configENS1_38merge_sort_block_merge_config_selectorIsNS0_10empty_typeEEEZZNS1_27merge_sort_block_merge_implIS3_N6thrust23THRUST_200600_302600_NS6detail15normal_iteratorINS9_10device_ptrIsEEEEPS5_m11less_div_10IsEEE10hipError_tT0_T1_T2_jT3_P12ihipStream_tbPNSt15iterator_traitsISJ_E10value_typeEPNSP_ISK_E10value_typeEPSL_NS1_7vsmem_tEENKUlT_SJ_SK_SL_E_clISE_PsSF_SF_EESI_SY_SJ_SK_SL_EUlSY_E_NS1_11comp_targetILNS1_3genE0ELNS1_11target_archE4294967295ELNS1_3gpuE0ELNS1_3repE0EEENS1_48merge_mergepath_partition_config_static_selectorELNS0_4arch9wavefront6targetE0EEEvSK_.has_recursion, 0
	.set _ZN7rocprim17ROCPRIM_400000_NS6detail17trampoline_kernelINS0_14default_configENS1_38merge_sort_block_merge_config_selectorIsNS0_10empty_typeEEEZZNS1_27merge_sort_block_merge_implIS3_N6thrust23THRUST_200600_302600_NS6detail15normal_iteratorINS9_10device_ptrIsEEEEPS5_m11less_div_10IsEEE10hipError_tT0_T1_T2_jT3_P12ihipStream_tbPNSt15iterator_traitsISJ_E10value_typeEPNSP_ISK_E10value_typeEPSL_NS1_7vsmem_tEENKUlT_SJ_SK_SL_E_clISE_PsSF_SF_EESI_SY_SJ_SK_SL_EUlSY_E_NS1_11comp_targetILNS1_3genE0ELNS1_11target_archE4294967295ELNS1_3gpuE0ELNS1_3repE0EEENS1_48merge_mergepath_partition_config_static_selectorELNS0_4arch9wavefront6targetE0EEEvSK_.has_indirect_call, 0
	.section	.AMDGPU.csdata,"",@progbits
; Kernel info:
; codeLenInByte = 0
; TotalNumSgprs: 0
; NumVgprs: 0
; ScratchSize: 0
; MemoryBound: 0
; FloatMode: 240
; IeeeMode: 1
; LDSByteSize: 0 bytes/workgroup (compile time only)
; SGPRBlocks: 0
; VGPRBlocks: 0
; NumSGPRsForWavesPerEU: 1
; NumVGPRsForWavesPerEU: 1
; Occupancy: 16
; WaveLimiterHint : 0
; COMPUTE_PGM_RSRC2:SCRATCH_EN: 0
; COMPUTE_PGM_RSRC2:USER_SGPR: 6
; COMPUTE_PGM_RSRC2:TRAP_HANDLER: 0
; COMPUTE_PGM_RSRC2:TGID_X_EN: 1
; COMPUTE_PGM_RSRC2:TGID_Y_EN: 0
; COMPUTE_PGM_RSRC2:TGID_Z_EN: 0
; COMPUTE_PGM_RSRC2:TIDIG_COMP_CNT: 0
	.section	.text._ZN7rocprim17ROCPRIM_400000_NS6detail17trampoline_kernelINS0_14default_configENS1_38merge_sort_block_merge_config_selectorIsNS0_10empty_typeEEEZZNS1_27merge_sort_block_merge_implIS3_N6thrust23THRUST_200600_302600_NS6detail15normal_iteratorINS9_10device_ptrIsEEEEPS5_m11less_div_10IsEEE10hipError_tT0_T1_T2_jT3_P12ihipStream_tbPNSt15iterator_traitsISJ_E10value_typeEPNSP_ISK_E10value_typeEPSL_NS1_7vsmem_tEENKUlT_SJ_SK_SL_E_clISE_PsSF_SF_EESI_SY_SJ_SK_SL_EUlSY_E_NS1_11comp_targetILNS1_3genE10ELNS1_11target_archE1201ELNS1_3gpuE5ELNS1_3repE0EEENS1_48merge_mergepath_partition_config_static_selectorELNS0_4arch9wavefront6targetE0EEEvSK_,"axG",@progbits,_ZN7rocprim17ROCPRIM_400000_NS6detail17trampoline_kernelINS0_14default_configENS1_38merge_sort_block_merge_config_selectorIsNS0_10empty_typeEEEZZNS1_27merge_sort_block_merge_implIS3_N6thrust23THRUST_200600_302600_NS6detail15normal_iteratorINS9_10device_ptrIsEEEEPS5_m11less_div_10IsEEE10hipError_tT0_T1_T2_jT3_P12ihipStream_tbPNSt15iterator_traitsISJ_E10value_typeEPNSP_ISK_E10value_typeEPSL_NS1_7vsmem_tEENKUlT_SJ_SK_SL_E_clISE_PsSF_SF_EESI_SY_SJ_SK_SL_EUlSY_E_NS1_11comp_targetILNS1_3genE10ELNS1_11target_archE1201ELNS1_3gpuE5ELNS1_3repE0EEENS1_48merge_mergepath_partition_config_static_selectorELNS0_4arch9wavefront6targetE0EEEvSK_,comdat
	.protected	_ZN7rocprim17ROCPRIM_400000_NS6detail17trampoline_kernelINS0_14default_configENS1_38merge_sort_block_merge_config_selectorIsNS0_10empty_typeEEEZZNS1_27merge_sort_block_merge_implIS3_N6thrust23THRUST_200600_302600_NS6detail15normal_iteratorINS9_10device_ptrIsEEEEPS5_m11less_div_10IsEEE10hipError_tT0_T1_T2_jT3_P12ihipStream_tbPNSt15iterator_traitsISJ_E10value_typeEPNSP_ISK_E10value_typeEPSL_NS1_7vsmem_tEENKUlT_SJ_SK_SL_E_clISE_PsSF_SF_EESI_SY_SJ_SK_SL_EUlSY_E_NS1_11comp_targetILNS1_3genE10ELNS1_11target_archE1201ELNS1_3gpuE5ELNS1_3repE0EEENS1_48merge_mergepath_partition_config_static_selectorELNS0_4arch9wavefront6targetE0EEEvSK_ ; -- Begin function _ZN7rocprim17ROCPRIM_400000_NS6detail17trampoline_kernelINS0_14default_configENS1_38merge_sort_block_merge_config_selectorIsNS0_10empty_typeEEEZZNS1_27merge_sort_block_merge_implIS3_N6thrust23THRUST_200600_302600_NS6detail15normal_iteratorINS9_10device_ptrIsEEEEPS5_m11less_div_10IsEEE10hipError_tT0_T1_T2_jT3_P12ihipStream_tbPNSt15iterator_traitsISJ_E10value_typeEPNSP_ISK_E10value_typeEPSL_NS1_7vsmem_tEENKUlT_SJ_SK_SL_E_clISE_PsSF_SF_EESI_SY_SJ_SK_SL_EUlSY_E_NS1_11comp_targetILNS1_3genE10ELNS1_11target_archE1201ELNS1_3gpuE5ELNS1_3repE0EEENS1_48merge_mergepath_partition_config_static_selectorELNS0_4arch9wavefront6targetE0EEEvSK_
	.globl	_ZN7rocprim17ROCPRIM_400000_NS6detail17trampoline_kernelINS0_14default_configENS1_38merge_sort_block_merge_config_selectorIsNS0_10empty_typeEEEZZNS1_27merge_sort_block_merge_implIS3_N6thrust23THRUST_200600_302600_NS6detail15normal_iteratorINS9_10device_ptrIsEEEEPS5_m11less_div_10IsEEE10hipError_tT0_T1_T2_jT3_P12ihipStream_tbPNSt15iterator_traitsISJ_E10value_typeEPNSP_ISK_E10value_typeEPSL_NS1_7vsmem_tEENKUlT_SJ_SK_SL_E_clISE_PsSF_SF_EESI_SY_SJ_SK_SL_EUlSY_E_NS1_11comp_targetILNS1_3genE10ELNS1_11target_archE1201ELNS1_3gpuE5ELNS1_3repE0EEENS1_48merge_mergepath_partition_config_static_selectorELNS0_4arch9wavefront6targetE0EEEvSK_
	.p2align	8
	.type	_ZN7rocprim17ROCPRIM_400000_NS6detail17trampoline_kernelINS0_14default_configENS1_38merge_sort_block_merge_config_selectorIsNS0_10empty_typeEEEZZNS1_27merge_sort_block_merge_implIS3_N6thrust23THRUST_200600_302600_NS6detail15normal_iteratorINS9_10device_ptrIsEEEEPS5_m11less_div_10IsEEE10hipError_tT0_T1_T2_jT3_P12ihipStream_tbPNSt15iterator_traitsISJ_E10value_typeEPNSP_ISK_E10value_typeEPSL_NS1_7vsmem_tEENKUlT_SJ_SK_SL_E_clISE_PsSF_SF_EESI_SY_SJ_SK_SL_EUlSY_E_NS1_11comp_targetILNS1_3genE10ELNS1_11target_archE1201ELNS1_3gpuE5ELNS1_3repE0EEENS1_48merge_mergepath_partition_config_static_selectorELNS0_4arch9wavefront6targetE0EEEvSK_,@function
_ZN7rocprim17ROCPRIM_400000_NS6detail17trampoline_kernelINS0_14default_configENS1_38merge_sort_block_merge_config_selectorIsNS0_10empty_typeEEEZZNS1_27merge_sort_block_merge_implIS3_N6thrust23THRUST_200600_302600_NS6detail15normal_iteratorINS9_10device_ptrIsEEEEPS5_m11less_div_10IsEEE10hipError_tT0_T1_T2_jT3_P12ihipStream_tbPNSt15iterator_traitsISJ_E10value_typeEPNSP_ISK_E10value_typeEPSL_NS1_7vsmem_tEENKUlT_SJ_SK_SL_E_clISE_PsSF_SF_EESI_SY_SJ_SK_SL_EUlSY_E_NS1_11comp_targetILNS1_3genE10ELNS1_11target_archE1201ELNS1_3gpuE5ELNS1_3repE0EEENS1_48merge_mergepath_partition_config_static_selectorELNS0_4arch9wavefront6targetE0EEEvSK_: ; @_ZN7rocprim17ROCPRIM_400000_NS6detail17trampoline_kernelINS0_14default_configENS1_38merge_sort_block_merge_config_selectorIsNS0_10empty_typeEEEZZNS1_27merge_sort_block_merge_implIS3_N6thrust23THRUST_200600_302600_NS6detail15normal_iteratorINS9_10device_ptrIsEEEEPS5_m11less_div_10IsEEE10hipError_tT0_T1_T2_jT3_P12ihipStream_tbPNSt15iterator_traitsISJ_E10value_typeEPNSP_ISK_E10value_typeEPSL_NS1_7vsmem_tEENKUlT_SJ_SK_SL_E_clISE_PsSF_SF_EESI_SY_SJ_SK_SL_EUlSY_E_NS1_11comp_targetILNS1_3genE10ELNS1_11target_archE1201ELNS1_3gpuE5ELNS1_3repE0EEENS1_48merge_mergepath_partition_config_static_selectorELNS0_4arch9wavefront6targetE0EEEvSK_
; %bb.0:
	.section	.rodata,"a",@progbits
	.p2align	6, 0x0
	.amdhsa_kernel _ZN7rocprim17ROCPRIM_400000_NS6detail17trampoline_kernelINS0_14default_configENS1_38merge_sort_block_merge_config_selectorIsNS0_10empty_typeEEEZZNS1_27merge_sort_block_merge_implIS3_N6thrust23THRUST_200600_302600_NS6detail15normal_iteratorINS9_10device_ptrIsEEEEPS5_m11less_div_10IsEEE10hipError_tT0_T1_T2_jT3_P12ihipStream_tbPNSt15iterator_traitsISJ_E10value_typeEPNSP_ISK_E10value_typeEPSL_NS1_7vsmem_tEENKUlT_SJ_SK_SL_E_clISE_PsSF_SF_EESI_SY_SJ_SK_SL_EUlSY_E_NS1_11comp_targetILNS1_3genE10ELNS1_11target_archE1201ELNS1_3gpuE5ELNS1_3repE0EEENS1_48merge_mergepath_partition_config_static_selectorELNS0_4arch9wavefront6targetE0EEEvSK_
		.amdhsa_group_segment_fixed_size 0
		.amdhsa_private_segment_fixed_size 0
		.amdhsa_kernarg_size 48
		.amdhsa_user_sgpr_count 6
		.amdhsa_user_sgpr_private_segment_buffer 1
		.amdhsa_user_sgpr_dispatch_ptr 0
		.amdhsa_user_sgpr_queue_ptr 0
		.amdhsa_user_sgpr_kernarg_segment_ptr 1
		.amdhsa_user_sgpr_dispatch_id 0
		.amdhsa_user_sgpr_flat_scratch_init 0
		.amdhsa_user_sgpr_private_segment_size 0
		.amdhsa_wavefront_size32 1
		.amdhsa_uses_dynamic_stack 0
		.amdhsa_system_sgpr_private_segment_wavefront_offset 0
		.amdhsa_system_sgpr_workgroup_id_x 1
		.amdhsa_system_sgpr_workgroup_id_y 0
		.amdhsa_system_sgpr_workgroup_id_z 0
		.amdhsa_system_sgpr_workgroup_info 0
		.amdhsa_system_vgpr_workitem_id 0
		.amdhsa_next_free_vgpr 1
		.amdhsa_next_free_sgpr 1
		.amdhsa_reserve_vcc 0
		.amdhsa_reserve_flat_scratch 0
		.amdhsa_float_round_mode_32 0
		.amdhsa_float_round_mode_16_64 0
		.amdhsa_float_denorm_mode_32 3
		.amdhsa_float_denorm_mode_16_64 3
		.amdhsa_dx10_clamp 1
		.amdhsa_ieee_mode 1
		.amdhsa_fp16_overflow 0
		.amdhsa_workgroup_processor_mode 1
		.amdhsa_memory_ordered 1
		.amdhsa_forward_progress 1
		.amdhsa_shared_vgpr_count 0
		.amdhsa_exception_fp_ieee_invalid_op 0
		.amdhsa_exception_fp_denorm_src 0
		.amdhsa_exception_fp_ieee_div_zero 0
		.amdhsa_exception_fp_ieee_overflow 0
		.amdhsa_exception_fp_ieee_underflow 0
		.amdhsa_exception_fp_ieee_inexact 0
		.amdhsa_exception_int_div_zero 0
	.end_amdhsa_kernel
	.section	.text._ZN7rocprim17ROCPRIM_400000_NS6detail17trampoline_kernelINS0_14default_configENS1_38merge_sort_block_merge_config_selectorIsNS0_10empty_typeEEEZZNS1_27merge_sort_block_merge_implIS3_N6thrust23THRUST_200600_302600_NS6detail15normal_iteratorINS9_10device_ptrIsEEEEPS5_m11less_div_10IsEEE10hipError_tT0_T1_T2_jT3_P12ihipStream_tbPNSt15iterator_traitsISJ_E10value_typeEPNSP_ISK_E10value_typeEPSL_NS1_7vsmem_tEENKUlT_SJ_SK_SL_E_clISE_PsSF_SF_EESI_SY_SJ_SK_SL_EUlSY_E_NS1_11comp_targetILNS1_3genE10ELNS1_11target_archE1201ELNS1_3gpuE5ELNS1_3repE0EEENS1_48merge_mergepath_partition_config_static_selectorELNS0_4arch9wavefront6targetE0EEEvSK_,"axG",@progbits,_ZN7rocprim17ROCPRIM_400000_NS6detail17trampoline_kernelINS0_14default_configENS1_38merge_sort_block_merge_config_selectorIsNS0_10empty_typeEEEZZNS1_27merge_sort_block_merge_implIS3_N6thrust23THRUST_200600_302600_NS6detail15normal_iteratorINS9_10device_ptrIsEEEEPS5_m11less_div_10IsEEE10hipError_tT0_T1_T2_jT3_P12ihipStream_tbPNSt15iterator_traitsISJ_E10value_typeEPNSP_ISK_E10value_typeEPSL_NS1_7vsmem_tEENKUlT_SJ_SK_SL_E_clISE_PsSF_SF_EESI_SY_SJ_SK_SL_EUlSY_E_NS1_11comp_targetILNS1_3genE10ELNS1_11target_archE1201ELNS1_3gpuE5ELNS1_3repE0EEENS1_48merge_mergepath_partition_config_static_selectorELNS0_4arch9wavefront6targetE0EEEvSK_,comdat
.Lfunc_end549:
	.size	_ZN7rocprim17ROCPRIM_400000_NS6detail17trampoline_kernelINS0_14default_configENS1_38merge_sort_block_merge_config_selectorIsNS0_10empty_typeEEEZZNS1_27merge_sort_block_merge_implIS3_N6thrust23THRUST_200600_302600_NS6detail15normal_iteratorINS9_10device_ptrIsEEEEPS5_m11less_div_10IsEEE10hipError_tT0_T1_T2_jT3_P12ihipStream_tbPNSt15iterator_traitsISJ_E10value_typeEPNSP_ISK_E10value_typeEPSL_NS1_7vsmem_tEENKUlT_SJ_SK_SL_E_clISE_PsSF_SF_EESI_SY_SJ_SK_SL_EUlSY_E_NS1_11comp_targetILNS1_3genE10ELNS1_11target_archE1201ELNS1_3gpuE5ELNS1_3repE0EEENS1_48merge_mergepath_partition_config_static_selectorELNS0_4arch9wavefront6targetE0EEEvSK_, .Lfunc_end549-_ZN7rocprim17ROCPRIM_400000_NS6detail17trampoline_kernelINS0_14default_configENS1_38merge_sort_block_merge_config_selectorIsNS0_10empty_typeEEEZZNS1_27merge_sort_block_merge_implIS3_N6thrust23THRUST_200600_302600_NS6detail15normal_iteratorINS9_10device_ptrIsEEEEPS5_m11less_div_10IsEEE10hipError_tT0_T1_T2_jT3_P12ihipStream_tbPNSt15iterator_traitsISJ_E10value_typeEPNSP_ISK_E10value_typeEPSL_NS1_7vsmem_tEENKUlT_SJ_SK_SL_E_clISE_PsSF_SF_EESI_SY_SJ_SK_SL_EUlSY_E_NS1_11comp_targetILNS1_3genE10ELNS1_11target_archE1201ELNS1_3gpuE5ELNS1_3repE0EEENS1_48merge_mergepath_partition_config_static_selectorELNS0_4arch9wavefront6targetE0EEEvSK_
                                        ; -- End function
	.set _ZN7rocprim17ROCPRIM_400000_NS6detail17trampoline_kernelINS0_14default_configENS1_38merge_sort_block_merge_config_selectorIsNS0_10empty_typeEEEZZNS1_27merge_sort_block_merge_implIS3_N6thrust23THRUST_200600_302600_NS6detail15normal_iteratorINS9_10device_ptrIsEEEEPS5_m11less_div_10IsEEE10hipError_tT0_T1_T2_jT3_P12ihipStream_tbPNSt15iterator_traitsISJ_E10value_typeEPNSP_ISK_E10value_typeEPSL_NS1_7vsmem_tEENKUlT_SJ_SK_SL_E_clISE_PsSF_SF_EESI_SY_SJ_SK_SL_EUlSY_E_NS1_11comp_targetILNS1_3genE10ELNS1_11target_archE1201ELNS1_3gpuE5ELNS1_3repE0EEENS1_48merge_mergepath_partition_config_static_selectorELNS0_4arch9wavefront6targetE0EEEvSK_.num_vgpr, 0
	.set _ZN7rocprim17ROCPRIM_400000_NS6detail17trampoline_kernelINS0_14default_configENS1_38merge_sort_block_merge_config_selectorIsNS0_10empty_typeEEEZZNS1_27merge_sort_block_merge_implIS3_N6thrust23THRUST_200600_302600_NS6detail15normal_iteratorINS9_10device_ptrIsEEEEPS5_m11less_div_10IsEEE10hipError_tT0_T1_T2_jT3_P12ihipStream_tbPNSt15iterator_traitsISJ_E10value_typeEPNSP_ISK_E10value_typeEPSL_NS1_7vsmem_tEENKUlT_SJ_SK_SL_E_clISE_PsSF_SF_EESI_SY_SJ_SK_SL_EUlSY_E_NS1_11comp_targetILNS1_3genE10ELNS1_11target_archE1201ELNS1_3gpuE5ELNS1_3repE0EEENS1_48merge_mergepath_partition_config_static_selectorELNS0_4arch9wavefront6targetE0EEEvSK_.num_agpr, 0
	.set _ZN7rocprim17ROCPRIM_400000_NS6detail17trampoline_kernelINS0_14default_configENS1_38merge_sort_block_merge_config_selectorIsNS0_10empty_typeEEEZZNS1_27merge_sort_block_merge_implIS3_N6thrust23THRUST_200600_302600_NS6detail15normal_iteratorINS9_10device_ptrIsEEEEPS5_m11less_div_10IsEEE10hipError_tT0_T1_T2_jT3_P12ihipStream_tbPNSt15iterator_traitsISJ_E10value_typeEPNSP_ISK_E10value_typeEPSL_NS1_7vsmem_tEENKUlT_SJ_SK_SL_E_clISE_PsSF_SF_EESI_SY_SJ_SK_SL_EUlSY_E_NS1_11comp_targetILNS1_3genE10ELNS1_11target_archE1201ELNS1_3gpuE5ELNS1_3repE0EEENS1_48merge_mergepath_partition_config_static_selectorELNS0_4arch9wavefront6targetE0EEEvSK_.numbered_sgpr, 0
	.set _ZN7rocprim17ROCPRIM_400000_NS6detail17trampoline_kernelINS0_14default_configENS1_38merge_sort_block_merge_config_selectorIsNS0_10empty_typeEEEZZNS1_27merge_sort_block_merge_implIS3_N6thrust23THRUST_200600_302600_NS6detail15normal_iteratorINS9_10device_ptrIsEEEEPS5_m11less_div_10IsEEE10hipError_tT0_T1_T2_jT3_P12ihipStream_tbPNSt15iterator_traitsISJ_E10value_typeEPNSP_ISK_E10value_typeEPSL_NS1_7vsmem_tEENKUlT_SJ_SK_SL_E_clISE_PsSF_SF_EESI_SY_SJ_SK_SL_EUlSY_E_NS1_11comp_targetILNS1_3genE10ELNS1_11target_archE1201ELNS1_3gpuE5ELNS1_3repE0EEENS1_48merge_mergepath_partition_config_static_selectorELNS0_4arch9wavefront6targetE0EEEvSK_.num_named_barrier, 0
	.set _ZN7rocprim17ROCPRIM_400000_NS6detail17trampoline_kernelINS0_14default_configENS1_38merge_sort_block_merge_config_selectorIsNS0_10empty_typeEEEZZNS1_27merge_sort_block_merge_implIS3_N6thrust23THRUST_200600_302600_NS6detail15normal_iteratorINS9_10device_ptrIsEEEEPS5_m11less_div_10IsEEE10hipError_tT0_T1_T2_jT3_P12ihipStream_tbPNSt15iterator_traitsISJ_E10value_typeEPNSP_ISK_E10value_typeEPSL_NS1_7vsmem_tEENKUlT_SJ_SK_SL_E_clISE_PsSF_SF_EESI_SY_SJ_SK_SL_EUlSY_E_NS1_11comp_targetILNS1_3genE10ELNS1_11target_archE1201ELNS1_3gpuE5ELNS1_3repE0EEENS1_48merge_mergepath_partition_config_static_selectorELNS0_4arch9wavefront6targetE0EEEvSK_.private_seg_size, 0
	.set _ZN7rocprim17ROCPRIM_400000_NS6detail17trampoline_kernelINS0_14default_configENS1_38merge_sort_block_merge_config_selectorIsNS0_10empty_typeEEEZZNS1_27merge_sort_block_merge_implIS3_N6thrust23THRUST_200600_302600_NS6detail15normal_iteratorINS9_10device_ptrIsEEEEPS5_m11less_div_10IsEEE10hipError_tT0_T1_T2_jT3_P12ihipStream_tbPNSt15iterator_traitsISJ_E10value_typeEPNSP_ISK_E10value_typeEPSL_NS1_7vsmem_tEENKUlT_SJ_SK_SL_E_clISE_PsSF_SF_EESI_SY_SJ_SK_SL_EUlSY_E_NS1_11comp_targetILNS1_3genE10ELNS1_11target_archE1201ELNS1_3gpuE5ELNS1_3repE0EEENS1_48merge_mergepath_partition_config_static_selectorELNS0_4arch9wavefront6targetE0EEEvSK_.uses_vcc, 0
	.set _ZN7rocprim17ROCPRIM_400000_NS6detail17trampoline_kernelINS0_14default_configENS1_38merge_sort_block_merge_config_selectorIsNS0_10empty_typeEEEZZNS1_27merge_sort_block_merge_implIS3_N6thrust23THRUST_200600_302600_NS6detail15normal_iteratorINS9_10device_ptrIsEEEEPS5_m11less_div_10IsEEE10hipError_tT0_T1_T2_jT3_P12ihipStream_tbPNSt15iterator_traitsISJ_E10value_typeEPNSP_ISK_E10value_typeEPSL_NS1_7vsmem_tEENKUlT_SJ_SK_SL_E_clISE_PsSF_SF_EESI_SY_SJ_SK_SL_EUlSY_E_NS1_11comp_targetILNS1_3genE10ELNS1_11target_archE1201ELNS1_3gpuE5ELNS1_3repE0EEENS1_48merge_mergepath_partition_config_static_selectorELNS0_4arch9wavefront6targetE0EEEvSK_.uses_flat_scratch, 0
	.set _ZN7rocprim17ROCPRIM_400000_NS6detail17trampoline_kernelINS0_14default_configENS1_38merge_sort_block_merge_config_selectorIsNS0_10empty_typeEEEZZNS1_27merge_sort_block_merge_implIS3_N6thrust23THRUST_200600_302600_NS6detail15normal_iteratorINS9_10device_ptrIsEEEEPS5_m11less_div_10IsEEE10hipError_tT0_T1_T2_jT3_P12ihipStream_tbPNSt15iterator_traitsISJ_E10value_typeEPNSP_ISK_E10value_typeEPSL_NS1_7vsmem_tEENKUlT_SJ_SK_SL_E_clISE_PsSF_SF_EESI_SY_SJ_SK_SL_EUlSY_E_NS1_11comp_targetILNS1_3genE10ELNS1_11target_archE1201ELNS1_3gpuE5ELNS1_3repE0EEENS1_48merge_mergepath_partition_config_static_selectorELNS0_4arch9wavefront6targetE0EEEvSK_.has_dyn_sized_stack, 0
	.set _ZN7rocprim17ROCPRIM_400000_NS6detail17trampoline_kernelINS0_14default_configENS1_38merge_sort_block_merge_config_selectorIsNS0_10empty_typeEEEZZNS1_27merge_sort_block_merge_implIS3_N6thrust23THRUST_200600_302600_NS6detail15normal_iteratorINS9_10device_ptrIsEEEEPS5_m11less_div_10IsEEE10hipError_tT0_T1_T2_jT3_P12ihipStream_tbPNSt15iterator_traitsISJ_E10value_typeEPNSP_ISK_E10value_typeEPSL_NS1_7vsmem_tEENKUlT_SJ_SK_SL_E_clISE_PsSF_SF_EESI_SY_SJ_SK_SL_EUlSY_E_NS1_11comp_targetILNS1_3genE10ELNS1_11target_archE1201ELNS1_3gpuE5ELNS1_3repE0EEENS1_48merge_mergepath_partition_config_static_selectorELNS0_4arch9wavefront6targetE0EEEvSK_.has_recursion, 0
	.set _ZN7rocprim17ROCPRIM_400000_NS6detail17trampoline_kernelINS0_14default_configENS1_38merge_sort_block_merge_config_selectorIsNS0_10empty_typeEEEZZNS1_27merge_sort_block_merge_implIS3_N6thrust23THRUST_200600_302600_NS6detail15normal_iteratorINS9_10device_ptrIsEEEEPS5_m11less_div_10IsEEE10hipError_tT0_T1_T2_jT3_P12ihipStream_tbPNSt15iterator_traitsISJ_E10value_typeEPNSP_ISK_E10value_typeEPSL_NS1_7vsmem_tEENKUlT_SJ_SK_SL_E_clISE_PsSF_SF_EESI_SY_SJ_SK_SL_EUlSY_E_NS1_11comp_targetILNS1_3genE10ELNS1_11target_archE1201ELNS1_3gpuE5ELNS1_3repE0EEENS1_48merge_mergepath_partition_config_static_selectorELNS0_4arch9wavefront6targetE0EEEvSK_.has_indirect_call, 0
	.section	.AMDGPU.csdata,"",@progbits
; Kernel info:
; codeLenInByte = 0
; TotalNumSgprs: 0
; NumVgprs: 0
; ScratchSize: 0
; MemoryBound: 0
; FloatMode: 240
; IeeeMode: 1
; LDSByteSize: 0 bytes/workgroup (compile time only)
; SGPRBlocks: 0
; VGPRBlocks: 0
; NumSGPRsForWavesPerEU: 1
; NumVGPRsForWavesPerEU: 1
; Occupancy: 16
; WaveLimiterHint : 0
; COMPUTE_PGM_RSRC2:SCRATCH_EN: 0
; COMPUTE_PGM_RSRC2:USER_SGPR: 6
; COMPUTE_PGM_RSRC2:TRAP_HANDLER: 0
; COMPUTE_PGM_RSRC2:TGID_X_EN: 1
; COMPUTE_PGM_RSRC2:TGID_Y_EN: 0
; COMPUTE_PGM_RSRC2:TGID_Z_EN: 0
; COMPUTE_PGM_RSRC2:TIDIG_COMP_CNT: 0
	.section	.text._ZN7rocprim17ROCPRIM_400000_NS6detail17trampoline_kernelINS0_14default_configENS1_38merge_sort_block_merge_config_selectorIsNS0_10empty_typeEEEZZNS1_27merge_sort_block_merge_implIS3_N6thrust23THRUST_200600_302600_NS6detail15normal_iteratorINS9_10device_ptrIsEEEEPS5_m11less_div_10IsEEE10hipError_tT0_T1_T2_jT3_P12ihipStream_tbPNSt15iterator_traitsISJ_E10value_typeEPNSP_ISK_E10value_typeEPSL_NS1_7vsmem_tEENKUlT_SJ_SK_SL_E_clISE_PsSF_SF_EESI_SY_SJ_SK_SL_EUlSY_E_NS1_11comp_targetILNS1_3genE5ELNS1_11target_archE942ELNS1_3gpuE9ELNS1_3repE0EEENS1_48merge_mergepath_partition_config_static_selectorELNS0_4arch9wavefront6targetE0EEEvSK_,"axG",@progbits,_ZN7rocprim17ROCPRIM_400000_NS6detail17trampoline_kernelINS0_14default_configENS1_38merge_sort_block_merge_config_selectorIsNS0_10empty_typeEEEZZNS1_27merge_sort_block_merge_implIS3_N6thrust23THRUST_200600_302600_NS6detail15normal_iteratorINS9_10device_ptrIsEEEEPS5_m11less_div_10IsEEE10hipError_tT0_T1_T2_jT3_P12ihipStream_tbPNSt15iterator_traitsISJ_E10value_typeEPNSP_ISK_E10value_typeEPSL_NS1_7vsmem_tEENKUlT_SJ_SK_SL_E_clISE_PsSF_SF_EESI_SY_SJ_SK_SL_EUlSY_E_NS1_11comp_targetILNS1_3genE5ELNS1_11target_archE942ELNS1_3gpuE9ELNS1_3repE0EEENS1_48merge_mergepath_partition_config_static_selectorELNS0_4arch9wavefront6targetE0EEEvSK_,comdat
	.protected	_ZN7rocprim17ROCPRIM_400000_NS6detail17trampoline_kernelINS0_14default_configENS1_38merge_sort_block_merge_config_selectorIsNS0_10empty_typeEEEZZNS1_27merge_sort_block_merge_implIS3_N6thrust23THRUST_200600_302600_NS6detail15normal_iteratorINS9_10device_ptrIsEEEEPS5_m11less_div_10IsEEE10hipError_tT0_T1_T2_jT3_P12ihipStream_tbPNSt15iterator_traitsISJ_E10value_typeEPNSP_ISK_E10value_typeEPSL_NS1_7vsmem_tEENKUlT_SJ_SK_SL_E_clISE_PsSF_SF_EESI_SY_SJ_SK_SL_EUlSY_E_NS1_11comp_targetILNS1_3genE5ELNS1_11target_archE942ELNS1_3gpuE9ELNS1_3repE0EEENS1_48merge_mergepath_partition_config_static_selectorELNS0_4arch9wavefront6targetE0EEEvSK_ ; -- Begin function _ZN7rocprim17ROCPRIM_400000_NS6detail17trampoline_kernelINS0_14default_configENS1_38merge_sort_block_merge_config_selectorIsNS0_10empty_typeEEEZZNS1_27merge_sort_block_merge_implIS3_N6thrust23THRUST_200600_302600_NS6detail15normal_iteratorINS9_10device_ptrIsEEEEPS5_m11less_div_10IsEEE10hipError_tT0_T1_T2_jT3_P12ihipStream_tbPNSt15iterator_traitsISJ_E10value_typeEPNSP_ISK_E10value_typeEPSL_NS1_7vsmem_tEENKUlT_SJ_SK_SL_E_clISE_PsSF_SF_EESI_SY_SJ_SK_SL_EUlSY_E_NS1_11comp_targetILNS1_3genE5ELNS1_11target_archE942ELNS1_3gpuE9ELNS1_3repE0EEENS1_48merge_mergepath_partition_config_static_selectorELNS0_4arch9wavefront6targetE0EEEvSK_
	.globl	_ZN7rocprim17ROCPRIM_400000_NS6detail17trampoline_kernelINS0_14default_configENS1_38merge_sort_block_merge_config_selectorIsNS0_10empty_typeEEEZZNS1_27merge_sort_block_merge_implIS3_N6thrust23THRUST_200600_302600_NS6detail15normal_iteratorINS9_10device_ptrIsEEEEPS5_m11less_div_10IsEEE10hipError_tT0_T1_T2_jT3_P12ihipStream_tbPNSt15iterator_traitsISJ_E10value_typeEPNSP_ISK_E10value_typeEPSL_NS1_7vsmem_tEENKUlT_SJ_SK_SL_E_clISE_PsSF_SF_EESI_SY_SJ_SK_SL_EUlSY_E_NS1_11comp_targetILNS1_3genE5ELNS1_11target_archE942ELNS1_3gpuE9ELNS1_3repE0EEENS1_48merge_mergepath_partition_config_static_selectorELNS0_4arch9wavefront6targetE0EEEvSK_
	.p2align	8
	.type	_ZN7rocprim17ROCPRIM_400000_NS6detail17trampoline_kernelINS0_14default_configENS1_38merge_sort_block_merge_config_selectorIsNS0_10empty_typeEEEZZNS1_27merge_sort_block_merge_implIS3_N6thrust23THRUST_200600_302600_NS6detail15normal_iteratorINS9_10device_ptrIsEEEEPS5_m11less_div_10IsEEE10hipError_tT0_T1_T2_jT3_P12ihipStream_tbPNSt15iterator_traitsISJ_E10value_typeEPNSP_ISK_E10value_typeEPSL_NS1_7vsmem_tEENKUlT_SJ_SK_SL_E_clISE_PsSF_SF_EESI_SY_SJ_SK_SL_EUlSY_E_NS1_11comp_targetILNS1_3genE5ELNS1_11target_archE942ELNS1_3gpuE9ELNS1_3repE0EEENS1_48merge_mergepath_partition_config_static_selectorELNS0_4arch9wavefront6targetE0EEEvSK_,@function
_ZN7rocprim17ROCPRIM_400000_NS6detail17trampoline_kernelINS0_14default_configENS1_38merge_sort_block_merge_config_selectorIsNS0_10empty_typeEEEZZNS1_27merge_sort_block_merge_implIS3_N6thrust23THRUST_200600_302600_NS6detail15normal_iteratorINS9_10device_ptrIsEEEEPS5_m11less_div_10IsEEE10hipError_tT0_T1_T2_jT3_P12ihipStream_tbPNSt15iterator_traitsISJ_E10value_typeEPNSP_ISK_E10value_typeEPSL_NS1_7vsmem_tEENKUlT_SJ_SK_SL_E_clISE_PsSF_SF_EESI_SY_SJ_SK_SL_EUlSY_E_NS1_11comp_targetILNS1_3genE5ELNS1_11target_archE942ELNS1_3gpuE9ELNS1_3repE0EEENS1_48merge_mergepath_partition_config_static_selectorELNS0_4arch9wavefront6targetE0EEEvSK_: ; @_ZN7rocprim17ROCPRIM_400000_NS6detail17trampoline_kernelINS0_14default_configENS1_38merge_sort_block_merge_config_selectorIsNS0_10empty_typeEEEZZNS1_27merge_sort_block_merge_implIS3_N6thrust23THRUST_200600_302600_NS6detail15normal_iteratorINS9_10device_ptrIsEEEEPS5_m11less_div_10IsEEE10hipError_tT0_T1_T2_jT3_P12ihipStream_tbPNSt15iterator_traitsISJ_E10value_typeEPNSP_ISK_E10value_typeEPSL_NS1_7vsmem_tEENKUlT_SJ_SK_SL_E_clISE_PsSF_SF_EESI_SY_SJ_SK_SL_EUlSY_E_NS1_11comp_targetILNS1_3genE5ELNS1_11target_archE942ELNS1_3gpuE9ELNS1_3repE0EEENS1_48merge_mergepath_partition_config_static_selectorELNS0_4arch9wavefront6targetE0EEEvSK_
; %bb.0:
	.section	.rodata,"a",@progbits
	.p2align	6, 0x0
	.amdhsa_kernel _ZN7rocprim17ROCPRIM_400000_NS6detail17trampoline_kernelINS0_14default_configENS1_38merge_sort_block_merge_config_selectorIsNS0_10empty_typeEEEZZNS1_27merge_sort_block_merge_implIS3_N6thrust23THRUST_200600_302600_NS6detail15normal_iteratorINS9_10device_ptrIsEEEEPS5_m11less_div_10IsEEE10hipError_tT0_T1_T2_jT3_P12ihipStream_tbPNSt15iterator_traitsISJ_E10value_typeEPNSP_ISK_E10value_typeEPSL_NS1_7vsmem_tEENKUlT_SJ_SK_SL_E_clISE_PsSF_SF_EESI_SY_SJ_SK_SL_EUlSY_E_NS1_11comp_targetILNS1_3genE5ELNS1_11target_archE942ELNS1_3gpuE9ELNS1_3repE0EEENS1_48merge_mergepath_partition_config_static_selectorELNS0_4arch9wavefront6targetE0EEEvSK_
		.amdhsa_group_segment_fixed_size 0
		.amdhsa_private_segment_fixed_size 0
		.amdhsa_kernarg_size 48
		.amdhsa_user_sgpr_count 6
		.amdhsa_user_sgpr_private_segment_buffer 1
		.amdhsa_user_sgpr_dispatch_ptr 0
		.amdhsa_user_sgpr_queue_ptr 0
		.amdhsa_user_sgpr_kernarg_segment_ptr 1
		.amdhsa_user_sgpr_dispatch_id 0
		.amdhsa_user_sgpr_flat_scratch_init 0
		.amdhsa_user_sgpr_private_segment_size 0
		.amdhsa_wavefront_size32 1
		.amdhsa_uses_dynamic_stack 0
		.amdhsa_system_sgpr_private_segment_wavefront_offset 0
		.amdhsa_system_sgpr_workgroup_id_x 1
		.amdhsa_system_sgpr_workgroup_id_y 0
		.amdhsa_system_sgpr_workgroup_id_z 0
		.amdhsa_system_sgpr_workgroup_info 0
		.amdhsa_system_vgpr_workitem_id 0
		.amdhsa_next_free_vgpr 1
		.amdhsa_next_free_sgpr 1
		.amdhsa_reserve_vcc 0
		.amdhsa_reserve_flat_scratch 0
		.amdhsa_float_round_mode_32 0
		.amdhsa_float_round_mode_16_64 0
		.amdhsa_float_denorm_mode_32 3
		.amdhsa_float_denorm_mode_16_64 3
		.amdhsa_dx10_clamp 1
		.amdhsa_ieee_mode 1
		.amdhsa_fp16_overflow 0
		.amdhsa_workgroup_processor_mode 1
		.amdhsa_memory_ordered 1
		.amdhsa_forward_progress 1
		.amdhsa_shared_vgpr_count 0
		.amdhsa_exception_fp_ieee_invalid_op 0
		.amdhsa_exception_fp_denorm_src 0
		.amdhsa_exception_fp_ieee_div_zero 0
		.amdhsa_exception_fp_ieee_overflow 0
		.amdhsa_exception_fp_ieee_underflow 0
		.amdhsa_exception_fp_ieee_inexact 0
		.amdhsa_exception_int_div_zero 0
	.end_amdhsa_kernel
	.section	.text._ZN7rocprim17ROCPRIM_400000_NS6detail17trampoline_kernelINS0_14default_configENS1_38merge_sort_block_merge_config_selectorIsNS0_10empty_typeEEEZZNS1_27merge_sort_block_merge_implIS3_N6thrust23THRUST_200600_302600_NS6detail15normal_iteratorINS9_10device_ptrIsEEEEPS5_m11less_div_10IsEEE10hipError_tT0_T1_T2_jT3_P12ihipStream_tbPNSt15iterator_traitsISJ_E10value_typeEPNSP_ISK_E10value_typeEPSL_NS1_7vsmem_tEENKUlT_SJ_SK_SL_E_clISE_PsSF_SF_EESI_SY_SJ_SK_SL_EUlSY_E_NS1_11comp_targetILNS1_3genE5ELNS1_11target_archE942ELNS1_3gpuE9ELNS1_3repE0EEENS1_48merge_mergepath_partition_config_static_selectorELNS0_4arch9wavefront6targetE0EEEvSK_,"axG",@progbits,_ZN7rocprim17ROCPRIM_400000_NS6detail17trampoline_kernelINS0_14default_configENS1_38merge_sort_block_merge_config_selectorIsNS0_10empty_typeEEEZZNS1_27merge_sort_block_merge_implIS3_N6thrust23THRUST_200600_302600_NS6detail15normal_iteratorINS9_10device_ptrIsEEEEPS5_m11less_div_10IsEEE10hipError_tT0_T1_T2_jT3_P12ihipStream_tbPNSt15iterator_traitsISJ_E10value_typeEPNSP_ISK_E10value_typeEPSL_NS1_7vsmem_tEENKUlT_SJ_SK_SL_E_clISE_PsSF_SF_EESI_SY_SJ_SK_SL_EUlSY_E_NS1_11comp_targetILNS1_3genE5ELNS1_11target_archE942ELNS1_3gpuE9ELNS1_3repE0EEENS1_48merge_mergepath_partition_config_static_selectorELNS0_4arch9wavefront6targetE0EEEvSK_,comdat
.Lfunc_end550:
	.size	_ZN7rocprim17ROCPRIM_400000_NS6detail17trampoline_kernelINS0_14default_configENS1_38merge_sort_block_merge_config_selectorIsNS0_10empty_typeEEEZZNS1_27merge_sort_block_merge_implIS3_N6thrust23THRUST_200600_302600_NS6detail15normal_iteratorINS9_10device_ptrIsEEEEPS5_m11less_div_10IsEEE10hipError_tT0_T1_T2_jT3_P12ihipStream_tbPNSt15iterator_traitsISJ_E10value_typeEPNSP_ISK_E10value_typeEPSL_NS1_7vsmem_tEENKUlT_SJ_SK_SL_E_clISE_PsSF_SF_EESI_SY_SJ_SK_SL_EUlSY_E_NS1_11comp_targetILNS1_3genE5ELNS1_11target_archE942ELNS1_3gpuE9ELNS1_3repE0EEENS1_48merge_mergepath_partition_config_static_selectorELNS0_4arch9wavefront6targetE0EEEvSK_, .Lfunc_end550-_ZN7rocprim17ROCPRIM_400000_NS6detail17trampoline_kernelINS0_14default_configENS1_38merge_sort_block_merge_config_selectorIsNS0_10empty_typeEEEZZNS1_27merge_sort_block_merge_implIS3_N6thrust23THRUST_200600_302600_NS6detail15normal_iteratorINS9_10device_ptrIsEEEEPS5_m11less_div_10IsEEE10hipError_tT0_T1_T2_jT3_P12ihipStream_tbPNSt15iterator_traitsISJ_E10value_typeEPNSP_ISK_E10value_typeEPSL_NS1_7vsmem_tEENKUlT_SJ_SK_SL_E_clISE_PsSF_SF_EESI_SY_SJ_SK_SL_EUlSY_E_NS1_11comp_targetILNS1_3genE5ELNS1_11target_archE942ELNS1_3gpuE9ELNS1_3repE0EEENS1_48merge_mergepath_partition_config_static_selectorELNS0_4arch9wavefront6targetE0EEEvSK_
                                        ; -- End function
	.set _ZN7rocprim17ROCPRIM_400000_NS6detail17trampoline_kernelINS0_14default_configENS1_38merge_sort_block_merge_config_selectorIsNS0_10empty_typeEEEZZNS1_27merge_sort_block_merge_implIS3_N6thrust23THRUST_200600_302600_NS6detail15normal_iteratorINS9_10device_ptrIsEEEEPS5_m11less_div_10IsEEE10hipError_tT0_T1_T2_jT3_P12ihipStream_tbPNSt15iterator_traitsISJ_E10value_typeEPNSP_ISK_E10value_typeEPSL_NS1_7vsmem_tEENKUlT_SJ_SK_SL_E_clISE_PsSF_SF_EESI_SY_SJ_SK_SL_EUlSY_E_NS1_11comp_targetILNS1_3genE5ELNS1_11target_archE942ELNS1_3gpuE9ELNS1_3repE0EEENS1_48merge_mergepath_partition_config_static_selectorELNS0_4arch9wavefront6targetE0EEEvSK_.num_vgpr, 0
	.set _ZN7rocprim17ROCPRIM_400000_NS6detail17trampoline_kernelINS0_14default_configENS1_38merge_sort_block_merge_config_selectorIsNS0_10empty_typeEEEZZNS1_27merge_sort_block_merge_implIS3_N6thrust23THRUST_200600_302600_NS6detail15normal_iteratorINS9_10device_ptrIsEEEEPS5_m11less_div_10IsEEE10hipError_tT0_T1_T2_jT3_P12ihipStream_tbPNSt15iterator_traitsISJ_E10value_typeEPNSP_ISK_E10value_typeEPSL_NS1_7vsmem_tEENKUlT_SJ_SK_SL_E_clISE_PsSF_SF_EESI_SY_SJ_SK_SL_EUlSY_E_NS1_11comp_targetILNS1_3genE5ELNS1_11target_archE942ELNS1_3gpuE9ELNS1_3repE0EEENS1_48merge_mergepath_partition_config_static_selectorELNS0_4arch9wavefront6targetE0EEEvSK_.num_agpr, 0
	.set _ZN7rocprim17ROCPRIM_400000_NS6detail17trampoline_kernelINS0_14default_configENS1_38merge_sort_block_merge_config_selectorIsNS0_10empty_typeEEEZZNS1_27merge_sort_block_merge_implIS3_N6thrust23THRUST_200600_302600_NS6detail15normal_iteratorINS9_10device_ptrIsEEEEPS5_m11less_div_10IsEEE10hipError_tT0_T1_T2_jT3_P12ihipStream_tbPNSt15iterator_traitsISJ_E10value_typeEPNSP_ISK_E10value_typeEPSL_NS1_7vsmem_tEENKUlT_SJ_SK_SL_E_clISE_PsSF_SF_EESI_SY_SJ_SK_SL_EUlSY_E_NS1_11comp_targetILNS1_3genE5ELNS1_11target_archE942ELNS1_3gpuE9ELNS1_3repE0EEENS1_48merge_mergepath_partition_config_static_selectorELNS0_4arch9wavefront6targetE0EEEvSK_.numbered_sgpr, 0
	.set _ZN7rocprim17ROCPRIM_400000_NS6detail17trampoline_kernelINS0_14default_configENS1_38merge_sort_block_merge_config_selectorIsNS0_10empty_typeEEEZZNS1_27merge_sort_block_merge_implIS3_N6thrust23THRUST_200600_302600_NS6detail15normal_iteratorINS9_10device_ptrIsEEEEPS5_m11less_div_10IsEEE10hipError_tT0_T1_T2_jT3_P12ihipStream_tbPNSt15iterator_traitsISJ_E10value_typeEPNSP_ISK_E10value_typeEPSL_NS1_7vsmem_tEENKUlT_SJ_SK_SL_E_clISE_PsSF_SF_EESI_SY_SJ_SK_SL_EUlSY_E_NS1_11comp_targetILNS1_3genE5ELNS1_11target_archE942ELNS1_3gpuE9ELNS1_3repE0EEENS1_48merge_mergepath_partition_config_static_selectorELNS0_4arch9wavefront6targetE0EEEvSK_.num_named_barrier, 0
	.set _ZN7rocprim17ROCPRIM_400000_NS6detail17trampoline_kernelINS0_14default_configENS1_38merge_sort_block_merge_config_selectorIsNS0_10empty_typeEEEZZNS1_27merge_sort_block_merge_implIS3_N6thrust23THRUST_200600_302600_NS6detail15normal_iteratorINS9_10device_ptrIsEEEEPS5_m11less_div_10IsEEE10hipError_tT0_T1_T2_jT3_P12ihipStream_tbPNSt15iterator_traitsISJ_E10value_typeEPNSP_ISK_E10value_typeEPSL_NS1_7vsmem_tEENKUlT_SJ_SK_SL_E_clISE_PsSF_SF_EESI_SY_SJ_SK_SL_EUlSY_E_NS1_11comp_targetILNS1_3genE5ELNS1_11target_archE942ELNS1_3gpuE9ELNS1_3repE0EEENS1_48merge_mergepath_partition_config_static_selectorELNS0_4arch9wavefront6targetE0EEEvSK_.private_seg_size, 0
	.set _ZN7rocprim17ROCPRIM_400000_NS6detail17trampoline_kernelINS0_14default_configENS1_38merge_sort_block_merge_config_selectorIsNS0_10empty_typeEEEZZNS1_27merge_sort_block_merge_implIS3_N6thrust23THRUST_200600_302600_NS6detail15normal_iteratorINS9_10device_ptrIsEEEEPS5_m11less_div_10IsEEE10hipError_tT0_T1_T2_jT3_P12ihipStream_tbPNSt15iterator_traitsISJ_E10value_typeEPNSP_ISK_E10value_typeEPSL_NS1_7vsmem_tEENKUlT_SJ_SK_SL_E_clISE_PsSF_SF_EESI_SY_SJ_SK_SL_EUlSY_E_NS1_11comp_targetILNS1_3genE5ELNS1_11target_archE942ELNS1_3gpuE9ELNS1_3repE0EEENS1_48merge_mergepath_partition_config_static_selectorELNS0_4arch9wavefront6targetE0EEEvSK_.uses_vcc, 0
	.set _ZN7rocprim17ROCPRIM_400000_NS6detail17trampoline_kernelINS0_14default_configENS1_38merge_sort_block_merge_config_selectorIsNS0_10empty_typeEEEZZNS1_27merge_sort_block_merge_implIS3_N6thrust23THRUST_200600_302600_NS6detail15normal_iteratorINS9_10device_ptrIsEEEEPS5_m11less_div_10IsEEE10hipError_tT0_T1_T2_jT3_P12ihipStream_tbPNSt15iterator_traitsISJ_E10value_typeEPNSP_ISK_E10value_typeEPSL_NS1_7vsmem_tEENKUlT_SJ_SK_SL_E_clISE_PsSF_SF_EESI_SY_SJ_SK_SL_EUlSY_E_NS1_11comp_targetILNS1_3genE5ELNS1_11target_archE942ELNS1_3gpuE9ELNS1_3repE0EEENS1_48merge_mergepath_partition_config_static_selectorELNS0_4arch9wavefront6targetE0EEEvSK_.uses_flat_scratch, 0
	.set _ZN7rocprim17ROCPRIM_400000_NS6detail17trampoline_kernelINS0_14default_configENS1_38merge_sort_block_merge_config_selectorIsNS0_10empty_typeEEEZZNS1_27merge_sort_block_merge_implIS3_N6thrust23THRUST_200600_302600_NS6detail15normal_iteratorINS9_10device_ptrIsEEEEPS5_m11less_div_10IsEEE10hipError_tT0_T1_T2_jT3_P12ihipStream_tbPNSt15iterator_traitsISJ_E10value_typeEPNSP_ISK_E10value_typeEPSL_NS1_7vsmem_tEENKUlT_SJ_SK_SL_E_clISE_PsSF_SF_EESI_SY_SJ_SK_SL_EUlSY_E_NS1_11comp_targetILNS1_3genE5ELNS1_11target_archE942ELNS1_3gpuE9ELNS1_3repE0EEENS1_48merge_mergepath_partition_config_static_selectorELNS0_4arch9wavefront6targetE0EEEvSK_.has_dyn_sized_stack, 0
	.set _ZN7rocprim17ROCPRIM_400000_NS6detail17trampoline_kernelINS0_14default_configENS1_38merge_sort_block_merge_config_selectorIsNS0_10empty_typeEEEZZNS1_27merge_sort_block_merge_implIS3_N6thrust23THRUST_200600_302600_NS6detail15normal_iteratorINS9_10device_ptrIsEEEEPS5_m11less_div_10IsEEE10hipError_tT0_T1_T2_jT3_P12ihipStream_tbPNSt15iterator_traitsISJ_E10value_typeEPNSP_ISK_E10value_typeEPSL_NS1_7vsmem_tEENKUlT_SJ_SK_SL_E_clISE_PsSF_SF_EESI_SY_SJ_SK_SL_EUlSY_E_NS1_11comp_targetILNS1_3genE5ELNS1_11target_archE942ELNS1_3gpuE9ELNS1_3repE0EEENS1_48merge_mergepath_partition_config_static_selectorELNS0_4arch9wavefront6targetE0EEEvSK_.has_recursion, 0
	.set _ZN7rocprim17ROCPRIM_400000_NS6detail17trampoline_kernelINS0_14default_configENS1_38merge_sort_block_merge_config_selectorIsNS0_10empty_typeEEEZZNS1_27merge_sort_block_merge_implIS3_N6thrust23THRUST_200600_302600_NS6detail15normal_iteratorINS9_10device_ptrIsEEEEPS5_m11less_div_10IsEEE10hipError_tT0_T1_T2_jT3_P12ihipStream_tbPNSt15iterator_traitsISJ_E10value_typeEPNSP_ISK_E10value_typeEPSL_NS1_7vsmem_tEENKUlT_SJ_SK_SL_E_clISE_PsSF_SF_EESI_SY_SJ_SK_SL_EUlSY_E_NS1_11comp_targetILNS1_3genE5ELNS1_11target_archE942ELNS1_3gpuE9ELNS1_3repE0EEENS1_48merge_mergepath_partition_config_static_selectorELNS0_4arch9wavefront6targetE0EEEvSK_.has_indirect_call, 0
	.section	.AMDGPU.csdata,"",@progbits
; Kernel info:
; codeLenInByte = 0
; TotalNumSgprs: 0
; NumVgprs: 0
; ScratchSize: 0
; MemoryBound: 0
; FloatMode: 240
; IeeeMode: 1
; LDSByteSize: 0 bytes/workgroup (compile time only)
; SGPRBlocks: 0
; VGPRBlocks: 0
; NumSGPRsForWavesPerEU: 1
; NumVGPRsForWavesPerEU: 1
; Occupancy: 16
; WaveLimiterHint : 0
; COMPUTE_PGM_RSRC2:SCRATCH_EN: 0
; COMPUTE_PGM_RSRC2:USER_SGPR: 6
; COMPUTE_PGM_RSRC2:TRAP_HANDLER: 0
; COMPUTE_PGM_RSRC2:TGID_X_EN: 1
; COMPUTE_PGM_RSRC2:TGID_Y_EN: 0
; COMPUTE_PGM_RSRC2:TGID_Z_EN: 0
; COMPUTE_PGM_RSRC2:TIDIG_COMP_CNT: 0
	.section	.text._ZN7rocprim17ROCPRIM_400000_NS6detail17trampoline_kernelINS0_14default_configENS1_38merge_sort_block_merge_config_selectorIsNS0_10empty_typeEEEZZNS1_27merge_sort_block_merge_implIS3_N6thrust23THRUST_200600_302600_NS6detail15normal_iteratorINS9_10device_ptrIsEEEEPS5_m11less_div_10IsEEE10hipError_tT0_T1_T2_jT3_P12ihipStream_tbPNSt15iterator_traitsISJ_E10value_typeEPNSP_ISK_E10value_typeEPSL_NS1_7vsmem_tEENKUlT_SJ_SK_SL_E_clISE_PsSF_SF_EESI_SY_SJ_SK_SL_EUlSY_E_NS1_11comp_targetILNS1_3genE4ELNS1_11target_archE910ELNS1_3gpuE8ELNS1_3repE0EEENS1_48merge_mergepath_partition_config_static_selectorELNS0_4arch9wavefront6targetE0EEEvSK_,"axG",@progbits,_ZN7rocprim17ROCPRIM_400000_NS6detail17trampoline_kernelINS0_14default_configENS1_38merge_sort_block_merge_config_selectorIsNS0_10empty_typeEEEZZNS1_27merge_sort_block_merge_implIS3_N6thrust23THRUST_200600_302600_NS6detail15normal_iteratorINS9_10device_ptrIsEEEEPS5_m11less_div_10IsEEE10hipError_tT0_T1_T2_jT3_P12ihipStream_tbPNSt15iterator_traitsISJ_E10value_typeEPNSP_ISK_E10value_typeEPSL_NS1_7vsmem_tEENKUlT_SJ_SK_SL_E_clISE_PsSF_SF_EESI_SY_SJ_SK_SL_EUlSY_E_NS1_11comp_targetILNS1_3genE4ELNS1_11target_archE910ELNS1_3gpuE8ELNS1_3repE0EEENS1_48merge_mergepath_partition_config_static_selectorELNS0_4arch9wavefront6targetE0EEEvSK_,comdat
	.protected	_ZN7rocprim17ROCPRIM_400000_NS6detail17trampoline_kernelINS0_14default_configENS1_38merge_sort_block_merge_config_selectorIsNS0_10empty_typeEEEZZNS1_27merge_sort_block_merge_implIS3_N6thrust23THRUST_200600_302600_NS6detail15normal_iteratorINS9_10device_ptrIsEEEEPS5_m11less_div_10IsEEE10hipError_tT0_T1_T2_jT3_P12ihipStream_tbPNSt15iterator_traitsISJ_E10value_typeEPNSP_ISK_E10value_typeEPSL_NS1_7vsmem_tEENKUlT_SJ_SK_SL_E_clISE_PsSF_SF_EESI_SY_SJ_SK_SL_EUlSY_E_NS1_11comp_targetILNS1_3genE4ELNS1_11target_archE910ELNS1_3gpuE8ELNS1_3repE0EEENS1_48merge_mergepath_partition_config_static_selectorELNS0_4arch9wavefront6targetE0EEEvSK_ ; -- Begin function _ZN7rocprim17ROCPRIM_400000_NS6detail17trampoline_kernelINS0_14default_configENS1_38merge_sort_block_merge_config_selectorIsNS0_10empty_typeEEEZZNS1_27merge_sort_block_merge_implIS3_N6thrust23THRUST_200600_302600_NS6detail15normal_iteratorINS9_10device_ptrIsEEEEPS5_m11less_div_10IsEEE10hipError_tT0_T1_T2_jT3_P12ihipStream_tbPNSt15iterator_traitsISJ_E10value_typeEPNSP_ISK_E10value_typeEPSL_NS1_7vsmem_tEENKUlT_SJ_SK_SL_E_clISE_PsSF_SF_EESI_SY_SJ_SK_SL_EUlSY_E_NS1_11comp_targetILNS1_3genE4ELNS1_11target_archE910ELNS1_3gpuE8ELNS1_3repE0EEENS1_48merge_mergepath_partition_config_static_selectorELNS0_4arch9wavefront6targetE0EEEvSK_
	.globl	_ZN7rocprim17ROCPRIM_400000_NS6detail17trampoline_kernelINS0_14default_configENS1_38merge_sort_block_merge_config_selectorIsNS0_10empty_typeEEEZZNS1_27merge_sort_block_merge_implIS3_N6thrust23THRUST_200600_302600_NS6detail15normal_iteratorINS9_10device_ptrIsEEEEPS5_m11less_div_10IsEEE10hipError_tT0_T1_T2_jT3_P12ihipStream_tbPNSt15iterator_traitsISJ_E10value_typeEPNSP_ISK_E10value_typeEPSL_NS1_7vsmem_tEENKUlT_SJ_SK_SL_E_clISE_PsSF_SF_EESI_SY_SJ_SK_SL_EUlSY_E_NS1_11comp_targetILNS1_3genE4ELNS1_11target_archE910ELNS1_3gpuE8ELNS1_3repE0EEENS1_48merge_mergepath_partition_config_static_selectorELNS0_4arch9wavefront6targetE0EEEvSK_
	.p2align	8
	.type	_ZN7rocprim17ROCPRIM_400000_NS6detail17trampoline_kernelINS0_14default_configENS1_38merge_sort_block_merge_config_selectorIsNS0_10empty_typeEEEZZNS1_27merge_sort_block_merge_implIS3_N6thrust23THRUST_200600_302600_NS6detail15normal_iteratorINS9_10device_ptrIsEEEEPS5_m11less_div_10IsEEE10hipError_tT0_T1_T2_jT3_P12ihipStream_tbPNSt15iterator_traitsISJ_E10value_typeEPNSP_ISK_E10value_typeEPSL_NS1_7vsmem_tEENKUlT_SJ_SK_SL_E_clISE_PsSF_SF_EESI_SY_SJ_SK_SL_EUlSY_E_NS1_11comp_targetILNS1_3genE4ELNS1_11target_archE910ELNS1_3gpuE8ELNS1_3repE0EEENS1_48merge_mergepath_partition_config_static_selectorELNS0_4arch9wavefront6targetE0EEEvSK_,@function
_ZN7rocprim17ROCPRIM_400000_NS6detail17trampoline_kernelINS0_14default_configENS1_38merge_sort_block_merge_config_selectorIsNS0_10empty_typeEEEZZNS1_27merge_sort_block_merge_implIS3_N6thrust23THRUST_200600_302600_NS6detail15normal_iteratorINS9_10device_ptrIsEEEEPS5_m11less_div_10IsEEE10hipError_tT0_T1_T2_jT3_P12ihipStream_tbPNSt15iterator_traitsISJ_E10value_typeEPNSP_ISK_E10value_typeEPSL_NS1_7vsmem_tEENKUlT_SJ_SK_SL_E_clISE_PsSF_SF_EESI_SY_SJ_SK_SL_EUlSY_E_NS1_11comp_targetILNS1_3genE4ELNS1_11target_archE910ELNS1_3gpuE8ELNS1_3repE0EEENS1_48merge_mergepath_partition_config_static_selectorELNS0_4arch9wavefront6targetE0EEEvSK_: ; @_ZN7rocprim17ROCPRIM_400000_NS6detail17trampoline_kernelINS0_14default_configENS1_38merge_sort_block_merge_config_selectorIsNS0_10empty_typeEEEZZNS1_27merge_sort_block_merge_implIS3_N6thrust23THRUST_200600_302600_NS6detail15normal_iteratorINS9_10device_ptrIsEEEEPS5_m11less_div_10IsEEE10hipError_tT0_T1_T2_jT3_P12ihipStream_tbPNSt15iterator_traitsISJ_E10value_typeEPNSP_ISK_E10value_typeEPSL_NS1_7vsmem_tEENKUlT_SJ_SK_SL_E_clISE_PsSF_SF_EESI_SY_SJ_SK_SL_EUlSY_E_NS1_11comp_targetILNS1_3genE4ELNS1_11target_archE910ELNS1_3gpuE8ELNS1_3repE0EEENS1_48merge_mergepath_partition_config_static_selectorELNS0_4arch9wavefront6targetE0EEEvSK_
; %bb.0:
	.section	.rodata,"a",@progbits
	.p2align	6, 0x0
	.amdhsa_kernel _ZN7rocprim17ROCPRIM_400000_NS6detail17trampoline_kernelINS0_14default_configENS1_38merge_sort_block_merge_config_selectorIsNS0_10empty_typeEEEZZNS1_27merge_sort_block_merge_implIS3_N6thrust23THRUST_200600_302600_NS6detail15normal_iteratorINS9_10device_ptrIsEEEEPS5_m11less_div_10IsEEE10hipError_tT0_T1_T2_jT3_P12ihipStream_tbPNSt15iterator_traitsISJ_E10value_typeEPNSP_ISK_E10value_typeEPSL_NS1_7vsmem_tEENKUlT_SJ_SK_SL_E_clISE_PsSF_SF_EESI_SY_SJ_SK_SL_EUlSY_E_NS1_11comp_targetILNS1_3genE4ELNS1_11target_archE910ELNS1_3gpuE8ELNS1_3repE0EEENS1_48merge_mergepath_partition_config_static_selectorELNS0_4arch9wavefront6targetE0EEEvSK_
		.amdhsa_group_segment_fixed_size 0
		.amdhsa_private_segment_fixed_size 0
		.amdhsa_kernarg_size 48
		.amdhsa_user_sgpr_count 6
		.amdhsa_user_sgpr_private_segment_buffer 1
		.amdhsa_user_sgpr_dispatch_ptr 0
		.amdhsa_user_sgpr_queue_ptr 0
		.amdhsa_user_sgpr_kernarg_segment_ptr 1
		.amdhsa_user_sgpr_dispatch_id 0
		.amdhsa_user_sgpr_flat_scratch_init 0
		.amdhsa_user_sgpr_private_segment_size 0
		.amdhsa_wavefront_size32 1
		.amdhsa_uses_dynamic_stack 0
		.amdhsa_system_sgpr_private_segment_wavefront_offset 0
		.amdhsa_system_sgpr_workgroup_id_x 1
		.amdhsa_system_sgpr_workgroup_id_y 0
		.amdhsa_system_sgpr_workgroup_id_z 0
		.amdhsa_system_sgpr_workgroup_info 0
		.amdhsa_system_vgpr_workitem_id 0
		.amdhsa_next_free_vgpr 1
		.amdhsa_next_free_sgpr 1
		.amdhsa_reserve_vcc 0
		.amdhsa_reserve_flat_scratch 0
		.amdhsa_float_round_mode_32 0
		.amdhsa_float_round_mode_16_64 0
		.amdhsa_float_denorm_mode_32 3
		.amdhsa_float_denorm_mode_16_64 3
		.amdhsa_dx10_clamp 1
		.amdhsa_ieee_mode 1
		.amdhsa_fp16_overflow 0
		.amdhsa_workgroup_processor_mode 1
		.amdhsa_memory_ordered 1
		.amdhsa_forward_progress 1
		.amdhsa_shared_vgpr_count 0
		.amdhsa_exception_fp_ieee_invalid_op 0
		.amdhsa_exception_fp_denorm_src 0
		.amdhsa_exception_fp_ieee_div_zero 0
		.amdhsa_exception_fp_ieee_overflow 0
		.amdhsa_exception_fp_ieee_underflow 0
		.amdhsa_exception_fp_ieee_inexact 0
		.amdhsa_exception_int_div_zero 0
	.end_amdhsa_kernel
	.section	.text._ZN7rocprim17ROCPRIM_400000_NS6detail17trampoline_kernelINS0_14default_configENS1_38merge_sort_block_merge_config_selectorIsNS0_10empty_typeEEEZZNS1_27merge_sort_block_merge_implIS3_N6thrust23THRUST_200600_302600_NS6detail15normal_iteratorINS9_10device_ptrIsEEEEPS5_m11less_div_10IsEEE10hipError_tT0_T1_T2_jT3_P12ihipStream_tbPNSt15iterator_traitsISJ_E10value_typeEPNSP_ISK_E10value_typeEPSL_NS1_7vsmem_tEENKUlT_SJ_SK_SL_E_clISE_PsSF_SF_EESI_SY_SJ_SK_SL_EUlSY_E_NS1_11comp_targetILNS1_3genE4ELNS1_11target_archE910ELNS1_3gpuE8ELNS1_3repE0EEENS1_48merge_mergepath_partition_config_static_selectorELNS0_4arch9wavefront6targetE0EEEvSK_,"axG",@progbits,_ZN7rocprim17ROCPRIM_400000_NS6detail17trampoline_kernelINS0_14default_configENS1_38merge_sort_block_merge_config_selectorIsNS0_10empty_typeEEEZZNS1_27merge_sort_block_merge_implIS3_N6thrust23THRUST_200600_302600_NS6detail15normal_iteratorINS9_10device_ptrIsEEEEPS5_m11less_div_10IsEEE10hipError_tT0_T1_T2_jT3_P12ihipStream_tbPNSt15iterator_traitsISJ_E10value_typeEPNSP_ISK_E10value_typeEPSL_NS1_7vsmem_tEENKUlT_SJ_SK_SL_E_clISE_PsSF_SF_EESI_SY_SJ_SK_SL_EUlSY_E_NS1_11comp_targetILNS1_3genE4ELNS1_11target_archE910ELNS1_3gpuE8ELNS1_3repE0EEENS1_48merge_mergepath_partition_config_static_selectorELNS0_4arch9wavefront6targetE0EEEvSK_,comdat
.Lfunc_end551:
	.size	_ZN7rocprim17ROCPRIM_400000_NS6detail17trampoline_kernelINS0_14default_configENS1_38merge_sort_block_merge_config_selectorIsNS0_10empty_typeEEEZZNS1_27merge_sort_block_merge_implIS3_N6thrust23THRUST_200600_302600_NS6detail15normal_iteratorINS9_10device_ptrIsEEEEPS5_m11less_div_10IsEEE10hipError_tT0_T1_T2_jT3_P12ihipStream_tbPNSt15iterator_traitsISJ_E10value_typeEPNSP_ISK_E10value_typeEPSL_NS1_7vsmem_tEENKUlT_SJ_SK_SL_E_clISE_PsSF_SF_EESI_SY_SJ_SK_SL_EUlSY_E_NS1_11comp_targetILNS1_3genE4ELNS1_11target_archE910ELNS1_3gpuE8ELNS1_3repE0EEENS1_48merge_mergepath_partition_config_static_selectorELNS0_4arch9wavefront6targetE0EEEvSK_, .Lfunc_end551-_ZN7rocprim17ROCPRIM_400000_NS6detail17trampoline_kernelINS0_14default_configENS1_38merge_sort_block_merge_config_selectorIsNS0_10empty_typeEEEZZNS1_27merge_sort_block_merge_implIS3_N6thrust23THRUST_200600_302600_NS6detail15normal_iteratorINS9_10device_ptrIsEEEEPS5_m11less_div_10IsEEE10hipError_tT0_T1_T2_jT3_P12ihipStream_tbPNSt15iterator_traitsISJ_E10value_typeEPNSP_ISK_E10value_typeEPSL_NS1_7vsmem_tEENKUlT_SJ_SK_SL_E_clISE_PsSF_SF_EESI_SY_SJ_SK_SL_EUlSY_E_NS1_11comp_targetILNS1_3genE4ELNS1_11target_archE910ELNS1_3gpuE8ELNS1_3repE0EEENS1_48merge_mergepath_partition_config_static_selectorELNS0_4arch9wavefront6targetE0EEEvSK_
                                        ; -- End function
	.set _ZN7rocprim17ROCPRIM_400000_NS6detail17trampoline_kernelINS0_14default_configENS1_38merge_sort_block_merge_config_selectorIsNS0_10empty_typeEEEZZNS1_27merge_sort_block_merge_implIS3_N6thrust23THRUST_200600_302600_NS6detail15normal_iteratorINS9_10device_ptrIsEEEEPS5_m11less_div_10IsEEE10hipError_tT0_T1_T2_jT3_P12ihipStream_tbPNSt15iterator_traitsISJ_E10value_typeEPNSP_ISK_E10value_typeEPSL_NS1_7vsmem_tEENKUlT_SJ_SK_SL_E_clISE_PsSF_SF_EESI_SY_SJ_SK_SL_EUlSY_E_NS1_11comp_targetILNS1_3genE4ELNS1_11target_archE910ELNS1_3gpuE8ELNS1_3repE0EEENS1_48merge_mergepath_partition_config_static_selectorELNS0_4arch9wavefront6targetE0EEEvSK_.num_vgpr, 0
	.set _ZN7rocprim17ROCPRIM_400000_NS6detail17trampoline_kernelINS0_14default_configENS1_38merge_sort_block_merge_config_selectorIsNS0_10empty_typeEEEZZNS1_27merge_sort_block_merge_implIS3_N6thrust23THRUST_200600_302600_NS6detail15normal_iteratorINS9_10device_ptrIsEEEEPS5_m11less_div_10IsEEE10hipError_tT0_T1_T2_jT3_P12ihipStream_tbPNSt15iterator_traitsISJ_E10value_typeEPNSP_ISK_E10value_typeEPSL_NS1_7vsmem_tEENKUlT_SJ_SK_SL_E_clISE_PsSF_SF_EESI_SY_SJ_SK_SL_EUlSY_E_NS1_11comp_targetILNS1_3genE4ELNS1_11target_archE910ELNS1_3gpuE8ELNS1_3repE0EEENS1_48merge_mergepath_partition_config_static_selectorELNS0_4arch9wavefront6targetE0EEEvSK_.num_agpr, 0
	.set _ZN7rocprim17ROCPRIM_400000_NS6detail17trampoline_kernelINS0_14default_configENS1_38merge_sort_block_merge_config_selectorIsNS0_10empty_typeEEEZZNS1_27merge_sort_block_merge_implIS3_N6thrust23THRUST_200600_302600_NS6detail15normal_iteratorINS9_10device_ptrIsEEEEPS5_m11less_div_10IsEEE10hipError_tT0_T1_T2_jT3_P12ihipStream_tbPNSt15iterator_traitsISJ_E10value_typeEPNSP_ISK_E10value_typeEPSL_NS1_7vsmem_tEENKUlT_SJ_SK_SL_E_clISE_PsSF_SF_EESI_SY_SJ_SK_SL_EUlSY_E_NS1_11comp_targetILNS1_3genE4ELNS1_11target_archE910ELNS1_3gpuE8ELNS1_3repE0EEENS1_48merge_mergepath_partition_config_static_selectorELNS0_4arch9wavefront6targetE0EEEvSK_.numbered_sgpr, 0
	.set _ZN7rocprim17ROCPRIM_400000_NS6detail17trampoline_kernelINS0_14default_configENS1_38merge_sort_block_merge_config_selectorIsNS0_10empty_typeEEEZZNS1_27merge_sort_block_merge_implIS3_N6thrust23THRUST_200600_302600_NS6detail15normal_iteratorINS9_10device_ptrIsEEEEPS5_m11less_div_10IsEEE10hipError_tT0_T1_T2_jT3_P12ihipStream_tbPNSt15iterator_traitsISJ_E10value_typeEPNSP_ISK_E10value_typeEPSL_NS1_7vsmem_tEENKUlT_SJ_SK_SL_E_clISE_PsSF_SF_EESI_SY_SJ_SK_SL_EUlSY_E_NS1_11comp_targetILNS1_3genE4ELNS1_11target_archE910ELNS1_3gpuE8ELNS1_3repE0EEENS1_48merge_mergepath_partition_config_static_selectorELNS0_4arch9wavefront6targetE0EEEvSK_.num_named_barrier, 0
	.set _ZN7rocprim17ROCPRIM_400000_NS6detail17trampoline_kernelINS0_14default_configENS1_38merge_sort_block_merge_config_selectorIsNS0_10empty_typeEEEZZNS1_27merge_sort_block_merge_implIS3_N6thrust23THRUST_200600_302600_NS6detail15normal_iteratorINS9_10device_ptrIsEEEEPS5_m11less_div_10IsEEE10hipError_tT0_T1_T2_jT3_P12ihipStream_tbPNSt15iterator_traitsISJ_E10value_typeEPNSP_ISK_E10value_typeEPSL_NS1_7vsmem_tEENKUlT_SJ_SK_SL_E_clISE_PsSF_SF_EESI_SY_SJ_SK_SL_EUlSY_E_NS1_11comp_targetILNS1_3genE4ELNS1_11target_archE910ELNS1_3gpuE8ELNS1_3repE0EEENS1_48merge_mergepath_partition_config_static_selectorELNS0_4arch9wavefront6targetE0EEEvSK_.private_seg_size, 0
	.set _ZN7rocprim17ROCPRIM_400000_NS6detail17trampoline_kernelINS0_14default_configENS1_38merge_sort_block_merge_config_selectorIsNS0_10empty_typeEEEZZNS1_27merge_sort_block_merge_implIS3_N6thrust23THRUST_200600_302600_NS6detail15normal_iteratorINS9_10device_ptrIsEEEEPS5_m11less_div_10IsEEE10hipError_tT0_T1_T2_jT3_P12ihipStream_tbPNSt15iterator_traitsISJ_E10value_typeEPNSP_ISK_E10value_typeEPSL_NS1_7vsmem_tEENKUlT_SJ_SK_SL_E_clISE_PsSF_SF_EESI_SY_SJ_SK_SL_EUlSY_E_NS1_11comp_targetILNS1_3genE4ELNS1_11target_archE910ELNS1_3gpuE8ELNS1_3repE0EEENS1_48merge_mergepath_partition_config_static_selectorELNS0_4arch9wavefront6targetE0EEEvSK_.uses_vcc, 0
	.set _ZN7rocprim17ROCPRIM_400000_NS6detail17trampoline_kernelINS0_14default_configENS1_38merge_sort_block_merge_config_selectorIsNS0_10empty_typeEEEZZNS1_27merge_sort_block_merge_implIS3_N6thrust23THRUST_200600_302600_NS6detail15normal_iteratorINS9_10device_ptrIsEEEEPS5_m11less_div_10IsEEE10hipError_tT0_T1_T2_jT3_P12ihipStream_tbPNSt15iterator_traitsISJ_E10value_typeEPNSP_ISK_E10value_typeEPSL_NS1_7vsmem_tEENKUlT_SJ_SK_SL_E_clISE_PsSF_SF_EESI_SY_SJ_SK_SL_EUlSY_E_NS1_11comp_targetILNS1_3genE4ELNS1_11target_archE910ELNS1_3gpuE8ELNS1_3repE0EEENS1_48merge_mergepath_partition_config_static_selectorELNS0_4arch9wavefront6targetE0EEEvSK_.uses_flat_scratch, 0
	.set _ZN7rocprim17ROCPRIM_400000_NS6detail17trampoline_kernelINS0_14default_configENS1_38merge_sort_block_merge_config_selectorIsNS0_10empty_typeEEEZZNS1_27merge_sort_block_merge_implIS3_N6thrust23THRUST_200600_302600_NS6detail15normal_iteratorINS9_10device_ptrIsEEEEPS5_m11less_div_10IsEEE10hipError_tT0_T1_T2_jT3_P12ihipStream_tbPNSt15iterator_traitsISJ_E10value_typeEPNSP_ISK_E10value_typeEPSL_NS1_7vsmem_tEENKUlT_SJ_SK_SL_E_clISE_PsSF_SF_EESI_SY_SJ_SK_SL_EUlSY_E_NS1_11comp_targetILNS1_3genE4ELNS1_11target_archE910ELNS1_3gpuE8ELNS1_3repE0EEENS1_48merge_mergepath_partition_config_static_selectorELNS0_4arch9wavefront6targetE0EEEvSK_.has_dyn_sized_stack, 0
	.set _ZN7rocprim17ROCPRIM_400000_NS6detail17trampoline_kernelINS0_14default_configENS1_38merge_sort_block_merge_config_selectorIsNS0_10empty_typeEEEZZNS1_27merge_sort_block_merge_implIS3_N6thrust23THRUST_200600_302600_NS6detail15normal_iteratorINS9_10device_ptrIsEEEEPS5_m11less_div_10IsEEE10hipError_tT0_T1_T2_jT3_P12ihipStream_tbPNSt15iterator_traitsISJ_E10value_typeEPNSP_ISK_E10value_typeEPSL_NS1_7vsmem_tEENKUlT_SJ_SK_SL_E_clISE_PsSF_SF_EESI_SY_SJ_SK_SL_EUlSY_E_NS1_11comp_targetILNS1_3genE4ELNS1_11target_archE910ELNS1_3gpuE8ELNS1_3repE0EEENS1_48merge_mergepath_partition_config_static_selectorELNS0_4arch9wavefront6targetE0EEEvSK_.has_recursion, 0
	.set _ZN7rocprim17ROCPRIM_400000_NS6detail17trampoline_kernelINS0_14default_configENS1_38merge_sort_block_merge_config_selectorIsNS0_10empty_typeEEEZZNS1_27merge_sort_block_merge_implIS3_N6thrust23THRUST_200600_302600_NS6detail15normal_iteratorINS9_10device_ptrIsEEEEPS5_m11less_div_10IsEEE10hipError_tT0_T1_T2_jT3_P12ihipStream_tbPNSt15iterator_traitsISJ_E10value_typeEPNSP_ISK_E10value_typeEPSL_NS1_7vsmem_tEENKUlT_SJ_SK_SL_E_clISE_PsSF_SF_EESI_SY_SJ_SK_SL_EUlSY_E_NS1_11comp_targetILNS1_3genE4ELNS1_11target_archE910ELNS1_3gpuE8ELNS1_3repE0EEENS1_48merge_mergepath_partition_config_static_selectorELNS0_4arch9wavefront6targetE0EEEvSK_.has_indirect_call, 0
	.section	.AMDGPU.csdata,"",@progbits
; Kernel info:
; codeLenInByte = 0
; TotalNumSgprs: 0
; NumVgprs: 0
; ScratchSize: 0
; MemoryBound: 0
; FloatMode: 240
; IeeeMode: 1
; LDSByteSize: 0 bytes/workgroup (compile time only)
; SGPRBlocks: 0
; VGPRBlocks: 0
; NumSGPRsForWavesPerEU: 1
; NumVGPRsForWavesPerEU: 1
; Occupancy: 16
; WaveLimiterHint : 0
; COMPUTE_PGM_RSRC2:SCRATCH_EN: 0
; COMPUTE_PGM_RSRC2:USER_SGPR: 6
; COMPUTE_PGM_RSRC2:TRAP_HANDLER: 0
; COMPUTE_PGM_RSRC2:TGID_X_EN: 1
; COMPUTE_PGM_RSRC2:TGID_Y_EN: 0
; COMPUTE_PGM_RSRC2:TGID_Z_EN: 0
; COMPUTE_PGM_RSRC2:TIDIG_COMP_CNT: 0
	.section	.text._ZN7rocprim17ROCPRIM_400000_NS6detail17trampoline_kernelINS0_14default_configENS1_38merge_sort_block_merge_config_selectorIsNS0_10empty_typeEEEZZNS1_27merge_sort_block_merge_implIS3_N6thrust23THRUST_200600_302600_NS6detail15normal_iteratorINS9_10device_ptrIsEEEEPS5_m11less_div_10IsEEE10hipError_tT0_T1_T2_jT3_P12ihipStream_tbPNSt15iterator_traitsISJ_E10value_typeEPNSP_ISK_E10value_typeEPSL_NS1_7vsmem_tEENKUlT_SJ_SK_SL_E_clISE_PsSF_SF_EESI_SY_SJ_SK_SL_EUlSY_E_NS1_11comp_targetILNS1_3genE3ELNS1_11target_archE908ELNS1_3gpuE7ELNS1_3repE0EEENS1_48merge_mergepath_partition_config_static_selectorELNS0_4arch9wavefront6targetE0EEEvSK_,"axG",@progbits,_ZN7rocprim17ROCPRIM_400000_NS6detail17trampoline_kernelINS0_14default_configENS1_38merge_sort_block_merge_config_selectorIsNS0_10empty_typeEEEZZNS1_27merge_sort_block_merge_implIS3_N6thrust23THRUST_200600_302600_NS6detail15normal_iteratorINS9_10device_ptrIsEEEEPS5_m11less_div_10IsEEE10hipError_tT0_T1_T2_jT3_P12ihipStream_tbPNSt15iterator_traitsISJ_E10value_typeEPNSP_ISK_E10value_typeEPSL_NS1_7vsmem_tEENKUlT_SJ_SK_SL_E_clISE_PsSF_SF_EESI_SY_SJ_SK_SL_EUlSY_E_NS1_11comp_targetILNS1_3genE3ELNS1_11target_archE908ELNS1_3gpuE7ELNS1_3repE0EEENS1_48merge_mergepath_partition_config_static_selectorELNS0_4arch9wavefront6targetE0EEEvSK_,comdat
	.protected	_ZN7rocprim17ROCPRIM_400000_NS6detail17trampoline_kernelINS0_14default_configENS1_38merge_sort_block_merge_config_selectorIsNS0_10empty_typeEEEZZNS1_27merge_sort_block_merge_implIS3_N6thrust23THRUST_200600_302600_NS6detail15normal_iteratorINS9_10device_ptrIsEEEEPS5_m11less_div_10IsEEE10hipError_tT0_T1_T2_jT3_P12ihipStream_tbPNSt15iterator_traitsISJ_E10value_typeEPNSP_ISK_E10value_typeEPSL_NS1_7vsmem_tEENKUlT_SJ_SK_SL_E_clISE_PsSF_SF_EESI_SY_SJ_SK_SL_EUlSY_E_NS1_11comp_targetILNS1_3genE3ELNS1_11target_archE908ELNS1_3gpuE7ELNS1_3repE0EEENS1_48merge_mergepath_partition_config_static_selectorELNS0_4arch9wavefront6targetE0EEEvSK_ ; -- Begin function _ZN7rocprim17ROCPRIM_400000_NS6detail17trampoline_kernelINS0_14default_configENS1_38merge_sort_block_merge_config_selectorIsNS0_10empty_typeEEEZZNS1_27merge_sort_block_merge_implIS3_N6thrust23THRUST_200600_302600_NS6detail15normal_iteratorINS9_10device_ptrIsEEEEPS5_m11less_div_10IsEEE10hipError_tT0_T1_T2_jT3_P12ihipStream_tbPNSt15iterator_traitsISJ_E10value_typeEPNSP_ISK_E10value_typeEPSL_NS1_7vsmem_tEENKUlT_SJ_SK_SL_E_clISE_PsSF_SF_EESI_SY_SJ_SK_SL_EUlSY_E_NS1_11comp_targetILNS1_3genE3ELNS1_11target_archE908ELNS1_3gpuE7ELNS1_3repE0EEENS1_48merge_mergepath_partition_config_static_selectorELNS0_4arch9wavefront6targetE0EEEvSK_
	.globl	_ZN7rocprim17ROCPRIM_400000_NS6detail17trampoline_kernelINS0_14default_configENS1_38merge_sort_block_merge_config_selectorIsNS0_10empty_typeEEEZZNS1_27merge_sort_block_merge_implIS3_N6thrust23THRUST_200600_302600_NS6detail15normal_iteratorINS9_10device_ptrIsEEEEPS5_m11less_div_10IsEEE10hipError_tT0_T1_T2_jT3_P12ihipStream_tbPNSt15iterator_traitsISJ_E10value_typeEPNSP_ISK_E10value_typeEPSL_NS1_7vsmem_tEENKUlT_SJ_SK_SL_E_clISE_PsSF_SF_EESI_SY_SJ_SK_SL_EUlSY_E_NS1_11comp_targetILNS1_3genE3ELNS1_11target_archE908ELNS1_3gpuE7ELNS1_3repE0EEENS1_48merge_mergepath_partition_config_static_selectorELNS0_4arch9wavefront6targetE0EEEvSK_
	.p2align	8
	.type	_ZN7rocprim17ROCPRIM_400000_NS6detail17trampoline_kernelINS0_14default_configENS1_38merge_sort_block_merge_config_selectorIsNS0_10empty_typeEEEZZNS1_27merge_sort_block_merge_implIS3_N6thrust23THRUST_200600_302600_NS6detail15normal_iteratorINS9_10device_ptrIsEEEEPS5_m11less_div_10IsEEE10hipError_tT0_T1_T2_jT3_P12ihipStream_tbPNSt15iterator_traitsISJ_E10value_typeEPNSP_ISK_E10value_typeEPSL_NS1_7vsmem_tEENKUlT_SJ_SK_SL_E_clISE_PsSF_SF_EESI_SY_SJ_SK_SL_EUlSY_E_NS1_11comp_targetILNS1_3genE3ELNS1_11target_archE908ELNS1_3gpuE7ELNS1_3repE0EEENS1_48merge_mergepath_partition_config_static_selectorELNS0_4arch9wavefront6targetE0EEEvSK_,@function
_ZN7rocprim17ROCPRIM_400000_NS6detail17trampoline_kernelINS0_14default_configENS1_38merge_sort_block_merge_config_selectorIsNS0_10empty_typeEEEZZNS1_27merge_sort_block_merge_implIS3_N6thrust23THRUST_200600_302600_NS6detail15normal_iteratorINS9_10device_ptrIsEEEEPS5_m11less_div_10IsEEE10hipError_tT0_T1_T2_jT3_P12ihipStream_tbPNSt15iterator_traitsISJ_E10value_typeEPNSP_ISK_E10value_typeEPSL_NS1_7vsmem_tEENKUlT_SJ_SK_SL_E_clISE_PsSF_SF_EESI_SY_SJ_SK_SL_EUlSY_E_NS1_11comp_targetILNS1_3genE3ELNS1_11target_archE908ELNS1_3gpuE7ELNS1_3repE0EEENS1_48merge_mergepath_partition_config_static_selectorELNS0_4arch9wavefront6targetE0EEEvSK_: ; @_ZN7rocprim17ROCPRIM_400000_NS6detail17trampoline_kernelINS0_14default_configENS1_38merge_sort_block_merge_config_selectorIsNS0_10empty_typeEEEZZNS1_27merge_sort_block_merge_implIS3_N6thrust23THRUST_200600_302600_NS6detail15normal_iteratorINS9_10device_ptrIsEEEEPS5_m11less_div_10IsEEE10hipError_tT0_T1_T2_jT3_P12ihipStream_tbPNSt15iterator_traitsISJ_E10value_typeEPNSP_ISK_E10value_typeEPSL_NS1_7vsmem_tEENKUlT_SJ_SK_SL_E_clISE_PsSF_SF_EESI_SY_SJ_SK_SL_EUlSY_E_NS1_11comp_targetILNS1_3genE3ELNS1_11target_archE908ELNS1_3gpuE7ELNS1_3repE0EEENS1_48merge_mergepath_partition_config_static_selectorELNS0_4arch9wavefront6targetE0EEEvSK_
; %bb.0:
	.section	.rodata,"a",@progbits
	.p2align	6, 0x0
	.amdhsa_kernel _ZN7rocprim17ROCPRIM_400000_NS6detail17trampoline_kernelINS0_14default_configENS1_38merge_sort_block_merge_config_selectorIsNS0_10empty_typeEEEZZNS1_27merge_sort_block_merge_implIS3_N6thrust23THRUST_200600_302600_NS6detail15normal_iteratorINS9_10device_ptrIsEEEEPS5_m11less_div_10IsEEE10hipError_tT0_T1_T2_jT3_P12ihipStream_tbPNSt15iterator_traitsISJ_E10value_typeEPNSP_ISK_E10value_typeEPSL_NS1_7vsmem_tEENKUlT_SJ_SK_SL_E_clISE_PsSF_SF_EESI_SY_SJ_SK_SL_EUlSY_E_NS1_11comp_targetILNS1_3genE3ELNS1_11target_archE908ELNS1_3gpuE7ELNS1_3repE0EEENS1_48merge_mergepath_partition_config_static_selectorELNS0_4arch9wavefront6targetE0EEEvSK_
		.amdhsa_group_segment_fixed_size 0
		.amdhsa_private_segment_fixed_size 0
		.amdhsa_kernarg_size 48
		.amdhsa_user_sgpr_count 6
		.amdhsa_user_sgpr_private_segment_buffer 1
		.amdhsa_user_sgpr_dispatch_ptr 0
		.amdhsa_user_sgpr_queue_ptr 0
		.amdhsa_user_sgpr_kernarg_segment_ptr 1
		.amdhsa_user_sgpr_dispatch_id 0
		.amdhsa_user_sgpr_flat_scratch_init 0
		.amdhsa_user_sgpr_private_segment_size 0
		.amdhsa_wavefront_size32 1
		.amdhsa_uses_dynamic_stack 0
		.amdhsa_system_sgpr_private_segment_wavefront_offset 0
		.amdhsa_system_sgpr_workgroup_id_x 1
		.amdhsa_system_sgpr_workgroup_id_y 0
		.amdhsa_system_sgpr_workgroup_id_z 0
		.amdhsa_system_sgpr_workgroup_info 0
		.amdhsa_system_vgpr_workitem_id 0
		.amdhsa_next_free_vgpr 1
		.amdhsa_next_free_sgpr 1
		.amdhsa_reserve_vcc 0
		.amdhsa_reserve_flat_scratch 0
		.amdhsa_float_round_mode_32 0
		.amdhsa_float_round_mode_16_64 0
		.amdhsa_float_denorm_mode_32 3
		.amdhsa_float_denorm_mode_16_64 3
		.amdhsa_dx10_clamp 1
		.amdhsa_ieee_mode 1
		.amdhsa_fp16_overflow 0
		.amdhsa_workgroup_processor_mode 1
		.amdhsa_memory_ordered 1
		.amdhsa_forward_progress 1
		.amdhsa_shared_vgpr_count 0
		.amdhsa_exception_fp_ieee_invalid_op 0
		.amdhsa_exception_fp_denorm_src 0
		.amdhsa_exception_fp_ieee_div_zero 0
		.amdhsa_exception_fp_ieee_overflow 0
		.amdhsa_exception_fp_ieee_underflow 0
		.amdhsa_exception_fp_ieee_inexact 0
		.amdhsa_exception_int_div_zero 0
	.end_amdhsa_kernel
	.section	.text._ZN7rocprim17ROCPRIM_400000_NS6detail17trampoline_kernelINS0_14default_configENS1_38merge_sort_block_merge_config_selectorIsNS0_10empty_typeEEEZZNS1_27merge_sort_block_merge_implIS3_N6thrust23THRUST_200600_302600_NS6detail15normal_iteratorINS9_10device_ptrIsEEEEPS5_m11less_div_10IsEEE10hipError_tT0_T1_T2_jT3_P12ihipStream_tbPNSt15iterator_traitsISJ_E10value_typeEPNSP_ISK_E10value_typeEPSL_NS1_7vsmem_tEENKUlT_SJ_SK_SL_E_clISE_PsSF_SF_EESI_SY_SJ_SK_SL_EUlSY_E_NS1_11comp_targetILNS1_3genE3ELNS1_11target_archE908ELNS1_3gpuE7ELNS1_3repE0EEENS1_48merge_mergepath_partition_config_static_selectorELNS0_4arch9wavefront6targetE0EEEvSK_,"axG",@progbits,_ZN7rocprim17ROCPRIM_400000_NS6detail17trampoline_kernelINS0_14default_configENS1_38merge_sort_block_merge_config_selectorIsNS0_10empty_typeEEEZZNS1_27merge_sort_block_merge_implIS3_N6thrust23THRUST_200600_302600_NS6detail15normal_iteratorINS9_10device_ptrIsEEEEPS5_m11less_div_10IsEEE10hipError_tT0_T1_T2_jT3_P12ihipStream_tbPNSt15iterator_traitsISJ_E10value_typeEPNSP_ISK_E10value_typeEPSL_NS1_7vsmem_tEENKUlT_SJ_SK_SL_E_clISE_PsSF_SF_EESI_SY_SJ_SK_SL_EUlSY_E_NS1_11comp_targetILNS1_3genE3ELNS1_11target_archE908ELNS1_3gpuE7ELNS1_3repE0EEENS1_48merge_mergepath_partition_config_static_selectorELNS0_4arch9wavefront6targetE0EEEvSK_,comdat
.Lfunc_end552:
	.size	_ZN7rocprim17ROCPRIM_400000_NS6detail17trampoline_kernelINS0_14default_configENS1_38merge_sort_block_merge_config_selectorIsNS0_10empty_typeEEEZZNS1_27merge_sort_block_merge_implIS3_N6thrust23THRUST_200600_302600_NS6detail15normal_iteratorINS9_10device_ptrIsEEEEPS5_m11less_div_10IsEEE10hipError_tT0_T1_T2_jT3_P12ihipStream_tbPNSt15iterator_traitsISJ_E10value_typeEPNSP_ISK_E10value_typeEPSL_NS1_7vsmem_tEENKUlT_SJ_SK_SL_E_clISE_PsSF_SF_EESI_SY_SJ_SK_SL_EUlSY_E_NS1_11comp_targetILNS1_3genE3ELNS1_11target_archE908ELNS1_3gpuE7ELNS1_3repE0EEENS1_48merge_mergepath_partition_config_static_selectorELNS0_4arch9wavefront6targetE0EEEvSK_, .Lfunc_end552-_ZN7rocprim17ROCPRIM_400000_NS6detail17trampoline_kernelINS0_14default_configENS1_38merge_sort_block_merge_config_selectorIsNS0_10empty_typeEEEZZNS1_27merge_sort_block_merge_implIS3_N6thrust23THRUST_200600_302600_NS6detail15normal_iteratorINS9_10device_ptrIsEEEEPS5_m11less_div_10IsEEE10hipError_tT0_T1_T2_jT3_P12ihipStream_tbPNSt15iterator_traitsISJ_E10value_typeEPNSP_ISK_E10value_typeEPSL_NS1_7vsmem_tEENKUlT_SJ_SK_SL_E_clISE_PsSF_SF_EESI_SY_SJ_SK_SL_EUlSY_E_NS1_11comp_targetILNS1_3genE3ELNS1_11target_archE908ELNS1_3gpuE7ELNS1_3repE0EEENS1_48merge_mergepath_partition_config_static_selectorELNS0_4arch9wavefront6targetE0EEEvSK_
                                        ; -- End function
	.set _ZN7rocprim17ROCPRIM_400000_NS6detail17trampoline_kernelINS0_14default_configENS1_38merge_sort_block_merge_config_selectorIsNS0_10empty_typeEEEZZNS1_27merge_sort_block_merge_implIS3_N6thrust23THRUST_200600_302600_NS6detail15normal_iteratorINS9_10device_ptrIsEEEEPS5_m11less_div_10IsEEE10hipError_tT0_T1_T2_jT3_P12ihipStream_tbPNSt15iterator_traitsISJ_E10value_typeEPNSP_ISK_E10value_typeEPSL_NS1_7vsmem_tEENKUlT_SJ_SK_SL_E_clISE_PsSF_SF_EESI_SY_SJ_SK_SL_EUlSY_E_NS1_11comp_targetILNS1_3genE3ELNS1_11target_archE908ELNS1_3gpuE7ELNS1_3repE0EEENS1_48merge_mergepath_partition_config_static_selectorELNS0_4arch9wavefront6targetE0EEEvSK_.num_vgpr, 0
	.set _ZN7rocprim17ROCPRIM_400000_NS6detail17trampoline_kernelINS0_14default_configENS1_38merge_sort_block_merge_config_selectorIsNS0_10empty_typeEEEZZNS1_27merge_sort_block_merge_implIS3_N6thrust23THRUST_200600_302600_NS6detail15normal_iteratorINS9_10device_ptrIsEEEEPS5_m11less_div_10IsEEE10hipError_tT0_T1_T2_jT3_P12ihipStream_tbPNSt15iterator_traitsISJ_E10value_typeEPNSP_ISK_E10value_typeEPSL_NS1_7vsmem_tEENKUlT_SJ_SK_SL_E_clISE_PsSF_SF_EESI_SY_SJ_SK_SL_EUlSY_E_NS1_11comp_targetILNS1_3genE3ELNS1_11target_archE908ELNS1_3gpuE7ELNS1_3repE0EEENS1_48merge_mergepath_partition_config_static_selectorELNS0_4arch9wavefront6targetE0EEEvSK_.num_agpr, 0
	.set _ZN7rocprim17ROCPRIM_400000_NS6detail17trampoline_kernelINS0_14default_configENS1_38merge_sort_block_merge_config_selectorIsNS0_10empty_typeEEEZZNS1_27merge_sort_block_merge_implIS3_N6thrust23THRUST_200600_302600_NS6detail15normal_iteratorINS9_10device_ptrIsEEEEPS5_m11less_div_10IsEEE10hipError_tT0_T1_T2_jT3_P12ihipStream_tbPNSt15iterator_traitsISJ_E10value_typeEPNSP_ISK_E10value_typeEPSL_NS1_7vsmem_tEENKUlT_SJ_SK_SL_E_clISE_PsSF_SF_EESI_SY_SJ_SK_SL_EUlSY_E_NS1_11comp_targetILNS1_3genE3ELNS1_11target_archE908ELNS1_3gpuE7ELNS1_3repE0EEENS1_48merge_mergepath_partition_config_static_selectorELNS0_4arch9wavefront6targetE0EEEvSK_.numbered_sgpr, 0
	.set _ZN7rocprim17ROCPRIM_400000_NS6detail17trampoline_kernelINS0_14default_configENS1_38merge_sort_block_merge_config_selectorIsNS0_10empty_typeEEEZZNS1_27merge_sort_block_merge_implIS3_N6thrust23THRUST_200600_302600_NS6detail15normal_iteratorINS9_10device_ptrIsEEEEPS5_m11less_div_10IsEEE10hipError_tT0_T1_T2_jT3_P12ihipStream_tbPNSt15iterator_traitsISJ_E10value_typeEPNSP_ISK_E10value_typeEPSL_NS1_7vsmem_tEENKUlT_SJ_SK_SL_E_clISE_PsSF_SF_EESI_SY_SJ_SK_SL_EUlSY_E_NS1_11comp_targetILNS1_3genE3ELNS1_11target_archE908ELNS1_3gpuE7ELNS1_3repE0EEENS1_48merge_mergepath_partition_config_static_selectorELNS0_4arch9wavefront6targetE0EEEvSK_.num_named_barrier, 0
	.set _ZN7rocprim17ROCPRIM_400000_NS6detail17trampoline_kernelINS0_14default_configENS1_38merge_sort_block_merge_config_selectorIsNS0_10empty_typeEEEZZNS1_27merge_sort_block_merge_implIS3_N6thrust23THRUST_200600_302600_NS6detail15normal_iteratorINS9_10device_ptrIsEEEEPS5_m11less_div_10IsEEE10hipError_tT0_T1_T2_jT3_P12ihipStream_tbPNSt15iterator_traitsISJ_E10value_typeEPNSP_ISK_E10value_typeEPSL_NS1_7vsmem_tEENKUlT_SJ_SK_SL_E_clISE_PsSF_SF_EESI_SY_SJ_SK_SL_EUlSY_E_NS1_11comp_targetILNS1_3genE3ELNS1_11target_archE908ELNS1_3gpuE7ELNS1_3repE0EEENS1_48merge_mergepath_partition_config_static_selectorELNS0_4arch9wavefront6targetE0EEEvSK_.private_seg_size, 0
	.set _ZN7rocprim17ROCPRIM_400000_NS6detail17trampoline_kernelINS0_14default_configENS1_38merge_sort_block_merge_config_selectorIsNS0_10empty_typeEEEZZNS1_27merge_sort_block_merge_implIS3_N6thrust23THRUST_200600_302600_NS6detail15normal_iteratorINS9_10device_ptrIsEEEEPS5_m11less_div_10IsEEE10hipError_tT0_T1_T2_jT3_P12ihipStream_tbPNSt15iterator_traitsISJ_E10value_typeEPNSP_ISK_E10value_typeEPSL_NS1_7vsmem_tEENKUlT_SJ_SK_SL_E_clISE_PsSF_SF_EESI_SY_SJ_SK_SL_EUlSY_E_NS1_11comp_targetILNS1_3genE3ELNS1_11target_archE908ELNS1_3gpuE7ELNS1_3repE0EEENS1_48merge_mergepath_partition_config_static_selectorELNS0_4arch9wavefront6targetE0EEEvSK_.uses_vcc, 0
	.set _ZN7rocprim17ROCPRIM_400000_NS6detail17trampoline_kernelINS0_14default_configENS1_38merge_sort_block_merge_config_selectorIsNS0_10empty_typeEEEZZNS1_27merge_sort_block_merge_implIS3_N6thrust23THRUST_200600_302600_NS6detail15normal_iteratorINS9_10device_ptrIsEEEEPS5_m11less_div_10IsEEE10hipError_tT0_T1_T2_jT3_P12ihipStream_tbPNSt15iterator_traitsISJ_E10value_typeEPNSP_ISK_E10value_typeEPSL_NS1_7vsmem_tEENKUlT_SJ_SK_SL_E_clISE_PsSF_SF_EESI_SY_SJ_SK_SL_EUlSY_E_NS1_11comp_targetILNS1_3genE3ELNS1_11target_archE908ELNS1_3gpuE7ELNS1_3repE0EEENS1_48merge_mergepath_partition_config_static_selectorELNS0_4arch9wavefront6targetE0EEEvSK_.uses_flat_scratch, 0
	.set _ZN7rocprim17ROCPRIM_400000_NS6detail17trampoline_kernelINS0_14default_configENS1_38merge_sort_block_merge_config_selectorIsNS0_10empty_typeEEEZZNS1_27merge_sort_block_merge_implIS3_N6thrust23THRUST_200600_302600_NS6detail15normal_iteratorINS9_10device_ptrIsEEEEPS5_m11less_div_10IsEEE10hipError_tT0_T1_T2_jT3_P12ihipStream_tbPNSt15iterator_traitsISJ_E10value_typeEPNSP_ISK_E10value_typeEPSL_NS1_7vsmem_tEENKUlT_SJ_SK_SL_E_clISE_PsSF_SF_EESI_SY_SJ_SK_SL_EUlSY_E_NS1_11comp_targetILNS1_3genE3ELNS1_11target_archE908ELNS1_3gpuE7ELNS1_3repE0EEENS1_48merge_mergepath_partition_config_static_selectorELNS0_4arch9wavefront6targetE0EEEvSK_.has_dyn_sized_stack, 0
	.set _ZN7rocprim17ROCPRIM_400000_NS6detail17trampoline_kernelINS0_14default_configENS1_38merge_sort_block_merge_config_selectorIsNS0_10empty_typeEEEZZNS1_27merge_sort_block_merge_implIS3_N6thrust23THRUST_200600_302600_NS6detail15normal_iteratorINS9_10device_ptrIsEEEEPS5_m11less_div_10IsEEE10hipError_tT0_T1_T2_jT3_P12ihipStream_tbPNSt15iterator_traitsISJ_E10value_typeEPNSP_ISK_E10value_typeEPSL_NS1_7vsmem_tEENKUlT_SJ_SK_SL_E_clISE_PsSF_SF_EESI_SY_SJ_SK_SL_EUlSY_E_NS1_11comp_targetILNS1_3genE3ELNS1_11target_archE908ELNS1_3gpuE7ELNS1_3repE0EEENS1_48merge_mergepath_partition_config_static_selectorELNS0_4arch9wavefront6targetE0EEEvSK_.has_recursion, 0
	.set _ZN7rocprim17ROCPRIM_400000_NS6detail17trampoline_kernelINS0_14default_configENS1_38merge_sort_block_merge_config_selectorIsNS0_10empty_typeEEEZZNS1_27merge_sort_block_merge_implIS3_N6thrust23THRUST_200600_302600_NS6detail15normal_iteratorINS9_10device_ptrIsEEEEPS5_m11less_div_10IsEEE10hipError_tT0_T1_T2_jT3_P12ihipStream_tbPNSt15iterator_traitsISJ_E10value_typeEPNSP_ISK_E10value_typeEPSL_NS1_7vsmem_tEENKUlT_SJ_SK_SL_E_clISE_PsSF_SF_EESI_SY_SJ_SK_SL_EUlSY_E_NS1_11comp_targetILNS1_3genE3ELNS1_11target_archE908ELNS1_3gpuE7ELNS1_3repE0EEENS1_48merge_mergepath_partition_config_static_selectorELNS0_4arch9wavefront6targetE0EEEvSK_.has_indirect_call, 0
	.section	.AMDGPU.csdata,"",@progbits
; Kernel info:
; codeLenInByte = 0
; TotalNumSgprs: 0
; NumVgprs: 0
; ScratchSize: 0
; MemoryBound: 0
; FloatMode: 240
; IeeeMode: 1
; LDSByteSize: 0 bytes/workgroup (compile time only)
; SGPRBlocks: 0
; VGPRBlocks: 0
; NumSGPRsForWavesPerEU: 1
; NumVGPRsForWavesPerEU: 1
; Occupancy: 16
; WaveLimiterHint : 0
; COMPUTE_PGM_RSRC2:SCRATCH_EN: 0
; COMPUTE_PGM_RSRC2:USER_SGPR: 6
; COMPUTE_PGM_RSRC2:TRAP_HANDLER: 0
; COMPUTE_PGM_RSRC2:TGID_X_EN: 1
; COMPUTE_PGM_RSRC2:TGID_Y_EN: 0
; COMPUTE_PGM_RSRC2:TGID_Z_EN: 0
; COMPUTE_PGM_RSRC2:TIDIG_COMP_CNT: 0
	.section	.text._ZN7rocprim17ROCPRIM_400000_NS6detail17trampoline_kernelINS0_14default_configENS1_38merge_sort_block_merge_config_selectorIsNS0_10empty_typeEEEZZNS1_27merge_sort_block_merge_implIS3_N6thrust23THRUST_200600_302600_NS6detail15normal_iteratorINS9_10device_ptrIsEEEEPS5_m11less_div_10IsEEE10hipError_tT0_T1_T2_jT3_P12ihipStream_tbPNSt15iterator_traitsISJ_E10value_typeEPNSP_ISK_E10value_typeEPSL_NS1_7vsmem_tEENKUlT_SJ_SK_SL_E_clISE_PsSF_SF_EESI_SY_SJ_SK_SL_EUlSY_E_NS1_11comp_targetILNS1_3genE2ELNS1_11target_archE906ELNS1_3gpuE6ELNS1_3repE0EEENS1_48merge_mergepath_partition_config_static_selectorELNS0_4arch9wavefront6targetE0EEEvSK_,"axG",@progbits,_ZN7rocprim17ROCPRIM_400000_NS6detail17trampoline_kernelINS0_14default_configENS1_38merge_sort_block_merge_config_selectorIsNS0_10empty_typeEEEZZNS1_27merge_sort_block_merge_implIS3_N6thrust23THRUST_200600_302600_NS6detail15normal_iteratorINS9_10device_ptrIsEEEEPS5_m11less_div_10IsEEE10hipError_tT0_T1_T2_jT3_P12ihipStream_tbPNSt15iterator_traitsISJ_E10value_typeEPNSP_ISK_E10value_typeEPSL_NS1_7vsmem_tEENKUlT_SJ_SK_SL_E_clISE_PsSF_SF_EESI_SY_SJ_SK_SL_EUlSY_E_NS1_11comp_targetILNS1_3genE2ELNS1_11target_archE906ELNS1_3gpuE6ELNS1_3repE0EEENS1_48merge_mergepath_partition_config_static_selectorELNS0_4arch9wavefront6targetE0EEEvSK_,comdat
	.protected	_ZN7rocprim17ROCPRIM_400000_NS6detail17trampoline_kernelINS0_14default_configENS1_38merge_sort_block_merge_config_selectorIsNS0_10empty_typeEEEZZNS1_27merge_sort_block_merge_implIS3_N6thrust23THRUST_200600_302600_NS6detail15normal_iteratorINS9_10device_ptrIsEEEEPS5_m11less_div_10IsEEE10hipError_tT0_T1_T2_jT3_P12ihipStream_tbPNSt15iterator_traitsISJ_E10value_typeEPNSP_ISK_E10value_typeEPSL_NS1_7vsmem_tEENKUlT_SJ_SK_SL_E_clISE_PsSF_SF_EESI_SY_SJ_SK_SL_EUlSY_E_NS1_11comp_targetILNS1_3genE2ELNS1_11target_archE906ELNS1_3gpuE6ELNS1_3repE0EEENS1_48merge_mergepath_partition_config_static_selectorELNS0_4arch9wavefront6targetE0EEEvSK_ ; -- Begin function _ZN7rocprim17ROCPRIM_400000_NS6detail17trampoline_kernelINS0_14default_configENS1_38merge_sort_block_merge_config_selectorIsNS0_10empty_typeEEEZZNS1_27merge_sort_block_merge_implIS3_N6thrust23THRUST_200600_302600_NS6detail15normal_iteratorINS9_10device_ptrIsEEEEPS5_m11less_div_10IsEEE10hipError_tT0_T1_T2_jT3_P12ihipStream_tbPNSt15iterator_traitsISJ_E10value_typeEPNSP_ISK_E10value_typeEPSL_NS1_7vsmem_tEENKUlT_SJ_SK_SL_E_clISE_PsSF_SF_EESI_SY_SJ_SK_SL_EUlSY_E_NS1_11comp_targetILNS1_3genE2ELNS1_11target_archE906ELNS1_3gpuE6ELNS1_3repE0EEENS1_48merge_mergepath_partition_config_static_selectorELNS0_4arch9wavefront6targetE0EEEvSK_
	.globl	_ZN7rocprim17ROCPRIM_400000_NS6detail17trampoline_kernelINS0_14default_configENS1_38merge_sort_block_merge_config_selectorIsNS0_10empty_typeEEEZZNS1_27merge_sort_block_merge_implIS3_N6thrust23THRUST_200600_302600_NS6detail15normal_iteratorINS9_10device_ptrIsEEEEPS5_m11less_div_10IsEEE10hipError_tT0_T1_T2_jT3_P12ihipStream_tbPNSt15iterator_traitsISJ_E10value_typeEPNSP_ISK_E10value_typeEPSL_NS1_7vsmem_tEENKUlT_SJ_SK_SL_E_clISE_PsSF_SF_EESI_SY_SJ_SK_SL_EUlSY_E_NS1_11comp_targetILNS1_3genE2ELNS1_11target_archE906ELNS1_3gpuE6ELNS1_3repE0EEENS1_48merge_mergepath_partition_config_static_selectorELNS0_4arch9wavefront6targetE0EEEvSK_
	.p2align	8
	.type	_ZN7rocprim17ROCPRIM_400000_NS6detail17trampoline_kernelINS0_14default_configENS1_38merge_sort_block_merge_config_selectorIsNS0_10empty_typeEEEZZNS1_27merge_sort_block_merge_implIS3_N6thrust23THRUST_200600_302600_NS6detail15normal_iteratorINS9_10device_ptrIsEEEEPS5_m11less_div_10IsEEE10hipError_tT0_T1_T2_jT3_P12ihipStream_tbPNSt15iterator_traitsISJ_E10value_typeEPNSP_ISK_E10value_typeEPSL_NS1_7vsmem_tEENKUlT_SJ_SK_SL_E_clISE_PsSF_SF_EESI_SY_SJ_SK_SL_EUlSY_E_NS1_11comp_targetILNS1_3genE2ELNS1_11target_archE906ELNS1_3gpuE6ELNS1_3repE0EEENS1_48merge_mergepath_partition_config_static_selectorELNS0_4arch9wavefront6targetE0EEEvSK_,@function
_ZN7rocprim17ROCPRIM_400000_NS6detail17trampoline_kernelINS0_14default_configENS1_38merge_sort_block_merge_config_selectorIsNS0_10empty_typeEEEZZNS1_27merge_sort_block_merge_implIS3_N6thrust23THRUST_200600_302600_NS6detail15normal_iteratorINS9_10device_ptrIsEEEEPS5_m11less_div_10IsEEE10hipError_tT0_T1_T2_jT3_P12ihipStream_tbPNSt15iterator_traitsISJ_E10value_typeEPNSP_ISK_E10value_typeEPSL_NS1_7vsmem_tEENKUlT_SJ_SK_SL_E_clISE_PsSF_SF_EESI_SY_SJ_SK_SL_EUlSY_E_NS1_11comp_targetILNS1_3genE2ELNS1_11target_archE906ELNS1_3gpuE6ELNS1_3repE0EEENS1_48merge_mergepath_partition_config_static_selectorELNS0_4arch9wavefront6targetE0EEEvSK_: ; @_ZN7rocprim17ROCPRIM_400000_NS6detail17trampoline_kernelINS0_14default_configENS1_38merge_sort_block_merge_config_selectorIsNS0_10empty_typeEEEZZNS1_27merge_sort_block_merge_implIS3_N6thrust23THRUST_200600_302600_NS6detail15normal_iteratorINS9_10device_ptrIsEEEEPS5_m11less_div_10IsEEE10hipError_tT0_T1_T2_jT3_P12ihipStream_tbPNSt15iterator_traitsISJ_E10value_typeEPNSP_ISK_E10value_typeEPSL_NS1_7vsmem_tEENKUlT_SJ_SK_SL_E_clISE_PsSF_SF_EESI_SY_SJ_SK_SL_EUlSY_E_NS1_11comp_targetILNS1_3genE2ELNS1_11target_archE906ELNS1_3gpuE6ELNS1_3repE0EEENS1_48merge_mergepath_partition_config_static_selectorELNS0_4arch9wavefront6targetE0EEEvSK_
; %bb.0:
	.section	.rodata,"a",@progbits
	.p2align	6, 0x0
	.amdhsa_kernel _ZN7rocprim17ROCPRIM_400000_NS6detail17trampoline_kernelINS0_14default_configENS1_38merge_sort_block_merge_config_selectorIsNS0_10empty_typeEEEZZNS1_27merge_sort_block_merge_implIS3_N6thrust23THRUST_200600_302600_NS6detail15normal_iteratorINS9_10device_ptrIsEEEEPS5_m11less_div_10IsEEE10hipError_tT0_T1_T2_jT3_P12ihipStream_tbPNSt15iterator_traitsISJ_E10value_typeEPNSP_ISK_E10value_typeEPSL_NS1_7vsmem_tEENKUlT_SJ_SK_SL_E_clISE_PsSF_SF_EESI_SY_SJ_SK_SL_EUlSY_E_NS1_11comp_targetILNS1_3genE2ELNS1_11target_archE906ELNS1_3gpuE6ELNS1_3repE0EEENS1_48merge_mergepath_partition_config_static_selectorELNS0_4arch9wavefront6targetE0EEEvSK_
		.amdhsa_group_segment_fixed_size 0
		.amdhsa_private_segment_fixed_size 0
		.amdhsa_kernarg_size 48
		.amdhsa_user_sgpr_count 6
		.amdhsa_user_sgpr_private_segment_buffer 1
		.amdhsa_user_sgpr_dispatch_ptr 0
		.amdhsa_user_sgpr_queue_ptr 0
		.amdhsa_user_sgpr_kernarg_segment_ptr 1
		.amdhsa_user_sgpr_dispatch_id 0
		.amdhsa_user_sgpr_flat_scratch_init 0
		.amdhsa_user_sgpr_private_segment_size 0
		.amdhsa_wavefront_size32 1
		.amdhsa_uses_dynamic_stack 0
		.amdhsa_system_sgpr_private_segment_wavefront_offset 0
		.amdhsa_system_sgpr_workgroup_id_x 1
		.amdhsa_system_sgpr_workgroup_id_y 0
		.amdhsa_system_sgpr_workgroup_id_z 0
		.amdhsa_system_sgpr_workgroup_info 0
		.amdhsa_system_vgpr_workitem_id 0
		.amdhsa_next_free_vgpr 1
		.amdhsa_next_free_sgpr 1
		.amdhsa_reserve_vcc 0
		.amdhsa_reserve_flat_scratch 0
		.amdhsa_float_round_mode_32 0
		.amdhsa_float_round_mode_16_64 0
		.amdhsa_float_denorm_mode_32 3
		.amdhsa_float_denorm_mode_16_64 3
		.amdhsa_dx10_clamp 1
		.amdhsa_ieee_mode 1
		.amdhsa_fp16_overflow 0
		.amdhsa_workgroup_processor_mode 1
		.amdhsa_memory_ordered 1
		.amdhsa_forward_progress 1
		.amdhsa_shared_vgpr_count 0
		.amdhsa_exception_fp_ieee_invalid_op 0
		.amdhsa_exception_fp_denorm_src 0
		.amdhsa_exception_fp_ieee_div_zero 0
		.amdhsa_exception_fp_ieee_overflow 0
		.amdhsa_exception_fp_ieee_underflow 0
		.amdhsa_exception_fp_ieee_inexact 0
		.amdhsa_exception_int_div_zero 0
	.end_amdhsa_kernel
	.section	.text._ZN7rocprim17ROCPRIM_400000_NS6detail17trampoline_kernelINS0_14default_configENS1_38merge_sort_block_merge_config_selectorIsNS0_10empty_typeEEEZZNS1_27merge_sort_block_merge_implIS3_N6thrust23THRUST_200600_302600_NS6detail15normal_iteratorINS9_10device_ptrIsEEEEPS5_m11less_div_10IsEEE10hipError_tT0_T1_T2_jT3_P12ihipStream_tbPNSt15iterator_traitsISJ_E10value_typeEPNSP_ISK_E10value_typeEPSL_NS1_7vsmem_tEENKUlT_SJ_SK_SL_E_clISE_PsSF_SF_EESI_SY_SJ_SK_SL_EUlSY_E_NS1_11comp_targetILNS1_3genE2ELNS1_11target_archE906ELNS1_3gpuE6ELNS1_3repE0EEENS1_48merge_mergepath_partition_config_static_selectorELNS0_4arch9wavefront6targetE0EEEvSK_,"axG",@progbits,_ZN7rocprim17ROCPRIM_400000_NS6detail17trampoline_kernelINS0_14default_configENS1_38merge_sort_block_merge_config_selectorIsNS0_10empty_typeEEEZZNS1_27merge_sort_block_merge_implIS3_N6thrust23THRUST_200600_302600_NS6detail15normal_iteratorINS9_10device_ptrIsEEEEPS5_m11less_div_10IsEEE10hipError_tT0_T1_T2_jT3_P12ihipStream_tbPNSt15iterator_traitsISJ_E10value_typeEPNSP_ISK_E10value_typeEPSL_NS1_7vsmem_tEENKUlT_SJ_SK_SL_E_clISE_PsSF_SF_EESI_SY_SJ_SK_SL_EUlSY_E_NS1_11comp_targetILNS1_3genE2ELNS1_11target_archE906ELNS1_3gpuE6ELNS1_3repE0EEENS1_48merge_mergepath_partition_config_static_selectorELNS0_4arch9wavefront6targetE0EEEvSK_,comdat
.Lfunc_end553:
	.size	_ZN7rocprim17ROCPRIM_400000_NS6detail17trampoline_kernelINS0_14default_configENS1_38merge_sort_block_merge_config_selectorIsNS0_10empty_typeEEEZZNS1_27merge_sort_block_merge_implIS3_N6thrust23THRUST_200600_302600_NS6detail15normal_iteratorINS9_10device_ptrIsEEEEPS5_m11less_div_10IsEEE10hipError_tT0_T1_T2_jT3_P12ihipStream_tbPNSt15iterator_traitsISJ_E10value_typeEPNSP_ISK_E10value_typeEPSL_NS1_7vsmem_tEENKUlT_SJ_SK_SL_E_clISE_PsSF_SF_EESI_SY_SJ_SK_SL_EUlSY_E_NS1_11comp_targetILNS1_3genE2ELNS1_11target_archE906ELNS1_3gpuE6ELNS1_3repE0EEENS1_48merge_mergepath_partition_config_static_selectorELNS0_4arch9wavefront6targetE0EEEvSK_, .Lfunc_end553-_ZN7rocprim17ROCPRIM_400000_NS6detail17trampoline_kernelINS0_14default_configENS1_38merge_sort_block_merge_config_selectorIsNS0_10empty_typeEEEZZNS1_27merge_sort_block_merge_implIS3_N6thrust23THRUST_200600_302600_NS6detail15normal_iteratorINS9_10device_ptrIsEEEEPS5_m11less_div_10IsEEE10hipError_tT0_T1_T2_jT3_P12ihipStream_tbPNSt15iterator_traitsISJ_E10value_typeEPNSP_ISK_E10value_typeEPSL_NS1_7vsmem_tEENKUlT_SJ_SK_SL_E_clISE_PsSF_SF_EESI_SY_SJ_SK_SL_EUlSY_E_NS1_11comp_targetILNS1_3genE2ELNS1_11target_archE906ELNS1_3gpuE6ELNS1_3repE0EEENS1_48merge_mergepath_partition_config_static_selectorELNS0_4arch9wavefront6targetE0EEEvSK_
                                        ; -- End function
	.set _ZN7rocprim17ROCPRIM_400000_NS6detail17trampoline_kernelINS0_14default_configENS1_38merge_sort_block_merge_config_selectorIsNS0_10empty_typeEEEZZNS1_27merge_sort_block_merge_implIS3_N6thrust23THRUST_200600_302600_NS6detail15normal_iteratorINS9_10device_ptrIsEEEEPS5_m11less_div_10IsEEE10hipError_tT0_T1_T2_jT3_P12ihipStream_tbPNSt15iterator_traitsISJ_E10value_typeEPNSP_ISK_E10value_typeEPSL_NS1_7vsmem_tEENKUlT_SJ_SK_SL_E_clISE_PsSF_SF_EESI_SY_SJ_SK_SL_EUlSY_E_NS1_11comp_targetILNS1_3genE2ELNS1_11target_archE906ELNS1_3gpuE6ELNS1_3repE0EEENS1_48merge_mergepath_partition_config_static_selectorELNS0_4arch9wavefront6targetE0EEEvSK_.num_vgpr, 0
	.set _ZN7rocprim17ROCPRIM_400000_NS6detail17trampoline_kernelINS0_14default_configENS1_38merge_sort_block_merge_config_selectorIsNS0_10empty_typeEEEZZNS1_27merge_sort_block_merge_implIS3_N6thrust23THRUST_200600_302600_NS6detail15normal_iteratorINS9_10device_ptrIsEEEEPS5_m11less_div_10IsEEE10hipError_tT0_T1_T2_jT3_P12ihipStream_tbPNSt15iterator_traitsISJ_E10value_typeEPNSP_ISK_E10value_typeEPSL_NS1_7vsmem_tEENKUlT_SJ_SK_SL_E_clISE_PsSF_SF_EESI_SY_SJ_SK_SL_EUlSY_E_NS1_11comp_targetILNS1_3genE2ELNS1_11target_archE906ELNS1_3gpuE6ELNS1_3repE0EEENS1_48merge_mergepath_partition_config_static_selectorELNS0_4arch9wavefront6targetE0EEEvSK_.num_agpr, 0
	.set _ZN7rocprim17ROCPRIM_400000_NS6detail17trampoline_kernelINS0_14default_configENS1_38merge_sort_block_merge_config_selectorIsNS0_10empty_typeEEEZZNS1_27merge_sort_block_merge_implIS3_N6thrust23THRUST_200600_302600_NS6detail15normal_iteratorINS9_10device_ptrIsEEEEPS5_m11less_div_10IsEEE10hipError_tT0_T1_T2_jT3_P12ihipStream_tbPNSt15iterator_traitsISJ_E10value_typeEPNSP_ISK_E10value_typeEPSL_NS1_7vsmem_tEENKUlT_SJ_SK_SL_E_clISE_PsSF_SF_EESI_SY_SJ_SK_SL_EUlSY_E_NS1_11comp_targetILNS1_3genE2ELNS1_11target_archE906ELNS1_3gpuE6ELNS1_3repE0EEENS1_48merge_mergepath_partition_config_static_selectorELNS0_4arch9wavefront6targetE0EEEvSK_.numbered_sgpr, 0
	.set _ZN7rocprim17ROCPRIM_400000_NS6detail17trampoline_kernelINS0_14default_configENS1_38merge_sort_block_merge_config_selectorIsNS0_10empty_typeEEEZZNS1_27merge_sort_block_merge_implIS3_N6thrust23THRUST_200600_302600_NS6detail15normal_iteratorINS9_10device_ptrIsEEEEPS5_m11less_div_10IsEEE10hipError_tT0_T1_T2_jT3_P12ihipStream_tbPNSt15iterator_traitsISJ_E10value_typeEPNSP_ISK_E10value_typeEPSL_NS1_7vsmem_tEENKUlT_SJ_SK_SL_E_clISE_PsSF_SF_EESI_SY_SJ_SK_SL_EUlSY_E_NS1_11comp_targetILNS1_3genE2ELNS1_11target_archE906ELNS1_3gpuE6ELNS1_3repE0EEENS1_48merge_mergepath_partition_config_static_selectorELNS0_4arch9wavefront6targetE0EEEvSK_.num_named_barrier, 0
	.set _ZN7rocprim17ROCPRIM_400000_NS6detail17trampoline_kernelINS0_14default_configENS1_38merge_sort_block_merge_config_selectorIsNS0_10empty_typeEEEZZNS1_27merge_sort_block_merge_implIS3_N6thrust23THRUST_200600_302600_NS6detail15normal_iteratorINS9_10device_ptrIsEEEEPS5_m11less_div_10IsEEE10hipError_tT0_T1_T2_jT3_P12ihipStream_tbPNSt15iterator_traitsISJ_E10value_typeEPNSP_ISK_E10value_typeEPSL_NS1_7vsmem_tEENKUlT_SJ_SK_SL_E_clISE_PsSF_SF_EESI_SY_SJ_SK_SL_EUlSY_E_NS1_11comp_targetILNS1_3genE2ELNS1_11target_archE906ELNS1_3gpuE6ELNS1_3repE0EEENS1_48merge_mergepath_partition_config_static_selectorELNS0_4arch9wavefront6targetE0EEEvSK_.private_seg_size, 0
	.set _ZN7rocprim17ROCPRIM_400000_NS6detail17trampoline_kernelINS0_14default_configENS1_38merge_sort_block_merge_config_selectorIsNS0_10empty_typeEEEZZNS1_27merge_sort_block_merge_implIS3_N6thrust23THRUST_200600_302600_NS6detail15normal_iteratorINS9_10device_ptrIsEEEEPS5_m11less_div_10IsEEE10hipError_tT0_T1_T2_jT3_P12ihipStream_tbPNSt15iterator_traitsISJ_E10value_typeEPNSP_ISK_E10value_typeEPSL_NS1_7vsmem_tEENKUlT_SJ_SK_SL_E_clISE_PsSF_SF_EESI_SY_SJ_SK_SL_EUlSY_E_NS1_11comp_targetILNS1_3genE2ELNS1_11target_archE906ELNS1_3gpuE6ELNS1_3repE0EEENS1_48merge_mergepath_partition_config_static_selectorELNS0_4arch9wavefront6targetE0EEEvSK_.uses_vcc, 0
	.set _ZN7rocprim17ROCPRIM_400000_NS6detail17trampoline_kernelINS0_14default_configENS1_38merge_sort_block_merge_config_selectorIsNS0_10empty_typeEEEZZNS1_27merge_sort_block_merge_implIS3_N6thrust23THRUST_200600_302600_NS6detail15normal_iteratorINS9_10device_ptrIsEEEEPS5_m11less_div_10IsEEE10hipError_tT0_T1_T2_jT3_P12ihipStream_tbPNSt15iterator_traitsISJ_E10value_typeEPNSP_ISK_E10value_typeEPSL_NS1_7vsmem_tEENKUlT_SJ_SK_SL_E_clISE_PsSF_SF_EESI_SY_SJ_SK_SL_EUlSY_E_NS1_11comp_targetILNS1_3genE2ELNS1_11target_archE906ELNS1_3gpuE6ELNS1_3repE0EEENS1_48merge_mergepath_partition_config_static_selectorELNS0_4arch9wavefront6targetE0EEEvSK_.uses_flat_scratch, 0
	.set _ZN7rocprim17ROCPRIM_400000_NS6detail17trampoline_kernelINS0_14default_configENS1_38merge_sort_block_merge_config_selectorIsNS0_10empty_typeEEEZZNS1_27merge_sort_block_merge_implIS3_N6thrust23THRUST_200600_302600_NS6detail15normal_iteratorINS9_10device_ptrIsEEEEPS5_m11less_div_10IsEEE10hipError_tT0_T1_T2_jT3_P12ihipStream_tbPNSt15iterator_traitsISJ_E10value_typeEPNSP_ISK_E10value_typeEPSL_NS1_7vsmem_tEENKUlT_SJ_SK_SL_E_clISE_PsSF_SF_EESI_SY_SJ_SK_SL_EUlSY_E_NS1_11comp_targetILNS1_3genE2ELNS1_11target_archE906ELNS1_3gpuE6ELNS1_3repE0EEENS1_48merge_mergepath_partition_config_static_selectorELNS0_4arch9wavefront6targetE0EEEvSK_.has_dyn_sized_stack, 0
	.set _ZN7rocprim17ROCPRIM_400000_NS6detail17trampoline_kernelINS0_14default_configENS1_38merge_sort_block_merge_config_selectorIsNS0_10empty_typeEEEZZNS1_27merge_sort_block_merge_implIS3_N6thrust23THRUST_200600_302600_NS6detail15normal_iteratorINS9_10device_ptrIsEEEEPS5_m11less_div_10IsEEE10hipError_tT0_T1_T2_jT3_P12ihipStream_tbPNSt15iterator_traitsISJ_E10value_typeEPNSP_ISK_E10value_typeEPSL_NS1_7vsmem_tEENKUlT_SJ_SK_SL_E_clISE_PsSF_SF_EESI_SY_SJ_SK_SL_EUlSY_E_NS1_11comp_targetILNS1_3genE2ELNS1_11target_archE906ELNS1_3gpuE6ELNS1_3repE0EEENS1_48merge_mergepath_partition_config_static_selectorELNS0_4arch9wavefront6targetE0EEEvSK_.has_recursion, 0
	.set _ZN7rocprim17ROCPRIM_400000_NS6detail17trampoline_kernelINS0_14default_configENS1_38merge_sort_block_merge_config_selectorIsNS0_10empty_typeEEEZZNS1_27merge_sort_block_merge_implIS3_N6thrust23THRUST_200600_302600_NS6detail15normal_iteratorINS9_10device_ptrIsEEEEPS5_m11less_div_10IsEEE10hipError_tT0_T1_T2_jT3_P12ihipStream_tbPNSt15iterator_traitsISJ_E10value_typeEPNSP_ISK_E10value_typeEPSL_NS1_7vsmem_tEENKUlT_SJ_SK_SL_E_clISE_PsSF_SF_EESI_SY_SJ_SK_SL_EUlSY_E_NS1_11comp_targetILNS1_3genE2ELNS1_11target_archE906ELNS1_3gpuE6ELNS1_3repE0EEENS1_48merge_mergepath_partition_config_static_selectorELNS0_4arch9wavefront6targetE0EEEvSK_.has_indirect_call, 0
	.section	.AMDGPU.csdata,"",@progbits
; Kernel info:
; codeLenInByte = 0
; TotalNumSgprs: 0
; NumVgprs: 0
; ScratchSize: 0
; MemoryBound: 0
; FloatMode: 240
; IeeeMode: 1
; LDSByteSize: 0 bytes/workgroup (compile time only)
; SGPRBlocks: 0
; VGPRBlocks: 0
; NumSGPRsForWavesPerEU: 1
; NumVGPRsForWavesPerEU: 1
; Occupancy: 16
; WaveLimiterHint : 0
; COMPUTE_PGM_RSRC2:SCRATCH_EN: 0
; COMPUTE_PGM_RSRC2:USER_SGPR: 6
; COMPUTE_PGM_RSRC2:TRAP_HANDLER: 0
; COMPUTE_PGM_RSRC2:TGID_X_EN: 1
; COMPUTE_PGM_RSRC2:TGID_Y_EN: 0
; COMPUTE_PGM_RSRC2:TGID_Z_EN: 0
; COMPUTE_PGM_RSRC2:TIDIG_COMP_CNT: 0
	.section	.text._ZN7rocprim17ROCPRIM_400000_NS6detail17trampoline_kernelINS0_14default_configENS1_38merge_sort_block_merge_config_selectorIsNS0_10empty_typeEEEZZNS1_27merge_sort_block_merge_implIS3_N6thrust23THRUST_200600_302600_NS6detail15normal_iteratorINS9_10device_ptrIsEEEEPS5_m11less_div_10IsEEE10hipError_tT0_T1_T2_jT3_P12ihipStream_tbPNSt15iterator_traitsISJ_E10value_typeEPNSP_ISK_E10value_typeEPSL_NS1_7vsmem_tEENKUlT_SJ_SK_SL_E_clISE_PsSF_SF_EESI_SY_SJ_SK_SL_EUlSY_E_NS1_11comp_targetILNS1_3genE9ELNS1_11target_archE1100ELNS1_3gpuE3ELNS1_3repE0EEENS1_48merge_mergepath_partition_config_static_selectorELNS0_4arch9wavefront6targetE0EEEvSK_,"axG",@progbits,_ZN7rocprim17ROCPRIM_400000_NS6detail17trampoline_kernelINS0_14default_configENS1_38merge_sort_block_merge_config_selectorIsNS0_10empty_typeEEEZZNS1_27merge_sort_block_merge_implIS3_N6thrust23THRUST_200600_302600_NS6detail15normal_iteratorINS9_10device_ptrIsEEEEPS5_m11less_div_10IsEEE10hipError_tT0_T1_T2_jT3_P12ihipStream_tbPNSt15iterator_traitsISJ_E10value_typeEPNSP_ISK_E10value_typeEPSL_NS1_7vsmem_tEENKUlT_SJ_SK_SL_E_clISE_PsSF_SF_EESI_SY_SJ_SK_SL_EUlSY_E_NS1_11comp_targetILNS1_3genE9ELNS1_11target_archE1100ELNS1_3gpuE3ELNS1_3repE0EEENS1_48merge_mergepath_partition_config_static_selectorELNS0_4arch9wavefront6targetE0EEEvSK_,comdat
	.protected	_ZN7rocprim17ROCPRIM_400000_NS6detail17trampoline_kernelINS0_14default_configENS1_38merge_sort_block_merge_config_selectorIsNS0_10empty_typeEEEZZNS1_27merge_sort_block_merge_implIS3_N6thrust23THRUST_200600_302600_NS6detail15normal_iteratorINS9_10device_ptrIsEEEEPS5_m11less_div_10IsEEE10hipError_tT0_T1_T2_jT3_P12ihipStream_tbPNSt15iterator_traitsISJ_E10value_typeEPNSP_ISK_E10value_typeEPSL_NS1_7vsmem_tEENKUlT_SJ_SK_SL_E_clISE_PsSF_SF_EESI_SY_SJ_SK_SL_EUlSY_E_NS1_11comp_targetILNS1_3genE9ELNS1_11target_archE1100ELNS1_3gpuE3ELNS1_3repE0EEENS1_48merge_mergepath_partition_config_static_selectorELNS0_4arch9wavefront6targetE0EEEvSK_ ; -- Begin function _ZN7rocprim17ROCPRIM_400000_NS6detail17trampoline_kernelINS0_14default_configENS1_38merge_sort_block_merge_config_selectorIsNS0_10empty_typeEEEZZNS1_27merge_sort_block_merge_implIS3_N6thrust23THRUST_200600_302600_NS6detail15normal_iteratorINS9_10device_ptrIsEEEEPS5_m11less_div_10IsEEE10hipError_tT0_T1_T2_jT3_P12ihipStream_tbPNSt15iterator_traitsISJ_E10value_typeEPNSP_ISK_E10value_typeEPSL_NS1_7vsmem_tEENKUlT_SJ_SK_SL_E_clISE_PsSF_SF_EESI_SY_SJ_SK_SL_EUlSY_E_NS1_11comp_targetILNS1_3genE9ELNS1_11target_archE1100ELNS1_3gpuE3ELNS1_3repE0EEENS1_48merge_mergepath_partition_config_static_selectorELNS0_4arch9wavefront6targetE0EEEvSK_
	.globl	_ZN7rocprim17ROCPRIM_400000_NS6detail17trampoline_kernelINS0_14default_configENS1_38merge_sort_block_merge_config_selectorIsNS0_10empty_typeEEEZZNS1_27merge_sort_block_merge_implIS3_N6thrust23THRUST_200600_302600_NS6detail15normal_iteratorINS9_10device_ptrIsEEEEPS5_m11less_div_10IsEEE10hipError_tT0_T1_T2_jT3_P12ihipStream_tbPNSt15iterator_traitsISJ_E10value_typeEPNSP_ISK_E10value_typeEPSL_NS1_7vsmem_tEENKUlT_SJ_SK_SL_E_clISE_PsSF_SF_EESI_SY_SJ_SK_SL_EUlSY_E_NS1_11comp_targetILNS1_3genE9ELNS1_11target_archE1100ELNS1_3gpuE3ELNS1_3repE0EEENS1_48merge_mergepath_partition_config_static_selectorELNS0_4arch9wavefront6targetE0EEEvSK_
	.p2align	8
	.type	_ZN7rocprim17ROCPRIM_400000_NS6detail17trampoline_kernelINS0_14default_configENS1_38merge_sort_block_merge_config_selectorIsNS0_10empty_typeEEEZZNS1_27merge_sort_block_merge_implIS3_N6thrust23THRUST_200600_302600_NS6detail15normal_iteratorINS9_10device_ptrIsEEEEPS5_m11less_div_10IsEEE10hipError_tT0_T1_T2_jT3_P12ihipStream_tbPNSt15iterator_traitsISJ_E10value_typeEPNSP_ISK_E10value_typeEPSL_NS1_7vsmem_tEENKUlT_SJ_SK_SL_E_clISE_PsSF_SF_EESI_SY_SJ_SK_SL_EUlSY_E_NS1_11comp_targetILNS1_3genE9ELNS1_11target_archE1100ELNS1_3gpuE3ELNS1_3repE0EEENS1_48merge_mergepath_partition_config_static_selectorELNS0_4arch9wavefront6targetE0EEEvSK_,@function
_ZN7rocprim17ROCPRIM_400000_NS6detail17trampoline_kernelINS0_14default_configENS1_38merge_sort_block_merge_config_selectorIsNS0_10empty_typeEEEZZNS1_27merge_sort_block_merge_implIS3_N6thrust23THRUST_200600_302600_NS6detail15normal_iteratorINS9_10device_ptrIsEEEEPS5_m11less_div_10IsEEE10hipError_tT0_T1_T2_jT3_P12ihipStream_tbPNSt15iterator_traitsISJ_E10value_typeEPNSP_ISK_E10value_typeEPSL_NS1_7vsmem_tEENKUlT_SJ_SK_SL_E_clISE_PsSF_SF_EESI_SY_SJ_SK_SL_EUlSY_E_NS1_11comp_targetILNS1_3genE9ELNS1_11target_archE1100ELNS1_3gpuE3ELNS1_3repE0EEENS1_48merge_mergepath_partition_config_static_selectorELNS0_4arch9wavefront6targetE0EEEvSK_: ; @_ZN7rocprim17ROCPRIM_400000_NS6detail17trampoline_kernelINS0_14default_configENS1_38merge_sort_block_merge_config_selectorIsNS0_10empty_typeEEEZZNS1_27merge_sort_block_merge_implIS3_N6thrust23THRUST_200600_302600_NS6detail15normal_iteratorINS9_10device_ptrIsEEEEPS5_m11less_div_10IsEEE10hipError_tT0_T1_T2_jT3_P12ihipStream_tbPNSt15iterator_traitsISJ_E10value_typeEPNSP_ISK_E10value_typeEPSL_NS1_7vsmem_tEENKUlT_SJ_SK_SL_E_clISE_PsSF_SF_EESI_SY_SJ_SK_SL_EUlSY_E_NS1_11comp_targetILNS1_3genE9ELNS1_11target_archE1100ELNS1_3gpuE3ELNS1_3repE0EEENS1_48merge_mergepath_partition_config_static_selectorELNS0_4arch9wavefront6targetE0EEEvSK_
; %bb.0:
	.section	.rodata,"a",@progbits
	.p2align	6, 0x0
	.amdhsa_kernel _ZN7rocprim17ROCPRIM_400000_NS6detail17trampoline_kernelINS0_14default_configENS1_38merge_sort_block_merge_config_selectorIsNS0_10empty_typeEEEZZNS1_27merge_sort_block_merge_implIS3_N6thrust23THRUST_200600_302600_NS6detail15normal_iteratorINS9_10device_ptrIsEEEEPS5_m11less_div_10IsEEE10hipError_tT0_T1_T2_jT3_P12ihipStream_tbPNSt15iterator_traitsISJ_E10value_typeEPNSP_ISK_E10value_typeEPSL_NS1_7vsmem_tEENKUlT_SJ_SK_SL_E_clISE_PsSF_SF_EESI_SY_SJ_SK_SL_EUlSY_E_NS1_11comp_targetILNS1_3genE9ELNS1_11target_archE1100ELNS1_3gpuE3ELNS1_3repE0EEENS1_48merge_mergepath_partition_config_static_selectorELNS0_4arch9wavefront6targetE0EEEvSK_
		.amdhsa_group_segment_fixed_size 0
		.amdhsa_private_segment_fixed_size 0
		.amdhsa_kernarg_size 48
		.amdhsa_user_sgpr_count 6
		.amdhsa_user_sgpr_private_segment_buffer 1
		.amdhsa_user_sgpr_dispatch_ptr 0
		.amdhsa_user_sgpr_queue_ptr 0
		.amdhsa_user_sgpr_kernarg_segment_ptr 1
		.amdhsa_user_sgpr_dispatch_id 0
		.amdhsa_user_sgpr_flat_scratch_init 0
		.amdhsa_user_sgpr_private_segment_size 0
		.amdhsa_wavefront_size32 1
		.amdhsa_uses_dynamic_stack 0
		.amdhsa_system_sgpr_private_segment_wavefront_offset 0
		.amdhsa_system_sgpr_workgroup_id_x 1
		.amdhsa_system_sgpr_workgroup_id_y 0
		.amdhsa_system_sgpr_workgroup_id_z 0
		.amdhsa_system_sgpr_workgroup_info 0
		.amdhsa_system_vgpr_workitem_id 0
		.amdhsa_next_free_vgpr 1
		.amdhsa_next_free_sgpr 1
		.amdhsa_reserve_vcc 0
		.amdhsa_reserve_flat_scratch 0
		.amdhsa_float_round_mode_32 0
		.amdhsa_float_round_mode_16_64 0
		.amdhsa_float_denorm_mode_32 3
		.amdhsa_float_denorm_mode_16_64 3
		.amdhsa_dx10_clamp 1
		.amdhsa_ieee_mode 1
		.amdhsa_fp16_overflow 0
		.amdhsa_workgroup_processor_mode 1
		.amdhsa_memory_ordered 1
		.amdhsa_forward_progress 1
		.amdhsa_shared_vgpr_count 0
		.amdhsa_exception_fp_ieee_invalid_op 0
		.amdhsa_exception_fp_denorm_src 0
		.amdhsa_exception_fp_ieee_div_zero 0
		.amdhsa_exception_fp_ieee_overflow 0
		.amdhsa_exception_fp_ieee_underflow 0
		.amdhsa_exception_fp_ieee_inexact 0
		.amdhsa_exception_int_div_zero 0
	.end_amdhsa_kernel
	.section	.text._ZN7rocprim17ROCPRIM_400000_NS6detail17trampoline_kernelINS0_14default_configENS1_38merge_sort_block_merge_config_selectorIsNS0_10empty_typeEEEZZNS1_27merge_sort_block_merge_implIS3_N6thrust23THRUST_200600_302600_NS6detail15normal_iteratorINS9_10device_ptrIsEEEEPS5_m11less_div_10IsEEE10hipError_tT0_T1_T2_jT3_P12ihipStream_tbPNSt15iterator_traitsISJ_E10value_typeEPNSP_ISK_E10value_typeEPSL_NS1_7vsmem_tEENKUlT_SJ_SK_SL_E_clISE_PsSF_SF_EESI_SY_SJ_SK_SL_EUlSY_E_NS1_11comp_targetILNS1_3genE9ELNS1_11target_archE1100ELNS1_3gpuE3ELNS1_3repE0EEENS1_48merge_mergepath_partition_config_static_selectorELNS0_4arch9wavefront6targetE0EEEvSK_,"axG",@progbits,_ZN7rocprim17ROCPRIM_400000_NS6detail17trampoline_kernelINS0_14default_configENS1_38merge_sort_block_merge_config_selectorIsNS0_10empty_typeEEEZZNS1_27merge_sort_block_merge_implIS3_N6thrust23THRUST_200600_302600_NS6detail15normal_iteratorINS9_10device_ptrIsEEEEPS5_m11less_div_10IsEEE10hipError_tT0_T1_T2_jT3_P12ihipStream_tbPNSt15iterator_traitsISJ_E10value_typeEPNSP_ISK_E10value_typeEPSL_NS1_7vsmem_tEENKUlT_SJ_SK_SL_E_clISE_PsSF_SF_EESI_SY_SJ_SK_SL_EUlSY_E_NS1_11comp_targetILNS1_3genE9ELNS1_11target_archE1100ELNS1_3gpuE3ELNS1_3repE0EEENS1_48merge_mergepath_partition_config_static_selectorELNS0_4arch9wavefront6targetE0EEEvSK_,comdat
.Lfunc_end554:
	.size	_ZN7rocprim17ROCPRIM_400000_NS6detail17trampoline_kernelINS0_14default_configENS1_38merge_sort_block_merge_config_selectorIsNS0_10empty_typeEEEZZNS1_27merge_sort_block_merge_implIS3_N6thrust23THRUST_200600_302600_NS6detail15normal_iteratorINS9_10device_ptrIsEEEEPS5_m11less_div_10IsEEE10hipError_tT0_T1_T2_jT3_P12ihipStream_tbPNSt15iterator_traitsISJ_E10value_typeEPNSP_ISK_E10value_typeEPSL_NS1_7vsmem_tEENKUlT_SJ_SK_SL_E_clISE_PsSF_SF_EESI_SY_SJ_SK_SL_EUlSY_E_NS1_11comp_targetILNS1_3genE9ELNS1_11target_archE1100ELNS1_3gpuE3ELNS1_3repE0EEENS1_48merge_mergepath_partition_config_static_selectorELNS0_4arch9wavefront6targetE0EEEvSK_, .Lfunc_end554-_ZN7rocprim17ROCPRIM_400000_NS6detail17trampoline_kernelINS0_14default_configENS1_38merge_sort_block_merge_config_selectorIsNS0_10empty_typeEEEZZNS1_27merge_sort_block_merge_implIS3_N6thrust23THRUST_200600_302600_NS6detail15normal_iteratorINS9_10device_ptrIsEEEEPS5_m11less_div_10IsEEE10hipError_tT0_T1_T2_jT3_P12ihipStream_tbPNSt15iterator_traitsISJ_E10value_typeEPNSP_ISK_E10value_typeEPSL_NS1_7vsmem_tEENKUlT_SJ_SK_SL_E_clISE_PsSF_SF_EESI_SY_SJ_SK_SL_EUlSY_E_NS1_11comp_targetILNS1_3genE9ELNS1_11target_archE1100ELNS1_3gpuE3ELNS1_3repE0EEENS1_48merge_mergepath_partition_config_static_selectorELNS0_4arch9wavefront6targetE0EEEvSK_
                                        ; -- End function
	.set _ZN7rocprim17ROCPRIM_400000_NS6detail17trampoline_kernelINS0_14default_configENS1_38merge_sort_block_merge_config_selectorIsNS0_10empty_typeEEEZZNS1_27merge_sort_block_merge_implIS3_N6thrust23THRUST_200600_302600_NS6detail15normal_iteratorINS9_10device_ptrIsEEEEPS5_m11less_div_10IsEEE10hipError_tT0_T1_T2_jT3_P12ihipStream_tbPNSt15iterator_traitsISJ_E10value_typeEPNSP_ISK_E10value_typeEPSL_NS1_7vsmem_tEENKUlT_SJ_SK_SL_E_clISE_PsSF_SF_EESI_SY_SJ_SK_SL_EUlSY_E_NS1_11comp_targetILNS1_3genE9ELNS1_11target_archE1100ELNS1_3gpuE3ELNS1_3repE0EEENS1_48merge_mergepath_partition_config_static_selectorELNS0_4arch9wavefront6targetE0EEEvSK_.num_vgpr, 0
	.set _ZN7rocprim17ROCPRIM_400000_NS6detail17trampoline_kernelINS0_14default_configENS1_38merge_sort_block_merge_config_selectorIsNS0_10empty_typeEEEZZNS1_27merge_sort_block_merge_implIS3_N6thrust23THRUST_200600_302600_NS6detail15normal_iteratorINS9_10device_ptrIsEEEEPS5_m11less_div_10IsEEE10hipError_tT0_T1_T2_jT3_P12ihipStream_tbPNSt15iterator_traitsISJ_E10value_typeEPNSP_ISK_E10value_typeEPSL_NS1_7vsmem_tEENKUlT_SJ_SK_SL_E_clISE_PsSF_SF_EESI_SY_SJ_SK_SL_EUlSY_E_NS1_11comp_targetILNS1_3genE9ELNS1_11target_archE1100ELNS1_3gpuE3ELNS1_3repE0EEENS1_48merge_mergepath_partition_config_static_selectorELNS0_4arch9wavefront6targetE0EEEvSK_.num_agpr, 0
	.set _ZN7rocprim17ROCPRIM_400000_NS6detail17trampoline_kernelINS0_14default_configENS1_38merge_sort_block_merge_config_selectorIsNS0_10empty_typeEEEZZNS1_27merge_sort_block_merge_implIS3_N6thrust23THRUST_200600_302600_NS6detail15normal_iteratorINS9_10device_ptrIsEEEEPS5_m11less_div_10IsEEE10hipError_tT0_T1_T2_jT3_P12ihipStream_tbPNSt15iterator_traitsISJ_E10value_typeEPNSP_ISK_E10value_typeEPSL_NS1_7vsmem_tEENKUlT_SJ_SK_SL_E_clISE_PsSF_SF_EESI_SY_SJ_SK_SL_EUlSY_E_NS1_11comp_targetILNS1_3genE9ELNS1_11target_archE1100ELNS1_3gpuE3ELNS1_3repE0EEENS1_48merge_mergepath_partition_config_static_selectorELNS0_4arch9wavefront6targetE0EEEvSK_.numbered_sgpr, 0
	.set _ZN7rocprim17ROCPRIM_400000_NS6detail17trampoline_kernelINS0_14default_configENS1_38merge_sort_block_merge_config_selectorIsNS0_10empty_typeEEEZZNS1_27merge_sort_block_merge_implIS3_N6thrust23THRUST_200600_302600_NS6detail15normal_iteratorINS9_10device_ptrIsEEEEPS5_m11less_div_10IsEEE10hipError_tT0_T1_T2_jT3_P12ihipStream_tbPNSt15iterator_traitsISJ_E10value_typeEPNSP_ISK_E10value_typeEPSL_NS1_7vsmem_tEENKUlT_SJ_SK_SL_E_clISE_PsSF_SF_EESI_SY_SJ_SK_SL_EUlSY_E_NS1_11comp_targetILNS1_3genE9ELNS1_11target_archE1100ELNS1_3gpuE3ELNS1_3repE0EEENS1_48merge_mergepath_partition_config_static_selectorELNS0_4arch9wavefront6targetE0EEEvSK_.num_named_barrier, 0
	.set _ZN7rocprim17ROCPRIM_400000_NS6detail17trampoline_kernelINS0_14default_configENS1_38merge_sort_block_merge_config_selectorIsNS0_10empty_typeEEEZZNS1_27merge_sort_block_merge_implIS3_N6thrust23THRUST_200600_302600_NS6detail15normal_iteratorINS9_10device_ptrIsEEEEPS5_m11less_div_10IsEEE10hipError_tT0_T1_T2_jT3_P12ihipStream_tbPNSt15iterator_traitsISJ_E10value_typeEPNSP_ISK_E10value_typeEPSL_NS1_7vsmem_tEENKUlT_SJ_SK_SL_E_clISE_PsSF_SF_EESI_SY_SJ_SK_SL_EUlSY_E_NS1_11comp_targetILNS1_3genE9ELNS1_11target_archE1100ELNS1_3gpuE3ELNS1_3repE0EEENS1_48merge_mergepath_partition_config_static_selectorELNS0_4arch9wavefront6targetE0EEEvSK_.private_seg_size, 0
	.set _ZN7rocprim17ROCPRIM_400000_NS6detail17trampoline_kernelINS0_14default_configENS1_38merge_sort_block_merge_config_selectorIsNS0_10empty_typeEEEZZNS1_27merge_sort_block_merge_implIS3_N6thrust23THRUST_200600_302600_NS6detail15normal_iteratorINS9_10device_ptrIsEEEEPS5_m11less_div_10IsEEE10hipError_tT0_T1_T2_jT3_P12ihipStream_tbPNSt15iterator_traitsISJ_E10value_typeEPNSP_ISK_E10value_typeEPSL_NS1_7vsmem_tEENKUlT_SJ_SK_SL_E_clISE_PsSF_SF_EESI_SY_SJ_SK_SL_EUlSY_E_NS1_11comp_targetILNS1_3genE9ELNS1_11target_archE1100ELNS1_3gpuE3ELNS1_3repE0EEENS1_48merge_mergepath_partition_config_static_selectorELNS0_4arch9wavefront6targetE0EEEvSK_.uses_vcc, 0
	.set _ZN7rocprim17ROCPRIM_400000_NS6detail17trampoline_kernelINS0_14default_configENS1_38merge_sort_block_merge_config_selectorIsNS0_10empty_typeEEEZZNS1_27merge_sort_block_merge_implIS3_N6thrust23THRUST_200600_302600_NS6detail15normal_iteratorINS9_10device_ptrIsEEEEPS5_m11less_div_10IsEEE10hipError_tT0_T1_T2_jT3_P12ihipStream_tbPNSt15iterator_traitsISJ_E10value_typeEPNSP_ISK_E10value_typeEPSL_NS1_7vsmem_tEENKUlT_SJ_SK_SL_E_clISE_PsSF_SF_EESI_SY_SJ_SK_SL_EUlSY_E_NS1_11comp_targetILNS1_3genE9ELNS1_11target_archE1100ELNS1_3gpuE3ELNS1_3repE0EEENS1_48merge_mergepath_partition_config_static_selectorELNS0_4arch9wavefront6targetE0EEEvSK_.uses_flat_scratch, 0
	.set _ZN7rocprim17ROCPRIM_400000_NS6detail17trampoline_kernelINS0_14default_configENS1_38merge_sort_block_merge_config_selectorIsNS0_10empty_typeEEEZZNS1_27merge_sort_block_merge_implIS3_N6thrust23THRUST_200600_302600_NS6detail15normal_iteratorINS9_10device_ptrIsEEEEPS5_m11less_div_10IsEEE10hipError_tT0_T1_T2_jT3_P12ihipStream_tbPNSt15iterator_traitsISJ_E10value_typeEPNSP_ISK_E10value_typeEPSL_NS1_7vsmem_tEENKUlT_SJ_SK_SL_E_clISE_PsSF_SF_EESI_SY_SJ_SK_SL_EUlSY_E_NS1_11comp_targetILNS1_3genE9ELNS1_11target_archE1100ELNS1_3gpuE3ELNS1_3repE0EEENS1_48merge_mergepath_partition_config_static_selectorELNS0_4arch9wavefront6targetE0EEEvSK_.has_dyn_sized_stack, 0
	.set _ZN7rocprim17ROCPRIM_400000_NS6detail17trampoline_kernelINS0_14default_configENS1_38merge_sort_block_merge_config_selectorIsNS0_10empty_typeEEEZZNS1_27merge_sort_block_merge_implIS3_N6thrust23THRUST_200600_302600_NS6detail15normal_iteratorINS9_10device_ptrIsEEEEPS5_m11less_div_10IsEEE10hipError_tT0_T1_T2_jT3_P12ihipStream_tbPNSt15iterator_traitsISJ_E10value_typeEPNSP_ISK_E10value_typeEPSL_NS1_7vsmem_tEENKUlT_SJ_SK_SL_E_clISE_PsSF_SF_EESI_SY_SJ_SK_SL_EUlSY_E_NS1_11comp_targetILNS1_3genE9ELNS1_11target_archE1100ELNS1_3gpuE3ELNS1_3repE0EEENS1_48merge_mergepath_partition_config_static_selectorELNS0_4arch9wavefront6targetE0EEEvSK_.has_recursion, 0
	.set _ZN7rocprim17ROCPRIM_400000_NS6detail17trampoline_kernelINS0_14default_configENS1_38merge_sort_block_merge_config_selectorIsNS0_10empty_typeEEEZZNS1_27merge_sort_block_merge_implIS3_N6thrust23THRUST_200600_302600_NS6detail15normal_iteratorINS9_10device_ptrIsEEEEPS5_m11less_div_10IsEEE10hipError_tT0_T1_T2_jT3_P12ihipStream_tbPNSt15iterator_traitsISJ_E10value_typeEPNSP_ISK_E10value_typeEPSL_NS1_7vsmem_tEENKUlT_SJ_SK_SL_E_clISE_PsSF_SF_EESI_SY_SJ_SK_SL_EUlSY_E_NS1_11comp_targetILNS1_3genE9ELNS1_11target_archE1100ELNS1_3gpuE3ELNS1_3repE0EEENS1_48merge_mergepath_partition_config_static_selectorELNS0_4arch9wavefront6targetE0EEEvSK_.has_indirect_call, 0
	.section	.AMDGPU.csdata,"",@progbits
; Kernel info:
; codeLenInByte = 0
; TotalNumSgprs: 0
; NumVgprs: 0
; ScratchSize: 0
; MemoryBound: 0
; FloatMode: 240
; IeeeMode: 1
; LDSByteSize: 0 bytes/workgroup (compile time only)
; SGPRBlocks: 0
; VGPRBlocks: 0
; NumSGPRsForWavesPerEU: 1
; NumVGPRsForWavesPerEU: 1
; Occupancy: 16
; WaveLimiterHint : 0
; COMPUTE_PGM_RSRC2:SCRATCH_EN: 0
; COMPUTE_PGM_RSRC2:USER_SGPR: 6
; COMPUTE_PGM_RSRC2:TRAP_HANDLER: 0
; COMPUTE_PGM_RSRC2:TGID_X_EN: 1
; COMPUTE_PGM_RSRC2:TGID_Y_EN: 0
; COMPUTE_PGM_RSRC2:TGID_Z_EN: 0
; COMPUTE_PGM_RSRC2:TIDIG_COMP_CNT: 0
	.section	.text._ZN7rocprim17ROCPRIM_400000_NS6detail17trampoline_kernelINS0_14default_configENS1_38merge_sort_block_merge_config_selectorIsNS0_10empty_typeEEEZZNS1_27merge_sort_block_merge_implIS3_N6thrust23THRUST_200600_302600_NS6detail15normal_iteratorINS9_10device_ptrIsEEEEPS5_m11less_div_10IsEEE10hipError_tT0_T1_T2_jT3_P12ihipStream_tbPNSt15iterator_traitsISJ_E10value_typeEPNSP_ISK_E10value_typeEPSL_NS1_7vsmem_tEENKUlT_SJ_SK_SL_E_clISE_PsSF_SF_EESI_SY_SJ_SK_SL_EUlSY_E_NS1_11comp_targetILNS1_3genE8ELNS1_11target_archE1030ELNS1_3gpuE2ELNS1_3repE0EEENS1_48merge_mergepath_partition_config_static_selectorELNS0_4arch9wavefront6targetE0EEEvSK_,"axG",@progbits,_ZN7rocprim17ROCPRIM_400000_NS6detail17trampoline_kernelINS0_14default_configENS1_38merge_sort_block_merge_config_selectorIsNS0_10empty_typeEEEZZNS1_27merge_sort_block_merge_implIS3_N6thrust23THRUST_200600_302600_NS6detail15normal_iteratorINS9_10device_ptrIsEEEEPS5_m11less_div_10IsEEE10hipError_tT0_T1_T2_jT3_P12ihipStream_tbPNSt15iterator_traitsISJ_E10value_typeEPNSP_ISK_E10value_typeEPSL_NS1_7vsmem_tEENKUlT_SJ_SK_SL_E_clISE_PsSF_SF_EESI_SY_SJ_SK_SL_EUlSY_E_NS1_11comp_targetILNS1_3genE8ELNS1_11target_archE1030ELNS1_3gpuE2ELNS1_3repE0EEENS1_48merge_mergepath_partition_config_static_selectorELNS0_4arch9wavefront6targetE0EEEvSK_,comdat
	.protected	_ZN7rocprim17ROCPRIM_400000_NS6detail17trampoline_kernelINS0_14default_configENS1_38merge_sort_block_merge_config_selectorIsNS0_10empty_typeEEEZZNS1_27merge_sort_block_merge_implIS3_N6thrust23THRUST_200600_302600_NS6detail15normal_iteratorINS9_10device_ptrIsEEEEPS5_m11less_div_10IsEEE10hipError_tT0_T1_T2_jT3_P12ihipStream_tbPNSt15iterator_traitsISJ_E10value_typeEPNSP_ISK_E10value_typeEPSL_NS1_7vsmem_tEENKUlT_SJ_SK_SL_E_clISE_PsSF_SF_EESI_SY_SJ_SK_SL_EUlSY_E_NS1_11comp_targetILNS1_3genE8ELNS1_11target_archE1030ELNS1_3gpuE2ELNS1_3repE0EEENS1_48merge_mergepath_partition_config_static_selectorELNS0_4arch9wavefront6targetE0EEEvSK_ ; -- Begin function _ZN7rocprim17ROCPRIM_400000_NS6detail17trampoline_kernelINS0_14default_configENS1_38merge_sort_block_merge_config_selectorIsNS0_10empty_typeEEEZZNS1_27merge_sort_block_merge_implIS3_N6thrust23THRUST_200600_302600_NS6detail15normal_iteratorINS9_10device_ptrIsEEEEPS5_m11less_div_10IsEEE10hipError_tT0_T1_T2_jT3_P12ihipStream_tbPNSt15iterator_traitsISJ_E10value_typeEPNSP_ISK_E10value_typeEPSL_NS1_7vsmem_tEENKUlT_SJ_SK_SL_E_clISE_PsSF_SF_EESI_SY_SJ_SK_SL_EUlSY_E_NS1_11comp_targetILNS1_3genE8ELNS1_11target_archE1030ELNS1_3gpuE2ELNS1_3repE0EEENS1_48merge_mergepath_partition_config_static_selectorELNS0_4arch9wavefront6targetE0EEEvSK_
	.globl	_ZN7rocprim17ROCPRIM_400000_NS6detail17trampoline_kernelINS0_14default_configENS1_38merge_sort_block_merge_config_selectorIsNS0_10empty_typeEEEZZNS1_27merge_sort_block_merge_implIS3_N6thrust23THRUST_200600_302600_NS6detail15normal_iteratorINS9_10device_ptrIsEEEEPS5_m11less_div_10IsEEE10hipError_tT0_T1_T2_jT3_P12ihipStream_tbPNSt15iterator_traitsISJ_E10value_typeEPNSP_ISK_E10value_typeEPSL_NS1_7vsmem_tEENKUlT_SJ_SK_SL_E_clISE_PsSF_SF_EESI_SY_SJ_SK_SL_EUlSY_E_NS1_11comp_targetILNS1_3genE8ELNS1_11target_archE1030ELNS1_3gpuE2ELNS1_3repE0EEENS1_48merge_mergepath_partition_config_static_selectorELNS0_4arch9wavefront6targetE0EEEvSK_
	.p2align	8
	.type	_ZN7rocprim17ROCPRIM_400000_NS6detail17trampoline_kernelINS0_14default_configENS1_38merge_sort_block_merge_config_selectorIsNS0_10empty_typeEEEZZNS1_27merge_sort_block_merge_implIS3_N6thrust23THRUST_200600_302600_NS6detail15normal_iteratorINS9_10device_ptrIsEEEEPS5_m11less_div_10IsEEE10hipError_tT0_T1_T2_jT3_P12ihipStream_tbPNSt15iterator_traitsISJ_E10value_typeEPNSP_ISK_E10value_typeEPSL_NS1_7vsmem_tEENKUlT_SJ_SK_SL_E_clISE_PsSF_SF_EESI_SY_SJ_SK_SL_EUlSY_E_NS1_11comp_targetILNS1_3genE8ELNS1_11target_archE1030ELNS1_3gpuE2ELNS1_3repE0EEENS1_48merge_mergepath_partition_config_static_selectorELNS0_4arch9wavefront6targetE0EEEvSK_,@function
_ZN7rocprim17ROCPRIM_400000_NS6detail17trampoline_kernelINS0_14default_configENS1_38merge_sort_block_merge_config_selectorIsNS0_10empty_typeEEEZZNS1_27merge_sort_block_merge_implIS3_N6thrust23THRUST_200600_302600_NS6detail15normal_iteratorINS9_10device_ptrIsEEEEPS5_m11less_div_10IsEEE10hipError_tT0_T1_T2_jT3_P12ihipStream_tbPNSt15iterator_traitsISJ_E10value_typeEPNSP_ISK_E10value_typeEPSL_NS1_7vsmem_tEENKUlT_SJ_SK_SL_E_clISE_PsSF_SF_EESI_SY_SJ_SK_SL_EUlSY_E_NS1_11comp_targetILNS1_3genE8ELNS1_11target_archE1030ELNS1_3gpuE2ELNS1_3repE0EEENS1_48merge_mergepath_partition_config_static_selectorELNS0_4arch9wavefront6targetE0EEEvSK_: ; @_ZN7rocprim17ROCPRIM_400000_NS6detail17trampoline_kernelINS0_14default_configENS1_38merge_sort_block_merge_config_selectorIsNS0_10empty_typeEEEZZNS1_27merge_sort_block_merge_implIS3_N6thrust23THRUST_200600_302600_NS6detail15normal_iteratorINS9_10device_ptrIsEEEEPS5_m11less_div_10IsEEE10hipError_tT0_T1_T2_jT3_P12ihipStream_tbPNSt15iterator_traitsISJ_E10value_typeEPNSP_ISK_E10value_typeEPSL_NS1_7vsmem_tEENKUlT_SJ_SK_SL_E_clISE_PsSF_SF_EESI_SY_SJ_SK_SL_EUlSY_E_NS1_11comp_targetILNS1_3genE8ELNS1_11target_archE1030ELNS1_3gpuE2ELNS1_3repE0EEENS1_48merge_mergepath_partition_config_static_selectorELNS0_4arch9wavefront6targetE0EEEvSK_
; %bb.0:
	s_load_dword s0, s[4:5], 0x0
	v_lshl_or_b32 v0, s6, 7, v0
	s_waitcnt lgkmcnt(0)
	v_cmp_gt_u32_e32 vcc_lo, s0, v0
	s_and_saveexec_b32 s0, vcc_lo
	s_cbranch_execz .LBB555_6
; %bb.1:
	s_load_dwordx4 s[0:3], s[4:5], 0x8
	v_mov_b32_e32 v2, 0
	v_mov_b32_e32 v11, v2
	s_waitcnt lgkmcnt(0)
	s_lshr_b64 s[6:7], s[0:1], 9
	s_and_b32 s6, s6, -2
	s_sub_i32 s7, 0, s6
	s_add_i32 s6, s6, -1
	v_and_b32_e32 v1, s7, v0
	v_and_b32_e32 v10, s6, v0
	v_lshlrev_b64 v[4:5], 10, v[1:2]
	v_add_co_u32 v6, vcc_lo, v4, s0
	v_add_co_ci_u32_e64 v7, null, s1, v5, vcc_lo
	v_cmp_lt_u64_e32 vcc_lo, s[2:3], v[6:7]
	v_cndmask_b32_e64 v8, v6, s2, vcc_lo
	v_cndmask_b32_e64 v9, v7, s3, vcc_lo
	v_add_co_u32 v6, vcc_lo, v8, s0
	v_add_co_ci_u32_e64 v7, null, s1, v9, vcc_lo
	v_cmp_lt_u64_e32 vcc_lo, s[2:3], v[4:5]
	s_mov_b32 s1, 0
	v_cmp_lt_u64_e64 s0, s[2:3], v[6:7]
	v_cndmask_b32_e64 v2, v4, s2, vcc_lo
	v_cndmask_b32_e64 v3, v5, s3, vcc_lo
	v_lshlrev_b64 v[4:5], 10, v[10:11]
	v_cndmask_b32_e64 v12, v6, s2, s0
	v_cndmask_b32_e64 v1, v7, s3, s0
	s_load_dwordx2 s[2:3], s[4:5], 0x28
	v_sub_co_u32 v6, vcc_lo, v12, v2
	v_sub_co_ci_u32_e64 v7, null, v1, v3, vcc_lo
	v_cmp_lt_u64_e32 vcc_lo, v[6:7], v[4:5]
	v_cndmask_b32_e32 v11, v5, v7, vcc_lo
	v_cndmask_b32_e32 v10, v4, v6, vcc_lo
	v_sub_co_u32 v4, vcc_lo, v8, v12
	v_sub_co_ci_u32_e64 v1, null, v9, v1, vcc_lo
	v_add_co_u32 v4, vcc_lo, v10, v4
	v_add_co_ci_u32_e64 v5, null, v11, v1, vcc_lo
	v_sub_co_u32 v6, vcc_lo, v8, v2
	v_sub_co_ci_u32_e64 v7, null, v9, v3, vcc_lo
	v_cmp_gt_u64_e32 vcc_lo, v[4:5], v[10:11]
	v_cmp_lt_u64_e64 s0, v[10:11], v[6:7]
	v_cndmask_b32_e64 v5, v5, 0, vcc_lo
	v_cndmask_b32_e64 v4, v4, 0, vcc_lo
	v_cndmask_b32_e64 v7, v7, v11, s0
	v_cndmask_b32_e64 v6, v6, v10, s0
	s_mov_b32 s0, exec_lo
	v_cmpx_lt_u64_e64 v[4:5], v[6:7]
	s_cbranch_execz .LBB555_5
; %bb.2:
	s_load_dwordx2 s[4:5], s[4:5], 0x18
	v_lshlrev_b64 v[8:9], 1, v[8:9]
	v_lshlrev_b64 v[12:13], 1, v[2:3]
	v_lshlrev_b64 v[10:11], 1, v[10:11]
	s_waitcnt lgkmcnt(0)
	v_add_co_u32 v14, vcc_lo, s4, v8
	v_add_co_ci_u32_e64 v15, null, s5, v9, vcc_lo
	v_add_co_u32 v1, vcc_lo, s4, v12
	v_add_co_ci_u32_e64 v8, null, s5, v13, vcc_lo
	;; [unrolled: 2-line block ×3, first 2 shown]
	s_inst_prefetch 0x1
	.p2align	6
.LBB555_3:                              ; =>This Inner Loop Header: Depth=1
	v_add_co_u32 v11, vcc_lo, v6, v4
	v_add_co_ci_u32_e64 v12, null, v7, v5, vcc_lo
	v_and_b32_e32 v13, -2, v11
	v_xor_b32_e32 v16, -1, v12
	v_xor_b32_e32 v15, -2, v13
	v_add_co_u32 v13, vcc_lo, v1, v13
	v_add_co_ci_u32_e64 v14, null, v8, v12, vcc_lo
	v_add_co_u32 v15, vcc_lo, v9, v15
	v_add_co_ci_u32_e64 v16, null, v10, v16, vcc_lo
	v_lshrrev_b64 v[11:12], 1, v[11:12]
	flat_load_sshort v13, v[13:14]
	flat_load_sshort v14, v[15:16]
	v_add_co_u32 v17, vcc_lo, v11, 1
	s_waitcnt vmcnt(1) lgkmcnt(1)
	v_mul_i32_i24_e32 v13, 0x6667, v13
	s_waitcnt vmcnt(0) lgkmcnt(0)
	v_mul_i32_i24_e32 v14, 0x6667, v14
	v_lshrrev_b32_e32 v15, 31, v13
	v_ashrrev_i32_e32 v13, 18, v13
	v_lshrrev_b32_e32 v16, 31, v14
	v_ashrrev_i32_e32 v14, 18, v14
	v_add_nc_u16 v13, v13, v15
	v_add_co_ci_u32_e64 v15, null, 0, v12, vcc_lo
	v_add_nc_u16 v14, v14, v16
	v_cmp_lt_i16_e32 vcc_lo, v14, v13
	v_cndmask_b32_e32 v7, v7, v12, vcc_lo
	v_cndmask_b32_e32 v6, v6, v11, vcc_lo
	;; [unrolled: 1-line block ×4, first 2 shown]
	v_cmp_ge_u64_e32 vcc_lo, v[4:5], v[6:7]
	s_or_b32 s1, vcc_lo, s1
	s_andn2_b32 exec_lo, exec_lo, s1
	s_cbranch_execnz .LBB555_3
; %bb.4:
	s_inst_prefetch 0x2
	s_or_b32 exec_lo, exec_lo, s1
.LBB555_5:
	s_or_b32 exec_lo, exec_lo, s0
	v_mov_b32_e32 v1, 0
	v_add_co_u32 v2, vcc_lo, v4, v2
	v_add_co_ci_u32_e64 v3, null, v5, v3, vcc_lo
	v_lshlrev_b64 v[0:1], 3, v[0:1]
	s_waitcnt lgkmcnt(0)
	v_add_co_u32 v0, vcc_lo, s2, v0
	v_add_co_ci_u32_e64 v1, null, s3, v1, vcc_lo
	global_store_dwordx2 v[0:1], v[2:3], off
.LBB555_6:
	s_endpgm
	.section	.rodata,"a",@progbits
	.p2align	6, 0x0
	.amdhsa_kernel _ZN7rocprim17ROCPRIM_400000_NS6detail17trampoline_kernelINS0_14default_configENS1_38merge_sort_block_merge_config_selectorIsNS0_10empty_typeEEEZZNS1_27merge_sort_block_merge_implIS3_N6thrust23THRUST_200600_302600_NS6detail15normal_iteratorINS9_10device_ptrIsEEEEPS5_m11less_div_10IsEEE10hipError_tT0_T1_T2_jT3_P12ihipStream_tbPNSt15iterator_traitsISJ_E10value_typeEPNSP_ISK_E10value_typeEPSL_NS1_7vsmem_tEENKUlT_SJ_SK_SL_E_clISE_PsSF_SF_EESI_SY_SJ_SK_SL_EUlSY_E_NS1_11comp_targetILNS1_3genE8ELNS1_11target_archE1030ELNS1_3gpuE2ELNS1_3repE0EEENS1_48merge_mergepath_partition_config_static_selectorELNS0_4arch9wavefront6targetE0EEEvSK_
		.amdhsa_group_segment_fixed_size 0
		.amdhsa_private_segment_fixed_size 0
		.amdhsa_kernarg_size 48
		.amdhsa_user_sgpr_count 6
		.amdhsa_user_sgpr_private_segment_buffer 1
		.amdhsa_user_sgpr_dispatch_ptr 0
		.amdhsa_user_sgpr_queue_ptr 0
		.amdhsa_user_sgpr_kernarg_segment_ptr 1
		.amdhsa_user_sgpr_dispatch_id 0
		.amdhsa_user_sgpr_flat_scratch_init 0
		.amdhsa_user_sgpr_private_segment_size 0
		.amdhsa_wavefront_size32 1
		.amdhsa_uses_dynamic_stack 0
		.amdhsa_system_sgpr_private_segment_wavefront_offset 0
		.amdhsa_system_sgpr_workgroup_id_x 1
		.amdhsa_system_sgpr_workgroup_id_y 0
		.amdhsa_system_sgpr_workgroup_id_z 0
		.amdhsa_system_sgpr_workgroup_info 0
		.amdhsa_system_vgpr_workitem_id 0
		.amdhsa_next_free_vgpr 18
		.amdhsa_next_free_sgpr 8
		.amdhsa_reserve_vcc 1
		.amdhsa_reserve_flat_scratch 0
		.amdhsa_float_round_mode_32 0
		.amdhsa_float_round_mode_16_64 0
		.amdhsa_float_denorm_mode_32 3
		.amdhsa_float_denorm_mode_16_64 3
		.amdhsa_dx10_clamp 1
		.amdhsa_ieee_mode 1
		.amdhsa_fp16_overflow 0
		.amdhsa_workgroup_processor_mode 1
		.amdhsa_memory_ordered 1
		.amdhsa_forward_progress 1
		.amdhsa_shared_vgpr_count 0
		.amdhsa_exception_fp_ieee_invalid_op 0
		.amdhsa_exception_fp_denorm_src 0
		.amdhsa_exception_fp_ieee_div_zero 0
		.amdhsa_exception_fp_ieee_overflow 0
		.amdhsa_exception_fp_ieee_underflow 0
		.amdhsa_exception_fp_ieee_inexact 0
		.amdhsa_exception_int_div_zero 0
	.end_amdhsa_kernel
	.section	.text._ZN7rocprim17ROCPRIM_400000_NS6detail17trampoline_kernelINS0_14default_configENS1_38merge_sort_block_merge_config_selectorIsNS0_10empty_typeEEEZZNS1_27merge_sort_block_merge_implIS3_N6thrust23THRUST_200600_302600_NS6detail15normal_iteratorINS9_10device_ptrIsEEEEPS5_m11less_div_10IsEEE10hipError_tT0_T1_T2_jT3_P12ihipStream_tbPNSt15iterator_traitsISJ_E10value_typeEPNSP_ISK_E10value_typeEPSL_NS1_7vsmem_tEENKUlT_SJ_SK_SL_E_clISE_PsSF_SF_EESI_SY_SJ_SK_SL_EUlSY_E_NS1_11comp_targetILNS1_3genE8ELNS1_11target_archE1030ELNS1_3gpuE2ELNS1_3repE0EEENS1_48merge_mergepath_partition_config_static_selectorELNS0_4arch9wavefront6targetE0EEEvSK_,"axG",@progbits,_ZN7rocprim17ROCPRIM_400000_NS6detail17trampoline_kernelINS0_14default_configENS1_38merge_sort_block_merge_config_selectorIsNS0_10empty_typeEEEZZNS1_27merge_sort_block_merge_implIS3_N6thrust23THRUST_200600_302600_NS6detail15normal_iteratorINS9_10device_ptrIsEEEEPS5_m11less_div_10IsEEE10hipError_tT0_T1_T2_jT3_P12ihipStream_tbPNSt15iterator_traitsISJ_E10value_typeEPNSP_ISK_E10value_typeEPSL_NS1_7vsmem_tEENKUlT_SJ_SK_SL_E_clISE_PsSF_SF_EESI_SY_SJ_SK_SL_EUlSY_E_NS1_11comp_targetILNS1_3genE8ELNS1_11target_archE1030ELNS1_3gpuE2ELNS1_3repE0EEENS1_48merge_mergepath_partition_config_static_selectorELNS0_4arch9wavefront6targetE0EEEvSK_,comdat
.Lfunc_end555:
	.size	_ZN7rocprim17ROCPRIM_400000_NS6detail17trampoline_kernelINS0_14default_configENS1_38merge_sort_block_merge_config_selectorIsNS0_10empty_typeEEEZZNS1_27merge_sort_block_merge_implIS3_N6thrust23THRUST_200600_302600_NS6detail15normal_iteratorINS9_10device_ptrIsEEEEPS5_m11less_div_10IsEEE10hipError_tT0_T1_T2_jT3_P12ihipStream_tbPNSt15iterator_traitsISJ_E10value_typeEPNSP_ISK_E10value_typeEPSL_NS1_7vsmem_tEENKUlT_SJ_SK_SL_E_clISE_PsSF_SF_EESI_SY_SJ_SK_SL_EUlSY_E_NS1_11comp_targetILNS1_3genE8ELNS1_11target_archE1030ELNS1_3gpuE2ELNS1_3repE0EEENS1_48merge_mergepath_partition_config_static_selectorELNS0_4arch9wavefront6targetE0EEEvSK_, .Lfunc_end555-_ZN7rocprim17ROCPRIM_400000_NS6detail17trampoline_kernelINS0_14default_configENS1_38merge_sort_block_merge_config_selectorIsNS0_10empty_typeEEEZZNS1_27merge_sort_block_merge_implIS3_N6thrust23THRUST_200600_302600_NS6detail15normal_iteratorINS9_10device_ptrIsEEEEPS5_m11less_div_10IsEEE10hipError_tT0_T1_T2_jT3_P12ihipStream_tbPNSt15iterator_traitsISJ_E10value_typeEPNSP_ISK_E10value_typeEPSL_NS1_7vsmem_tEENKUlT_SJ_SK_SL_E_clISE_PsSF_SF_EESI_SY_SJ_SK_SL_EUlSY_E_NS1_11comp_targetILNS1_3genE8ELNS1_11target_archE1030ELNS1_3gpuE2ELNS1_3repE0EEENS1_48merge_mergepath_partition_config_static_selectorELNS0_4arch9wavefront6targetE0EEEvSK_
                                        ; -- End function
	.set _ZN7rocprim17ROCPRIM_400000_NS6detail17trampoline_kernelINS0_14default_configENS1_38merge_sort_block_merge_config_selectorIsNS0_10empty_typeEEEZZNS1_27merge_sort_block_merge_implIS3_N6thrust23THRUST_200600_302600_NS6detail15normal_iteratorINS9_10device_ptrIsEEEEPS5_m11less_div_10IsEEE10hipError_tT0_T1_T2_jT3_P12ihipStream_tbPNSt15iterator_traitsISJ_E10value_typeEPNSP_ISK_E10value_typeEPSL_NS1_7vsmem_tEENKUlT_SJ_SK_SL_E_clISE_PsSF_SF_EESI_SY_SJ_SK_SL_EUlSY_E_NS1_11comp_targetILNS1_3genE8ELNS1_11target_archE1030ELNS1_3gpuE2ELNS1_3repE0EEENS1_48merge_mergepath_partition_config_static_selectorELNS0_4arch9wavefront6targetE0EEEvSK_.num_vgpr, 18
	.set _ZN7rocprim17ROCPRIM_400000_NS6detail17trampoline_kernelINS0_14default_configENS1_38merge_sort_block_merge_config_selectorIsNS0_10empty_typeEEEZZNS1_27merge_sort_block_merge_implIS3_N6thrust23THRUST_200600_302600_NS6detail15normal_iteratorINS9_10device_ptrIsEEEEPS5_m11less_div_10IsEEE10hipError_tT0_T1_T2_jT3_P12ihipStream_tbPNSt15iterator_traitsISJ_E10value_typeEPNSP_ISK_E10value_typeEPSL_NS1_7vsmem_tEENKUlT_SJ_SK_SL_E_clISE_PsSF_SF_EESI_SY_SJ_SK_SL_EUlSY_E_NS1_11comp_targetILNS1_3genE8ELNS1_11target_archE1030ELNS1_3gpuE2ELNS1_3repE0EEENS1_48merge_mergepath_partition_config_static_selectorELNS0_4arch9wavefront6targetE0EEEvSK_.num_agpr, 0
	.set _ZN7rocprim17ROCPRIM_400000_NS6detail17trampoline_kernelINS0_14default_configENS1_38merge_sort_block_merge_config_selectorIsNS0_10empty_typeEEEZZNS1_27merge_sort_block_merge_implIS3_N6thrust23THRUST_200600_302600_NS6detail15normal_iteratorINS9_10device_ptrIsEEEEPS5_m11less_div_10IsEEE10hipError_tT0_T1_T2_jT3_P12ihipStream_tbPNSt15iterator_traitsISJ_E10value_typeEPNSP_ISK_E10value_typeEPSL_NS1_7vsmem_tEENKUlT_SJ_SK_SL_E_clISE_PsSF_SF_EESI_SY_SJ_SK_SL_EUlSY_E_NS1_11comp_targetILNS1_3genE8ELNS1_11target_archE1030ELNS1_3gpuE2ELNS1_3repE0EEENS1_48merge_mergepath_partition_config_static_selectorELNS0_4arch9wavefront6targetE0EEEvSK_.numbered_sgpr, 8
	.set _ZN7rocprim17ROCPRIM_400000_NS6detail17trampoline_kernelINS0_14default_configENS1_38merge_sort_block_merge_config_selectorIsNS0_10empty_typeEEEZZNS1_27merge_sort_block_merge_implIS3_N6thrust23THRUST_200600_302600_NS6detail15normal_iteratorINS9_10device_ptrIsEEEEPS5_m11less_div_10IsEEE10hipError_tT0_T1_T2_jT3_P12ihipStream_tbPNSt15iterator_traitsISJ_E10value_typeEPNSP_ISK_E10value_typeEPSL_NS1_7vsmem_tEENKUlT_SJ_SK_SL_E_clISE_PsSF_SF_EESI_SY_SJ_SK_SL_EUlSY_E_NS1_11comp_targetILNS1_3genE8ELNS1_11target_archE1030ELNS1_3gpuE2ELNS1_3repE0EEENS1_48merge_mergepath_partition_config_static_selectorELNS0_4arch9wavefront6targetE0EEEvSK_.num_named_barrier, 0
	.set _ZN7rocprim17ROCPRIM_400000_NS6detail17trampoline_kernelINS0_14default_configENS1_38merge_sort_block_merge_config_selectorIsNS0_10empty_typeEEEZZNS1_27merge_sort_block_merge_implIS3_N6thrust23THRUST_200600_302600_NS6detail15normal_iteratorINS9_10device_ptrIsEEEEPS5_m11less_div_10IsEEE10hipError_tT0_T1_T2_jT3_P12ihipStream_tbPNSt15iterator_traitsISJ_E10value_typeEPNSP_ISK_E10value_typeEPSL_NS1_7vsmem_tEENKUlT_SJ_SK_SL_E_clISE_PsSF_SF_EESI_SY_SJ_SK_SL_EUlSY_E_NS1_11comp_targetILNS1_3genE8ELNS1_11target_archE1030ELNS1_3gpuE2ELNS1_3repE0EEENS1_48merge_mergepath_partition_config_static_selectorELNS0_4arch9wavefront6targetE0EEEvSK_.private_seg_size, 0
	.set _ZN7rocprim17ROCPRIM_400000_NS6detail17trampoline_kernelINS0_14default_configENS1_38merge_sort_block_merge_config_selectorIsNS0_10empty_typeEEEZZNS1_27merge_sort_block_merge_implIS3_N6thrust23THRUST_200600_302600_NS6detail15normal_iteratorINS9_10device_ptrIsEEEEPS5_m11less_div_10IsEEE10hipError_tT0_T1_T2_jT3_P12ihipStream_tbPNSt15iterator_traitsISJ_E10value_typeEPNSP_ISK_E10value_typeEPSL_NS1_7vsmem_tEENKUlT_SJ_SK_SL_E_clISE_PsSF_SF_EESI_SY_SJ_SK_SL_EUlSY_E_NS1_11comp_targetILNS1_3genE8ELNS1_11target_archE1030ELNS1_3gpuE2ELNS1_3repE0EEENS1_48merge_mergepath_partition_config_static_selectorELNS0_4arch9wavefront6targetE0EEEvSK_.uses_vcc, 1
	.set _ZN7rocprim17ROCPRIM_400000_NS6detail17trampoline_kernelINS0_14default_configENS1_38merge_sort_block_merge_config_selectorIsNS0_10empty_typeEEEZZNS1_27merge_sort_block_merge_implIS3_N6thrust23THRUST_200600_302600_NS6detail15normal_iteratorINS9_10device_ptrIsEEEEPS5_m11less_div_10IsEEE10hipError_tT0_T1_T2_jT3_P12ihipStream_tbPNSt15iterator_traitsISJ_E10value_typeEPNSP_ISK_E10value_typeEPSL_NS1_7vsmem_tEENKUlT_SJ_SK_SL_E_clISE_PsSF_SF_EESI_SY_SJ_SK_SL_EUlSY_E_NS1_11comp_targetILNS1_3genE8ELNS1_11target_archE1030ELNS1_3gpuE2ELNS1_3repE0EEENS1_48merge_mergepath_partition_config_static_selectorELNS0_4arch9wavefront6targetE0EEEvSK_.uses_flat_scratch, 0
	.set _ZN7rocprim17ROCPRIM_400000_NS6detail17trampoline_kernelINS0_14default_configENS1_38merge_sort_block_merge_config_selectorIsNS0_10empty_typeEEEZZNS1_27merge_sort_block_merge_implIS3_N6thrust23THRUST_200600_302600_NS6detail15normal_iteratorINS9_10device_ptrIsEEEEPS5_m11less_div_10IsEEE10hipError_tT0_T1_T2_jT3_P12ihipStream_tbPNSt15iterator_traitsISJ_E10value_typeEPNSP_ISK_E10value_typeEPSL_NS1_7vsmem_tEENKUlT_SJ_SK_SL_E_clISE_PsSF_SF_EESI_SY_SJ_SK_SL_EUlSY_E_NS1_11comp_targetILNS1_3genE8ELNS1_11target_archE1030ELNS1_3gpuE2ELNS1_3repE0EEENS1_48merge_mergepath_partition_config_static_selectorELNS0_4arch9wavefront6targetE0EEEvSK_.has_dyn_sized_stack, 0
	.set _ZN7rocprim17ROCPRIM_400000_NS6detail17trampoline_kernelINS0_14default_configENS1_38merge_sort_block_merge_config_selectorIsNS0_10empty_typeEEEZZNS1_27merge_sort_block_merge_implIS3_N6thrust23THRUST_200600_302600_NS6detail15normal_iteratorINS9_10device_ptrIsEEEEPS5_m11less_div_10IsEEE10hipError_tT0_T1_T2_jT3_P12ihipStream_tbPNSt15iterator_traitsISJ_E10value_typeEPNSP_ISK_E10value_typeEPSL_NS1_7vsmem_tEENKUlT_SJ_SK_SL_E_clISE_PsSF_SF_EESI_SY_SJ_SK_SL_EUlSY_E_NS1_11comp_targetILNS1_3genE8ELNS1_11target_archE1030ELNS1_3gpuE2ELNS1_3repE0EEENS1_48merge_mergepath_partition_config_static_selectorELNS0_4arch9wavefront6targetE0EEEvSK_.has_recursion, 0
	.set _ZN7rocprim17ROCPRIM_400000_NS6detail17trampoline_kernelINS0_14default_configENS1_38merge_sort_block_merge_config_selectorIsNS0_10empty_typeEEEZZNS1_27merge_sort_block_merge_implIS3_N6thrust23THRUST_200600_302600_NS6detail15normal_iteratorINS9_10device_ptrIsEEEEPS5_m11less_div_10IsEEE10hipError_tT0_T1_T2_jT3_P12ihipStream_tbPNSt15iterator_traitsISJ_E10value_typeEPNSP_ISK_E10value_typeEPSL_NS1_7vsmem_tEENKUlT_SJ_SK_SL_E_clISE_PsSF_SF_EESI_SY_SJ_SK_SL_EUlSY_E_NS1_11comp_targetILNS1_3genE8ELNS1_11target_archE1030ELNS1_3gpuE2ELNS1_3repE0EEENS1_48merge_mergepath_partition_config_static_selectorELNS0_4arch9wavefront6targetE0EEEvSK_.has_indirect_call, 0
	.section	.AMDGPU.csdata,"",@progbits
; Kernel info:
; codeLenInByte = 712
; TotalNumSgprs: 10
; NumVgprs: 18
; ScratchSize: 0
; MemoryBound: 0
; FloatMode: 240
; IeeeMode: 1
; LDSByteSize: 0 bytes/workgroup (compile time only)
; SGPRBlocks: 0
; VGPRBlocks: 2
; NumSGPRsForWavesPerEU: 10
; NumVGPRsForWavesPerEU: 18
; Occupancy: 16
; WaveLimiterHint : 0
; COMPUTE_PGM_RSRC2:SCRATCH_EN: 0
; COMPUTE_PGM_RSRC2:USER_SGPR: 6
; COMPUTE_PGM_RSRC2:TRAP_HANDLER: 0
; COMPUTE_PGM_RSRC2:TGID_X_EN: 1
; COMPUTE_PGM_RSRC2:TGID_Y_EN: 0
; COMPUTE_PGM_RSRC2:TGID_Z_EN: 0
; COMPUTE_PGM_RSRC2:TIDIG_COMP_CNT: 0
	.section	.text._ZN7rocprim17ROCPRIM_400000_NS6detail17trampoline_kernelINS0_14default_configENS1_38merge_sort_block_merge_config_selectorIsNS0_10empty_typeEEEZZNS1_27merge_sort_block_merge_implIS3_N6thrust23THRUST_200600_302600_NS6detail15normal_iteratorINS9_10device_ptrIsEEEEPS5_m11less_div_10IsEEE10hipError_tT0_T1_T2_jT3_P12ihipStream_tbPNSt15iterator_traitsISJ_E10value_typeEPNSP_ISK_E10value_typeEPSL_NS1_7vsmem_tEENKUlT_SJ_SK_SL_E_clISE_PsSF_SF_EESI_SY_SJ_SK_SL_EUlSY_E0_NS1_11comp_targetILNS1_3genE0ELNS1_11target_archE4294967295ELNS1_3gpuE0ELNS1_3repE0EEENS1_38merge_mergepath_config_static_selectorELNS0_4arch9wavefront6targetE0EEEvSK_,"axG",@progbits,_ZN7rocprim17ROCPRIM_400000_NS6detail17trampoline_kernelINS0_14default_configENS1_38merge_sort_block_merge_config_selectorIsNS0_10empty_typeEEEZZNS1_27merge_sort_block_merge_implIS3_N6thrust23THRUST_200600_302600_NS6detail15normal_iteratorINS9_10device_ptrIsEEEEPS5_m11less_div_10IsEEE10hipError_tT0_T1_T2_jT3_P12ihipStream_tbPNSt15iterator_traitsISJ_E10value_typeEPNSP_ISK_E10value_typeEPSL_NS1_7vsmem_tEENKUlT_SJ_SK_SL_E_clISE_PsSF_SF_EESI_SY_SJ_SK_SL_EUlSY_E0_NS1_11comp_targetILNS1_3genE0ELNS1_11target_archE4294967295ELNS1_3gpuE0ELNS1_3repE0EEENS1_38merge_mergepath_config_static_selectorELNS0_4arch9wavefront6targetE0EEEvSK_,comdat
	.protected	_ZN7rocprim17ROCPRIM_400000_NS6detail17trampoline_kernelINS0_14default_configENS1_38merge_sort_block_merge_config_selectorIsNS0_10empty_typeEEEZZNS1_27merge_sort_block_merge_implIS3_N6thrust23THRUST_200600_302600_NS6detail15normal_iteratorINS9_10device_ptrIsEEEEPS5_m11less_div_10IsEEE10hipError_tT0_T1_T2_jT3_P12ihipStream_tbPNSt15iterator_traitsISJ_E10value_typeEPNSP_ISK_E10value_typeEPSL_NS1_7vsmem_tEENKUlT_SJ_SK_SL_E_clISE_PsSF_SF_EESI_SY_SJ_SK_SL_EUlSY_E0_NS1_11comp_targetILNS1_3genE0ELNS1_11target_archE4294967295ELNS1_3gpuE0ELNS1_3repE0EEENS1_38merge_mergepath_config_static_selectorELNS0_4arch9wavefront6targetE0EEEvSK_ ; -- Begin function _ZN7rocprim17ROCPRIM_400000_NS6detail17trampoline_kernelINS0_14default_configENS1_38merge_sort_block_merge_config_selectorIsNS0_10empty_typeEEEZZNS1_27merge_sort_block_merge_implIS3_N6thrust23THRUST_200600_302600_NS6detail15normal_iteratorINS9_10device_ptrIsEEEEPS5_m11less_div_10IsEEE10hipError_tT0_T1_T2_jT3_P12ihipStream_tbPNSt15iterator_traitsISJ_E10value_typeEPNSP_ISK_E10value_typeEPSL_NS1_7vsmem_tEENKUlT_SJ_SK_SL_E_clISE_PsSF_SF_EESI_SY_SJ_SK_SL_EUlSY_E0_NS1_11comp_targetILNS1_3genE0ELNS1_11target_archE4294967295ELNS1_3gpuE0ELNS1_3repE0EEENS1_38merge_mergepath_config_static_selectorELNS0_4arch9wavefront6targetE0EEEvSK_
	.globl	_ZN7rocprim17ROCPRIM_400000_NS6detail17trampoline_kernelINS0_14default_configENS1_38merge_sort_block_merge_config_selectorIsNS0_10empty_typeEEEZZNS1_27merge_sort_block_merge_implIS3_N6thrust23THRUST_200600_302600_NS6detail15normal_iteratorINS9_10device_ptrIsEEEEPS5_m11less_div_10IsEEE10hipError_tT0_T1_T2_jT3_P12ihipStream_tbPNSt15iterator_traitsISJ_E10value_typeEPNSP_ISK_E10value_typeEPSL_NS1_7vsmem_tEENKUlT_SJ_SK_SL_E_clISE_PsSF_SF_EESI_SY_SJ_SK_SL_EUlSY_E0_NS1_11comp_targetILNS1_3genE0ELNS1_11target_archE4294967295ELNS1_3gpuE0ELNS1_3repE0EEENS1_38merge_mergepath_config_static_selectorELNS0_4arch9wavefront6targetE0EEEvSK_
	.p2align	8
	.type	_ZN7rocprim17ROCPRIM_400000_NS6detail17trampoline_kernelINS0_14default_configENS1_38merge_sort_block_merge_config_selectorIsNS0_10empty_typeEEEZZNS1_27merge_sort_block_merge_implIS3_N6thrust23THRUST_200600_302600_NS6detail15normal_iteratorINS9_10device_ptrIsEEEEPS5_m11less_div_10IsEEE10hipError_tT0_T1_T2_jT3_P12ihipStream_tbPNSt15iterator_traitsISJ_E10value_typeEPNSP_ISK_E10value_typeEPSL_NS1_7vsmem_tEENKUlT_SJ_SK_SL_E_clISE_PsSF_SF_EESI_SY_SJ_SK_SL_EUlSY_E0_NS1_11comp_targetILNS1_3genE0ELNS1_11target_archE4294967295ELNS1_3gpuE0ELNS1_3repE0EEENS1_38merge_mergepath_config_static_selectorELNS0_4arch9wavefront6targetE0EEEvSK_,@function
_ZN7rocprim17ROCPRIM_400000_NS6detail17trampoline_kernelINS0_14default_configENS1_38merge_sort_block_merge_config_selectorIsNS0_10empty_typeEEEZZNS1_27merge_sort_block_merge_implIS3_N6thrust23THRUST_200600_302600_NS6detail15normal_iteratorINS9_10device_ptrIsEEEEPS5_m11less_div_10IsEEE10hipError_tT0_T1_T2_jT3_P12ihipStream_tbPNSt15iterator_traitsISJ_E10value_typeEPNSP_ISK_E10value_typeEPSL_NS1_7vsmem_tEENKUlT_SJ_SK_SL_E_clISE_PsSF_SF_EESI_SY_SJ_SK_SL_EUlSY_E0_NS1_11comp_targetILNS1_3genE0ELNS1_11target_archE4294967295ELNS1_3gpuE0ELNS1_3repE0EEENS1_38merge_mergepath_config_static_selectorELNS0_4arch9wavefront6targetE0EEEvSK_: ; @_ZN7rocprim17ROCPRIM_400000_NS6detail17trampoline_kernelINS0_14default_configENS1_38merge_sort_block_merge_config_selectorIsNS0_10empty_typeEEEZZNS1_27merge_sort_block_merge_implIS3_N6thrust23THRUST_200600_302600_NS6detail15normal_iteratorINS9_10device_ptrIsEEEEPS5_m11less_div_10IsEEE10hipError_tT0_T1_T2_jT3_P12ihipStream_tbPNSt15iterator_traitsISJ_E10value_typeEPNSP_ISK_E10value_typeEPSL_NS1_7vsmem_tEENKUlT_SJ_SK_SL_E_clISE_PsSF_SF_EESI_SY_SJ_SK_SL_EUlSY_E0_NS1_11comp_targetILNS1_3genE0ELNS1_11target_archE4294967295ELNS1_3gpuE0ELNS1_3repE0EEENS1_38merge_mergepath_config_static_selectorELNS0_4arch9wavefront6targetE0EEEvSK_
; %bb.0:
	.section	.rodata,"a",@progbits
	.p2align	6, 0x0
	.amdhsa_kernel _ZN7rocprim17ROCPRIM_400000_NS6detail17trampoline_kernelINS0_14default_configENS1_38merge_sort_block_merge_config_selectorIsNS0_10empty_typeEEEZZNS1_27merge_sort_block_merge_implIS3_N6thrust23THRUST_200600_302600_NS6detail15normal_iteratorINS9_10device_ptrIsEEEEPS5_m11less_div_10IsEEE10hipError_tT0_T1_T2_jT3_P12ihipStream_tbPNSt15iterator_traitsISJ_E10value_typeEPNSP_ISK_E10value_typeEPSL_NS1_7vsmem_tEENKUlT_SJ_SK_SL_E_clISE_PsSF_SF_EESI_SY_SJ_SK_SL_EUlSY_E0_NS1_11comp_targetILNS1_3genE0ELNS1_11target_archE4294967295ELNS1_3gpuE0ELNS1_3repE0EEENS1_38merge_mergepath_config_static_selectorELNS0_4arch9wavefront6targetE0EEEvSK_
		.amdhsa_group_segment_fixed_size 0
		.amdhsa_private_segment_fixed_size 0
		.amdhsa_kernarg_size 72
		.amdhsa_user_sgpr_count 6
		.amdhsa_user_sgpr_private_segment_buffer 1
		.amdhsa_user_sgpr_dispatch_ptr 0
		.amdhsa_user_sgpr_queue_ptr 0
		.amdhsa_user_sgpr_kernarg_segment_ptr 1
		.amdhsa_user_sgpr_dispatch_id 0
		.amdhsa_user_sgpr_flat_scratch_init 0
		.amdhsa_user_sgpr_private_segment_size 0
		.amdhsa_wavefront_size32 1
		.amdhsa_uses_dynamic_stack 0
		.amdhsa_system_sgpr_private_segment_wavefront_offset 0
		.amdhsa_system_sgpr_workgroup_id_x 1
		.amdhsa_system_sgpr_workgroup_id_y 0
		.amdhsa_system_sgpr_workgroup_id_z 0
		.amdhsa_system_sgpr_workgroup_info 0
		.amdhsa_system_vgpr_workitem_id 0
		.amdhsa_next_free_vgpr 1
		.amdhsa_next_free_sgpr 1
		.amdhsa_reserve_vcc 0
		.amdhsa_reserve_flat_scratch 0
		.amdhsa_float_round_mode_32 0
		.amdhsa_float_round_mode_16_64 0
		.amdhsa_float_denorm_mode_32 3
		.amdhsa_float_denorm_mode_16_64 3
		.amdhsa_dx10_clamp 1
		.amdhsa_ieee_mode 1
		.amdhsa_fp16_overflow 0
		.amdhsa_workgroup_processor_mode 1
		.amdhsa_memory_ordered 1
		.amdhsa_forward_progress 1
		.amdhsa_shared_vgpr_count 0
		.amdhsa_exception_fp_ieee_invalid_op 0
		.amdhsa_exception_fp_denorm_src 0
		.amdhsa_exception_fp_ieee_div_zero 0
		.amdhsa_exception_fp_ieee_overflow 0
		.amdhsa_exception_fp_ieee_underflow 0
		.amdhsa_exception_fp_ieee_inexact 0
		.amdhsa_exception_int_div_zero 0
	.end_amdhsa_kernel
	.section	.text._ZN7rocprim17ROCPRIM_400000_NS6detail17trampoline_kernelINS0_14default_configENS1_38merge_sort_block_merge_config_selectorIsNS0_10empty_typeEEEZZNS1_27merge_sort_block_merge_implIS3_N6thrust23THRUST_200600_302600_NS6detail15normal_iteratorINS9_10device_ptrIsEEEEPS5_m11less_div_10IsEEE10hipError_tT0_T1_T2_jT3_P12ihipStream_tbPNSt15iterator_traitsISJ_E10value_typeEPNSP_ISK_E10value_typeEPSL_NS1_7vsmem_tEENKUlT_SJ_SK_SL_E_clISE_PsSF_SF_EESI_SY_SJ_SK_SL_EUlSY_E0_NS1_11comp_targetILNS1_3genE0ELNS1_11target_archE4294967295ELNS1_3gpuE0ELNS1_3repE0EEENS1_38merge_mergepath_config_static_selectorELNS0_4arch9wavefront6targetE0EEEvSK_,"axG",@progbits,_ZN7rocprim17ROCPRIM_400000_NS6detail17trampoline_kernelINS0_14default_configENS1_38merge_sort_block_merge_config_selectorIsNS0_10empty_typeEEEZZNS1_27merge_sort_block_merge_implIS3_N6thrust23THRUST_200600_302600_NS6detail15normal_iteratorINS9_10device_ptrIsEEEEPS5_m11less_div_10IsEEE10hipError_tT0_T1_T2_jT3_P12ihipStream_tbPNSt15iterator_traitsISJ_E10value_typeEPNSP_ISK_E10value_typeEPSL_NS1_7vsmem_tEENKUlT_SJ_SK_SL_E_clISE_PsSF_SF_EESI_SY_SJ_SK_SL_EUlSY_E0_NS1_11comp_targetILNS1_3genE0ELNS1_11target_archE4294967295ELNS1_3gpuE0ELNS1_3repE0EEENS1_38merge_mergepath_config_static_selectorELNS0_4arch9wavefront6targetE0EEEvSK_,comdat
.Lfunc_end556:
	.size	_ZN7rocprim17ROCPRIM_400000_NS6detail17trampoline_kernelINS0_14default_configENS1_38merge_sort_block_merge_config_selectorIsNS0_10empty_typeEEEZZNS1_27merge_sort_block_merge_implIS3_N6thrust23THRUST_200600_302600_NS6detail15normal_iteratorINS9_10device_ptrIsEEEEPS5_m11less_div_10IsEEE10hipError_tT0_T1_T2_jT3_P12ihipStream_tbPNSt15iterator_traitsISJ_E10value_typeEPNSP_ISK_E10value_typeEPSL_NS1_7vsmem_tEENKUlT_SJ_SK_SL_E_clISE_PsSF_SF_EESI_SY_SJ_SK_SL_EUlSY_E0_NS1_11comp_targetILNS1_3genE0ELNS1_11target_archE4294967295ELNS1_3gpuE0ELNS1_3repE0EEENS1_38merge_mergepath_config_static_selectorELNS0_4arch9wavefront6targetE0EEEvSK_, .Lfunc_end556-_ZN7rocprim17ROCPRIM_400000_NS6detail17trampoline_kernelINS0_14default_configENS1_38merge_sort_block_merge_config_selectorIsNS0_10empty_typeEEEZZNS1_27merge_sort_block_merge_implIS3_N6thrust23THRUST_200600_302600_NS6detail15normal_iteratorINS9_10device_ptrIsEEEEPS5_m11less_div_10IsEEE10hipError_tT0_T1_T2_jT3_P12ihipStream_tbPNSt15iterator_traitsISJ_E10value_typeEPNSP_ISK_E10value_typeEPSL_NS1_7vsmem_tEENKUlT_SJ_SK_SL_E_clISE_PsSF_SF_EESI_SY_SJ_SK_SL_EUlSY_E0_NS1_11comp_targetILNS1_3genE0ELNS1_11target_archE4294967295ELNS1_3gpuE0ELNS1_3repE0EEENS1_38merge_mergepath_config_static_selectorELNS0_4arch9wavefront6targetE0EEEvSK_
                                        ; -- End function
	.set _ZN7rocprim17ROCPRIM_400000_NS6detail17trampoline_kernelINS0_14default_configENS1_38merge_sort_block_merge_config_selectorIsNS0_10empty_typeEEEZZNS1_27merge_sort_block_merge_implIS3_N6thrust23THRUST_200600_302600_NS6detail15normal_iteratorINS9_10device_ptrIsEEEEPS5_m11less_div_10IsEEE10hipError_tT0_T1_T2_jT3_P12ihipStream_tbPNSt15iterator_traitsISJ_E10value_typeEPNSP_ISK_E10value_typeEPSL_NS1_7vsmem_tEENKUlT_SJ_SK_SL_E_clISE_PsSF_SF_EESI_SY_SJ_SK_SL_EUlSY_E0_NS1_11comp_targetILNS1_3genE0ELNS1_11target_archE4294967295ELNS1_3gpuE0ELNS1_3repE0EEENS1_38merge_mergepath_config_static_selectorELNS0_4arch9wavefront6targetE0EEEvSK_.num_vgpr, 0
	.set _ZN7rocprim17ROCPRIM_400000_NS6detail17trampoline_kernelINS0_14default_configENS1_38merge_sort_block_merge_config_selectorIsNS0_10empty_typeEEEZZNS1_27merge_sort_block_merge_implIS3_N6thrust23THRUST_200600_302600_NS6detail15normal_iteratorINS9_10device_ptrIsEEEEPS5_m11less_div_10IsEEE10hipError_tT0_T1_T2_jT3_P12ihipStream_tbPNSt15iterator_traitsISJ_E10value_typeEPNSP_ISK_E10value_typeEPSL_NS1_7vsmem_tEENKUlT_SJ_SK_SL_E_clISE_PsSF_SF_EESI_SY_SJ_SK_SL_EUlSY_E0_NS1_11comp_targetILNS1_3genE0ELNS1_11target_archE4294967295ELNS1_3gpuE0ELNS1_3repE0EEENS1_38merge_mergepath_config_static_selectorELNS0_4arch9wavefront6targetE0EEEvSK_.num_agpr, 0
	.set _ZN7rocprim17ROCPRIM_400000_NS6detail17trampoline_kernelINS0_14default_configENS1_38merge_sort_block_merge_config_selectorIsNS0_10empty_typeEEEZZNS1_27merge_sort_block_merge_implIS3_N6thrust23THRUST_200600_302600_NS6detail15normal_iteratorINS9_10device_ptrIsEEEEPS5_m11less_div_10IsEEE10hipError_tT0_T1_T2_jT3_P12ihipStream_tbPNSt15iterator_traitsISJ_E10value_typeEPNSP_ISK_E10value_typeEPSL_NS1_7vsmem_tEENKUlT_SJ_SK_SL_E_clISE_PsSF_SF_EESI_SY_SJ_SK_SL_EUlSY_E0_NS1_11comp_targetILNS1_3genE0ELNS1_11target_archE4294967295ELNS1_3gpuE0ELNS1_3repE0EEENS1_38merge_mergepath_config_static_selectorELNS0_4arch9wavefront6targetE0EEEvSK_.numbered_sgpr, 0
	.set _ZN7rocprim17ROCPRIM_400000_NS6detail17trampoline_kernelINS0_14default_configENS1_38merge_sort_block_merge_config_selectorIsNS0_10empty_typeEEEZZNS1_27merge_sort_block_merge_implIS3_N6thrust23THRUST_200600_302600_NS6detail15normal_iteratorINS9_10device_ptrIsEEEEPS5_m11less_div_10IsEEE10hipError_tT0_T1_T2_jT3_P12ihipStream_tbPNSt15iterator_traitsISJ_E10value_typeEPNSP_ISK_E10value_typeEPSL_NS1_7vsmem_tEENKUlT_SJ_SK_SL_E_clISE_PsSF_SF_EESI_SY_SJ_SK_SL_EUlSY_E0_NS1_11comp_targetILNS1_3genE0ELNS1_11target_archE4294967295ELNS1_3gpuE0ELNS1_3repE0EEENS1_38merge_mergepath_config_static_selectorELNS0_4arch9wavefront6targetE0EEEvSK_.num_named_barrier, 0
	.set _ZN7rocprim17ROCPRIM_400000_NS6detail17trampoline_kernelINS0_14default_configENS1_38merge_sort_block_merge_config_selectorIsNS0_10empty_typeEEEZZNS1_27merge_sort_block_merge_implIS3_N6thrust23THRUST_200600_302600_NS6detail15normal_iteratorINS9_10device_ptrIsEEEEPS5_m11less_div_10IsEEE10hipError_tT0_T1_T2_jT3_P12ihipStream_tbPNSt15iterator_traitsISJ_E10value_typeEPNSP_ISK_E10value_typeEPSL_NS1_7vsmem_tEENKUlT_SJ_SK_SL_E_clISE_PsSF_SF_EESI_SY_SJ_SK_SL_EUlSY_E0_NS1_11comp_targetILNS1_3genE0ELNS1_11target_archE4294967295ELNS1_3gpuE0ELNS1_3repE0EEENS1_38merge_mergepath_config_static_selectorELNS0_4arch9wavefront6targetE0EEEvSK_.private_seg_size, 0
	.set _ZN7rocprim17ROCPRIM_400000_NS6detail17trampoline_kernelINS0_14default_configENS1_38merge_sort_block_merge_config_selectorIsNS0_10empty_typeEEEZZNS1_27merge_sort_block_merge_implIS3_N6thrust23THRUST_200600_302600_NS6detail15normal_iteratorINS9_10device_ptrIsEEEEPS5_m11less_div_10IsEEE10hipError_tT0_T1_T2_jT3_P12ihipStream_tbPNSt15iterator_traitsISJ_E10value_typeEPNSP_ISK_E10value_typeEPSL_NS1_7vsmem_tEENKUlT_SJ_SK_SL_E_clISE_PsSF_SF_EESI_SY_SJ_SK_SL_EUlSY_E0_NS1_11comp_targetILNS1_3genE0ELNS1_11target_archE4294967295ELNS1_3gpuE0ELNS1_3repE0EEENS1_38merge_mergepath_config_static_selectorELNS0_4arch9wavefront6targetE0EEEvSK_.uses_vcc, 0
	.set _ZN7rocprim17ROCPRIM_400000_NS6detail17trampoline_kernelINS0_14default_configENS1_38merge_sort_block_merge_config_selectorIsNS0_10empty_typeEEEZZNS1_27merge_sort_block_merge_implIS3_N6thrust23THRUST_200600_302600_NS6detail15normal_iteratorINS9_10device_ptrIsEEEEPS5_m11less_div_10IsEEE10hipError_tT0_T1_T2_jT3_P12ihipStream_tbPNSt15iterator_traitsISJ_E10value_typeEPNSP_ISK_E10value_typeEPSL_NS1_7vsmem_tEENKUlT_SJ_SK_SL_E_clISE_PsSF_SF_EESI_SY_SJ_SK_SL_EUlSY_E0_NS1_11comp_targetILNS1_3genE0ELNS1_11target_archE4294967295ELNS1_3gpuE0ELNS1_3repE0EEENS1_38merge_mergepath_config_static_selectorELNS0_4arch9wavefront6targetE0EEEvSK_.uses_flat_scratch, 0
	.set _ZN7rocprim17ROCPRIM_400000_NS6detail17trampoline_kernelINS0_14default_configENS1_38merge_sort_block_merge_config_selectorIsNS0_10empty_typeEEEZZNS1_27merge_sort_block_merge_implIS3_N6thrust23THRUST_200600_302600_NS6detail15normal_iteratorINS9_10device_ptrIsEEEEPS5_m11less_div_10IsEEE10hipError_tT0_T1_T2_jT3_P12ihipStream_tbPNSt15iterator_traitsISJ_E10value_typeEPNSP_ISK_E10value_typeEPSL_NS1_7vsmem_tEENKUlT_SJ_SK_SL_E_clISE_PsSF_SF_EESI_SY_SJ_SK_SL_EUlSY_E0_NS1_11comp_targetILNS1_3genE0ELNS1_11target_archE4294967295ELNS1_3gpuE0ELNS1_3repE0EEENS1_38merge_mergepath_config_static_selectorELNS0_4arch9wavefront6targetE0EEEvSK_.has_dyn_sized_stack, 0
	.set _ZN7rocprim17ROCPRIM_400000_NS6detail17trampoline_kernelINS0_14default_configENS1_38merge_sort_block_merge_config_selectorIsNS0_10empty_typeEEEZZNS1_27merge_sort_block_merge_implIS3_N6thrust23THRUST_200600_302600_NS6detail15normal_iteratorINS9_10device_ptrIsEEEEPS5_m11less_div_10IsEEE10hipError_tT0_T1_T2_jT3_P12ihipStream_tbPNSt15iterator_traitsISJ_E10value_typeEPNSP_ISK_E10value_typeEPSL_NS1_7vsmem_tEENKUlT_SJ_SK_SL_E_clISE_PsSF_SF_EESI_SY_SJ_SK_SL_EUlSY_E0_NS1_11comp_targetILNS1_3genE0ELNS1_11target_archE4294967295ELNS1_3gpuE0ELNS1_3repE0EEENS1_38merge_mergepath_config_static_selectorELNS0_4arch9wavefront6targetE0EEEvSK_.has_recursion, 0
	.set _ZN7rocprim17ROCPRIM_400000_NS6detail17trampoline_kernelINS0_14default_configENS1_38merge_sort_block_merge_config_selectorIsNS0_10empty_typeEEEZZNS1_27merge_sort_block_merge_implIS3_N6thrust23THRUST_200600_302600_NS6detail15normal_iteratorINS9_10device_ptrIsEEEEPS5_m11less_div_10IsEEE10hipError_tT0_T1_T2_jT3_P12ihipStream_tbPNSt15iterator_traitsISJ_E10value_typeEPNSP_ISK_E10value_typeEPSL_NS1_7vsmem_tEENKUlT_SJ_SK_SL_E_clISE_PsSF_SF_EESI_SY_SJ_SK_SL_EUlSY_E0_NS1_11comp_targetILNS1_3genE0ELNS1_11target_archE4294967295ELNS1_3gpuE0ELNS1_3repE0EEENS1_38merge_mergepath_config_static_selectorELNS0_4arch9wavefront6targetE0EEEvSK_.has_indirect_call, 0
	.section	.AMDGPU.csdata,"",@progbits
; Kernel info:
; codeLenInByte = 0
; TotalNumSgprs: 0
; NumVgprs: 0
; ScratchSize: 0
; MemoryBound: 0
; FloatMode: 240
; IeeeMode: 1
; LDSByteSize: 0 bytes/workgroup (compile time only)
; SGPRBlocks: 0
; VGPRBlocks: 0
; NumSGPRsForWavesPerEU: 1
; NumVGPRsForWavesPerEU: 1
; Occupancy: 16
; WaveLimiterHint : 0
; COMPUTE_PGM_RSRC2:SCRATCH_EN: 0
; COMPUTE_PGM_RSRC2:USER_SGPR: 6
; COMPUTE_PGM_RSRC2:TRAP_HANDLER: 0
; COMPUTE_PGM_RSRC2:TGID_X_EN: 1
; COMPUTE_PGM_RSRC2:TGID_Y_EN: 0
; COMPUTE_PGM_RSRC2:TGID_Z_EN: 0
; COMPUTE_PGM_RSRC2:TIDIG_COMP_CNT: 0
	.section	.text._ZN7rocprim17ROCPRIM_400000_NS6detail17trampoline_kernelINS0_14default_configENS1_38merge_sort_block_merge_config_selectorIsNS0_10empty_typeEEEZZNS1_27merge_sort_block_merge_implIS3_N6thrust23THRUST_200600_302600_NS6detail15normal_iteratorINS9_10device_ptrIsEEEEPS5_m11less_div_10IsEEE10hipError_tT0_T1_T2_jT3_P12ihipStream_tbPNSt15iterator_traitsISJ_E10value_typeEPNSP_ISK_E10value_typeEPSL_NS1_7vsmem_tEENKUlT_SJ_SK_SL_E_clISE_PsSF_SF_EESI_SY_SJ_SK_SL_EUlSY_E0_NS1_11comp_targetILNS1_3genE10ELNS1_11target_archE1201ELNS1_3gpuE5ELNS1_3repE0EEENS1_38merge_mergepath_config_static_selectorELNS0_4arch9wavefront6targetE0EEEvSK_,"axG",@progbits,_ZN7rocprim17ROCPRIM_400000_NS6detail17trampoline_kernelINS0_14default_configENS1_38merge_sort_block_merge_config_selectorIsNS0_10empty_typeEEEZZNS1_27merge_sort_block_merge_implIS3_N6thrust23THRUST_200600_302600_NS6detail15normal_iteratorINS9_10device_ptrIsEEEEPS5_m11less_div_10IsEEE10hipError_tT0_T1_T2_jT3_P12ihipStream_tbPNSt15iterator_traitsISJ_E10value_typeEPNSP_ISK_E10value_typeEPSL_NS1_7vsmem_tEENKUlT_SJ_SK_SL_E_clISE_PsSF_SF_EESI_SY_SJ_SK_SL_EUlSY_E0_NS1_11comp_targetILNS1_3genE10ELNS1_11target_archE1201ELNS1_3gpuE5ELNS1_3repE0EEENS1_38merge_mergepath_config_static_selectorELNS0_4arch9wavefront6targetE0EEEvSK_,comdat
	.protected	_ZN7rocprim17ROCPRIM_400000_NS6detail17trampoline_kernelINS0_14default_configENS1_38merge_sort_block_merge_config_selectorIsNS0_10empty_typeEEEZZNS1_27merge_sort_block_merge_implIS3_N6thrust23THRUST_200600_302600_NS6detail15normal_iteratorINS9_10device_ptrIsEEEEPS5_m11less_div_10IsEEE10hipError_tT0_T1_T2_jT3_P12ihipStream_tbPNSt15iterator_traitsISJ_E10value_typeEPNSP_ISK_E10value_typeEPSL_NS1_7vsmem_tEENKUlT_SJ_SK_SL_E_clISE_PsSF_SF_EESI_SY_SJ_SK_SL_EUlSY_E0_NS1_11comp_targetILNS1_3genE10ELNS1_11target_archE1201ELNS1_3gpuE5ELNS1_3repE0EEENS1_38merge_mergepath_config_static_selectorELNS0_4arch9wavefront6targetE0EEEvSK_ ; -- Begin function _ZN7rocprim17ROCPRIM_400000_NS6detail17trampoline_kernelINS0_14default_configENS1_38merge_sort_block_merge_config_selectorIsNS0_10empty_typeEEEZZNS1_27merge_sort_block_merge_implIS3_N6thrust23THRUST_200600_302600_NS6detail15normal_iteratorINS9_10device_ptrIsEEEEPS5_m11less_div_10IsEEE10hipError_tT0_T1_T2_jT3_P12ihipStream_tbPNSt15iterator_traitsISJ_E10value_typeEPNSP_ISK_E10value_typeEPSL_NS1_7vsmem_tEENKUlT_SJ_SK_SL_E_clISE_PsSF_SF_EESI_SY_SJ_SK_SL_EUlSY_E0_NS1_11comp_targetILNS1_3genE10ELNS1_11target_archE1201ELNS1_3gpuE5ELNS1_3repE0EEENS1_38merge_mergepath_config_static_selectorELNS0_4arch9wavefront6targetE0EEEvSK_
	.globl	_ZN7rocprim17ROCPRIM_400000_NS6detail17trampoline_kernelINS0_14default_configENS1_38merge_sort_block_merge_config_selectorIsNS0_10empty_typeEEEZZNS1_27merge_sort_block_merge_implIS3_N6thrust23THRUST_200600_302600_NS6detail15normal_iteratorINS9_10device_ptrIsEEEEPS5_m11less_div_10IsEEE10hipError_tT0_T1_T2_jT3_P12ihipStream_tbPNSt15iterator_traitsISJ_E10value_typeEPNSP_ISK_E10value_typeEPSL_NS1_7vsmem_tEENKUlT_SJ_SK_SL_E_clISE_PsSF_SF_EESI_SY_SJ_SK_SL_EUlSY_E0_NS1_11comp_targetILNS1_3genE10ELNS1_11target_archE1201ELNS1_3gpuE5ELNS1_3repE0EEENS1_38merge_mergepath_config_static_selectorELNS0_4arch9wavefront6targetE0EEEvSK_
	.p2align	8
	.type	_ZN7rocprim17ROCPRIM_400000_NS6detail17trampoline_kernelINS0_14default_configENS1_38merge_sort_block_merge_config_selectorIsNS0_10empty_typeEEEZZNS1_27merge_sort_block_merge_implIS3_N6thrust23THRUST_200600_302600_NS6detail15normal_iteratorINS9_10device_ptrIsEEEEPS5_m11less_div_10IsEEE10hipError_tT0_T1_T2_jT3_P12ihipStream_tbPNSt15iterator_traitsISJ_E10value_typeEPNSP_ISK_E10value_typeEPSL_NS1_7vsmem_tEENKUlT_SJ_SK_SL_E_clISE_PsSF_SF_EESI_SY_SJ_SK_SL_EUlSY_E0_NS1_11comp_targetILNS1_3genE10ELNS1_11target_archE1201ELNS1_3gpuE5ELNS1_3repE0EEENS1_38merge_mergepath_config_static_selectorELNS0_4arch9wavefront6targetE0EEEvSK_,@function
_ZN7rocprim17ROCPRIM_400000_NS6detail17trampoline_kernelINS0_14default_configENS1_38merge_sort_block_merge_config_selectorIsNS0_10empty_typeEEEZZNS1_27merge_sort_block_merge_implIS3_N6thrust23THRUST_200600_302600_NS6detail15normal_iteratorINS9_10device_ptrIsEEEEPS5_m11less_div_10IsEEE10hipError_tT0_T1_T2_jT3_P12ihipStream_tbPNSt15iterator_traitsISJ_E10value_typeEPNSP_ISK_E10value_typeEPSL_NS1_7vsmem_tEENKUlT_SJ_SK_SL_E_clISE_PsSF_SF_EESI_SY_SJ_SK_SL_EUlSY_E0_NS1_11comp_targetILNS1_3genE10ELNS1_11target_archE1201ELNS1_3gpuE5ELNS1_3repE0EEENS1_38merge_mergepath_config_static_selectorELNS0_4arch9wavefront6targetE0EEEvSK_: ; @_ZN7rocprim17ROCPRIM_400000_NS6detail17trampoline_kernelINS0_14default_configENS1_38merge_sort_block_merge_config_selectorIsNS0_10empty_typeEEEZZNS1_27merge_sort_block_merge_implIS3_N6thrust23THRUST_200600_302600_NS6detail15normal_iteratorINS9_10device_ptrIsEEEEPS5_m11less_div_10IsEEE10hipError_tT0_T1_T2_jT3_P12ihipStream_tbPNSt15iterator_traitsISJ_E10value_typeEPNSP_ISK_E10value_typeEPSL_NS1_7vsmem_tEENKUlT_SJ_SK_SL_E_clISE_PsSF_SF_EESI_SY_SJ_SK_SL_EUlSY_E0_NS1_11comp_targetILNS1_3genE10ELNS1_11target_archE1201ELNS1_3gpuE5ELNS1_3repE0EEENS1_38merge_mergepath_config_static_selectorELNS0_4arch9wavefront6targetE0EEEvSK_
; %bb.0:
	.section	.rodata,"a",@progbits
	.p2align	6, 0x0
	.amdhsa_kernel _ZN7rocprim17ROCPRIM_400000_NS6detail17trampoline_kernelINS0_14default_configENS1_38merge_sort_block_merge_config_selectorIsNS0_10empty_typeEEEZZNS1_27merge_sort_block_merge_implIS3_N6thrust23THRUST_200600_302600_NS6detail15normal_iteratorINS9_10device_ptrIsEEEEPS5_m11less_div_10IsEEE10hipError_tT0_T1_T2_jT3_P12ihipStream_tbPNSt15iterator_traitsISJ_E10value_typeEPNSP_ISK_E10value_typeEPSL_NS1_7vsmem_tEENKUlT_SJ_SK_SL_E_clISE_PsSF_SF_EESI_SY_SJ_SK_SL_EUlSY_E0_NS1_11comp_targetILNS1_3genE10ELNS1_11target_archE1201ELNS1_3gpuE5ELNS1_3repE0EEENS1_38merge_mergepath_config_static_selectorELNS0_4arch9wavefront6targetE0EEEvSK_
		.amdhsa_group_segment_fixed_size 0
		.amdhsa_private_segment_fixed_size 0
		.amdhsa_kernarg_size 72
		.amdhsa_user_sgpr_count 6
		.amdhsa_user_sgpr_private_segment_buffer 1
		.amdhsa_user_sgpr_dispatch_ptr 0
		.amdhsa_user_sgpr_queue_ptr 0
		.amdhsa_user_sgpr_kernarg_segment_ptr 1
		.amdhsa_user_sgpr_dispatch_id 0
		.amdhsa_user_sgpr_flat_scratch_init 0
		.amdhsa_user_sgpr_private_segment_size 0
		.amdhsa_wavefront_size32 1
		.amdhsa_uses_dynamic_stack 0
		.amdhsa_system_sgpr_private_segment_wavefront_offset 0
		.amdhsa_system_sgpr_workgroup_id_x 1
		.amdhsa_system_sgpr_workgroup_id_y 0
		.amdhsa_system_sgpr_workgroup_id_z 0
		.amdhsa_system_sgpr_workgroup_info 0
		.amdhsa_system_vgpr_workitem_id 0
		.amdhsa_next_free_vgpr 1
		.amdhsa_next_free_sgpr 1
		.amdhsa_reserve_vcc 0
		.amdhsa_reserve_flat_scratch 0
		.amdhsa_float_round_mode_32 0
		.amdhsa_float_round_mode_16_64 0
		.amdhsa_float_denorm_mode_32 3
		.amdhsa_float_denorm_mode_16_64 3
		.amdhsa_dx10_clamp 1
		.amdhsa_ieee_mode 1
		.amdhsa_fp16_overflow 0
		.amdhsa_workgroup_processor_mode 1
		.amdhsa_memory_ordered 1
		.amdhsa_forward_progress 1
		.amdhsa_shared_vgpr_count 0
		.amdhsa_exception_fp_ieee_invalid_op 0
		.amdhsa_exception_fp_denorm_src 0
		.amdhsa_exception_fp_ieee_div_zero 0
		.amdhsa_exception_fp_ieee_overflow 0
		.amdhsa_exception_fp_ieee_underflow 0
		.amdhsa_exception_fp_ieee_inexact 0
		.amdhsa_exception_int_div_zero 0
	.end_amdhsa_kernel
	.section	.text._ZN7rocprim17ROCPRIM_400000_NS6detail17trampoline_kernelINS0_14default_configENS1_38merge_sort_block_merge_config_selectorIsNS0_10empty_typeEEEZZNS1_27merge_sort_block_merge_implIS3_N6thrust23THRUST_200600_302600_NS6detail15normal_iteratorINS9_10device_ptrIsEEEEPS5_m11less_div_10IsEEE10hipError_tT0_T1_T2_jT3_P12ihipStream_tbPNSt15iterator_traitsISJ_E10value_typeEPNSP_ISK_E10value_typeEPSL_NS1_7vsmem_tEENKUlT_SJ_SK_SL_E_clISE_PsSF_SF_EESI_SY_SJ_SK_SL_EUlSY_E0_NS1_11comp_targetILNS1_3genE10ELNS1_11target_archE1201ELNS1_3gpuE5ELNS1_3repE0EEENS1_38merge_mergepath_config_static_selectorELNS0_4arch9wavefront6targetE0EEEvSK_,"axG",@progbits,_ZN7rocprim17ROCPRIM_400000_NS6detail17trampoline_kernelINS0_14default_configENS1_38merge_sort_block_merge_config_selectorIsNS0_10empty_typeEEEZZNS1_27merge_sort_block_merge_implIS3_N6thrust23THRUST_200600_302600_NS6detail15normal_iteratorINS9_10device_ptrIsEEEEPS5_m11less_div_10IsEEE10hipError_tT0_T1_T2_jT3_P12ihipStream_tbPNSt15iterator_traitsISJ_E10value_typeEPNSP_ISK_E10value_typeEPSL_NS1_7vsmem_tEENKUlT_SJ_SK_SL_E_clISE_PsSF_SF_EESI_SY_SJ_SK_SL_EUlSY_E0_NS1_11comp_targetILNS1_3genE10ELNS1_11target_archE1201ELNS1_3gpuE5ELNS1_3repE0EEENS1_38merge_mergepath_config_static_selectorELNS0_4arch9wavefront6targetE0EEEvSK_,comdat
.Lfunc_end557:
	.size	_ZN7rocprim17ROCPRIM_400000_NS6detail17trampoline_kernelINS0_14default_configENS1_38merge_sort_block_merge_config_selectorIsNS0_10empty_typeEEEZZNS1_27merge_sort_block_merge_implIS3_N6thrust23THRUST_200600_302600_NS6detail15normal_iteratorINS9_10device_ptrIsEEEEPS5_m11less_div_10IsEEE10hipError_tT0_T1_T2_jT3_P12ihipStream_tbPNSt15iterator_traitsISJ_E10value_typeEPNSP_ISK_E10value_typeEPSL_NS1_7vsmem_tEENKUlT_SJ_SK_SL_E_clISE_PsSF_SF_EESI_SY_SJ_SK_SL_EUlSY_E0_NS1_11comp_targetILNS1_3genE10ELNS1_11target_archE1201ELNS1_3gpuE5ELNS1_3repE0EEENS1_38merge_mergepath_config_static_selectorELNS0_4arch9wavefront6targetE0EEEvSK_, .Lfunc_end557-_ZN7rocprim17ROCPRIM_400000_NS6detail17trampoline_kernelINS0_14default_configENS1_38merge_sort_block_merge_config_selectorIsNS0_10empty_typeEEEZZNS1_27merge_sort_block_merge_implIS3_N6thrust23THRUST_200600_302600_NS6detail15normal_iteratorINS9_10device_ptrIsEEEEPS5_m11less_div_10IsEEE10hipError_tT0_T1_T2_jT3_P12ihipStream_tbPNSt15iterator_traitsISJ_E10value_typeEPNSP_ISK_E10value_typeEPSL_NS1_7vsmem_tEENKUlT_SJ_SK_SL_E_clISE_PsSF_SF_EESI_SY_SJ_SK_SL_EUlSY_E0_NS1_11comp_targetILNS1_3genE10ELNS1_11target_archE1201ELNS1_3gpuE5ELNS1_3repE0EEENS1_38merge_mergepath_config_static_selectorELNS0_4arch9wavefront6targetE0EEEvSK_
                                        ; -- End function
	.set _ZN7rocprim17ROCPRIM_400000_NS6detail17trampoline_kernelINS0_14default_configENS1_38merge_sort_block_merge_config_selectorIsNS0_10empty_typeEEEZZNS1_27merge_sort_block_merge_implIS3_N6thrust23THRUST_200600_302600_NS6detail15normal_iteratorINS9_10device_ptrIsEEEEPS5_m11less_div_10IsEEE10hipError_tT0_T1_T2_jT3_P12ihipStream_tbPNSt15iterator_traitsISJ_E10value_typeEPNSP_ISK_E10value_typeEPSL_NS1_7vsmem_tEENKUlT_SJ_SK_SL_E_clISE_PsSF_SF_EESI_SY_SJ_SK_SL_EUlSY_E0_NS1_11comp_targetILNS1_3genE10ELNS1_11target_archE1201ELNS1_3gpuE5ELNS1_3repE0EEENS1_38merge_mergepath_config_static_selectorELNS0_4arch9wavefront6targetE0EEEvSK_.num_vgpr, 0
	.set _ZN7rocprim17ROCPRIM_400000_NS6detail17trampoline_kernelINS0_14default_configENS1_38merge_sort_block_merge_config_selectorIsNS0_10empty_typeEEEZZNS1_27merge_sort_block_merge_implIS3_N6thrust23THRUST_200600_302600_NS6detail15normal_iteratorINS9_10device_ptrIsEEEEPS5_m11less_div_10IsEEE10hipError_tT0_T1_T2_jT3_P12ihipStream_tbPNSt15iterator_traitsISJ_E10value_typeEPNSP_ISK_E10value_typeEPSL_NS1_7vsmem_tEENKUlT_SJ_SK_SL_E_clISE_PsSF_SF_EESI_SY_SJ_SK_SL_EUlSY_E0_NS1_11comp_targetILNS1_3genE10ELNS1_11target_archE1201ELNS1_3gpuE5ELNS1_3repE0EEENS1_38merge_mergepath_config_static_selectorELNS0_4arch9wavefront6targetE0EEEvSK_.num_agpr, 0
	.set _ZN7rocprim17ROCPRIM_400000_NS6detail17trampoline_kernelINS0_14default_configENS1_38merge_sort_block_merge_config_selectorIsNS0_10empty_typeEEEZZNS1_27merge_sort_block_merge_implIS3_N6thrust23THRUST_200600_302600_NS6detail15normal_iteratorINS9_10device_ptrIsEEEEPS5_m11less_div_10IsEEE10hipError_tT0_T1_T2_jT3_P12ihipStream_tbPNSt15iterator_traitsISJ_E10value_typeEPNSP_ISK_E10value_typeEPSL_NS1_7vsmem_tEENKUlT_SJ_SK_SL_E_clISE_PsSF_SF_EESI_SY_SJ_SK_SL_EUlSY_E0_NS1_11comp_targetILNS1_3genE10ELNS1_11target_archE1201ELNS1_3gpuE5ELNS1_3repE0EEENS1_38merge_mergepath_config_static_selectorELNS0_4arch9wavefront6targetE0EEEvSK_.numbered_sgpr, 0
	.set _ZN7rocprim17ROCPRIM_400000_NS6detail17trampoline_kernelINS0_14default_configENS1_38merge_sort_block_merge_config_selectorIsNS0_10empty_typeEEEZZNS1_27merge_sort_block_merge_implIS3_N6thrust23THRUST_200600_302600_NS6detail15normal_iteratorINS9_10device_ptrIsEEEEPS5_m11less_div_10IsEEE10hipError_tT0_T1_T2_jT3_P12ihipStream_tbPNSt15iterator_traitsISJ_E10value_typeEPNSP_ISK_E10value_typeEPSL_NS1_7vsmem_tEENKUlT_SJ_SK_SL_E_clISE_PsSF_SF_EESI_SY_SJ_SK_SL_EUlSY_E0_NS1_11comp_targetILNS1_3genE10ELNS1_11target_archE1201ELNS1_3gpuE5ELNS1_3repE0EEENS1_38merge_mergepath_config_static_selectorELNS0_4arch9wavefront6targetE0EEEvSK_.num_named_barrier, 0
	.set _ZN7rocprim17ROCPRIM_400000_NS6detail17trampoline_kernelINS0_14default_configENS1_38merge_sort_block_merge_config_selectorIsNS0_10empty_typeEEEZZNS1_27merge_sort_block_merge_implIS3_N6thrust23THRUST_200600_302600_NS6detail15normal_iteratorINS9_10device_ptrIsEEEEPS5_m11less_div_10IsEEE10hipError_tT0_T1_T2_jT3_P12ihipStream_tbPNSt15iterator_traitsISJ_E10value_typeEPNSP_ISK_E10value_typeEPSL_NS1_7vsmem_tEENKUlT_SJ_SK_SL_E_clISE_PsSF_SF_EESI_SY_SJ_SK_SL_EUlSY_E0_NS1_11comp_targetILNS1_3genE10ELNS1_11target_archE1201ELNS1_3gpuE5ELNS1_3repE0EEENS1_38merge_mergepath_config_static_selectorELNS0_4arch9wavefront6targetE0EEEvSK_.private_seg_size, 0
	.set _ZN7rocprim17ROCPRIM_400000_NS6detail17trampoline_kernelINS0_14default_configENS1_38merge_sort_block_merge_config_selectorIsNS0_10empty_typeEEEZZNS1_27merge_sort_block_merge_implIS3_N6thrust23THRUST_200600_302600_NS6detail15normal_iteratorINS9_10device_ptrIsEEEEPS5_m11less_div_10IsEEE10hipError_tT0_T1_T2_jT3_P12ihipStream_tbPNSt15iterator_traitsISJ_E10value_typeEPNSP_ISK_E10value_typeEPSL_NS1_7vsmem_tEENKUlT_SJ_SK_SL_E_clISE_PsSF_SF_EESI_SY_SJ_SK_SL_EUlSY_E0_NS1_11comp_targetILNS1_3genE10ELNS1_11target_archE1201ELNS1_3gpuE5ELNS1_3repE0EEENS1_38merge_mergepath_config_static_selectorELNS0_4arch9wavefront6targetE0EEEvSK_.uses_vcc, 0
	.set _ZN7rocprim17ROCPRIM_400000_NS6detail17trampoline_kernelINS0_14default_configENS1_38merge_sort_block_merge_config_selectorIsNS0_10empty_typeEEEZZNS1_27merge_sort_block_merge_implIS3_N6thrust23THRUST_200600_302600_NS6detail15normal_iteratorINS9_10device_ptrIsEEEEPS5_m11less_div_10IsEEE10hipError_tT0_T1_T2_jT3_P12ihipStream_tbPNSt15iterator_traitsISJ_E10value_typeEPNSP_ISK_E10value_typeEPSL_NS1_7vsmem_tEENKUlT_SJ_SK_SL_E_clISE_PsSF_SF_EESI_SY_SJ_SK_SL_EUlSY_E0_NS1_11comp_targetILNS1_3genE10ELNS1_11target_archE1201ELNS1_3gpuE5ELNS1_3repE0EEENS1_38merge_mergepath_config_static_selectorELNS0_4arch9wavefront6targetE0EEEvSK_.uses_flat_scratch, 0
	.set _ZN7rocprim17ROCPRIM_400000_NS6detail17trampoline_kernelINS0_14default_configENS1_38merge_sort_block_merge_config_selectorIsNS0_10empty_typeEEEZZNS1_27merge_sort_block_merge_implIS3_N6thrust23THRUST_200600_302600_NS6detail15normal_iteratorINS9_10device_ptrIsEEEEPS5_m11less_div_10IsEEE10hipError_tT0_T1_T2_jT3_P12ihipStream_tbPNSt15iterator_traitsISJ_E10value_typeEPNSP_ISK_E10value_typeEPSL_NS1_7vsmem_tEENKUlT_SJ_SK_SL_E_clISE_PsSF_SF_EESI_SY_SJ_SK_SL_EUlSY_E0_NS1_11comp_targetILNS1_3genE10ELNS1_11target_archE1201ELNS1_3gpuE5ELNS1_3repE0EEENS1_38merge_mergepath_config_static_selectorELNS0_4arch9wavefront6targetE0EEEvSK_.has_dyn_sized_stack, 0
	.set _ZN7rocprim17ROCPRIM_400000_NS6detail17trampoline_kernelINS0_14default_configENS1_38merge_sort_block_merge_config_selectorIsNS0_10empty_typeEEEZZNS1_27merge_sort_block_merge_implIS3_N6thrust23THRUST_200600_302600_NS6detail15normal_iteratorINS9_10device_ptrIsEEEEPS5_m11less_div_10IsEEE10hipError_tT0_T1_T2_jT3_P12ihipStream_tbPNSt15iterator_traitsISJ_E10value_typeEPNSP_ISK_E10value_typeEPSL_NS1_7vsmem_tEENKUlT_SJ_SK_SL_E_clISE_PsSF_SF_EESI_SY_SJ_SK_SL_EUlSY_E0_NS1_11comp_targetILNS1_3genE10ELNS1_11target_archE1201ELNS1_3gpuE5ELNS1_3repE0EEENS1_38merge_mergepath_config_static_selectorELNS0_4arch9wavefront6targetE0EEEvSK_.has_recursion, 0
	.set _ZN7rocprim17ROCPRIM_400000_NS6detail17trampoline_kernelINS0_14default_configENS1_38merge_sort_block_merge_config_selectorIsNS0_10empty_typeEEEZZNS1_27merge_sort_block_merge_implIS3_N6thrust23THRUST_200600_302600_NS6detail15normal_iteratorINS9_10device_ptrIsEEEEPS5_m11less_div_10IsEEE10hipError_tT0_T1_T2_jT3_P12ihipStream_tbPNSt15iterator_traitsISJ_E10value_typeEPNSP_ISK_E10value_typeEPSL_NS1_7vsmem_tEENKUlT_SJ_SK_SL_E_clISE_PsSF_SF_EESI_SY_SJ_SK_SL_EUlSY_E0_NS1_11comp_targetILNS1_3genE10ELNS1_11target_archE1201ELNS1_3gpuE5ELNS1_3repE0EEENS1_38merge_mergepath_config_static_selectorELNS0_4arch9wavefront6targetE0EEEvSK_.has_indirect_call, 0
	.section	.AMDGPU.csdata,"",@progbits
; Kernel info:
; codeLenInByte = 0
; TotalNumSgprs: 0
; NumVgprs: 0
; ScratchSize: 0
; MemoryBound: 0
; FloatMode: 240
; IeeeMode: 1
; LDSByteSize: 0 bytes/workgroup (compile time only)
; SGPRBlocks: 0
; VGPRBlocks: 0
; NumSGPRsForWavesPerEU: 1
; NumVGPRsForWavesPerEU: 1
; Occupancy: 16
; WaveLimiterHint : 0
; COMPUTE_PGM_RSRC2:SCRATCH_EN: 0
; COMPUTE_PGM_RSRC2:USER_SGPR: 6
; COMPUTE_PGM_RSRC2:TRAP_HANDLER: 0
; COMPUTE_PGM_RSRC2:TGID_X_EN: 1
; COMPUTE_PGM_RSRC2:TGID_Y_EN: 0
; COMPUTE_PGM_RSRC2:TGID_Z_EN: 0
; COMPUTE_PGM_RSRC2:TIDIG_COMP_CNT: 0
	.section	.text._ZN7rocprim17ROCPRIM_400000_NS6detail17trampoline_kernelINS0_14default_configENS1_38merge_sort_block_merge_config_selectorIsNS0_10empty_typeEEEZZNS1_27merge_sort_block_merge_implIS3_N6thrust23THRUST_200600_302600_NS6detail15normal_iteratorINS9_10device_ptrIsEEEEPS5_m11less_div_10IsEEE10hipError_tT0_T1_T2_jT3_P12ihipStream_tbPNSt15iterator_traitsISJ_E10value_typeEPNSP_ISK_E10value_typeEPSL_NS1_7vsmem_tEENKUlT_SJ_SK_SL_E_clISE_PsSF_SF_EESI_SY_SJ_SK_SL_EUlSY_E0_NS1_11comp_targetILNS1_3genE5ELNS1_11target_archE942ELNS1_3gpuE9ELNS1_3repE0EEENS1_38merge_mergepath_config_static_selectorELNS0_4arch9wavefront6targetE0EEEvSK_,"axG",@progbits,_ZN7rocprim17ROCPRIM_400000_NS6detail17trampoline_kernelINS0_14default_configENS1_38merge_sort_block_merge_config_selectorIsNS0_10empty_typeEEEZZNS1_27merge_sort_block_merge_implIS3_N6thrust23THRUST_200600_302600_NS6detail15normal_iteratorINS9_10device_ptrIsEEEEPS5_m11less_div_10IsEEE10hipError_tT0_T1_T2_jT3_P12ihipStream_tbPNSt15iterator_traitsISJ_E10value_typeEPNSP_ISK_E10value_typeEPSL_NS1_7vsmem_tEENKUlT_SJ_SK_SL_E_clISE_PsSF_SF_EESI_SY_SJ_SK_SL_EUlSY_E0_NS1_11comp_targetILNS1_3genE5ELNS1_11target_archE942ELNS1_3gpuE9ELNS1_3repE0EEENS1_38merge_mergepath_config_static_selectorELNS0_4arch9wavefront6targetE0EEEvSK_,comdat
	.protected	_ZN7rocprim17ROCPRIM_400000_NS6detail17trampoline_kernelINS0_14default_configENS1_38merge_sort_block_merge_config_selectorIsNS0_10empty_typeEEEZZNS1_27merge_sort_block_merge_implIS3_N6thrust23THRUST_200600_302600_NS6detail15normal_iteratorINS9_10device_ptrIsEEEEPS5_m11less_div_10IsEEE10hipError_tT0_T1_T2_jT3_P12ihipStream_tbPNSt15iterator_traitsISJ_E10value_typeEPNSP_ISK_E10value_typeEPSL_NS1_7vsmem_tEENKUlT_SJ_SK_SL_E_clISE_PsSF_SF_EESI_SY_SJ_SK_SL_EUlSY_E0_NS1_11comp_targetILNS1_3genE5ELNS1_11target_archE942ELNS1_3gpuE9ELNS1_3repE0EEENS1_38merge_mergepath_config_static_selectorELNS0_4arch9wavefront6targetE0EEEvSK_ ; -- Begin function _ZN7rocprim17ROCPRIM_400000_NS6detail17trampoline_kernelINS0_14default_configENS1_38merge_sort_block_merge_config_selectorIsNS0_10empty_typeEEEZZNS1_27merge_sort_block_merge_implIS3_N6thrust23THRUST_200600_302600_NS6detail15normal_iteratorINS9_10device_ptrIsEEEEPS5_m11less_div_10IsEEE10hipError_tT0_T1_T2_jT3_P12ihipStream_tbPNSt15iterator_traitsISJ_E10value_typeEPNSP_ISK_E10value_typeEPSL_NS1_7vsmem_tEENKUlT_SJ_SK_SL_E_clISE_PsSF_SF_EESI_SY_SJ_SK_SL_EUlSY_E0_NS1_11comp_targetILNS1_3genE5ELNS1_11target_archE942ELNS1_3gpuE9ELNS1_3repE0EEENS1_38merge_mergepath_config_static_selectorELNS0_4arch9wavefront6targetE0EEEvSK_
	.globl	_ZN7rocprim17ROCPRIM_400000_NS6detail17trampoline_kernelINS0_14default_configENS1_38merge_sort_block_merge_config_selectorIsNS0_10empty_typeEEEZZNS1_27merge_sort_block_merge_implIS3_N6thrust23THRUST_200600_302600_NS6detail15normal_iteratorINS9_10device_ptrIsEEEEPS5_m11less_div_10IsEEE10hipError_tT0_T1_T2_jT3_P12ihipStream_tbPNSt15iterator_traitsISJ_E10value_typeEPNSP_ISK_E10value_typeEPSL_NS1_7vsmem_tEENKUlT_SJ_SK_SL_E_clISE_PsSF_SF_EESI_SY_SJ_SK_SL_EUlSY_E0_NS1_11comp_targetILNS1_3genE5ELNS1_11target_archE942ELNS1_3gpuE9ELNS1_3repE0EEENS1_38merge_mergepath_config_static_selectorELNS0_4arch9wavefront6targetE0EEEvSK_
	.p2align	8
	.type	_ZN7rocprim17ROCPRIM_400000_NS6detail17trampoline_kernelINS0_14default_configENS1_38merge_sort_block_merge_config_selectorIsNS0_10empty_typeEEEZZNS1_27merge_sort_block_merge_implIS3_N6thrust23THRUST_200600_302600_NS6detail15normal_iteratorINS9_10device_ptrIsEEEEPS5_m11less_div_10IsEEE10hipError_tT0_T1_T2_jT3_P12ihipStream_tbPNSt15iterator_traitsISJ_E10value_typeEPNSP_ISK_E10value_typeEPSL_NS1_7vsmem_tEENKUlT_SJ_SK_SL_E_clISE_PsSF_SF_EESI_SY_SJ_SK_SL_EUlSY_E0_NS1_11comp_targetILNS1_3genE5ELNS1_11target_archE942ELNS1_3gpuE9ELNS1_3repE0EEENS1_38merge_mergepath_config_static_selectorELNS0_4arch9wavefront6targetE0EEEvSK_,@function
_ZN7rocprim17ROCPRIM_400000_NS6detail17trampoline_kernelINS0_14default_configENS1_38merge_sort_block_merge_config_selectorIsNS0_10empty_typeEEEZZNS1_27merge_sort_block_merge_implIS3_N6thrust23THRUST_200600_302600_NS6detail15normal_iteratorINS9_10device_ptrIsEEEEPS5_m11less_div_10IsEEE10hipError_tT0_T1_T2_jT3_P12ihipStream_tbPNSt15iterator_traitsISJ_E10value_typeEPNSP_ISK_E10value_typeEPSL_NS1_7vsmem_tEENKUlT_SJ_SK_SL_E_clISE_PsSF_SF_EESI_SY_SJ_SK_SL_EUlSY_E0_NS1_11comp_targetILNS1_3genE5ELNS1_11target_archE942ELNS1_3gpuE9ELNS1_3repE0EEENS1_38merge_mergepath_config_static_selectorELNS0_4arch9wavefront6targetE0EEEvSK_: ; @_ZN7rocprim17ROCPRIM_400000_NS6detail17trampoline_kernelINS0_14default_configENS1_38merge_sort_block_merge_config_selectorIsNS0_10empty_typeEEEZZNS1_27merge_sort_block_merge_implIS3_N6thrust23THRUST_200600_302600_NS6detail15normal_iteratorINS9_10device_ptrIsEEEEPS5_m11less_div_10IsEEE10hipError_tT0_T1_T2_jT3_P12ihipStream_tbPNSt15iterator_traitsISJ_E10value_typeEPNSP_ISK_E10value_typeEPSL_NS1_7vsmem_tEENKUlT_SJ_SK_SL_E_clISE_PsSF_SF_EESI_SY_SJ_SK_SL_EUlSY_E0_NS1_11comp_targetILNS1_3genE5ELNS1_11target_archE942ELNS1_3gpuE9ELNS1_3repE0EEENS1_38merge_mergepath_config_static_selectorELNS0_4arch9wavefront6targetE0EEEvSK_
; %bb.0:
	.section	.rodata,"a",@progbits
	.p2align	6, 0x0
	.amdhsa_kernel _ZN7rocprim17ROCPRIM_400000_NS6detail17trampoline_kernelINS0_14default_configENS1_38merge_sort_block_merge_config_selectorIsNS0_10empty_typeEEEZZNS1_27merge_sort_block_merge_implIS3_N6thrust23THRUST_200600_302600_NS6detail15normal_iteratorINS9_10device_ptrIsEEEEPS5_m11less_div_10IsEEE10hipError_tT0_T1_T2_jT3_P12ihipStream_tbPNSt15iterator_traitsISJ_E10value_typeEPNSP_ISK_E10value_typeEPSL_NS1_7vsmem_tEENKUlT_SJ_SK_SL_E_clISE_PsSF_SF_EESI_SY_SJ_SK_SL_EUlSY_E0_NS1_11comp_targetILNS1_3genE5ELNS1_11target_archE942ELNS1_3gpuE9ELNS1_3repE0EEENS1_38merge_mergepath_config_static_selectorELNS0_4arch9wavefront6targetE0EEEvSK_
		.amdhsa_group_segment_fixed_size 0
		.amdhsa_private_segment_fixed_size 0
		.amdhsa_kernarg_size 72
		.amdhsa_user_sgpr_count 6
		.amdhsa_user_sgpr_private_segment_buffer 1
		.amdhsa_user_sgpr_dispatch_ptr 0
		.amdhsa_user_sgpr_queue_ptr 0
		.amdhsa_user_sgpr_kernarg_segment_ptr 1
		.amdhsa_user_sgpr_dispatch_id 0
		.amdhsa_user_sgpr_flat_scratch_init 0
		.amdhsa_user_sgpr_private_segment_size 0
		.amdhsa_wavefront_size32 1
		.amdhsa_uses_dynamic_stack 0
		.amdhsa_system_sgpr_private_segment_wavefront_offset 0
		.amdhsa_system_sgpr_workgroup_id_x 1
		.amdhsa_system_sgpr_workgroup_id_y 0
		.amdhsa_system_sgpr_workgroup_id_z 0
		.amdhsa_system_sgpr_workgroup_info 0
		.amdhsa_system_vgpr_workitem_id 0
		.amdhsa_next_free_vgpr 1
		.amdhsa_next_free_sgpr 1
		.amdhsa_reserve_vcc 0
		.amdhsa_reserve_flat_scratch 0
		.amdhsa_float_round_mode_32 0
		.amdhsa_float_round_mode_16_64 0
		.amdhsa_float_denorm_mode_32 3
		.amdhsa_float_denorm_mode_16_64 3
		.amdhsa_dx10_clamp 1
		.amdhsa_ieee_mode 1
		.amdhsa_fp16_overflow 0
		.amdhsa_workgroup_processor_mode 1
		.amdhsa_memory_ordered 1
		.amdhsa_forward_progress 1
		.amdhsa_shared_vgpr_count 0
		.amdhsa_exception_fp_ieee_invalid_op 0
		.amdhsa_exception_fp_denorm_src 0
		.amdhsa_exception_fp_ieee_div_zero 0
		.amdhsa_exception_fp_ieee_overflow 0
		.amdhsa_exception_fp_ieee_underflow 0
		.amdhsa_exception_fp_ieee_inexact 0
		.amdhsa_exception_int_div_zero 0
	.end_amdhsa_kernel
	.section	.text._ZN7rocprim17ROCPRIM_400000_NS6detail17trampoline_kernelINS0_14default_configENS1_38merge_sort_block_merge_config_selectorIsNS0_10empty_typeEEEZZNS1_27merge_sort_block_merge_implIS3_N6thrust23THRUST_200600_302600_NS6detail15normal_iteratorINS9_10device_ptrIsEEEEPS5_m11less_div_10IsEEE10hipError_tT0_T1_T2_jT3_P12ihipStream_tbPNSt15iterator_traitsISJ_E10value_typeEPNSP_ISK_E10value_typeEPSL_NS1_7vsmem_tEENKUlT_SJ_SK_SL_E_clISE_PsSF_SF_EESI_SY_SJ_SK_SL_EUlSY_E0_NS1_11comp_targetILNS1_3genE5ELNS1_11target_archE942ELNS1_3gpuE9ELNS1_3repE0EEENS1_38merge_mergepath_config_static_selectorELNS0_4arch9wavefront6targetE0EEEvSK_,"axG",@progbits,_ZN7rocprim17ROCPRIM_400000_NS6detail17trampoline_kernelINS0_14default_configENS1_38merge_sort_block_merge_config_selectorIsNS0_10empty_typeEEEZZNS1_27merge_sort_block_merge_implIS3_N6thrust23THRUST_200600_302600_NS6detail15normal_iteratorINS9_10device_ptrIsEEEEPS5_m11less_div_10IsEEE10hipError_tT0_T1_T2_jT3_P12ihipStream_tbPNSt15iterator_traitsISJ_E10value_typeEPNSP_ISK_E10value_typeEPSL_NS1_7vsmem_tEENKUlT_SJ_SK_SL_E_clISE_PsSF_SF_EESI_SY_SJ_SK_SL_EUlSY_E0_NS1_11comp_targetILNS1_3genE5ELNS1_11target_archE942ELNS1_3gpuE9ELNS1_3repE0EEENS1_38merge_mergepath_config_static_selectorELNS0_4arch9wavefront6targetE0EEEvSK_,comdat
.Lfunc_end558:
	.size	_ZN7rocprim17ROCPRIM_400000_NS6detail17trampoline_kernelINS0_14default_configENS1_38merge_sort_block_merge_config_selectorIsNS0_10empty_typeEEEZZNS1_27merge_sort_block_merge_implIS3_N6thrust23THRUST_200600_302600_NS6detail15normal_iteratorINS9_10device_ptrIsEEEEPS5_m11less_div_10IsEEE10hipError_tT0_T1_T2_jT3_P12ihipStream_tbPNSt15iterator_traitsISJ_E10value_typeEPNSP_ISK_E10value_typeEPSL_NS1_7vsmem_tEENKUlT_SJ_SK_SL_E_clISE_PsSF_SF_EESI_SY_SJ_SK_SL_EUlSY_E0_NS1_11comp_targetILNS1_3genE5ELNS1_11target_archE942ELNS1_3gpuE9ELNS1_3repE0EEENS1_38merge_mergepath_config_static_selectorELNS0_4arch9wavefront6targetE0EEEvSK_, .Lfunc_end558-_ZN7rocprim17ROCPRIM_400000_NS6detail17trampoline_kernelINS0_14default_configENS1_38merge_sort_block_merge_config_selectorIsNS0_10empty_typeEEEZZNS1_27merge_sort_block_merge_implIS3_N6thrust23THRUST_200600_302600_NS6detail15normal_iteratorINS9_10device_ptrIsEEEEPS5_m11less_div_10IsEEE10hipError_tT0_T1_T2_jT3_P12ihipStream_tbPNSt15iterator_traitsISJ_E10value_typeEPNSP_ISK_E10value_typeEPSL_NS1_7vsmem_tEENKUlT_SJ_SK_SL_E_clISE_PsSF_SF_EESI_SY_SJ_SK_SL_EUlSY_E0_NS1_11comp_targetILNS1_3genE5ELNS1_11target_archE942ELNS1_3gpuE9ELNS1_3repE0EEENS1_38merge_mergepath_config_static_selectorELNS0_4arch9wavefront6targetE0EEEvSK_
                                        ; -- End function
	.set _ZN7rocprim17ROCPRIM_400000_NS6detail17trampoline_kernelINS0_14default_configENS1_38merge_sort_block_merge_config_selectorIsNS0_10empty_typeEEEZZNS1_27merge_sort_block_merge_implIS3_N6thrust23THRUST_200600_302600_NS6detail15normal_iteratorINS9_10device_ptrIsEEEEPS5_m11less_div_10IsEEE10hipError_tT0_T1_T2_jT3_P12ihipStream_tbPNSt15iterator_traitsISJ_E10value_typeEPNSP_ISK_E10value_typeEPSL_NS1_7vsmem_tEENKUlT_SJ_SK_SL_E_clISE_PsSF_SF_EESI_SY_SJ_SK_SL_EUlSY_E0_NS1_11comp_targetILNS1_3genE5ELNS1_11target_archE942ELNS1_3gpuE9ELNS1_3repE0EEENS1_38merge_mergepath_config_static_selectorELNS0_4arch9wavefront6targetE0EEEvSK_.num_vgpr, 0
	.set _ZN7rocprim17ROCPRIM_400000_NS6detail17trampoline_kernelINS0_14default_configENS1_38merge_sort_block_merge_config_selectorIsNS0_10empty_typeEEEZZNS1_27merge_sort_block_merge_implIS3_N6thrust23THRUST_200600_302600_NS6detail15normal_iteratorINS9_10device_ptrIsEEEEPS5_m11less_div_10IsEEE10hipError_tT0_T1_T2_jT3_P12ihipStream_tbPNSt15iterator_traitsISJ_E10value_typeEPNSP_ISK_E10value_typeEPSL_NS1_7vsmem_tEENKUlT_SJ_SK_SL_E_clISE_PsSF_SF_EESI_SY_SJ_SK_SL_EUlSY_E0_NS1_11comp_targetILNS1_3genE5ELNS1_11target_archE942ELNS1_3gpuE9ELNS1_3repE0EEENS1_38merge_mergepath_config_static_selectorELNS0_4arch9wavefront6targetE0EEEvSK_.num_agpr, 0
	.set _ZN7rocprim17ROCPRIM_400000_NS6detail17trampoline_kernelINS0_14default_configENS1_38merge_sort_block_merge_config_selectorIsNS0_10empty_typeEEEZZNS1_27merge_sort_block_merge_implIS3_N6thrust23THRUST_200600_302600_NS6detail15normal_iteratorINS9_10device_ptrIsEEEEPS5_m11less_div_10IsEEE10hipError_tT0_T1_T2_jT3_P12ihipStream_tbPNSt15iterator_traitsISJ_E10value_typeEPNSP_ISK_E10value_typeEPSL_NS1_7vsmem_tEENKUlT_SJ_SK_SL_E_clISE_PsSF_SF_EESI_SY_SJ_SK_SL_EUlSY_E0_NS1_11comp_targetILNS1_3genE5ELNS1_11target_archE942ELNS1_3gpuE9ELNS1_3repE0EEENS1_38merge_mergepath_config_static_selectorELNS0_4arch9wavefront6targetE0EEEvSK_.numbered_sgpr, 0
	.set _ZN7rocprim17ROCPRIM_400000_NS6detail17trampoline_kernelINS0_14default_configENS1_38merge_sort_block_merge_config_selectorIsNS0_10empty_typeEEEZZNS1_27merge_sort_block_merge_implIS3_N6thrust23THRUST_200600_302600_NS6detail15normal_iteratorINS9_10device_ptrIsEEEEPS5_m11less_div_10IsEEE10hipError_tT0_T1_T2_jT3_P12ihipStream_tbPNSt15iterator_traitsISJ_E10value_typeEPNSP_ISK_E10value_typeEPSL_NS1_7vsmem_tEENKUlT_SJ_SK_SL_E_clISE_PsSF_SF_EESI_SY_SJ_SK_SL_EUlSY_E0_NS1_11comp_targetILNS1_3genE5ELNS1_11target_archE942ELNS1_3gpuE9ELNS1_3repE0EEENS1_38merge_mergepath_config_static_selectorELNS0_4arch9wavefront6targetE0EEEvSK_.num_named_barrier, 0
	.set _ZN7rocprim17ROCPRIM_400000_NS6detail17trampoline_kernelINS0_14default_configENS1_38merge_sort_block_merge_config_selectorIsNS0_10empty_typeEEEZZNS1_27merge_sort_block_merge_implIS3_N6thrust23THRUST_200600_302600_NS6detail15normal_iteratorINS9_10device_ptrIsEEEEPS5_m11less_div_10IsEEE10hipError_tT0_T1_T2_jT3_P12ihipStream_tbPNSt15iterator_traitsISJ_E10value_typeEPNSP_ISK_E10value_typeEPSL_NS1_7vsmem_tEENKUlT_SJ_SK_SL_E_clISE_PsSF_SF_EESI_SY_SJ_SK_SL_EUlSY_E0_NS1_11comp_targetILNS1_3genE5ELNS1_11target_archE942ELNS1_3gpuE9ELNS1_3repE0EEENS1_38merge_mergepath_config_static_selectorELNS0_4arch9wavefront6targetE0EEEvSK_.private_seg_size, 0
	.set _ZN7rocprim17ROCPRIM_400000_NS6detail17trampoline_kernelINS0_14default_configENS1_38merge_sort_block_merge_config_selectorIsNS0_10empty_typeEEEZZNS1_27merge_sort_block_merge_implIS3_N6thrust23THRUST_200600_302600_NS6detail15normal_iteratorINS9_10device_ptrIsEEEEPS5_m11less_div_10IsEEE10hipError_tT0_T1_T2_jT3_P12ihipStream_tbPNSt15iterator_traitsISJ_E10value_typeEPNSP_ISK_E10value_typeEPSL_NS1_7vsmem_tEENKUlT_SJ_SK_SL_E_clISE_PsSF_SF_EESI_SY_SJ_SK_SL_EUlSY_E0_NS1_11comp_targetILNS1_3genE5ELNS1_11target_archE942ELNS1_3gpuE9ELNS1_3repE0EEENS1_38merge_mergepath_config_static_selectorELNS0_4arch9wavefront6targetE0EEEvSK_.uses_vcc, 0
	.set _ZN7rocprim17ROCPRIM_400000_NS6detail17trampoline_kernelINS0_14default_configENS1_38merge_sort_block_merge_config_selectorIsNS0_10empty_typeEEEZZNS1_27merge_sort_block_merge_implIS3_N6thrust23THRUST_200600_302600_NS6detail15normal_iteratorINS9_10device_ptrIsEEEEPS5_m11less_div_10IsEEE10hipError_tT0_T1_T2_jT3_P12ihipStream_tbPNSt15iterator_traitsISJ_E10value_typeEPNSP_ISK_E10value_typeEPSL_NS1_7vsmem_tEENKUlT_SJ_SK_SL_E_clISE_PsSF_SF_EESI_SY_SJ_SK_SL_EUlSY_E0_NS1_11comp_targetILNS1_3genE5ELNS1_11target_archE942ELNS1_3gpuE9ELNS1_3repE0EEENS1_38merge_mergepath_config_static_selectorELNS0_4arch9wavefront6targetE0EEEvSK_.uses_flat_scratch, 0
	.set _ZN7rocprim17ROCPRIM_400000_NS6detail17trampoline_kernelINS0_14default_configENS1_38merge_sort_block_merge_config_selectorIsNS0_10empty_typeEEEZZNS1_27merge_sort_block_merge_implIS3_N6thrust23THRUST_200600_302600_NS6detail15normal_iteratorINS9_10device_ptrIsEEEEPS5_m11less_div_10IsEEE10hipError_tT0_T1_T2_jT3_P12ihipStream_tbPNSt15iterator_traitsISJ_E10value_typeEPNSP_ISK_E10value_typeEPSL_NS1_7vsmem_tEENKUlT_SJ_SK_SL_E_clISE_PsSF_SF_EESI_SY_SJ_SK_SL_EUlSY_E0_NS1_11comp_targetILNS1_3genE5ELNS1_11target_archE942ELNS1_3gpuE9ELNS1_3repE0EEENS1_38merge_mergepath_config_static_selectorELNS0_4arch9wavefront6targetE0EEEvSK_.has_dyn_sized_stack, 0
	.set _ZN7rocprim17ROCPRIM_400000_NS6detail17trampoline_kernelINS0_14default_configENS1_38merge_sort_block_merge_config_selectorIsNS0_10empty_typeEEEZZNS1_27merge_sort_block_merge_implIS3_N6thrust23THRUST_200600_302600_NS6detail15normal_iteratorINS9_10device_ptrIsEEEEPS5_m11less_div_10IsEEE10hipError_tT0_T1_T2_jT3_P12ihipStream_tbPNSt15iterator_traitsISJ_E10value_typeEPNSP_ISK_E10value_typeEPSL_NS1_7vsmem_tEENKUlT_SJ_SK_SL_E_clISE_PsSF_SF_EESI_SY_SJ_SK_SL_EUlSY_E0_NS1_11comp_targetILNS1_3genE5ELNS1_11target_archE942ELNS1_3gpuE9ELNS1_3repE0EEENS1_38merge_mergepath_config_static_selectorELNS0_4arch9wavefront6targetE0EEEvSK_.has_recursion, 0
	.set _ZN7rocprim17ROCPRIM_400000_NS6detail17trampoline_kernelINS0_14default_configENS1_38merge_sort_block_merge_config_selectorIsNS0_10empty_typeEEEZZNS1_27merge_sort_block_merge_implIS3_N6thrust23THRUST_200600_302600_NS6detail15normal_iteratorINS9_10device_ptrIsEEEEPS5_m11less_div_10IsEEE10hipError_tT0_T1_T2_jT3_P12ihipStream_tbPNSt15iterator_traitsISJ_E10value_typeEPNSP_ISK_E10value_typeEPSL_NS1_7vsmem_tEENKUlT_SJ_SK_SL_E_clISE_PsSF_SF_EESI_SY_SJ_SK_SL_EUlSY_E0_NS1_11comp_targetILNS1_3genE5ELNS1_11target_archE942ELNS1_3gpuE9ELNS1_3repE0EEENS1_38merge_mergepath_config_static_selectorELNS0_4arch9wavefront6targetE0EEEvSK_.has_indirect_call, 0
	.section	.AMDGPU.csdata,"",@progbits
; Kernel info:
; codeLenInByte = 0
; TotalNumSgprs: 0
; NumVgprs: 0
; ScratchSize: 0
; MemoryBound: 0
; FloatMode: 240
; IeeeMode: 1
; LDSByteSize: 0 bytes/workgroup (compile time only)
; SGPRBlocks: 0
; VGPRBlocks: 0
; NumSGPRsForWavesPerEU: 1
; NumVGPRsForWavesPerEU: 1
; Occupancy: 16
; WaveLimiterHint : 0
; COMPUTE_PGM_RSRC2:SCRATCH_EN: 0
; COMPUTE_PGM_RSRC2:USER_SGPR: 6
; COMPUTE_PGM_RSRC2:TRAP_HANDLER: 0
; COMPUTE_PGM_RSRC2:TGID_X_EN: 1
; COMPUTE_PGM_RSRC2:TGID_Y_EN: 0
; COMPUTE_PGM_RSRC2:TGID_Z_EN: 0
; COMPUTE_PGM_RSRC2:TIDIG_COMP_CNT: 0
	.section	.text._ZN7rocprim17ROCPRIM_400000_NS6detail17trampoline_kernelINS0_14default_configENS1_38merge_sort_block_merge_config_selectorIsNS0_10empty_typeEEEZZNS1_27merge_sort_block_merge_implIS3_N6thrust23THRUST_200600_302600_NS6detail15normal_iteratorINS9_10device_ptrIsEEEEPS5_m11less_div_10IsEEE10hipError_tT0_T1_T2_jT3_P12ihipStream_tbPNSt15iterator_traitsISJ_E10value_typeEPNSP_ISK_E10value_typeEPSL_NS1_7vsmem_tEENKUlT_SJ_SK_SL_E_clISE_PsSF_SF_EESI_SY_SJ_SK_SL_EUlSY_E0_NS1_11comp_targetILNS1_3genE4ELNS1_11target_archE910ELNS1_3gpuE8ELNS1_3repE0EEENS1_38merge_mergepath_config_static_selectorELNS0_4arch9wavefront6targetE0EEEvSK_,"axG",@progbits,_ZN7rocprim17ROCPRIM_400000_NS6detail17trampoline_kernelINS0_14default_configENS1_38merge_sort_block_merge_config_selectorIsNS0_10empty_typeEEEZZNS1_27merge_sort_block_merge_implIS3_N6thrust23THRUST_200600_302600_NS6detail15normal_iteratorINS9_10device_ptrIsEEEEPS5_m11less_div_10IsEEE10hipError_tT0_T1_T2_jT3_P12ihipStream_tbPNSt15iterator_traitsISJ_E10value_typeEPNSP_ISK_E10value_typeEPSL_NS1_7vsmem_tEENKUlT_SJ_SK_SL_E_clISE_PsSF_SF_EESI_SY_SJ_SK_SL_EUlSY_E0_NS1_11comp_targetILNS1_3genE4ELNS1_11target_archE910ELNS1_3gpuE8ELNS1_3repE0EEENS1_38merge_mergepath_config_static_selectorELNS0_4arch9wavefront6targetE0EEEvSK_,comdat
	.protected	_ZN7rocprim17ROCPRIM_400000_NS6detail17trampoline_kernelINS0_14default_configENS1_38merge_sort_block_merge_config_selectorIsNS0_10empty_typeEEEZZNS1_27merge_sort_block_merge_implIS3_N6thrust23THRUST_200600_302600_NS6detail15normal_iteratorINS9_10device_ptrIsEEEEPS5_m11less_div_10IsEEE10hipError_tT0_T1_T2_jT3_P12ihipStream_tbPNSt15iterator_traitsISJ_E10value_typeEPNSP_ISK_E10value_typeEPSL_NS1_7vsmem_tEENKUlT_SJ_SK_SL_E_clISE_PsSF_SF_EESI_SY_SJ_SK_SL_EUlSY_E0_NS1_11comp_targetILNS1_3genE4ELNS1_11target_archE910ELNS1_3gpuE8ELNS1_3repE0EEENS1_38merge_mergepath_config_static_selectorELNS0_4arch9wavefront6targetE0EEEvSK_ ; -- Begin function _ZN7rocprim17ROCPRIM_400000_NS6detail17trampoline_kernelINS0_14default_configENS1_38merge_sort_block_merge_config_selectorIsNS0_10empty_typeEEEZZNS1_27merge_sort_block_merge_implIS3_N6thrust23THRUST_200600_302600_NS6detail15normal_iteratorINS9_10device_ptrIsEEEEPS5_m11less_div_10IsEEE10hipError_tT0_T1_T2_jT3_P12ihipStream_tbPNSt15iterator_traitsISJ_E10value_typeEPNSP_ISK_E10value_typeEPSL_NS1_7vsmem_tEENKUlT_SJ_SK_SL_E_clISE_PsSF_SF_EESI_SY_SJ_SK_SL_EUlSY_E0_NS1_11comp_targetILNS1_3genE4ELNS1_11target_archE910ELNS1_3gpuE8ELNS1_3repE0EEENS1_38merge_mergepath_config_static_selectorELNS0_4arch9wavefront6targetE0EEEvSK_
	.globl	_ZN7rocprim17ROCPRIM_400000_NS6detail17trampoline_kernelINS0_14default_configENS1_38merge_sort_block_merge_config_selectorIsNS0_10empty_typeEEEZZNS1_27merge_sort_block_merge_implIS3_N6thrust23THRUST_200600_302600_NS6detail15normal_iteratorINS9_10device_ptrIsEEEEPS5_m11less_div_10IsEEE10hipError_tT0_T1_T2_jT3_P12ihipStream_tbPNSt15iterator_traitsISJ_E10value_typeEPNSP_ISK_E10value_typeEPSL_NS1_7vsmem_tEENKUlT_SJ_SK_SL_E_clISE_PsSF_SF_EESI_SY_SJ_SK_SL_EUlSY_E0_NS1_11comp_targetILNS1_3genE4ELNS1_11target_archE910ELNS1_3gpuE8ELNS1_3repE0EEENS1_38merge_mergepath_config_static_selectorELNS0_4arch9wavefront6targetE0EEEvSK_
	.p2align	8
	.type	_ZN7rocprim17ROCPRIM_400000_NS6detail17trampoline_kernelINS0_14default_configENS1_38merge_sort_block_merge_config_selectorIsNS0_10empty_typeEEEZZNS1_27merge_sort_block_merge_implIS3_N6thrust23THRUST_200600_302600_NS6detail15normal_iteratorINS9_10device_ptrIsEEEEPS5_m11less_div_10IsEEE10hipError_tT0_T1_T2_jT3_P12ihipStream_tbPNSt15iterator_traitsISJ_E10value_typeEPNSP_ISK_E10value_typeEPSL_NS1_7vsmem_tEENKUlT_SJ_SK_SL_E_clISE_PsSF_SF_EESI_SY_SJ_SK_SL_EUlSY_E0_NS1_11comp_targetILNS1_3genE4ELNS1_11target_archE910ELNS1_3gpuE8ELNS1_3repE0EEENS1_38merge_mergepath_config_static_selectorELNS0_4arch9wavefront6targetE0EEEvSK_,@function
_ZN7rocprim17ROCPRIM_400000_NS6detail17trampoline_kernelINS0_14default_configENS1_38merge_sort_block_merge_config_selectorIsNS0_10empty_typeEEEZZNS1_27merge_sort_block_merge_implIS3_N6thrust23THRUST_200600_302600_NS6detail15normal_iteratorINS9_10device_ptrIsEEEEPS5_m11less_div_10IsEEE10hipError_tT0_T1_T2_jT3_P12ihipStream_tbPNSt15iterator_traitsISJ_E10value_typeEPNSP_ISK_E10value_typeEPSL_NS1_7vsmem_tEENKUlT_SJ_SK_SL_E_clISE_PsSF_SF_EESI_SY_SJ_SK_SL_EUlSY_E0_NS1_11comp_targetILNS1_3genE4ELNS1_11target_archE910ELNS1_3gpuE8ELNS1_3repE0EEENS1_38merge_mergepath_config_static_selectorELNS0_4arch9wavefront6targetE0EEEvSK_: ; @_ZN7rocprim17ROCPRIM_400000_NS6detail17trampoline_kernelINS0_14default_configENS1_38merge_sort_block_merge_config_selectorIsNS0_10empty_typeEEEZZNS1_27merge_sort_block_merge_implIS3_N6thrust23THRUST_200600_302600_NS6detail15normal_iteratorINS9_10device_ptrIsEEEEPS5_m11less_div_10IsEEE10hipError_tT0_T1_T2_jT3_P12ihipStream_tbPNSt15iterator_traitsISJ_E10value_typeEPNSP_ISK_E10value_typeEPSL_NS1_7vsmem_tEENKUlT_SJ_SK_SL_E_clISE_PsSF_SF_EESI_SY_SJ_SK_SL_EUlSY_E0_NS1_11comp_targetILNS1_3genE4ELNS1_11target_archE910ELNS1_3gpuE8ELNS1_3repE0EEENS1_38merge_mergepath_config_static_selectorELNS0_4arch9wavefront6targetE0EEEvSK_
; %bb.0:
	.section	.rodata,"a",@progbits
	.p2align	6, 0x0
	.amdhsa_kernel _ZN7rocprim17ROCPRIM_400000_NS6detail17trampoline_kernelINS0_14default_configENS1_38merge_sort_block_merge_config_selectorIsNS0_10empty_typeEEEZZNS1_27merge_sort_block_merge_implIS3_N6thrust23THRUST_200600_302600_NS6detail15normal_iteratorINS9_10device_ptrIsEEEEPS5_m11less_div_10IsEEE10hipError_tT0_T1_T2_jT3_P12ihipStream_tbPNSt15iterator_traitsISJ_E10value_typeEPNSP_ISK_E10value_typeEPSL_NS1_7vsmem_tEENKUlT_SJ_SK_SL_E_clISE_PsSF_SF_EESI_SY_SJ_SK_SL_EUlSY_E0_NS1_11comp_targetILNS1_3genE4ELNS1_11target_archE910ELNS1_3gpuE8ELNS1_3repE0EEENS1_38merge_mergepath_config_static_selectorELNS0_4arch9wavefront6targetE0EEEvSK_
		.amdhsa_group_segment_fixed_size 0
		.amdhsa_private_segment_fixed_size 0
		.amdhsa_kernarg_size 72
		.amdhsa_user_sgpr_count 6
		.amdhsa_user_sgpr_private_segment_buffer 1
		.amdhsa_user_sgpr_dispatch_ptr 0
		.amdhsa_user_sgpr_queue_ptr 0
		.amdhsa_user_sgpr_kernarg_segment_ptr 1
		.amdhsa_user_sgpr_dispatch_id 0
		.amdhsa_user_sgpr_flat_scratch_init 0
		.amdhsa_user_sgpr_private_segment_size 0
		.amdhsa_wavefront_size32 1
		.amdhsa_uses_dynamic_stack 0
		.amdhsa_system_sgpr_private_segment_wavefront_offset 0
		.amdhsa_system_sgpr_workgroup_id_x 1
		.amdhsa_system_sgpr_workgroup_id_y 0
		.amdhsa_system_sgpr_workgroup_id_z 0
		.amdhsa_system_sgpr_workgroup_info 0
		.amdhsa_system_vgpr_workitem_id 0
		.amdhsa_next_free_vgpr 1
		.amdhsa_next_free_sgpr 1
		.amdhsa_reserve_vcc 0
		.amdhsa_reserve_flat_scratch 0
		.amdhsa_float_round_mode_32 0
		.amdhsa_float_round_mode_16_64 0
		.amdhsa_float_denorm_mode_32 3
		.amdhsa_float_denorm_mode_16_64 3
		.amdhsa_dx10_clamp 1
		.amdhsa_ieee_mode 1
		.amdhsa_fp16_overflow 0
		.amdhsa_workgroup_processor_mode 1
		.amdhsa_memory_ordered 1
		.amdhsa_forward_progress 1
		.amdhsa_shared_vgpr_count 0
		.amdhsa_exception_fp_ieee_invalid_op 0
		.amdhsa_exception_fp_denorm_src 0
		.amdhsa_exception_fp_ieee_div_zero 0
		.amdhsa_exception_fp_ieee_overflow 0
		.amdhsa_exception_fp_ieee_underflow 0
		.amdhsa_exception_fp_ieee_inexact 0
		.amdhsa_exception_int_div_zero 0
	.end_amdhsa_kernel
	.section	.text._ZN7rocprim17ROCPRIM_400000_NS6detail17trampoline_kernelINS0_14default_configENS1_38merge_sort_block_merge_config_selectorIsNS0_10empty_typeEEEZZNS1_27merge_sort_block_merge_implIS3_N6thrust23THRUST_200600_302600_NS6detail15normal_iteratorINS9_10device_ptrIsEEEEPS5_m11less_div_10IsEEE10hipError_tT0_T1_T2_jT3_P12ihipStream_tbPNSt15iterator_traitsISJ_E10value_typeEPNSP_ISK_E10value_typeEPSL_NS1_7vsmem_tEENKUlT_SJ_SK_SL_E_clISE_PsSF_SF_EESI_SY_SJ_SK_SL_EUlSY_E0_NS1_11comp_targetILNS1_3genE4ELNS1_11target_archE910ELNS1_3gpuE8ELNS1_3repE0EEENS1_38merge_mergepath_config_static_selectorELNS0_4arch9wavefront6targetE0EEEvSK_,"axG",@progbits,_ZN7rocprim17ROCPRIM_400000_NS6detail17trampoline_kernelINS0_14default_configENS1_38merge_sort_block_merge_config_selectorIsNS0_10empty_typeEEEZZNS1_27merge_sort_block_merge_implIS3_N6thrust23THRUST_200600_302600_NS6detail15normal_iteratorINS9_10device_ptrIsEEEEPS5_m11less_div_10IsEEE10hipError_tT0_T1_T2_jT3_P12ihipStream_tbPNSt15iterator_traitsISJ_E10value_typeEPNSP_ISK_E10value_typeEPSL_NS1_7vsmem_tEENKUlT_SJ_SK_SL_E_clISE_PsSF_SF_EESI_SY_SJ_SK_SL_EUlSY_E0_NS1_11comp_targetILNS1_3genE4ELNS1_11target_archE910ELNS1_3gpuE8ELNS1_3repE0EEENS1_38merge_mergepath_config_static_selectorELNS0_4arch9wavefront6targetE0EEEvSK_,comdat
.Lfunc_end559:
	.size	_ZN7rocprim17ROCPRIM_400000_NS6detail17trampoline_kernelINS0_14default_configENS1_38merge_sort_block_merge_config_selectorIsNS0_10empty_typeEEEZZNS1_27merge_sort_block_merge_implIS3_N6thrust23THRUST_200600_302600_NS6detail15normal_iteratorINS9_10device_ptrIsEEEEPS5_m11less_div_10IsEEE10hipError_tT0_T1_T2_jT3_P12ihipStream_tbPNSt15iterator_traitsISJ_E10value_typeEPNSP_ISK_E10value_typeEPSL_NS1_7vsmem_tEENKUlT_SJ_SK_SL_E_clISE_PsSF_SF_EESI_SY_SJ_SK_SL_EUlSY_E0_NS1_11comp_targetILNS1_3genE4ELNS1_11target_archE910ELNS1_3gpuE8ELNS1_3repE0EEENS1_38merge_mergepath_config_static_selectorELNS0_4arch9wavefront6targetE0EEEvSK_, .Lfunc_end559-_ZN7rocprim17ROCPRIM_400000_NS6detail17trampoline_kernelINS0_14default_configENS1_38merge_sort_block_merge_config_selectorIsNS0_10empty_typeEEEZZNS1_27merge_sort_block_merge_implIS3_N6thrust23THRUST_200600_302600_NS6detail15normal_iteratorINS9_10device_ptrIsEEEEPS5_m11less_div_10IsEEE10hipError_tT0_T1_T2_jT3_P12ihipStream_tbPNSt15iterator_traitsISJ_E10value_typeEPNSP_ISK_E10value_typeEPSL_NS1_7vsmem_tEENKUlT_SJ_SK_SL_E_clISE_PsSF_SF_EESI_SY_SJ_SK_SL_EUlSY_E0_NS1_11comp_targetILNS1_3genE4ELNS1_11target_archE910ELNS1_3gpuE8ELNS1_3repE0EEENS1_38merge_mergepath_config_static_selectorELNS0_4arch9wavefront6targetE0EEEvSK_
                                        ; -- End function
	.set _ZN7rocprim17ROCPRIM_400000_NS6detail17trampoline_kernelINS0_14default_configENS1_38merge_sort_block_merge_config_selectorIsNS0_10empty_typeEEEZZNS1_27merge_sort_block_merge_implIS3_N6thrust23THRUST_200600_302600_NS6detail15normal_iteratorINS9_10device_ptrIsEEEEPS5_m11less_div_10IsEEE10hipError_tT0_T1_T2_jT3_P12ihipStream_tbPNSt15iterator_traitsISJ_E10value_typeEPNSP_ISK_E10value_typeEPSL_NS1_7vsmem_tEENKUlT_SJ_SK_SL_E_clISE_PsSF_SF_EESI_SY_SJ_SK_SL_EUlSY_E0_NS1_11comp_targetILNS1_3genE4ELNS1_11target_archE910ELNS1_3gpuE8ELNS1_3repE0EEENS1_38merge_mergepath_config_static_selectorELNS0_4arch9wavefront6targetE0EEEvSK_.num_vgpr, 0
	.set _ZN7rocprim17ROCPRIM_400000_NS6detail17trampoline_kernelINS0_14default_configENS1_38merge_sort_block_merge_config_selectorIsNS0_10empty_typeEEEZZNS1_27merge_sort_block_merge_implIS3_N6thrust23THRUST_200600_302600_NS6detail15normal_iteratorINS9_10device_ptrIsEEEEPS5_m11less_div_10IsEEE10hipError_tT0_T1_T2_jT3_P12ihipStream_tbPNSt15iterator_traitsISJ_E10value_typeEPNSP_ISK_E10value_typeEPSL_NS1_7vsmem_tEENKUlT_SJ_SK_SL_E_clISE_PsSF_SF_EESI_SY_SJ_SK_SL_EUlSY_E0_NS1_11comp_targetILNS1_3genE4ELNS1_11target_archE910ELNS1_3gpuE8ELNS1_3repE0EEENS1_38merge_mergepath_config_static_selectorELNS0_4arch9wavefront6targetE0EEEvSK_.num_agpr, 0
	.set _ZN7rocprim17ROCPRIM_400000_NS6detail17trampoline_kernelINS0_14default_configENS1_38merge_sort_block_merge_config_selectorIsNS0_10empty_typeEEEZZNS1_27merge_sort_block_merge_implIS3_N6thrust23THRUST_200600_302600_NS6detail15normal_iteratorINS9_10device_ptrIsEEEEPS5_m11less_div_10IsEEE10hipError_tT0_T1_T2_jT3_P12ihipStream_tbPNSt15iterator_traitsISJ_E10value_typeEPNSP_ISK_E10value_typeEPSL_NS1_7vsmem_tEENKUlT_SJ_SK_SL_E_clISE_PsSF_SF_EESI_SY_SJ_SK_SL_EUlSY_E0_NS1_11comp_targetILNS1_3genE4ELNS1_11target_archE910ELNS1_3gpuE8ELNS1_3repE0EEENS1_38merge_mergepath_config_static_selectorELNS0_4arch9wavefront6targetE0EEEvSK_.numbered_sgpr, 0
	.set _ZN7rocprim17ROCPRIM_400000_NS6detail17trampoline_kernelINS0_14default_configENS1_38merge_sort_block_merge_config_selectorIsNS0_10empty_typeEEEZZNS1_27merge_sort_block_merge_implIS3_N6thrust23THRUST_200600_302600_NS6detail15normal_iteratorINS9_10device_ptrIsEEEEPS5_m11less_div_10IsEEE10hipError_tT0_T1_T2_jT3_P12ihipStream_tbPNSt15iterator_traitsISJ_E10value_typeEPNSP_ISK_E10value_typeEPSL_NS1_7vsmem_tEENKUlT_SJ_SK_SL_E_clISE_PsSF_SF_EESI_SY_SJ_SK_SL_EUlSY_E0_NS1_11comp_targetILNS1_3genE4ELNS1_11target_archE910ELNS1_3gpuE8ELNS1_3repE0EEENS1_38merge_mergepath_config_static_selectorELNS0_4arch9wavefront6targetE0EEEvSK_.num_named_barrier, 0
	.set _ZN7rocprim17ROCPRIM_400000_NS6detail17trampoline_kernelINS0_14default_configENS1_38merge_sort_block_merge_config_selectorIsNS0_10empty_typeEEEZZNS1_27merge_sort_block_merge_implIS3_N6thrust23THRUST_200600_302600_NS6detail15normal_iteratorINS9_10device_ptrIsEEEEPS5_m11less_div_10IsEEE10hipError_tT0_T1_T2_jT3_P12ihipStream_tbPNSt15iterator_traitsISJ_E10value_typeEPNSP_ISK_E10value_typeEPSL_NS1_7vsmem_tEENKUlT_SJ_SK_SL_E_clISE_PsSF_SF_EESI_SY_SJ_SK_SL_EUlSY_E0_NS1_11comp_targetILNS1_3genE4ELNS1_11target_archE910ELNS1_3gpuE8ELNS1_3repE0EEENS1_38merge_mergepath_config_static_selectorELNS0_4arch9wavefront6targetE0EEEvSK_.private_seg_size, 0
	.set _ZN7rocprim17ROCPRIM_400000_NS6detail17trampoline_kernelINS0_14default_configENS1_38merge_sort_block_merge_config_selectorIsNS0_10empty_typeEEEZZNS1_27merge_sort_block_merge_implIS3_N6thrust23THRUST_200600_302600_NS6detail15normal_iteratorINS9_10device_ptrIsEEEEPS5_m11less_div_10IsEEE10hipError_tT0_T1_T2_jT3_P12ihipStream_tbPNSt15iterator_traitsISJ_E10value_typeEPNSP_ISK_E10value_typeEPSL_NS1_7vsmem_tEENKUlT_SJ_SK_SL_E_clISE_PsSF_SF_EESI_SY_SJ_SK_SL_EUlSY_E0_NS1_11comp_targetILNS1_3genE4ELNS1_11target_archE910ELNS1_3gpuE8ELNS1_3repE0EEENS1_38merge_mergepath_config_static_selectorELNS0_4arch9wavefront6targetE0EEEvSK_.uses_vcc, 0
	.set _ZN7rocprim17ROCPRIM_400000_NS6detail17trampoline_kernelINS0_14default_configENS1_38merge_sort_block_merge_config_selectorIsNS0_10empty_typeEEEZZNS1_27merge_sort_block_merge_implIS3_N6thrust23THRUST_200600_302600_NS6detail15normal_iteratorINS9_10device_ptrIsEEEEPS5_m11less_div_10IsEEE10hipError_tT0_T1_T2_jT3_P12ihipStream_tbPNSt15iterator_traitsISJ_E10value_typeEPNSP_ISK_E10value_typeEPSL_NS1_7vsmem_tEENKUlT_SJ_SK_SL_E_clISE_PsSF_SF_EESI_SY_SJ_SK_SL_EUlSY_E0_NS1_11comp_targetILNS1_3genE4ELNS1_11target_archE910ELNS1_3gpuE8ELNS1_3repE0EEENS1_38merge_mergepath_config_static_selectorELNS0_4arch9wavefront6targetE0EEEvSK_.uses_flat_scratch, 0
	.set _ZN7rocprim17ROCPRIM_400000_NS6detail17trampoline_kernelINS0_14default_configENS1_38merge_sort_block_merge_config_selectorIsNS0_10empty_typeEEEZZNS1_27merge_sort_block_merge_implIS3_N6thrust23THRUST_200600_302600_NS6detail15normal_iteratorINS9_10device_ptrIsEEEEPS5_m11less_div_10IsEEE10hipError_tT0_T1_T2_jT3_P12ihipStream_tbPNSt15iterator_traitsISJ_E10value_typeEPNSP_ISK_E10value_typeEPSL_NS1_7vsmem_tEENKUlT_SJ_SK_SL_E_clISE_PsSF_SF_EESI_SY_SJ_SK_SL_EUlSY_E0_NS1_11comp_targetILNS1_3genE4ELNS1_11target_archE910ELNS1_3gpuE8ELNS1_3repE0EEENS1_38merge_mergepath_config_static_selectorELNS0_4arch9wavefront6targetE0EEEvSK_.has_dyn_sized_stack, 0
	.set _ZN7rocprim17ROCPRIM_400000_NS6detail17trampoline_kernelINS0_14default_configENS1_38merge_sort_block_merge_config_selectorIsNS0_10empty_typeEEEZZNS1_27merge_sort_block_merge_implIS3_N6thrust23THRUST_200600_302600_NS6detail15normal_iteratorINS9_10device_ptrIsEEEEPS5_m11less_div_10IsEEE10hipError_tT0_T1_T2_jT3_P12ihipStream_tbPNSt15iterator_traitsISJ_E10value_typeEPNSP_ISK_E10value_typeEPSL_NS1_7vsmem_tEENKUlT_SJ_SK_SL_E_clISE_PsSF_SF_EESI_SY_SJ_SK_SL_EUlSY_E0_NS1_11comp_targetILNS1_3genE4ELNS1_11target_archE910ELNS1_3gpuE8ELNS1_3repE0EEENS1_38merge_mergepath_config_static_selectorELNS0_4arch9wavefront6targetE0EEEvSK_.has_recursion, 0
	.set _ZN7rocprim17ROCPRIM_400000_NS6detail17trampoline_kernelINS0_14default_configENS1_38merge_sort_block_merge_config_selectorIsNS0_10empty_typeEEEZZNS1_27merge_sort_block_merge_implIS3_N6thrust23THRUST_200600_302600_NS6detail15normal_iteratorINS9_10device_ptrIsEEEEPS5_m11less_div_10IsEEE10hipError_tT0_T1_T2_jT3_P12ihipStream_tbPNSt15iterator_traitsISJ_E10value_typeEPNSP_ISK_E10value_typeEPSL_NS1_7vsmem_tEENKUlT_SJ_SK_SL_E_clISE_PsSF_SF_EESI_SY_SJ_SK_SL_EUlSY_E0_NS1_11comp_targetILNS1_3genE4ELNS1_11target_archE910ELNS1_3gpuE8ELNS1_3repE0EEENS1_38merge_mergepath_config_static_selectorELNS0_4arch9wavefront6targetE0EEEvSK_.has_indirect_call, 0
	.section	.AMDGPU.csdata,"",@progbits
; Kernel info:
; codeLenInByte = 0
; TotalNumSgprs: 0
; NumVgprs: 0
; ScratchSize: 0
; MemoryBound: 0
; FloatMode: 240
; IeeeMode: 1
; LDSByteSize: 0 bytes/workgroup (compile time only)
; SGPRBlocks: 0
; VGPRBlocks: 0
; NumSGPRsForWavesPerEU: 1
; NumVGPRsForWavesPerEU: 1
; Occupancy: 16
; WaveLimiterHint : 0
; COMPUTE_PGM_RSRC2:SCRATCH_EN: 0
; COMPUTE_PGM_RSRC2:USER_SGPR: 6
; COMPUTE_PGM_RSRC2:TRAP_HANDLER: 0
; COMPUTE_PGM_RSRC2:TGID_X_EN: 1
; COMPUTE_PGM_RSRC2:TGID_Y_EN: 0
; COMPUTE_PGM_RSRC2:TGID_Z_EN: 0
; COMPUTE_PGM_RSRC2:TIDIG_COMP_CNT: 0
	.section	.text._ZN7rocprim17ROCPRIM_400000_NS6detail17trampoline_kernelINS0_14default_configENS1_38merge_sort_block_merge_config_selectorIsNS0_10empty_typeEEEZZNS1_27merge_sort_block_merge_implIS3_N6thrust23THRUST_200600_302600_NS6detail15normal_iteratorINS9_10device_ptrIsEEEEPS5_m11less_div_10IsEEE10hipError_tT0_T1_T2_jT3_P12ihipStream_tbPNSt15iterator_traitsISJ_E10value_typeEPNSP_ISK_E10value_typeEPSL_NS1_7vsmem_tEENKUlT_SJ_SK_SL_E_clISE_PsSF_SF_EESI_SY_SJ_SK_SL_EUlSY_E0_NS1_11comp_targetILNS1_3genE3ELNS1_11target_archE908ELNS1_3gpuE7ELNS1_3repE0EEENS1_38merge_mergepath_config_static_selectorELNS0_4arch9wavefront6targetE0EEEvSK_,"axG",@progbits,_ZN7rocprim17ROCPRIM_400000_NS6detail17trampoline_kernelINS0_14default_configENS1_38merge_sort_block_merge_config_selectorIsNS0_10empty_typeEEEZZNS1_27merge_sort_block_merge_implIS3_N6thrust23THRUST_200600_302600_NS6detail15normal_iteratorINS9_10device_ptrIsEEEEPS5_m11less_div_10IsEEE10hipError_tT0_T1_T2_jT3_P12ihipStream_tbPNSt15iterator_traitsISJ_E10value_typeEPNSP_ISK_E10value_typeEPSL_NS1_7vsmem_tEENKUlT_SJ_SK_SL_E_clISE_PsSF_SF_EESI_SY_SJ_SK_SL_EUlSY_E0_NS1_11comp_targetILNS1_3genE3ELNS1_11target_archE908ELNS1_3gpuE7ELNS1_3repE0EEENS1_38merge_mergepath_config_static_selectorELNS0_4arch9wavefront6targetE0EEEvSK_,comdat
	.protected	_ZN7rocprim17ROCPRIM_400000_NS6detail17trampoline_kernelINS0_14default_configENS1_38merge_sort_block_merge_config_selectorIsNS0_10empty_typeEEEZZNS1_27merge_sort_block_merge_implIS3_N6thrust23THRUST_200600_302600_NS6detail15normal_iteratorINS9_10device_ptrIsEEEEPS5_m11less_div_10IsEEE10hipError_tT0_T1_T2_jT3_P12ihipStream_tbPNSt15iterator_traitsISJ_E10value_typeEPNSP_ISK_E10value_typeEPSL_NS1_7vsmem_tEENKUlT_SJ_SK_SL_E_clISE_PsSF_SF_EESI_SY_SJ_SK_SL_EUlSY_E0_NS1_11comp_targetILNS1_3genE3ELNS1_11target_archE908ELNS1_3gpuE7ELNS1_3repE0EEENS1_38merge_mergepath_config_static_selectorELNS0_4arch9wavefront6targetE0EEEvSK_ ; -- Begin function _ZN7rocprim17ROCPRIM_400000_NS6detail17trampoline_kernelINS0_14default_configENS1_38merge_sort_block_merge_config_selectorIsNS0_10empty_typeEEEZZNS1_27merge_sort_block_merge_implIS3_N6thrust23THRUST_200600_302600_NS6detail15normal_iteratorINS9_10device_ptrIsEEEEPS5_m11less_div_10IsEEE10hipError_tT0_T1_T2_jT3_P12ihipStream_tbPNSt15iterator_traitsISJ_E10value_typeEPNSP_ISK_E10value_typeEPSL_NS1_7vsmem_tEENKUlT_SJ_SK_SL_E_clISE_PsSF_SF_EESI_SY_SJ_SK_SL_EUlSY_E0_NS1_11comp_targetILNS1_3genE3ELNS1_11target_archE908ELNS1_3gpuE7ELNS1_3repE0EEENS1_38merge_mergepath_config_static_selectorELNS0_4arch9wavefront6targetE0EEEvSK_
	.globl	_ZN7rocprim17ROCPRIM_400000_NS6detail17trampoline_kernelINS0_14default_configENS1_38merge_sort_block_merge_config_selectorIsNS0_10empty_typeEEEZZNS1_27merge_sort_block_merge_implIS3_N6thrust23THRUST_200600_302600_NS6detail15normal_iteratorINS9_10device_ptrIsEEEEPS5_m11less_div_10IsEEE10hipError_tT0_T1_T2_jT3_P12ihipStream_tbPNSt15iterator_traitsISJ_E10value_typeEPNSP_ISK_E10value_typeEPSL_NS1_7vsmem_tEENKUlT_SJ_SK_SL_E_clISE_PsSF_SF_EESI_SY_SJ_SK_SL_EUlSY_E0_NS1_11comp_targetILNS1_3genE3ELNS1_11target_archE908ELNS1_3gpuE7ELNS1_3repE0EEENS1_38merge_mergepath_config_static_selectorELNS0_4arch9wavefront6targetE0EEEvSK_
	.p2align	8
	.type	_ZN7rocprim17ROCPRIM_400000_NS6detail17trampoline_kernelINS0_14default_configENS1_38merge_sort_block_merge_config_selectorIsNS0_10empty_typeEEEZZNS1_27merge_sort_block_merge_implIS3_N6thrust23THRUST_200600_302600_NS6detail15normal_iteratorINS9_10device_ptrIsEEEEPS5_m11less_div_10IsEEE10hipError_tT0_T1_T2_jT3_P12ihipStream_tbPNSt15iterator_traitsISJ_E10value_typeEPNSP_ISK_E10value_typeEPSL_NS1_7vsmem_tEENKUlT_SJ_SK_SL_E_clISE_PsSF_SF_EESI_SY_SJ_SK_SL_EUlSY_E0_NS1_11comp_targetILNS1_3genE3ELNS1_11target_archE908ELNS1_3gpuE7ELNS1_3repE0EEENS1_38merge_mergepath_config_static_selectorELNS0_4arch9wavefront6targetE0EEEvSK_,@function
_ZN7rocprim17ROCPRIM_400000_NS6detail17trampoline_kernelINS0_14default_configENS1_38merge_sort_block_merge_config_selectorIsNS0_10empty_typeEEEZZNS1_27merge_sort_block_merge_implIS3_N6thrust23THRUST_200600_302600_NS6detail15normal_iteratorINS9_10device_ptrIsEEEEPS5_m11less_div_10IsEEE10hipError_tT0_T1_T2_jT3_P12ihipStream_tbPNSt15iterator_traitsISJ_E10value_typeEPNSP_ISK_E10value_typeEPSL_NS1_7vsmem_tEENKUlT_SJ_SK_SL_E_clISE_PsSF_SF_EESI_SY_SJ_SK_SL_EUlSY_E0_NS1_11comp_targetILNS1_3genE3ELNS1_11target_archE908ELNS1_3gpuE7ELNS1_3repE0EEENS1_38merge_mergepath_config_static_selectorELNS0_4arch9wavefront6targetE0EEEvSK_: ; @_ZN7rocprim17ROCPRIM_400000_NS6detail17trampoline_kernelINS0_14default_configENS1_38merge_sort_block_merge_config_selectorIsNS0_10empty_typeEEEZZNS1_27merge_sort_block_merge_implIS3_N6thrust23THRUST_200600_302600_NS6detail15normal_iteratorINS9_10device_ptrIsEEEEPS5_m11less_div_10IsEEE10hipError_tT0_T1_T2_jT3_P12ihipStream_tbPNSt15iterator_traitsISJ_E10value_typeEPNSP_ISK_E10value_typeEPSL_NS1_7vsmem_tEENKUlT_SJ_SK_SL_E_clISE_PsSF_SF_EESI_SY_SJ_SK_SL_EUlSY_E0_NS1_11comp_targetILNS1_3genE3ELNS1_11target_archE908ELNS1_3gpuE7ELNS1_3repE0EEENS1_38merge_mergepath_config_static_selectorELNS0_4arch9wavefront6targetE0EEEvSK_
; %bb.0:
	.section	.rodata,"a",@progbits
	.p2align	6, 0x0
	.amdhsa_kernel _ZN7rocprim17ROCPRIM_400000_NS6detail17trampoline_kernelINS0_14default_configENS1_38merge_sort_block_merge_config_selectorIsNS0_10empty_typeEEEZZNS1_27merge_sort_block_merge_implIS3_N6thrust23THRUST_200600_302600_NS6detail15normal_iteratorINS9_10device_ptrIsEEEEPS5_m11less_div_10IsEEE10hipError_tT0_T1_T2_jT3_P12ihipStream_tbPNSt15iterator_traitsISJ_E10value_typeEPNSP_ISK_E10value_typeEPSL_NS1_7vsmem_tEENKUlT_SJ_SK_SL_E_clISE_PsSF_SF_EESI_SY_SJ_SK_SL_EUlSY_E0_NS1_11comp_targetILNS1_3genE3ELNS1_11target_archE908ELNS1_3gpuE7ELNS1_3repE0EEENS1_38merge_mergepath_config_static_selectorELNS0_4arch9wavefront6targetE0EEEvSK_
		.amdhsa_group_segment_fixed_size 0
		.amdhsa_private_segment_fixed_size 0
		.amdhsa_kernarg_size 72
		.amdhsa_user_sgpr_count 6
		.amdhsa_user_sgpr_private_segment_buffer 1
		.amdhsa_user_sgpr_dispatch_ptr 0
		.amdhsa_user_sgpr_queue_ptr 0
		.amdhsa_user_sgpr_kernarg_segment_ptr 1
		.amdhsa_user_sgpr_dispatch_id 0
		.amdhsa_user_sgpr_flat_scratch_init 0
		.amdhsa_user_sgpr_private_segment_size 0
		.amdhsa_wavefront_size32 1
		.amdhsa_uses_dynamic_stack 0
		.amdhsa_system_sgpr_private_segment_wavefront_offset 0
		.amdhsa_system_sgpr_workgroup_id_x 1
		.amdhsa_system_sgpr_workgroup_id_y 0
		.amdhsa_system_sgpr_workgroup_id_z 0
		.amdhsa_system_sgpr_workgroup_info 0
		.amdhsa_system_vgpr_workitem_id 0
		.amdhsa_next_free_vgpr 1
		.amdhsa_next_free_sgpr 1
		.amdhsa_reserve_vcc 0
		.amdhsa_reserve_flat_scratch 0
		.amdhsa_float_round_mode_32 0
		.amdhsa_float_round_mode_16_64 0
		.amdhsa_float_denorm_mode_32 3
		.amdhsa_float_denorm_mode_16_64 3
		.amdhsa_dx10_clamp 1
		.amdhsa_ieee_mode 1
		.amdhsa_fp16_overflow 0
		.amdhsa_workgroup_processor_mode 1
		.amdhsa_memory_ordered 1
		.amdhsa_forward_progress 1
		.amdhsa_shared_vgpr_count 0
		.amdhsa_exception_fp_ieee_invalid_op 0
		.amdhsa_exception_fp_denorm_src 0
		.amdhsa_exception_fp_ieee_div_zero 0
		.amdhsa_exception_fp_ieee_overflow 0
		.amdhsa_exception_fp_ieee_underflow 0
		.amdhsa_exception_fp_ieee_inexact 0
		.amdhsa_exception_int_div_zero 0
	.end_amdhsa_kernel
	.section	.text._ZN7rocprim17ROCPRIM_400000_NS6detail17trampoline_kernelINS0_14default_configENS1_38merge_sort_block_merge_config_selectorIsNS0_10empty_typeEEEZZNS1_27merge_sort_block_merge_implIS3_N6thrust23THRUST_200600_302600_NS6detail15normal_iteratorINS9_10device_ptrIsEEEEPS5_m11less_div_10IsEEE10hipError_tT0_T1_T2_jT3_P12ihipStream_tbPNSt15iterator_traitsISJ_E10value_typeEPNSP_ISK_E10value_typeEPSL_NS1_7vsmem_tEENKUlT_SJ_SK_SL_E_clISE_PsSF_SF_EESI_SY_SJ_SK_SL_EUlSY_E0_NS1_11comp_targetILNS1_3genE3ELNS1_11target_archE908ELNS1_3gpuE7ELNS1_3repE0EEENS1_38merge_mergepath_config_static_selectorELNS0_4arch9wavefront6targetE0EEEvSK_,"axG",@progbits,_ZN7rocprim17ROCPRIM_400000_NS6detail17trampoline_kernelINS0_14default_configENS1_38merge_sort_block_merge_config_selectorIsNS0_10empty_typeEEEZZNS1_27merge_sort_block_merge_implIS3_N6thrust23THRUST_200600_302600_NS6detail15normal_iteratorINS9_10device_ptrIsEEEEPS5_m11less_div_10IsEEE10hipError_tT0_T1_T2_jT3_P12ihipStream_tbPNSt15iterator_traitsISJ_E10value_typeEPNSP_ISK_E10value_typeEPSL_NS1_7vsmem_tEENKUlT_SJ_SK_SL_E_clISE_PsSF_SF_EESI_SY_SJ_SK_SL_EUlSY_E0_NS1_11comp_targetILNS1_3genE3ELNS1_11target_archE908ELNS1_3gpuE7ELNS1_3repE0EEENS1_38merge_mergepath_config_static_selectorELNS0_4arch9wavefront6targetE0EEEvSK_,comdat
.Lfunc_end560:
	.size	_ZN7rocprim17ROCPRIM_400000_NS6detail17trampoline_kernelINS0_14default_configENS1_38merge_sort_block_merge_config_selectorIsNS0_10empty_typeEEEZZNS1_27merge_sort_block_merge_implIS3_N6thrust23THRUST_200600_302600_NS6detail15normal_iteratorINS9_10device_ptrIsEEEEPS5_m11less_div_10IsEEE10hipError_tT0_T1_T2_jT3_P12ihipStream_tbPNSt15iterator_traitsISJ_E10value_typeEPNSP_ISK_E10value_typeEPSL_NS1_7vsmem_tEENKUlT_SJ_SK_SL_E_clISE_PsSF_SF_EESI_SY_SJ_SK_SL_EUlSY_E0_NS1_11comp_targetILNS1_3genE3ELNS1_11target_archE908ELNS1_3gpuE7ELNS1_3repE0EEENS1_38merge_mergepath_config_static_selectorELNS0_4arch9wavefront6targetE0EEEvSK_, .Lfunc_end560-_ZN7rocprim17ROCPRIM_400000_NS6detail17trampoline_kernelINS0_14default_configENS1_38merge_sort_block_merge_config_selectorIsNS0_10empty_typeEEEZZNS1_27merge_sort_block_merge_implIS3_N6thrust23THRUST_200600_302600_NS6detail15normal_iteratorINS9_10device_ptrIsEEEEPS5_m11less_div_10IsEEE10hipError_tT0_T1_T2_jT3_P12ihipStream_tbPNSt15iterator_traitsISJ_E10value_typeEPNSP_ISK_E10value_typeEPSL_NS1_7vsmem_tEENKUlT_SJ_SK_SL_E_clISE_PsSF_SF_EESI_SY_SJ_SK_SL_EUlSY_E0_NS1_11comp_targetILNS1_3genE3ELNS1_11target_archE908ELNS1_3gpuE7ELNS1_3repE0EEENS1_38merge_mergepath_config_static_selectorELNS0_4arch9wavefront6targetE0EEEvSK_
                                        ; -- End function
	.set _ZN7rocprim17ROCPRIM_400000_NS6detail17trampoline_kernelINS0_14default_configENS1_38merge_sort_block_merge_config_selectorIsNS0_10empty_typeEEEZZNS1_27merge_sort_block_merge_implIS3_N6thrust23THRUST_200600_302600_NS6detail15normal_iteratorINS9_10device_ptrIsEEEEPS5_m11less_div_10IsEEE10hipError_tT0_T1_T2_jT3_P12ihipStream_tbPNSt15iterator_traitsISJ_E10value_typeEPNSP_ISK_E10value_typeEPSL_NS1_7vsmem_tEENKUlT_SJ_SK_SL_E_clISE_PsSF_SF_EESI_SY_SJ_SK_SL_EUlSY_E0_NS1_11comp_targetILNS1_3genE3ELNS1_11target_archE908ELNS1_3gpuE7ELNS1_3repE0EEENS1_38merge_mergepath_config_static_selectorELNS0_4arch9wavefront6targetE0EEEvSK_.num_vgpr, 0
	.set _ZN7rocprim17ROCPRIM_400000_NS6detail17trampoline_kernelINS0_14default_configENS1_38merge_sort_block_merge_config_selectorIsNS0_10empty_typeEEEZZNS1_27merge_sort_block_merge_implIS3_N6thrust23THRUST_200600_302600_NS6detail15normal_iteratorINS9_10device_ptrIsEEEEPS5_m11less_div_10IsEEE10hipError_tT0_T1_T2_jT3_P12ihipStream_tbPNSt15iterator_traitsISJ_E10value_typeEPNSP_ISK_E10value_typeEPSL_NS1_7vsmem_tEENKUlT_SJ_SK_SL_E_clISE_PsSF_SF_EESI_SY_SJ_SK_SL_EUlSY_E0_NS1_11comp_targetILNS1_3genE3ELNS1_11target_archE908ELNS1_3gpuE7ELNS1_3repE0EEENS1_38merge_mergepath_config_static_selectorELNS0_4arch9wavefront6targetE0EEEvSK_.num_agpr, 0
	.set _ZN7rocprim17ROCPRIM_400000_NS6detail17trampoline_kernelINS0_14default_configENS1_38merge_sort_block_merge_config_selectorIsNS0_10empty_typeEEEZZNS1_27merge_sort_block_merge_implIS3_N6thrust23THRUST_200600_302600_NS6detail15normal_iteratorINS9_10device_ptrIsEEEEPS5_m11less_div_10IsEEE10hipError_tT0_T1_T2_jT3_P12ihipStream_tbPNSt15iterator_traitsISJ_E10value_typeEPNSP_ISK_E10value_typeEPSL_NS1_7vsmem_tEENKUlT_SJ_SK_SL_E_clISE_PsSF_SF_EESI_SY_SJ_SK_SL_EUlSY_E0_NS1_11comp_targetILNS1_3genE3ELNS1_11target_archE908ELNS1_3gpuE7ELNS1_3repE0EEENS1_38merge_mergepath_config_static_selectorELNS0_4arch9wavefront6targetE0EEEvSK_.numbered_sgpr, 0
	.set _ZN7rocprim17ROCPRIM_400000_NS6detail17trampoline_kernelINS0_14default_configENS1_38merge_sort_block_merge_config_selectorIsNS0_10empty_typeEEEZZNS1_27merge_sort_block_merge_implIS3_N6thrust23THRUST_200600_302600_NS6detail15normal_iteratorINS9_10device_ptrIsEEEEPS5_m11less_div_10IsEEE10hipError_tT0_T1_T2_jT3_P12ihipStream_tbPNSt15iterator_traitsISJ_E10value_typeEPNSP_ISK_E10value_typeEPSL_NS1_7vsmem_tEENKUlT_SJ_SK_SL_E_clISE_PsSF_SF_EESI_SY_SJ_SK_SL_EUlSY_E0_NS1_11comp_targetILNS1_3genE3ELNS1_11target_archE908ELNS1_3gpuE7ELNS1_3repE0EEENS1_38merge_mergepath_config_static_selectorELNS0_4arch9wavefront6targetE0EEEvSK_.num_named_barrier, 0
	.set _ZN7rocprim17ROCPRIM_400000_NS6detail17trampoline_kernelINS0_14default_configENS1_38merge_sort_block_merge_config_selectorIsNS0_10empty_typeEEEZZNS1_27merge_sort_block_merge_implIS3_N6thrust23THRUST_200600_302600_NS6detail15normal_iteratorINS9_10device_ptrIsEEEEPS5_m11less_div_10IsEEE10hipError_tT0_T1_T2_jT3_P12ihipStream_tbPNSt15iterator_traitsISJ_E10value_typeEPNSP_ISK_E10value_typeEPSL_NS1_7vsmem_tEENKUlT_SJ_SK_SL_E_clISE_PsSF_SF_EESI_SY_SJ_SK_SL_EUlSY_E0_NS1_11comp_targetILNS1_3genE3ELNS1_11target_archE908ELNS1_3gpuE7ELNS1_3repE0EEENS1_38merge_mergepath_config_static_selectorELNS0_4arch9wavefront6targetE0EEEvSK_.private_seg_size, 0
	.set _ZN7rocprim17ROCPRIM_400000_NS6detail17trampoline_kernelINS0_14default_configENS1_38merge_sort_block_merge_config_selectorIsNS0_10empty_typeEEEZZNS1_27merge_sort_block_merge_implIS3_N6thrust23THRUST_200600_302600_NS6detail15normal_iteratorINS9_10device_ptrIsEEEEPS5_m11less_div_10IsEEE10hipError_tT0_T1_T2_jT3_P12ihipStream_tbPNSt15iterator_traitsISJ_E10value_typeEPNSP_ISK_E10value_typeEPSL_NS1_7vsmem_tEENKUlT_SJ_SK_SL_E_clISE_PsSF_SF_EESI_SY_SJ_SK_SL_EUlSY_E0_NS1_11comp_targetILNS1_3genE3ELNS1_11target_archE908ELNS1_3gpuE7ELNS1_3repE0EEENS1_38merge_mergepath_config_static_selectorELNS0_4arch9wavefront6targetE0EEEvSK_.uses_vcc, 0
	.set _ZN7rocprim17ROCPRIM_400000_NS6detail17trampoline_kernelINS0_14default_configENS1_38merge_sort_block_merge_config_selectorIsNS0_10empty_typeEEEZZNS1_27merge_sort_block_merge_implIS3_N6thrust23THRUST_200600_302600_NS6detail15normal_iteratorINS9_10device_ptrIsEEEEPS5_m11less_div_10IsEEE10hipError_tT0_T1_T2_jT3_P12ihipStream_tbPNSt15iterator_traitsISJ_E10value_typeEPNSP_ISK_E10value_typeEPSL_NS1_7vsmem_tEENKUlT_SJ_SK_SL_E_clISE_PsSF_SF_EESI_SY_SJ_SK_SL_EUlSY_E0_NS1_11comp_targetILNS1_3genE3ELNS1_11target_archE908ELNS1_3gpuE7ELNS1_3repE0EEENS1_38merge_mergepath_config_static_selectorELNS0_4arch9wavefront6targetE0EEEvSK_.uses_flat_scratch, 0
	.set _ZN7rocprim17ROCPRIM_400000_NS6detail17trampoline_kernelINS0_14default_configENS1_38merge_sort_block_merge_config_selectorIsNS0_10empty_typeEEEZZNS1_27merge_sort_block_merge_implIS3_N6thrust23THRUST_200600_302600_NS6detail15normal_iteratorINS9_10device_ptrIsEEEEPS5_m11less_div_10IsEEE10hipError_tT0_T1_T2_jT3_P12ihipStream_tbPNSt15iterator_traitsISJ_E10value_typeEPNSP_ISK_E10value_typeEPSL_NS1_7vsmem_tEENKUlT_SJ_SK_SL_E_clISE_PsSF_SF_EESI_SY_SJ_SK_SL_EUlSY_E0_NS1_11comp_targetILNS1_3genE3ELNS1_11target_archE908ELNS1_3gpuE7ELNS1_3repE0EEENS1_38merge_mergepath_config_static_selectorELNS0_4arch9wavefront6targetE0EEEvSK_.has_dyn_sized_stack, 0
	.set _ZN7rocprim17ROCPRIM_400000_NS6detail17trampoline_kernelINS0_14default_configENS1_38merge_sort_block_merge_config_selectorIsNS0_10empty_typeEEEZZNS1_27merge_sort_block_merge_implIS3_N6thrust23THRUST_200600_302600_NS6detail15normal_iteratorINS9_10device_ptrIsEEEEPS5_m11less_div_10IsEEE10hipError_tT0_T1_T2_jT3_P12ihipStream_tbPNSt15iterator_traitsISJ_E10value_typeEPNSP_ISK_E10value_typeEPSL_NS1_7vsmem_tEENKUlT_SJ_SK_SL_E_clISE_PsSF_SF_EESI_SY_SJ_SK_SL_EUlSY_E0_NS1_11comp_targetILNS1_3genE3ELNS1_11target_archE908ELNS1_3gpuE7ELNS1_3repE0EEENS1_38merge_mergepath_config_static_selectorELNS0_4arch9wavefront6targetE0EEEvSK_.has_recursion, 0
	.set _ZN7rocprim17ROCPRIM_400000_NS6detail17trampoline_kernelINS0_14default_configENS1_38merge_sort_block_merge_config_selectorIsNS0_10empty_typeEEEZZNS1_27merge_sort_block_merge_implIS3_N6thrust23THRUST_200600_302600_NS6detail15normal_iteratorINS9_10device_ptrIsEEEEPS5_m11less_div_10IsEEE10hipError_tT0_T1_T2_jT3_P12ihipStream_tbPNSt15iterator_traitsISJ_E10value_typeEPNSP_ISK_E10value_typeEPSL_NS1_7vsmem_tEENKUlT_SJ_SK_SL_E_clISE_PsSF_SF_EESI_SY_SJ_SK_SL_EUlSY_E0_NS1_11comp_targetILNS1_3genE3ELNS1_11target_archE908ELNS1_3gpuE7ELNS1_3repE0EEENS1_38merge_mergepath_config_static_selectorELNS0_4arch9wavefront6targetE0EEEvSK_.has_indirect_call, 0
	.section	.AMDGPU.csdata,"",@progbits
; Kernel info:
; codeLenInByte = 0
; TotalNumSgprs: 0
; NumVgprs: 0
; ScratchSize: 0
; MemoryBound: 0
; FloatMode: 240
; IeeeMode: 1
; LDSByteSize: 0 bytes/workgroup (compile time only)
; SGPRBlocks: 0
; VGPRBlocks: 0
; NumSGPRsForWavesPerEU: 1
; NumVGPRsForWavesPerEU: 1
; Occupancy: 16
; WaveLimiterHint : 0
; COMPUTE_PGM_RSRC2:SCRATCH_EN: 0
; COMPUTE_PGM_RSRC2:USER_SGPR: 6
; COMPUTE_PGM_RSRC2:TRAP_HANDLER: 0
; COMPUTE_PGM_RSRC2:TGID_X_EN: 1
; COMPUTE_PGM_RSRC2:TGID_Y_EN: 0
; COMPUTE_PGM_RSRC2:TGID_Z_EN: 0
; COMPUTE_PGM_RSRC2:TIDIG_COMP_CNT: 0
	.section	.text._ZN7rocprim17ROCPRIM_400000_NS6detail17trampoline_kernelINS0_14default_configENS1_38merge_sort_block_merge_config_selectorIsNS0_10empty_typeEEEZZNS1_27merge_sort_block_merge_implIS3_N6thrust23THRUST_200600_302600_NS6detail15normal_iteratorINS9_10device_ptrIsEEEEPS5_m11less_div_10IsEEE10hipError_tT0_T1_T2_jT3_P12ihipStream_tbPNSt15iterator_traitsISJ_E10value_typeEPNSP_ISK_E10value_typeEPSL_NS1_7vsmem_tEENKUlT_SJ_SK_SL_E_clISE_PsSF_SF_EESI_SY_SJ_SK_SL_EUlSY_E0_NS1_11comp_targetILNS1_3genE2ELNS1_11target_archE906ELNS1_3gpuE6ELNS1_3repE0EEENS1_38merge_mergepath_config_static_selectorELNS0_4arch9wavefront6targetE0EEEvSK_,"axG",@progbits,_ZN7rocprim17ROCPRIM_400000_NS6detail17trampoline_kernelINS0_14default_configENS1_38merge_sort_block_merge_config_selectorIsNS0_10empty_typeEEEZZNS1_27merge_sort_block_merge_implIS3_N6thrust23THRUST_200600_302600_NS6detail15normal_iteratorINS9_10device_ptrIsEEEEPS5_m11less_div_10IsEEE10hipError_tT0_T1_T2_jT3_P12ihipStream_tbPNSt15iterator_traitsISJ_E10value_typeEPNSP_ISK_E10value_typeEPSL_NS1_7vsmem_tEENKUlT_SJ_SK_SL_E_clISE_PsSF_SF_EESI_SY_SJ_SK_SL_EUlSY_E0_NS1_11comp_targetILNS1_3genE2ELNS1_11target_archE906ELNS1_3gpuE6ELNS1_3repE0EEENS1_38merge_mergepath_config_static_selectorELNS0_4arch9wavefront6targetE0EEEvSK_,comdat
	.protected	_ZN7rocprim17ROCPRIM_400000_NS6detail17trampoline_kernelINS0_14default_configENS1_38merge_sort_block_merge_config_selectorIsNS0_10empty_typeEEEZZNS1_27merge_sort_block_merge_implIS3_N6thrust23THRUST_200600_302600_NS6detail15normal_iteratorINS9_10device_ptrIsEEEEPS5_m11less_div_10IsEEE10hipError_tT0_T1_T2_jT3_P12ihipStream_tbPNSt15iterator_traitsISJ_E10value_typeEPNSP_ISK_E10value_typeEPSL_NS1_7vsmem_tEENKUlT_SJ_SK_SL_E_clISE_PsSF_SF_EESI_SY_SJ_SK_SL_EUlSY_E0_NS1_11comp_targetILNS1_3genE2ELNS1_11target_archE906ELNS1_3gpuE6ELNS1_3repE0EEENS1_38merge_mergepath_config_static_selectorELNS0_4arch9wavefront6targetE0EEEvSK_ ; -- Begin function _ZN7rocprim17ROCPRIM_400000_NS6detail17trampoline_kernelINS0_14default_configENS1_38merge_sort_block_merge_config_selectorIsNS0_10empty_typeEEEZZNS1_27merge_sort_block_merge_implIS3_N6thrust23THRUST_200600_302600_NS6detail15normal_iteratorINS9_10device_ptrIsEEEEPS5_m11less_div_10IsEEE10hipError_tT0_T1_T2_jT3_P12ihipStream_tbPNSt15iterator_traitsISJ_E10value_typeEPNSP_ISK_E10value_typeEPSL_NS1_7vsmem_tEENKUlT_SJ_SK_SL_E_clISE_PsSF_SF_EESI_SY_SJ_SK_SL_EUlSY_E0_NS1_11comp_targetILNS1_3genE2ELNS1_11target_archE906ELNS1_3gpuE6ELNS1_3repE0EEENS1_38merge_mergepath_config_static_selectorELNS0_4arch9wavefront6targetE0EEEvSK_
	.globl	_ZN7rocprim17ROCPRIM_400000_NS6detail17trampoline_kernelINS0_14default_configENS1_38merge_sort_block_merge_config_selectorIsNS0_10empty_typeEEEZZNS1_27merge_sort_block_merge_implIS3_N6thrust23THRUST_200600_302600_NS6detail15normal_iteratorINS9_10device_ptrIsEEEEPS5_m11less_div_10IsEEE10hipError_tT0_T1_T2_jT3_P12ihipStream_tbPNSt15iterator_traitsISJ_E10value_typeEPNSP_ISK_E10value_typeEPSL_NS1_7vsmem_tEENKUlT_SJ_SK_SL_E_clISE_PsSF_SF_EESI_SY_SJ_SK_SL_EUlSY_E0_NS1_11comp_targetILNS1_3genE2ELNS1_11target_archE906ELNS1_3gpuE6ELNS1_3repE0EEENS1_38merge_mergepath_config_static_selectorELNS0_4arch9wavefront6targetE0EEEvSK_
	.p2align	8
	.type	_ZN7rocprim17ROCPRIM_400000_NS6detail17trampoline_kernelINS0_14default_configENS1_38merge_sort_block_merge_config_selectorIsNS0_10empty_typeEEEZZNS1_27merge_sort_block_merge_implIS3_N6thrust23THRUST_200600_302600_NS6detail15normal_iteratorINS9_10device_ptrIsEEEEPS5_m11less_div_10IsEEE10hipError_tT0_T1_T2_jT3_P12ihipStream_tbPNSt15iterator_traitsISJ_E10value_typeEPNSP_ISK_E10value_typeEPSL_NS1_7vsmem_tEENKUlT_SJ_SK_SL_E_clISE_PsSF_SF_EESI_SY_SJ_SK_SL_EUlSY_E0_NS1_11comp_targetILNS1_3genE2ELNS1_11target_archE906ELNS1_3gpuE6ELNS1_3repE0EEENS1_38merge_mergepath_config_static_selectorELNS0_4arch9wavefront6targetE0EEEvSK_,@function
_ZN7rocprim17ROCPRIM_400000_NS6detail17trampoline_kernelINS0_14default_configENS1_38merge_sort_block_merge_config_selectorIsNS0_10empty_typeEEEZZNS1_27merge_sort_block_merge_implIS3_N6thrust23THRUST_200600_302600_NS6detail15normal_iteratorINS9_10device_ptrIsEEEEPS5_m11less_div_10IsEEE10hipError_tT0_T1_T2_jT3_P12ihipStream_tbPNSt15iterator_traitsISJ_E10value_typeEPNSP_ISK_E10value_typeEPSL_NS1_7vsmem_tEENKUlT_SJ_SK_SL_E_clISE_PsSF_SF_EESI_SY_SJ_SK_SL_EUlSY_E0_NS1_11comp_targetILNS1_3genE2ELNS1_11target_archE906ELNS1_3gpuE6ELNS1_3repE0EEENS1_38merge_mergepath_config_static_selectorELNS0_4arch9wavefront6targetE0EEEvSK_: ; @_ZN7rocprim17ROCPRIM_400000_NS6detail17trampoline_kernelINS0_14default_configENS1_38merge_sort_block_merge_config_selectorIsNS0_10empty_typeEEEZZNS1_27merge_sort_block_merge_implIS3_N6thrust23THRUST_200600_302600_NS6detail15normal_iteratorINS9_10device_ptrIsEEEEPS5_m11less_div_10IsEEE10hipError_tT0_T1_T2_jT3_P12ihipStream_tbPNSt15iterator_traitsISJ_E10value_typeEPNSP_ISK_E10value_typeEPSL_NS1_7vsmem_tEENKUlT_SJ_SK_SL_E_clISE_PsSF_SF_EESI_SY_SJ_SK_SL_EUlSY_E0_NS1_11comp_targetILNS1_3genE2ELNS1_11target_archE906ELNS1_3gpuE6ELNS1_3repE0EEENS1_38merge_mergepath_config_static_selectorELNS0_4arch9wavefront6targetE0EEEvSK_
; %bb.0:
	.section	.rodata,"a",@progbits
	.p2align	6, 0x0
	.amdhsa_kernel _ZN7rocprim17ROCPRIM_400000_NS6detail17trampoline_kernelINS0_14default_configENS1_38merge_sort_block_merge_config_selectorIsNS0_10empty_typeEEEZZNS1_27merge_sort_block_merge_implIS3_N6thrust23THRUST_200600_302600_NS6detail15normal_iteratorINS9_10device_ptrIsEEEEPS5_m11less_div_10IsEEE10hipError_tT0_T1_T2_jT3_P12ihipStream_tbPNSt15iterator_traitsISJ_E10value_typeEPNSP_ISK_E10value_typeEPSL_NS1_7vsmem_tEENKUlT_SJ_SK_SL_E_clISE_PsSF_SF_EESI_SY_SJ_SK_SL_EUlSY_E0_NS1_11comp_targetILNS1_3genE2ELNS1_11target_archE906ELNS1_3gpuE6ELNS1_3repE0EEENS1_38merge_mergepath_config_static_selectorELNS0_4arch9wavefront6targetE0EEEvSK_
		.amdhsa_group_segment_fixed_size 0
		.amdhsa_private_segment_fixed_size 0
		.amdhsa_kernarg_size 72
		.amdhsa_user_sgpr_count 6
		.amdhsa_user_sgpr_private_segment_buffer 1
		.amdhsa_user_sgpr_dispatch_ptr 0
		.amdhsa_user_sgpr_queue_ptr 0
		.amdhsa_user_sgpr_kernarg_segment_ptr 1
		.amdhsa_user_sgpr_dispatch_id 0
		.amdhsa_user_sgpr_flat_scratch_init 0
		.amdhsa_user_sgpr_private_segment_size 0
		.amdhsa_wavefront_size32 1
		.amdhsa_uses_dynamic_stack 0
		.amdhsa_system_sgpr_private_segment_wavefront_offset 0
		.amdhsa_system_sgpr_workgroup_id_x 1
		.amdhsa_system_sgpr_workgroup_id_y 0
		.amdhsa_system_sgpr_workgroup_id_z 0
		.amdhsa_system_sgpr_workgroup_info 0
		.amdhsa_system_vgpr_workitem_id 0
		.amdhsa_next_free_vgpr 1
		.amdhsa_next_free_sgpr 1
		.amdhsa_reserve_vcc 0
		.amdhsa_reserve_flat_scratch 0
		.amdhsa_float_round_mode_32 0
		.amdhsa_float_round_mode_16_64 0
		.amdhsa_float_denorm_mode_32 3
		.amdhsa_float_denorm_mode_16_64 3
		.amdhsa_dx10_clamp 1
		.amdhsa_ieee_mode 1
		.amdhsa_fp16_overflow 0
		.amdhsa_workgroup_processor_mode 1
		.amdhsa_memory_ordered 1
		.amdhsa_forward_progress 1
		.amdhsa_shared_vgpr_count 0
		.amdhsa_exception_fp_ieee_invalid_op 0
		.amdhsa_exception_fp_denorm_src 0
		.amdhsa_exception_fp_ieee_div_zero 0
		.amdhsa_exception_fp_ieee_overflow 0
		.amdhsa_exception_fp_ieee_underflow 0
		.amdhsa_exception_fp_ieee_inexact 0
		.amdhsa_exception_int_div_zero 0
	.end_amdhsa_kernel
	.section	.text._ZN7rocprim17ROCPRIM_400000_NS6detail17trampoline_kernelINS0_14default_configENS1_38merge_sort_block_merge_config_selectorIsNS0_10empty_typeEEEZZNS1_27merge_sort_block_merge_implIS3_N6thrust23THRUST_200600_302600_NS6detail15normal_iteratorINS9_10device_ptrIsEEEEPS5_m11less_div_10IsEEE10hipError_tT0_T1_T2_jT3_P12ihipStream_tbPNSt15iterator_traitsISJ_E10value_typeEPNSP_ISK_E10value_typeEPSL_NS1_7vsmem_tEENKUlT_SJ_SK_SL_E_clISE_PsSF_SF_EESI_SY_SJ_SK_SL_EUlSY_E0_NS1_11comp_targetILNS1_3genE2ELNS1_11target_archE906ELNS1_3gpuE6ELNS1_3repE0EEENS1_38merge_mergepath_config_static_selectorELNS0_4arch9wavefront6targetE0EEEvSK_,"axG",@progbits,_ZN7rocprim17ROCPRIM_400000_NS6detail17trampoline_kernelINS0_14default_configENS1_38merge_sort_block_merge_config_selectorIsNS0_10empty_typeEEEZZNS1_27merge_sort_block_merge_implIS3_N6thrust23THRUST_200600_302600_NS6detail15normal_iteratorINS9_10device_ptrIsEEEEPS5_m11less_div_10IsEEE10hipError_tT0_T1_T2_jT3_P12ihipStream_tbPNSt15iterator_traitsISJ_E10value_typeEPNSP_ISK_E10value_typeEPSL_NS1_7vsmem_tEENKUlT_SJ_SK_SL_E_clISE_PsSF_SF_EESI_SY_SJ_SK_SL_EUlSY_E0_NS1_11comp_targetILNS1_3genE2ELNS1_11target_archE906ELNS1_3gpuE6ELNS1_3repE0EEENS1_38merge_mergepath_config_static_selectorELNS0_4arch9wavefront6targetE0EEEvSK_,comdat
.Lfunc_end561:
	.size	_ZN7rocprim17ROCPRIM_400000_NS6detail17trampoline_kernelINS0_14default_configENS1_38merge_sort_block_merge_config_selectorIsNS0_10empty_typeEEEZZNS1_27merge_sort_block_merge_implIS3_N6thrust23THRUST_200600_302600_NS6detail15normal_iteratorINS9_10device_ptrIsEEEEPS5_m11less_div_10IsEEE10hipError_tT0_T1_T2_jT3_P12ihipStream_tbPNSt15iterator_traitsISJ_E10value_typeEPNSP_ISK_E10value_typeEPSL_NS1_7vsmem_tEENKUlT_SJ_SK_SL_E_clISE_PsSF_SF_EESI_SY_SJ_SK_SL_EUlSY_E0_NS1_11comp_targetILNS1_3genE2ELNS1_11target_archE906ELNS1_3gpuE6ELNS1_3repE0EEENS1_38merge_mergepath_config_static_selectorELNS0_4arch9wavefront6targetE0EEEvSK_, .Lfunc_end561-_ZN7rocprim17ROCPRIM_400000_NS6detail17trampoline_kernelINS0_14default_configENS1_38merge_sort_block_merge_config_selectorIsNS0_10empty_typeEEEZZNS1_27merge_sort_block_merge_implIS3_N6thrust23THRUST_200600_302600_NS6detail15normal_iteratorINS9_10device_ptrIsEEEEPS5_m11less_div_10IsEEE10hipError_tT0_T1_T2_jT3_P12ihipStream_tbPNSt15iterator_traitsISJ_E10value_typeEPNSP_ISK_E10value_typeEPSL_NS1_7vsmem_tEENKUlT_SJ_SK_SL_E_clISE_PsSF_SF_EESI_SY_SJ_SK_SL_EUlSY_E0_NS1_11comp_targetILNS1_3genE2ELNS1_11target_archE906ELNS1_3gpuE6ELNS1_3repE0EEENS1_38merge_mergepath_config_static_selectorELNS0_4arch9wavefront6targetE0EEEvSK_
                                        ; -- End function
	.set _ZN7rocprim17ROCPRIM_400000_NS6detail17trampoline_kernelINS0_14default_configENS1_38merge_sort_block_merge_config_selectorIsNS0_10empty_typeEEEZZNS1_27merge_sort_block_merge_implIS3_N6thrust23THRUST_200600_302600_NS6detail15normal_iteratorINS9_10device_ptrIsEEEEPS5_m11less_div_10IsEEE10hipError_tT0_T1_T2_jT3_P12ihipStream_tbPNSt15iterator_traitsISJ_E10value_typeEPNSP_ISK_E10value_typeEPSL_NS1_7vsmem_tEENKUlT_SJ_SK_SL_E_clISE_PsSF_SF_EESI_SY_SJ_SK_SL_EUlSY_E0_NS1_11comp_targetILNS1_3genE2ELNS1_11target_archE906ELNS1_3gpuE6ELNS1_3repE0EEENS1_38merge_mergepath_config_static_selectorELNS0_4arch9wavefront6targetE0EEEvSK_.num_vgpr, 0
	.set _ZN7rocprim17ROCPRIM_400000_NS6detail17trampoline_kernelINS0_14default_configENS1_38merge_sort_block_merge_config_selectorIsNS0_10empty_typeEEEZZNS1_27merge_sort_block_merge_implIS3_N6thrust23THRUST_200600_302600_NS6detail15normal_iteratorINS9_10device_ptrIsEEEEPS5_m11less_div_10IsEEE10hipError_tT0_T1_T2_jT3_P12ihipStream_tbPNSt15iterator_traitsISJ_E10value_typeEPNSP_ISK_E10value_typeEPSL_NS1_7vsmem_tEENKUlT_SJ_SK_SL_E_clISE_PsSF_SF_EESI_SY_SJ_SK_SL_EUlSY_E0_NS1_11comp_targetILNS1_3genE2ELNS1_11target_archE906ELNS1_3gpuE6ELNS1_3repE0EEENS1_38merge_mergepath_config_static_selectorELNS0_4arch9wavefront6targetE0EEEvSK_.num_agpr, 0
	.set _ZN7rocprim17ROCPRIM_400000_NS6detail17trampoline_kernelINS0_14default_configENS1_38merge_sort_block_merge_config_selectorIsNS0_10empty_typeEEEZZNS1_27merge_sort_block_merge_implIS3_N6thrust23THRUST_200600_302600_NS6detail15normal_iteratorINS9_10device_ptrIsEEEEPS5_m11less_div_10IsEEE10hipError_tT0_T1_T2_jT3_P12ihipStream_tbPNSt15iterator_traitsISJ_E10value_typeEPNSP_ISK_E10value_typeEPSL_NS1_7vsmem_tEENKUlT_SJ_SK_SL_E_clISE_PsSF_SF_EESI_SY_SJ_SK_SL_EUlSY_E0_NS1_11comp_targetILNS1_3genE2ELNS1_11target_archE906ELNS1_3gpuE6ELNS1_3repE0EEENS1_38merge_mergepath_config_static_selectorELNS0_4arch9wavefront6targetE0EEEvSK_.numbered_sgpr, 0
	.set _ZN7rocprim17ROCPRIM_400000_NS6detail17trampoline_kernelINS0_14default_configENS1_38merge_sort_block_merge_config_selectorIsNS0_10empty_typeEEEZZNS1_27merge_sort_block_merge_implIS3_N6thrust23THRUST_200600_302600_NS6detail15normal_iteratorINS9_10device_ptrIsEEEEPS5_m11less_div_10IsEEE10hipError_tT0_T1_T2_jT3_P12ihipStream_tbPNSt15iterator_traitsISJ_E10value_typeEPNSP_ISK_E10value_typeEPSL_NS1_7vsmem_tEENKUlT_SJ_SK_SL_E_clISE_PsSF_SF_EESI_SY_SJ_SK_SL_EUlSY_E0_NS1_11comp_targetILNS1_3genE2ELNS1_11target_archE906ELNS1_3gpuE6ELNS1_3repE0EEENS1_38merge_mergepath_config_static_selectorELNS0_4arch9wavefront6targetE0EEEvSK_.num_named_barrier, 0
	.set _ZN7rocprim17ROCPRIM_400000_NS6detail17trampoline_kernelINS0_14default_configENS1_38merge_sort_block_merge_config_selectorIsNS0_10empty_typeEEEZZNS1_27merge_sort_block_merge_implIS3_N6thrust23THRUST_200600_302600_NS6detail15normal_iteratorINS9_10device_ptrIsEEEEPS5_m11less_div_10IsEEE10hipError_tT0_T1_T2_jT3_P12ihipStream_tbPNSt15iterator_traitsISJ_E10value_typeEPNSP_ISK_E10value_typeEPSL_NS1_7vsmem_tEENKUlT_SJ_SK_SL_E_clISE_PsSF_SF_EESI_SY_SJ_SK_SL_EUlSY_E0_NS1_11comp_targetILNS1_3genE2ELNS1_11target_archE906ELNS1_3gpuE6ELNS1_3repE0EEENS1_38merge_mergepath_config_static_selectorELNS0_4arch9wavefront6targetE0EEEvSK_.private_seg_size, 0
	.set _ZN7rocprim17ROCPRIM_400000_NS6detail17trampoline_kernelINS0_14default_configENS1_38merge_sort_block_merge_config_selectorIsNS0_10empty_typeEEEZZNS1_27merge_sort_block_merge_implIS3_N6thrust23THRUST_200600_302600_NS6detail15normal_iteratorINS9_10device_ptrIsEEEEPS5_m11less_div_10IsEEE10hipError_tT0_T1_T2_jT3_P12ihipStream_tbPNSt15iterator_traitsISJ_E10value_typeEPNSP_ISK_E10value_typeEPSL_NS1_7vsmem_tEENKUlT_SJ_SK_SL_E_clISE_PsSF_SF_EESI_SY_SJ_SK_SL_EUlSY_E0_NS1_11comp_targetILNS1_3genE2ELNS1_11target_archE906ELNS1_3gpuE6ELNS1_3repE0EEENS1_38merge_mergepath_config_static_selectorELNS0_4arch9wavefront6targetE0EEEvSK_.uses_vcc, 0
	.set _ZN7rocprim17ROCPRIM_400000_NS6detail17trampoline_kernelINS0_14default_configENS1_38merge_sort_block_merge_config_selectorIsNS0_10empty_typeEEEZZNS1_27merge_sort_block_merge_implIS3_N6thrust23THRUST_200600_302600_NS6detail15normal_iteratorINS9_10device_ptrIsEEEEPS5_m11less_div_10IsEEE10hipError_tT0_T1_T2_jT3_P12ihipStream_tbPNSt15iterator_traitsISJ_E10value_typeEPNSP_ISK_E10value_typeEPSL_NS1_7vsmem_tEENKUlT_SJ_SK_SL_E_clISE_PsSF_SF_EESI_SY_SJ_SK_SL_EUlSY_E0_NS1_11comp_targetILNS1_3genE2ELNS1_11target_archE906ELNS1_3gpuE6ELNS1_3repE0EEENS1_38merge_mergepath_config_static_selectorELNS0_4arch9wavefront6targetE0EEEvSK_.uses_flat_scratch, 0
	.set _ZN7rocprim17ROCPRIM_400000_NS6detail17trampoline_kernelINS0_14default_configENS1_38merge_sort_block_merge_config_selectorIsNS0_10empty_typeEEEZZNS1_27merge_sort_block_merge_implIS3_N6thrust23THRUST_200600_302600_NS6detail15normal_iteratorINS9_10device_ptrIsEEEEPS5_m11less_div_10IsEEE10hipError_tT0_T1_T2_jT3_P12ihipStream_tbPNSt15iterator_traitsISJ_E10value_typeEPNSP_ISK_E10value_typeEPSL_NS1_7vsmem_tEENKUlT_SJ_SK_SL_E_clISE_PsSF_SF_EESI_SY_SJ_SK_SL_EUlSY_E0_NS1_11comp_targetILNS1_3genE2ELNS1_11target_archE906ELNS1_3gpuE6ELNS1_3repE0EEENS1_38merge_mergepath_config_static_selectorELNS0_4arch9wavefront6targetE0EEEvSK_.has_dyn_sized_stack, 0
	.set _ZN7rocprim17ROCPRIM_400000_NS6detail17trampoline_kernelINS0_14default_configENS1_38merge_sort_block_merge_config_selectorIsNS0_10empty_typeEEEZZNS1_27merge_sort_block_merge_implIS3_N6thrust23THRUST_200600_302600_NS6detail15normal_iteratorINS9_10device_ptrIsEEEEPS5_m11less_div_10IsEEE10hipError_tT0_T1_T2_jT3_P12ihipStream_tbPNSt15iterator_traitsISJ_E10value_typeEPNSP_ISK_E10value_typeEPSL_NS1_7vsmem_tEENKUlT_SJ_SK_SL_E_clISE_PsSF_SF_EESI_SY_SJ_SK_SL_EUlSY_E0_NS1_11comp_targetILNS1_3genE2ELNS1_11target_archE906ELNS1_3gpuE6ELNS1_3repE0EEENS1_38merge_mergepath_config_static_selectorELNS0_4arch9wavefront6targetE0EEEvSK_.has_recursion, 0
	.set _ZN7rocprim17ROCPRIM_400000_NS6detail17trampoline_kernelINS0_14default_configENS1_38merge_sort_block_merge_config_selectorIsNS0_10empty_typeEEEZZNS1_27merge_sort_block_merge_implIS3_N6thrust23THRUST_200600_302600_NS6detail15normal_iteratorINS9_10device_ptrIsEEEEPS5_m11less_div_10IsEEE10hipError_tT0_T1_T2_jT3_P12ihipStream_tbPNSt15iterator_traitsISJ_E10value_typeEPNSP_ISK_E10value_typeEPSL_NS1_7vsmem_tEENKUlT_SJ_SK_SL_E_clISE_PsSF_SF_EESI_SY_SJ_SK_SL_EUlSY_E0_NS1_11comp_targetILNS1_3genE2ELNS1_11target_archE906ELNS1_3gpuE6ELNS1_3repE0EEENS1_38merge_mergepath_config_static_selectorELNS0_4arch9wavefront6targetE0EEEvSK_.has_indirect_call, 0
	.section	.AMDGPU.csdata,"",@progbits
; Kernel info:
; codeLenInByte = 0
; TotalNumSgprs: 0
; NumVgprs: 0
; ScratchSize: 0
; MemoryBound: 0
; FloatMode: 240
; IeeeMode: 1
; LDSByteSize: 0 bytes/workgroup (compile time only)
; SGPRBlocks: 0
; VGPRBlocks: 0
; NumSGPRsForWavesPerEU: 1
; NumVGPRsForWavesPerEU: 1
; Occupancy: 16
; WaveLimiterHint : 0
; COMPUTE_PGM_RSRC2:SCRATCH_EN: 0
; COMPUTE_PGM_RSRC2:USER_SGPR: 6
; COMPUTE_PGM_RSRC2:TRAP_HANDLER: 0
; COMPUTE_PGM_RSRC2:TGID_X_EN: 1
; COMPUTE_PGM_RSRC2:TGID_Y_EN: 0
; COMPUTE_PGM_RSRC2:TGID_Z_EN: 0
; COMPUTE_PGM_RSRC2:TIDIG_COMP_CNT: 0
	.section	.text._ZN7rocprim17ROCPRIM_400000_NS6detail17trampoline_kernelINS0_14default_configENS1_38merge_sort_block_merge_config_selectorIsNS0_10empty_typeEEEZZNS1_27merge_sort_block_merge_implIS3_N6thrust23THRUST_200600_302600_NS6detail15normal_iteratorINS9_10device_ptrIsEEEEPS5_m11less_div_10IsEEE10hipError_tT0_T1_T2_jT3_P12ihipStream_tbPNSt15iterator_traitsISJ_E10value_typeEPNSP_ISK_E10value_typeEPSL_NS1_7vsmem_tEENKUlT_SJ_SK_SL_E_clISE_PsSF_SF_EESI_SY_SJ_SK_SL_EUlSY_E0_NS1_11comp_targetILNS1_3genE9ELNS1_11target_archE1100ELNS1_3gpuE3ELNS1_3repE0EEENS1_38merge_mergepath_config_static_selectorELNS0_4arch9wavefront6targetE0EEEvSK_,"axG",@progbits,_ZN7rocprim17ROCPRIM_400000_NS6detail17trampoline_kernelINS0_14default_configENS1_38merge_sort_block_merge_config_selectorIsNS0_10empty_typeEEEZZNS1_27merge_sort_block_merge_implIS3_N6thrust23THRUST_200600_302600_NS6detail15normal_iteratorINS9_10device_ptrIsEEEEPS5_m11less_div_10IsEEE10hipError_tT0_T1_T2_jT3_P12ihipStream_tbPNSt15iterator_traitsISJ_E10value_typeEPNSP_ISK_E10value_typeEPSL_NS1_7vsmem_tEENKUlT_SJ_SK_SL_E_clISE_PsSF_SF_EESI_SY_SJ_SK_SL_EUlSY_E0_NS1_11comp_targetILNS1_3genE9ELNS1_11target_archE1100ELNS1_3gpuE3ELNS1_3repE0EEENS1_38merge_mergepath_config_static_selectorELNS0_4arch9wavefront6targetE0EEEvSK_,comdat
	.protected	_ZN7rocprim17ROCPRIM_400000_NS6detail17trampoline_kernelINS0_14default_configENS1_38merge_sort_block_merge_config_selectorIsNS0_10empty_typeEEEZZNS1_27merge_sort_block_merge_implIS3_N6thrust23THRUST_200600_302600_NS6detail15normal_iteratorINS9_10device_ptrIsEEEEPS5_m11less_div_10IsEEE10hipError_tT0_T1_T2_jT3_P12ihipStream_tbPNSt15iterator_traitsISJ_E10value_typeEPNSP_ISK_E10value_typeEPSL_NS1_7vsmem_tEENKUlT_SJ_SK_SL_E_clISE_PsSF_SF_EESI_SY_SJ_SK_SL_EUlSY_E0_NS1_11comp_targetILNS1_3genE9ELNS1_11target_archE1100ELNS1_3gpuE3ELNS1_3repE0EEENS1_38merge_mergepath_config_static_selectorELNS0_4arch9wavefront6targetE0EEEvSK_ ; -- Begin function _ZN7rocprim17ROCPRIM_400000_NS6detail17trampoline_kernelINS0_14default_configENS1_38merge_sort_block_merge_config_selectorIsNS0_10empty_typeEEEZZNS1_27merge_sort_block_merge_implIS3_N6thrust23THRUST_200600_302600_NS6detail15normal_iteratorINS9_10device_ptrIsEEEEPS5_m11less_div_10IsEEE10hipError_tT0_T1_T2_jT3_P12ihipStream_tbPNSt15iterator_traitsISJ_E10value_typeEPNSP_ISK_E10value_typeEPSL_NS1_7vsmem_tEENKUlT_SJ_SK_SL_E_clISE_PsSF_SF_EESI_SY_SJ_SK_SL_EUlSY_E0_NS1_11comp_targetILNS1_3genE9ELNS1_11target_archE1100ELNS1_3gpuE3ELNS1_3repE0EEENS1_38merge_mergepath_config_static_selectorELNS0_4arch9wavefront6targetE0EEEvSK_
	.globl	_ZN7rocprim17ROCPRIM_400000_NS6detail17trampoline_kernelINS0_14default_configENS1_38merge_sort_block_merge_config_selectorIsNS0_10empty_typeEEEZZNS1_27merge_sort_block_merge_implIS3_N6thrust23THRUST_200600_302600_NS6detail15normal_iteratorINS9_10device_ptrIsEEEEPS5_m11less_div_10IsEEE10hipError_tT0_T1_T2_jT3_P12ihipStream_tbPNSt15iterator_traitsISJ_E10value_typeEPNSP_ISK_E10value_typeEPSL_NS1_7vsmem_tEENKUlT_SJ_SK_SL_E_clISE_PsSF_SF_EESI_SY_SJ_SK_SL_EUlSY_E0_NS1_11comp_targetILNS1_3genE9ELNS1_11target_archE1100ELNS1_3gpuE3ELNS1_3repE0EEENS1_38merge_mergepath_config_static_selectorELNS0_4arch9wavefront6targetE0EEEvSK_
	.p2align	8
	.type	_ZN7rocprim17ROCPRIM_400000_NS6detail17trampoline_kernelINS0_14default_configENS1_38merge_sort_block_merge_config_selectorIsNS0_10empty_typeEEEZZNS1_27merge_sort_block_merge_implIS3_N6thrust23THRUST_200600_302600_NS6detail15normal_iteratorINS9_10device_ptrIsEEEEPS5_m11less_div_10IsEEE10hipError_tT0_T1_T2_jT3_P12ihipStream_tbPNSt15iterator_traitsISJ_E10value_typeEPNSP_ISK_E10value_typeEPSL_NS1_7vsmem_tEENKUlT_SJ_SK_SL_E_clISE_PsSF_SF_EESI_SY_SJ_SK_SL_EUlSY_E0_NS1_11comp_targetILNS1_3genE9ELNS1_11target_archE1100ELNS1_3gpuE3ELNS1_3repE0EEENS1_38merge_mergepath_config_static_selectorELNS0_4arch9wavefront6targetE0EEEvSK_,@function
_ZN7rocprim17ROCPRIM_400000_NS6detail17trampoline_kernelINS0_14default_configENS1_38merge_sort_block_merge_config_selectorIsNS0_10empty_typeEEEZZNS1_27merge_sort_block_merge_implIS3_N6thrust23THRUST_200600_302600_NS6detail15normal_iteratorINS9_10device_ptrIsEEEEPS5_m11less_div_10IsEEE10hipError_tT0_T1_T2_jT3_P12ihipStream_tbPNSt15iterator_traitsISJ_E10value_typeEPNSP_ISK_E10value_typeEPSL_NS1_7vsmem_tEENKUlT_SJ_SK_SL_E_clISE_PsSF_SF_EESI_SY_SJ_SK_SL_EUlSY_E0_NS1_11comp_targetILNS1_3genE9ELNS1_11target_archE1100ELNS1_3gpuE3ELNS1_3repE0EEENS1_38merge_mergepath_config_static_selectorELNS0_4arch9wavefront6targetE0EEEvSK_: ; @_ZN7rocprim17ROCPRIM_400000_NS6detail17trampoline_kernelINS0_14default_configENS1_38merge_sort_block_merge_config_selectorIsNS0_10empty_typeEEEZZNS1_27merge_sort_block_merge_implIS3_N6thrust23THRUST_200600_302600_NS6detail15normal_iteratorINS9_10device_ptrIsEEEEPS5_m11less_div_10IsEEE10hipError_tT0_T1_T2_jT3_P12ihipStream_tbPNSt15iterator_traitsISJ_E10value_typeEPNSP_ISK_E10value_typeEPSL_NS1_7vsmem_tEENKUlT_SJ_SK_SL_E_clISE_PsSF_SF_EESI_SY_SJ_SK_SL_EUlSY_E0_NS1_11comp_targetILNS1_3genE9ELNS1_11target_archE1100ELNS1_3gpuE3ELNS1_3repE0EEENS1_38merge_mergepath_config_static_selectorELNS0_4arch9wavefront6targetE0EEEvSK_
; %bb.0:
	.section	.rodata,"a",@progbits
	.p2align	6, 0x0
	.amdhsa_kernel _ZN7rocprim17ROCPRIM_400000_NS6detail17trampoline_kernelINS0_14default_configENS1_38merge_sort_block_merge_config_selectorIsNS0_10empty_typeEEEZZNS1_27merge_sort_block_merge_implIS3_N6thrust23THRUST_200600_302600_NS6detail15normal_iteratorINS9_10device_ptrIsEEEEPS5_m11less_div_10IsEEE10hipError_tT0_T1_T2_jT3_P12ihipStream_tbPNSt15iterator_traitsISJ_E10value_typeEPNSP_ISK_E10value_typeEPSL_NS1_7vsmem_tEENKUlT_SJ_SK_SL_E_clISE_PsSF_SF_EESI_SY_SJ_SK_SL_EUlSY_E0_NS1_11comp_targetILNS1_3genE9ELNS1_11target_archE1100ELNS1_3gpuE3ELNS1_3repE0EEENS1_38merge_mergepath_config_static_selectorELNS0_4arch9wavefront6targetE0EEEvSK_
		.amdhsa_group_segment_fixed_size 0
		.amdhsa_private_segment_fixed_size 0
		.amdhsa_kernarg_size 72
		.amdhsa_user_sgpr_count 6
		.amdhsa_user_sgpr_private_segment_buffer 1
		.amdhsa_user_sgpr_dispatch_ptr 0
		.amdhsa_user_sgpr_queue_ptr 0
		.amdhsa_user_sgpr_kernarg_segment_ptr 1
		.amdhsa_user_sgpr_dispatch_id 0
		.amdhsa_user_sgpr_flat_scratch_init 0
		.amdhsa_user_sgpr_private_segment_size 0
		.amdhsa_wavefront_size32 1
		.amdhsa_uses_dynamic_stack 0
		.amdhsa_system_sgpr_private_segment_wavefront_offset 0
		.amdhsa_system_sgpr_workgroup_id_x 1
		.amdhsa_system_sgpr_workgroup_id_y 0
		.amdhsa_system_sgpr_workgroup_id_z 0
		.amdhsa_system_sgpr_workgroup_info 0
		.amdhsa_system_vgpr_workitem_id 0
		.amdhsa_next_free_vgpr 1
		.amdhsa_next_free_sgpr 1
		.amdhsa_reserve_vcc 0
		.amdhsa_reserve_flat_scratch 0
		.amdhsa_float_round_mode_32 0
		.amdhsa_float_round_mode_16_64 0
		.amdhsa_float_denorm_mode_32 3
		.amdhsa_float_denorm_mode_16_64 3
		.amdhsa_dx10_clamp 1
		.amdhsa_ieee_mode 1
		.amdhsa_fp16_overflow 0
		.amdhsa_workgroup_processor_mode 1
		.amdhsa_memory_ordered 1
		.amdhsa_forward_progress 1
		.amdhsa_shared_vgpr_count 0
		.amdhsa_exception_fp_ieee_invalid_op 0
		.amdhsa_exception_fp_denorm_src 0
		.amdhsa_exception_fp_ieee_div_zero 0
		.amdhsa_exception_fp_ieee_overflow 0
		.amdhsa_exception_fp_ieee_underflow 0
		.amdhsa_exception_fp_ieee_inexact 0
		.amdhsa_exception_int_div_zero 0
	.end_amdhsa_kernel
	.section	.text._ZN7rocprim17ROCPRIM_400000_NS6detail17trampoline_kernelINS0_14default_configENS1_38merge_sort_block_merge_config_selectorIsNS0_10empty_typeEEEZZNS1_27merge_sort_block_merge_implIS3_N6thrust23THRUST_200600_302600_NS6detail15normal_iteratorINS9_10device_ptrIsEEEEPS5_m11less_div_10IsEEE10hipError_tT0_T1_T2_jT3_P12ihipStream_tbPNSt15iterator_traitsISJ_E10value_typeEPNSP_ISK_E10value_typeEPSL_NS1_7vsmem_tEENKUlT_SJ_SK_SL_E_clISE_PsSF_SF_EESI_SY_SJ_SK_SL_EUlSY_E0_NS1_11comp_targetILNS1_3genE9ELNS1_11target_archE1100ELNS1_3gpuE3ELNS1_3repE0EEENS1_38merge_mergepath_config_static_selectorELNS0_4arch9wavefront6targetE0EEEvSK_,"axG",@progbits,_ZN7rocprim17ROCPRIM_400000_NS6detail17trampoline_kernelINS0_14default_configENS1_38merge_sort_block_merge_config_selectorIsNS0_10empty_typeEEEZZNS1_27merge_sort_block_merge_implIS3_N6thrust23THRUST_200600_302600_NS6detail15normal_iteratorINS9_10device_ptrIsEEEEPS5_m11less_div_10IsEEE10hipError_tT0_T1_T2_jT3_P12ihipStream_tbPNSt15iterator_traitsISJ_E10value_typeEPNSP_ISK_E10value_typeEPSL_NS1_7vsmem_tEENKUlT_SJ_SK_SL_E_clISE_PsSF_SF_EESI_SY_SJ_SK_SL_EUlSY_E0_NS1_11comp_targetILNS1_3genE9ELNS1_11target_archE1100ELNS1_3gpuE3ELNS1_3repE0EEENS1_38merge_mergepath_config_static_selectorELNS0_4arch9wavefront6targetE0EEEvSK_,comdat
.Lfunc_end562:
	.size	_ZN7rocprim17ROCPRIM_400000_NS6detail17trampoline_kernelINS0_14default_configENS1_38merge_sort_block_merge_config_selectorIsNS0_10empty_typeEEEZZNS1_27merge_sort_block_merge_implIS3_N6thrust23THRUST_200600_302600_NS6detail15normal_iteratorINS9_10device_ptrIsEEEEPS5_m11less_div_10IsEEE10hipError_tT0_T1_T2_jT3_P12ihipStream_tbPNSt15iterator_traitsISJ_E10value_typeEPNSP_ISK_E10value_typeEPSL_NS1_7vsmem_tEENKUlT_SJ_SK_SL_E_clISE_PsSF_SF_EESI_SY_SJ_SK_SL_EUlSY_E0_NS1_11comp_targetILNS1_3genE9ELNS1_11target_archE1100ELNS1_3gpuE3ELNS1_3repE0EEENS1_38merge_mergepath_config_static_selectorELNS0_4arch9wavefront6targetE0EEEvSK_, .Lfunc_end562-_ZN7rocprim17ROCPRIM_400000_NS6detail17trampoline_kernelINS0_14default_configENS1_38merge_sort_block_merge_config_selectorIsNS0_10empty_typeEEEZZNS1_27merge_sort_block_merge_implIS3_N6thrust23THRUST_200600_302600_NS6detail15normal_iteratorINS9_10device_ptrIsEEEEPS5_m11less_div_10IsEEE10hipError_tT0_T1_T2_jT3_P12ihipStream_tbPNSt15iterator_traitsISJ_E10value_typeEPNSP_ISK_E10value_typeEPSL_NS1_7vsmem_tEENKUlT_SJ_SK_SL_E_clISE_PsSF_SF_EESI_SY_SJ_SK_SL_EUlSY_E0_NS1_11comp_targetILNS1_3genE9ELNS1_11target_archE1100ELNS1_3gpuE3ELNS1_3repE0EEENS1_38merge_mergepath_config_static_selectorELNS0_4arch9wavefront6targetE0EEEvSK_
                                        ; -- End function
	.set _ZN7rocprim17ROCPRIM_400000_NS6detail17trampoline_kernelINS0_14default_configENS1_38merge_sort_block_merge_config_selectorIsNS0_10empty_typeEEEZZNS1_27merge_sort_block_merge_implIS3_N6thrust23THRUST_200600_302600_NS6detail15normal_iteratorINS9_10device_ptrIsEEEEPS5_m11less_div_10IsEEE10hipError_tT0_T1_T2_jT3_P12ihipStream_tbPNSt15iterator_traitsISJ_E10value_typeEPNSP_ISK_E10value_typeEPSL_NS1_7vsmem_tEENKUlT_SJ_SK_SL_E_clISE_PsSF_SF_EESI_SY_SJ_SK_SL_EUlSY_E0_NS1_11comp_targetILNS1_3genE9ELNS1_11target_archE1100ELNS1_3gpuE3ELNS1_3repE0EEENS1_38merge_mergepath_config_static_selectorELNS0_4arch9wavefront6targetE0EEEvSK_.num_vgpr, 0
	.set _ZN7rocprim17ROCPRIM_400000_NS6detail17trampoline_kernelINS0_14default_configENS1_38merge_sort_block_merge_config_selectorIsNS0_10empty_typeEEEZZNS1_27merge_sort_block_merge_implIS3_N6thrust23THRUST_200600_302600_NS6detail15normal_iteratorINS9_10device_ptrIsEEEEPS5_m11less_div_10IsEEE10hipError_tT0_T1_T2_jT3_P12ihipStream_tbPNSt15iterator_traitsISJ_E10value_typeEPNSP_ISK_E10value_typeEPSL_NS1_7vsmem_tEENKUlT_SJ_SK_SL_E_clISE_PsSF_SF_EESI_SY_SJ_SK_SL_EUlSY_E0_NS1_11comp_targetILNS1_3genE9ELNS1_11target_archE1100ELNS1_3gpuE3ELNS1_3repE0EEENS1_38merge_mergepath_config_static_selectorELNS0_4arch9wavefront6targetE0EEEvSK_.num_agpr, 0
	.set _ZN7rocprim17ROCPRIM_400000_NS6detail17trampoline_kernelINS0_14default_configENS1_38merge_sort_block_merge_config_selectorIsNS0_10empty_typeEEEZZNS1_27merge_sort_block_merge_implIS3_N6thrust23THRUST_200600_302600_NS6detail15normal_iteratorINS9_10device_ptrIsEEEEPS5_m11less_div_10IsEEE10hipError_tT0_T1_T2_jT3_P12ihipStream_tbPNSt15iterator_traitsISJ_E10value_typeEPNSP_ISK_E10value_typeEPSL_NS1_7vsmem_tEENKUlT_SJ_SK_SL_E_clISE_PsSF_SF_EESI_SY_SJ_SK_SL_EUlSY_E0_NS1_11comp_targetILNS1_3genE9ELNS1_11target_archE1100ELNS1_3gpuE3ELNS1_3repE0EEENS1_38merge_mergepath_config_static_selectorELNS0_4arch9wavefront6targetE0EEEvSK_.numbered_sgpr, 0
	.set _ZN7rocprim17ROCPRIM_400000_NS6detail17trampoline_kernelINS0_14default_configENS1_38merge_sort_block_merge_config_selectorIsNS0_10empty_typeEEEZZNS1_27merge_sort_block_merge_implIS3_N6thrust23THRUST_200600_302600_NS6detail15normal_iteratorINS9_10device_ptrIsEEEEPS5_m11less_div_10IsEEE10hipError_tT0_T1_T2_jT3_P12ihipStream_tbPNSt15iterator_traitsISJ_E10value_typeEPNSP_ISK_E10value_typeEPSL_NS1_7vsmem_tEENKUlT_SJ_SK_SL_E_clISE_PsSF_SF_EESI_SY_SJ_SK_SL_EUlSY_E0_NS1_11comp_targetILNS1_3genE9ELNS1_11target_archE1100ELNS1_3gpuE3ELNS1_3repE0EEENS1_38merge_mergepath_config_static_selectorELNS0_4arch9wavefront6targetE0EEEvSK_.num_named_barrier, 0
	.set _ZN7rocprim17ROCPRIM_400000_NS6detail17trampoline_kernelINS0_14default_configENS1_38merge_sort_block_merge_config_selectorIsNS0_10empty_typeEEEZZNS1_27merge_sort_block_merge_implIS3_N6thrust23THRUST_200600_302600_NS6detail15normal_iteratorINS9_10device_ptrIsEEEEPS5_m11less_div_10IsEEE10hipError_tT0_T1_T2_jT3_P12ihipStream_tbPNSt15iterator_traitsISJ_E10value_typeEPNSP_ISK_E10value_typeEPSL_NS1_7vsmem_tEENKUlT_SJ_SK_SL_E_clISE_PsSF_SF_EESI_SY_SJ_SK_SL_EUlSY_E0_NS1_11comp_targetILNS1_3genE9ELNS1_11target_archE1100ELNS1_3gpuE3ELNS1_3repE0EEENS1_38merge_mergepath_config_static_selectorELNS0_4arch9wavefront6targetE0EEEvSK_.private_seg_size, 0
	.set _ZN7rocprim17ROCPRIM_400000_NS6detail17trampoline_kernelINS0_14default_configENS1_38merge_sort_block_merge_config_selectorIsNS0_10empty_typeEEEZZNS1_27merge_sort_block_merge_implIS3_N6thrust23THRUST_200600_302600_NS6detail15normal_iteratorINS9_10device_ptrIsEEEEPS5_m11less_div_10IsEEE10hipError_tT0_T1_T2_jT3_P12ihipStream_tbPNSt15iterator_traitsISJ_E10value_typeEPNSP_ISK_E10value_typeEPSL_NS1_7vsmem_tEENKUlT_SJ_SK_SL_E_clISE_PsSF_SF_EESI_SY_SJ_SK_SL_EUlSY_E0_NS1_11comp_targetILNS1_3genE9ELNS1_11target_archE1100ELNS1_3gpuE3ELNS1_3repE0EEENS1_38merge_mergepath_config_static_selectorELNS0_4arch9wavefront6targetE0EEEvSK_.uses_vcc, 0
	.set _ZN7rocprim17ROCPRIM_400000_NS6detail17trampoline_kernelINS0_14default_configENS1_38merge_sort_block_merge_config_selectorIsNS0_10empty_typeEEEZZNS1_27merge_sort_block_merge_implIS3_N6thrust23THRUST_200600_302600_NS6detail15normal_iteratorINS9_10device_ptrIsEEEEPS5_m11less_div_10IsEEE10hipError_tT0_T1_T2_jT3_P12ihipStream_tbPNSt15iterator_traitsISJ_E10value_typeEPNSP_ISK_E10value_typeEPSL_NS1_7vsmem_tEENKUlT_SJ_SK_SL_E_clISE_PsSF_SF_EESI_SY_SJ_SK_SL_EUlSY_E0_NS1_11comp_targetILNS1_3genE9ELNS1_11target_archE1100ELNS1_3gpuE3ELNS1_3repE0EEENS1_38merge_mergepath_config_static_selectorELNS0_4arch9wavefront6targetE0EEEvSK_.uses_flat_scratch, 0
	.set _ZN7rocprim17ROCPRIM_400000_NS6detail17trampoline_kernelINS0_14default_configENS1_38merge_sort_block_merge_config_selectorIsNS0_10empty_typeEEEZZNS1_27merge_sort_block_merge_implIS3_N6thrust23THRUST_200600_302600_NS6detail15normal_iteratorINS9_10device_ptrIsEEEEPS5_m11less_div_10IsEEE10hipError_tT0_T1_T2_jT3_P12ihipStream_tbPNSt15iterator_traitsISJ_E10value_typeEPNSP_ISK_E10value_typeEPSL_NS1_7vsmem_tEENKUlT_SJ_SK_SL_E_clISE_PsSF_SF_EESI_SY_SJ_SK_SL_EUlSY_E0_NS1_11comp_targetILNS1_3genE9ELNS1_11target_archE1100ELNS1_3gpuE3ELNS1_3repE0EEENS1_38merge_mergepath_config_static_selectorELNS0_4arch9wavefront6targetE0EEEvSK_.has_dyn_sized_stack, 0
	.set _ZN7rocprim17ROCPRIM_400000_NS6detail17trampoline_kernelINS0_14default_configENS1_38merge_sort_block_merge_config_selectorIsNS0_10empty_typeEEEZZNS1_27merge_sort_block_merge_implIS3_N6thrust23THRUST_200600_302600_NS6detail15normal_iteratorINS9_10device_ptrIsEEEEPS5_m11less_div_10IsEEE10hipError_tT0_T1_T2_jT3_P12ihipStream_tbPNSt15iterator_traitsISJ_E10value_typeEPNSP_ISK_E10value_typeEPSL_NS1_7vsmem_tEENKUlT_SJ_SK_SL_E_clISE_PsSF_SF_EESI_SY_SJ_SK_SL_EUlSY_E0_NS1_11comp_targetILNS1_3genE9ELNS1_11target_archE1100ELNS1_3gpuE3ELNS1_3repE0EEENS1_38merge_mergepath_config_static_selectorELNS0_4arch9wavefront6targetE0EEEvSK_.has_recursion, 0
	.set _ZN7rocprim17ROCPRIM_400000_NS6detail17trampoline_kernelINS0_14default_configENS1_38merge_sort_block_merge_config_selectorIsNS0_10empty_typeEEEZZNS1_27merge_sort_block_merge_implIS3_N6thrust23THRUST_200600_302600_NS6detail15normal_iteratorINS9_10device_ptrIsEEEEPS5_m11less_div_10IsEEE10hipError_tT0_T1_T2_jT3_P12ihipStream_tbPNSt15iterator_traitsISJ_E10value_typeEPNSP_ISK_E10value_typeEPSL_NS1_7vsmem_tEENKUlT_SJ_SK_SL_E_clISE_PsSF_SF_EESI_SY_SJ_SK_SL_EUlSY_E0_NS1_11comp_targetILNS1_3genE9ELNS1_11target_archE1100ELNS1_3gpuE3ELNS1_3repE0EEENS1_38merge_mergepath_config_static_selectorELNS0_4arch9wavefront6targetE0EEEvSK_.has_indirect_call, 0
	.section	.AMDGPU.csdata,"",@progbits
; Kernel info:
; codeLenInByte = 0
; TotalNumSgprs: 0
; NumVgprs: 0
; ScratchSize: 0
; MemoryBound: 0
; FloatMode: 240
; IeeeMode: 1
; LDSByteSize: 0 bytes/workgroup (compile time only)
; SGPRBlocks: 0
; VGPRBlocks: 0
; NumSGPRsForWavesPerEU: 1
; NumVGPRsForWavesPerEU: 1
; Occupancy: 16
; WaveLimiterHint : 0
; COMPUTE_PGM_RSRC2:SCRATCH_EN: 0
; COMPUTE_PGM_RSRC2:USER_SGPR: 6
; COMPUTE_PGM_RSRC2:TRAP_HANDLER: 0
; COMPUTE_PGM_RSRC2:TGID_X_EN: 1
; COMPUTE_PGM_RSRC2:TGID_Y_EN: 0
; COMPUTE_PGM_RSRC2:TGID_Z_EN: 0
; COMPUTE_PGM_RSRC2:TIDIG_COMP_CNT: 0
	.section	.text._ZN7rocprim17ROCPRIM_400000_NS6detail17trampoline_kernelINS0_14default_configENS1_38merge_sort_block_merge_config_selectorIsNS0_10empty_typeEEEZZNS1_27merge_sort_block_merge_implIS3_N6thrust23THRUST_200600_302600_NS6detail15normal_iteratorINS9_10device_ptrIsEEEEPS5_m11less_div_10IsEEE10hipError_tT0_T1_T2_jT3_P12ihipStream_tbPNSt15iterator_traitsISJ_E10value_typeEPNSP_ISK_E10value_typeEPSL_NS1_7vsmem_tEENKUlT_SJ_SK_SL_E_clISE_PsSF_SF_EESI_SY_SJ_SK_SL_EUlSY_E0_NS1_11comp_targetILNS1_3genE8ELNS1_11target_archE1030ELNS1_3gpuE2ELNS1_3repE0EEENS1_38merge_mergepath_config_static_selectorELNS0_4arch9wavefront6targetE0EEEvSK_,"axG",@progbits,_ZN7rocprim17ROCPRIM_400000_NS6detail17trampoline_kernelINS0_14default_configENS1_38merge_sort_block_merge_config_selectorIsNS0_10empty_typeEEEZZNS1_27merge_sort_block_merge_implIS3_N6thrust23THRUST_200600_302600_NS6detail15normal_iteratorINS9_10device_ptrIsEEEEPS5_m11less_div_10IsEEE10hipError_tT0_T1_T2_jT3_P12ihipStream_tbPNSt15iterator_traitsISJ_E10value_typeEPNSP_ISK_E10value_typeEPSL_NS1_7vsmem_tEENKUlT_SJ_SK_SL_E_clISE_PsSF_SF_EESI_SY_SJ_SK_SL_EUlSY_E0_NS1_11comp_targetILNS1_3genE8ELNS1_11target_archE1030ELNS1_3gpuE2ELNS1_3repE0EEENS1_38merge_mergepath_config_static_selectorELNS0_4arch9wavefront6targetE0EEEvSK_,comdat
	.protected	_ZN7rocprim17ROCPRIM_400000_NS6detail17trampoline_kernelINS0_14default_configENS1_38merge_sort_block_merge_config_selectorIsNS0_10empty_typeEEEZZNS1_27merge_sort_block_merge_implIS3_N6thrust23THRUST_200600_302600_NS6detail15normal_iteratorINS9_10device_ptrIsEEEEPS5_m11less_div_10IsEEE10hipError_tT0_T1_T2_jT3_P12ihipStream_tbPNSt15iterator_traitsISJ_E10value_typeEPNSP_ISK_E10value_typeEPSL_NS1_7vsmem_tEENKUlT_SJ_SK_SL_E_clISE_PsSF_SF_EESI_SY_SJ_SK_SL_EUlSY_E0_NS1_11comp_targetILNS1_3genE8ELNS1_11target_archE1030ELNS1_3gpuE2ELNS1_3repE0EEENS1_38merge_mergepath_config_static_selectorELNS0_4arch9wavefront6targetE0EEEvSK_ ; -- Begin function _ZN7rocprim17ROCPRIM_400000_NS6detail17trampoline_kernelINS0_14default_configENS1_38merge_sort_block_merge_config_selectorIsNS0_10empty_typeEEEZZNS1_27merge_sort_block_merge_implIS3_N6thrust23THRUST_200600_302600_NS6detail15normal_iteratorINS9_10device_ptrIsEEEEPS5_m11less_div_10IsEEE10hipError_tT0_T1_T2_jT3_P12ihipStream_tbPNSt15iterator_traitsISJ_E10value_typeEPNSP_ISK_E10value_typeEPSL_NS1_7vsmem_tEENKUlT_SJ_SK_SL_E_clISE_PsSF_SF_EESI_SY_SJ_SK_SL_EUlSY_E0_NS1_11comp_targetILNS1_3genE8ELNS1_11target_archE1030ELNS1_3gpuE2ELNS1_3repE0EEENS1_38merge_mergepath_config_static_selectorELNS0_4arch9wavefront6targetE0EEEvSK_
	.globl	_ZN7rocprim17ROCPRIM_400000_NS6detail17trampoline_kernelINS0_14default_configENS1_38merge_sort_block_merge_config_selectorIsNS0_10empty_typeEEEZZNS1_27merge_sort_block_merge_implIS3_N6thrust23THRUST_200600_302600_NS6detail15normal_iteratorINS9_10device_ptrIsEEEEPS5_m11less_div_10IsEEE10hipError_tT0_T1_T2_jT3_P12ihipStream_tbPNSt15iterator_traitsISJ_E10value_typeEPNSP_ISK_E10value_typeEPSL_NS1_7vsmem_tEENKUlT_SJ_SK_SL_E_clISE_PsSF_SF_EESI_SY_SJ_SK_SL_EUlSY_E0_NS1_11comp_targetILNS1_3genE8ELNS1_11target_archE1030ELNS1_3gpuE2ELNS1_3repE0EEENS1_38merge_mergepath_config_static_selectorELNS0_4arch9wavefront6targetE0EEEvSK_
	.p2align	8
	.type	_ZN7rocprim17ROCPRIM_400000_NS6detail17trampoline_kernelINS0_14default_configENS1_38merge_sort_block_merge_config_selectorIsNS0_10empty_typeEEEZZNS1_27merge_sort_block_merge_implIS3_N6thrust23THRUST_200600_302600_NS6detail15normal_iteratorINS9_10device_ptrIsEEEEPS5_m11less_div_10IsEEE10hipError_tT0_T1_T2_jT3_P12ihipStream_tbPNSt15iterator_traitsISJ_E10value_typeEPNSP_ISK_E10value_typeEPSL_NS1_7vsmem_tEENKUlT_SJ_SK_SL_E_clISE_PsSF_SF_EESI_SY_SJ_SK_SL_EUlSY_E0_NS1_11comp_targetILNS1_3genE8ELNS1_11target_archE1030ELNS1_3gpuE2ELNS1_3repE0EEENS1_38merge_mergepath_config_static_selectorELNS0_4arch9wavefront6targetE0EEEvSK_,@function
_ZN7rocprim17ROCPRIM_400000_NS6detail17trampoline_kernelINS0_14default_configENS1_38merge_sort_block_merge_config_selectorIsNS0_10empty_typeEEEZZNS1_27merge_sort_block_merge_implIS3_N6thrust23THRUST_200600_302600_NS6detail15normal_iteratorINS9_10device_ptrIsEEEEPS5_m11less_div_10IsEEE10hipError_tT0_T1_T2_jT3_P12ihipStream_tbPNSt15iterator_traitsISJ_E10value_typeEPNSP_ISK_E10value_typeEPSL_NS1_7vsmem_tEENKUlT_SJ_SK_SL_E_clISE_PsSF_SF_EESI_SY_SJ_SK_SL_EUlSY_E0_NS1_11comp_targetILNS1_3genE8ELNS1_11target_archE1030ELNS1_3gpuE2ELNS1_3repE0EEENS1_38merge_mergepath_config_static_selectorELNS0_4arch9wavefront6targetE0EEEvSK_: ; @_ZN7rocprim17ROCPRIM_400000_NS6detail17trampoline_kernelINS0_14default_configENS1_38merge_sort_block_merge_config_selectorIsNS0_10empty_typeEEEZZNS1_27merge_sort_block_merge_implIS3_N6thrust23THRUST_200600_302600_NS6detail15normal_iteratorINS9_10device_ptrIsEEEEPS5_m11less_div_10IsEEE10hipError_tT0_T1_T2_jT3_P12ihipStream_tbPNSt15iterator_traitsISJ_E10value_typeEPNSP_ISK_E10value_typeEPSL_NS1_7vsmem_tEENKUlT_SJ_SK_SL_E_clISE_PsSF_SF_EESI_SY_SJ_SK_SL_EUlSY_E0_NS1_11comp_targetILNS1_3genE8ELNS1_11target_archE1030ELNS1_3gpuE2ELNS1_3repE0EEENS1_38merge_mergepath_config_static_selectorELNS0_4arch9wavefront6targetE0EEEvSK_
; %bb.0:
	s_clause 0x1
	s_load_dwordx2 s[22:23], s[4:5], 0x48
	s_load_dword s0, s[4:5], 0x38
	s_add_u32 s20, s4, 0x48
	s_addc_u32 s21, s5, 0
	s_waitcnt lgkmcnt(0)
	s_mul_i32 s1, s23, s8
	s_add_i32 s1, s1, s7
	s_mul_i32 s1, s1, s22
	s_add_i32 s18, s1, s6
	s_cmp_ge_u32 s18, s0
	s_cbranch_scc1 .LBB563_75
; %bb.1:
	s_clause 0x1
	s_load_dwordx2 s[0:1], s[4:5], 0x40
	s_load_dwordx4 s[8:11], s[4:5], 0x28
	s_mov_b32 s19, 0
	s_lshl_b64 s[2:3], s[18:19], 3
	s_waitcnt lgkmcnt(0)
	s_add_u32 s0, s0, s2
	s_addc_u32 s1, s1, s3
	s_lshr_b64 s[12:13], s[10:11], 9
	s_load_dwordx4 s[0:3], s[0:1], 0x0
	s_and_b32 s7, s12, -2
	s_mov_b32 s13, s19
	s_sub_i32 s30, 0, s7
	s_lshl_b64 s[16:17], s[18:19], 10
	s_and_b32 s12, s18, s30
	s_lshl_b64 s[24:25], s[12:13], 10
	s_sub_u32 s7, s16, s24
	s_subb_u32 s23, s17, s25
	s_lshl_b64 s[26:27], s[12:13], 11
	s_load_dwordx4 s[12:15], s[4:5], 0x8
	s_add_u32 s5, s26, s10
	s_addc_u32 s26, s27, s11
	s_add_u32 s4, s5, s7
	s_addc_u32 s7, s26, s23
	s_waitcnt lgkmcnt(0)
	s_sub_u32 s23, s4, s2
	s_subb_u32 s3, s7, s3
	s_add_u32 s28, s23, 0x400
	s_addc_u32 s29, s3, 0
	v_cmp_lt_u64_e64 s3, s[8:9], s[28:29]
	s_and_b32 s3, s3, exec_lo
	s_cselect_b32 s23, s8, s28
	s_or_b32 s3, s18, s30
	s_cmp_lg_u32 s3, -1
	s_mov_b32 s3, -1
	s_cbranch_scc1 .LBB563_3
; %bb.2:
	s_sub_u32 s24, s5, s24
	s_subb_u32 s25, s26, s25
	v_cmp_lt_u64_e64 s2, s[8:9], s[24:25]
	s_and_b32 s2, s2, exec_lo
	s_cselect_b32 s2, s8, s24
	s_add_u32 s10, s24, s10
	s_addc_u32 s11, s25, s11
	v_cmp_lt_u64_e64 s5, s[8:9], s[10:11]
	s_and_b32 s5, s5, exec_lo
	s_cselect_b32 s23, s8, s10
.LBB563_3:
	s_lshr_b64 s[26:27], s[8:9], 10
	v_mov_b32_e32 v10, 0
	s_cmp_lg_u64 s[26:27], s[18:19]
	v_lshlrev_b32_e32 v11, 1, v0
	s_cselect_b32 s5, -1, 0
	s_sub_u32 s10, s4, s0
	s_subb_u32 s11, s7, s1
	global_load_dword v1, v10, s[20:21] offset:14
	v_cmp_lt_u64_e64 s4, s[8:9], s[10:11]
	s_and_b32 s4, s4, exec_lo
	s_cselect_b32 s10, s8, s10
	s_cselect_b32 s11, s9, s11
	s_sub_i32 s7, s2, s0
	s_lshl_b64 s[0:1], s[0:1], 1
	s_sub_i32 s9, s23, s10
	s_add_u32 s23, s12, s0
	s_addc_u32 s24, s13, s1
	s_lshl_b64 s[0:1], s[10:11], 1
	s_add_u32 s10, s12, s0
	s_addc_u32 s11, s13, s1
	s_cmp_lt_u32 s6, s22
	s_cselect_b32 s0, 12, 18
	s_add_u32 s0, s20, s0
	s_addc_u32 s1, s21, 0
	s_cmp_eq_u64 s[26:27], s[18:19]
	global_load_ushort v2, v10, s[0:1]
	s_waitcnt vmcnt(1)
	v_lshrrev_b32_e32 v3, 16, v1
	v_and_b32_e32 v1, 0xffff, v1
	v_mul_lo_u32 v1, v1, v3
	s_waitcnt vmcnt(0)
	v_mul_lo_u32 v12, v1, v2
	v_add_nc_u32_e32 v7, v12, v0
	v_add_nc_u32_e32 v5, v7, v12
	s_cbranch_scc1 .LBB563_5
; %bb.4:
	v_mov_b32_e32 v8, v10
	v_mov_b32_e32 v6, v10
	v_add_co_u32 v21, s0, s23, v11
	v_add_co_ci_u32_e64 v22, null, s24, 0, s0
	v_lshlrev_b64 v[1:2], 1, v[7:8]
	v_sub_co_u32 v9, vcc_lo, v0, s7
	v_mov_b32_e32 v20, v10
	s_mov_b32 s19, -1
	v_add_co_u32 v23, s0, s23, v1
	v_add_co_ci_u32_e64 v24, null, s24, v2, s0
	v_lshlrev_b64 v[1:2], 1, v[5:6]
	v_lshlrev_b64 v[3:4], 1, v[9:10]
	v_sub_co_u32 v9, s0, v7, s7
	v_add_co_u32 v6, s1, s23, v1
	v_add_co_ci_u32_e64 v8, null, s24, v2, s1
	v_add_nc_u32_e32 v1, v5, v12
	v_mov_b32_e32 v2, v10
	v_lshlrev_b64 v[13:14], 1, v[9:10]
	v_sub_co_u32 v9, s1, v5, s7
	v_add_nc_u32_e32 v19, v1, v12
	v_lshlrev_b64 v[15:16], 1, v[1:2]
	v_add_co_u32 v3, s4, s10, v3
	v_lshlrev_b64 v[17:18], 1, v[9:10]
	v_add_co_ci_u32_e64 v4, null, s11, v4, s4
	v_add_co_u32 v25, s2, s23, v15
	v_add_co_ci_u32_e64 v26, null, s24, v16, s2
	v_sub_co_u32 v9, s2, v1, s7
	v_lshlrev_b64 v[1:2], 1, v[19:20]
	v_lshlrev_b64 v[15:16], 1, v[9:10]
	v_add_co_u32 v20, s3, s23, v1
	v_add_co_ci_u32_e64 v27, null, s24, v2, s3
	v_sub_co_u32 v9, s3, v19, s7
	v_lshlrev_b64 v[1:2], 1, v[9:10]
	v_add_co_u32 v9, s4, s10, v17
	v_add_co_ci_u32_e64 v17, null, s11, v18, s4
	v_add_co_u32 v18, s4, s10, v1
	v_add_co_ci_u32_e64 v28, null, s11, v2, s4
	v_cndmask_b32_e32 v2, v4, v22, vcc_lo
	v_cndmask_b32_e32 v1, v3, v21, vcc_lo
	v_cndmask_b32_e64 v4, v17, v8, s1
	v_cndmask_b32_e64 v3, v9, v6, s1
	;; [unrolled: 1-line block ×4, first 2 shown]
	global_load_ushort v1, v[1:2], off
	global_load_ushort v2, v[3:4], off
	;; [unrolled: 1-line block ×3, first 2 shown]
	v_add_nc_u32_e32 v8, v19, v12
	v_mov_b32_e32 v9, v10
	v_mov_b32_e32 v20, v10
	v_add_co_u32 v13, s3, s10, v13
	v_add_nc_u32_e32 v19, v8, v12
	v_lshlrev_b64 v[17:18], 1, v[8:9]
	v_add_co_ci_u32_e64 v14, null, s11, v14, s3
	v_cndmask_b32_e64 v13, v13, v23, s0
	v_add_co_u32 v4, vcc_lo, s23, v17
	v_add_co_ci_u32_e64 v6, null, s24, v18, vcc_lo
	v_lshlrev_b64 v[17:18], 1, v[19:20]
	v_sub_co_u32 v9, vcc_lo, v8, s7
	v_cndmask_b32_e64 v14, v14, v24, s0
	s_add_i32 s0, s7, s9
	v_add_co_u32 v17, s1, s23, v17
	v_lshlrev_b64 v[20:21], 1, v[9:10]
	v_add_co_ci_u32_e64 v18, null, s24, v18, s1
	v_sub_co_u32 v9, s1, v19, s7
	v_lshlrev_b64 v[8:9], 1, v[9:10]
	v_add_co_u32 v8, s3, s10, v8
	v_add_co_ci_u32_e64 v9, null, s11, v9, s3
	v_add_co_u32 v15, s3, s10, v15
	v_cndmask_b32_e64 v8, v8, v17, s1
	v_cndmask_b32_e64 v9, v9, v18, s1
	v_add_co_u32 v17, s1, s10, v20
	v_add_co_ci_u32_e64 v16, null, s11, v16, s3
	v_add_co_ci_u32_e64 v18, null, s11, v21, s1
	global_load_short_d16 v10, v[8:9], off
	v_cndmask_b32_e64 v16, v16, v26, s2
	v_cndmask_b32_e64 v15, v15, v25, s2
	v_cndmask_b32_e32 v9, v18, v6, vcc_lo
	v_cndmask_b32_e32 v8, v17, v4, vcc_lo
	v_add_nc_u32_e32 v6, v19, v12
	global_load_short_d16_hi v1, v[13:14], off
	global_load_short_d16_hi v2, v[15:16], off
	;; [unrolled: 1-line block ×3, first 2 shown]
	v_mov_b32_e32 v8, s0
	s_waitcnt vmcnt(3)
	v_mov_b32_e32 v4, v10
	s_cbranch_execz .LBB563_6
	s_branch .LBB563_19
.LBB563_5:
                                        ; implicit-def: $vgpr6
                                        ; implicit-def: $vgpr1_vgpr2_vgpr3_vgpr4
                                        ; implicit-def: $vgpr8
	s_andn2_b32 vcc_lo, exec_lo, s3
	s_cbranch_vccnz .LBB563_19
.LBB563_6:
	s_waitcnt vmcnt(2)
	v_mov_b32_e32 v1, 0
	s_add_i32 s1, s7, s9
	s_mov_b32 s2, exec_lo
	s_waitcnt vmcnt(1)
	v_mov_b32_e32 v2, v1
	s_waitcnt vmcnt(0)
	v_mov_b32_e32 v3, v1
	v_mov_b32_e32 v4, v1
	v_cmpx_gt_u32_e64 s1, v0
	s_cbranch_execnz .LBB563_76
; %bb.7:
	s_or_b32 exec_lo, exec_lo, s2
	s_mov_b32 s2, exec_lo
	v_cmpx_gt_u32_e64 s1, v7
	s_cbranch_execnz .LBB563_77
.LBB563_8:
	s_or_b32 exec_lo, exec_lo, s2
	s_mov_b32 s2, exec_lo
	v_cmpx_gt_u32_e64 s1, v5
	s_cbranch_execz .LBB563_10
.LBB563_9:
	v_mov_b32_e32 v6, 0
	v_lshlrev_b64 v[7:8], 1, v[5:6]
	v_mov_b32_e32 v9, v6
	v_add_co_u32 v10, vcc_lo, s23, v7
	v_add_co_ci_u32_e64 v13, null, s24, v8, vcc_lo
	v_sub_co_u32 v8, vcc_lo, v5, s7
	v_lshlrev_b64 v[6:7], 1, v[8:9]
	v_add_co_u32 v6, s0, s10, v6
	v_add_co_ci_u32_e64 v7, null, s11, v7, s0
	v_cndmask_b32_e32 v6, v6, v10, vcc_lo
	v_cndmask_b32_e32 v7, v7, v13, vcc_lo
	global_load_short_d16 v2, v[6:7], off
.LBB563_10:
	s_or_b32 exec_lo, exec_lo, s2
	v_add_nc_u32_e32 v5, v5, v12
	s_mov_b32 s2, exec_lo
	v_cmpx_gt_u32_e64 s1, v5
	s_cbranch_execz .LBB563_12
; %bb.11:
	v_mov_b32_e32 v6, 0
	v_lshlrev_b64 v[7:8], 1, v[5:6]
	v_mov_b32_e32 v9, v6
	v_add_co_u32 v10, vcc_lo, s23, v7
	v_add_co_ci_u32_e64 v13, null, s24, v8, vcc_lo
	v_sub_co_u32 v8, vcc_lo, v5, s7
	v_lshlrev_b64 v[6:7], 1, v[8:9]
	v_add_co_u32 v6, s0, s10, v6
	v_add_co_ci_u32_e64 v7, null, s11, v7, s0
	v_cndmask_b32_e32 v6, v6, v10, vcc_lo
	v_cndmask_b32_e32 v7, v7, v13, vcc_lo
	global_load_short_d16_hi v2, v[6:7], off
.LBB563_12:
	s_or_b32 exec_lo, exec_lo, s2
	v_add_nc_u32_e32 v5, v5, v12
	s_mov_b32 s2, exec_lo
	v_cmpx_gt_u32_e64 s1, v5
	s_cbranch_execz .LBB563_14
; %bb.13:
	v_mov_b32_e32 v6, 0
	v_lshlrev_b64 v[7:8], 1, v[5:6]
	v_mov_b32_e32 v9, v6
	v_add_co_u32 v10, vcc_lo, s23, v7
	v_add_co_ci_u32_e64 v13, null, s24, v8, vcc_lo
	v_sub_co_u32 v8, vcc_lo, v5, s7
	v_lshlrev_b64 v[6:7], 1, v[8:9]
	v_add_co_u32 v6, s0, s10, v6
	v_add_co_ci_u32_e64 v7, null, s11, v7, s0
	v_cndmask_b32_e32 v6, v6, v10, vcc_lo
	v_cndmask_b32_e32 v7, v7, v13, vcc_lo
	global_load_short_d16 v3, v[6:7], off
.LBB563_14:
	s_or_b32 exec_lo, exec_lo, s2
	v_add_nc_u32_e32 v5, v5, v12
	s_mov_b32 s2, exec_lo
	v_cmpx_gt_u32_e64 s1, v5
	s_cbranch_execz .LBB563_16
; %bb.15:
	v_mov_b32_e32 v6, 0
	v_lshlrev_b64 v[7:8], 1, v[5:6]
	v_mov_b32_e32 v9, v6
	v_add_co_u32 v10, vcc_lo, s23, v7
	v_add_co_ci_u32_e64 v13, null, s24, v8, vcc_lo
	v_sub_co_u32 v8, vcc_lo, v5, s7
	v_lshlrev_b64 v[6:7], 1, v[8:9]
	v_add_co_u32 v6, s0, s10, v6
	v_add_co_ci_u32_e64 v7, null, s11, v7, s0
	v_cndmask_b32_e32 v6, v6, v10, vcc_lo
	v_cndmask_b32_e32 v7, v7, v13, vcc_lo
	global_load_short_d16_hi v3, v[6:7], off
.LBB563_16:
	s_or_b32 exec_lo, exec_lo, s2
	v_add_nc_u32_e32 v5, v5, v12
	s_mov_b32 s2, exec_lo
	v_cmpx_gt_u32_e64 s1, v5
	s_cbranch_execz .LBB563_18
; %bb.17:
	v_mov_b32_e32 v6, 0
	v_lshlrev_b64 v[7:8], 1, v[5:6]
	v_mov_b32_e32 v9, v6
	v_add_co_u32 v10, vcc_lo, s23, v7
	v_add_co_ci_u32_e64 v13, null, s24, v8, vcc_lo
	v_sub_co_u32 v8, vcc_lo, v5, s7
	v_lshlrev_b64 v[6:7], 1, v[8:9]
	v_add_co_u32 v6, s0, s10, v6
	v_add_co_ci_u32_e64 v7, null, s11, v7, s0
	v_cndmask_b32_e32 v6, v6, v10, vcc_lo
	v_cndmask_b32_e32 v7, v7, v13, vcc_lo
	global_load_short_d16 v4, v[6:7], off
.LBB563_18:
	s_or_b32 exec_lo, exec_lo, s2
	v_add_nc_u32_e32 v6, v5, v12
	v_mov_b32_e32 v8, s1
	v_cmp_gt_u32_e64 s19, s1, v6
.LBB563_19:
	s_and_saveexec_b32 s1, s19
	s_cbranch_execz .LBB563_21
; %bb.20:
	v_mov_b32_e32 v10, 0
	v_mov_b32_e32 v7, v10
	v_lshlrev_b64 v[12:13], 1, v[6:7]
	v_add_co_u32 v7, vcc_lo, s23, v12
	v_add_co_ci_u32_e64 v12, null, s24, v13, vcc_lo
	v_sub_co_u32 v9, vcc_lo, v6, s7
	v_lshlrev_b64 v[5:6], 1, v[9:10]
	v_add_co_u32 v5, s0, s10, v5
	v_add_co_ci_u32_e64 v6, null, s11, v6, s0
	v_cndmask_b32_e32 v5, v5, v7, vcc_lo
	v_cndmask_b32_e32 v6, v6, v12, vcc_lo
	global_load_short_d16_hi v4, v[5:6], off
.LBB563_21:
	s_or_b32 exec_lo, exec_lo, s1
	v_lshlrev_b32_e32 v5, 3, v0
	s_waitcnt vmcnt(0)
	v_lshrrev_b32_e32 v7, 16, v1
	v_lshrrev_b32_e32 v10, 16, v2
	;; [unrolled: 1-line block ×4, first 2 shown]
	v_min_u32_e32 v9, v8, v5
	s_mov_b32 s0, exec_lo
	ds_write_b16 v11, v1
	ds_write_b16 v11, v2 offset:512
	ds_write_b16 v11, v7 offset:256
	;; [unrolled: 1-line block ×3, first 2 shown]
	v_sub_nc_u32_e64 v6, v9, s9 clamp
	v_min_u32_e32 v12, s7, v9
	ds_write_b16 v11, v3 offset:1024
	ds_write_b16 v11, v15 offset:1280
	;; [unrolled: 1-line block ×4, first 2 shown]
	s_waitcnt lgkmcnt(0)
	s_barrier
	buffer_gl0_inv
	v_cmpx_lt_u32_e64 v6, v12
	s_cbranch_execz .LBB563_25
; %bb.22:
	v_lshlrev_b32_e32 v13, 1, v9
	s_mov_b32 s1, 0
	v_lshl_add_u32 v13, s7, 1, v13
	.p2align	6
.LBB563_23:                             ; =>This Inner Loop Header: Depth=1
	v_add_nc_u32_e32 v16, v12, v6
	v_lshrrev_b32_e32 v17, 1, v16
	v_and_b32_e32 v16, -2, v16
	v_not_b32_e32 v18, v17
	v_lshl_add_u32 v18, v18, 1, v13
	ds_read_i16 v16, v16
	ds_read_i16 v18, v18
	s_waitcnt lgkmcnt(1)
	v_mul_i32_i24_e32 v16, 0x6667, v16
	s_waitcnt lgkmcnt(0)
	v_mul_i32_i24_e32 v18, 0x6667, v18
	v_lshrrev_b32_e32 v19, 31, v16
	v_ashrrev_i32_e32 v16, 18, v16
	v_lshrrev_b32_e32 v20, 31, v18
	v_ashrrev_i32_e32 v18, 18, v18
	v_add_nc_u16 v16, v16, v19
	v_add_nc_u32_e32 v19, 1, v17
	v_add_nc_u16 v18, v18, v20
	v_cmp_lt_i16_e32 vcc_lo, v18, v16
	v_cndmask_b32_e32 v12, v12, v17, vcc_lo
	v_cndmask_b32_e32 v6, v19, v6, vcc_lo
	v_cmp_ge_u32_e32 vcc_lo, v6, v12
	s_or_b32 s1, vcc_lo, s1
	s_andn2_b32 exec_lo, exec_lo, s1
	s_cbranch_execnz .LBB563_23
; %bb.24:
	s_or_b32 exec_lo, exec_lo, s1
.LBB563_25:
	s_or_b32 exec_lo, exec_lo, s0
	v_sub_nc_u32_e32 v9, v9, v6
	v_cmp_ge_u32_e32 vcc_lo, s7, v6
	v_add_nc_u32_e32 v9, s7, v9
	v_cmp_le_u32_e64 s0, v9, v8
	s_or_b32 s0, vcc_lo, s0
	s_and_saveexec_b32 s1, s0
	s_cbranch_execz .LBB563_61
; %bb.26:
	s_mov_b32 s2, exec_lo
	v_cmp_le_u32_e32 vcc_lo, s7, v6
                                        ; implicit-def: $vgpr1
	v_cmpx_gt_u32_e64 s7, v6
; %bb.27:
	v_lshlrev_b32_e32 v1, 1, v6
	ds_read_u16 v1, v1
; %bb.28:
	s_or_b32 exec_lo, exec_lo, s2
	v_cmp_ge_u32_e64 s2, v9, v8
	s_mov_b32 s3, exec_lo
                                        ; implicit-def: $vgpr4
	v_cmpx_lt_u32_e64 v9, v8
; %bb.29:
	v_lshlrev_b32_e32 v2, 1, v9
	ds_read_u16 v4, v2
; %bb.30:
	s_or_b32 exec_lo, exec_lo, s3
	s_nor_b32 s3, vcc_lo, s2
	s_and_saveexec_b32 s0, s3
	s_cbranch_execz .LBB563_32
; %bb.31:
	v_mov_b32_e32 v2, 0x6667
	s_andn2_b32 s2, s2, exec_lo
	s_waitcnt lgkmcnt(0)
	v_mul_i32_i24_sdwa v3, sext(v4), v2 dst_sel:DWORD dst_unused:UNUSED_PAD src0_sel:WORD_0 src1_sel:DWORD
	v_mul_i32_i24_sdwa v2, sext(v1), v2 dst_sel:DWORD dst_unused:UNUSED_PAD src0_sel:WORD_0 src1_sel:DWORD
	v_lshrrev_b32_e32 v7, 31, v3
	v_ashrrev_i32_e32 v3, 18, v3
	v_lshrrev_b32_e32 v10, 31, v2
	v_ashrrev_i32_e32 v2, 18, v2
	v_add_nc_u16 v3, v3, v7
	v_add_nc_u16 v2, v2, v10
	v_cmp_ge_i16_e32 vcc_lo, v3, v2
	s_and_b32 s3, vcc_lo, exec_lo
	s_or_b32 s2, s2, s3
.LBB563_32:
	s_or_b32 exec_lo, exec_lo, s0
	v_cndmask_b32_e64 v2, v9, v6, s2
	v_cndmask_b32_e64 v3, v8, s7, s2
	s_mov_b32 s3, -1
	s_mov_b32 s0, -1
	s_mov_b32 s4, exec_lo
	v_add_nc_u32_e32 v7, 1, v2
	v_add_nc_u32_e32 v2, -1, v3
	v_cndmask_b32_e64 v3, v6, v7, s2
	v_min_u32_e32 v2, v7, v2
	v_lshlrev_b32_e32 v2, 1, v2
	ds_read_u16 v10, v2
	v_cndmask_b32_e64 v2, v7, v9, s2
	s_waitcnt lgkmcnt(0)
	v_cndmask_b32_e64 v6, v10, v4, s2
	v_cndmask_b32_e64 v7, v1, v10, s2
	v_cmpx_lt_u32_e64 v2, v8
	s_cbranch_execz .LBB563_36
; %bb.33:
	s_mov_b32 s6, 0
	s_mov_b32 s0, exec_lo
	v_cmpx_gt_u32_e64 s7, v3
	s_cbranch_execz .LBB563_35
; %bb.34:
	v_mov_b32_e32 v9, 0x6667
	v_mul_i32_i24_sdwa v10, sext(v6), v9 dst_sel:DWORD dst_unused:UNUSED_PAD src0_sel:WORD_0 src1_sel:DWORD
	v_mul_i32_i24_sdwa v9, sext(v7), v9 dst_sel:DWORD dst_unused:UNUSED_PAD src0_sel:WORD_0 src1_sel:DWORD
	v_lshrrev_b32_e32 v12, 31, v10
	v_ashrrev_i32_e32 v10, 18, v10
	v_lshrrev_b32_e32 v13, 31, v9
	v_ashrrev_i32_e32 v9, 18, v9
	v_add_nc_u16 v10, v10, v12
	v_add_nc_u16 v9, v9, v13
	v_cmp_ge_i16_e32 vcc_lo, v10, v9
	s_and_b32 s6, vcc_lo, exec_lo
.LBB563_35:
	s_or_b32 exec_lo, exec_lo, s0
	s_orn2_b32 s0, s6, exec_lo
.LBB563_36:
	s_or_b32 exec_lo, exec_lo, s4
	v_cndmask_b32_e64 v9, v2, v3, s0
	v_cndmask_b32_e64 v10, v8, s7, s0
	s_mov_b32 s4, exec_lo
	v_add_nc_u32_e32 v9, 1, v9
	v_add_nc_u32_e32 v10, -1, v10
	v_cndmask_b32_e64 v3, v3, v9, s0
	v_min_u32_e32 v10, v9, v10
	v_lshlrev_b32_e32 v10, 1, v10
	ds_read_u16 v12, v10
	v_cndmask_b32_e64 v10, v9, v2, s0
	s_waitcnt lgkmcnt(0)
	v_cndmask_b32_e64 v2, v12, v6, s0
	v_cndmask_b32_e64 v9, v7, v12, s0
	v_cmpx_lt_u32_e64 v10, v8
	s_cbranch_execz .LBB563_40
; %bb.37:
	s_mov_b32 s6, 0
	s_mov_b32 s3, exec_lo
	v_cmpx_gt_u32_e64 s7, v3
	s_cbranch_execz .LBB563_39
; %bb.38:
	v_mov_b32_e32 v12, 0x6667
	v_mul_i32_i24_sdwa v13, sext(v2), v12 dst_sel:DWORD dst_unused:UNUSED_PAD src0_sel:WORD_0 src1_sel:DWORD
	v_mul_i32_i24_sdwa v12, sext(v9), v12 dst_sel:DWORD dst_unused:UNUSED_PAD src0_sel:WORD_0 src1_sel:DWORD
	v_lshrrev_b32_e32 v14, 31, v13
	v_ashrrev_i32_e32 v13, 18, v13
	v_lshrrev_b32_e32 v15, 31, v12
	v_ashrrev_i32_e32 v12, 18, v12
	v_add_nc_u16 v13, v13, v14
	v_add_nc_u16 v12, v12, v15
	v_cmp_ge_i16_e32 vcc_lo, v13, v12
	s_and_b32 s6, vcc_lo, exec_lo
.LBB563_39:
	s_or_b32 exec_lo, exec_lo, s3
	s_orn2_b32 s3, s6, exec_lo
.LBB563_40:
	s_or_b32 exec_lo, exec_lo, s4
	v_cndmask_b32_e64 v12, v10, v3, s3
	v_cndmask_b32_e64 v13, v8, s7, s3
	s_mov_b32 s6, -1
	s_mov_b32 s4, -1
	s_mov_b32 s9, exec_lo
	v_add_nc_u32_e32 v12, 1, v12
	v_add_nc_u32_e32 v13, -1, v13
	v_cndmask_b32_e64 v3, v3, v12, s3
	v_min_u32_e32 v13, v12, v13
	v_lshlrev_b32_e32 v13, 1, v13
	ds_read_u16 v14, v13
	v_cndmask_b32_e64 v13, v12, v10, s3
	s_waitcnt lgkmcnt(0)
	v_cndmask_b32_e64 v10, v14, v2, s3
	v_cndmask_b32_e64 v12, v9, v14, s3
	v_cmpx_lt_u32_e64 v13, v8
	s_cbranch_execz .LBB563_44
; %bb.41:
	s_mov_b32 s10, 0
	s_mov_b32 s4, exec_lo
	v_cmpx_gt_u32_e64 s7, v3
	s_cbranch_execz .LBB563_43
; %bb.42:
	v_mov_b32_e32 v14, 0x6667
	v_mul_i32_i24_sdwa v15, sext(v10), v14 dst_sel:DWORD dst_unused:UNUSED_PAD src0_sel:WORD_0 src1_sel:DWORD
	v_mul_i32_i24_sdwa v14, sext(v12), v14 dst_sel:DWORD dst_unused:UNUSED_PAD src0_sel:WORD_0 src1_sel:DWORD
	v_lshrrev_b32_e32 v16, 31, v15
	v_ashrrev_i32_e32 v15, 18, v15
	v_lshrrev_b32_e32 v17, 31, v14
	v_ashrrev_i32_e32 v14, 18, v14
	v_add_nc_u16 v15, v15, v16
	v_add_nc_u16 v14, v14, v17
	v_cmp_ge_i16_e32 vcc_lo, v15, v14
	s_and_b32 s10, vcc_lo, exec_lo
.LBB563_43:
	s_or_b32 exec_lo, exec_lo, s4
	s_orn2_b32 s4, s10, exec_lo
.LBB563_44:
	s_or_b32 exec_lo, exec_lo, s9
	v_cndmask_b32_e64 v14, v13, v3, s4
	v_cndmask_b32_e64 v15, v8, s7, s4
	s_mov_b32 s9, exec_lo
	v_add_nc_u32_e32 v16, 1, v14
	v_add_nc_u32_e32 v14, -1, v15
	v_cndmask_b32_e64 v15, v3, v16, s4
	v_min_u32_e32 v14, v16, v14
	v_lshlrev_b32_e32 v14, 1, v14
	ds_read_u16 v17, v14
	v_cndmask_b32_e64 v14, v16, v13, s4
	s_waitcnt lgkmcnt(0)
	v_cndmask_b32_e64 v3, v17, v10, s4
	v_cndmask_b32_e64 v13, v12, v17, s4
	v_cmpx_lt_u32_e64 v14, v8
	s_cbranch_execz .LBB563_48
; %bb.45:
	s_mov_b32 s10, 0
	s_mov_b32 s6, exec_lo
	v_cmpx_gt_u32_e64 s7, v15
	s_cbranch_execz .LBB563_47
; %bb.46:
	v_mov_b32_e32 v16, 0x6667
	v_mul_i32_i24_sdwa v17, sext(v3), v16 dst_sel:DWORD dst_unused:UNUSED_PAD src0_sel:WORD_0 src1_sel:DWORD
	v_mul_i32_i24_sdwa v16, sext(v13), v16 dst_sel:DWORD dst_unused:UNUSED_PAD src0_sel:WORD_0 src1_sel:DWORD
	v_lshrrev_b32_e32 v18, 31, v17
	v_ashrrev_i32_e32 v17, 18, v17
	v_lshrrev_b32_e32 v19, 31, v16
	v_ashrrev_i32_e32 v16, 18, v16
	v_add_nc_u16 v17, v17, v18
	v_add_nc_u16 v16, v16, v19
	v_cmp_ge_i16_e32 vcc_lo, v17, v16
	s_and_b32 s10, vcc_lo, exec_lo
.LBB563_47:
	s_or_b32 exec_lo, exec_lo, s6
	s_orn2_b32 s6, s10, exec_lo
.LBB563_48:
	s_or_b32 exec_lo, exec_lo, s9
	v_cndmask_b32_e64 v16, v14, v15, s6
	v_cndmask_b32_e64 v17, v8, s7, s6
	s_mov_b32 s9, -1
	s_mov_b32 s10, -1
	s_mov_b32 s11, exec_lo
	v_add_nc_u32_e32 v16, 1, v16
	v_add_nc_u32_e32 v17, -1, v17
	v_cndmask_b32_e64 v14, v16, v14, s6
	v_min_u32_e32 v17, v16, v17
	v_lshlrev_b32_e32 v17, 1, v17
	ds_read_u16 v18, v17
	v_cndmask_b32_e64 v17, v15, v16, s6
	s_waitcnt lgkmcnt(0)
	v_cndmask_b32_e64 v15, v18, v3, s6
	v_cndmask_b32_e64 v16, v13, v18, s6
	v_cmpx_lt_u32_e64 v14, v8
	s_cbranch_execz .LBB563_52
; %bb.49:
	s_mov_b32 s12, 0
	s_mov_b32 s10, exec_lo
	v_cmpx_gt_u32_e64 s7, v17
	s_cbranch_execz .LBB563_51
; %bb.50:
	v_mov_b32_e32 v18, 0x6667
	v_mul_i32_i24_sdwa v19, sext(v15), v18 dst_sel:DWORD dst_unused:UNUSED_PAD src0_sel:WORD_0 src1_sel:DWORD
	v_mul_i32_i24_sdwa v18, sext(v16), v18 dst_sel:DWORD dst_unused:UNUSED_PAD src0_sel:WORD_0 src1_sel:DWORD
	v_lshrrev_b32_e32 v20, 31, v19
	v_ashrrev_i32_e32 v19, 18, v19
	v_lshrrev_b32_e32 v21, 31, v18
	v_ashrrev_i32_e32 v18, 18, v18
	v_add_nc_u16 v19, v19, v20
	v_add_nc_u16 v18, v18, v21
	v_cmp_ge_i16_e32 vcc_lo, v19, v18
	s_and_b32 s12, vcc_lo, exec_lo
.LBB563_51:
	s_or_b32 exec_lo, exec_lo, s10
	s_orn2_b32 s10, s12, exec_lo
.LBB563_52:
	s_or_b32 exec_lo, exec_lo, s11
	v_cndmask_b32_e64 v18, v14, v17, s10
	v_cndmask_b32_e64 v19, v8, s7, s10
	s_mov_b32 s11, exec_lo
	v_add_nc_u32_e32 v18, 1, v18
	v_add_nc_u32_e32 v19, -1, v19
	v_cndmask_b32_e64 v14, v18, v14, s10
	v_min_u32_e32 v19, v18, v19
	v_lshlrev_b32_e32 v19, 1, v19
	ds_read_u16 v20, v19
	v_cndmask_b32_e64 v19, v17, v18, s10
	s_waitcnt lgkmcnt(0)
	v_cndmask_b32_e64 v17, v20, v15, s10
	v_cndmask_b32_e64 v18, v16, v20, s10
	v_cmpx_lt_u32_e64 v14, v8
	s_cbranch_execz .LBB563_56
; %bb.53:
	s_mov_b32 s12, 0
	s_mov_b32 s9, exec_lo
	v_cmpx_gt_u32_e64 s7, v19
	s_cbranch_execz .LBB563_55
; %bb.54:
	v_mov_b32_e32 v20, 0x6667
	v_mul_i32_i24_sdwa v21, sext(v17), v20 dst_sel:DWORD dst_unused:UNUSED_PAD src0_sel:WORD_0 src1_sel:DWORD
	v_mul_i32_i24_sdwa v20, sext(v18), v20 dst_sel:DWORD dst_unused:UNUSED_PAD src0_sel:WORD_0 src1_sel:DWORD
	v_lshrrev_b32_e32 v22, 31, v21
	v_ashrrev_i32_e32 v21, 18, v21
	v_lshrrev_b32_e32 v23, 31, v20
	v_ashrrev_i32_e32 v20, 18, v20
	v_add_nc_u16 v21, v21, v22
	v_add_nc_u16 v20, v20, v23
	v_cmp_ge_i16_e32 vcc_lo, v21, v20
	s_and_b32 s12, vcc_lo, exec_lo
.LBB563_55:
	s_or_b32 exec_lo, exec_lo, s9
	s_orn2_b32 s9, s12, exec_lo
.LBB563_56:
	s_or_b32 exec_lo, exec_lo, s11
	v_cndmask_b32_e64 v20, v14, v19, s9
	v_cndmask_b32_e64 v21, v8, s7, s9
	s_mov_b32 s11, exec_lo
	v_add_nc_u32_e32 v20, 1, v20
	v_add_nc_u32_e32 v21, -1, v21
	v_cndmask_b32_e64 v22, v20, v14, s9
	v_min_u32_e32 v21, v20, v21
	v_lshlrev_b32_e32 v21, 1, v21
	ds_read_u16 v21, v21
	s_waitcnt lgkmcnt(0)
	v_cndmask_b32_e64 v14, v18, v21, s9
	v_cmpx_lt_u32_e64 v22, v8
	s_cbranch_execz .LBB563_60
; %bb.57:
	v_cndmask_b32_e64 v19, v19, v20, s9
	v_cndmask_b32_e64 v8, v21, v17, s9
	v_cmp_gt_u32_e32 vcc_lo, s7, v19
	s_and_saveexec_b32 s7, vcc_lo
	s_cbranch_execz .LBB563_59
; %bb.58:
	v_mov_b32_e32 v19, 0x6667
	v_mul_i32_i24_sdwa v20, sext(v8), v19 dst_sel:DWORD dst_unused:UNUSED_PAD src0_sel:WORD_0 src1_sel:DWORD
	v_mul_i32_i24_sdwa v19, sext(v14), v19 dst_sel:DWORD dst_unused:UNUSED_PAD src0_sel:WORD_0 src1_sel:DWORD
	v_lshrrev_b32_e32 v21, 31, v20
	v_ashrrev_i32_e32 v20, 18, v20
	v_lshrrev_b32_e32 v22, 31, v19
	v_ashrrev_i32_e32 v19, 18, v19
	v_add_nc_u16 v20, v20, v21
	v_add_nc_u16 v19, v19, v22
	v_cmp_lt_i16_e32 vcc_lo, v20, v19
	v_cndmask_b32_e32 v8, v14, v8, vcc_lo
.LBB563_59:
	s_or_b32 exec_lo, exec_lo, s7
	v_mov_b32_e32 v14, v8
.LBB563_60:
	s_or_b32 exec_lo, exec_lo, s11
	v_cndmask_b32_e64 v15, v15, v16, s10
	v_cndmask_b32_e64 v3, v3, v13, s6
	;; [unrolled: 1-line block ×7, first 2 shown]
.LBB563_61:
	s_or_b32 exec_lo, exec_lo, s1
	v_lshrrev_b32_e32 v6, 1, v0
	v_or_b32_e32 v8, 0x80, v0
	v_perm_b32 v1, v7, v1, 0x5040100
	v_lshrrev_b32_e32 v7, 4, v0
	v_perm_b32 v2, v10, v2, 0x5040100
	v_and_b32_e32 v6, 60, v6
	v_lshrrev_b32_e32 v9, 4, v8
	v_perm_b32 v4, v14, v4, 0x5040100
	v_and_b32_e32 v7, 4, v7
	v_perm_b32 v3, v15, v3, 0x5040100
	v_lshl_add_u32 v5, v5, 1, v6
	v_or_b32_e32 v6, 0x100, v0
	v_and_b32_e32 v9, 12, v9
	s_barrier
	buffer_gl0_inv
	v_lshrrev_b32_e32 v10, 4, v6
	v_add_nc_u32_e32 v13, v9, v11
	v_or_b32_e32 v9, 0x180, v0
	s_barrier
	buffer_gl0_inv
	v_and_b32_e32 v10, 20, v10
	ds_write2_b32 v5, v1, v2 offset1:1
	ds_write2_b32 v5, v3, v4 offset0:2 offset1:3
	v_add_nc_u32_e32 v12, v7, v11
	v_or_b32_e32 v7, 0x200, v0
	v_or_b32_e32 v5, 0x280, v0
	;; [unrolled: 1-line block ×4, first 2 shown]
	v_lshrrev_b32_e32 v1, 4, v9
	v_add_nc_u32_e32 v14, v10, v11
	v_lshrrev_b32_e32 v2, 4, v7
	v_lshrrev_b32_e32 v10, 4, v5
	;; [unrolled: 1-line block ×4, first 2 shown]
	v_and_b32_e32 v1, 28, v1
	s_lshl_b64 s[0:1], s[16:17], 1
	v_and_b32_e32 v2, 36, v2
	v_and_b32_e32 v10, 44, v10
	;; [unrolled: 1-line block ×4, first 2 shown]
	s_add_u32 s0, s14, s0
	s_addc_u32 s1, s15, s1
	v_add_nc_u32_e32 v15, v1, v11
	v_add_co_u32 v1, s0, s0, v11
	v_add_nc_u32_e32 v16, v2, v11
	v_add_nc_u32_e32 v17, v10, v11
	;; [unrolled: 1-line block ×4, first 2 shown]
	v_add_co_ci_u32_e64 v2, null, s1, 0, s0
	s_and_b32 vcc_lo, exec_lo, s5
	s_waitcnt lgkmcnt(0)
	s_cbranch_vccz .LBB563_63
; %bb.62:
	s_barrier
	buffer_gl0_inv
	ds_read_u16 v11, v12
	ds_read_u16 v20, v13 offset:256
	ds_read_u16 v21, v14 offset:512
	;; [unrolled: 1-line block ×7, first 2 shown]
	s_mov_b32 s0, -1
	s_waitcnt lgkmcnt(7)
	global_store_short v[1:2], v11, off
	s_waitcnt lgkmcnt(6)
	global_store_short v[1:2], v20, off offset:256
	s_waitcnt lgkmcnt(5)
	global_store_short v[1:2], v21, off offset:512
	;; [unrolled: 2-line block ×6, first 2 shown]
	s_cbranch_execz .LBB563_64
	s_branch .LBB563_73
.LBB563_63:
	s_mov_b32 s0, 0
                                        ; implicit-def: $vgpr10
.LBB563_64:
	s_barrier
	s_waitcnt lgkmcnt(0)
	s_waitcnt_vscnt null, 0x0
	buffer_gl0_inv
	ds_read_u16 v21, v13 offset:256
	ds_read_u16 v20, v14 offset:512
	;; [unrolled: 1-line block ×7, first 2 shown]
	s_sub_i32 s0, s8, s16
	s_mov_b32 s1, exec_lo
	v_cmpx_gt_u32_e64 s0, v0
	s_cbranch_execnz .LBB563_78
; %bb.65:
	s_or_b32 exec_lo, exec_lo, s1
	s_mov_b32 s1, exec_lo
	v_cmpx_gt_u32_e64 s0, v8
	s_cbranch_execnz .LBB563_79
.LBB563_66:
	s_or_b32 exec_lo, exec_lo, s1
	s_mov_b32 s1, exec_lo
	v_cmpx_gt_u32_e64 s0, v6
	s_cbranch_execnz .LBB563_80
.LBB563_67:
	s_or_b32 exec_lo, exec_lo, s1
	s_mov_b32 s1, exec_lo
	v_cmpx_gt_u32_e64 s0, v9
	s_cbranch_execnz .LBB563_81
.LBB563_68:
	s_or_b32 exec_lo, exec_lo, s1
	s_mov_b32 s1, exec_lo
	v_cmpx_gt_u32_e64 s0, v7
	s_cbranch_execnz .LBB563_82
.LBB563_69:
	s_or_b32 exec_lo, exec_lo, s1
	s_mov_b32 s1, exec_lo
	v_cmpx_gt_u32_e64 s0, v5
	s_cbranch_execnz .LBB563_83
.LBB563_70:
	s_or_b32 exec_lo, exec_lo, s1
	s_mov_b32 s1, exec_lo
	v_cmpx_gt_u32_e64 s0, v4
	s_cbranch_execz .LBB563_72
.LBB563_71:
	s_waitcnt lgkmcnt(1)
	global_store_short v[1:2], v11, off offset:1536
.LBB563_72:
	s_or_b32 exec_lo, exec_lo, s1
	v_cmp_gt_u32_e64 s0, s0, v3
.LBB563_73:
	s_and_saveexec_b32 s1, s0
	s_cbranch_execz .LBB563_75
; %bb.74:
	s_waitcnt lgkmcnt(0)
	global_store_short v[1:2], v10, off offset:1792
.LBB563_75:
	s_endpgm
.LBB563_76:
	v_sub_co_u32 v2, vcc_lo, v0, s7
	v_mov_b32_e32 v3, v1
	v_add_co_u32 v4, s0, s23, v11
	v_add_co_ci_u32_e64 v6, null, s24, 0, s0
	v_lshlrev_b64 v[2:3], 1, v[2:3]
	v_mov_b32_e32 v13, v1
	v_mov_b32_e32 v14, v1
	;; [unrolled: 1-line block ×4, first 2 shown]
	v_add_co_u32 v2, s0, s10, v2
	v_add_co_ci_u32_e64 v3, null, s11, v3, s0
	v_cndmask_b32_e32 v2, v2, v4, vcc_lo
	v_cndmask_b32_e32 v3, v3, v6, vcc_lo
	global_load_short_d16 v13, v[2:3], off
	s_waitcnt vmcnt(0)
	v_mov_b32_e32 v1, v13
	v_mov_b32_e32 v2, v14
	;; [unrolled: 1-line block ×4, first 2 shown]
	s_or_b32 exec_lo, exec_lo, s2
	s_mov_b32 s2, exec_lo
	v_cmpx_gt_u32_e64 s1, v7
	s_cbranch_execz .LBB563_8
.LBB563_77:
	v_mov_b32_e32 v8, 0
	v_lshlrev_b64 v[9:10], 1, v[7:8]
	v_add_co_u32 v9, vcc_lo, s23, v9
	v_add_co_ci_u32_e64 v10, null, s24, v10, vcc_lo
	v_sub_co_u32 v7, vcc_lo, v7, s7
	v_lshlrev_b64 v[6:7], 1, v[7:8]
	v_add_co_u32 v6, s0, s10, v6
	v_add_co_ci_u32_e64 v7, null, s11, v7, s0
	v_cndmask_b32_e32 v6, v6, v9, vcc_lo
	v_cndmask_b32_e32 v7, v7, v10, vcc_lo
	global_load_short_d16_hi v1, v[6:7], off
	s_or_b32 exec_lo, exec_lo, s2
	s_mov_b32 s2, exec_lo
	v_cmpx_gt_u32_e64 s1, v5
	s_cbranch_execnz .LBB563_9
	s_branch .LBB563_10
.LBB563_78:
	ds_read_u16 v0, v12
	s_waitcnt lgkmcnt(0)
	global_store_short v[1:2], v0, off
	s_or_b32 exec_lo, exec_lo, s1
	s_mov_b32 s1, exec_lo
	v_cmpx_gt_u32_e64 s0, v8
	s_cbranch_execz .LBB563_66
.LBB563_79:
	s_waitcnt lgkmcnt(6)
	global_store_short v[1:2], v21, off offset:256
	s_or_b32 exec_lo, exec_lo, s1
	s_mov_b32 s1, exec_lo
	v_cmpx_gt_u32_e64 s0, v6
	s_cbranch_execz .LBB563_67
.LBB563_80:
	s_waitcnt lgkmcnt(5)
	global_store_short v[1:2], v20, off offset:512
	s_or_b32 exec_lo, exec_lo, s1
	s_mov_b32 s1, exec_lo
	v_cmpx_gt_u32_e64 s0, v9
	s_cbranch_execz .LBB563_68
.LBB563_81:
	s_waitcnt lgkmcnt(4)
	global_store_short v[1:2], v15, off offset:768
	s_or_b32 exec_lo, exec_lo, s1
	s_mov_b32 s1, exec_lo
	v_cmpx_gt_u32_e64 s0, v7
	s_cbranch_execz .LBB563_69
.LBB563_82:
	s_waitcnt lgkmcnt(3)
	global_store_short v[1:2], v14, off offset:1024
	s_or_b32 exec_lo, exec_lo, s1
	s_mov_b32 s1, exec_lo
	v_cmpx_gt_u32_e64 s0, v5
	s_cbranch_execz .LBB563_70
.LBB563_83:
	s_waitcnt lgkmcnt(2)
	global_store_short v[1:2], v13, off offset:1280
	s_or_b32 exec_lo, exec_lo, s1
	s_mov_b32 s1, exec_lo
	v_cmpx_gt_u32_e64 s0, v4
	s_cbranch_execnz .LBB563_71
	s_branch .LBB563_72
	.section	.rodata,"a",@progbits
	.p2align	6, 0x0
	.amdhsa_kernel _ZN7rocprim17ROCPRIM_400000_NS6detail17trampoline_kernelINS0_14default_configENS1_38merge_sort_block_merge_config_selectorIsNS0_10empty_typeEEEZZNS1_27merge_sort_block_merge_implIS3_N6thrust23THRUST_200600_302600_NS6detail15normal_iteratorINS9_10device_ptrIsEEEEPS5_m11less_div_10IsEEE10hipError_tT0_T1_T2_jT3_P12ihipStream_tbPNSt15iterator_traitsISJ_E10value_typeEPNSP_ISK_E10value_typeEPSL_NS1_7vsmem_tEENKUlT_SJ_SK_SL_E_clISE_PsSF_SF_EESI_SY_SJ_SK_SL_EUlSY_E0_NS1_11comp_targetILNS1_3genE8ELNS1_11target_archE1030ELNS1_3gpuE2ELNS1_3repE0EEENS1_38merge_mergepath_config_static_selectorELNS0_4arch9wavefront6targetE0EEEvSK_
		.amdhsa_group_segment_fixed_size 2112
		.amdhsa_private_segment_fixed_size 0
		.amdhsa_kernarg_size 328
		.amdhsa_user_sgpr_count 6
		.amdhsa_user_sgpr_private_segment_buffer 1
		.amdhsa_user_sgpr_dispatch_ptr 0
		.amdhsa_user_sgpr_queue_ptr 0
		.amdhsa_user_sgpr_kernarg_segment_ptr 1
		.amdhsa_user_sgpr_dispatch_id 0
		.amdhsa_user_sgpr_flat_scratch_init 0
		.amdhsa_user_sgpr_private_segment_size 0
		.amdhsa_wavefront_size32 1
		.amdhsa_uses_dynamic_stack 0
		.amdhsa_system_sgpr_private_segment_wavefront_offset 0
		.amdhsa_system_sgpr_workgroup_id_x 1
		.amdhsa_system_sgpr_workgroup_id_y 1
		.amdhsa_system_sgpr_workgroup_id_z 1
		.amdhsa_system_sgpr_workgroup_info 0
		.amdhsa_system_vgpr_workitem_id 0
		.amdhsa_next_free_vgpr 29
		.amdhsa_next_free_sgpr 31
		.amdhsa_reserve_vcc 1
		.amdhsa_reserve_flat_scratch 0
		.amdhsa_float_round_mode_32 0
		.amdhsa_float_round_mode_16_64 0
		.amdhsa_float_denorm_mode_32 3
		.amdhsa_float_denorm_mode_16_64 3
		.amdhsa_dx10_clamp 1
		.amdhsa_ieee_mode 1
		.amdhsa_fp16_overflow 0
		.amdhsa_workgroup_processor_mode 1
		.amdhsa_memory_ordered 1
		.amdhsa_forward_progress 1
		.amdhsa_shared_vgpr_count 0
		.amdhsa_exception_fp_ieee_invalid_op 0
		.amdhsa_exception_fp_denorm_src 0
		.amdhsa_exception_fp_ieee_div_zero 0
		.amdhsa_exception_fp_ieee_overflow 0
		.amdhsa_exception_fp_ieee_underflow 0
		.amdhsa_exception_fp_ieee_inexact 0
		.amdhsa_exception_int_div_zero 0
	.end_amdhsa_kernel
	.section	.text._ZN7rocprim17ROCPRIM_400000_NS6detail17trampoline_kernelINS0_14default_configENS1_38merge_sort_block_merge_config_selectorIsNS0_10empty_typeEEEZZNS1_27merge_sort_block_merge_implIS3_N6thrust23THRUST_200600_302600_NS6detail15normal_iteratorINS9_10device_ptrIsEEEEPS5_m11less_div_10IsEEE10hipError_tT0_T1_T2_jT3_P12ihipStream_tbPNSt15iterator_traitsISJ_E10value_typeEPNSP_ISK_E10value_typeEPSL_NS1_7vsmem_tEENKUlT_SJ_SK_SL_E_clISE_PsSF_SF_EESI_SY_SJ_SK_SL_EUlSY_E0_NS1_11comp_targetILNS1_3genE8ELNS1_11target_archE1030ELNS1_3gpuE2ELNS1_3repE0EEENS1_38merge_mergepath_config_static_selectorELNS0_4arch9wavefront6targetE0EEEvSK_,"axG",@progbits,_ZN7rocprim17ROCPRIM_400000_NS6detail17trampoline_kernelINS0_14default_configENS1_38merge_sort_block_merge_config_selectorIsNS0_10empty_typeEEEZZNS1_27merge_sort_block_merge_implIS3_N6thrust23THRUST_200600_302600_NS6detail15normal_iteratorINS9_10device_ptrIsEEEEPS5_m11less_div_10IsEEE10hipError_tT0_T1_T2_jT3_P12ihipStream_tbPNSt15iterator_traitsISJ_E10value_typeEPNSP_ISK_E10value_typeEPSL_NS1_7vsmem_tEENKUlT_SJ_SK_SL_E_clISE_PsSF_SF_EESI_SY_SJ_SK_SL_EUlSY_E0_NS1_11comp_targetILNS1_3genE8ELNS1_11target_archE1030ELNS1_3gpuE2ELNS1_3repE0EEENS1_38merge_mergepath_config_static_selectorELNS0_4arch9wavefront6targetE0EEEvSK_,comdat
.Lfunc_end563:
	.size	_ZN7rocprim17ROCPRIM_400000_NS6detail17trampoline_kernelINS0_14default_configENS1_38merge_sort_block_merge_config_selectorIsNS0_10empty_typeEEEZZNS1_27merge_sort_block_merge_implIS3_N6thrust23THRUST_200600_302600_NS6detail15normal_iteratorINS9_10device_ptrIsEEEEPS5_m11less_div_10IsEEE10hipError_tT0_T1_T2_jT3_P12ihipStream_tbPNSt15iterator_traitsISJ_E10value_typeEPNSP_ISK_E10value_typeEPSL_NS1_7vsmem_tEENKUlT_SJ_SK_SL_E_clISE_PsSF_SF_EESI_SY_SJ_SK_SL_EUlSY_E0_NS1_11comp_targetILNS1_3genE8ELNS1_11target_archE1030ELNS1_3gpuE2ELNS1_3repE0EEENS1_38merge_mergepath_config_static_selectorELNS0_4arch9wavefront6targetE0EEEvSK_, .Lfunc_end563-_ZN7rocprim17ROCPRIM_400000_NS6detail17trampoline_kernelINS0_14default_configENS1_38merge_sort_block_merge_config_selectorIsNS0_10empty_typeEEEZZNS1_27merge_sort_block_merge_implIS3_N6thrust23THRUST_200600_302600_NS6detail15normal_iteratorINS9_10device_ptrIsEEEEPS5_m11less_div_10IsEEE10hipError_tT0_T1_T2_jT3_P12ihipStream_tbPNSt15iterator_traitsISJ_E10value_typeEPNSP_ISK_E10value_typeEPSL_NS1_7vsmem_tEENKUlT_SJ_SK_SL_E_clISE_PsSF_SF_EESI_SY_SJ_SK_SL_EUlSY_E0_NS1_11comp_targetILNS1_3genE8ELNS1_11target_archE1030ELNS1_3gpuE2ELNS1_3repE0EEENS1_38merge_mergepath_config_static_selectorELNS0_4arch9wavefront6targetE0EEEvSK_
                                        ; -- End function
	.set _ZN7rocprim17ROCPRIM_400000_NS6detail17trampoline_kernelINS0_14default_configENS1_38merge_sort_block_merge_config_selectorIsNS0_10empty_typeEEEZZNS1_27merge_sort_block_merge_implIS3_N6thrust23THRUST_200600_302600_NS6detail15normal_iteratorINS9_10device_ptrIsEEEEPS5_m11less_div_10IsEEE10hipError_tT0_T1_T2_jT3_P12ihipStream_tbPNSt15iterator_traitsISJ_E10value_typeEPNSP_ISK_E10value_typeEPSL_NS1_7vsmem_tEENKUlT_SJ_SK_SL_E_clISE_PsSF_SF_EESI_SY_SJ_SK_SL_EUlSY_E0_NS1_11comp_targetILNS1_3genE8ELNS1_11target_archE1030ELNS1_3gpuE2ELNS1_3repE0EEENS1_38merge_mergepath_config_static_selectorELNS0_4arch9wavefront6targetE0EEEvSK_.num_vgpr, 29
	.set _ZN7rocprim17ROCPRIM_400000_NS6detail17trampoline_kernelINS0_14default_configENS1_38merge_sort_block_merge_config_selectorIsNS0_10empty_typeEEEZZNS1_27merge_sort_block_merge_implIS3_N6thrust23THRUST_200600_302600_NS6detail15normal_iteratorINS9_10device_ptrIsEEEEPS5_m11less_div_10IsEEE10hipError_tT0_T1_T2_jT3_P12ihipStream_tbPNSt15iterator_traitsISJ_E10value_typeEPNSP_ISK_E10value_typeEPSL_NS1_7vsmem_tEENKUlT_SJ_SK_SL_E_clISE_PsSF_SF_EESI_SY_SJ_SK_SL_EUlSY_E0_NS1_11comp_targetILNS1_3genE8ELNS1_11target_archE1030ELNS1_3gpuE2ELNS1_3repE0EEENS1_38merge_mergepath_config_static_selectorELNS0_4arch9wavefront6targetE0EEEvSK_.num_agpr, 0
	.set _ZN7rocprim17ROCPRIM_400000_NS6detail17trampoline_kernelINS0_14default_configENS1_38merge_sort_block_merge_config_selectorIsNS0_10empty_typeEEEZZNS1_27merge_sort_block_merge_implIS3_N6thrust23THRUST_200600_302600_NS6detail15normal_iteratorINS9_10device_ptrIsEEEEPS5_m11less_div_10IsEEE10hipError_tT0_T1_T2_jT3_P12ihipStream_tbPNSt15iterator_traitsISJ_E10value_typeEPNSP_ISK_E10value_typeEPSL_NS1_7vsmem_tEENKUlT_SJ_SK_SL_E_clISE_PsSF_SF_EESI_SY_SJ_SK_SL_EUlSY_E0_NS1_11comp_targetILNS1_3genE8ELNS1_11target_archE1030ELNS1_3gpuE2ELNS1_3repE0EEENS1_38merge_mergepath_config_static_selectorELNS0_4arch9wavefront6targetE0EEEvSK_.numbered_sgpr, 31
	.set _ZN7rocprim17ROCPRIM_400000_NS6detail17trampoline_kernelINS0_14default_configENS1_38merge_sort_block_merge_config_selectorIsNS0_10empty_typeEEEZZNS1_27merge_sort_block_merge_implIS3_N6thrust23THRUST_200600_302600_NS6detail15normal_iteratorINS9_10device_ptrIsEEEEPS5_m11less_div_10IsEEE10hipError_tT0_T1_T2_jT3_P12ihipStream_tbPNSt15iterator_traitsISJ_E10value_typeEPNSP_ISK_E10value_typeEPSL_NS1_7vsmem_tEENKUlT_SJ_SK_SL_E_clISE_PsSF_SF_EESI_SY_SJ_SK_SL_EUlSY_E0_NS1_11comp_targetILNS1_3genE8ELNS1_11target_archE1030ELNS1_3gpuE2ELNS1_3repE0EEENS1_38merge_mergepath_config_static_selectorELNS0_4arch9wavefront6targetE0EEEvSK_.num_named_barrier, 0
	.set _ZN7rocprim17ROCPRIM_400000_NS6detail17trampoline_kernelINS0_14default_configENS1_38merge_sort_block_merge_config_selectorIsNS0_10empty_typeEEEZZNS1_27merge_sort_block_merge_implIS3_N6thrust23THRUST_200600_302600_NS6detail15normal_iteratorINS9_10device_ptrIsEEEEPS5_m11less_div_10IsEEE10hipError_tT0_T1_T2_jT3_P12ihipStream_tbPNSt15iterator_traitsISJ_E10value_typeEPNSP_ISK_E10value_typeEPSL_NS1_7vsmem_tEENKUlT_SJ_SK_SL_E_clISE_PsSF_SF_EESI_SY_SJ_SK_SL_EUlSY_E0_NS1_11comp_targetILNS1_3genE8ELNS1_11target_archE1030ELNS1_3gpuE2ELNS1_3repE0EEENS1_38merge_mergepath_config_static_selectorELNS0_4arch9wavefront6targetE0EEEvSK_.private_seg_size, 0
	.set _ZN7rocprim17ROCPRIM_400000_NS6detail17trampoline_kernelINS0_14default_configENS1_38merge_sort_block_merge_config_selectorIsNS0_10empty_typeEEEZZNS1_27merge_sort_block_merge_implIS3_N6thrust23THRUST_200600_302600_NS6detail15normal_iteratorINS9_10device_ptrIsEEEEPS5_m11less_div_10IsEEE10hipError_tT0_T1_T2_jT3_P12ihipStream_tbPNSt15iterator_traitsISJ_E10value_typeEPNSP_ISK_E10value_typeEPSL_NS1_7vsmem_tEENKUlT_SJ_SK_SL_E_clISE_PsSF_SF_EESI_SY_SJ_SK_SL_EUlSY_E0_NS1_11comp_targetILNS1_3genE8ELNS1_11target_archE1030ELNS1_3gpuE2ELNS1_3repE0EEENS1_38merge_mergepath_config_static_selectorELNS0_4arch9wavefront6targetE0EEEvSK_.uses_vcc, 1
	.set _ZN7rocprim17ROCPRIM_400000_NS6detail17trampoline_kernelINS0_14default_configENS1_38merge_sort_block_merge_config_selectorIsNS0_10empty_typeEEEZZNS1_27merge_sort_block_merge_implIS3_N6thrust23THRUST_200600_302600_NS6detail15normal_iteratorINS9_10device_ptrIsEEEEPS5_m11less_div_10IsEEE10hipError_tT0_T1_T2_jT3_P12ihipStream_tbPNSt15iterator_traitsISJ_E10value_typeEPNSP_ISK_E10value_typeEPSL_NS1_7vsmem_tEENKUlT_SJ_SK_SL_E_clISE_PsSF_SF_EESI_SY_SJ_SK_SL_EUlSY_E0_NS1_11comp_targetILNS1_3genE8ELNS1_11target_archE1030ELNS1_3gpuE2ELNS1_3repE0EEENS1_38merge_mergepath_config_static_selectorELNS0_4arch9wavefront6targetE0EEEvSK_.uses_flat_scratch, 0
	.set _ZN7rocprim17ROCPRIM_400000_NS6detail17trampoline_kernelINS0_14default_configENS1_38merge_sort_block_merge_config_selectorIsNS0_10empty_typeEEEZZNS1_27merge_sort_block_merge_implIS3_N6thrust23THRUST_200600_302600_NS6detail15normal_iteratorINS9_10device_ptrIsEEEEPS5_m11less_div_10IsEEE10hipError_tT0_T1_T2_jT3_P12ihipStream_tbPNSt15iterator_traitsISJ_E10value_typeEPNSP_ISK_E10value_typeEPSL_NS1_7vsmem_tEENKUlT_SJ_SK_SL_E_clISE_PsSF_SF_EESI_SY_SJ_SK_SL_EUlSY_E0_NS1_11comp_targetILNS1_3genE8ELNS1_11target_archE1030ELNS1_3gpuE2ELNS1_3repE0EEENS1_38merge_mergepath_config_static_selectorELNS0_4arch9wavefront6targetE0EEEvSK_.has_dyn_sized_stack, 0
	.set _ZN7rocprim17ROCPRIM_400000_NS6detail17trampoline_kernelINS0_14default_configENS1_38merge_sort_block_merge_config_selectorIsNS0_10empty_typeEEEZZNS1_27merge_sort_block_merge_implIS3_N6thrust23THRUST_200600_302600_NS6detail15normal_iteratorINS9_10device_ptrIsEEEEPS5_m11less_div_10IsEEE10hipError_tT0_T1_T2_jT3_P12ihipStream_tbPNSt15iterator_traitsISJ_E10value_typeEPNSP_ISK_E10value_typeEPSL_NS1_7vsmem_tEENKUlT_SJ_SK_SL_E_clISE_PsSF_SF_EESI_SY_SJ_SK_SL_EUlSY_E0_NS1_11comp_targetILNS1_3genE8ELNS1_11target_archE1030ELNS1_3gpuE2ELNS1_3repE0EEENS1_38merge_mergepath_config_static_selectorELNS0_4arch9wavefront6targetE0EEEvSK_.has_recursion, 0
	.set _ZN7rocprim17ROCPRIM_400000_NS6detail17trampoline_kernelINS0_14default_configENS1_38merge_sort_block_merge_config_selectorIsNS0_10empty_typeEEEZZNS1_27merge_sort_block_merge_implIS3_N6thrust23THRUST_200600_302600_NS6detail15normal_iteratorINS9_10device_ptrIsEEEEPS5_m11less_div_10IsEEE10hipError_tT0_T1_T2_jT3_P12ihipStream_tbPNSt15iterator_traitsISJ_E10value_typeEPNSP_ISK_E10value_typeEPSL_NS1_7vsmem_tEENKUlT_SJ_SK_SL_E_clISE_PsSF_SF_EESI_SY_SJ_SK_SL_EUlSY_E0_NS1_11comp_targetILNS1_3genE8ELNS1_11target_archE1030ELNS1_3gpuE2ELNS1_3repE0EEENS1_38merge_mergepath_config_static_selectorELNS0_4arch9wavefront6targetE0EEEvSK_.has_indirect_call, 0
	.section	.AMDGPU.csdata,"",@progbits
; Kernel info:
; codeLenInByte = 4804
; TotalNumSgprs: 33
; NumVgprs: 29
; ScratchSize: 0
; MemoryBound: 0
; FloatMode: 240
; IeeeMode: 1
; LDSByteSize: 2112 bytes/workgroup (compile time only)
; SGPRBlocks: 0
; VGPRBlocks: 3
; NumSGPRsForWavesPerEU: 33
; NumVGPRsForWavesPerEU: 29
; Occupancy: 16
; WaveLimiterHint : 1
; COMPUTE_PGM_RSRC2:SCRATCH_EN: 0
; COMPUTE_PGM_RSRC2:USER_SGPR: 6
; COMPUTE_PGM_RSRC2:TRAP_HANDLER: 0
; COMPUTE_PGM_RSRC2:TGID_X_EN: 1
; COMPUTE_PGM_RSRC2:TGID_Y_EN: 1
; COMPUTE_PGM_RSRC2:TGID_Z_EN: 1
; COMPUTE_PGM_RSRC2:TIDIG_COMP_CNT: 0
	.section	.text._ZN7rocprim17ROCPRIM_400000_NS6detail17trampoline_kernelINS0_14default_configENS1_38merge_sort_block_merge_config_selectorIsNS0_10empty_typeEEEZZNS1_27merge_sort_block_merge_implIS3_N6thrust23THRUST_200600_302600_NS6detail15normal_iteratorINS9_10device_ptrIsEEEEPS5_m11less_div_10IsEEE10hipError_tT0_T1_T2_jT3_P12ihipStream_tbPNSt15iterator_traitsISJ_E10value_typeEPNSP_ISK_E10value_typeEPSL_NS1_7vsmem_tEENKUlT_SJ_SK_SL_E_clISE_PsSF_SF_EESI_SY_SJ_SK_SL_EUlSY_E1_NS1_11comp_targetILNS1_3genE0ELNS1_11target_archE4294967295ELNS1_3gpuE0ELNS1_3repE0EEENS1_36merge_oddeven_config_static_selectorELNS0_4arch9wavefront6targetE0EEEvSK_,"axG",@progbits,_ZN7rocprim17ROCPRIM_400000_NS6detail17trampoline_kernelINS0_14default_configENS1_38merge_sort_block_merge_config_selectorIsNS0_10empty_typeEEEZZNS1_27merge_sort_block_merge_implIS3_N6thrust23THRUST_200600_302600_NS6detail15normal_iteratorINS9_10device_ptrIsEEEEPS5_m11less_div_10IsEEE10hipError_tT0_T1_T2_jT3_P12ihipStream_tbPNSt15iterator_traitsISJ_E10value_typeEPNSP_ISK_E10value_typeEPSL_NS1_7vsmem_tEENKUlT_SJ_SK_SL_E_clISE_PsSF_SF_EESI_SY_SJ_SK_SL_EUlSY_E1_NS1_11comp_targetILNS1_3genE0ELNS1_11target_archE4294967295ELNS1_3gpuE0ELNS1_3repE0EEENS1_36merge_oddeven_config_static_selectorELNS0_4arch9wavefront6targetE0EEEvSK_,comdat
	.protected	_ZN7rocprim17ROCPRIM_400000_NS6detail17trampoline_kernelINS0_14default_configENS1_38merge_sort_block_merge_config_selectorIsNS0_10empty_typeEEEZZNS1_27merge_sort_block_merge_implIS3_N6thrust23THRUST_200600_302600_NS6detail15normal_iteratorINS9_10device_ptrIsEEEEPS5_m11less_div_10IsEEE10hipError_tT0_T1_T2_jT3_P12ihipStream_tbPNSt15iterator_traitsISJ_E10value_typeEPNSP_ISK_E10value_typeEPSL_NS1_7vsmem_tEENKUlT_SJ_SK_SL_E_clISE_PsSF_SF_EESI_SY_SJ_SK_SL_EUlSY_E1_NS1_11comp_targetILNS1_3genE0ELNS1_11target_archE4294967295ELNS1_3gpuE0ELNS1_3repE0EEENS1_36merge_oddeven_config_static_selectorELNS0_4arch9wavefront6targetE0EEEvSK_ ; -- Begin function _ZN7rocprim17ROCPRIM_400000_NS6detail17trampoline_kernelINS0_14default_configENS1_38merge_sort_block_merge_config_selectorIsNS0_10empty_typeEEEZZNS1_27merge_sort_block_merge_implIS3_N6thrust23THRUST_200600_302600_NS6detail15normal_iteratorINS9_10device_ptrIsEEEEPS5_m11less_div_10IsEEE10hipError_tT0_T1_T2_jT3_P12ihipStream_tbPNSt15iterator_traitsISJ_E10value_typeEPNSP_ISK_E10value_typeEPSL_NS1_7vsmem_tEENKUlT_SJ_SK_SL_E_clISE_PsSF_SF_EESI_SY_SJ_SK_SL_EUlSY_E1_NS1_11comp_targetILNS1_3genE0ELNS1_11target_archE4294967295ELNS1_3gpuE0ELNS1_3repE0EEENS1_36merge_oddeven_config_static_selectorELNS0_4arch9wavefront6targetE0EEEvSK_
	.globl	_ZN7rocprim17ROCPRIM_400000_NS6detail17trampoline_kernelINS0_14default_configENS1_38merge_sort_block_merge_config_selectorIsNS0_10empty_typeEEEZZNS1_27merge_sort_block_merge_implIS3_N6thrust23THRUST_200600_302600_NS6detail15normal_iteratorINS9_10device_ptrIsEEEEPS5_m11less_div_10IsEEE10hipError_tT0_T1_T2_jT3_P12ihipStream_tbPNSt15iterator_traitsISJ_E10value_typeEPNSP_ISK_E10value_typeEPSL_NS1_7vsmem_tEENKUlT_SJ_SK_SL_E_clISE_PsSF_SF_EESI_SY_SJ_SK_SL_EUlSY_E1_NS1_11comp_targetILNS1_3genE0ELNS1_11target_archE4294967295ELNS1_3gpuE0ELNS1_3repE0EEENS1_36merge_oddeven_config_static_selectorELNS0_4arch9wavefront6targetE0EEEvSK_
	.p2align	8
	.type	_ZN7rocprim17ROCPRIM_400000_NS6detail17trampoline_kernelINS0_14default_configENS1_38merge_sort_block_merge_config_selectorIsNS0_10empty_typeEEEZZNS1_27merge_sort_block_merge_implIS3_N6thrust23THRUST_200600_302600_NS6detail15normal_iteratorINS9_10device_ptrIsEEEEPS5_m11less_div_10IsEEE10hipError_tT0_T1_T2_jT3_P12ihipStream_tbPNSt15iterator_traitsISJ_E10value_typeEPNSP_ISK_E10value_typeEPSL_NS1_7vsmem_tEENKUlT_SJ_SK_SL_E_clISE_PsSF_SF_EESI_SY_SJ_SK_SL_EUlSY_E1_NS1_11comp_targetILNS1_3genE0ELNS1_11target_archE4294967295ELNS1_3gpuE0ELNS1_3repE0EEENS1_36merge_oddeven_config_static_selectorELNS0_4arch9wavefront6targetE0EEEvSK_,@function
_ZN7rocprim17ROCPRIM_400000_NS6detail17trampoline_kernelINS0_14default_configENS1_38merge_sort_block_merge_config_selectorIsNS0_10empty_typeEEEZZNS1_27merge_sort_block_merge_implIS3_N6thrust23THRUST_200600_302600_NS6detail15normal_iteratorINS9_10device_ptrIsEEEEPS5_m11less_div_10IsEEE10hipError_tT0_T1_T2_jT3_P12ihipStream_tbPNSt15iterator_traitsISJ_E10value_typeEPNSP_ISK_E10value_typeEPSL_NS1_7vsmem_tEENKUlT_SJ_SK_SL_E_clISE_PsSF_SF_EESI_SY_SJ_SK_SL_EUlSY_E1_NS1_11comp_targetILNS1_3genE0ELNS1_11target_archE4294967295ELNS1_3gpuE0ELNS1_3repE0EEENS1_36merge_oddeven_config_static_selectorELNS0_4arch9wavefront6targetE0EEEvSK_: ; @_ZN7rocprim17ROCPRIM_400000_NS6detail17trampoline_kernelINS0_14default_configENS1_38merge_sort_block_merge_config_selectorIsNS0_10empty_typeEEEZZNS1_27merge_sort_block_merge_implIS3_N6thrust23THRUST_200600_302600_NS6detail15normal_iteratorINS9_10device_ptrIsEEEEPS5_m11less_div_10IsEEE10hipError_tT0_T1_T2_jT3_P12ihipStream_tbPNSt15iterator_traitsISJ_E10value_typeEPNSP_ISK_E10value_typeEPSL_NS1_7vsmem_tEENKUlT_SJ_SK_SL_E_clISE_PsSF_SF_EESI_SY_SJ_SK_SL_EUlSY_E1_NS1_11comp_targetILNS1_3genE0ELNS1_11target_archE4294967295ELNS1_3gpuE0ELNS1_3repE0EEENS1_36merge_oddeven_config_static_selectorELNS0_4arch9wavefront6targetE0EEEvSK_
; %bb.0:
	.section	.rodata,"a",@progbits
	.p2align	6, 0x0
	.amdhsa_kernel _ZN7rocprim17ROCPRIM_400000_NS6detail17trampoline_kernelINS0_14default_configENS1_38merge_sort_block_merge_config_selectorIsNS0_10empty_typeEEEZZNS1_27merge_sort_block_merge_implIS3_N6thrust23THRUST_200600_302600_NS6detail15normal_iteratorINS9_10device_ptrIsEEEEPS5_m11less_div_10IsEEE10hipError_tT0_T1_T2_jT3_P12ihipStream_tbPNSt15iterator_traitsISJ_E10value_typeEPNSP_ISK_E10value_typeEPSL_NS1_7vsmem_tEENKUlT_SJ_SK_SL_E_clISE_PsSF_SF_EESI_SY_SJ_SK_SL_EUlSY_E1_NS1_11comp_targetILNS1_3genE0ELNS1_11target_archE4294967295ELNS1_3gpuE0ELNS1_3repE0EEENS1_36merge_oddeven_config_static_selectorELNS0_4arch9wavefront6targetE0EEEvSK_
		.amdhsa_group_segment_fixed_size 0
		.amdhsa_private_segment_fixed_size 0
		.amdhsa_kernarg_size 56
		.amdhsa_user_sgpr_count 6
		.amdhsa_user_sgpr_private_segment_buffer 1
		.amdhsa_user_sgpr_dispatch_ptr 0
		.amdhsa_user_sgpr_queue_ptr 0
		.amdhsa_user_sgpr_kernarg_segment_ptr 1
		.amdhsa_user_sgpr_dispatch_id 0
		.amdhsa_user_sgpr_flat_scratch_init 0
		.amdhsa_user_sgpr_private_segment_size 0
		.amdhsa_wavefront_size32 1
		.amdhsa_uses_dynamic_stack 0
		.amdhsa_system_sgpr_private_segment_wavefront_offset 0
		.amdhsa_system_sgpr_workgroup_id_x 1
		.amdhsa_system_sgpr_workgroup_id_y 0
		.amdhsa_system_sgpr_workgroup_id_z 0
		.amdhsa_system_sgpr_workgroup_info 0
		.amdhsa_system_vgpr_workitem_id 0
		.amdhsa_next_free_vgpr 1
		.amdhsa_next_free_sgpr 1
		.amdhsa_reserve_vcc 0
		.amdhsa_reserve_flat_scratch 0
		.amdhsa_float_round_mode_32 0
		.amdhsa_float_round_mode_16_64 0
		.amdhsa_float_denorm_mode_32 3
		.amdhsa_float_denorm_mode_16_64 3
		.amdhsa_dx10_clamp 1
		.amdhsa_ieee_mode 1
		.amdhsa_fp16_overflow 0
		.amdhsa_workgroup_processor_mode 1
		.amdhsa_memory_ordered 1
		.amdhsa_forward_progress 1
		.amdhsa_shared_vgpr_count 0
		.amdhsa_exception_fp_ieee_invalid_op 0
		.amdhsa_exception_fp_denorm_src 0
		.amdhsa_exception_fp_ieee_div_zero 0
		.amdhsa_exception_fp_ieee_overflow 0
		.amdhsa_exception_fp_ieee_underflow 0
		.amdhsa_exception_fp_ieee_inexact 0
		.amdhsa_exception_int_div_zero 0
	.end_amdhsa_kernel
	.section	.text._ZN7rocprim17ROCPRIM_400000_NS6detail17trampoline_kernelINS0_14default_configENS1_38merge_sort_block_merge_config_selectorIsNS0_10empty_typeEEEZZNS1_27merge_sort_block_merge_implIS3_N6thrust23THRUST_200600_302600_NS6detail15normal_iteratorINS9_10device_ptrIsEEEEPS5_m11less_div_10IsEEE10hipError_tT0_T1_T2_jT3_P12ihipStream_tbPNSt15iterator_traitsISJ_E10value_typeEPNSP_ISK_E10value_typeEPSL_NS1_7vsmem_tEENKUlT_SJ_SK_SL_E_clISE_PsSF_SF_EESI_SY_SJ_SK_SL_EUlSY_E1_NS1_11comp_targetILNS1_3genE0ELNS1_11target_archE4294967295ELNS1_3gpuE0ELNS1_3repE0EEENS1_36merge_oddeven_config_static_selectorELNS0_4arch9wavefront6targetE0EEEvSK_,"axG",@progbits,_ZN7rocprim17ROCPRIM_400000_NS6detail17trampoline_kernelINS0_14default_configENS1_38merge_sort_block_merge_config_selectorIsNS0_10empty_typeEEEZZNS1_27merge_sort_block_merge_implIS3_N6thrust23THRUST_200600_302600_NS6detail15normal_iteratorINS9_10device_ptrIsEEEEPS5_m11less_div_10IsEEE10hipError_tT0_T1_T2_jT3_P12ihipStream_tbPNSt15iterator_traitsISJ_E10value_typeEPNSP_ISK_E10value_typeEPSL_NS1_7vsmem_tEENKUlT_SJ_SK_SL_E_clISE_PsSF_SF_EESI_SY_SJ_SK_SL_EUlSY_E1_NS1_11comp_targetILNS1_3genE0ELNS1_11target_archE4294967295ELNS1_3gpuE0ELNS1_3repE0EEENS1_36merge_oddeven_config_static_selectorELNS0_4arch9wavefront6targetE0EEEvSK_,comdat
.Lfunc_end564:
	.size	_ZN7rocprim17ROCPRIM_400000_NS6detail17trampoline_kernelINS0_14default_configENS1_38merge_sort_block_merge_config_selectorIsNS0_10empty_typeEEEZZNS1_27merge_sort_block_merge_implIS3_N6thrust23THRUST_200600_302600_NS6detail15normal_iteratorINS9_10device_ptrIsEEEEPS5_m11less_div_10IsEEE10hipError_tT0_T1_T2_jT3_P12ihipStream_tbPNSt15iterator_traitsISJ_E10value_typeEPNSP_ISK_E10value_typeEPSL_NS1_7vsmem_tEENKUlT_SJ_SK_SL_E_clISE_PsSF_SF_EESI_SY_SJ_SK_SL_EUlSY_E1_NS1_11comp_targetILNS1_3genE0ELNS1_11target_archE4294967295ELNS1_3gpuE0ELNS1_3repE0EEENS1_36merge_oddeven_config_static_selectorELNS0_4arch9wavefront6targetE0EEEvSK_, .Lfunc_end564-_ZN7rocprim17ROCPRIM_400000_NS6detail17trampoline_kernelINS0_14default_configENS1_38merge_sort_block_merge_config_selectorIsNS0_10empty_typeEEEZZNS1_27merge_sort_block_merge_implIS3_N6thrust23THRUST_200600_302600_NS6detail15normal_iteratorINS9_10device_ptrIsEEEEPS5_m11less_div_10IsEEE10hipError_tT0_T1_T2_jT3_P12ihipStream_tbPNSt15iterator_traitsISJ_E10value_typeEPNSP_ISK_E10value_typeEPSL_NS1_7vsmem_tEENKUlT_SJ_SK_SL_E_clISE_PsSF_SF_EESI_SY_SJ_SK_SL_EUlSY_E1_NS1_11comp_targetILNS1_3genE0ELNS1_11target_archE4294967295ELNS1_3gpuE0ELNS1_3repE0EEENS1_36merge_oddeven_config_static_selectorELNS0_4arch9wavefront6targetE0EEEvSK_
                                        ; -- End function
	.set _ZN7rocprim17ROCPRIM_400000_NS6detail17trampoline_kernelINS0_14default_configENS1_38merge_sort_block_merge_config_selectorIsNS0_10empty_typeEEEZZNS1_27merge_sort_block_merge_implIS3_N6thrust23THRUST_200600_302600_NS6detail15normal_iteratorINS9_10device_ptrIsEEEEPS5_m11less_div_10IsEEE10hipError_tT0_T1_T2_jT3_P12ihipStream_tbPNSt15iterator_traitsISJ_E10value_typeEPNSP_ISK_E10value_typeEPSL_NS1_7vsmem_tEENKUlT_SJ_SK_SL_E_clISE_PsSF_SF_EESI_SY_SJ_SK_SL_EUlSY_E1_NS1_11comp_targetILNS1_3genE0ELNS1_11target_archE4294967295ELNS1_3gpuE0ELNS1_3repE0EEENS1_36merge_oddeven_config_static_selectorELNS0_4arch9wavefront6targetE0EEEvSK_.num_vgpr, 0
	.set _ZN7rocprim17ROCPRIM_400000_NS6detail17trampoline_kernelINS0_14default_configENS1_38merge_sort_block_merge_config_selectorIsNS0_10empty_typeEEEZZNS1_27merge_sort_block_merge_implIS3_N6thrust23THRUST_200600_302600_NS6detail15normal_iteratorINS9_10device_ptrIsEEEEPS5_m11less_div_10IsEEE10hipError_tT0_T1_T2_jT3_P12ihipStream_tbPNSt15iterator_traitsISJ_E10value_typeEPNSP_ISK_E10value_typeEPSL_NS1_7vsmem_tEENKUlT_SJ_SK_SL_E_clISE_PsSF_SF_EESI_SY_SJ_SK_SL_EUlSY_E1_NS1_11comp_targetILNS1_3genE0ELNS1_11target_archE4294967295ELNS1_3gpuE0ELNS1_3repE0EEENS1_36merge_oddeven_config_static_selectorELNS0_4arch9wavefront6targetE0EEEvSK_.num_agpr, 0
	.set _ZN7rocprim17ROCPRIM_400000_NS6detail17trampoline_kernelINS0_14default_configENS1_38merge_sort_block_merge_config_selectorIsNS0_10empty_typeEEEZZNS1_27merge_sort_block_merge_implIS3_N6thrust23THRUST_200600_302600_NS6detail15normal_iteratorINS9_10device_ptrIsEEEEPS5_m11less_div_10IsEEE10hipError_tT0_T1_T2_jT3_P12ihipStream_tbPNSt15iterator_traitsISJ_E10value_typeEPNSP_ISK_E10value_typeEPSL_NS1_7vsmem_tEENKUlT_SJ_SK_SL_E_clISE_PsSF_SF_EESI_SY_SJ_SK_SL_EUlSY_E1_NS1_11comp_targetILNS1_3genE0ELNS1_11target_archE4294967295ELNS1_3gpuE0ELNS1_3repE0EEENS1_36merge_oddeven_config_static_selectorELNS0_4arch9wavefront6targetE0EEEvSK_.numbered_sgpr, 0
	.set _ZN7rocprim17ROCPRIM_400000_NS6detail17trampoline_kernelINS0_14default_configENS1_38merge_sort_block_merge_config_selectorIsNS0_10empty_typeEEEZZNS1_27merge_sort_block_merge_implIS3_N6thrust23THRUST_200600_302600_NS6detail15normal_iteratorINS9_10device_ptrIsEEEEPS5_m11less_div_10IsEEE10hipError_tT0_T1_T2_jT3_P12ihipStream_tbPNSt15iterator_traitsISJ_E10value_typeEPNSP_ISK_E10value_typeEPSL_NS1_7vsmem_tEENKUlT_SJ_SK_SL_E_clISE_PsSF_SF_EESI_SY_SJ_SK_SL_EUlSY_E1_NS1_11comp_targetILNS1_3genE0ELNS1_11target_archE4294967295ELNS1_3gpuE0ELNS1_3repE0EEENS1_36merge_oddeven_config_static_selectorELNS0_4arch9wavefront6targetE0EEEvSK_.num_named_barrier, 0
	.set _ZN7rocprim17ROCPRIM_400000_NS6detail17trampoline_kernelINS0_14default_configENS1_38merge_sort_block_merge_config_selectorIsNS0_10empty_typeEEEZZNS1_27merge_sort_block_merge_implIS3_N6thrust23THRUST_200600_302600_NS6detail15normal_iteratorINS9_10device_ptrIsEEEEPS5_m11less_div_10IsEEE10hipError_tT0_T1_T2_jT3_P12ihipStream_tbPNSt15iterator_traitsISJ_E10value_typeEPNSP_ISK_E10value_typeEPSL_NS1_7vsmem_tEENKUlT_SJ_SK_SL_E_clISE_PsSF_SF_EESI_SY_SJ_SK_SL_EUlSY_E1_NS1_11comp_targetILNS1_3genE0ELNS1_11target_archE4294967295ELNS1_3gpuE0ELNS1_3repE0EEENS1_36merge_oddeven_config_static_selectorELNS0_4arch9wavefront6targetE0EEEvSK_.private_seg_size, 0
	.set _ZN7rocprim17ROCPRIM_400000_NS6detail17trampoline_kernelINS0_14default_configENS1_38merge_sort_block_merge_config_selectorIsNS0_10empty_typeEEEZZNS1_27merge_sort_block_merge_implIS3_N6thrust23THRUST_200600_302600_NS6detail15normal_iteratorINS9_10device_ptrIsEEEEPS5_m11less_div_10IsEEE10hipError_tT0_T1_T2_jT3_P12ihipStream_tbPNSt15iterator_traitsISJ_E10value_typeEPNSP_ISK_E10value_typeEPSL_NS1_7vsmem_tEENKUlT_SJ_SK_SL_E_clISE_PsSF_SF_EESI_SY_SJ_SK_SL_EUlSY_E1_NS1_11comp_targetILNS1_3genE0ELNS1_11target_archE4294967295ELNS1_3gpuE0ELNS1_3repE0EEENS1_36merge_oddeven_config_static_selectorELNS0_4arch9wavefront6targetE0EEEvSK_.uses_vcc, 0
	.set _ZN7rocprim17ROCPRIM_400000_NS6detail17trampoline_kernelINS0_14default_configENS1_38merge_sort_block_merge_config_selectorIsNS0_10empty_typeEEEZZNS1_27merge_sort_block_merge_implIS3_N6thrust23THRUST_200600_302600_NS6detail15normal_iteratorINS9_10device_ptrIsEEEEPS5_m11less_div_10IsEEE10hipError_tT0_T1_T2_jT3_P12ihipStream_tbPNSt15iterator_traitsISJ_E10value_typeEPNSP_ISK_E10value_typeEPSL_NS1_7vsmem_tEENKUlT_SJ_SK_SL_E_clISE_PsSF_SF_EESI_SY_SJ_SK_SL_EUlSY_E1_NS1_11comp_targetILNS1_3genE0ELNS1_11target_archE4294967295ELNS1_3gpuE0ELNS1_3repE0EEENS1_36merge_oddeven_config_static_selectorELNS0_4arch9wavefront6targetE0EEEvSK_.uses_flat_scratch, 0
	.set _ZN7rocprim17ROCPRIM_400000_NS6detail17trampoline_kernelINS0_14default_configENS1_38merge_sort_block_merge_config_selectorIsNS0_10empty_typeEEEZZNS1_27merge_sort_block_merge_implIS3_N6thrust23THRUST_200600_302600_NS6detail15normal_iteratorINS9_10device_ptrIsEEEEPS5_m11less_div_10IsEEE10hipError_tT0_T1_T2_jT3_P12ihipStream_tbPNSt15iterator_traitsISJ_E10value_typeEPNSP_ISK_E10value_typeEPSL_NS1_7vsmem_tEENKUlT_SJ_SK_SL_E_clISE_PsSF_SF_EESI_SY_SJ_SK_SL_EUlSY_E1_NS1_11comp_targetILNS1_3genE0ELNS1_11target_archE4294967295ELNS1_3gpuE0ELNS1_3repE0EEENS1_36merge_oddeven_config_static_selectorELNS0_4arch9wavefront6targetE0EEEvSK_.has_dyn_sized_stack, 0
	.set _ZN7rocprim17ROCPRIM_400000_NS6detail17trampoline_kernelINS0_14default_configENS1_38merge_sort_block_merge_config_selectorIsNS0_10empty_typeEEEZZNS1_27merge_sort_block_merge_implIS3_N6thrust23THRUST_200600_302600_NS6detail15normal_iteratorINS9_10device_ptrIsEEEEPS5_m11less_div_10IsEEE10hipError_tT0_T1_T2_jT3_P12ihipStream_tbPNSt15iterator_traitsISJ_E10value_typeEPNSP_ISK_E10value_typeEPSL_NS1_7vsmem_tEENKUlT_SJ_SK_SL_E_clISE_PsSF_SF_EESI_SY_SJ_SK_SL_EUlSY_E1_NS1_11comp_targetILNS1_3genE0ELNS1_11target_archE4294967295ELNS1_3gpuE0ELNS1_3repE0EEENS1_36merge_oddeven_config_static_selectorELNS0_4arch9wavefront6targetE0EEEvSK_.has_recursion, 0
	.set _ZN7rocprim17ROCPRIM_400000_NS6detail17trampoline_kernelINS0_14default_configENS1_38merge_sort_block_merge_config_selectorIsNS0_10empty_typeEEEZZNS1_27merge_sort_block_merge_implIS3_N6thrust23THRUST_200600_302600_NS6detail15normal_iteratorINS9_10device_ptrIsEEEEPS5_m11less_div_10IsEEE10hipError_tT0_T1_T2_jT3_P12ihipStream_tbPNSt15iterator_traitsISJ_E10value_typeEPNSP_ISK_E10value_typeEPSL_NS1_7vsmem_tEENKUlT_SJ_SK_SL_E_clISE_PsSF_SF_EESI_SY_SJ_SK_SL_EUlSY_E1_NS1_11comp_targetILNS1_3genE0ELNS1_11target_archE4294967295ELNS1_3gpuE0ELNS1_3repE0EEENS1_36merge_oddeven_config_static_selectorELNS0_4arch9wavefront6targetE0EEEvSK_.has_indirect_call, 0
	.section	.AMDGPU.csdata,"",@progbits
; Kernel info:
; codeLenInByte = 0
; TotalNumSgprs: 0
; NumVgprs: 0
; ScratchSize: 0
; MemoryBound: 0
; FloatMode: 240
; IeeeMode: 1
; LDSByteSize: 0 bytes/workgroup (compile time only)
; SGPRBlocks: 0
; VGPRBlocks: 0
; NumSGPRsForWavesPerEU: 1
; NumVGPRsForWavesPerEU: 1
; Occupancy: 16
; WaveLimiterHint : 0
; COMPUTE_PGM_RSRC2:SCRATCH_EN: 0
; COMPUTE_PGM_RSRC2:USER_SGPR: 6
; COMPUTE_PGM_RSRC2:TRAP_HANDLER: 0
; COMPUTE_PGM_RSRC2:TGID_X_EN: 1
; COMPUTE_PGM_RSRC2:TGID_Y_EN: 0
; COMPUTE_PGM_RSRC2:TGID_Z_EN: 0
; COMPUTE_PGM_RSRC2:TIDIG_COMP_CNT: 0
	.section	.text._ZN7rocprim17ROCPRIM_400000_NS6detail17trampoline_kernelINS0_14default_configENS1_38merge_sort_block_merge_config_selectorIsNS0_10empty_typeEEEZZNS1_27merge_sort_block_merge_implIS3_N6thrust23THRUST_200600_302600_NS6detail15normal_iteratorINS9_10device_ptrIsEEEEPS5_m11less_div_10IsEEE10hipError_tT0_T1_T2_jT3_P12ihipStream_tbPNSt15iterator_traitsISJ_E10value_typeEPNSP_ISK_E10value_typeEPSL_NS1_7vsmem_tEENKUlT_SJ_SK_SL_E_clISE_PsSF_SF_EESI_SY_SJ_SK_SL_EUlSY_E1_NS1_11comp_targetILNS1_3genE10ELNS1_11target_archE1201ELNS1_3gpuE5ELNS1_3repE0EEENS1_36merge_oddeven_config_static_selectorELNS0_4arch9wavefront6targetE0EEEvSK_,"axG",@progbits,_ZN7rocprim17ROCPRIM_400000_NS6detail17trampoline_kernelINS0_14default_configENS1_38merge_sort_block_merge_config_selectorIsNS0_10empty_typeEEEZZNS1_27merge_sort_block_merge_implIS3_N6thrust23THRUST_200600_302600_NS6detail15normal_iteratorINS9_10device_ptrIsEEEEPS5_m11less_div_10IsEEE10hipError_tT0_T1_T2_jT3_P12ihipStream_tbPNSt15iterator_traitsISJ_E10value_typeEPNSP_ISK_E10value_typeEPSL_NS1_7vsmem_tEENKUlT_SJ_SK_SL_E_clISE_PsSF_SF_EESI_SY_SJ_SK_SL_EUlSY_E1_NS1_11comp_targetILNS1_3genE10ELNS1_11target_archE1201ELNS1_3gpuE5ELNS1_3repE0EEENS1_36merge_oddeven_config_static_selectorELNS0_4arch9wavefront6targetE0EEEvSK_,comdat
	.protected	_ZN7rocprim17ROCPRIM_400000_NS6detail17trampoline_kernelINS0_14default_configENS1_38merge_sort_block_merge_config_selectorIsNS0_10empty_typeEEEZZNS1_27merge_sort_block_merge_implIS3_N6thrust23THRUST_200600_302600_NS6detail15normal_iteratorINS9_10device_ptrIsEEEEPS5_m11less_div_10IsEEE10hipError_tT0_T1_T2_jT3_P12ihipStream_tbPNSt15iterator_traitsISJ_E10value_typeEPNSP_ISK_E10value_typeEPSL_NS1_7vsmem_tEENKUlT_SJ_SK_SL_E_clISE_PsSF_SF_EESI_SY_SJ_SK_SL_EUlSY_E1_NS1_11comp_targetILNS1_3genE10ELNS1_11target_archE1201ELNS1_3gpuE5ELNS1_3repE0EEENS1_36merge_oddeven_config_static_selectorELNS0_4arch9wavefront6targetE0EEEvSK_ ; -- Begin function _ZN7rocprim17ROCPRIM_400000_NS6detail17trampoline_kernelINS0_14default_configENS1_38merge_sort_block_merge_config_selectorIsNS0_10empty_typeEEEZZNS1_27merge_sort_block_merge_implIS3_N6thrust23THRUST_200600_302600_NS6detail15normal_iteratorINS9_10device_ptrIsEEEEPS5_m11less_div_10IsEEE10hipError_tT0_T1_T2_jT3_P12ihipStream_tbPNSt15iterator_traitsISJ_E10value_typeEPNSP_ISK_E10value_typeEPSL_NS1_7vsmem_tEENKUlT_SJ_SK_SL_E_clISE_PsSF_SF_EESI_SY_SJ_SK_SL_EUlSY_E1_NS1_11comp_targetILNS1_3genE10ELNS1_11target_archE1201ELNS1_3gpuE5ELNS1_3repE0EEENS1_36merge_oddeven_config_static_selectorELNS0_4arch9wavefront6targetE0EEEvSK_
	.globl	_ZN7rocprim17ROCPRIM_400000_NS6detail17trampoline_kernelINS0_14default_configENS1_38merge_sort_block_merge_config_selectorIsNS0_10empty_typeEEEZZNS1_27merge_sort_block_merge_implIS3_N6thrust23THRUST_200600_302600_NS6detail15normal_iteratorINS9_10device_ptrIsEEEEPS5_m11less_div_10IsEEE10hipError_tT0_T1_T2_jT3_P12ihipStream_tbPNSt15iterator_traitsISJ_E10value_typeEPNSP_ISK_E10value_typeEPSL_NS1_7vsmem_tEENKUlT_SJ_SK_SL_E_clISE_PsSF_SF_EESI_SY_SJ_SK_SL_EUlSY_E1_NS1_11comp_targetILNS1_3genE10ELNS1_11target_archE1201ELNS1_3gpuE5ELNS1_3repE0EEENS1_36merge_oddeven_config_static_selectorELNS0_4arch9wavefront6targetE0EEEvSK_
	.p2align	8
	.type	_ZN7rocprim17ROCPRIM_400000_NS6detail17trampoline_kernelINS0_14default_configENS1_38merge_sort_block_merge_config_selectorIsNS0_10empty_typeEEEZZNS1_27merge_sort_block_merge_implIS3_N6thrust23THRUST_200600_302600_NS6detail15normal_iteratorINS9_10device_ptrIsEEEEPS5_m11less_div_10IsEEE10hipError_tT0_T1_T2_jT3_P12ihipStream_tbPNSt15iterator_traitsISJ_E10value_typeEPNSP_ISK_E10value_typeEPSL_NS1_7vsmem_tEENKUlT_SJ_SK_SL_E_clISE_PsSF_SF_EESI_SY_SJ_SK_SL_EUlSY_E1_NS1_11comp_targetILNS1_3genE10ELNS1_11target_archE1201ELNS1_3gpuE5ELNS1_3repE0EEENS1_36merge_oddeven_config_static_selectorELNS0_4arch9wavefront6targetE0EEEvSK_,@function
_ZN7rocprim17ROCPRIM_400000_NS6detail17trampoline_kernelINS0_14default_configENS1_38merge_sort_block_merge_config_selectorIsNS0_10empty_typeEEEZZNS1_27merge_sort_block_merge_implIS3_N6thrust23THRUST_200600_302600_NS6detail15normal_iteratorINS9_10device_ptrIsEEEEPS5_m11less_div_10IsEEE10hipError_tT0_T1_T2_jT3_P12ihipStream_tbPNSt15iterator_traitsISJ_E10value_typeEPNSP_ISK_E10value_typeEPSL_NS1_7vsmem_tEENKUlT_SJ_SK_SL_E_clISE_PsSF_SF_EESI_SY_SJ_SK_SL_EUlSY_E1_NS1_11comp_targetILNS1_3genE10ELNS1_11target_archE1201ELNS1_3gpuE5ELNS1_3repE0EEENS1_36merge_oddeven_config_static_selectorELNS0_4arch9wavefront6targetE0EEEvSK_: ; @_ZN7rocprim17ROCPRIM_400000_NS6detail17trampoline_kernelINS0_14default_configENS1_38merge_sort_block_merge_config_selectorIsNS0_10empty_typeEEEZZNS1_27merge_sort_block_merge_implIS3_N6thrust23THRUST_200600_302600_NS6detail15normal_iteratorINS9_10device_ptrIsEEEEPS5_m11less_div_10IsEEE10hipError_tT0_T1_T2_jT3_P12ihipStream_tbPNSt15iterator_traitsISJ_E10value_typeEPNSP_ISK_E10value_typeEPSL_NS1_7vsmem_tEENKUlT_SJ_SK_SL_E_clISE_PsSF_SF_EESI_SY_SJ_SK_SL_EUlSY_E1_NS1_11comp_targetILNS1_3genE10ELNS1_11target_archE1201ELNS1_3gpuE5ELNS1_3repE0EEENS1_36merge_oddeven_config_static_selectorELNS0_4arch9wavefront6targetE0EEEvSK_
; %bb.0:
	.section	.rodata,"a",@progbits
	.p2align	6, 0x0
	.amdhsa_kernel _ZN7rocprim17ROCPRIM_400000_NS6detail17trampoline_kernelINS0_14default_configENS1_38merge_sort_block_merge_config_selectorIsNS0_10empty_typeEEEZZNS1_27merge_sort_block_merge_implIS3_N6thrust23THRUST_200600_302600_NS6detail15normal_iteratorINS9_10device_ptrIsEEEEPS5_m11less_div_10IsEEE10hipError_tT0_T1_T2_jT3_P12ihipStream_tbPNSt15iterator_traitsISJ_E10value_typeEPNSP_ISK_E10value_typeEPSL_NS1_7vsmem_tEENKUlT_SJ_SK_SL_E_clISE_PsSF_SF_EESI_SY_SJ_SK_SL_EUlSY_E1_NS1_11comp_targetILNS1_3genE10ELNS1_11target_archE1201ELNS1_3gpuE5ELNS1_3repE0EEENS1_36merge_oddeven_config_static_selectorELNS0_4arch9wavefront6targetE0EEEvSK_
		.amdhsa_group_segment_fixed_size 0
		.amdhsa_private_segment_fixed_size 0
		.amdhsa_kernarg_size 56
		.amdhsa_user_sgpr_count 6
		.amdhsa_user_sgpr_private_segment_buffer 1
		.amdhsa_user_sgpr_dispatch_ptr 0
		.amdhsa_user_sgpr_queue_ptr 0
		.amdhsa_user_sgpr_kernarg_segment_ptr 1
		.amdhsa_user_sgpr_dispatch_id 0
		.amdhsa_user_sgpr_flat_scratch_init 0
		.amdhsa_user_sgpr_private_segment_size 0
		.amdhsa_wavefront_size32 1
		.amdhsa_uses_dynamic_stack 0
		.amdhsa_system_sgpr_private_segment_wavefront_offset 0
		.amdhsa_system_sgpr_workgroup_id_x 1
		.amdhsa_system_sgpr_workgroup_id_y 0
		.amdhsa_system_sgpr_workgroup_id_z 0
		.amdhsa_system_sgpr_workgroup_info 0
		.amdhsa_system_vgpr_workitem_id 0
		.amdhsa_next_free_vgpr 1
		.amdhsa_next_free_sgpr 1
		.amdhsa_reserve_vcc 0
		.amdhsa_reserve_flat_scratch 0
		.amdhsa_float_round_mode_32 0
		.amdhsa_float_round_mode_16_64 0
		.amdhsa_float_denorm_mode_32 3
		.amdhsa_float_denorm_mode_16_64 3
		.amdhsa_dx10_clamp 1
		.amdhsa_ieee_mode 1
		.amdhsa_fp16_overflow 0
		.amdhsa_workgroup_processor_mode 1
		.amdhsa_memory_ordered 1
		.amdhsa_forward_progress 1
		.amdhsa_shared_vgpr_count 0
		.amdhsa_exception_fp_ieee_invalid_op 0
		.amdhsa_exception_fp_denorm_src 0
		.amdhsa_exception_fp_ieee_div_zero 0
		.amdhsa_exception_fp_ieee_overflow 0
		.amdhsa_exception_fp_ieee_underflow 0
		.amdhsa_exception_fp_ieee_inexact 0
		.amdhsa_exception_int_div_zero 0
	.end_amdhsa_kernel
	.section	.text._ZN7rocprim17ROCPRIM_400000_NS6detail17trampoline_kernelINS0_14default_configENS1_38merge_sort_block_merge_config_selectorIsNS0_10empty_typeEEEZZNS1_27merge_sort_block_merge_implIS3_N6thrust23THRUST_200600_302600_NS6detail15normal_iteratorINS9_10device_ptrIsEEEEPS5_m11less_div_10IsEEE10hipError_tT0_T1_T2_jT3_P12ihipStream_tbPNSt15iterator_traitsISJ_E10value_typeEPNSP_ISK_E10value_typeEPSL_NS1_7vsmem_tEENKUlT_SJ_SK_SL_E_clISE_PsSF_SF_EESI_SY_SJ_SK_SL_EUlSY_E1_NS1_11comp_targetILNS1_3genE10ELNS1_11target_archE1201ELNS1_3gpuE5ELNS1_3repE0EEENS1_36merge_oddeven_config_static_selectorELNS0_4arch9wavefront6targetE0EEEvSK_,"axG",@progbits,_ZN7rocprim17ROCPRIM_400000_NS6detail17trampoline_kernelINS0_14default_configENS1_38merge_sort_block_merge_config_selectorIsNS0_10empty_typeEEEZZNS1_27merge_sort_block_merge_implIS3_N6thrust23THRUST_200600_302600_NS6detail15normal_iteratorINS9_10device_ptrIsEEEEPS5_m11less_div_10IsEEE10hipError_tT0_T1_T2_jT3_P12ihipStream_tbPNSt15iterator_traitsISJ_E10value_typeEPNSP_ISK_E10value_typeEPSL_NS1_7vsmem_tEENKUlT_SJ_SK_SL_E_clISE_PsSF_SF_EESI_SY_SJ_SK_SL_EUlSY_E1_NS1_11comp_targetILNS1_3genE10ELNS1_11target_archE1201ELNS1_3gpuE5ELNS1_3repE0EEENS1_36merge_oddeven_config_static_selectorELNS0_4arch9wavefront6targetE0EEEvSK_,comdat
.Lfunc_end565:
	.size	_ZN7rocprim17ROCPRIM_400000_NS6detail17trampoline_kernelINS0_14default_configENS1_38merge_sort_block_merge_config_selectorIsNS0_10empty_typeEEEZZNS1_27merge_sort_block_merge_implIS3_N6thrust23THRUST_200600_302600_NS6detail15normal_iteratorINS9_10device_ptrIsEEEEPS5_m11less_div_10IsEEE10hipError_tT0_T1_T2_jT3_P12ihipStream_tbPNSt15iterator_traitsISJ_E10value_typeEPNSP_ISK_E10value_typeEPSL_NS1_7vsmem_tEENKUlT_SJ_SK_SL_E_clISE_PsSF_SF_EESI_SY_SJ_SK_SL_EUlSY_E1_NS1_11comp_targetILNS1_3genE10ELNS1_11target_archE1201ELNS1_3gpuE5ELNS1_3repE0EEENS1_36merge_oddeven_config_static_selectorELNS0_4arch9wavefront6targetE0EEEvSK_, .Lfunc_end565-_ZN7rocprim17ROCPRIM_400000_NS6detail17trampoline_kernelINS0_14default_configENS1_38merge_sort_block_merge_config_selectorIsNS0_10empty_typeEEEZZNS1_27merge_sort_block_merge_implIS3_N6thrust23THRUST_200600_302600_NS6detail15normal_iteratorINS9_10device_ptrIsEEEEPS5_m11less_div_10IsEEE10hipError_tT0_T1_T2_jT3_P12ihipStream_tbPNSt15iterator_traitsISJ_E10value_typeEPNSP_ISK_E10value_typeEPSL_NS1_7vsmem_tEENKUlT_SJ_SK_SL_E_clISE_PsSF_SF_EESI_SY_SJ_SK_SL_EUlSY_E1_NS1_11comp_targetILNS1_3genE10ELNS1_11target_archE1201ELNS1_3gpuE5ELNS1_3repE0EEENS1_36merge_oddeven_config_static_selectorELNS0_4arch9wavefront6targetE0EEEvSK_
                                        ; -- End function
	.set _ZN7rocprim17ROCPRIM_400000_NS6detail17trampoline_kernelINS0_14default_configENS1_38merge_sort_block_merge_config_selectorIsNS0_10empty_typeEEEZZNS1_27merge_sort_block_merge_implIS3_N6thrust23THRUST_200600_302600_NS6detail15normal_iteratorINS9_10device_ptrIsEEEEPS5_m11less_div_10IsEEE10hipError_tT0_T1_T2_jT3_P12ihipStream_tbPNSt15iterator_traitsISJ_E10value_typeEPNSP_ISK_E10value_typeEPSL_NS1_7vsmem_tEENKUlT_SJ_SK_SL_E_clISE_PsSF_SF_EESI_SY_SJ_SK_SL_EUlSY_E1_NS1_11comp_targetILNS1_3genE10ELNS1_11target_archE1201ELNS1_3gpuE5ELNS1_3repE0EEENS1_36merge_oddeven_config_static_selectorELNS0_4arch9wavefront6targetE0EEEvSK_.num_vgpr, 0
	.set _ZN7rocprim17ROCPRIM_400000_NS6detail17trampoline_kernelINS0_14default_configENS1_38merge_sort_block_merge_config_selectorIsNS0_10empty_typeEEEZZNS1_27merge_sort_block_merge_implIS3_N6thrust23THRUST_200600_302600_NS6detail15normal_iteratorINS9_10device_ptrIsEEEEPS5_m11less_div_10IsEEE10hipError_tT0_T1_T2_jT3_P12ihipStream_tbPNSt15iterator_traitsISJ_E10value_typeEPNSP_ISK_E10value_typeEPSL_NS1_7vsmem_tEENKUlT_SJ_SK_SL_E_clISE_PsSF_SF_EESI_SY_SJ_SK_SL_EUlSY_E1_NS1_11comp_targetILNS1_3genE10ELNS1_11target_archE1201ELNS1_3gpuE5ELNS1_3repE0EEENS1_36merge_oddeven_config_static_selectorELNS0_4arch9wavefront6targetE0EEEvSK_.num_agpr, 0
	.set _ZN7rocprim17ROCPRIM_400000_NS6detail17trampoline_kernelINS0_14default_configENS1_38merge_sort_block_merge_config_selectorIsNS0_10empty_typeEEEZZNS1_27merge_sort_block_merge_implIS3_N6thrust23THRUST_200600_302600_NS6detail15normal_iteratorINS9_10device_ptrIsEEEEPS5_m11less_div_10IsEEE10hipError_tT0_T1_T2_jT3_P12ihipStream_tbPNSt15iterator_traitsISJ_E10value_typeEPNSP_ISK_E10value_typeEPSL_NS1_7vsmem_tEENKUlT_SJ_SK_SL_E_clISE_PsSF_SF_EESI_SY_SJ_SK_SL_EUlSY_E1_NS1_11comp_targetILNS1_3genE10ELNS1_11target_archE1201ELNS1_3gpuE5ELNS1_3repE0EEENS1_36merge_oddeven_config_static_selectorELNS0_4arch9wavefront6targetE0EEEvSK_.numbered_sgpr, 0
	.set _ZN7rocprim17ROCPRIM_400000_NS6detail17trampoline_kernelINS0_14default_configENS1_38merge_sort_block_merge_config_selectorIsNS0_10empty_typeEEEZZNS1_27merge_sort_block_merge_implIS3_N6thrust23THRUST_200600_302600_NS6detail15normal_iteratorINS9_10device_ptrIsEEEEPS5_m11less_div_10IsEEE10hipError_tT0_T1_T2_jT3_P12ihipStream_tbPNSt15iterator_traitsISJ_E10value_typeEPNSP_ISK_E10value_typeEPSL_NS1_7vsmem_tEENKUlT_SJ_SK_SL_E_clISE_PsSF_SF_EESI_SY_SJ_SK_SL_EUlSY_E1_NS1_11comp_targetILNS1_3genE10ELNS1_11target_archE1201ELNS1_3gpuE5ELNS1_3repE0EEENS1_36merge_oddeven_config_static_selectorELNS0_4arch9wavefront6targetE0EEEvSK_.num_named_barrier, 0
	.set _ZN7rocprim17ROCPRIM_400000_NS6detail17trampoline_kernelINS0_14default_configENS1_38merge_sort_block_merge_config_selectorIsNS0_10empty_typeEEEZZNS1_27merge_sort_block_merge_implIS3_N6thrust23THRUST_200600_302600_NS6detail15normal_iteratorINS9_10device_ptrIsEEEEPS5_m11less_div_10IsEEE10hipError_tT0_T1_T2_jT3_P12ihipStream_tbPNSt15iterator_traitsISJ_E10value_typeEPNSP_ISK_E10value_typeEPSL_NS1_7vsmem_tEENKUlT_SJ_SK_SL_E_clISE_PsSF_SF_EESI_SY_SJ_SK_SL_EUlSY_E1_NS1_11comp_targetILNS1_3genE10ELNS1_11target_archE1201ELNS1_3gpuE5ELNS1_3repE0EEENS1_36merge_oddeven_config_static_selectorELNS0_4arch9wavefront6targetE0EEEvSK_.private_seg_size, 0
	.set _ZN7rocprim17ROCPRIM_400000_NS6detail17trampoline_kernelINS0_14default_configENS1_38merge_sort_block_merge_config_selectorIsNS0_10empty_typeEEEZZNS1_27merge_sort_block_merge_implIS3_N6thrust23THRUST_200600_302600_NS6detail15normal_iteratorINS9_10device_ptrIsEEEEPS5_m11less_div_10IsEEE10hipError_tT0_T1_T2_jT3_P12ihipStream_tbPNSt15iterator_traitsISJ_E10value_typeEPNSP_ISK_E10value_typeEPSL_NS1_7vsmem_tEENKUlT_SJ_SK_SL_E_clISE_PsSF_SF_EESI_SY_SJ_SK_SL_EUlSY_E1_NS1_11comp_targetILNS1_3genE10ELNS1_11target_archE1201ELNS1_3gpuE5ELNS1_3repE0EEENS1_36merge_oddeven_config_static_selectorELNS0_4arch9wavefront6targetE0EEEvSK_.uses_vcc, 0
	.set _ZN7rocprim17ROCPRIM_400000_NS6detail17trampoline_kernelINS0_14default_configENS1_38merge_sort_block_merge_config_selectorIsNS0_10empty_typeEEEZZNS1_27merge_sort_block_merge_implIS3_N6thrust23THRUST_200600_302600_NS6detail15normal_iteratorINS9_10device_ptrIsEEEEPS5_m11less_div_10IsEEE10hipError_tT0_T1_T2_jT3_P12ihipStream_tbPNSt15iterator_traitsISJ_E10value_typeEPNSP_ISK_E10value_typeEPSL_NS1_7vsmem_tEENKUlT_SJ_SK_SL_E_clISE_PsSF_SF_EESI_SY_SJ_SK_SL_EUlSY_E1_NS1_11comp_targetILNS1_3genE10ELNS1_11target_archE1201ELNS1_3gpuE5ELNS1_3repE0EEENS1_36merge_oddeven_config_static_selectorELNS0_4arch9wavefront6targetE0EEEvSK_.uses_flat_scratch, 0
	.set _ZN7rocprim17ROCPRIM_400000_NS6detail17trampoline_kernelINS0_14default_configENS1_38merge_sort_block_merge_config_selectorIsNS0_10empty_typeEEEZZNS1_27merge_sort_block_merge_implIS3_N6thrust23THRUST_200600_302600_NS6detail15normal_iteratorINS9_10device_ptrIsEEEEPS5_m11less_div_10IsEEE10hipError_tT0_T1_T2_jT3_P12ihipStream_tbPNSt15iterator_traitsISJ_E10value_typeEPNSP_ISK_E10value_typeEPSL_NS1_7vsmem_tEENKUlT_SJ_SK_SL_E_clISE_PsSF_SF_EESI_SY_SJ_SK_SL_EUlSY_E1_NS1_11comp_targetILNS1_3genE10ELNS1_11target_archE1201ELNS1_3gpuE5ELNS1_3repE0EEENS1_36merge_oddeven_config_static_selectorELNS0_4arch9wavefront6targetE0EEEvSK_.has_dyn_sized_stack, 0
	.set _ZN7rocprim17ROCPRIM_400000_NS6detail17trampoline_kernelINS0_14default_configENS1_38merge_sort_block_merge_config_selectorIsNS0_10empty_typeEEEZZNS1_27merge_sort_block_merge_implIS3_N6thrust23THRUST_200600_302600_NS6detail15normal_iteratorINS9_10device_ptrIsEEEEPS5_m11less_div_10IsEEE10hipError_tT0_T1_T2_jT3_P12ihipStream_tbPNSt15iterator_traitsISJ_E10value_typeEPNSP_ISK_E10value_typeEPSL_NS1_7vsmem_tEENKUlT_SJ_SK_SL_E_clISE_PsSF_SF_EESI_SY_SJ_SK_SL_EUlSY_E1_NS1_11comp_targetILNS1_3genE10ELNS1_11target_archE1201ELNS1_3gpuE5ELNS1_3repE0EEENS1_36merge_oddeven_config_static_selectorELNS0_4arch9wavefront6targetE0EEEvSK_.has_recursion, 0
	.set _ZN7rocprim17ROCPRIM_400000_NS6detail17trampoline_kernelINS0_14default_configENS1_38merge_sort_block_merge_config_selectorIsNS0_10empty_typeEEEZZNS1_27merge_sort_block_merge_implIS3_N6thrust23THRUST_200600_302600_NS6detail15normal_iteratorINS9_10device_ptrIsEEEEPS5_m11less_div_10IsEEE10hipError_tT0_T1_T2_jT3_P12ihipStream_tbPNSt15iterator_traitsISJ_E10value_typeEPNSP_ISK_E10value_typeEPSL_NS1_7vsmem_tEENKUlT_SJ_SK_SL_E_clISE_PsSF_SF_EESI_SY_SJ_SK_SL_EUlSY_E1_NS1_11comp_targetILNS1_3genE10ELNS1_11target_archE1201ELNS1_3gpuE5ELNS1_3repE0EEENS1_36merge_oddeven_config_static_selectorELNS0_4arch9wavefront6targetE0EEEvSK_.has_indirect_call, 0
	.section	.AMDGPU.csdata,"",@progbits
; Kernel info:
; codeLenInByte = 0
; TotalNumSgprs: 0
; NumVgprs: 0
; ScratchSize: 0
; MemoryBound: 0
; FloatMode: 240
; IeeeMode: 1
; LDSByteSize: 0 bytes/workgroup (compile time only)
; SGPRBlocks: 0
; VGPRBlocks: 0
; NumSGPRsForWavesPerEU: 1
; NumVGPRsForWavesPerEU: 1
; Occupancy: 16
; WaveLimiterHint : 0
; COMPUTE_PGM_RSRC2:SCRATCH_EN: 0
; COMPUTE_PGM_RSRC2:USER_SGPR: 6
; COMPUTE_PGM_RSRC2:TRAP_HANDLER: 0
; COMPUTE_PGM_RSRC2:TGID_X_EN: 1
; COMPUTE_PGM_RSRC2:TGID_Y_EN: 0
; COMPUTE_PGM_RSRC2:TGID_Z_EN: 0
; COMPUTE_PGM_RSRC2:TIDIG_COMP_CNT: 0
	.section	.text._ZN7rocprim17ROCPRIM_400000_NS6detail17trampoline_kernelINS0_14default_configENS1_38merge_sort_block_merge_config_selectorIsNS0_10empty_typeEEEZZNS1_27merge_sort_block_merge_implIS3_N6thrust23THRUST_200600_302600_NS6detail15normal_iteratorINS9_10device_ptrIsEEEEPS5_m11less_div_10IsEEE10hipError_tT0_T1_T2_jT3_P12ihipStream_tbPNSt15iterator_traitsISJ_E10value_typeEPNSP_ISK_E10value_typeEPSL_NS1_7vsmem_tEENKUlT_SJ_SK_SL_E_clISE_PsSF_SF_EESI_SY_SJ_SK_SL_EUlSY_E1_NS1_11comp_targetILNS1_3genE5ELNS1_11target_archE942ELNS1_3gpuE9ELNS1_3repE0EEENS1_36merge_oddeven_config_static_selectorELNS0_4arch9wavefront6targetE0EEEvSK_,"axG",@progbits,_ZN7rocprim17ROCPRIM_400000_NS6detail17trampoline_kernelINS0_14default_configENS1_38merge_sort_block_merge_config_selectorIsNS0_10empty_typeEEEZZNS1_27merge_sort_block_merge_implIS3_N6thrust23THRUST_200600_302600_NS6detail15normal_iteratorINS9_10device_ptrIsEEEEPS5_m11less_div_10IsEEE10hipError_tT0_T1_T2_jT3_P12ihipStream_tbPNSt15iterator_traitsISJ_E10value_typeEPNSP_ISK_E10value_typeEPSL_NS1_7vsmem_tEENKUlT_SJ_SK_SL_E_clISE_PsSF_SF_EESI_SY_SJ_SK_SL_EUlSY_E1_NS1_11comp_targetILNS1_3genE5ELNS1_11target_archE942ELNS1_3gpuE9ELNS1_3repE0EEENS1_36merge_oddeven_config_static_selectorELNS0_4arch9wavefront6targetE0EEEvSK_,comdat
	.protected	_ZN7rocprim17ROCPRIM_400000_NS6detail17trampoline_kernelINS0_14default_configENS1_38merge_sort_block_merge_config_selectorIsNS0_10empty_typeEEEZZNS1_27merge_sort_block_merge_implIS3_N6thrust23THRUST_200600_302600_NS6detail15normal_iteratorINS9_10device_ptrIsEEEEPS5_m11less_div_10IsEEE10hipError_tT0_T1_T2_jT3_P12ihipStream_tbPNSt15iterator_traitsISJ_E10value_typeEPNSP_ISK_E10value_typeEPSL_NS1_7vsmem_tEENKUlT_SJ_SK_SL_E_clISE_PsSF_SF_EESI_SY_SJ_SK_SL_EUlSY_E1_NS1_11comp_targetILNS1_3genE5ELNS1_11target_archE942ELNS1_3gpuE9ELNS1_3repE0EEENS1_36merge_oddeven_config_static_selectorELNS0_4arch9wavefront6targetE0EEEvSK_ ; -- Begin function _ZN7rocprim17ROCPRIM_400000_NS6detail17trampoline_kernelINS0_14default_configENS1_38merge_sort_block_merge_config_selectorIsNS0_10empty_typeEEEZZNS1_27merge_sort_block_merge_implIS3_N6thrust23THRUST_200600_302600_NS6detail15normal_iteratorINS9_10device_ptrIsEEEEPS5_m11less_div_10IsEEE10hipError_tT0_T1_T2_jT3_P12ihipStream_tbPNSt15iterator_traitsISJ_E10value_typeEPNSP_ISK_E10value_typeEPSL_NS1_7vsmem_tEENKUlT_SJ_SK_SL_E_clISE_PsSF_SF_EESI_SY_SJ_SK_SL_EUlSY_E1_NS1_11comp_targetILNS1_3genE5ELNS1_11target_archE942ELNS1_3gpuE9ELNS1_3repE0EEENS1_36merge_oddeven_config_static_selectorELNS0_4arch9wavefront6targetE0EEEvSK_
	.globl	_ZN7rocprim17ROCPRIM_400000_NS6detail17trampoline_kernelINS0_14default_configENS1_38merge_sort_block_merge_config_selectorIsNS0_10empty_typeEEEZZNS1_27merge_sort_block_merge_implIS3_N6thrust23THRUST_200600_302600_NS6detail15normal_iteratorINS9_10device_ptrIsEEEEPS5_m11less_div_10IsEEE10hipError_tT0_T1_T2_jT3_P12ihipStream_tbPNSt15iterator_traitsISJ_E10value_typeEPNSP_ISK_E10value_typeEPSL_NS1_7vsmem_tEENKUlT_SJ_SK_SL_E_clISE_PsSF_SF_EESI_SY_SJ_SK_SL_EUlSY_E1_NS1_11comp_targetILNS1_3genE5ELNS1_11target_archE942ELNS1_3gpuE9ELNS1_3repE0EEENS1_36merge_oddeven_config_static_selectorELNS0_4arch9wavefront6targetE0EEEvSK_
	.p2align	8
	.type	_ZN7rocprim17ROCPRIM_400000_NS6detail17trampoline_kernelINS0_14default_configENS1_38merge_sort_block_merge_config_selectorIsNS0_10empty_typeEEEZZNS1_27merge_sort_block_merge_implIS3_N6thrust23THRUST_200600_302600_NS6detail15normal_iteratorINS9_10device_ptrIsEEEEPS5_m11less_div_10IsEEE10hipError_tT0_T1_T2_jT3_P12ihipStream_tbPNSt15iterator_traitsISJ_E10value_typeEPNSP_ISK_E10value_typeEPSL_NS1_7vsmem_tEENKUlT_SJ_SK_SL_E_clISE_PsSF_SF_EESI_SY_SJ_SK_SL_EUlSY_E1_NS1_11comp_targetILNS1_3genE5ELNS1_11target_archE942ELNS1_3gpuE9ELNS1_3repE0EEENS1_36merge_oddeven_config_static_selectorELNS0_4arch9wavefront6targetE0EEEvSK_,@function
_ZN7rocprim17ROCPRIM_400000_NS6detail17trampoline_kernelINS0_14default_configENS1_38merge_sort_block_merge_config_selectorIsNS0_10empty_typeEEEZZNS1_27merge_sort_block_merge_implIS3_N6thrust23THRUST_200600_302600_NS6detail15normal_iteratorINS9_10device_ptrIsEEEEPS5_m11less_div_10IsEEE10hipError_tT0_T1_T2_jT3_P12ihipStream_tbPNSt15iterator_traitsISJ_E10value_typeEPNSP_ISK_E10value_typeEPSL_NS1_7vsmem_tEENKUlT_SJ_SK_SL_E_clISE_PsSF_SF_EESI_SY_SJ_SK_SL_EUlSY_E1_NS1_11comp_targetILNS1_3genE5ELNS1_11target_archE942ELNS1_3gpuE9ELNS1_3repE0EEENS1_36merge_oddeven_config_static_selectorELNS0_4arch9wavefront6targetE0EEEvSK_: ; @_ZN7rocprim17ROCPRIM_400000_NS6detail17trampoline_kernelINS0_14default_configENS1_38merge_sort_block_merge_config_selectorIsNS0_10empty_typeEEEZZNS1_27merge_sort_block_merge_implIS3_N6thrust23THRUST_200600_302600_NS6detail15normal_iteratorINS9_10device_ptrIsEEEEPS5_m11less_div_10IsEEE10hipError_tT0_T1_T2_jT3_P12ihipStream_tbPNSt15iterator_traitsISJ_E10value_typeEPNSP_ISK_E10value_typeEPSL_NS1_7vsmem_tEENKUlT_SJ_SK_SL_E_clISE_PsSF_SF_EESI_SY_SJ_SK_SL_EUlSY_E1_NS1_11comp_targetILNS1_3genE5ELNS1_11target_archE942ELNS1_3gpuE9ELNS1_3repE0EEENS1_36merge_oddeven_config_static_selectorELNS0_4arch9wavefront6targetE0EEEvSK_
; %bb.0:
	.section	.rodata,"a",@progbits
	.p2align	6, 0x0
	.amdhsa_kernel _ZN7rocprim17ROCPRIM_400000_NS6detail17trampoline_kernelINS0_14default_configENS1_38merge_sort_block_merge_config_selectorIsNS0_10empty_typeEEEZZNS1_27merge_sort_block_merge_implIS3_N6thrust23THRUST_200600_302600_NS6detail15normal_iteratorINS9_10device_ptrIsEEEEPS5_m11less_div_10IsEEE10hipError_tT0_T1_T2_jT3_P12ihipStream_tbPNSt15iterator_traitsISJ_E10value_typeEPNSP_ISK_E10value_typeEPSL_NS1_7vsmem_tEENKUlT_SJ_SK_SL_E_clISE_PsSF_SF_EESI_SY_SJ_SK_SL_EUlSY_E1_NS1_11comp_targetILNS1_3genE5ELNS1_11target_archE942ELNS1_3gpuE9ELNS1_3repE0EEENS1_36merge_oddeven_config_static_selectorELNS0_4arch9wavefront6targetE0EEEvSK_
		.amdhsa_group_segment_fixed_size 0
		.amdhsa_private_segment_fixed_size 0
		.amdhsa_kernarg_size 56
		.amdhsa_user_sgpr_count 6
		.amdhsa_user_sgpr_private_segment_buffer 1
		.amdhsa_user_sgpr_dispatch_ptr 0
		.amdhsa_user_sgpr_queue_ptr 0
		.amdhsa_user_sgpr_kernarg_segment_ptr 1
		.amdhsa_user_sgpr_dispatch_id 0
		.amdhsa_user_sgpr_flat_scratch_init 0
		.amdhsa_user_sgpr_private_segment_size 0
		.amdhsa_wavefront_size32 1
		.amdhsa_uses_dynamic_stack 0
		.amdhsa_system_sgpr_private_segment_wavefront_offset 0
		.amdhsa_system_sgpr_workgroup_id_x 1
		.amdhsa_system_sgpr_workgroup_id_y 0
		.amdhsa_system_sgpr_workgroup_id_z 0
		.amdhsa_system_sgpr_workgroup_info 0
		.amdhsa_system_vgpr_workitem_id 0
		.amdhsa_next_free_vgpr 1
		.amdhsa_next_free_sgpr 1
		.amdhsa_reserve_vcc 0
		.amdhsa_reserve_flat_scratch 0
		.amdhsa_float_round_mode_32 0
		.amdhsa_float_round_mode_16_64 0
		.amdhsa_float_denorm_mode_32 3
		.amdhsa_float_denorm_mode_16_64 3
		.amdhsa_dx10_clamp 1
		.amdhsa_ieee_mode 1
		.amdhsa_fp16_overflow 0
		.amdhsa_workgroup_processor_mode 1
		.amdhsa_memory_ordered 1
		.amdhsa_forward_progress 1
		.amdhsa_shared_vgpr_count 0
		.amdhsa_exception_fp_ieee_invalid_op 0
		.amdhsa_exception_fp_denorm_src 0
		.amdhsa_exception_fp_ieee_div_zero 0
		.amdhsa_exception_fp_ieee_overflow 0
		.amdhsa_exception_fp_ieee_underflow 0
		.amdhsa_exception_fp_ieee_inexact 0
		.amdhsa_exception_int_div_zero 0
	.end_amdhsa_kernel
	.section	.text._ZN7rocprim17ROCPRIM_400000_NS6detail17trampoline_kernelINS0_14default_configENS1_38merge_sort_block_merge_config_selectorIsNS0_10empty_typeEEEZZNS1_27merge_sort_block_merge_implIS3_N6thrust23THRUST_200600_302600_NS6detail15normal_iteratorINS9_10device_ptrIsEEEEPS5_m11less_div_10IsEEE10hipError_tT0_T1_T2_jT3_P12ihipStream_tbPNSt15iterator_traitsISJ_E10value_typeEPNSP_ISK_E10value_typeEPSL_NS1_7vsmem_tEENKUlT_SJ_SK_SL_E_clISE_PsSF_SF_EESI_SY_SJ_SK_SL_EUlSY_E1_NS1_11comp_targetILNS1_3genE5ELNS1_11target_archE942ELNS1_3gpuE9ELNS1_3repE0EEENS1_36merge_oddeven_config_static_selectorELNS0_4arch9wavefront6targetE0EEEvSK_,"axG",@progbits,_ZN7rocprim17ROCPRIM_400000_NS6detail17trampoline_kernelINS0_14default_configENS1_38merge_sort_block_merge_config_selectorIsNS0_10empty_typeEEEZZNS1_27merge_sort_block_merge_implIS3_N6thrust23THRUST_200600_302600_NS6detail15normal_iteratorINS9_10device_ptrIsEEEEPS5_m11less_div_10IsEEE10hipError_tT0_T1_T2_jT3_P12ihipStream_tbPNSt15iterator_traitsISJ_E10value_typeEPNSP_ISK_E10value_typeEPSL_NS1_7vsmem_tEENKUlT_SJ_SK_SL_E_clISE_PsSF_SF_EESI_SY_SJ_SK_SL_EUlSY_E1_NS1_11comp_targetILNS1_3genE5ELNS1_11target_archE942ELNS1_3gpuE9ELNS1_3repE0EEENS1_36merge_oddeven_config_static_selectorELNS0_4arch9wavefront6targetE0EEEvSK_,comdat
.Lfunc_end566:
	.size	_ZN7rocprim17ROCPRIM_400000_NS6detail17trampoline_kernelINS0_14default_configENS1_38merge_sort_block_merge_config_selectorIsNS0_10empty_typeEEEZZNS1_27merge_sort_block_merge_implIS3_N6thrust23THRUST_200600_302600_NS6detail15normal_iteratorINS9_10device_ptrIsEEEEPS5_m11less_div_10IsEEE10hipError_tT0_T1_T2_jT3_P12ihipStream_tbPNSt15iterator_traitsISJ_E10value_typeEPNSP_ISK_E10value_typeEPSL_NS1_7vsmem_tEENKUlT_SJ_SK_SL_E_clISE_PsSF_SF_EESI_SY_SJ_SK_SL_EUlSY_E1_NS1_11comp_targetILNS1_3genE5ELNS1_11target_archE942ELNS1_3gpuE9ELNS1_3repE0EEENS1_36merge_oddeven_config_static_selectorELNS0_4arch9wavefront6targetE0EEEvSK_, .Lfunc_end566-_ZN7rocprim17ROCPRIM_400000_NS6detail17trampoline_kernelINS0_14default_configENS1_38merge_sort_block_merge_config_selectorIsNS0_10empty_typeEEEZZNS1_27merge_sort_block_merge_implIS3_N6thrust23THRUST_200600_302600_NS6detail15normal_iteratorINS9_10device_ptrIsEEEEPS5_m11less_div_10IsEEE10hipError_tT0_T1_T2_jT3_P12ihipStream_tbPNSt15iterator_traitsISJ_E10value_typeEPNSP_ISK_E10value_typeEPSL_NS1_7vsmem_tEENKUlT_SJ_SK_SL_E_clISE_PsSF_SF_EESI_SY_SJ_SK_SL_EUlSY_E1_NS1_11comp_targetILNS1_3genE5ELNS1_11target_archE942ELNS1_3gpuE9ELNS1_3repE0EEENS1_36merge_oddeven_config_static_selectorELNS0_4arch9wavefront6targetE0EEEvSK_
                                        ; -- End function
	.set _ZN7rocprim17ROCPRIM_400000_NS6detail17trampoline_kernelINS0_14default_configENS1_38merge_sort_block_merge_config_selectorIsNS0_10empty_typeEEEZZNS1_27merge_sort_block_merge_implIS3_N6thrust23THRUST_200600_302600_NS6detail15normal_iteratorINS9_10device_ptrIsEEEEPS5_m11less_div_10IsEEE10hipError_tT0_T1_T2_jT3_P12ihipStream_tbPNSt15iterator_traitsISJ_E10value_typeEPNSP_ISK_E10value_typeEPSL_NS1_7vsmem_tEENKUlT_SJ_SK_SL_E_clISE_PsSF_SF_EESI_SY_SJ_SK_SL_EUlSY_E1_NS1_11comp_targetILNS1_3genE5ELNS1_11target_archE942ELNS1_3gpuE9ELNS1_3repE0EEENS1_36merge_oddeven_config_static_selectorELNS0_4arch9wavefront6targetE0EEEvSK_.num_vgpr, 0
	.set _ZN7rocprim17ROCPRIM_400000_NS6detail17trampoline_kernelINS0_14default_configENS1_38merge_sort_block_merge_config_selectorIsNS0_10empty_typeEEEZZNS1_27merge_sort_block_merge_implIS3_N6thrust23THRUST_200600_302600_NS6detail15normal_iteratorINS9_10device_ptrIsEEEEPS5_m11less_div_10IsEEE10hipError_tT0_T1_T2_jT3_P12ihipStream_tbPNSt15iterator_traitsISJ_E10value_typeEPNSP_ISK_E10value_typeEPSL_NS1_7vsmem_tEENKUlT_SJ_SK_SL_E_clISE_PsSF_SF_EESI_SY_SJ_SK_SL_EUlSY_E1_NS1_11comp_targetILNS1_3genE5ELNS1_11target_archE942ELNS1_3gpuE9ELNS1_3repE0EEENS1_36merge_oddeven_config_static_selectorELNS0_4arch9wavefront6targetE0EEEvSK_.num_agpr, 0
	.set _ZN7rocprim17ROCPRIM_400000_NS6detail17trampoline_kernelINS0_14default_configENS1_38merge_sort_block_merge_config_selectorIsNS0_10empty_typeEEEZZNS1_27merge_sort_block_merge_implIS3_N6thrust23THRUST_200600_302600_NS6detail15normal_iteratorINS9_10device_ptrIsEEEEPS5_m11less_div_10IsEEE10hipError_tT0_T1_T2_jT3_P12ihipStream_tbPNSt15iterator_traitsISJ_E10value_typeEPNSP_ISK_E10value_typeEPSL_NS1_7vsmem_tEENKUlT_SJ_SK_SL_E_clISE_PsSF_SF_EESI_SY_SJ_SK_SL_EUlSY_E1_NS1_11comp_targetILNS1_3genE5ELNS1_11target_archE942ELNS1_3gpuE9ELNS1_3repE0EEENS1_36merge_oddeven_config_static_selectorELNS0_4arch9wavefront6targetE0EEEvSK_.numbered_sgpr, 0
	.set _ZN7rocprim17ROCPRIM_400000_NS6detail17trampoline_kernelINS0_14default_configENS1_38merge_sort_block_merge_config_selectorIsNS0_10empty_typeEEEZZNS1_27merge_sort_block_merge_implIS3_N6thrust23THRUST_200600_302600_NS6detail15normal_iteratorINS9_10device_ptrIsEEEEPS5_m11less_div_10IsEEE10hipError_tT0_T1_T2_jT3_P12ihipStream_tbPNSt15iterator_traitsISJ_E10value_typeEPNSP_ISK_E10value_typeEPSL_NS1_7vsmem_tEENKUlT_SJ_SK_SL_E_clISE_PsSF_SF_EESI_SY_SJ_SK_SL_EUlSY_E1_NS1_11comp_targetILNS1_3genE5ELNS1_11target_archE942ELNS1_3gpuE9ELNS1_3repE0EEENS1_36merge_oddeven_config_static_selectorELNS0_4arch9wavefront6targetE0EEEvSK_.num_named_barrier, 0
	.set _ZN7rocprim17ROCPRIM_400000_NS6detail17trampoline_kernelINS0_14default_configENS1_38merge_sort_block_merge_config_selectorIsNS0_10empty_typeEEEZZNS1_27merge_sort_block_merge_implIS3_N6thrust23THRUST_200600_302600_NS6detail15normal_iteratorINS9_10device_ptrIsEEEEPS5_m11less_div_10IsEEE10hipError_tT0_T1_T2_jT3_P12ihipStream_tbPNSt15iterator_traitsISJ_E10value_typeEPNSP_ISK_E10value_typeEPSL_NS1_7vsmem_tEENKUlT_SJ_SK_SL_E_clISE_PsSF_SF_EESI_SY_SJ_SK_SL_EUlSY_E1_NS1_11comp_targetILNS1_3genE5ELNS1_11target_archE942ELNS1_3gpuE9ELNS1_3repE0EEENS1_36merge_oddeven_config_static_selectorELNS0_4arch9wavefront6targetE0EEEvSK_.private_seg_size, 0
	.set _ZN7rocprim17ROCPRIM_400000_NS6detail17trampoline_kernelINS0_14default_configENS1_38merge_sort_block_merge_config_selectorIsNS0_10empty_typeEEEZZNS1_27merge_sort_block_merge_implIS3_N6thrust23THRUST_200600_302600_NS6detail15normal_iteratorINS9_10device_ptrIsEEEEPS5_m11less_div_10IsEEE10hipError_tT0_T1_T2_jT3_P12ihipStream_tbPNSt15iterator_traitsISJ_E10value_typeEPNSP_ISK_E10value_typeEPSL_NS1_7vsmem_tEENKUlT_SJ_SK_SL_E_clISE_PsSF_SF_EESI_SY_SJ_SK_SL_EUlSY_E1_NS1_11comp_targetILNS1_3genE5ELNS1_11target_archE942ELNS1_3gpuE9ELNS1_3repE0EEENS1_36merge_oddeven_config_static_selectorELNS0_4arch9wavefront6targetE0EEEvSK_.uses_vcc, 0
	.set _ZN7rocprim17ROCPRIM_400000_NS6detail17trampoline_kernelINS0_14default_configENS1_38merge_sort_block_merge_config_selectorIsNS0_10empty_typeEEEZZNS1_27merge_sort_block_merge_implIS3_N6thrust23THRUST_200600_302600_NS6detail15normal_iteratorINS9_10device_ptrIsEEEEPS5_m11less_div_10IsEEE10hipError_tT0_T1_T2_jT3_P12ihipStream_tbPNSt15iterator_traitsISJ_E10value_typeEPNSP_ISK_E10value_typeEPSL_NS1_7vsmem_tEENKUlT_SJ_SK_SL_E_clISE_PsSF_SF_EESI_SY_SJ_SK_SL_EUlSY_E1_NS1_11comp_targetILNS1_3genE5ELNS1_11target_archE942ELNS1_3gpuE9ELNS1_3repE0EEENS1_36merge_oddeven_config_static_selectorELNS0_4arch9wavefront6targetE0EEEvSK_.uses_flat_scratch, 0
	.set _ZN7rocprim17ROCPRIM_400000_NS6detail17trampoline_kernelINS0_14default_configENS1_38merge_sort_block_merge_config_selectorIsNS0_10empty_typeEEEZZNS1_27merge_sort_block_merge_implIS3_N6thrust23THRUST_200600_302600_NS6detail15normal_iteratorINS9_10device_ptrIsEEEEPS5_m11less_div_10IsEEE10hipError_tT0_T1_T2_jT3_P12ihipStream_tbPNSt15iterator_traitsISJ_E10value_typeEPNSP_ISK_E10value_typeEPSL_NS1_7vsmem_tEENKUlT_SJ_SK_SL_E_clISE_PsSF_SF_EESI_SY_SJ_SK_SL_EUlSY_E1_NS1_11comp_targetILNS1_3genE5ELNS1_11target_archE942ELNS1_3gpuE9ELNS1_3repE0EEENS1_36merge_oddeven_config_static_selectorELNS0_4arch9wavefront6targetE0EEEvSK_.has_dyn_sized_stack, 0
	.set _ZN7rocprim17ROCPRIM_400000_NS6detail17trampoline_kernelINS0_14default_configENS1_38merge_sort_block_merge_config_selectorIsNS0_10empty_typeEEEZZNS1_27merge_sort_block_merge_implIS3_N6thrust23THRUST_200600_302600_NS6detail15normal_iteratorINS9_10device_ptrIsEEEEPS5_m11less_div_10IsEEE10hipError_tT0_T1_T2_jT3_P12ihipStream_tbPNSt15iterator_traitsISJ_E10value_typeEPNSP_ISK_E10value_typeEPSL_NS1_7vsmem_tEENKUlT_SJ_SK_SL_E_clISE_PsSF_SF_EESI_SY_SJ_SK_SL_EUlSY_E1_NS1_11comp_targetILNS1_3genE5ELNS1_11target_archE942ELNS1_3gpuE9ELNS1_3repE0EEENS1_36merge_oddeven_config_static_selectorELNS0_4arch9wavefront6targetE0EEEvSK_.has_recursion, 0
	.set _ZN7rocprim17ROCPRIM_400000_NS6detail17trampoline_kernelINS0_14default_configENS1_38merge_sort_block_merge_config_selectorIsNS0_10empty_typeEEEZZNS1_27merge_sort_block_merge_implIS3_N6thrust23THRUST_200600_302600_NS6detail15normal_iteratorINS9_10device_ptrIsEEEEPS5_m11less_div_10IsEEE10hipError_tT0_T1_T2_jT3_P12ihipStream_tbPNSt15iterator_traitsISJ_E10value_typeEPNSP_ISK_E10value_typeEPSL_NS1_7vsmem_tEENKUlT_SJ_SK_SL_E_clISE_PsSF_SF_EESI_SY_SJ_SK_SL_EUlSY_E1_NS1_11comp_targetILNS1_3genE5ELNS1_11target_archE942ELNS1_3gpuE9ELNS1_3repE0EEENS1_36merge_oddeven_config_static_selectorELNS0_4arch9wavefront6targetE0EEEvSK_.has_indirect_call, 0
	.section	.AMDGPU.csdata,"",@progbits
; Kernel info:
; codeLenInByte = 0
; TotalNumSgprs: 0
; NumVgprs: 0
; ScratchSize: 0
; MemoryBound: 0
; FloatMode: 240
; IeeeMode: 1
; LDSByteSize: 0 bytes/workgroup (compile time only)
; SGPRBlocks: 0
; VGPRBlocks: 0
; NumSGPRsForWavesPerEU: 1
; NumVGPRsForWavesPerEU: 1
; Occupancy: 16
; WaveLimiterHint : 0
; COMPUTE_PGM_RSRC2:SCRATCH_EN: 0
; COMPUTE_PGM_RSRC2:USER_SGPR: 6
; COMPUTE_PGM_RSRC2:TRAP_HANDLER: 0
; COMPUTE_PGM_RSRC2:TGID_X_EN: 1
; COMPUTE_PGM_RSRC2:TGID_Y_EN: 0
; COMPUTE_PGM_RSRC2:TGID_Z_EN: 0
; COMPUTE_PGM_RSRC2:TIDIG_COMP_CNT: 0
	.section	.text._ZN7rocprim17ROCPRIM_400000_NS6detail17trampoline_kernelINS0_14default_configENS1_38merge_sort_block_merge_config_selectorIsNS0_10empty_typeEEEZZNS1_27merge_sort_block_merge_implIS3_N6thrust23THRUST_200600_302600_NS6detail15normal_iteratorINS9_10device_ptrIsEEEEPS5_m11less_div_10IsEEE10hipError_tT0_T1_T2_jT3_P12ihipStream_tbPNSt15iterator_traitsISJ_E10value_typeEPNSP_ISK_E10value_typeEPSL_NS1_7vsmem_tEENKUlT_SJ_SK_SL_E_clISE_PsSF_SF_EESI_SY_SJ_SK_SL_EUlSY_E1_NS1_11comp_targetILNS1_3genE4ELNS1_11target_archE910ELNS1_3gpuE8ELNS1_3repE0EEENS1_36merge_oddeven_config_static_selectorELNS0_4arch9wavefront6targetE0EEEvSK_,"axG",@progbits,_ZN7rocprim17ROCPRIM_400000_NS6detail17trampoline_kernelINS0_14default_configENS1_38merge_sort_block_merge_config_selectorIsNS0_10empty_typeEEEZZNS1_27merge_sort_block_merge_implIS3_N6thrust23THRUST_200600_302600_NS6detail15normal_iteratorINS9_10device_ptrIsEEEEPS5_m11less_div_10IsEEE10hipError_tT0_T1_T2_jT3_P12ihipStream_tbPNSt15iterator_traitsISJ_E10value_typeEPNSP_ISK_E10value_typeEPSL_NS1_7vsmem_tEENKUlT_SJ_SK_SL_E_clISE_PsSF_SF_EESI_SY_SJ_SK_SL_EUlSY_E1_NS1_11comp_targetILNS1_3genE4ELNS1_11target_archE910ELNS1_3gpuE8ELNS1_3repE0EEENS1_36merge_oddeven_config_static_selectorELNS0_4arch9wavefront6targetE0EEEvSK_,comdat
	.protected	_ZN7rocprim17ROCPRIM_400000_NS6detail17trampoline_kernelINS0_14default_configENS1_38merge_sort_block_merge_config_selectorIsNS0_10empty_typeEEEZZNS1_27merge_sort_block_merge_implIS3_N6thrust23THRUST_200600_302600_NS6detail15normal_iteratorINS9_10device_ptrIsEEEEPS5_m11less_div_10IsEEE10hipError_tT0_T1_T2_jT3_P12ihipStream_tbPNSt15iterator_traitsISJ_E10value_typeEPNSP_ISK_E10value_typeEPSL_NS1_7vsmem_tEENKUlT_SJ_SK_SL_E_clISE_PsSF_SF_EESI_SY_SJ_SK_SL_EUlSY_E1_NS1_11comp_targetILNS1_3genE4ELNS1_11target_archE910ELNS1_3gpuE8ELNS1_3repE0EEENS1_36merge_oddeven_config_static_selectorELNS0_4arch9wavefront6targetE0EEEvSK_ ; -- Begin function _ZN7rocprim17ROCPRIM_400000_NS6detail17trampoline_kernelINS0_14default_configENS1_38merge_sort_block_merge_config_selectorIsNS0_10empty_typeEEEZZNS1_27merge_sort_block_merge_implIS3_N6thrust23THRUST_200600_302600_NS6detail15normal_iteratorINS9_10device_ptrIsEEEEPS5_m11less_div_10IsEEE10hipError_tT0_T1_T2_jT3_P12ihipStream_tbPNSt15iterator_traitsISJ_E10value_typeEPNSP_ISK_E10value_typeEPSL_NS1_7vsmem_tEENKUlT_SJ_SK_SL_E_clISE_PsSF_SF_EESI_SY_SJ_SK_SL_EUlSY_E1_NS1_11comp_targetILNS1_3genE4ELNS1_11target_archE910ELNS1_3gpuE8ELNS1_3repE0EEENS1_36merge_oddeven_config_static_selectorELNS0_4arch9wavefront6targetE0EEEvSK_
	.globl	_ZN7rocprim17ROCPRIM_400000_NS6detail17trampoline_kernelINS0_14default_configENS1_38merge_sort_block_merge_config_selectorIsNS0_10empty_typeEEEZZNS1_27merge_sort_block_merge_implIS3_N6thrust23THRUST_200600_302600_NS6detail15normal_iteratorINS9_10device_ptrIsEEEEPS5_m11less_div_10IsEEE10hipError_tT0_T1_T2_jT3_P12ihipStream_tbPNSt15iterator_traitsISJ_E10value_typeEPNSP_ISK_E10value_typeEPSL_NS1_7vsmem_tEENKUlT_SJ_SK_SL_E_clISE_PsSF_SF_EESI_SY_SJ_SK_SL_EUlSY_E1_NS1_11comp_targetILNS1_3genE4ELNS1_11target_archE910ELNS1_3gpuE8ELNS1_3repE0EEENS1_36merge_oddeven_config_static_selectorELNS0_4arch9wavefront6targetE0EEEvSK_
	.p2align	8
	.type	_ZN7rocprim17ROCPRIM_400000_NS6detail17trampoline_kernelINS0_14default_configENS1_38merge_sort_block_merge_config_selectorIsNS0_10empty_typeEEEZZNS1_27merge_sort_block_merge_implIS3_N6thrust23THRUST_200600_302600_NS6detail15normal_iteratorINS9_10device_ptrIsEEEEPS5_m11less_div_10IsEEE10hipError_tT0_T1_T2_jT3_P12ihipStream_tbPNSt15iterator_traitsISJ_E10value_typeEPNSP_ISK_E10value_typeEPSL_NS1_7vsmem_tEENKUlT_SJ_SK_SL_E_clISE_PsSF_SF_EESI_SY_SJ_SK_SL_EUlSY_E1_NS1_11comp_targetILNS1_3genE4ELNS1_11target_archE910ELNS1_3gpuE8ELNS1_3repE0EEENS1_36merge_oddeven_config_static_selectorELNS0_4arch9wavefront6targetE0EEEvSK_,@function
_ZN7rocprim17ROCPRIM_400000_NS6detail17trampoline_kernelINS0_14default_configENS1_38merge_sort_block_merge_config_selectorIsNS0_10empty_typeEEEZZNS1_27merge_sort_block_merge_implIS3_N6thrust23THRUST_200600_302600_NS6detail15normal_iteratorINS9_10device_ptrIsEEEEPS5_m11less_div_10IsEEE10hipError_tT0_T1_T2_jT3_P12ihipStream_tbPNSt15iterator_traitsISJ_E10value_typeEPNSP_ISK_E10value_typeEPSL_NS1_7vsmem_tEENKUlT_SJ_SK_SL_E_clISE_PsSF_SF_EESI_SY_SJ_SK_SL_EUlSY_E1_NS1_11comp_targetILNS1_3genE4ELNS1_11target_archE910ELNS1_3gpuE8ELNS1_3repE0EEENS1_36merge_oddeven_config_static_selectorELNS0_4arch9wavefront6targetE0EEEvSK_: ; @_ZN7rocprim17ROCPRIM_400000_NS6detail17trampoline_kernelINS0_14default_configENS1_38merge_sort_block_merge_config_selectorIsNS0_10empty_typeEEEZZNS1_27merge_sort_block_merge_implIS3_N6thrust23THRUST_200600_302600_NS6detail15normal_iteratorINS9_10device_ptrIsEEEEPS5_m11less_div_10IsEEE10hipError_tT0_T1_T2_jT3_P12ihipStream_tbPNSt15iterator_traitsISJ_E10value_typeEPNSP_ISK_E10value_typeEPSL_NS1_7vsmem_tEENKUlT_SJ_SK_SL_E_clISE_PsSF_SF_EESI_SY_SJ_SK_SL_EUlSY_E1_NS1_11comp_targetILNS1_3genE4ELNS1_11target_archE910ELNS1_3gpuE8ELNS1_3repE0EEENS1_36merge_oddeven_config_static_selectorELNS0_4arch9wavefront6targetE0EEEvSK_
; %bb.0:
	.section	.rodata,"a",@progbits
	.p2align	6, 0x0
	.amdhsa_kernel _ZN7rocprim17ROCPRIM_400000_NS6detail17trampoline_kernelINS0_14default_configENS1_38merge_sort_block_merge_config_selectorIsNS0_10empty_typeEEEZZNS1_27merge_sort_block_merge_implIS3_N6thrust23THRUST_200600_302600_NS6detail15normal_iteratorINS9_10device_ptrIsEEEEPS5_m11less_div_10IsEEE10hipError_tT0_T1_T2_jT3_P12ihipStream_tbPNSt15iterator_traitsISJ_E10value_typeEPNSP_ISK_E10value_typeEPSL_NS1_7vsmem_tEENKUlT_SJ_SK_SL_E_clISE_PsSF_SF_EESI_SY_SJ_SK_SL_EUlSY_E1_NS1_11comp_targetILNS1_3genE4ELNS1_11target_archE910ELNS1_3gpuE8ELNS1_3repE0EEENS1_36merge_oddeven_config_static_selectorELNS0_4arch9wavefront6targetE0EEEvSK_
		.amdhsa_group_segment_fixed_size 0
		.amdhsa_private_segment_fixed_size 0
		.amdhsa_kernarg_size 56
		.amdhsa_user_sgpr_count 6
		.amdhsa_user_sgpr_private_segment_buffer 1
		.amdhsa_user_sgpr_dispatch_ptr 0
		.amdhsa_user_sgpr_queue_ptr 0
		.amdhsa_user_sgpr_kernarg_segment_ptr 1
		.amdhsa_user_sgpr_dispatch_id 0
		.amdhsa_user_sgpr_flat_scratch_init 0
		.amdhsa_user_sgpr_private_segment_size 0
		.amdhsa_wavefront_size32 1
		.amdhsa_uses_dynamic_stack 0
		.amdhsa_system_sgpr_private_segment_wavefront_offset 0
		.amdhsa_system_sgpr_workgroup_id_x 1
		.amdhsa_system_sgpr_workgroup_id_y 0
		.amdhsa_system_sgpr_workgroup_id_z 0
		.amdhsa_system_sgpr_workgroup_info 0
		.amdhsa_system_vgpr_workitem_id 0
		.amdhsa_next_free_vgpr 1
		.amdhsa_next_free_sgpr 1
		.amdhsa_reserve_vcc 0
		.amdhsa_reserve_flat_scratch 0
		.amdhsa_float_round_mode_32 0
		.amdhsa_float_round_mode_16_64 0
		.amdhsa_float_denorm_mode_32 3
		.amdhsa_float_denorm_mode_16_64 3
		.amdhsa_dx10_clamp 1
		.amdhsa_ieee_mode 1
		.amdhsa_fp16_overflow 0
		.amdhsa_workgroup_processor_mode 1
		.amdhsa_memory_ordered 1
		.amdhsa_forward_progress 1
		.amdhsa_shared_vgpr_count 0
		.amdhsa_exception_fp_ieee_invalid_op 0
		.amdhsa_exception_fp_denorm_src 0
		.amdhsa_exception_fp_ieee_div_zero 0
		.amdhsa_exception_fp_ieee_overflow 0
		.amdhsa_exception_fp_ieee_underflow 0
		.amdhsa_exception_fp_ieee_inexact 0
		.amdhsa_exception_int_div_zero 0
	.end_amdhsa_kernel
	.section	.text._ZN7rocprim17ROCPRIM_400000_NS6detail17trampoline_kernelINS0_14default_configENS1_38merge_sort_block_merge_config_selectorIsNS0_10empty_typeEEEZZNS1_27merge_sort_block_merge_implIS3_N6thrust23THRUST_200600_302600_NS6detail15normal_iteratorINS9_10device_ptrIsEEEEPS5_m11less_div_10IsEEE10hipError_tT0_T1_T2_jT3_P12ihipStream_tbPNSt15iterator_traitsISJ_E10value_typeEPNSP_ISK_E10value_typeEPSL_NS1_7vsmem_tEENKUlT_SJ_SK_SL_E_clISE_PsSF_SF_EESI_SY_SJ_SK_SL_EUlSY_E1_NS1_11comp_targetILNS1_3genE4ELNS1_11target_archE910ELNS1_3gpuE8ELNS1_3repE0EEENS1_36merge_oddeven_config_static_selectorELNS0_4arch9wavefront6targetE0EEEvSK_,"axG",@progbits,_ZN7rocprim17ROCPRIM_400000_NS6detail17trampoline_kernelINS0_14default_configENS1_38merge_sort_block_merge_config_selectorIsNS0_10empty_typeEEEZZNS1_27merge_sort_block_merge_implIS3_N6thrust23THRUST_200600_302600_NS6detail15normal_iteratorINS9_10device_ptrIsEEEEPS5_m11less_div_10IsEEE10hipError_tT0_T1_T2_jT3_P12ihipStream_tbPNSt15iterator_traitsISJ_E10value_typeEPNSP_ISK_E10value_typeEPSL_NS1_7vsmem_tEENKUlT_SJ_SK_SL_E_clISE_PsSF_SF_EESI_SY_SJ_SK_SL_EUlSY_E1_NS1_11comp_targetILNS1_3genE4ELNS1_11target_archE910ELNS1_3gpuE8ELNS1_3repE0EEENS1_36merge_oddeven_config_static_selectorELNS0_4arch9wavefront6targetE0EEEvSK_,comdat
.Lfunc_end567:
	.size	_ZN7rocprim17ROCPRIM_400000_NS6detail17trampoline_kernelINS0_14default_configENS1_38merge_sort_block_merge_config_selectorIsNS0_10empty_typeEEEZZNS1_27merge_sort_block_merge_implIS3_N6thrust23THRUST_200600_302600_NS6detail15normal_iteratorINS9_10device_ptrIsEEEEPS5_m11less_div_10IsEEE10hipError_tT0_T1_T2_jT3_P12ihipStream_tbPNSt15iterator_traitsISJ_E10value_typeEPNSP_ISK_E10value_typeEPSL_NS1_7vsmem_tEENKUlT_SJ_SK_SL_E_clISE_PsSF_SF_EESI_SY_SJ_SK_SL_EUlSY_E1_NS1_11comp_targetILNS1_3genE4ELNS1_11target_archE910ELNS1_3gpuE8ELNS1_3repE0EEENS1_36merge_oddeven_config_static_selectorELNS0_4arch9wavefront6targetE0EEEvSK_, .Lfunc_end567-_ZN7rocprim17ROCPRIM_400000_NS6detail17trampoline_kernelINS0_14default_configENS1_38merge_sort_block_merge_config_selectorIsNS0_10empty_typeEEEZZNS1_27merge_sort_block_merge_implIS3_N6thrust23THRUST_200600_302600_NS6detail15normal_iteratorINS9_10device_ptrIsEEEEPS5_m11less_div_10IsEEE10hipError_tT0_T1_T2_jT3_P12ihipStream_tbPNSt15iterator_traitsISJ_E10value_typeEPNSP_ISK_E10value_typeEPSL_NS1_7vsmem_tEENKUlT_SJ_SK_SL_E_clISE_PsSF_SF_EESI_SY_SJ_SK_SL_EUlSY_E1_NS1_11comp_targetILNS1_3genE4ELNS1_11target_archE910ELNS1_3gpuE8ELNS1_3repE0EEENS1_36merge_oddeven_config_static_selectorELNS0_4arch9wavefront6targetE0EEEvSK_
                                        ; -- End function
	.set _ZN7rocprim17ROCPRIM_400000_NS6detail17trampoline_kernelINS0_14default_configENS1_38merge_sort_block_merge_config_selectorIsNS0_10empty_typeEEEZZNS1_27merge_sort_block_merge_implIS3_N6thrust23THRUST_200600_302600_NS6detail15normal_iteratorINS9_10device_ptrIsEEEEPS5_m11less_div_10IsEEE10hipError_tT0_T1_T2_jT3_P12ihipStream_tbPNSt15iterator_traitsISJ_E10value_typeEPNSP_ISK_E10value_typeEPSL_NS1_7vsmem_tEENKUlT_SJ_SK_SL_E_clISE_PsSF_SF_EESI_SY_SJ_SK_SL_EUlSY_E1_NS1_11comp_targetILNS1_3genE4ELNS1_11target_archE910ELNS1_3gpuE8ELNS1_3repE0EEENS1_36merge_oddeven_config_static_selectorELNS0_4arch9wavefront6targetE0EEEvSK_.num_vgpr, 0
	.set _ZN7rocprim17ROCPRIM_400000_NS6detail17trampoline_kernelINS0_14default_configENS1_38merge_sort_block_merge_config_selectorIsNS0_10empty_typeEEEZZNS1_27merge_sort_block_merge_implIS3_N6thrust23THRUST_200600_302600_NS6detail15normal_iteratorINS9_10device_ptrIsEEEEPS5_m11less_div_10IsEEE10hipError_tT0_T1_T2_jT3_P12ihipStream_tbPNSt15iterator_traitsISJ_E10value_typeEPNSP_ISK_E10value_typeEPSL_NS1_7vsmem_tEENKUlT_SJ_SK_SL_E_clISE_PsSF_SF_EESI_SY_SJ_SK_SL_EUlSY_E1_NS1_11comp_targetILNS1_3genE4ELNS1_11target_archE910ELNS1_3gpuE8ELNS1_3repE0EEENS1_36merge_oddeven_config_static_selectorELNS0_4arch9wavefront6targetE0EEEvSK_.num_agpr, 0
	.set _ZN7rocprim17ROCPRIM_400000_NS6detail17trampoline_kernelINS0_14default_configENS1_38merge_sort_block_merge_config_selectorIsNS0_10empty_typeEEEZZNS1_27merge_sort_block_merge_implIS3_N6thrust23THRUST_200600_302600_NS6detail15normal_iteratorINS9_10device_ptrIsEEEEPS5_m11less_div_10IsEEE10hipError_tT0_T1_T2_jT3_P12ihipStream_tbPNSt15iterator_traitsISJ_E10value_typeEPNSP_ISK_E10value_typeEPSL_NS1_7vsmem_tEENKUlT_SJ_SK_SL_E_clISE_PsSF_SF_EESI_SY_SJ_SK_SL_EUlSY_E1_NS1_11comp_targetILNS1_3genE4ELNS1_11target_archE910ELNS1_3gpuE8ELNS1_3repE0EEENS1_36merge_oddeven_config_static_selectorELNS0_4arch9wavefront6targetE0EEEvSK_.numbered_sgpr, 0
	.set _ZN7rocprim17ROCPRIM_400000_NS6detail17trampoline_kernelINS0_14default_configENS1_38merge_sort_block_merge_config_selectorIsNS0_10empty_typeEEEZZNS1_27merge_sort_block_merge_implIS3_N6thrust23THRUST_200600_302600_NS6detail15normal_iteratorINS9_10device_ptrIsEEEEPS5_m11less_div_10IsEEE10hipError_tT0_T1_T2_jT3_P12ihipStream_tbPNSt15iterator_traitsISJ_E10value_typeEPNSP_ISK_E10value_typeEPSL_NS1_7vsmem_tEENKUlT_SJ_SK_SL_E_clISE_PsSF_SF_EESI_SY_SJ_SK_SL_EUlSY_E1_NS1_11comp_targetILNS1_3genE4ELNS1_11target_archE910ELNS1_3gpuE8ELNS1_3repE0EEENS1_36merge_oddeven_config_static_selectorELNS0_4arch9wavefront6targetE0EEEvSK_.num_named_barrier, 0
	.set _ZN7rocprim17ROCPRIM_400000_NS6detail17trampoline_kernelINS0_14default_configENS1_38merge_sort_block_merge_config_selectorIsNS0_10empty_typeEEEZZNS1_27merge_sort_block_merge_implIS3_N6thrust23THRUST_200600_302600_NS6detail15normal_iteratorINS9_10device_ptrIsEEEEPS5_m11less_div_10IsEEE10hipError_tT0_T1_T2_jT3_P12ihipStream_tbPNSt15iterator_traitsISJ_E10value_typeEPNSP_ISK_E10value_typeEPSL_NS1_7vsmem_tEENKUlT_SJ_SK_SL_E_clISE_PsSF_SF_EESI_SY_SJ_SK_SL_EUlSY_E1_NS1_11comp_targetILNS1_3genE4ELNS1_11target_archE910ELNS1_3gpuE8ELNS1_3repE0EEENS1_36merge_oddeven_config_static_selectorELNS0_4arch9wavefront6targetE0EEEvSK_.private_seg_size, 0
	.set _ZN7rocprim17ROCPRIM_400000_NS6detail17trampoline_kernelINS0_14default_configENS1_38merge_sort_block_merge_config_selectorIsNS0_10empty_typeEEEZZNS1_27merge_sort_block_merge_implIS3_N6thrust23THRUST_200600_302600_NS6detail15normal_iteratorINS9_10device_ptrIsEEEEPS5_m11less_div_10IsEEE10hipError_tT0_T1_T2_jT3_P12ihipStream_tbPNSt15iterator_traitsISJ_E10value_typeEPNSP_ISK_E10value_typeEPSL_NS1_7vsmem_tEENKUlT_SJ_SK_SL_E_clISE_PsSF_SF_EESI_SY_SJ_SK_SL_EUlSY_E1_NS1_11comp_targetILNS1_3genE4ELNS1_11target_archE910ELNS1_3gpuE8ELNS1_3repE0EEENS1_36merge_oddeven_config_static_selectorELNS0_4arch9wavefront6targetE0EEEvSK_.uses_vcc, 0
	.set _ZN7rocprim17ROCPRIM_400000_NS6detail17trampoline_kernelINS0_14default_configENS1_38merge_sort_block_merge_config_selectorIsNS0_10empty_typeEEEZZNS1_27merge_sort_block_merge_implIS3_N6thrust23THRUST_200600_302600_NS6detail15normal_iteratorINS9_10device_ptrIsEEEEPS5_m11less_div_10IsEEE10hipError_tT0_T1_T2_jT3_P12ihipStream_tbPNSt15iterator_traitsISJ_E10value_typeEPNSP_ISK_E10value_typeEPSL_NS1_7vsmem_tEENKUlT_SJ_SK_SL_E_clISE_PsSF_SF_EESI_SY_SJ_SK_SL_EUlSY_E1_NS1_11comp_targetILNS1_3genE4ELNS1_11target_archE910ELNS1_3gpuE8ELNS1_3repE0EEENS1_36merge_oddeven_config_static_selectorELNS0_4arch9wavefront6targetE0EEEvSK_.uses_flat_scratch, 0
	.set _ZN7rocprim17ROCPRIM_400000_NS6detail17trampoline_kernelINS0_14default_configENS1_38merge_sort_block_merge_config_selectorIsNS0_10empty_typeEEEZZNS1_27merge_sort_block_merge_implIS3_N6thrust23THRUST_200600_302600_NS6detail15normal_iteratorINS9_10device_ptrIsEEEEPS5_m11less_div_10IsEEE10hipError_tT0_T1_T2_jT3_P12ihipStream_tbPNSt15iterator_traitsISJ_E10value_typeEPNSP_ISK_E10value_typeEPSL_NS1_7vsmem_tEENKUlT_SJ_SK_SL_E_clISE_PsSF_SF_EESI_SY_SJ_SK_SL_EUlSY_E1_NS1_11comp_targetILNS1_3genE4ELNS1_11target_archE910ELNS1_3gpuE8ELNS1_3repE0EEENS1_36merge_oddeven_config_static_selectorELNS0_4arch9wavefront6targetE0EEEvSK_.has_dyn_sized_stack, 0
	.set _ZN7rocprim17ROCPRIM_400000_NS6detail17trampoline_kernelINS0_14default_configENS1_38merge_sort_block_merge_config_selectorIsNS0_10empty_typeEEEZZNS1_27merge_sort_block_merge_implIS3_N6thrust23THRUST_200600_302600_NS6detail15normal_iteratorINS9_10device_ptrIsEEEEPS5_m11less_div_10IsEEE10hipError_tT0_T1_T2_jT3_P12ihipStream_tbPNSt15iterator_traitsISJ_E10value_typeEPNSP_ISK_E10value_typeEPSL_NS1_7vsmem_tEENKUlT_SJ_SK_SL_E_clISE_PsSF_SF_EESI_SY_SJ_SK_SL_EUlSY_E1_NS1_11comp_targetILNS1_3genE4ELNS1_11target_archE910ELNS1_3gpuE8ELNS1_3repE0EEENS1_36merge_oddeven_config_static_selectorELNS0_4arch9wavefront6targetE0EEEvSK_.has_recursion, 0
	.set _ZN7rocprim17ROCPRIM_400000_NS6detail17trampoline_kernelINS0_14default_configENS1_38merge_sort_block_merge_config_selectorIsNS0_10empty_typeEEEZZNS1_27merge_sort_block_merge_implIS3_N6thrust23THRUST_200600_302600_NS6detail15normal_iteratorINS9_10device_ptrIsEEEEPS5_m11less_div_10IsEEE10hipError_tT0_T1_T2_jT3_P12ihipStream_tbPNSt15iterator_traitsISJ_E10value_typeEPNSP_ISK_E10value_typeEPSL_NS1_7vsmem_tEENKUlT_SJ_SK_SL_E_clISE_PsSF_SF_EESI_SY_SJ_SK_SL_EUlSY_E1_NS1_11comp_targetILNS1_3genE4ELNS1_11target_archE910ELNS1_3gpuE8ELNS1_3repE0EEENS1_36merge_oddeven_config_static_selectorELNS0_4arch9wavefront6targetE0EEEvSK_.has_indirect_call, 0
	.section	.AMDGPU.csdata,"",@progbits
; Kernel info:
; codeLenInByte = 0
; TotalNumSgprs: 0
; NumVgprs: 0
; ScratchSize: 0
; MemoryBound: 0
; FloatMode: 240
; IeeeMode: 1
; LDSByteSize: 0 bytes/workgroup (compile time only)
; SGPRBlocks: 0
; VGPRBlocks: 0
; NumSGPRsForWavesPerEU: 1
; NumVGPRsForWavesPerEU: 1
; Occupancy: 16
; WaveLimiterHint : 0
; COMPUTE_PGM_RSRC2:SCRATCH_EN: 0
; COMPUTE_PGM_RSRC2:USER_SGPR: 6
; COMPUTE_PGM_RSRC2:TRAP_HANDLER: 0
; COMPUTE_PGM_RSRC2:TGID_X_EN: 1
; COMPUTE_PGM_RSRC2:TGID_Y_EN: 0
; COMPUTE_PGM_RSRC2:TGID_Z_EN: 0
; COMPUTE_PGM_RSRC2:TIDIG_COMP_CNT: 0
	.section	.text._ZN7rocprim17ROCPRIM_400000_NS6detail17trampoline_kernelINS0_14default_configENS1_38merge_sort_block_merge_config_selectorIsNS0_10empty_typeEEEZZNS1_27merge_sort_block_merge_implIS3_N6thrust23THRUST_200600_302600_NS6detail15normal_iteratorINS9_10device_ptrIsEEEEPS5_m11less_div_10IsEEE10hipError_tT0_T1_T2_jT3_P12ihipStream_tbPNSt15iterator_traitsISJ_E10value_typeEPNSP_ISK_E10value_typeEPSL_NS1_7vsmem_tEENKUlT_SJ_SK_SL_E_clISE_PsSF_SF_EESI_SY_SJ_SK_SL_EUlSY_E1_NS1_11comp_targetILNS1_3genE3ELNS1_11target_archE908ELNS1_3gpuE7ELNS1_3repE0EEENS1_36merge_oddeven_config_static_selectorELNS0_4arch9wavefront6targetE0EEEvSK_,"axG",@progbits,_ZN7rocprim17ROCPRIM_400000_NS6detail17trampoline_kernelINS0_14default_configENS1_38merge_sort_block_merge_config_selectorIsNS0_10empty_typeEEEZZNS1_27merge_sort_block_merge_implIS3_N6thrust23THRUST_200600_302600_NS6detail15normal_iteratorINS9_10device_ptrIsEEEEPS5_m11less_div_10IsEEE10hipError_tT0_T1_T2_jT3_P12ihipStream_tbPNSt15iterator_traitsISJ_E10value_typeEPNSP_ISK_E10value_typeEPSL_NS1_7vsmem_tEENKUlT_SJ_SK_SL_E_clISE_PsSF_SF_EESI_SY_SJ_SK_SL_EUlSY_E1_NS1_11comp_targetILNS1_3genE3ELNS1_11target_archE908ELNS1_3gpuE7ELNS1_3repE0EEENS1_36merge_oddeven_config_static_selectorELNS0_4arch9wavefront6targetE0EEEvSK_,comdat
	.protected	_ZN7rocprim17ROCPRIM_400000_NS6detail17trampoline_kernelINS0_14default_configENS1_38merge_sort_block_merge_config_selectorIsNS0_10empty_typeEEEZZNS1_27merge_sort_block_merge_implIS3_N6thrust23THRUST_200600_302600_NS6detail15normal_iteratorINS9_10device_ptrIsEEEEPS5_m11less_div_10IsEEE10hipError_tT0_T1_T2_jT3_P12ihipStream_tbPNSt15iterator_traitsISJ_E10value_typeEPNSP_ISK_E10value_typeEPSL_NS1_7vsmem_tEENKUlT_SJ_SK_SL_E_clISE_PsSF_SF_EESI_SY_SJ_SK_SL_EUlSY_E1_NS1_11comp_targetILNS1_3genE3ELNS1_11target_archE908ELNS1_3gpuE7ELNS1_3repE0EEENS1_36merge_oddeven_config_static_selectorELNS0_4arch9wavefront6targetE0EEEvSK_ ; -- Begin function _ZN7rocprim17ROCPRIM_400000_NS6detail17trampoline_kernelINS0_14default_configENS1_38merge_sort_block_merge_config_selectorIsNS0_10empty_typeEEEZZNS1_27merge_sort_block_merge_implIS3_N6thrust23THRUST_200600_302600_NS6detail15normal_iteratorINS9_10device_ptrIsEEEEPS5_m11less_div_10IsEEE10hipError_tT0_T1_T2_jT3_P12ihipStream_tbPNSt15iterator_traitsISJ_E10value_typeEPNSP_ISK_E10value_typeEPSL_NS1_7vsmem_tEENKUlT_SJ_SK_SL_E_clISE_PsSF_SF_EESI_SY_SJ_SK_SL_EUlSY_E1_NS1_11comp_targetILNS1_3genE3ELNS1_11target_archE908ELNS1_3gpuE7ELNS1_3repE0EEENS1_36merge_oddeven_config_static_selectorELNS0_4arch9wavefront6targetE0EEEvSK_
	.globl	_ZN7rocprim17ROCPRIM_400000_NS6detail17trampoline_kernelINS0_14default_configENS1_38merge_sort_block_merge_config_selectorIsNS0_10empty_typeEEEZZNS1_27merge_sort_block_merge_implIS3_N6thrust23THRUST_200600_302600_NS6detail15normal_iteratorINS9_10device_ptrIsEEEEPS5_m11less_div_10IsEEE10hipError_tT0_T1_T2_jT3_P12ihipStream_tbPNSt15iterator_traitsISJ_E10value_typeEPNSP_ISK_E10value_typeEPSL_NS1_7vsmem_tEENKUlT_SJ_SK_SL_E_clISE_PsSF_SF_EESI_SY_SJ_SK_SL_EUlSY_E1_NS1_11comp_targetILNS1_3genE3ELNS1_11target_archE908ELNS1_3gpuE7ELNS1_3repE0EEENS1_36merge_oddeven_config_static_selectorELNS0_4arch9wavefront6targetE0EEEvSK_
	.p2align	8
	.type	_ZN7rocprim17ROCPRIM_400000_NS6detail17trampoline_kernelINS0_14default_configENS1_38merge_sort_block_merge_config_selectorIsNS0_10empty_typeEEEZZNS1_27merge_sort_block_merge_implIS3_N6thrust23THRUST_200600_302600_NS6detail15normal_iteratorINS9_10device_ptrIsEEEEPS5_m11less_div_10IsEEE10hipError_tT0_T1_T2_jT3_P12ihipStream_tbPNSt15iterator_traitsISJ_E10value_typeEPNSP_ISK_E10value_typeEPSL_NS1_7vsmem_tEENKUlT_SJ_SK_SL_E_clISE_PsSF_SF_EESI_SY_SJ_SK_SL_EUlSY_E1_NS1_11comp_targetILNS1_3genE3ELNS1_11target_archE908ELNS1_3gpuE7ELNS1_3repE0EEENS1_36merge_oddeven_config_static_selectorELNS0_4arch9wavefront6targetE0EEEvSK_,@function
_ZN7rocprim17ROCPRIM_400000_NS6detail17trampoline_kernelINS0_14default_configENS1_38merge_sort_block_merge_config_selectorIsNS0_10empty_typeEEEZZNS1_27merge_sort_block_merge_implIS3_N6thrust23THRUST_200600_302600_NS6detail15normal_iteratorINS9_10device_ptrIsEEEEPS5_m11less_div_10IsEEE10hipError_tT0_T1_T2_jT3_P12ihipStream_tbPNSt15iterator_traitsISJ_E10value_typeEPNSP_ISK_E10value_typeEPSL_NS1_7vsmem_tEENKUlT_SJ_SK_SL_E_clISE_PsSF_SF_EESI_SY_SJ_SK_SL_EUlSY_E1_NS1_11comp_targetILNS1_3genE3ELNS1_11target_archE908ELNS1_3gpuE7ELNS1_3repE0EEENS1_36merge_oddeven_config_static_selectorELNS0_4arch9wavefront6targetE0EEEvSK_: ; @_ZN7rocprim17ROCPRIM_400000_NS6detail17trampoline_kernelINS0_14default_configENS1_38merge_sort_block_merge_config_selectorIsNS0_10empty_typeEEEZZNS1_27merge_sort_block_merge_implIS3_N6thrust23THRUST_200600_302600_NS6detail15normal_iteratorINS9_10device_ptrIsEEEEPS5_m11less_div_10IsEEE10hipError_tT0_T1_T2_jT3_P12ihipStream_tbPNSt15iterator_traitsISJ_E10value_typeEPNSP_ISK_E10value_typeEPSL_NS1_7vsmem_tEENKUlT_SJ_SK_SL_E_clISE_PsSF_SF_EESI_SY_SJ_SK_SL_EUlSY_E1_NS1_11comp_targetILNS1_3genE3ELNS1_11target_archE908ELNS1_3gpuE7ELNS1_3repE0EEENS1_36merge_oddeven_config_static_selectorELNS0_4arch9wavefront6targetE0EEEvSK_
; %bb.0:
	.section	.rodata,"a",@progbits
	.p2align	6, 0x0
	.amdhsa_kernel _ZN7rocprim17ROCPRIM_400000_NS6detail17trampoline_kernelINS0_14default_configENS1_38merge_sort_block_merge_config_selectorIsNS0_10empty_typeEEEZZNS1_27merge_sort_block_merge_implIS3_N6thrust23THRUST_200600_302600_NS6detail15normal_iteratorINS9_10device_ptrIsEEEEPS5_m11less_div_10IsEEE10hipError_tT0_T1_T2_jT3_P12ihipStream_tbPNSt15iterator_traitsISJ_E10value_typeEPNSP_ISK_E10value_typeEPSL_NS1_7vsmem_tEENKUlT_SJ_SK_SL_E_clISE_PsSF_SF_EESI_SY_SJ_SK_SL_EUlSY_E1_NS1_11comp_targetILNS1_3genE3ELNS1_11target_archE908ELNS1_3gpuE7ELNS1_3repE0EEENS1_36merge_oddeven_config_static_selectorELNS0_4arch9wavefront6targetE0EEEvSK_
		.amdhsa_group_segment_fixed_size 0
		.amdhsa_private_segment_fixed_size 0
		.amdhsa_kernarg_size 56
		.amdhsa_user_sgpr_count 6
		.amdhsa_user_sgpr_private_segment_buffer 1
		.amdhsa_user_sgpr_dispatch_ptr 0
		.amdhsa_user_sgpr_queue_ptr 0
		.amdhsa_user_sgpr_kernarg_segment_ptr 1
		.amdhsa_user_sgpr_dispatch_id 0
		.amdhsa_user_sgpr_flat_scratch_init 0
		.amdhsa_user_sgpr_private_segment_size 0
		.amdhsa_wavefront_size32 1
		.amdhsa_uses_dynamic_stack 0
		.amdhsa_system_sgpr_private_segment_wavefront_offset 0
		.amdhsa_system_sgpr_workgroup_id_x 1
		.amdhsa_system_sgpr_workgroup_id_y 0
		.amdhsa_system_sgpr_workgroup_id_z 0
		.amdhsa_system_sgpr_workgroup_info 0
		.amdhsa_system_vgpr_workitem_id 0
		.amdhsa_next_free_vgpr 1
		.amdhsa_next_free_sgpr 1
		.amdhsa_reserve_vcc 0
		.amdhsa_reserve_flat_scratch 0
		.amdhsa_float_round_mode_32 0
		.amdhsa_float_round_mode_16_64 0
		.amdhsa_float_denorm_mode_32 3
		.amdhsa_float_denorm_mode_16_64 3
		.amdhsa_dx10_clamp 1
		.amdhsa_ieee_mode 1
		.amdhsa_fp16_overflow 0
		.amdhsa_workgroup_processor_mode 1
		.amdhsa_memory_ordered 1
		.amdhsa_forward_progress 1
		.amdhsa_shared_vgpr_count 0
		.amdhsa_exception_fp_ieee_invalid_op 0
		.amdhsa_exception_fp_denorm_src 0
		.amdhsa_exception_fp_ieee_div_zero 0
		.amdhsa_exception_fp_ieee_overflow 0
		.amdhsa_exception_fp_ieee_underflow 0
		.amdhsa_exception_fp_ieee_inexact 0
		.amdhsa_exception_int_div_zero 0
	.end_amdhsa_kernel
	.section	.text._ZN7rocprim17ROCPRIM_400000_NS6detail17trampoline_kernelINS0_14default_configENS1_38merge_sort_block_merge_config_selectorIsNS0_10empty_typeEEEZZNS1_27merge_sort_block_merge_implIS3_N6thrust23THRUST_200600_302600_NS6detail15normal_iteratorINS9_10device_ptrIsEEEEPS5_m11less_div_10IsEEE10hipError_tT0_T1_T2_jT3_P12ihipStream_tbPNSt15iterator_traitsISJ_E10value_typeEPNSP_ISK_E10value_typeEPSL_NS1_7vsmem_tEENKUlT_SJ_SK_SL_E_clISE_PsSF_SF_EESI_SY_SJ_SK_SL_EUlSY_E1_NS1_11comp_targetILNS1_3genE3ELNS1_11target_archE908ELNS1_3gpuE7ELNS1_3repE0EEENS1_36merge_oddeven_config_static_selectorELNS0_4arch9wavefront6targetE0EEEvSK_,"axG",@progbits,_ZN7rocprim17ROCPRIM_400000_NS6detail17trampoline_kernelINS0_14default_configENS1_38merge_sort_block_merge_config_selectorIsNS0_10empty_typeEEEZZNS1_27merge_sort_block_merge_implIS3_N6thrust23THRUST_200600_302600_NS6detail15normal_iteratorINS9_10device_ptrIsEEEEPS5_m11less_div_10IsEEE10hipError_tT0_T1_T2_jT3_P12ihipStream_tbPNSt15iterator_traitsISJ_E10value_typeEPNSP_ISK_E10value_typeEPSL_NS1_7vsmem_tEENKUlT_SJ_SK_SL_E_clISE_PsSF_SF_EESI_SY_SJ_SK_SL_EUlSY_E1_NS1_11comp_targetILNS1_3genE3ELNS1_11target_archE908ELNS1_3gpuE7ELNS1_3repE0EEENS1_36merge_oddeven_config_static_selectorELNS0_4arch9wavefront6targetE0EEEvSK_,comdat
.Lfunc_end568:
	.size	_ZN7rocprim17ROCPRIM_400000_NS6detail17trampoline_kernelINS0_14default_configENS1_38merge_sort_block_merge_config_selectorIsNS0_10empty_typeEEEZZNS1_27merge_sort_block_merge_implIS3_N6thrust23THRUST_200600_302600_NS6detail15normal_iteratorINS9_10device_ptrIsEEEEPS5_m11less_div_10IsEEE10hipError_tT0_T1_T2_jT3_P12ihipStream_tbPNSt15iterator_traitsISJ_E10value_typeEPNSP_ISK_E10value_typeEPSL_NS1_7vsmem_tEENKUlT_SJ_SK_SL_E_clISE_PsSF_SF_EESI_SY_SJ_SK_SL_EUlSY_E1_NS1_11comp_targetILNS1_3genE3ELNS1_11target_archE908ELNS1_3gpuE7ELNS1_3repE0EEENS1_36merge_oddeven_config_static_selectorELNS0_4arch9wavefront6targetE0EEEvSK_, .Lfunc_end568-_ZN7rocprim17ROCPRIM_400000_NS6detail17trampoline_kernelINS0_14default_configENS1_38merge_sort_block_merge_config_selectorIsNS0_10empty_typeEEEZZNS1_27merge_sort_block_merge_implIS3_N6thrust23THRUST_200600_302600_NS6detail15normal_iteratorINS9_10device_ptrIsEEEEPS5_m11less_div_10IsEEE10hipError_tT0_T1_T2_jT3_P12ihipStream_tbPNSt15iterator_traitsISJ_E10value_typeEPNSP_ISK_E10value_typeEPSL_NS1_7vsmem_tEENKUlT_SJ_SK_SL_E_clISE_PsSF_SF_EESI_SY_SJ_SK_SL_EUlSY_E1_NS1_11comp_targetILNS1_3genE3ELNS1_11target_archE908ELNS1_3gpuE7ELNS1_3repE0EEENS1_36merge_oddeven_config_static_selectorELNS0_4arch9wavefront6targetE0EEEvSK_
                                        ; -- End function
	.set _ZN7rocprim17ROCPRIM_400000_NS6detail17trampoline_kernelINS0_14default_configENS1_38merge_sort_block_merge_config_selectorIsNS0_10empty_typeEEEZZNS1_27merge_sort_block_merge_implIS3_N6thrust23THRUST_200600_302600_NS6detail15normal_iteratorINS9_10device_ptrIsEEEEPS5_m11less_div_10IsEEE10hipError_tT0_T1_T2_jT3_P12ihipStream_tbPNSt15iterator_traitsISJ_E10value_typeEPNSP_ISK_E10value_typeEPSL_NS1_7vsmem_tEENKUlT_SJ_SK_SL_E_clISE_PsSF_SF_EESI_SY_SJ_SK_SL_EUlSY_E1_NS1_11comp_targetILNS1_3genE3ELNS1_11target_archE908ELNS1_3gpuE7ELNS1_3repE0EEENS1_36merge_oddeven_config_static_selectorELNS0_4arch9wavefront6targetE0EEEvSK_.num_vgpr, 0
	.set _ZN7rocprim17ROCPRIM_400000_NS6detail17trampoline_kernelINS0_14default_configENS1_38merge_sort_block_merge_config_selectorIsNS0_10empty_typeEEEZZNS1_27merge_sort_block_merge_implIS3_N6thrust23THRUST_200600_302600_NS6detail15normal_iteratorINS9_10device_ptrIsEEEEPS5_m11less_div_10IsEEE10hipError_tT0_T1_T2_jT3_P12ihipStream_tbPNSt15iterator_traitsISJ_E10value_typeEPNSP_ISK_E10value_typeEPSL_NS1_7vsmem_tEENKUlT_SJ_SK_SL_E_clISE_PsSF_SF_EESI_SY_SJ_SK_SL_EUlSY_E1_NS1_11comp_targetILNS1_3genE3ELNS1_11target_archE908ELNS1_3gpuE7ELNS1_3repE0EEENS1_36merge_oddeven_config_static_selectorELNS0_4arch9wavefront6targetE0EEEvSK_.num_agpr, 0
	.set _ZN7rocprim17ROCPRIM_400000_NS6detail17trampoline_kernelINS0_14default_configENS1_38merge_sort_block_merge_config_selectorIsNS0_10empty_typeEEEZZNS1_27merge_sort_block_merge_implIS3_N6thrust23THRUST_200600_302600_NS6detail15normal_iteratorINS9_10device_ptrIsEEEEPS5_m11less_div_10IsEEE10hipError_tT0_T1_T2_jT3_P12ihipStream_tbPNSt15iterator_traitsISJ_E10value_typeEPNSP_ISK_E10value_typeEPSL_NS1_7vsmem_tEENKUlT_SJ_SK_SL_E_clISE_PsSF_SF_EESI_SY_SJ_SK_SL_EUlSY_E1_NS1_11comp_targetILNS1_3genE3ELNS1_11target_archE908ELNS1_3gpuE7ELNS1_3repE0EEENS1_36merge_oddeven_config_static_selectorELNS0_4arch9wavefront6targetE0EEEvSK_.numbered_sgpr, 0
	.set _ZN7rocprim17ROCPRIM_400000_NS6detail17trampoline_kernelINS0_14default_configENS1_38merge_sort_block_merge_config_selectorIsNS0_10empty_typeEEEZZNS1_27merge_sort_block_merge_implIS3_N6thrust23THRUST_200600_302600_NS6detail15normal_iteratorINS9_10device_ptrIsEEEEPS5_m11less_div_10IsEEE10hipError_tT0_T1_T2_jT3_P12ihipStream_tbPNSt15iterator_traitsISJ_E10value_typeEPNSP_ISK_E10value_typeEPSL_NS1_7vsmem_tEENKUlT_SJ_SK_SL_E_clISE_PsSF_SF_EESI_SY_SJ_SK_SL_EUlSY_E1_NS1_11comp_targetILNS1_3genE3ELNS1_11target_archE908ELNS1_3gpuE7ELNS1_3repE0EEENS1_36merge_oddeven_config_static_selectorELNS0_4arch9wavefront6targetE0EEEvSK_.num_named_barrier, 0
	.set _ZN7rocprim17ROCPRIM_400000_NS6detail17trampoline_kernelINS0_14default_configENS1_38merge_sort_block_merge_config_selectorIsNS0_10empty_typeEEEZZNS1_27merge_sort_block_merge_implIS3_N6thrust23THRUST_200600_302600_NS6detail15normal_iteratorINS9_10device_ptrIsEEEEPS5_m11less_div_10IsEEE10hipError_tT0_T1_T2_jT3_P12ihipStream_tbPNSt15iterator_traitsISJ_E10value_typeEPNSP_ISK_E10value_typeEPSL_NS1_7vsmem_tEENKUlT_SJ_SK_SL_E_clISE_PsSF_SF_EESI_SY_SJ_SK_SL_EUlSY_E1_NS1_11comp_targetILNS1_3genE3ELNS1_11target_archE908ELNS1_3gpuE7ELNS1_3repE0EEENS1_36merge_oddeven_config_static_selectorELNS0_4arch9wavefront6targetE0EEEvSK_.private_seg_size, 0
	.set _ZN7rocprim17ROCPRIM_400000_NS6detail17trampoline_kernelINS0_14default_configENS1_38merge_sort_block_merge_config_selectorIsNS0_10empty_typeEEEZZNS1_27merge_sort_block_merge_implIS3_N6thrust23THRUST_200600_302600_NS6detail15normal_iteratorINS9_10device_ptrIsEEEEPS5_m11less_div_10IsEEE10hipError_tT0_T1_T2_jT3_P12ihipStream_tbPNSt15iterator_traitsISJ_E10value_typeEPNSP_ISK_E10value_typeEPSL_NS1_7vsmem_tEENKUlT_SJ_SK_SL_E_clISE_PsSF_SF_EESI_SY_SJ_SK_SL_EUlSY_E1_NS1_11comp_targetILNS1_3genE3ELNS1_11target_archE908ELNS1_3gpuE7ELNS1_3repE0EEENS1_36merge_oddeven_config_static_selectorELNS0_4arch9wavefront6targetE0EEEvSK_.uses_vcc, 0
	.set _ZN7rocprim17ROCPRIM_400000_NS6detail17trampoline_kernelINS0_14default_configENS1_38merge_sort_block_merge_config_selectorIsNS0_10empty_typeEEEZZNS1_27merge_sort_block_merge_implIS3_N6thrust23THRUST_200600_302600_NS6detail15normal_iteratorINS9_10device_ptrIsEEEEPS5_m11less_div_10IsEEE10hipError_tT0_T1_T2_jT3_P12ihipStream_tbPNSt15iterator_traitsISJ_E10value_typeEPNSP_ISK_E10value_typeEPSL_NS1_7vsmem_tEENKUlT_SJ_SK_SL_E_clISE_PsSF_SF_EESI_SY_SJ_SK_SL_EUlSY_E1_NS1_11comp_targetILNS1_3genE3ELNS1_11target_archE908ELNS1_3gpuE7ELNS1_3repE0EEENS1_36merge_oddeven_config_static_selectorELNS0_4arch9wavefront6targetE0EEEvSK_.uses_flat_scratch, 0
	.set _ZN7rocprim17ROCPRIM_400000_NS6detail17trampoline_kernelINS0_14default_configENS1_38merge_sort_block_merge_config_selectorIsNS0_10empty_typeEEEZZNS1_27merge_sort_block_merge_implIS3_N6thrust23THRUST_200600_302600_NS6detail15normal_iteratorINS9_10device_ptrIsEEEEPS5_m11less_div_10IsEEE10hipError_tT0_T1_T2_jT3_P12ihipStream_tbPNSt15iterator_traitsISJ_E10value_typeEPNSP_ISK_E10value_typeEPSL_NS1_7vsmem_tEENKUlT_SJ_SK_SL_E_clISE_PsSF_SF_EESI_SY_SJ_SK_SL_EUlSY_E1_NS1_11comp_targetILNS1_3genE3ELNS1_11target_archE908ELNS1_3gpuE7ELNS1_3repE0EEENS1_36merge_oddeven_config_static_selectorELNS0_4arch9wavefront6targetE0EEEvSK_.has_dyn_sized_stack, 0
	.set _ZN7rocprim17ROCPRIM_400000_NS6detail17trampoline_kernelINS0_14default_configENS1_38merge_sort_block_merge_config_selectorIsNS0_10empty_typeEEEZZNS1_27merge_sort_block_merge_implIS3_N6thrust23THRUST_200600_302600_NS6detail15normal_iteratorINS9_10device_ptrIsEEEEPS5_m11less_div_10IsEEE10hipError_tT0_T1_T2_jT3_P12ihipStream_tbPNSt15iterator_traitsISJ_E10value_typeEPNSP_ISK_E10value_typeEPSL_NS1_7vsmem_tEENKUlT_SJ_SK_SL_E_clISE_PsSF_SF_EESI_SY_SJ_SK_SL_EUlSY_E1_NS1_11comp_targetILNS1_3genE3ELNS1_11target_archE908ELNS1_3gpuE7ELNS1_3repE0EEENS1_36merge_oddeven_config_static_selectorELNS0_4arch9wavefront6targetE0EEEvSK_.has_recursion, 0
	.set _ZN7rocprim17ROCPRIM_400000_NS6detail17trampoline_kernelINS0_14default_configENS1_38merge_sort_block_merge_config_selectorIsNS0_10empty_typeEEEZZNS1_27merge_sort_block_merge_implIS3_N6thrust23THRUST_200600_302600_NS6detail15normal_iteratorINS9_10device_ptrIsEEEEPS5_m11less_div_10IsEEE10hipError_tT0_T1_T2_jT3_P12ihipStream_tbPNSt15iterator_traitsISJ_E10value_typeEPNSP_ISK_E10value_typeEPSL_NS1_7vsmem_tEENKUlT_SJ_SK_SL_E_clISE_PsSF_SF_EESI_SY_SJ_SK_SL_EUlSY_E1_NS1_11comp_targetILNS1_3genE3ELNS1_11target_archE908ELNS1_3gpuE7ELNS1_3repE0EEENS1_36merge_oddeven_config_static_selectorELNS0_4arch9wavefront6targetE0EEEvSK_.has_indirect_call, 0
	.section	.AMDGPU.csdata,"",@progbits
; Kernel info:
; codeLenInByte = 0
; TotalNumSgprs: 0
; NumVgprs: 0
; ScratchSize: 0
; MemoryBound: 0
; FloatMode: 240
; IeeeMode: 1
; LDSByteSize: 0 bytes/workgroup (compile time only)
; SGPRBlocks: 0
; VGPRBlocks: 0
; NumSGPRsForWavesPerEU: 1
; NumVGPRsForWavesPerEU: 1
; Occupancy: 16
; WaveLimiterHint : 0
; COMPUTE_PGM_RSRC2:SCRATCH_EN: 0
; COMPUTE_PGM_RSRC2:USER_SGPR: 6
; COMPUTE_PGM_RSRC2:TRAP_HANDLER: 0
; COMPUTE_PGM_RSRC2:TGID_X_EN: 1
; COMPUTE_PGM_RSRC2:TGID_Y_EN: 0
; COMPUTE_PGM_RSRC2:TGID_Z_EN: 0
; COMPUTE_PGM_RSRC2:TIDIG_COMP_CNT: 0
	.section	.text._ZN7rocprim17ROCPRIM_400000_NS6detail17trampoline_kernelINS0_14default_configENS1_38merge_sort_block_merge_config_selectorIsNS0_10empty_typeEEEZZNS1_27merge_sort_block_merge_implIS3_N6thrust23THRUST_200600_302600_NS6detail15normal_iteratorINS9_10device_ptrIsEEEEPS5_m11less_div_10IsEEE10hipError_tT0_T1_T2_jT3_P12ihipStream_tbPNSt15iterator_traitsISJ_E10value_typeEPNSP_ISK_E10value_typeEPSL_NS1_7vsmem_tEENKUlT_SJ_SK_SL_E_clISE_PsSF_SF_EESI_SY_SJ_SK_SL_EUlSY_E1_NS1_11comp_targetILNS1_3genE2ELNS1_11target_archE906ELNS1_3gpuE6ELNS1_3repE0EEENS1_36merge_oddeven_config_static_selectorELNS0_4arch9wavefront6targetE0EEEvSK_,"axG",@progbits,_ZN7rocprim17ROCPRIM_400000_NS6detail17trampoline_kernelINS0_14default_configENS1_38merge_sort_block_merge_config_selectorIsNS0_10empty_typeEEEZZNS1_27merge_sort_block_merge_implIS3_N6thrust23THRUST_200600_302600_NS6detail15normal_iteratorINS9_10device_ptrIsEEEEPS5_m11less_div_10IsEEE10hipError_tT0_T1_T2_jT3_P12ihipStream_tbPNSt15iterator_traitsISJ_E10value_typeEPNSP_ISK_E10value_typeEPSL_NS1_7vsmem_tEENKUlT_SJ_SK_SL_E_clISE_PsSF_SF_EESI_SY_SJ_SK_SL_EUlSY_E1_NS1_11comp_targetILNS1_3genE2ELNS1_11target_archE906ELNS1_3gpuE6ELNS1_3repE0EEENS1_36merge_oddeven_config_static_selectorELNS0_4arch9wavefront6targetE0EEEvSK_,comdat
	.protected	_ZN7rocprim17ROCPRIM_400000_NS6detail17trampoline_kernelINS0_14default_configENS1_38merge_sort_block_merge_config_selectorIsNS0_10empty_typeEEEZZNS1_27merge_sort_block_merge_implIS3_N6thrust23THRUST_200600_302600_NS6detail15normal_iteratorINS9_10device_ptrIsEEEEPS5_m11less_div_10IsEEE10hipError_tT0_T1_T2_jT3_P12ihipStream_tbPNSt15iterator_traitsISJ_E10value_typeEPNSP_ISK_E10value_typeEPSL_NS1_7vsmem_tEENKUlT_SJ_SK_SL_E_clISE_PsSF_SF_EESI_SY_SJ_SK_SL_EUlSY_E1_NS1_11comp_targetILNS1_3genE2ELNS1_11target_archE906ELNS1_3gpuE6ELNS1_3repE0EEENS1_36merge_oddeven_config_static_selectorELNS0_4arch9wavefront6targetE0EEEvSK_ ; -- Begin function _ZN7rocprim17ROCPRIM_400000_NS6detail17trampoline_kernelINS0_14default_configENS1_38merge_sort_block_merge_config_selectorIsNS0_10empty_typeEEEZZNS1_27merge_sort_block_merge_implIS3_N6thrust23THRUST_200600_302600_NS6detail15normal_iteratorINS9_10device_ptrIsEEEEPS5_m11less_div_10IsEEE10hipError_tT0_T1_T2_jT3_P12ihipStream_tbPNSt15iterator_traitsISJ_E10value_typeEPNSP_ISK_E10value_typeEPSL_NS1_7vsmem_tEENKUlT_SJ_SK_SL_E_clISE_PsSF_SF_EESI_SY_SJ_SK_SL_EUlSY_E1_NS1_11comp_targetILNS1_3genE2ELNS1_11target_archE906ELNS1_3gpuE6ELNS1_3repE0EEENS1_36merge_oddeven_config_static_selectorELNS0_4arch9wavefront6targetE0EEEvSK_
	.globl	_ZN7rocprim17ROCPRIM_400000_NS6detail17trampoline_kernelINS0_14default_configENS1_38merge_sort_block_merge_config_selectorIsNS0_10empty_typeEEEZZNS1_27merge_sort_block_merge_implIS3_N6thrust23THRUST_200600_302600_NS6detail15normal_iteratorINS9_10device_ptrIsEEEEPS5_m11less_div_10IsEEE10hipError_tT0_T1_T2_jT3_P12ihipStream_tbPNSt15iterator_traitsISJ_E10value_typeEPNSP_ISK_E10value_typeEPSL_NS1_7vsmem_tEENKUlT_SJ_SK_SL_E_clISE_PsSF_SF_EESI_SY_SJ_SK_SL_EUlSY_E1_NS1_11comp_targetILNS1_3genE2ELNS1_11target_archE906ELNS1_3gpuE6ELNS1_3repE0EEENS1_36merge_oddeven_config_static_selectorELNS0_4arch9wavefront6targetE0EEEvSK_
	.p2align	8
	.type	_ZN7rocprim17ROCPRIM_400000_NS6detail17trampoline_kernelINS0_14default_configENS1_38merge_sort_block_merge_config_selectorIsNS0_10empty_typeEEEZZNS1_27merge_sort_block_merge_implIS3_N6thrust23THRUST_200600_302600_NS6detail15normal_iteratorINS9_10device_ptrIsEEEEPS5_m11less_div_10IsEEE10hipError_tT0_T1_T2_jT3_P12ihipStream_tbPNSt15iterator_traitsISJ_E10value_typeEPNSP_ISK_E10value_typeEPSL_NS1_7vsmem_tEENKUlT_SJ_SK_SL_E_clISE_PsSF_SF_EESI_SY_SJ_SK_SL_EUlSY_E1_NS1_11comp_targetILNS1_3genE2ELNS1_11target_archE906ELNS1_3gpuE6ELNS1_3repE0EEENS1_36merge_oddeven_config_static_selectorELNS0_4arch9wavefront6targetE0EEEvSK_,@function
_ZN7rocprim17ROCPRIM_400000_NS6detail17trampoline_kernelINS0_14default_configENS1_38merge_sort_block_merge_config_selectorIsNS0_10empty_typeEEEZZNS1_27merge_sort_block_merge_implIS3_N6thrust23THRUST_200600_302600_NS6detail15normal_iteratorINS9_10device_ptrIsEEEEPS5_m11less_div_10IsEEE10hipError_tT0_T1_T2_jT3_P12ihipStream_tbPNSt15iterator_traitsISJ_E10value_typeEPNSP_ISK_E10value_typeEPSL_NS1_7vsmem_tEENKUlT_SJ_SK_SL_E_clISE_PsSF_SF_EESI_SY_SJ_SK_SL_EUlSY_E1_NS1_11comp_targetILNS1_3genE2ELNS1_11target_archE906ELNS1_3gpuE6ELNS1_3repE0EEENS1_36merge_oddeven_config_static_selectorELNS0_4arch9wavefront6targetE0EEEvSK_: ; @_ZN7rocprim17ROCPRIM_400000_NS6detail17trampoline_kernelINS0_14default_configENS1_38merge_sort_block_merge_config_selectorIsNS0_10empty_typeEEEZZNS1_27merge_sort_block_merge_implIS3_N6thrust23THRUST_200600_302600_NS6detail15normal_iteratorINS9_10device_ptrIsEEEEPS5_m11less_div_10IsEEE10hipError_tT0_T1_T2_jT3_P12ihipStream_tbPNSt15iterator_traitsISJ_E10value_typeEPNSP_ISK_E10value_typeEPSL_NS1_7vsmem_tEENKUlT_SJ_SK_SL_E_clISE_PsSF_SF_EESI_SY_SJ_SK_SL_EUlSY_E1_NS1_11comp_targetILNS1_3genE2ELNS1_11target_archE906ELNS1_3gpuE6ELNS1_3repE0EEENS1_36merge_oddeven_config_static_selectorELNS0_4arch9wavefront6targetE0EEEvSK_
; %bb.0:
	.section	.rodata,"a",@progbits
	.p2align	6, 0x0
	.amdhsa_kernel _ZN7rocprim17ROCPRIM_400000_NS6detail17trampoline_kernelINS0_14default_configENS1_38merge_sort_block_merge_config_selectorIsNS0_10empty_typeEEEZZNS1_27merge_sort_block_merge_implIS3_N6thrust23THRUST_200600_302600_NS6detail15normal_iteratorINS9_10device_ptrIsEEEEPS5_m11less_div_10IsEEE10hipError_tT0_T1_T2_jT3_P12ihipStream_tbPNSt15iterator_traitsISJ_E10value_typeEPNSP_ISK_E10value_typeEPSL_NS1_7vsmem_tEENKUlT_SJ_SK_SL_E_clISE_PsSF_SF_EESI_SY_SJ_SK_SL_EUlSY_E1_NS1_11comp_targetILNS1_3genE2ELNS1_11target_archE906ELNS1_3gpuE6ELNS1_3repE0EEENS1_36merge_oddeven_config_static_selectorELNS0_4arch9wavefront6targetE0EEEvSK_
		.amdhsa_group_segment_fixed_size 0
		.amdhsa_private_segment_fixed_size 0
		.amdhsa_kernarg_size 56
		.amdhsa_user_sgpr_count 6
		.amdhsa_user_sgpr_private_segment_buffer 1
		.amdhsa_user_sgpr_dispatch_ptr 0
		.amdhsa_user_sgpr_queue_ptr 0
		.amdhsa_user_sgpr_kernarg_segment_ptr 1
		.amdhsa_user_sgpr_dispatch_id 0
		.amdhsa_user_sgpr_flat_scratch_init 0
		.amdhsa_user_sgpr_private_segment_size 0
		.amdhsa_wavefront_size32 1
		.amdhsa_uses_dynamic_stack 0
		.amdhsa_system_sgpr_private_segment_wavefront_offset 0
		.amdhsa_system_sgpr_workgroup_id_x 1
		.amdhsa_system_sgpr_workgroup_id_y 0
		.amdhsa_system_sgpr_workgroup_id_z 0
		.amdhsa_system_sgpr_workgroup_info 0
		.amdhsa_system_vgpr_workitem_id 0
		.amdhsa_next_free_vgpr 1
		.amdhsa_next_free_sgpr 1
		.amdhsa_reserve_vcc 0
		.amdhsa_reserve_flat_scratch 0
		.amdhsa_float_round_mode_32 0
		.amdhsa_float_round_mode_16_64 0
		.amdhsa_float_denorm_mode_32 3
		.amdhsa_float_denorm_mode_16_64 3
		.amdhsa_dx10_clamp 1
		.amdhsa_ieee_mode 1
		.amdhsa_fp16_overflow 0
		.amdhsa_workgroup_processor_mode 1
		.amdhsa_memory_ordered 1
		.amdhsa_forward_progress 1
		.amdhsa_shared_vgpr_count 0
		.amdhsa_exception_fp_ieee_invalid_op 0
		.amdhsa_exception_fp_denorm_src 0
		.amdhsa_exception_fp_ieee_div_zero 0
		.amdhsa_exception_fp_ieee_overflow 0
		.amdhsa_exception_fp_ieee_underflow 0
		.amdhsa_exception_fp_ieee_inexact 0
		.amdhsa_exception_int_div_zero 0
	.end_amdhsa_kernel
	.section	.text._ZN7rocprim17ROCPRIM_400000_NS6detail17trampoline_kernelINS0_14default_configENS1_38merge_sort_block_merge_config_selectorIsNS0_10empty_typeEEEZZNS1_27merge_sort_block_merge_implIS3_N6thrust23THRUST_200600_302600_NS6detail15normal_iteratorINS9_10device_ptrIsEEEEPS5_m11less_div_10IsEEE10hipError_tT0_T1_T2_jT3_P12ihipStream_tbPNSt15iterator_traitsISJ_E10value_typeEPNSP_ISK_E10value_typeEPSL_NS1_7vsmem_tEENKUlT_SJ_SK_SL_E_clISE_PsSF_SF_EESI_SY_SJ_SK_SL_EUlSY_E1_NS1_11comp_targetILNS1_3genE2ELNS1_11target_archE906ELNS1_3gpuE6ELNS1_3repE0EEENS1_36merge_oddeven_config_static_selectorELNS0_4arch9wavefront6targetE0EEEvSK_,"axG",@progbits,_ZN7rocprim17ROCPRIM_400000_NS6detail17trampoline_kernelINS0_14default_configENS1_38merge_sort_block_merge_config_selectorIsNS0_10empty_typeEEEZZNS1_27merge_sort_block_merge_implIS3_N6thrust23THRUST_200600_302600_NS6detail15normal_iteratorINS9_10device_ptrIsEEEEPS5_m11less_div_10IsEEE10hipError_tT0_T1_T2_jT3_P12ihipStream_tbPNSt15iterator_traitsISJ_E10value_typeEPNSP_ISK_E10value_typeEPSL_NS1_7vsmem_tEENKUlT_SJ_SK_SL_E_clISE_PsSF_SF_EESI_SY_SJ_SK_SL_EUlSY_E1_NS1_11comp_targetILNS1_3genE2ELNS1_11target_archE906ELNS1_3gpuE6ELNS1_3repE0EEENS1_36merge_oddeven_config_static_selectorELNS0_4arch9wavefront6targetE0EEEvSK_,comdat
.Lfunc_end569:
	.size	_ZN7rocprim17ROCPRIM_400000_NS6detail17trampoline_kernelINS0_14default_configENS1_38merge_sort_block_merge_config_selectorIsNS0_10empty_typeEEEZZNS1_27merge_sort_block_merge_implIS3_N6thrust23THRUST_200600_302600_NS6detail15normal_iteratorINS9_10device_ptrIsEEEEPS5_m11less_div_10IsEEE10hipError_tT0_T1_T2_jT3_P12ihipStream_tbPNSt15iterator_traitsISJ_E10value_typeEPNSP_ISK_E10value_typeEPSL_NS1_7vsmem_tEENKUlT_SJ_SK_SL_E_clISE_PsSF_SF_EESI_SY_SJ_SK_SL_EUlSY_E1_NS1_11comp_targetILNS1_3genE2ELNS1_11target_archE906ELNS1_3gpuE6ELNS1_3repE0EEENS1_36merge_oddeven_config_static_selectorELNS0_4arch9wavefront6targetE0EEEvSK_, .Lfunc_end569-_ZN7rocprim17ROCPRIM_400000_NS6detail17trampoline_kernelINS0_14default_configENS1_38merge_sort_block_merge_config_selectorIsNS0_10empty_typeEEEZZNS1_27merge_sort_block_merge_implIS3_N6thrust23THRUST_200600_302600_NS6detail15normal_iteratorINS9_10device_ptrIsEEEEPS5_m11less_div_10IsEEE10hipError_tT0_T1_T2_jT3_P12ihipStream_tbPNSt15iterator_traitsISJ_E10value_typeEPNSP_ISK_E10value_typeEPSL_NS1_7vsmem_tEENKUlT_SJ_SK_SL_E_clISE_PsSF_SF_EESI_SY_SJ_SK_SL_EUlSY_E1_NS1_11comp_targetILNS1_3genE2ELNS1_11target_archE906ELNS1_3gpuE6ELNS1_3repE0EEENS1_36merge_oddeven_config_static_selectorELNS0_4arch9wavefront6targetE0EEEvSK_
                                        ; -- End function
	.set _ZN7rocprim17ROCPRIM_400000_NS6detail17trampoline_kernelINS0_14default_configENS1_38merge_sort_block_merge_config_selectorIsNS0_10empty_typeEEEZZNS1_27merge_sort_block_merge_implIS3_N6thrust23THRUST_200600_302600_NS6detail15normal_iteratorINS9_10device_ptrIsEEEEPS5_m11less_div_10IsEEE10hipError_tT0_T1_T2_jT3_P12ihipStream_tbPNSt15iterator_traitsISJ_E10value_typeEPNSP_ISK_E10value_typeEPSL_NS1_7vsmem_tEENKUlT_SJ_SK_SL_E_clISE_PsSF_SF_EESI_SY_SJ_SK_SL_EUlSY_E1_NS1_11comp_targetILNS1_3genE2ELNS1_11target_archE906ELNS1_3gpuE6ELNS1_3repE0EEENS1_36merge_oddeven_config_static_selectorELNS0_4arch9wavefront6targetE0EEEvSK_.num_vgpr, 0
	.set _ZN7rocprim17ROCPRIM_400000_NS6detail17trampoline_kernelINS0_14default_configENS1_38merge_sort_block_merge_config_selectorIsNS0_10empty_typeEEEZZNS1_27merge_sort_block_merge_implIS3_N6thrust23THRUST_200600_302600_NS6detail15normal_iteratorINS9_10device_ptrIsEEEEPS5_m11less_div_10IsEEE10hipError_tT0_T1_T2_jT3_P12ihipStream_tbPNSt15iterator_traitsISJ_E10value_typeEPNSP_ISK_E10value_typeEPSL_NS1_7vsmem_tEENKUlT_SJ_SK_SL_E_clISE_PsSF_SF_EESI_SY_SJ_SK_SL_EUlSY_E1_NS1_11comp_targetILNS1_3genE2ELNS1_11target_archE906ELNS1_3gpuE6ELNS1_3repE0EEENS1_36merge_oddeven_config_static_selectorELNS0_4arch9wavefront6targetE0EEEvSK_.num_agpr, 0
	.set _ZN7rocprim17ROCPRIM_400000_NS6detail17trampoline_kernelINS0_14default_configENS1_38merge_sort_block_merge_config_selectorIsNS0_10empty_typeEEEZZNS1_27merge_sort_block_merge_implIS3_N6thrust23THRUST_200600_302600_NS6detail15normal_iteratorINS9_10device_ptrIsEEEEPS5_m11less_div_10IsEEE10hipError_tT0_T1_T2_jT3_P12ihipStream_tbPNSt15iterator_traitsISJ_E10value_typeEPNSP_ISK_E10value_typeEPSL_NS1_7vsmem_tEENKUlT_SJ_SK_SL_E_clISE_PsSF_SF_EESI_SY_SJ_SK_SL_EUlSY_E1_NS1_11comp_targetILNS1_3genE2ELNS1_11target_archE906ELNS1_3gpuE6ELNS1_3repE0EEENS1_36merge_oddeven_config_static_selectorELNS0_4arch9wavefront6targetE0EEEvSK_.numbered_sgpr, 0
	.set _ZN7rocprim17ROCPRIM_400000_NS6detail17trampoline_kernelINS0_14default_configENS1_38merge_sort_block_merge_config_selectorIsNS0_10empty_typeEEEZZNS1_27merge_sort_block_merge_implIS3_N6thrust23THRUST_200600_302600_NS6detail15normal_iteratorINS9_10device_ptrIsEEEEPS5_m11less_div_10IsEEE10hipError_tT0_T1_T2_jT3_P12ihipStream_tbPNSt15iterator_traitsISJ_E10value_typeEPNSP_ISK_E10value_typeEPSL_NS1_7vsmem_tEENKUlT_SJ_SK_SL_E_clISE_PsSF_SF_EESI_SY_SJ_SK_SL_EUlSY_E1_NS1_11comp_targetILNS1_3genE2ELNS1_11target_archE906ELNS1_3gpuE6ELNS1_3repE0EEENS1_36merge_oddeven_config_static_selectorELNS0_4arch9wavefront6targetE0EEEvSK_.num_named_barrier, 0
	.set _ZN7rocprim17ROCPRIM_400000_NS6detail17trampoline_kernelINS0_14default_configENS1_38merge_sort_block_merge_config_selectorIsNS0_10empty_typeEEEZZNS1_27merge_sort_block_merge_implIS3_N6thrust23THRUST_200600_302600_NS6detail15normal_iteratorINS9_10device_ptrIsEEEEPS5_m11less_div_10IsEEE10hipError_tT0_T1_T2_jT3_P12ihipStream_tbPNSt15iterator_traitsISJ_E10value_typeEPNSP_ISK_E10value_typeEPSL_NS1_7vsmem_tEENKUlT_SJ_SK_SL_E_clISE_PsSF_SF_EESI_SY_SJ_SK_SL_EUlSY_E1_NS1_11comp_targetILNS1_3genE2ELNS1_11target_archE906ELNS1_3gpuE6ELNS1_3repE0EEENS1_36merge_oddeven_config_static_selectorELNS0_4arch9wavefront6targetE0EEEvSK_.private_seg_size, 0
	.set _ZN7rocprim17ROCPRIM_400000_NS6detail17trampoline_kernelINS0_14default_configENS1_38merge_sort_block_merge_config_selectorIsNS0_10empty_typeEEEZZNS1_27merge_sort_block_merge_implIS3_N6thrust23THRUST_200600_302600_NS6detail15normal_iteratorINS9_10device_ptrIsEEEEPS5_m11less_div_10IsEEE10hipError_tT0_T1_T2_jT3_P12ihipStream_tbPNSt15iterator_traitsISJ_E10value_typeEPNSP_ISK_E10value_typeEPSL_NS1_7vsmem_tEENKUlT_SJ_SK_SL_E_clISE_PsSF_SF_EESI_SY_SJ_SK_SL_EUlSY_E1_NS1_11comp_targetILNS1_3genE2ELNS1_11target_archE906ELNS1_3gpuE6ELNS1_3repE0EEENS1_36merge_oddeven_config_static_selectorELNS0_4arch9wavefront6targetE0EEEvSK_.uses_vcc, 0
	.set _ZN7rocprim17ROCPRIM_400000_NS6detail17trampoline_kernelINS0_14default_configENS1_38merge_sort_block_merge_config_selectorIsNS0_10empty_typeEEEZZNS1_27merge_sort_block_merge_implIS3_N6thrust23THRUST_200600_302600_NS6detail15normal_iteratorINS9_10device_ptrIsEEEEPS5_m11less_div_10IsEEE10hipError_tT0_T1_T2_jT3_P12ihipStream_tbPNSt15iterator_traitsISJ_E10value_typeEPNSP_ISK_E10value_typeEPSL_NS1_7vsmem_tEENKUlT_SJ_SK_SL_E_clISE_PsSF_SF_EESI_SY_SJ_SK_SL_EUlSY_E1_NS1_11comp_targetILNS1_3genE2ELNS1_11target_archE906ELNS1_3gpuE6ELNS1_3repE0EEENS1_36merge_oddeven_config_static_selectorELNS0_4arch9wavefront6targetE0EEEvSK_.uses_flat_scratch, 0
	.set _ZN7rocprim17ROCPRIM_400000_NS6detail17trampoline_kernelINS0_14default_configENS1_38merge_sort_block_merge_config_selectorIsNS0_10empty_typeEEEZZNS1_27merge_sort_block_merge_implIS3_N6thrust23THRUST_200600_302600_NS6detail15normal_iteratorINS9_10device_ptrIsEEEEPS5_m11less_div_10IsEEE10hipError_tT0_T1_T2_jT3_P12ihipStream_tbPNSt15iterator_traitsISJ_E10value_typeEPNSP_ISK_E10value_typeEPSL_NS1_7vsmem_tEENKUlT_SJ_SK_SL_E_clISE_PsSF_SF_EESI_SY_SJ_SK_SL_EUlSY_E1_NS1_11comp_targetILNS1_3genE2ELNS1_11target_archE906ELNS1_3gpuE6ELNS1_3repE0EEENS1_36merge_oddeven_config_static_selectorELNS0_4arch9wavefront6targetE0EEEvSK_.has_dyn_sized_stack, 0
	.set _ZN7rocprim17ROCPRIM_400000_NS6detail17trampoline_kernelINS0_14default_configENS1_38merge_sort_block_merge_config_selectorIsNS0_10empty_typeEEEZZNS1_27merge_sort_block_merge_implIS3_N6thrust23THRUST_200600_302600_NS6detail15normal_iteratorINS9_10device_ptrIsEEEEPS5_m11less_div_10IsEEE10hipError_tT0_T1_T2_jT3_P12ihipStream_tbPNSt15iterator_traitsISJ_E10value_typeEPNSP_ISK_E10value_typeEPSL_NS1_7vsmem_tEENKUlT_SJ_SK_SL_E_clISE_PsSF_SF_EESI_SY_SJ_SK_SL_EUlSY_E1_NS1_11comp_targetILNS1_3genE2ELNS1_11target_archE906ELNS1_3gpuE6ELNS1_3repE0EEENS1_36merge_oddeven_config_static_selectorELNS0_4arch9wavefront6targetE0EEEvSK_.has_recursion, 0
	.set _ZN7rocprim17ROCPRIM_400000_NS6detail17trampoline_kernelINS0_14default_configENS1_38merge_sort_block_merge_config_selectorIsNS0_10empty_typeEEEZZNS1_27merge_sort_block_merge_implIS3_N6thrust23THRUST_200600_302600_NS6detail15normal_iteratorINS9_10device_ptrIsEEEEPS5_m11less_div_10IsEEE10hipError_tT0_T1_T2_jT3_P12ihipStream_tbPNSt15iterator_traitsISJ_E10value_typeEPNSP_ISK_E10value_typeEPSL_NS1_7vsmem_tEENKUlT_SJ_SK_SL_E_clISE_PsSF_SF_EESI_SY_SJ_SK_SL_EUlSY_E1_NS1_11comp_targetILNS1_3genE2ELNS1_11target_archE906ELNS1_3gpuE6ELNS1_3repE0EEENS1_36merge_oddeven_config_static_selectorELNS0_4arch9wavefront6targetE0EEEvSK_.has_indirect_call, 0
	.section	.AMDGPU.csdata,"",@progbits
; Kernel info:
; codeLenInByte = 0
; TotalNumSgprs: 0
; NumVgprs: 0
; ScratchSize: 0
; MemoryBound: 0
; FloatMode: 240
; IeeeMode: 1
; LDSByteSize: 0 bytes/workgroup (compile time only)
; SGPRBlocks: 0
; VGPRBlocks: 0
; NumSGPRsForWavesPerEU: 1
; NumVGPRsForWavesPerEU: 1
; Occupancy: 16
; WaveLimiterHint : 0
; COMPUTE_PGM_RSRC2:SCRATCH_EN: 0
; COMPUTE_PGM_RSRC2:USER_SGPR: 6
; COMPUTE_PGM_RSRC2:TRAP_HANDLER: 0
; COMPUTE_PGM_RSRC2:TGID_X_EN: 1
; COMPUTE_PGM_RSRC2:TGID_Y_EN: 0
; COMPUTE_PGM_RSRC2:TGID_Z_EN: 0
; COMPUTE_PGM_RSRC2:TIDIG_COMP_CNT: 0
	.section	.text._ZN7rocprim17ROCPRIM_400000_NS6detail17trampoline_kernelINS0_14default_configENS1_38merge_sort_block_merge_config_selectorIsNS0_10empty_typeEEEZZNS1_27merge_sort_block_merge_implIS3_N6thrust23THRUST_200600_302600_NS6detail15normal_iteratorINS9_10device_ptrIsEEEEPS5_m11less_div_10IsEEE10hipError_tT0_T1_T2_jT3_P12ihipStream_tbPNSt15iterator_traitsISJ_E10value_typeEPNSP_ISK_E10value_typeEPSL_NS1_7vsmem_tEENKUlT_SJ_SK_SL_E_clISE_PsSF_SF_EESI_SY_SJ_SK_SL_EUlSY_E1_NS1_11comp_targetILNS1_3genE9ELNS1_11target_archE1100ELNS1_3gpuE3ELNS1_3repE0EEENS1_36merge_oddeven_config_static_selectorELNS0_4arch9wavefront6targetE0EEEvSK_,"axG",@progbits,_ZN7rocprim17ROCPRIM_400000_NS6detail17trampoline_kernelINS0_14default_configENS1_38merge_sort_block_merge_config_selectorIsNS0_10empty_typeEEEZZNS1_27merge_sort_block_merge_implIS3_N6thrust23THRUST_200600_302600_NS6detail15normal_iteratorINS9_10device_ptrIsEEEEPS5_m11less_div_10IsEEE10hipError_tT0_T1_T2_jT3_P12ihipStream_tbPNSt15iterator_traitsISJ_E10value_typeEPNSP_ISK_E10value_typeEPSL_NS1_7vsmem_tEENKUlT_SJ_SK_SL_E_clISE_PsSF_SF_EESI_SY_SJ_SK_SL_EUlSY_E1_NS1_11comp_targetILNS1_3genE9ELNS1_11target_archE1100ELNS1_3gpuE3ELNS1_3repE0EEENS1_36merge_oddeven_config_static_selectorELNS0_4arch9wavefront6targetE0EEEvSK_,comdat
	.protected	_ZN7rocprim17ROCPRIM_400000_NS6detail17trampoline_kernelINS0_14default_configENS1_38merge_sort_block_merge_config_selectorIsNS0_10empty_typeEEEZZNS1_27merge_sort_block_merge_implIS3_N6thrust23THRUST_200600_302600_NS6detail15normal_iteratorINS9_10device_ptrIsEEEEPS5_m11less_div_10IsEEE10hipError_tT0_T1_T2_jT3_P12ihipStream_tbPNSt15iterator_traitsISJ_E10value_typeEPNSP_ISK_E10value_typeEPSL_NS1_7vsmem_tEENKUlT_SJ_SK_SL_E_clISE_PsSF_SF_EESI_SY_SJ_SK_SL_EUlSY_E1_NS1_11comp_targetILNS1_3genE9ELNS1_11target_archE1100ELNS1_3gpuE3ELNS1_3repE0EEENS1_36merge_oddeven_config_static_selectorELNS0_4arch9wavefront6targetE0EEEvSK_ ; -- Begin function _ZN7rocprim17ROCPRIM_400000_NS6detail17trampoline_kernelINS0_14default_configENS1_38merge_sort_block_merge_config_selectorIsNS0_10empty_typeEEEZZNS1_27merge_sort_block_merge_implIS3_N6thrust23THRUST_200600_302600_NS6detail15normal_iteratorINS9_10device_ptrIsEEEEPS5_m11less_div_10IsEEE10hipError_tT0_T1_T2_jT3_P12ihipStream_tbPNSt15iterator_traitsISJ_E10value_typeEPNSP_ISK_E10value_typeEPSL_NS1_7vsmem_tEENKUlT_SJ_SK_SL_E_clISE_PsSF_SF_EESI_SY_SJ_SK_SL_EUlSY_E1_NS1_11comp_targetILNS1_3genE9ELNS1_11target_archE1100ELNS1_3gpuE3ELNS1_3repE0EEENS1_36merge_oddeven_config_static_selectorELNS0_4arch9wavefront6targetE0EEEvSK_
	.globl	_ZN7rocprim17ROCPRIM_400000_NS6detail17trampoline_kernelINS0_14default_configENS1_38merge_sort_block_merge_config_selectorIsNS0_10empty_typeEEEZZNS1_27merge_sort_block_merge_implIS3_N6thrust23THRUST_200600_302600_NS6detail15normal_iteratorINS9_10device_ptrIsEEEEPS5_m11less_div_10IsEEE10hipError_tT0_T1_T2_jT3_P12ihipStream_tbPNSt15iterator_traitsISJ_E10value_typeEPNSP_ISK_E10value_typeEPSL_NS1_7vsmem_tEENKUlT_SJ_SK_SL_E_clISE_PsSF_SF_EESI_SY_SJ_SK_SL_EUlSY_E1_NS1_11comp_targetILNS1_3genE9ELNS1_11target_archE1100ELNS1_3gpuE3ELNS1_3repE0EEENS1_36merge_oddeven_config_static_selectorELNS0_4arch9wavefront6targetE0EEEvSK_
	.p2align	8
	.type	_ZN7rocprim17ROCPRIM_400000_NS6detail17trampoline_kernelINS0_14default_configENS1_38merge_sort_block_merge_config_selectorIsNS0_10empty_typeEEEZZNS1_27merge_sort_block_merge_implIS3_N6thrust23THRUST_200600_302600_NS6detail15normal_iteratorINS9_10device_ptrIsEEEEPS5_m11less_div_10IsEEE10hipError_tT0_T1_T2_jT3_P12ihipStream_tbPNSt15iterator_traitsISJ_E10value_typeEPNSP_ISK_E10value_typeEPSL_NS1_7vsmem_tEENKUlT_SJ_SK_SL_E_clISE_PsSF_SF_EESI_SY_SJ_SK_SL_EUlSY_E1_NS1_11comp_targetILNS1_3genE9ELNS1_11target_archE1100ELNS1_3gpuE3ELNS1_3repE0EEENS1_36merge_oddeven_config_static_selectorELNS0_4arch9wavefront6targetE0EEEvSK_,@function
_ZN7rocprim17ROCPRIM_400000_NS6detail17trampoline_kernelINS0_14default_configENS1_38merge_sort_block_merge_config_selectorIsNS0_10empty_typeEEEZZNS1_27merge_sort_block_merge_implIS3_N6thrust23THRUST_200600_302600_NS6detail15normal_iteratorINS9_10device_ptrIsEEEEPS5_m11less_div_10IsEEE10hipError_tT0_T1_T2_jT3_P12ihipStream_tbPNSt15iterator_traitsISJ_E10value_typeEPNSP_ISK_E10value_typeEPSL_NS1_7vsmem_tEENKUlT_SJ_SK_SL_E_clISE_PsSF_SF_EESI_SY_SJ_SK_SL_EUlSY_E1_NS1_11comp_targetILNS1_3genE9ELNS1_11target_archE1100ELNS1_3gpuE3ELNS1_3repE0EEENS1_36merge_oddeven_config_static_selectorELNS0_4arch9wavefront6targetE0EEEvSK_: ; @_ZN7rocprim17ROCPRIM_400000_NS6detail17trampoline_kernelINS0_14default_configENS1_38merge_sort_block_merge_config_selectorIsNS0_10empty_typeEEEZZNS1_27merge_sort_block_merge_implIS3_N6thrust23THRUST_200600_302600_NS6detail15normal_iteratorINS9_10device_ptrIsEEEEPS5_m11less_div_10IsEEE10hipError_tT0_T1_T2_jT3_P12ihipStream_tbPNSt15iterator_traitsISJ_E10value_typeEPNSP_ISK_E10value_typeEPSL_NS1_7vsmem_tEENKUlT_SJ_SK_SL_E_clISE_PsSF_SF_EESI_SY_SJ_SK_SL_EUlSY_E1_NS1_11comp_targetILNS1_3genE9ELNS1_11target_archE1100ELNS1_3gpuE3ELNS1_3repE0EEENS1_36merge_oddeven_config_static_selectorELNS0_4arch9wavefront6targetE0EEEvSK_
; %bb.0:
	.section	.rodata,"a",@progbits
	.p2align	6, 0x0
	.amdhsa_kernel _ZN7rocprim17ROCPRIM_400000_NS6detail17trampoline_kernelINS0_14default_configENS1_38merge_sort_block_merge_config_selectorIsNS0_10empty_typeEEEZZNS1_27merge_sort_block_merge_implIS3_N6thrust23THRUST_200600_302600_NS6detail15normal_iteratorINS9_10device_ptrIsEEEEPS5_m11less_div_10IsEEE10hipError_tT0_T1_T2_jT3_P12ihipStream_tbPNSt15iterator_traitsISJ_E10value_typeEPNSP_ISK_E10value_typeEPSL_NS1_7vsmem_tEENKUlT_SJ_SK_SL_E_clISE_PsSF_SF_EESI_SY_SJ_SK_SL_EUlSY_E1_NS1_11comp_targetILNS1_3genE9ELNS1_11target_archE1100ELNS1_3gpuE3ELNS1_3repE0EEENS1_36merge_oddeven_config_static_selectorELNS0_4arch9wavefront6targetE0EEEvSK_
		.amdhsa_group_segment_fixed_size 0
		.amdhsa_private_segment_fixed_size 0
		.amdhsa_kernarg_size 56
		.amdhsa_user_sgpr_count 6
		.amdhsa_user_sgpr_private_segment_buffer 1
		.amdhsa_user_sgpr_dispatch_ptr 0
		.amdhsa_user_sgpr_queue_ptr 0
		.amdhsa_user_sgpr_kernarg_segment_ptr 1
		.amdhsa_user_sgpr_dispatch_id 0
		.amdhsa_user_sgpr_flat_scratch_init 0
		.amdhsa_user_sgpr_private_segment_size 0
		.amdhsa_wavefront_size32 1
		.amdhsa_uses_dynamic_stack 0
		.amdhsa_system_sgpr_private_segment_wavefront_offset 0
		.amdhsa_system_sgpr_workgroup_id_x 1
		.amdhsa_system_sgpr_workgroup_id_y 0
		.amdhsa_system_sgpr_workgroup_id_z 0
		.amdhsa_system_sgpr_workgroup_info 0
		.amdhsa_system_vgpr_workitem_id 0
		.amdhsa_next_free_vgpr 1
		.amdhsa_next_free_sgpr 1
		.amdhsa_reserve_vcc 0
		.amdhsa_reserve_flat_scratch 0
		.amdhsa_float_round_mode_32 0
		.amdhsa_float_round_mode_16_64 0
		.amdhsa_float_denorm_mode_32 3
		.amdhsa_float_denorm_mode_16_64 3
		.amdhsa_dx10_clamp 1
		.amdhsa_ieee_mode 1
		.amdhsa_fp16_overflow 0
		.amdhsa_workgroup_processor_mode 1
		.amdhsa_memory_ordered 1
		.amdhsa_forward_progress 1
		.amdhsa_shared_vgpr_count 0
		.amdhsa_exception_fp_ieee_invalid_op 0
		.amdhsa_exception_fp_denorm_src 0
		.amdhsa_exception_fp_ieee_div_zero 0
		.amdhsa_exception_fp_ieee_overflow 0
		.amdhsa_exception_fp_ieee_underflow 0
		.amdhsa_exception_fp_ieee_inexact 0
		.amdhsa_exception_int_div_zero 0
	.end_amdhsa_kernel
	.section	.text._ZN7rocprim17ROCPRIM_400000_NS6detail17trampoline_kernelINS0_14default_configENS1_38merge_sort_block_merge_config_selectorIsNS0_10empty_typeEEEZZNS1_27merge_sort_block_merge_implIS3_N6thrust23THRUST_200600_302600_NS6detail15normal_iteratorINS9_10device_ptrIsEEEEPS5_m11less_div_10IsEEE10hipError_tT0_T1_T2_jT3_P12ihipStream_tbPNSt15iterator_traitsISJ_E10value_typeEPNSP_ISK_E10value_typeEPSL_NS1_7vsmem_tEENKUlT_SJ_SK_SL_E_clISE_PsSF_SF_EESI_SY_SJ_SK_SL_EUlSY_E1_NS1_11comp_targetILNS1_3genE9ELNS1_11target_archE1100ELNS1_3gpuE3ELNS1_3repE0EEENS1_36merge_oddeven_config_static_selectorELNS0_4arch9wavefront6targetE0EEEvSK_,"axG",@progbits,_ZN7rocprim17ROCPRIM_400000_NS6detail17trampoline_kernelINS0_14default_configENS1_38merge_sort_block_merge_config_selectorIsNS0_10empty_typeEEEZZNS1_27merge_sort_block_merge_implIS3_N6thrust23THRUST_200600_302600_NS6detail15normal_iteratorINS9_10device_ptrIsEEEEPS5_m11less_div_10IsEEE10hipError_tT0_T1_T2_jT3_P12ihipStream_tbPNSt15iterator_traitsISJ_E10value_typeEPNSP_ISK_E10value_typeEPSL_NS1_7vsmem_tEENKUlT_SJ_SK_SL_E_clISE_PsSF_SF_EESI_SY_SJ_SK_SL_EUlSY_E1_NS1_11comp_targetILNS1_3genE9ELNS1_11target_archE1100ELNS1_3gpuE3ELNS1_3repE0EEENS1_36merge_oddeven_config_static_selectorELNS0_4arch9wavefront6targetE0EEEvSK_,comdat
.Lfunc_end570:
	.size	_ZN7rocprim17ROCPRIM_400000_NS6detail17trampoline_kernelINS0_14default_configENS1_38merge_sort_block_merge_config_selectorIsNS0_10empty_typeEEEZZNS1_27merge_sort_block_merge_implIS3_N6thrust23THRUST_200600_302600_NS6detail15normal_iteratorINS9_10device_ptrIsEEEEPS5_m11less_div_10IsEEE10hipError_tT0_T1_T2_jT3_P12ihipStream_tbPNSt15iterator_traitsISJ_E10value_typeEPNSP_ISK_E10value_typeEPSL_NS1_7vsmem_tEENKUlT_SJ_SK_SL_E_clISE_PsSF_SF_EESI_SY_SJ_SK_SL_EUlSY_E1_NS1_11comp_targetILNS1_3genE9ELNS1_11target_archE1100ELNS1_3gpuE3ELNS1_3repE0EEENS1_36merge_oddeven_config_static_selectorELNS0_4arch9wavefront6targetE0EEEvSK_, .Lfunc_end570-_ZN7rocprim17ROCPRIM_400000_NS6detail17trampoline_kernelINS0_14default_configENS1_38merge_sort_block_merge_config_selectorIsNS0_10empty_typeEEEZZNS1_27merge_sort_block_merge_implIS3_N6thrust23THRUST_200600_302600_NS6detail15normal_iteratorINS9_10device_ptrIsEEEEPS5_m11less_div_10IsEEE10hipError_tT0_T1_T2_jT3_P12ihipStream_tbPNSt15iterator_traitsISJ_E10value_typeEPNSP_ISK_E10value_typeEPSL_NS1_7vsmem_tEENKUlT_SJ_SK_SL_E_clISE_PsSF_SF_EESI_SY_SJ_SK_SL_EUlSY_E1_NS1_11comp_targetILNS1_3genE9ELNS1_11target_archE1100ELNS1_3gpuE3ELNS1_3repE0EEENS1_36merge_oddeven_config_static_selectorELNS0_4arch9wavefront6targetE0EEEvSK_
                                        ; -- End function
	.set _ZN7rocprim17ROCPRIM_400000_NS6detail17trampoline_kernelINS0_14default_configENS1_38merge_sort_block_merge_config_selectorIsNS0_10empty_typeEEEZZNS1_27merge_sort_block_merge_implIS3_N6thrust23THRUST_200600_302600_NS6detail15normal_iteratorINS9_10device_ptrIsEEEEPS5_m11less_div_10IsEEE10hipError_tT0_T1_T2_jT3_P12ihipStream_tbPNSt15iterator_traitsISJ_E10value_typeEPNSP_ISK_E10value_typeEPSL_NS1_7vsmem_tEENKUlT_SJ_SK_SL_E_clISE_PsSF_SF_EESI_SY_SJ_SK_SL_EUlSY_E1_NS1_11comp_targetILNS1_3genE9ELNS1_11target_archE1100ELNS1_3gpuE3ELNS1_3repE0EEENS1_36merge_oddeven_config_static_selectorELNS0_4arch9wavefront6targetE0EEEvSK_.num_vgpr, 0
	.set _ZN7rocprim17ROCPRIM_400000_NS6detail17trampoline_kernelINS0_14default_configENS1_38merge_sort_block_merge_config_selectorIsNS0_10empty_typeEEEZZNS1_27merge_sort_block_merge_implIS3_N6thrust23THRUST_200600_302600_NS6detail15normal_iteratorINS9_10device_ptrIsEEEEPS5_m11less_div_10IsEEE10hipError_tT0_T1_T2_jT3_P12ihipStream_tbPNSt15iterator_traitsISJ_E10value_typeEPNSP_ISK_E10value_typeEPSL_NS1_7vsmem_tEENKUlT_SJ_SK_SL_E_clISE_PsSF_SF_EESI_SY_SJ_SK_SL_EUlSY_E1_NS1_11comp_targetILNS1_3genE9ELNS1_11target_archE1100ELNS1_3gpuE3ELNS1_3repE0EEENS1_36merge_oddeven_config_static_selectorELNS0_4arch9wavefront6targetE0EEEvSK_.num_agpr, 0
	.set _ZN7rocprim17ROCPRIM_400000_NS6detail17trampoline_kernelINS0_14default_configENS1_38merge_sort_block_merge_config_selectorIsNS0_10empty_typeEEEZZNS1_27merge_sort_block_merge_implIS3_N6thrust23THRUST_200600_302600_NS6detail15normal_iteratorINS9_10device_ptrIsEEEEPS5_m11less_div_10IsEEE10hipError_tT0_T1_T2_jT3_P12ihipStream_tbPNSt15iterator_traitsISJ_E10value_typeEPNSP_ISK_E10value_typeEPSL_NS1_7vsmem_tEENKUlT_SJ_SK_SL_E_clISE_PsSF_SF_EESI_SY_SJ_SK_SL_EUlSY_E1_NS1_11comp_targetILNS1_3genE9ELNS1_11target_archE1100ELNS1_3gpuE3ELNS1_3repE0EEENS1_36merge_oddeven_config_static_selectorELNS0_4arch9wavefront6targetE0EEEvSK_.numbered_sgpr, 0
	.set _ZN7rocprim17ROCPRIM_400000_NS6detail17trampoline_kernelINS0_14default_configENS1_38merge_sort_block_merge_config_selectorIsNS0_10empty_typeEEEZZNS1_27merge_sort_block_merge_implIS3_N6thrust23THRUST_200600_302600_NS6detail15normal_iteratorINS9_10device_ptrIsEEEEPS5_m11less_div_10IsEEE10hipError_tT0_T1_T2_jT3_P12ihipStream_tbPNSt15iterator_traitsISJ_E10value_typeEPNSP_ISK_E10value_typeEPSL_NS1_7vsmem_tEENKUlT_SJ_SK_SL_E_clISE_PsSF_SF_EESI_SY_SJ_SK_SL_EUlSY_E1_NS1_11comp_targetILNS1_3genE9ELNS1_11target_archE1100ELNS1_3gpuE3ELNS1_3repE0EEENS1_36merge_oddeven_config_static_selectorELNS0_4arch9wavefront6targetE0EEEvSK_.num_named_barrier, 0
	.set _ZN7rocprim17ROCPRIM_400000_NS6detail17trampoline_kernelINS0_14default_configENS1_38merge_sort_block_merge_config_selectorIsNS0_10empty_typeEEEZZNS1_27merge_sort_block_merge_implIS3_N6thrust23THRUST_200600_302600_NS6detail15normal_iteratorINS9_10device_ptrIsEEEEPS5_m11less_div_10IsEEE10hipError_tT0_T1_T2_jT3_P12ihipStream_tbPNSt15iterator_traitsISJ_E10value_typeEPNSP_ISK_E10value_typeEPSL_NS1_7vsmem_tEENKUlT_SJ_SK_SL_E_clISE_PsSF_SF_EESI_SY_SJ_SK_SL_EUlSY_E1_NS1_11comp_targetILNS1_3genE9ELNS1_11target_archE1100ELNS1_3gpuE3ELNS1_3repE0EEENS1_36merge_oddeven_config_static_selectorELNS0_4arch9wavefront6targetE0EEEvSK_.private_seg_size, 0
	.set _ZN7rocprim17ROCPRIM_400000_NS6detail17trampoline_kernelINS0_14default_configENS1_38merge_sort_block_merge_config_selectorIsNS0_10empty_typeEEEZZNS1_27merge_sort_block_merge_implIS3_N6thrust23THRUST_200600_302600_NS6detail15normal_iteratorINS9_10device_ptrIsEEEEPS5_m11less_div_10IsEEE10hipError_tT0_T1_T2_jT3_P12ihipStream_tbPNSt15iterator_traitsISJ_E10value_typeEPNSP_ISK_E10value_typeEPSL_NS1_7vsmem_tEENKUlT_SJ_SK_SL_E_clISE_PsSF_SF_EESI_SY_SJ_SK_SL_EUlSY_E1_NS1_11comp_targetILNS1_3genE9ELNS1_11target_archE1100ELNS1_3gpuE3ELNS1_3repE0EEENS1_36merge_oddeven_config_static_selectorELNS0_4arch9wavefront6targetE0EEEvSK_.uses_vcc, 0
	.set _ZN7rocprim17ROCPRIM_400000_NS6detail17trampoline_kernelINS0_14default_configENS1_38merge_sort_block_merge_config_selectorIsNS0_10empty_typeEEEZZNS1_27merge_sort_block_merge_implIS3_N6thrust23THRUST_200600_302600_NS6detail15normal_iteratorINS9_10device_ptrIsEEEEPS5_m11less_div_10IsEEE10hipError_tT0_T1_T2_jT3_P12ihipStream_tbPNSt15iterator_traitsISJ_E10value_typeEPNSP_ISK_E10value_typeEPSL_NS1_7vsmem_tEENKUlT_SJ_SK_SL_E_clISE_PsSF_SF_EESI_SY_SJ_SK_SL_EUlSY_E1_NS1_11comp_targetILNS1_3genE9ELNS1_11target_archE1100ELNS1_3gpuE3ELNS1_3repE0EEENS1_36merge_oddeven_config_static_selectorELNS0_4arch9wavefront6targetE0EEEvSK_.uses_flat_scratch, 0
	.set _ZN7rocprim17ROCPRIM_400000_NS6detail17trampoline_kernelINS0_14default_configENS1_38merge_sort_block_merge_config_selectorIsNS0_10empty_typeEEEZZNS1_27merge_sort_block_merge_implIS3_N6thrust23THRUST_200600_302600_NS6detail15normal_iteratorINS9_10device_ptrIsEEEEPS5_m11less_div_10IsEEE10hipError_tT0_T1_T2_jT3_P12ihipStream_tbPNSt15iterator_traitsISJ_E10value_typeEPNSP_ISK_E10value_typeEPSL_NS1_7vsmem_tEENKUlT_SJ_SK_SL_E_clISE_PsSF_SF_EESI_SY_SJ_SK_SL_EUlSY_E1_NS1_11comp_targetILNS1_3genE9ELNS1_11target_archE1100ELNS1_3gpuE3ELNS1_3repE0EEENS1_36merge_oddeven_config_static_selectorELNS0_4arch9wavefront6targetE0EEEvSK_.has_dyn_sized_stack, 0
	.set _ZN7rocprim17ROCPRIM_400000_NS6detail17trampoline_kernelINS0_14default_configENS1_38merge_sort_block_merge_config_selectorIsNS0_10empty_typeEEEZZNS1_27merge_sort_block_merge_implIS3_N6thrust23THRUST_200600_302600_NS6detail15normal_iteratorINS9_10device_ptrIsEEEEPS5_m11less_div_10IsEEE10hipError_tT0_T1_T2_jT3_P12ihipStream_tbPNSt15iterator_traitsISJ_E10value_typeEPNSP_ISK_E10value_typeEPSL_NS1_7vsmem_tEENKUlT_SJ_SK_SL_E_clISE_PsSF_SF_EESI_SY_SJ_SK_SL_EUlSY_E1_NS1_11comp_targetILNS1_3genE9ELNS1_11target_archE1100ELNS1_3gpuE3ELNS1_3repE0EEENS1_36merge_oddeven_config_static_selectorELNS0_4arch9wavefront6targetE0EEEvSK_.has_recursion, 0
	.set _ZN7rocprim17ROCPRIM_400000_NS6detail17trampoline_kernelINS0_14default_configENS1_38merge_sort_block_merge_config_selectorIsNS0_10empty_typeEEEZZNS1_27merge_sort_block_merge_implIS3_N6thrust23THRUST_200600_302600_NS6detail15normal_iteratorINS9_10device_ptrIsEEEEPS5_m11less_div_10IsEEE10hipError_tT0_T1_T2_jT3_P12ihipStream_tbPNSt15iterator_traitsISJ_E10value_typeEPNSP_ISK_E10value_typeEPSL_NS1_7vsmem_tEENKUlT_SJ_SK_SL_E_clISE_PsSF_SF_EESI_SY_SJ_SK_SL_EUlSY_E1_NS1_11comp_targetILNS1_3genE9ELNS1_11target_archE1100ELNS1_3gpuE3ELNS1_3repE0EEENS1_36merge_oddeven_config_static_selectorELNS0_4arch9wavefront6targetE0EEEvSK_.has_indirect_call, 0
	.section	.AMDGPU.csdata,"",@progbits
; Kernel info:
; codeLenInByte = 0
; TotalNumSgprs: 0
; NumVgprs: 0
; ScratchSize: 0
; MemoryBound: 0
; FloatMode: 240
; IeeeMode: 1
; LDSByteSize: 0 bytes/workgroup (compile time only)
; SGPRBlocks: 0
; VGPRBlocks: 0
; NumSGPRsForWavesPerEU: 1
; NumVGPRsForWavesPerEU: 1
; Occupancy: 16
; WaveLimiterHint : 0
; COMPUTE_PGM_RSRC2:SCRATCH_EN: 0
; COMPUTE_PGM_RSRC2:USER_SGPR: 6
; COMPUTE_PGM_RSRC2:TRAP_HANDLER: 0
; COMPUTE_PGM_RSRC2:TGID_X_EN: 1
; COMPUTE_PGM_RSRC2:TGID_Y_EN: 0
; COMPUTE_PGM_RSRC2:TGID_Z_EN: 0
; COMPUTE_PGM_RSRC2:TIDIG_COMP_CNT: 0
	.section	.text._ZN7rocprim17ROCPRIM_400000_NS6detail17trampoline_kernelINS0_14default_configENS1_38merge_sort_block_merge_config_selectorIsNS0_10empty_typeEEEZZNS1_27merge_sort_block_merge_implIS3_N6thrust23THRUST_200600_302600_NS6detail15normal_iteratorINS9_10device_ptrIsEEEEPS5_m11less_div_10IsEEE10hipError_tT0_T1_T2_jT3_P12ihipStream_tbPNSt15iterator_traitsISJ_E10value_typeEPNSP_ISK_E10value_typeEPSL_NS1_7vsmem_tEENKUlT_SJ_SK_SL_E_clISE_PsSF_SF_EESI_SY_SJ_SK_SL_EUlSY_E1_NS1_11comp_targetILNS1_3genE8ELNS1_11target_archE1030ELNS1_3gpuE2ELNS1_3repE0EEENS1_36merge_oddeven_config_static_selectorELNS0_4arch9wavefront6targetE0EEEvSK_,"axG",@progbits,_ZN7rocprim17ROCPRIM_400000_NS6detail17trampoline_kernelINS0_14default_configENS1_38merge_sort_block_merge_config_selectorIsNS0_10empty_typeEEEZZNS1_27merge_sort_block_merge_implIS3_N6thrust23THRUST_200600_302600_NS6detail15normal_iteratorINS9_10device_ptrIsEEEEPS5_m11less_div_10IsEEE10hipError_tT0_T1_T2_jT3_P12ihipStream_tbPNSt15iterator_traitsISJ_E10value_typeEPNSP_ISK_E10value_typeEPSL_NS1_7vsmem_tEENKUlT_SJ_SK_SL_E_clISE_PsSF_SF_EESI_SY_SJ_SK_SL_EUlSY_E1_NS1_11comp_targetILNS1_3genE8ELNS1_11target_archE1030ELNS1_3gpuE2ELNS1_3repE0EEENS1_36merge_oddeven_config_static_selectorELNS0_4arch9wavefront6targetE0EEEvSK_,comdat
	.protected	_ZN7rocprim17ROCPRIM_400000_NS6detail17trampoline_kernelINS0_14default_configENS1_38merge_sort_block_merge_config_selectorIsNS0_10empty_typeEEEZZNS1_27merge_sort_block_merge_implIS3_N6thrust23THRUST_200600_302600_NS6detail15normal_iteratorINS9_10device_ptrIsEEEEPS5_m11less_div_10IsEEE10hipError_tT0_T1_T2_jT3_P12ihipStream_tbPNSt15iterator_traitsISJ_E10value_typeEPNSP_ISK_E10value_typeEPSL_NS1_7vsmem_tEENKUlT_SJ_SK_SL_E_clISE_PsSF_SF_EESI_SY_SJ_SK_SL_EUlSY_E1_NS1_11comp_targetILNS1_3genE8ELNS1_11target_archE1030ELNS1_3gpuE2ELNS1_3repE0EEENS1_36merge_oddeven_config_static_selectorELNS0_4arch9wavefront6targetE0EEEvSK_ ; -- Begin function _ZN7rocprim17ROCPRIM_400000_NS6detail17trampoline_kernelINS0_14default_configENS1_38merge_sort_block_merge_config_selectorIsNS0_10empty_typeEEEZZNS1_27merge_sort_block_merge_implIS3_N6thrust23THRUST_200600_302600_NS6detail15normal_iteratorINS9_10device_ptrIsEEEEPS5_m11less_div_10IsEEE10hipError_tT0_T1_T2_jT3_P12ihipStream_tbPNSt15iterator_traitsISJ_E10value_typeEPNSP_ISK_E10value_typeEPSL_NS1_7vsmem_tEENKUlT_SJ_SK_SL_E_clISE_PsSF_SF_EESI_SY_SJ_SK_SL_EUlSY_E1_NS1_11comp_targetILNS1_3genE8ELNS1_11target_archE1030ELNS1_3gpuE2ELNS1_3repE0EEENS1_36merge_oddeven_config_static_selectorELNS0_4arch9wavefront6targetE0EEEvSK_
	.globl	_ZN7rocprim17ROCPRIM_400000_NS6detail17trampoline_kernelINS0_14default_configENS1_38merge_sort_block_merge_config_selectorIsNS0_10empty_typeEEEZZNS1_27merge_sort_block_merge_implIS3_N6thrust23THRUST_200600_302600_NS6detail15normal_iteratorINS9_10device_ptrIsEEEEPS5_m11less_div_10IsEEE10hipError_tT0_T1_T2_jT3_P12ihipStream_tbPNSt15iterator_traitsISJ_E10value_typeEPNSP_ISK_E10value_typeEPSL_NS1_7vsmem_tEENKUlT_SJ_SK_SL_E_clISE_PsSF_SF_EESI_SY_SJ_SK_SL_EUlSY_E1_NS1_11comp_targetILNS1_3genE8ELNS1_11target_archE1030ELNS1_3gpuE2ELNS1_3repE0EEENS1_36merge_oddeven_config_static_selectorELNS0_4arch9wavefront6targetE0EEEvSK_
	.p2align	8
	.type	_ZN7rocprim17ROCPRIM_400000_NS6detail17trampoline_kernelINS0_14default_configENS1_38merge_sort_block_merge_config_selectorIsNS0_10empty_typeEEEZZNS1_27merge_sort_block_merge_implIS3_N6thrust23THRUST_200600_302600_NS6detail15normal_iteratorINS9_10device_ptrIsEEEEPS5_m11less_div_10IsEEE10hipError_tT0_T1_T2_jT3_P12ihipStream_tbPNSt15iterator_traitsISJ_E10value_typeEPNSP_ISK_E10value_typeEPSL_NS1_7vsmem_tEENKUlT_SJ_SK_SL_E_clISE_PsSF_SF_EESI_SY_SJ_SK_SL_EUlSY_E1_NS1_11comp_targetILNS1_3genE8ELNS1_11target_archE1030ELNS1_3gpuE2ELNS1_3repE0EEENS1_36merge_oddeven_config_static_selectorELNS0_4arch9wavefront6targetE0EEEvSK_,@function
_ZN7rocprim17ROCPRIM_400000_NS6detail17trampoline_kernelINS0_14default_configENS1_38merge_sort_block_merge_config_selectorIsNS0_10empty_typeEEEZZNS1_27merge_sort_block_merge_implIS3_N6thrust23THRUST_200600_302600_NS6detail15normal_iteratorINS9_10device_ptrIsEEEEPS5_m11less_div_10IsEEE10hipError_tT0_T1_T2_jT3_P12ihipStream_tbPNSt15iterator_traitsISJ_E10value_typeEPNSP_ISK_E10value_typeEPSL_NS1_7vsmem_tEENKUlT_SJ_SK_SL_E_clISE_PsSF_SF_EESI_SY_SJ_SK_SL_EUlSY_E1_NS1_11comp_targetILNS1_3genE8ELNS1_11target_archE1030ELNS1_3gpuE2ELNS1_3repE0EEENS1_36merge_oddeven_config_static_selectorELNS0_4arch9wavefront6targetE0EEEvSK_: ; @_ZN7rocprim17ROCPRIM_400000_NS6detail17trampoline_kernelINS0_14default_configENS1_38merge_sort_block_merge_config_selectorIsNS0_10empty_typeEEEZZNS1_27merge_sort_block_merge_implIS3_N6thrust23THRUST_200600_302600_NS6detail15normal_iteratorINS9_10device_ptrIsEEEEPS5_m11less_div_10IsEEE10hipError_tT0_T1_T2_jT3_P12ihipStream_tbPNSt15iterator_traitsISJ_E10value_typeEPNSP_ISK_E10value_typeEPSL_NS1_7vsmem_tEENKUlT_SJ_SK_SL_E_clISE_PsSF_SF_EESI_SY_SJ_SK_SL_EUlSY_E1_NS1_11comp_targetILNS1_3genE8ELNS1_11target_archE1030ELNS1_3gpuE2ELNS1_3repE0EEENS1_36merge_oddeven_config_static_selectorELNS0_4arch9wavefront6targetE0EEEvSK_
; %bb.0:
	s_load_dword s7, s[4:5], 0x20
	s_waitcnt lgkmcnt(0)
	s_lshr_b32 s0, s7, 8
	s_cmp_lg_u32 s6, s0
	s_cselect_b32 s13, -1, 0
	s_cmp_eq_u32 s6, s0
	s_cselect_b32 s12, -1, 0
	s_lshl_b32 s2, s6, 8
	s_sub_i32 s0, s7, s2
	v_cmp_gt_u32_e64 s1, s0, v0
	s_or_b32 s0, s13, s1
	s_and_saveexec_b32 s3, s0
	s_cbranch_execz .LBB571_20
; %bb.1:
	s_load_dwordx4 s[8:11], s[4:5], 0x0
	s_mov_b32 s3, 0
	v_lshlrev_b32_e32 v1, 1, v0
	s_lshl_b64 s[14:15], s[2:3], 1
	s_load_dword s5, s[4:5], 0x28
	v_add_nc_u32_e32 v0, s2, v0
	s_waitcnt lgkmcnt(0)
	s_add_u32 s14, s8, s14
	s_addc_u32 s15, s9, s15
	global_load_ushort v2, v1, s[14:15]
	s_lshr_b32 s0, s5, 8
	s_sub_i32 s4, 0, s0
	s_and_b32 s4, s6, s4
	s_and_b32 s0, s4, s0
	s_lshl_b32 s6, s4, 8
	s_sub_i32 s4, 0, s5
	s_cmp_eq_u32 s0, 0
	s_cselect_b32 s0, -1, 0
	s_and_b32 s14, s0, exec_lo
	s_cselect_b32 s4, s5, s4
	s_add_i32 s4, s4, s6
	s_cmp_lt_u32 s4, s7
	s_cbranch_scc1 .LBB571_3
; %bb.2:
	v_cmp_gt_u32_e32 vcc_lo, s7, v0
	s_or_b32 s3, vcc_lo, s13
	s_and_b32 s3, s3, exec_lo
	s_cbranch_execz .LBB571_4
	s_branch .LBB571_18
.LBB571_3:
.LBB571_4:
	v_mov_b32_e32 v1, 0x6667
	s_min_u32 s2, s4, s7
	s_and_b32 vcc_lo, exec_lo, s12
	s_add_i32 s13, s6, s2
	s_min_u32 s6, s6, s2
	s_waitcnt vmcnt(0)
	v_mul_i32_i24_sdwa v1, sext(v2), v1 dst_sel:DWORD dst_unused:UNUSED_PAD src0_sel:WORD_0 src1_sel:DWORD
	v_subrev_nc_u32_e32 v0, s13, v0
	s_add_i32 s5, s2, s5
	s_min_u32 s5, s5, s7
	v_lshrrev_b32_e32 v3, 31, v1
	v_ashrrev_i32_e32 v4, 18, v1
	v_add_nc_u32_e32 v1, s6, v0
	v_add_nc_u16 v3, v4, v3
	s_cbranch_vccz .LBB571_12
; %bb.5:
                                        ; implicit-def: $vgpr0
	s_and_saveexec_b32 s6, s1
	s_cbranch_execz .LBB571_11
; %bb.6:
	v_mov_b32_e32 v0, s2
	s_cmp_ge_u32 s4, s5
	s_cbranch_scc1 .LBB571_10
; %bb.7:
	v_mov_b32_e32 v4, s5
	v_mov_b32_e32 v0, s2
	s_mov_b32 s1, 0
	.p2align	6
.LBB571_8:                              ; =>This Inner Loop Header: Depth=1
	v_add_nc_u32_e32 v5, v0, v4
	v_and_b32_e32 v6, -2, v5
	v_lshrrev_b32_e32 v5, 1, v5
	global_load_sshort v6, v6, s[8:9]
	s_waitcnt vmcnt(0)
	v_mul_i32_i24_e32 v6, 0x6667, v6
	v_lshrrev_b32_e32 v7, 31, v6
	v_ashrrev_i32_e32 v6, 18, v6
	v_add_nc_u16 v6, v6, v7
	v_cmp_lt_i16_e32 vcc_lo, v6, v3
	v_cndmask_b32_e64 v7, 0, 1, vcc_lo
	v_cmp_ge_i16_e32 vcc_lo, v3, v6
	v_cndmask_b32_e64 v6, 0, 1, vcc_lo
	v_cndmask_b32_e64 v6, v6, v7, s0
	v_add_nc_u32_e32 v7, 1, v5
	v_and_b32_e32 v6, 1, v6
	v_cmp_eq_u32_e32 vcc_lo, 1, v6
	v_cndmask_b32_e32 v4, v5, v4, vcc_lo
	v_cndmask_b32_e32 v0, v0, v7, vcc_lo
	v_cmp_ge_u32_e32 vcc_lo, v0, v4
	s_or_b32 s1, vcc_lo, s1
	s_andn2_b32 exec_lo, exec_lo, s1
	s_cbranch_execnz .LBB571_8
; %bb.9:
	s_or_b32 exec_lo, exec_lo, s1
.LBB571_10:
	v_add_nc_u32_e32 v0, v0, v1
	s_or_b32 s3, s3, exec_lo
.LBB571_11:
	s_or_b32 exec_lo, exec_lo, s6
	s_branch .LBB571_18
.LBB571_12:
                                        ; implicit-def: $vgpr0
	s_cbranch_execz .LBB571_18
; %bb.13:
	v_mov_b32_e32 v0, s2
	s_cmp_ge_u32 s4, s5
	s_cbranch_scc1 .LBB571_17
; %bb.14:
	v_mov_b32_e32 v4, s5
	v_mov_b32_e32 v0, s2
	s_mov_b32 s1, 0
	.p2align	6
.LBB571_15:                             ; =>This Inner Loop Header: Depth=1
	v_add_nc_u32_e32 v5, v0, v4
	v_and_b32_e32 v6, -2, v5
	v_lshrrev_b32_e32 v5, 1, v5
	global_load_sshort v6, v6, s[8:9]
	s_waitcnt vmcnt(0)
	v_mul_i32_i24_e32 v6, 0x6667, v6
	v_lshrrev_b32_e32 v7, 31, v6
	v_ashrrev_i32_e32 v6, 18, v6
	v_add_nc_u16 v6, v6, v7
	v_cmp_lt_i16_e32 vcc_lo, v6, v3
	v_cndmask_b32_e64 v7, 0, 1, vcc_lo
	v_cmp_ge_i16_e32 vcc_lo, v3, v6
	v_cndmask_b32_e64 v6, 0, 1, vcc_lo
	v_cndmask_b32_e64 v6, v6, v7, s0
	v_add_nc_u32_e32 v7, 1, v5
	v_and_b32_e32 v6, 1, v6
	v_cmp_eq_u32_e32 vcc_lo, 1, v6
	v_cndmask_b32_e32 v4, v5, v4, vcc_lo
	v_cndmask_b32_e32 v0, v0, v7, vcc_lo
	v_cmp_ge_u32_e32 vcc_lo, v0, v4
	s_or_b32 s1, vcc_lo, s1
	s_andn2_b32 exec_lo, exec_lo, s1
	s_cbranch_execnz .LBB571_15
; %bb.16:
	s_or_b32 exec_lo, exec_lo, s1
.LBB571_17:
	v_add_nc_u32_e32 v0, v0, v1
	s_mov_b32 s3, -1
.LBB571_18:
	s_and_b32 exec_lo, exec_lo, s3
	s_cbranch_execz .LBB571_20
; %bb.19:
	v_mov_b32_e32 v1, 0
	v_lshlrev_b64 v[0:1], 1, v[0:1]
	v_add_co_u32 v0, vcc_lo, s10, v0
	v_add_co_ci_u32_e64 v1, null, s11, v1, vcc_lo
	s_waitcnt vmcnt(0)
	global_store_short v[0:1], v2, off
.LBB571_20:
	s_endpgm
	.section	.rodata,"a",@progbits
	.p2align	6, 0x0
	.amdhsa_kernel _ZN7rocprim17ROCPRIM_400000_NS6detail17trampoline_kernelINS0_14default_configENS1_38merge_sort_block_merge_config_selectorIsNS0_10empty_typeEEEZZNS1_27merge_sort_block_merge_implIS3_N6thrust23THRUST_200600_302600_NS6detail15normal_iteratorINS9_10device_ptrIsEEEEPS5_m11less_div_10IsEEE10hipError_tT0_T1_T2_jT3_P12ihipStream_tbPNSt15iterator_traitsISJ_E10value_typeEPNSP_ISK_E10value_typeEPSL_NS1_7vsmem_tEENKUlT_SJ_SK_SL_E_clISE_PsSF_SF_EESI_SY_SJ_SK_SL_EUlSY_E1_NS1_11comp_targetILNS1_3genE8ELNS1_11target_archE1030ELNS1_3gpuE2ELNS1_3repE0EEENS1_36merge_oddeven_config_static_selectorELNS0_4arch9wavefront6targetE0EEEvSK_
		.amdhsa_group_segment_fixed_size 0
		.amdhsa_private_segment_fixed_size 0
		.amdhsa_kernarg_size 56
		.amdhsa_user_sgpr_count 6
		.amdhsa_user_sgpr_private_segment_buffer 1
		.amdhsa_user_sgpr_dispatch_ptr 0
		.amdhsa_user_sgpr_queue_ptr 0
		.amdhsa_user_sgpr_kernarg_segment_ptr 1
		.amdhsa_user_sgpr_dispatch_id 0
		.amdhsa_user_sgpr_flat_scratch_init 0
		.amdhsa_user_sgpr_private_segment_size 0
		.amdhsa_wavefront_size32 1
		.amdhsa_uses_dynamic_stack 0
		.amdhsa_system_sgpr_private_segment_wavefront_offset 0
		.amdhsa_system_sgpr_workgroup_id_x 1
		.amdhsa_system_sgpr_workgroup_id_y 0
		.amdhsa_system_sgpr_workgroup_id_z 0
		.amdhsa_system_sgpr_workgroup_info 0
		.amdhsa_system_vgpr_workitem_id 0
		.amdhsa_next_free_vgpr 8
		.amdhsa_next_free_sgpr 16
		.amdhsa_reserve_vcc 1
		.amdhsa_reserve_flat_scratch 0
		.amdhsa_float_round_mode_32 0
		.amdhsa_float_round_mode_16_64 0
		.amdhsa_float_denorm_mode_32 3
		.amdhsa_float_denorm_mode_16_64 3
		.amdhsa_dx10_clamp 1
		.amdhsa_ieee_mode 1
		.amdhsa_fp16_overflow 0
		.amdhsa_workgroup_processor_mode 1
		.amdhsa_memory_ordered 1
		.amdhsa_forward_progress 1
		.amdhsa_shared_vgpr_count 0
		.amdhsa_exception_fp_ieee_invalid_op 0
		.amdhsa_exception_fp_denorm_src 0
		.amdhsa_exception_fp_ieee_div_zero 0
		.amdhsa_exception_fp_ieee_overflow 0
		.amdhsa_exception_fp_ieee_underflow 0
		.amdhsa_exception_fp_ieee_inexact 0
		.amdhsa_exception_int_div_zero 0
	.end_amdhsa_kernel
	.section	.text._ZN7rocprim17ROCPRIM_400000_NS6detail17trampoline_kernelINS0_14default_configENS1_38merge_sort_block_merge_config_selectorIsNS0_10empty_typeEEEZZNS1_27merge_sort_block_merge_implIS3_N6thrust23THRUST_200600_302600_NS6detail15normal_iteratorINS9_10device_ptrIsEEEEPS5_m11less_div_10IsEEE10hipError_tT0_T1_T2_jT3_P12ihipStream_tbPNSt15iterator_traitsISJ_E10value_typeEPNSP_ISK_E10value_typeEPSL_NS1_7vsmem_tEENKUlT_SJ_SK_SL_E_clISE_PsSF_SF_EESI_SY_SJ_SK_SL_EUlSY_E1_NS1_11comp_targetILNS1_3genE8ELNS1_11target_archE1030ELNS1_3gpuE2ELNS1_3repE0EEENS1_36merge_oddeven_config_static_selectorELNS0_4arch9wavefront6targetE0EEEvSK_,"axG",@progbits,_ZN7rocprim17ROCPRIM_400000_NS6detail17trampoline_kernelINS0_14default_configENS1_38merge_sort_block_merge_config_selectorIsNS0_10empty_typeEEEZZNS1_27merge_sort_block_merge_implIS3_N6thrust23THRUST_200600_302600_NS6detail15normal_iteratorINS9_10device_ptrIsEEEEPS5_m11less_div_10IsEEE10hipError_tT0_T1_T2_jT3_P12ihipStream_tbPNSt15iterator_traitsISJ_E10value_typeEPNSP_ISK_E10value_typeEPSL_NS1_7vsmem_tEENKUlT_SJ_SK_SL_E_clISE_PsSF_SF_EESI_SY_SJ_SK_SL_EUlSY_E1_NS1_11comp_targetILNS1_3genE8ELNS1_11target_archE1030ELNS1_3gpuE2ELNS1_3repE0EEENS1_36merge_oddeven_config_static_selectorELNS0_4arch9wavefront6targetE0EEEvSK_,comdat
.Lfunc_end571:
	.size	_ZN7rocprim17ROCPRIM_400000_NS6detail17trampoline_kernelINS0_14default_configENS1_38merge_sort_block_merge_config_selectorIsNS0_10empty_typeEEEZZNS1_27merge_sort_block_merge_implIS3_N6thrust23THRUST_200600_302600_NS6detail15normal_iteratorINS9_10device_ptrIsEEEEPS5_m11less_div_10IsEEE10hipError_tT0_T1_T2_jT3_P12ihipStream_tbPNSt15iterator_traitsISJ_E10value_typeEPNSP_ISK_E10value_typeEPSL_NS1_7vsmem_tEENKUlT_SJ_SK_SL_E_clISE_PsSF_SF_EESI_SY_SJ_SK_SL_EUlSY_E1_NS1_11comp_targetILNS1_3genE8ELNS1_11target_archE1030ELNS1_3gpuE2ELNS1_3repE0EEENS1_36merge_oddeven_config_static_selectorELNS0_4arch9wavefront6targetE0EEEvSK_, .Lfunc_end571-_ZN7rocprim17ROCPRIM_400000_NS6detail17trampoline_kernelINS0_14default_configENS1_38merge_sort_block_merge_config_selectorIsNS0_10empty_typeEEEZZNS1_27merge_sort_block_merge_implIS3_N6thrust23THRUST_200600_302600_NS6detail15normal_iteratorINS9_10device_ptrIsEEEEPS5_m11less_div_10IsEEE10hipError_tT0_T1_T2_jT3_P12ihipStream_tbPNSt15iterator_traitsISJ_E10value_typeEPNSP_ISK_E10value_typeEPSL_NS1_7vsmem_tEENKUlT_SJ_SK_SL_E_clISE_PsSF_SF_EESI_SY_SJ_SK_SL_EUlSY_E1_NS1_11comp_targetILNS1_3genE8ELNS1_11target_archE1030ELNS1_3gpuE2ELNS1_3repE0EEENS1_36merge_oddeven_config_static_selectorELNS0_4arch9wavefront6targetE0EEEvSK_
                                        ; -- End function
	.set _ZN7rocprim17ROCPRIM_400000_NS6detail17trampoline_kernelINS0_14default_configENS1_38merge_sort_block_merge_config_selectorIsNS0_10empty_typeEEEZZNS1_27merge_sort_block_merge_implIS3_N6thrust23THRUST_200600_302600_NS6detail15normal_iteratorINS9_10device_ptrIsEEEEPS5_m11less_div_10IsEEE10hipError_tT0_T1_T2_jT3_P12ihipStream_tbPNSt15iterator_traitsISJ_E10value_typeEPNSP_ISK_E10value_typeEPSL_NS1_7vsmem_tEENKUlT_SJ_SK_SL_E_clISE_PsSF_SF_EESI_SY_SJ_SK_SL_EUlSY_E1_NS1_11comp_targetILNS1_3genE8ELNS1_11target_archE1030ELNS1_3gpuE2ELNS1_3repE0EEENS1_36merge_oddeven_config_static_selectorELNS0_4arch9wavefront6targetE0EEEvSK_.num_vgpr, 8
	.set _ZN7rocprim17ROCPRIM_400000_NS6detail17trampoline_kernelINS0_14default_configENS1_38merge_sort_block_merge_config_selectorIsNS0_10empty_typeEEEZZNS1_27merge_sort_block_merge_implIS3_N6thrust23THRUST_200600_302600_NS6detail15normal_iteratorINS9_10device_ptrIsEEEEPS5_m11less_div_10IsEEE10hipError_tT0_T1_T2_jT3_P12ihipStream_tbPNSt15iterator_traitsISJ_E10value_typeEPNSP_ISK_E10value_typeEPSL_NS1_7vsmem_tEENKUlT_SJ_SK_SL_E_clISE_PsSF_SF_EESI_SY_SJ_SK_SL_EUlSY_E1_NS1_11comp_targetILNS1_3genE8ELNS1_11target_archE1030ELNS1_3gpuE2ELNS1_3repE0EEENS1_36merge_oddeven_config_static_selectorELNS0_4arch9wavefront6targetE0EEEvSK_.num_agpr, 0
	.set _ZN7rocprim17ROCPRIM_400000_NS6detail17trampoline_kernelINS0_14default_configENS1_38merge_sort_block_merge_config_selectorIsNS0_10empty_typeEEEZZNS1_27merge_sort_block_merge_implIS3_N6thrust23THRUST_200600_302600_NS6detail15normal_iteratorINS9_10device_ptrIsEEEEPS5_m11less_div_10IsEEE10hipError_tT0_T1_T2_jT3_P12ihipStream_tbPNSt15iterator_traitsISJ_E10value_typeEPNSP_ISK_E10value_typeEPSL_NS1_7vsmem_tEENKUlT_SJ_SK_SL_E_clISE_PsSF_SF_EESI_SY_SJ_SK_SL_EUlSY_E1_NS1_11comp_targetILNS1_3genE8ELNS1_11target_archE1030ELNS1_3gpuE2ELNS1_3repE0EEENS1_36merge_oddeven_config_static_selectorELNS0_4arch9wavefront6targetE0EEEvSK_.numbered_sgpr, 16
	.set _ZN7rocprim17ROCPRIM_400000_NS6detail17trampoline_kernelINS0_14default_configENS1_38merge_sort_block_merge_config_selectorIsNS0_10empty_typeEEEZZNS1_27merge_sort_block_merge_implIS3_N6thrust23THRUST_200600_302600_NS6detail15normal_iteratorINS9_10device_ptrIsEEEEPS5_m11less_div_10IsEEE10hipError_tT0_T1_T2_jT3_P12ihipStream_tbPNSt15iterator_traitsISJ_E10value_typeEPNSP_ISK_E10value_typeEPSL_NS1_7vsmem_tEENKUlT_SJ_SK_SL_E_clISE_PsSF_SF_EESI_SY_SJ_SK_SL_EUlSY_E1_NS1_11comp_targetILNS1_3genE8ELNS1_11target_archE1030ELNS1_3gpuE2ELNS1_3repE0EEENS1_36merge_oddeven_config_static_selectorELNS0_4arch9wavefront6targetE0EEEvSK_.num_named_barrier, 0
	.set _ZN7rocprim17ROCPRIM_400000_NS6detail17trampoline_kernelINS0_14default_configENS1_38merge_sort_block_merge_config_selectorIsNS0_10empty_typeEEEZZNS1_27merge_sort_block_merge_implIS3_N6thrust23THRUST_200600_302600_NS6detail15normal_iteratorINS9_10device_ptrIsEEEEPS5_m11less_div_10IsEEE10hipError_tT0_T1_T2_jT3_P12ihipStream_tbPNSt15iterator_traitsISJ_E10value_typeEPNSP_ISK_E10value_typeEPSL_NS1_7vsmem_tEENKUlT_SJ_SK_SL_E_clISE_PsSF_SF_EESI_SY_SJ_SK_SL_EUlSY_E1_NS1_11comp_targetILNS1_3genE8ELNS1_11target_archE1030ELNS1_3gpuE2ELNS1_3repE0EEENS1_36merge_oddeven_config_static_selectorELNS0_4arch9wavefront6targetE0EEEvSK_.private_seg_size, 0
	.set _ZN7rocprim17ROCPRIM_400000_NS6detail17trampoline_kernelINS0_14default_configENS1_38merge_sort_block_merge_config_selectorIsNS0_10empty_typeEEEZZNS1_27merge_sort_block_merge_implIS3_N6thrust23THRUST_200600_302600_NS6detail15normal_iteratorINS9_10device_ptrIsEEEEPS5_m11less_div_10IsEEE10hipError_tT0_T1_T2_jT3_P12ihipStream_tbPNSt15iterator_traitsISJ_E10value_typeEPNSP_ISK_E10value_typeEPSL_NS1_7vsmem_tEENKUlT_SJ_SK_SL_E_clISE_PsSF_SF_EESI_SY_SJ_SK_SL_EUlSY_E1_NS1_11comp_targetILNS1_3genE8ELNS1_11target_archE1030ELNS1_3gpuE2ELNS1_3repE0EEENS1_36merge_oddeven_config_static_selectorELNS0_4arch9wavefront6targetE0EEEvSK_.uses_vcc, 1
	.set _ZN7rocprim17ROCPRIM_400000_NS6detail17trampoline_kernelINS0_14default_configENS1_38merge_sort_block_merge_config_selectorIsNS0_10empty_typeEEEZZNS1_27merge_sort_block_merge_implIS3_N6thrust23THRUST_200600_302600_NS6detail15normal_iteratorINS9_10device_ptrIsEEEEPS5_m11less_div_10IsEEE10hipError_tT0_T1_T2_jT3_P12ihipStream_tbPNSt15iterator_traitsISJ_E10value_typeEPNSP_ISK_E10value_typeEPSL_NS1_7vsmem_tEENKUlT_SJ_SK_SL_E_clISE_PsSF_SF_EESI_SY_SJ_SK_SL_EUlSY_E1_NS1_11comp_targetILNS1_3genE8ELNS1_11target_archE1030ELNS1_3gpuE2ELNS1_3repE0EEENS1_36merge_oddeven_config_static_selectorELNS0_4arch9wavefront6targetE0EEEvSK_.uses_flat_scratch, 0
	.set _ZN7rocprim17ROCPRIM_400000_NS6detail17trampoline_kernelINS0_14default_configENS1_38merge_sort_block_merge_config_selectorIsNS0_10empty_typeEEEZZNS1_27merge_sort_block_merge_implIS3_N6thrust23THRUST_200600_302600_NS6detail15normal_iteratorINS9_10device_ptrIsEEEEPS5_m11less_div_10IsEEE10hipError_tT0_T1_T2_jT3_P12ihipStream_tbPNSt15iterator_traitsISJ_E10value_typeEPNSP_ISK_E10value_typeEPSL_NS1_7vsmem_tEENKUlT_SJ_SK_SL_E_clISE_PsSF_SF_EESI_SY_SJ_SK_SL_EUlSY_E1_NS1_11comp_targetILNS1_3genE8ELNS1_11target_archE1030ELNS1_3gpuE2ELNS1_3repE0EEENS1_36merge_oddeven_config_static_selectorELNS0_4arch9wavefront6targetE0EEEvSK_.has_dyn_sized_stack, 0
	.set _ZN7rocprim17ROCPRIM_400000_NS6detail17trampoline_kernelINS0_14default_configENS1_38merge_sort_block_merge_config_selectorIsNS0_10empty_typeEEEZZNS1_27merge_sort_block_merge_implIS3_N6thrust23THRUST_200600_302600_NS6detail15normal_iteratorINS9_10device_ptrIsEEEEPS5_m11less_div_10IsEEE10hipError_tT0_T1_T2_jT3_P12ihipStream_tbPNSt15iterator_traitsISJ_E10value_typeEPNSP_ISK_E10value_typeEPSL_NS1_7vsmem_tEENKUlT_SJ_SK_SL_E_clISE_PsSF_SF_EESI_SY_SJ_SK_SL_EUlSY_E1_NS1_11comp_targetILNS1_3genE8ELNS1_11target_archE1030ELNS1_3gpuE2ELNS1_3repE0EEENS1_36merge_oddeven_config_static_selectorELNS0_4arch9wavefront6targetE0EEEvSK_.has_recursion, 0
	.set _ZN7rocprim17ROCPRIM_400000_NS6detail17trampoline_kernelINS0_14default_configENS1_38merge_sort_block_merge_config_selectorIsNS0_10empty_typeEEEZZNS1_27merge_sort_block_merge_implIS3_N6thrust23THRUST_200600_302600_NS6detail15normal_iteratorINS9_10device_ptrIsEEEEPS5_m11less_div_10IsEEE10hipError_tT0_T1_T2_jT3_P12ihipStream_tbPNSt15iterator_traitsISJ_E10value_typeEPNSP_ISK_E10value_typeEPSL_NS1_7vsmem_tEENKUlT_SJ_SK_SL_E_clISE_PsSF_SF_EESI_SY_SJ_SK_SL_EUlSY_E1_NS1_11comp_targetILNS1_3genE8ELNS1_11target_archE1030ELNS1_3gpuE2ELNS1_3repE0EEENS1_36merge_oddeven_config_static_selectorELNS0_4arch9wavefront6targetE0EEEvSK_.has_indirect_call, 0
	.section	.AMDGPU.csdata,"",@progbits
; Kernel info:
; codeLenInByte = 692
; TotalNumSgprs: 18
; NumVgprs: 8
; ScratchSize: 0
; MemoryBound: 0
; FloatMode: 240
; IeeeMode: 1
; LDSByteSize: 0 bytes/workgroup (compile time only)
; SGPRBlocks: 0
; VGPRBlocks: 0
; NumSGPRsForWavesPerEU: 18
; NumVGPRsForWavesPerEU: 8
; Occupancy: 16
; WaveLimiterHint : 0
; COMPUTE_PGM_RSRC2:SCRATCH_EN: 0
; COMPUTE_PGM_RSRC2:USER_SGPR: 6
; COMPUTE_PGM_RSRC2:TRAP_HANDLER: 0
; COMPUTE_PGM_RSRC2:TGID_X_EN: 1
; COMPUTE_PGM_RSRC2:TGID_Y_EN: 0
; COMPUTE_PGM_RSRC2:TGID_Z_EN: 0
; COMPUTE_PGM_RSRC2:TIDIG_COMP_CNT: 0
	.section	.text._ZN7rocprim17ROCPRIM_400000_NS6detail17trampoline_kernelINS0_14default_configENS1_25transform_config_selectorIsLb0EEEZNS1_14transform_implILb0ES3_S5_PsN6thrust23THRUST_200600_302600_NS6detail15normal_iteratorINS9_10device_ptrIsEEEENS0_8identityIsEEEE10hipError_tT2_T3_mT4_P12ihipStream_tbEUlT_E_NS1_11comp_targetILNS1_3genE0ELNS1_11target_archE4294967295ELNS1_3gpuE0ELNS1_3repE0EEENS1_30default_config_static_selectorELNS0_4arch9wavefront6targetE0EEEvT1_,"axG",@progbits,_ZN7rocprim17ROCPRIM_400000_NS6detail17trampoline_kernelINS0_14default_configENS1_25transform_config_selectorIsLb0EEEZNS1_14transform_implILb0ES3_S5_PsN6thrust23THRUST_200600_302600_NS6detail15normal_iteratorINS9_10device_ptrIsEEEENS0_8identityIsEEEE10hipError_tT2_T3_mT4_P12ihipStream_tbEUlT_E_NS1_11comp_targetILNS1_3genE0ELNS1_11target_archE4294967295ELNS1_3gpuE0ELNS1_3repE0EEENS1_30default_config_static_selectorELNS0_4arch9wavefront6targetE0EEEvT1_,comdat
	.protected	_ZN7rocprim17ROCPRIM_400000_NS6detail17trampoline_kernelINS0_14default_configENS1_25transform_config_selectorIsLb0EEEZNS1_14transform_implILb0ES3_S5_PsN6thrust23THRUST_200600_302600_NS6detail15normal_iteratorINS9_10device_ptrIsEEEENS0_8identityIsEEEE10hipError_tT2_T3_mT4_P12ihipStream_tbEUlT_E_NS1_11comp_targetILNS1_3genE0ELNS1_11target_archE4294967295ELNS1_3gpuE0ELNS1_3repE0EEENS1_30default_config_static_selectorELNS0_4arch9wavefront6targetE0EEEvT1_ ; -- Begin function _ZN7rocprim17ROCPRIM_400000_NS6detail17trampoline_kernelINS0_14default_configENS1_25transform_config_selectorIsLb0EEEZNS1_14transform_implILb0ES3_S5_PsN6thrust23THRUST_200600_302600_NS6detail15normal_iteratorINS9_10device_ptrIsEEEENS0_8identityIsEEEE10hipError_tT2_T3_mT4_P12ihipStream_tbEUlT_E_NS1_11comp_targetILNS1_3genE0ELNS1_11target_archE4294967295ELNS1_3gpuE0ELNS1_3repE0EEENS1_30default_config_static_selectorELNS0_4arch9wavefront6targetE0EEEvT1_
	.globl	_ZN7rocprim17ROCPRIM_400000_NS6detail17trampoline_kernelINS0_14default_configENS1_25transform_config_selectorIsLb0EEEZNS1_14transform_implILb0ES3_S5_PsN6thrust23THRUST_200600_302600_NS6detail15normal_iteratorINS9_10device_ptrIsEEEENS0_8identityIsEEEE10hipError_tT2_T3_mT4_P12ihipStream_tbEUlT_E_NS1_11comp_targetILNS1_3genE0ELNS1_11target_archE4294967295ELNS1_3gpuE0ELNS1_3repE0EEENS1_30default_config_static_selectorELNS0_4arch9wavefront6targetE0EEEvT1_
	.p2align	8
	.type	_ZN7rocprim17ROCPRIM_400000_NS6detail17trampoline_kernelINS0_14default_configENS1_25transform_config_selectorIsLb0EEEZNS1_14transform_implILb0ES3_S5_PsN6thrust23THRUST_200600_302600_NS6detail15normal_iteratorINS9_10device_ptrIsEEEENS0_8identityIsEEEE10hipError_tT2_T3_mT4_P12ihipStream_tbEUlT_E_NS1_11comp_targetILNS1_3genE0ELNS1_11target_archE4294967295ELNS1_3gpuE0ELNS1_3repE0EEENS1_30default_config_static_selectorELNS0_4arch9wavefront6targetE0EEEvT1_,@function
_ZN7rocprim17ROCPRIM_400000_NS6detail17trampoline_kernelINS0_14default_configENS1_25transform_config_selectorIsLb0EEEZNS1_14transform_implILb0ES3_S5_PsN6thrust23THRUST_200600_302600_NS6detail15normal_iteratorINS9_10device_ptrIsEEEENS0_8identityIsEEEE10hipError_tT2_T3_mT4_P12ihipStream_tbEUlT_E_NS1_11comp_targetILNS1_3genE0ELNS1_11target_archE4294967295ELNS1_3gpuE0ELNS1_3repE0EEENS1_30default_config_static_selectorELNS0_4arch9wavefront6targetE0EEEvT1_: ; @_ZN7rocprim17ROCPRIM_400000_NS6detail17trampoline_kernelINS0_14default_configENS1_25transform_config_selectorIsLb0EEEZNS1_14transform_implILb0ES3_S5_PsN6thrust23THRUST_200600_302600_NS6detail15normal_iteratorINS9_10device_ptrIsEEEENS0_8identityIsEEEE10hipError_tT2_T3_mT4_P12ihipStream_tbEUlT_E_NS1_11comp_targetILNS1_3genE0ELNS1_11target_archE4294967295ELNS1_3gpuE0ELNS1_3repE0EEENS1_30default_config_static_selectorELNS0_4arch9wavefront6targetE0EEEvT1_
; %bb.0:
	.section	.rodata,"a",@progbits
	.p2align	6, 0x0
	.amdhsa_kernel _ZN7rocprim17ROCPRIM_400000_NS6detail17trampoline_kernelINS0_14default_configENS1_25transform_config_selectorIsLb0EEEZNS1_14transform_implILb0ES3_S5_PsN6thrust23THRUST_200600_302600_NS6detail15normal_iteratorINS9_10device_ptrIsEEEENS0_8identityIsEEEE10hipError_tT2_T3_mT4_P12ihipStream_tbEUlT_E_NS1_11comp_targetILNS1_3genE0ELNS1_11target_archE4294967295ELNS1_3gpuE0ELNS1_3repE0EEENS1_30default_config_static_selectorELNS0_4arch9wavefront6targetE0EEEvT1_
		.amdhsa_group_segment_fixed_size 0
		.amdhsa_private_segment_fixed_size 0
		.amdhsa_kernarg_size 40
		.amdhsa_user_sgpr_count 6
		.amdhsa_user_sgpr_private_segment_buffer 1
		.amdhsa_user_sgpr_dispatch_ptr 0
		.amdhsa_user_sgpr_queue_ptr 0
		.amdhsa_user_sgpr_kernarg_segment_ptr 1
		.amdhsa_user_sgpr_dispatch_id 0
		.amdhsa_user_sgpr_flat_scratch_init 0
		.amdhsa_user_sgpr_private_segment_size 0
		.amdhsa_wavefront_size32 1
		.amdhsa_uses_dynamic_stack 0
		.amdhsa_system_sgpr_private_segment_wavefront_offset 0
		.amdhsa_system_sgpr_workgroup_id_x 1
		.amdhsa_system_sgpr_workgroup_id_y 0
		.amdhsa_system_sgpr_workgroup_id_z 0
		.amdhsa_system_sgpr_workgroup_info 0
		.amdhsa_system_vgpr_workitem_id 0
		.amdhsa_next_free_vgpr 1
		.amdhsa_next_free_sgpr 1
		.amdhsa_reserve_vcc 0
		.amdhsa_reserve_flat_scratch 0
		.amdhsa_float_round_mode_32 0
		.amdhsa_float_round_mode_16_64 0
		.amdhsa_float_denorm_mode_32 3
		.amdhsa_float_denorm_mode_16_64 3
		.amdhsa_dx10_clamp 1
		.amdhsa_ieee_mode 1
		.amdhsa_fp16_overflow 0
		.amdhsa_workgroup_processor_mode 1
		.amdhsa_memory_ordered 1
		.amdhsa_forward_progress 1
		.amdhsa_shared_vgpr_count 0
		.amdhsa_exception_fp_ieee_invalid_op 0
		.amdhsa_exception_fp_denorm_src 0
		.amdhsa_exception_fp_ieee_div_zero 0
		.amdhsa_exception_fp_ieee_overflow 0
		.amdhsa_exception_fp_ieee_underflow 0
		.amdhsa_exception_fp_ieee_inexact 0
		.amdhsa_exception_int_div_zero 0
	.end_amdhsa_kernel
	.section	.text._ZN7rocprim17ROCPRIM_400000_NS6detail17trampoline_kernelINS0_14default_configENS1_25transform_config_selectorIsLb0EEEZNS1_14transform_implILb0ES3_S5_PsN6thrust23THRUST_200600_302600_NS6detail15normal_iteratorINS9_10device_ptrIsEEEENS0_8identityIsEEEE10hipError_tT2_T3_mT4_P12ihipStream_tbEUlT_E_NS1_11comp_targetILNS1_3genE0ELNS1_11target_archE4294967295ELNS1_3gpuE0ELNS1_3repE0EEENS1_30default_config_static_selectorELNS0_4arch9wavefront6targetE0EEEvT1_,"axG",@progbits,_ZN7rocprim17ROCPRIM_400000_NS6detail17trampoline_kernelINS0_14default_configENS1_25transform_config_selectorIsLb0EEEZNS1_14transform_implILb0ES3_S5_PsN6thrust23THRUST_200600_302600_NS6detail15normal_iteratorINS9_10device_ptrIsEEEENS0_8identityIsEEEE10hipError_tT2_T3_mT4_P12ihipStream_tbEUlT_E_NS1_11comp_targetILNS1_3genE0ELNS1_11target_archE4294967295ELNS1_3gpuE0ELNS1_3repE0EEENS1_30default_config_static_selectorELNS0_4arch9wavefront6targetE0EEEvT1_,comdat
.Lfunc_end572:
	.size	_ZN7rocprim17ROCPRIM_400000_NS6detail17trampoline_kernelINS0_14default_configENS1_25transform_config_selectorIsLb0EEEZNS1_14transform_implILb0ES3_S5_PsN6thrust23THRUST_200600_302600_NS6detail15normal_iteratorINS9_10device_ptrIsEEEENS0_8identityIsEEEE10hipError_tT2_T3_mT4_P12ihipStream_tbEUlT_E_NS1_11comp_targetILNS1_3genE0ELNS1_11target_archE4294967295ELNS1_3gpuE0ELNS1_3repE0EEENS1_30default_config_static_selectorELNS0_4arch9wavefront6targetE0EEEvT1_, .Lfunc_end572-_ZN7rocprim17ROCPRIM_400000_NS6detail17trampoline_kernelINS0_14default_configENS1_25transform_config_selectorIsLb0EEEZNS1_14transform_implILb0ES3_S5_PsN6thrust23THRUST_200600_302600_NS6detail15normal_iteratorINS9_10device_ptrIsEEEENS0_8identityIsEEEE10hipError_tT2_T3_mT4_P12ihipStream_tbEUlT_E_NS1_11comp_targetILNS1_3genE0ELNS1_11target_archE4294967295ELNS1_3gpuE0ELNS1_3repE0EEENS1_30default_config_static_selectorELNS0_4arch9wavefront6targetE0EEEvT1_
                                        ; -- End function
	.set _ZN7rocprim17ROCPRIM_400000_NS6detail17trampoline_kernelINS0_14default_configENS1_25transform_config_selectorIsLb0EEEZNS1_14transform_implILb0ES3_S5_PsN6thrust23THRUST_200600_302600_NS6detail15normal_iteratorINS9_10device_ptrIsEEEENS0_8identityIsEEEE10hipError_tT2_T3_mT4_P12ihipStream_tbEUlT_E_NS1_11comp_targetILNS1_3genE0ELNS1_11target_archE4294967295ELNS1_3gpuE0ELNS1_3repE0EEENS1_30default_config_static_selectorELNS0_4arch9wavefront6targetE0EEEvT1_.num_vgpr, 0
	.set _ZN7rocprim17ROCPRIM_400000_NS6detail17trampoline_kernelINS0_14default_configENS1_25transform_config_selectorIsLb0EEEZNS1_14transform_implILb0ES3_S5_PsN6thrust23THRUST_200600_302600_NS6detail15normal_iteratorINS9_10device_ptrIsEEEENS0_8identityIsEEEE10hipError_tT2_T3_mT4_P12ihipStream_tbEUlT_E_NS1_11comp_targetILNS1_3genE0ELNS1_11target_archE4294967295ELNS1_3gpuE0ELNS1_3repE0EEENS1_30default_config_static_selectorELNS0_4arch9wavefront6targetE0EEEvT1_.num_agpr, 0
	.set _ZN7rocprim17ROCPRIM_400000_NS6detail17trampoline_kernelINS0_14default_configENS1_25transform_config_selectorIsLb0EEEZNS1_14transform_implILb0ES3_S5_PsN6thrust23THRUST_200600_302600_NS6detail15normal_iteratorINS9_10device_ptrIsEEEENS0_8identityIsEEEE10hipError_tT2_T3_mT4_P12ihipStream_tbEUlT_E_NS1_11comp_targetILNS1_3genE0ELNS1_11target_archE4294967295ELNS1_3gpuE0ELNS1_3repE0EEENS1_30default_config_static_selectorELNS0_4arch9wavefront6targetE0EEEvT1_.numbered_sgpr, 0
	.set _ZN7rocprim17ROCPRIM_400000_NS6detail17trampoline_kernelINS0_14default_configENS1_25transform_config_selectorIsLb0EEEZNS1_14transform_implILb0ES3_S5_PsN6thrust23THRUST_200600_302600_NS6detail15normal_iteratorINS9_10device_ptrIsEEEENS0_8identityIsEEEE10hipError_tT2_T3_mT4_P12ihipStream_tbEUlT_E_NS1_11comp_targetILNS1_3genE0ELNS1_11target_archE4294967295ELNS1_3gpuE0ELNS1_3repE0EEENS1_30default_config_static_selectorELNS0_4arch9wavefront6targetE0EEEvT1_.num_named_barrier, 0
	.set _ZN7rocprim17ROCPRIM_400000_NS6detail17trampoline_kernelINS0_14default_configENS1_25transform_config_selectorIsLb0EEEZNS1_14transform_implILb0ES3_S5_PsN6thrust23THRUST_200600_302600_NS6detail15normal_iteratorINS9_10device_ptrIsEEEENS0_8identityIsEEEE10hipError_tT2_T3_mT4_P12ihipStream_tbEUlT_E_NS1_11comp_targetILNS1_3genE0ELNS1_11target_archE4294967295ELNS1_3gpuE0ELNS1_3repE0EEENS1_30default_config_static_selectorELNS0_4arch9wavefront6targetE0EEEvT1_.private_seg_size, 0
	.set _ZN7rocprim17ROCPRIM_400000_NS6detail17trampoline_kernelINS0_14default_configENS1_25transform_config_selectorIsLb0EEEZNS1_14transform_implILb0ES3_S5_PsN6thrust23THRUST_200600_302600_NS6detail15normal_iteratorINS9_10device_ptrIsEEEENS0_8identityIsEEEE10hipError_tT2_T3_mT4_P12ihipStream_tbEUlT_E_NS1_11comp_targetILNS1_3genE0ELNS1_11target_archE4294967295ELNS1_3gpuE0ELNS1_3repE0EEENS1_30default_config_static_selectorELNS0_4arch9wavefront6targetE0EEEvT1_.uses_vcc, 0
	.set _ZN7rocprim17ROCPRIM_400000_NS6detail17trampoline_kernelINS0_14default_configENS1_25transform_config_selectorIsLb0EEEZNS1_14transform_implILb0ES3_S5_PsN6thrust23THRUST_200600_302600_NS6detail15normal_iteratorINS9_10device_ptrIsEEEENS0_8identityIsEEEE10hipError_tT2_T3_mT4_P12ihipStream_tbEUlT_E_NS1_11comp_targetILNS1_3genE0ELNS1_11target_archE4294967295ELNS1_3gpuE0ELNS1_3repE0EEENS1_30default_config_static_selectorELNS0_4arch9wavefront6targetE0EEEvT1_.uses_flat_scratch, 0
	.set _ZN7rocprim17ROCPRIM_400000_NS6detail17trampoline_kernelINS0_14default_configENS1_25transform_config_selectorIsLb0EEEZNS1_14transform_implILb0ES3_S5_PsN6thrust23THRUST_200600_302600_NS6detail15normal_iteratorINS9_10device_ptrIsEEEENS0_8identityIsEEEE10hipError_tT2_T3_mT4_P12ihipStream_tbEUlT_E_NS1_11comp_targetILNS1_3genE0ELNS1_11target_archE4294967295ELNS1_3gpuE0ELNS1_3repE0EEENS1_30default_config_static_selectorELNS0_4arch9wavefront6targetE0EEEvT1_.has_dyn_sized_stack, 0
	.set _ZN7rocprim17ROCPRIM_400000_NS6detail17trampoline_kernelINS0_14default_configENS1_25transform_config_selectorIsLb0EEEZNS1_14transform_implILb0ES3_S5_PsN6thrust23THRUST_200600_302600_NS6detail15normal_iteratorINS9_10device_ptrIsEEEENS0_8identityIsEEEE10hipError_tT2_T3_mT4_P12ihipStream_tbEUlT_E_NS1_11comp_targetILNS1_3genE0ELNS1_11target_archE4294967295ELNS1_3gpuE0ELNS1_3repE0EEENS1_30default_config_static_selectorELNS0_4arch9wavefront6targetE0EEEvT1_.has_recursion, 0
	.set _ZN7rocprim17ROCPRIM_400000_NS6detail17trampoline_kernelINS0_14default_configENS1_25transform_config_selectorIsLb0EEEZNS1_14transform_implILb0ES3_S5_PsN6thrust23THRUST_200600_302600_NS6detail15normal_iteratorINS9_10device_ptrIsEEEENS0_8identityIsEEEE10hipError_tT2_T3_mT4_P12ihipStream_tbEUlT_E_NS1_11comp_targetILNS1_3genE0ELNS1_11target_archE4294967295ELNS1_3gpuE0ELNS1_3repE0EEENS1_30default_config_static_selectorELNS0_4arch9wavefront6targetE0EEEvT1_.has_indirect_call, 0
	.section	.AMDGPU.csdata,"",@progbits
; Kernel info:
; codeLenInByte = 0
; TotalNumSgprs: 0
; NumVgprs: 0
; ScratchSize: 0
; MemoryBound: 0
; FloatMode: 240
; IeeeMode: 1
; LDSByteSize: 0 bytes/workgroup (compile time only)
; SGPRBlocks: 0
; VGPRBlocks: 0
; NumSGPRsForWavesPerEU: 1
; NumVGPRsForWavesPerEU: 1
; Occupancy: 16
; WaveLimiterHint : 0
; COMPUTE_PGM_RSRC2:SCRATCH_EN: 0
; COMPUTE_PGM_RSRC2:USER_SGPR: 6
; COMPUTE_PGM_RSRC2:TRAP_HANDLER: 0
; COMPUTE_PGM_RSRC2:TGID_X_EN: 1
; COMPUTE_PGM_RSRC2:TGID_Y_EN: 0
; COMPUTE_PGM_RSRC2:TGID_Z_EN: 0
; COMPUTE_PGM_RSRC2:TIDIG_COMP_CNT: 0
	.section	.text._ZN7rocprim17ROCPRIM_400000_NS6detail17trampoline_kernelINS0_14default_configENS1_25transform_config_selectorIsLb0EEEZNS1_14transform_implILb0ES3_S5_PsN6thrust23THRUST_200600_302600_NS6detail15normal_iteratorINS9_10device_ptrIsEEEENS0_8identityIsEEEE10hipError_tT2_T3_mT4_P12ihipStream_tbEUlT_E_NS1_11comp_targetILNS1_3genE5ELNS1_11target_archE942ELNS1_3gpuE9ELNS1_3repE0EEENS1_30default_config_static_selectorELNS0_4arch9wavefront6targetE0EEEvT1_,"axG",@progbits,_ZN7rocprim17ROCPRIM_400000_NS6detail17trampoline_kernelINS0_14default_configENS1_25transform_config_selectorIsLb0EEEZNS1_14transform_implILb0ES3_S5_PsN6thrust23THRUST_200600_302600_NS6detail15normal_iteratorINS9_10device_ptrIsEEEENS0_8identityIsEEEE10hipError_tT2_T3_mT4_P12ihipStream_tbEUlT_E_NS1_11comp_targetILNS1_3genE5ELNS1_11target_archE942ELNS1_3gpuE9ELNS1_3repE0EEENS1_30default_config_static_selectorELNS0_4arch9wavefront6targetE0EEEvT1_,comdat
	.protected	_ZN7rocprim17ROCPRIM_400000_NS6detail17trampoline_kernelINS0_14default_configENS1_25transform_config_selectorIsLb0EEEZNS1_14transform_implILb0ES3_S5_PsN6thrust23THRUST_200600_302600_NS6detail15normal_iteratorINS9_10device_ptrIsEEEENS0_8identityIsEEEE10hipError_tT2_T3_mT4_P12ihipStream_tbEUlT_E_NS1_11comp_targetILNS1_3genE5ELNS1_11target_archE942ELNS1_3gpuE9ELNS1_3repE0EEENS1_30default_config_static_selectorELNS0_4arch9wavefront6targetE0EEEvT1_ ; -- Begin function _ZN7rocprim17ROCPRIM_400000_NS6detail17trampoline_kernelINS0_14default_configENS1_25transform_config_selectorIsLb0EEEZNS1_14transform_implILb0ES3_S5_PsN6thrust23THRUST_200600_302600_NS6detail15normal_iteratorINS9_10device_ptrIsEEEENS0_8identityIsEEEE10hipError_tT2_T3_mT4_P12ihipStream_tbEUlT_E_NS1_11comp_targetILNS1_3genE5ELNS1_11target_archE942ELNS1_3gpuE9ELNS1_3repE0EEENS1_30default_config_static_selectorELNS0_4arch9wavefront6targetE0EEEvT1_
	.globl	_ZN7rocprim17ROCPRIM_400000_NS6detail17trampoline_kernelINS0_14default_configENS1_25transform_config_selectorIsLb0EEEZNS1_14transform_implILb0ES3_S5_PsN6thrust23THRUST_200600_302600_NS6detail15normal_iteratorINS9_10device_ptrIsEEEENS0_8identityIsEEEE10hipError_tT2_T3_mT4_P12ihipStream_tbEUlT_E_NS1_11comp_targetILNS1_3genE5ELNS1_11target_archE942ELNS1_3gpuE9ELNS1_3repE0EEENS1_30default_config_static_selectorELNS0_4arch9wavefront6targetE0EEEvT1_
	.p2align	8
	.type	_ZN7rocprim17ROCPRIM_400000_NS6detail17trampoline_kernelINS0_14default_configENS1_25transform_config_selectorIsLb0EEEZNS1_14transform_implILb0ES3_S5_PsN6thrust23THRUST_200600_302600_NS6detail15normal_iteratorINS9_10device_ptrIsEEEENS0_8identityIsEEEE10hipError_tT2_T3_mT4_P12ihipStream_tbEUlT_E_NS1_11comp_targetILNS1_3genE5ELNS1_11target_archE942ELNS1_3gpuE9ELNS1_3repE0EEENS1_30default_config_static_selectorELNS0_4arch9wavefront6targetE0EEEvT1_,@function
_ZN7rocprim17ROCPRIM_400000_NS6detail17trampoline_kernelINS0_14default_configENS1_25transform_config_selectorIsLb0EEEZNS1_14transform_implILb0ES3_S5_PsN6thrust23THRUST_200600_302600_NS6detail15normal_iteratorINS9_10device_ptrIsEEEENS0_8identityIsEEEE10hipError_tT2_T3_mT4_P12ihipStream_tbEUlT_E_NS1_11comp_targetILNS1_3genE5ELNS1_11target_archE942ELNS1_3gpuE9ELNS1_3repE0EEENS1_30default_config_static_selectorELNS0_4arch9wavefront6targetE0EEEvT1_: ; @_ZN7rocprim17ROCPRIM_400000_NS6detail17trampoline_kernelINS0_14default_configENS1_25transform_config_selectorIsLb0EEEZNS1_14transform_implILb0ES3_S5_PsN6thrust23THRUST_200600_302600_NS6detail15normal_iteratorINS9_10device_ptrIsEEEENS0_8identityIsEEEE10hipError_tT2_T3_mT4_P12ihipStream_tbEUlT_E_NS1_11comp_targetILNS1_3genE5ELNS1_11target_archE942ELNS1_3gpuE9ELNS1_3repE0EEENS1_30default_config_static_selectorELNS0_4arch9wavefront6targetE0EEEvT1_
; %bb.0:
	.section	.rodata,"a",@progbits
	.p2align	6, 0x0
	.amdhsa_kernel _ZN7rocprim17ROCPRIM_400000_NS6detail17trampoline_kernelINS0_14default_configENS1_25transform_config_selectorIsLb0EEEZNS1_14transform_implILb0ES3_S5_PsN6thrust23THRUST_200600_302600_NS6detail15normal_iteratorINS9_10device_ptrIsEEEENS0_8identityIsEEEE10hipError_tT2_T3_mT4_P12ihipStream_tbEUlT_E_NS1_11comp_targetILNS1_3genE5ELNS1_11target_archE942ELNS1_3gpuE9ELNS1_3repE0EEENS1_30default_config_static_selectorELNS0_4arch9wavefront6targetE0EEEvT1_
		.amdhsa_group_segment_fixed_size 0
		.amdhsa_private_segment_fixed_size 0
		.amdhsa_kernarg_size 40
		.amdhsa_user_sgpr_count 6
		.amdhsa_user_sgpr_private_segment_buffer 1
		.amdhsa_user_sgpr_dispatch_ptr 0
		.amdhsa_user_sgpr_queue_ptr 0
		.amdhsa_user_sgpr_kernarg_segment_ptr 1
		.amdhsa_user_sgpr_dispatch_id 0
		.amdhsa_user_sgpr_flat_scratch_init 0
		.amdhsa_user_sgpr_private_segment_size 0
		.amdhsa_wavefront_size32 1
		.amdhsa_uses_dynamic_stack 0
		.amdhsa_system_sgpr_private_segment_wavefront_offset 0
		.amdhsa_system_sgpr_workgroup_id_x 1
		.amdhsa_system_sgpr_workgroup_id_y 0
		.amdhsa_system_sgpr_workgroup_id_z 0
		.amdhsa_system_sgpr_workgroup_info 0
		.amdhsa_system_vgpr_workitem_id 0
		.amdhsa_next_free_vgpr 1
		.amdhsa_next_free_sgpr 1
		.amdhsa_reserve_vcc 0
		.amdhsa_reserve_flat_scratch 0
		.amdhsa_float_round_mode_32 0
		.amdhsa_float_round_mode_16_64 0
		.amdhsa_float_denorm_mode_32 3
		.amdhsa_float_denorm_mode_16_64 3
		.amdhsa_dx10_clamp 1
		.amdhsa_ieee_mode 1
		.amdhsa_fp16_overflow 0
		.amdhsa_workgroup_processor_mode 1
		.amdhsa_memory_ordered 1
		.amdhsa_forward_progress 1
		.amdhsa_shared_vgpr_count 0
		.amdhsa_exception_fp_ieee_invalid_op 0
		.amdhsa_exception_fp_denorm_src 0
		.amdhsa_exception_fp_ieee_div_zero 0
		.amdhsa_exception_fp_ieee_overflow 0
		.amdhsa_exception_fp_ieee_underflow 0
		.amdhsa_exception_fp_ieee_inexact 0
		.amdhsa_exception_int_div_zero 0
	.end_amdhsa_kernel
	.section	.text._ZN7rocprim17ROCPRIM_400000_NS6detail17trampoline_kernelINS0_14default_configENS1_25transform_config_selectorIsLb0EEEZNS1_14transform_implILb0ES3_S5_PsN6thrust23THRUST_200600_302600_NS6detail15normal_iteratorINS9_10device_ptrIsEEEENS0_8identityIsEEEE10hipError_tT2_T3_mT4_P12ihipStream_tbEUlT_E_NS1_11comp_targetILNS1_3genE5ELNS1_11target_archE942ELNS1_3gpuE9ELNS1_3repE0EEENS1_30default_config_static_selectorELNS0_4arch9wavefront6targetE0EEEvT1_,"axG",@progbits,_ZN7rocprim17ROCPRIM_400000_NS6detail17trampoline_kernelINS0_14default_configENS1_25transform_config_selectorIsLb0EEEZNS1_14transform_implILb0ES3_S5_PsN6thrust23THRUST_200600_302600_NS6detail15normal_iteratorINS9_10device_ptrIsEEEENS0_8identityIsEEEE10hipError_tT2_T3_mT4_P12ihipStream_tbEUlT_E_NS1_11comp_targetILNS1_3genE5ELNS1_11target_archE942ELNS1_3gpuE9ELNS1_3repE0EEENS1_30default_config_static_selectorELNS0_4arch9wavefront6targetE0EEEvT1_,comdat
.Lfunc_end573:
	.size	_ZN7rocprim17ROCPRIM_400000_NS6detail17trampoline_kernelINS0_14default_configENS1_25transform_config_selectorIsLb0EEEZNS1_14transform_implILb0ES3_S5_PsN6thrust23THRUST_200600_302600_NS6detail15normal_iteratorINS9_10device_ptrIsEEEENS0_8identityIsEEEE10hipError_tT2_T3_mT4_P12ihipStream_tbEUlT_E_NS1_11comp_targetILNS1_3genE5ELNS1_11target_archE942ELNS1_3gpuE9ELNS1_3repE0EEENS1_30default_config_static_selectorELNS0_4arch9wavefront6targetE0EEEvT1_, .Lfunc_end573-_ZN7rocprim17ROCPRIM_400000_NS6detail17trampoline_kernelINS0_14default_configENS1_25transform_config_selectorIsLb0EEEZNS1_14transform_implILb0ES3_S5_PsN6thrust23THRUST_200600_302600_NS6detail15normal_iteratorINS9_10device_ptrIsEEEENS0_8identityIsEEEE10hipError_tT2_T3_mT4_P12ihipStream_tbEUlT_E_NS1_11comp_targetILNS1_3genE5ELNS1_11target_archE942ELNS1_3gpuE9ELNS1_3repE0EEENS1_30default_config_static_selectorELNS0_4arch9wavefront6targetE0EEEvT1_
                                        ; -- End function
	.set _ZN7rocprim17ROCPRIM_400000_NS6detail17trampoline_kernelINS0_14default_configENS1_25transform_config_selectorIsLb0EEEZNS1_14transform_implILb0ES3_S5_PsN6thrust23THRUST_200600_302600_NS6detail15normal_iteratorINS9_10device_ptrIsEEEENS0_8identityIsEEEE10hipError_tT2_T3_mT4_P12ihipStream_tbEUlT_E_NS1_11comp_targetILNS1_3genE5ELNS1_11target_archE942ELNS1_3gpuE9ELNS1_3repE0EEENS1_30default_config_static_selectorELNS0_4arch9wavefront6targetE0EEEvT1_.num_vgpr, 0
	.set _ZN7rocprim17ROCPRIM_400000_NS6detail17trampoline_kernelINS0_14default_configENS1_25transform_config_selectorIsLb0EEEZNS1_14transform_implILb0ES3_S5_PsN6thrust23THRUST_200600_302600_NS6detail15normal_iteratorINS9_10device_ptrIsEEEENS0_8identityIsEEEE10hipError_tT2_T3_mT4_P12ihipStream_tbEUlT_E_NS1_11comp_targetILNS1_3genE5ELNS1_11target_archE942ELNS1_3gpuE9ELNS1_3repE0EEENS1_30default_config_static_selectorELNS0_4arch9wavefront6targetE0EEEvT1_.num_agpr, 0
	.set _ZN7rocprim17ROCPRIM_400000_NS6detail17trampoline_kernelINS0_14default_configENS1_25transform_config_selectorIsLb0EEEZNS1_14transform_implILb0ES3_S5_PsN6thrust23THRUST_200600_302600_NS6detail15normal_iteratorINS9_10device_ptrIsEEEENS0_8identityIsEEEE10hipError_tT2_T3_mT4_P12ihipStream_tbEUlT_E_NS1_11comp_targetILNS1_3genE5ELNS1_11target_archE942ELNS1_3gpuE9ELNS1_3repE0EEENS1_30default_config_static_selectorELNS0_4arch9wavefront6targetE0EEEvT1_.numbered_sgpr, 0
	.set _ZN7rocprim17ROCPRIM_400000_NS6detail17trampoline_kernelINS0_14default_configENS1_25transform_config_selectorIsLb0EEEZNS1_14transform_implILb0ES3_S5_PsN6thrust23THRUST_200600_302600_NS6detail15normal_iteratorINS9_10device_ptrIsEEEENS0_8identityIsEEEE10hipError_tT2_T3_mT4_P12ihipStream_tbEUlT_E_NS1_11comp_targetILNS1_3genE5ELNS1_11target_archE942ELNS1_3gpuE9ELNS1_3repE0EEENS1_30default_config_static_selectorELNS0_4arch9wavefront6targetE0EEEvT1_.num_named_barrier, 0
	.set _ZN7rocprim17ROCPRIM_400000_NS6detail17trampoline_kernelINS0_14default_configENS1_25transform_config_selectorIsLb0EEEZNS1_14transform_implILb0ES3_S5_PsN6thrust23THRUST_200600_302600_NS6detail15normal_iteratorINS9_10device_ptrIsEEEENS0_8identityIsEEEE10hipError_tT2_T3_mT4_P12ihipStream_tbEUlT_E_NS1_11comp_targetILNS1_3genE5ELNS1_11target_archE942ELNS1_3gpuE9ELNS1_3repE0EEENS1_30default_config_static_selectorELNS0_4arch9wavefront6targetE0EEEvT1_.private_seg_size, 0
	.set _ZN7rocprim17ROCPRIM_400000_NS6detail17trampoline_kernelINS0_14default_configENS1_25transform_config_selectorIsLb0EEEZNS1_14transform_implILb0ES3_S5_PsN6thrust23THRUST_200600_302600_NS6detail15normal_iteratorINS9_10device_ptrIsEEEENS0_8identityIsEEEE10hipError_tT2_T3_mT4_P12ihipStream_tbEUlT_E_NS1_11comp_targetILNS1_3genE5ELNS1_11target_archE942ELNS1_3gpuE9ELNS1_3repE0EEENS1_30default_config_static_selectorELNS0_4arch9wavefront6targetE0EEEvT1_.uses_vcc, 0
	.set _ZN7rocprim17ROCPRIM_400000_NS6detail17trampoline_kernelINS0_14default_configENS1_25transform_config_selectorIsLb0EEEZNS1_14transform_implILb0ES3_S5_PsN6thrust23THRUST_200600_302600_NS6detail15normal_iteratorINS9_10device_ptrIsEEEENS0_8identityIsEEEE10hipError_tT2_T3_mT4_P12ihipStream_tbEUlT_E_NS1_11comp_targetILNS1_3genE5ELNS1_11target_archE942ELNS1_3gpuE9ELNS1_3repE0EEENS1_30default_config_static_selectorELNS0_4arch9wavefront6targetE0EEEvT1_.uses_flat_scratch, 0
	.set _ZN7rocprim17ROCPRIM_400000_NS6detail17trampoline_kernelINS0_14default_configENS1_25transform_config_selectorIsLb0EEEZNS1_14transform_implILb0ES3_S5_PsN6thrust23THRUST_200600_302600_NS6detail15normal_iteratorINS9_10device_ptrIsEEEENS0_8identityIsEEEE10hipError_tT2_T3_mT4_P12ihipStream_tbEUlT_E_NS1_11comp_targetILNS1_3genE5ELNS1_11target_archE942ELNS1_3gpuE9ELNS1_3repE0EEENS1_30default_config_static_selectorELNS0_4arch9wavefront6targetE0EEEvT1_.has_dyn_sized_stack, 0
	.set _ZN7rocprim17ROCPRIM_400000_NS6detail17trampoline_kernelINS0_14default_configENS1_25transform_config_selectorIsLb0EEEZNS1_14transform_implILb0ES3_S5_PsN6thrust23THRUST_200600_302600_NS6detail15normal_iteratorINS9_10device_ptrIsEEEENS0_8identityIsEEEE10hipError_tT2_T3_mT4_P12ihipStream_tbEUlT_E_NS1_11comp_targetILNS1_3genE5ELNS1_11target_archE942ELNS1_3gpuE9ELNS1_3repE0EEENS1_30default_config_static_selectorELNS0_4arch9wavefront6targetE0EEEvT1_.has_recursion, 0
	.set _ZN7rocprim17ROCPRIM_400000_NS6detail17trampoline_kernelINS0_14default_configENS1_25transform_config_selectorIsLb0EEEZNS1_14transform_implILb0ES3_S5_PsN6thrust23THRUST_200600_302600_NS6detail15normal_iteratorINS9_10device_ptrIsEEEENS0_8identityIsEEEE10hipError_tT2_T3_mT4_P12ihipStream_tbEUlT_E_NS1_11comp_targetILNS1_3genE5ELNS1_11target_archE942ELNS1_3gpuE9ELNS1_3repE0EEENS1_30default_config_static_selectorELNS0_4arch9wavefront6targetE0EEEvT1_.has_indirect_call, 0
	.section	.AMDGPU.csdata,"",@progbits
; Kernel info:
; codeLenInByte = 0
; TotalNumSgprs: 0
; NumVgprs: 0
; ScratchSize: 0
; MemoryBound: 0
; FloatMode: 240
; IeeeMode: 1
; LDSByteSize: 0 bytes/workgroup (compile time only)
; SGPRBlocks: 0
; VGPRBlocks: 0
; NumSGPRsForWavesPerEU: 1
; NumVGPRsForWavesPerEU: 1
; Occupancy: 16
; WaveLimiterHint : 0
; COMPUTE_PGM_RSRC2:SCRATCH_EN: 0
; COMPUTE_PGM_RSRC2:USER_SGPR: 6
; COMPUTE_PGM_RSRC2:TRAP_HANDLER: 0
; COMPUTE_PGM_RSRC2:TGID_X_EN: 1
; COMPUTE_PGM_RSRC2:TGID_Y_EN: 0
; COMPUTE_PGM_RSRC2:TGID_Z_EN: 0
; COMPUTE_PGM_RSRC2:TIDIG_COMP_CNT: 0
	.section	.text._ZN7rocprim17ROCPRIM_400000_NS6detail17trampoline_kernelINS0_14default_configENS1_25transform_config_selectorIsLb0EEEZNS1_14transform_implILb0ES3_S5_PsN6thrust23THRUST_200600_302600_NS6detail15normal_iteratorINS9_10device_ptrIsEEEENS0_8identityIsEEEE10hipError_tT2_T3_mT4_P12ihipStream_tbEUlT_E_NS1_11comp_targetILNS1_3genE4ELNS1_11target_archE910ELNS1_3gpuE8ELNS1_3repE0EEENS1_30default_config_static_selectorELNS0_4arch9wavefront6targetE0EEEvT1_,"axG",@progbits,_ZN7rocprim17ROCPRIM_400000_NS6detail17trampoline_kernelINS0_14default_configENS1_25transform_config_selectorIsLb0EEEZNS1_14transform_implILb0ES3_S5_PsN6thrust23THRUST_200600_302600_NS6detail15normal_iteratorINS9_10device_ptrIsEEEENS0_8identityIsEEEE10hipError_tT2_T3_mT4_P12ihipStream_tbEUlT_E_NS1_11comp_targetILNS1_3genE4ELNS1_11target_archE910ELNS1_3gpuE8ELNS1_3repE0EEENS1_30default_config_static_selectorELNS0_4arch9wavefront6targetE0EEEvT1_,comdat
	.protected	_ZN7rocprim17ROCPRIM_400000_NS6detail17trampoline_kernelINS0_14default_configENS1_25transform_config_selectorIsLb0EEEZNS1_14transform_implILb0ES3_S5_PsN6thrust23THRUST_200600_302600_NS6detail15normal_iteratorINS9_10device_ptrIsEEEENS0_8identityIsEEEE10hipError_tT2_T3_mT4_P12ihipStream_tbEUlT_E_NS1_11comp_targetILNS1_3genE4ELNS1_11target_archE910ELNS1_3gpuE8ELNS1_3repE0EEENS1_30default_config_static_selectorELNS0_4arch9wavefront6targetE0EEEvT1_ ; -- Begin function _ZN7rocprim17ROCPRIM_400000_NS6detail17trampoline_kernelINS0_14default_configENS1_25transform_config_selectorIsLb0EEEZNS1_14transform_implILb0ES3_S5_PsN6thrust23THRUST_200600_302600_NS6detail15normal_iteratorINS9_10device_ptrIsEEEENS0_8identityIsEEEE10hipError_tT2_T3_mT4_P12ihipStream_tbEUlT_E_NS1_11comp_targetILNS1_3genE4ELNS1_11target_archE910ELNS1_3gpuE8ELNS1_3repE0EEENS1_30default_config_static_selectorELNS0_4arch9wavefront6targetE0EEEvT1_
	.globl	_ZN7rocprim17ROCPRIM_400000_NS6detail17trampoline_kernelINS0_14default_configENS1_25transform_config_selectorIsLb0EEEZNS1_14transform_implILb0ES3_S5_PsN6thrust23THRUST_200600_302600_NS6detail15normal_iteratorINS9_10device_ptrIsEEEENS0_8identityIsEEEE10hipError_tT2_T3_mT4_P12ihipStream_tbEUlT_E_NS1_11comp_targetILNS1_3genE4ELNS1_11target_archE910ELNS1_3gpuE8ELNS1_3repE0EEENS1_30default_config_static_selectorELNS0_4arch9wavefront6targetE0EEEvT1_
	.p2align	8
	.type	_ZN7rocprim17ROCPRIM_400000_NS6detail17trampoline_kernelINS0_14default_configENS1_25transform_config_selectorIsLb0EEEZNS1_14transform_implILb0ES3_S5_PsN6thrust23THRUST_200600_302600_NS6detail15normal_iteratorINS9_10device_ptrIsEEEENS0_8identityIsEEEE10hipError_tT2_T3_mT4_P12ihipStream_tbEUlT_E_NS1_11comp_targetILNS1_3genE4ELNS1_11target_archE910ELNS1_3gpuE8ELNS1_3repE0EEENS1_30default_config_static_selectorELNS0_4arch9wavefront6targetE0EEEvT1_,@function
_ZN7rocprim17ROCPRIM_400000_NS6detail17trampoline_kernelINS0_14default_configENS1_25transform_config_selectorIsLb0EEEZNS1_14transform_implILb0ES3_S5_PsN6thrust23THRUST_200600_302600_NS6detail15normal_iteratorINS9_10device_ptrIsEEEENS0_8identityIsEEEE10hipError_tT2_T3_mT4_P12ihipStream_tbEUlT_E_NS1_11comp_targetILNS1_3genE4ELNS1_11target_archE910ELNS1_3gpuE8ELNS1_3repE0EEENS1_30default_config_static_selectorELNS0_4arch9wavefront6targetE0EEEvT1_: ; @_ZN7rocprim17ROCPRIM_400000_NS6detail17trampoline_kernelINS0_14default_configENS1_25transform_config_selectorIsLb0EEEZNS1_14transform_implILb0ES3_S5_PsN6thrust23THRUST_200600_302600_NS6detail15normal_iteratorINS9_10device_ptrIsEEEENS0_8identityIsEEEE10hipError_tT2_T3_mT4_P12ihipStream_tbEUlT_E_NS1_11comp_targetILNS1_3genE4ELNS1_11target_archE910ELNS1_3gpuE8ELNS1_3repE0EEENS1_30default_config_static_selectorELNS0_4arch9wavefront6targetE0EEEvT1_
; %bb.0:
	.section	.rodata,"a",@progbits
	.p2align	6, 0x0
	.amdhsa_kernel _ZN7rocprim17ROCPRIM_400000_NS6detail17trampoline_kernelINS0_14default_configENS1_25transform_config_selectorIsLb0EEEZNS1_14transform_implILb0ES3_S5_PsN6thrust23THRUST_200600_302600_NS6detail15normal_iteratorINS9_10device_ptrIsEEEENS0_8identityIsEEEE10hipError_tT2_T3_mT4_P12ihipStream_tbEUlT_E_NS1_11comp_targetILNS1_3genE4ELNS1_11target_archE910ELNS1_3gpuE8ELNS1_3repE0EEENS1_30default_config_static_selectorELNS0_4arch9wavefront6targetE0EEEvT1_
		.amdhsa_group_segment_fixed_size 0
		.amdhsa_private_segment_fixed_size 0
		.amdhsa_kernarg_size 40
		.amdhsa_user_sgpr_count 6
		.amdhsa_user_sgpr_private_segment_buffer 1
		.amdhsa_user_sgpr_dispatch_ptr 0
		.amdhsa_user_sgpr_queue_ptr 0
		.amdhsa_user_sgpr_kernarg_segment_ptr 1
		.amdhsa_user_sgpr_dispatch_id 0
		.amdhsa_user_sgpr_flat_scratch_init 0
		.amdhsa_user_sgpr_private_segment_size 0
		.amdhsa_wavefront_size32 1
		.amdhsa_uses_dynamic_stack 0
		.amdhsa_system_sgpr_private_segment_wavefront_offset 0
		.amdhsa_system_sgpr_workgroup_id_x 1
		.amdhsa_system_sgpr_workgroup_id_y 0
		.amdhsa_system_sgpr_workgroup_id_z 0
		.amdhsa_system_sgpr_workgroup_info 0
		.amdhsa_system_vgpr_workitem_id 0
		.amdhsa_next_free_vgpr 1
		.amdhsa_next_free_sgpr 1
		.amdhsa_reserve_vcc 0
		.amdhsa_reserve_flat_scratch 0
		.amdhsa_float_round_mode_32 0
		.amdhsa_float_round_mode_16_64 0
		.amdhsa_float_denorm_mode_32 3
		.amdhsa_float_denorm_mode_16_64 3
		.amdhsa_dx10_clamp 1
		.amdhsa_ieee_mode 1
		.amdhsa_fp16_overflow 0
		.amdhsa_workgroup_processor_mode 1
		.amdhsa_memory_ordered 1
		.amdhsa_forward_progress 1
		.amdhsa_shared_vgpr_count 0
		.amdhsa_exception_fp_ieee_invalid_op 0
		.amdhsa_exception_fp_denorm_src 0
		.amdhsa_exception_fp_ieee_div_zero 0
		.amdhsa_exception_fp_ieee_overflow 0
		.amdhsa_exception_fp_ieee_underflow 0
		.amdhsa_exception_fp_ieee_inexact 0
		.amdhsa_exception_int_div_zero 0
	.end_amdhsa_kernel
	.section	.text._ZN7rocprim17ROCPRIM_400000_NS6detail17trampoline_kernelINS0_14default_configENS1_25transform_config_selectorIsLb0EEEZNS1_14transform_implILb0ES3_S5_PsN6thrust23THRUST_200600_302600_NS6detail15normal_iteratorINS9_10device_ptrIsEEEENS0_8identityIsEEEE10hipError_tT2_T3_mT4_P12ihipStream_tbEUlT_E_NS1_11comp_targetILNS1_3genE4ELNS1_11target_archE910ELNS1_3gpuE8ELNS1_3repE0EEENS1_30default_config_static_selectorELNS0_4arch9wavefront6targetE0EEEvT1_,"axG",@progbits,_ZN7rocprim17ROCPRIM_400000_NS6detail17trampoline_kernelINS0_14default_configENS1_25transform_config_selectorIsLb0EEEZNS1_14transform_implILb0ES3_S5_PsN6thrust23THRUST_200600_302600_NS6detail15normal_iteratorINS9_10device_ptrIsEEEENS0_8identityIsEEEE10hipError_tT2_T3_mT4_P12ihipStream_tbEUlT_E_NS1_11comp_targetILNS1_3genE4ELNS1_11target_archE910ELNS1_3gpuE8ELNS1_3repE0EEENS1_30default_config_static_selectorELNS0_4arch9wavefront6targetE0EEEvT1_,comdat
.Lfunc_end574:
	.size	_ZN7rocprim17ROCPRIM_400000_NS6detail17trampoline_kernelINS0_14default_configENS1_25transform_config_selectorIsLb0EEEZNS1_14transform_implILb0ES3_S5_PsN6thrust23THRUST_200600_302600_NS6detail15normal_iteratorINS9_10device_ptrIsEEEENS0_8identityIsEEEE10hipError_tT2_T3_mT4_P12ihipStream_tbEUlT_E_NS1_11comp_targetILNS1_3genE4ELNS1_11target_archE910ELNS1_3gpuE8ELNS1_3repE0EEENS1_30default_config_static_selectorELNS0_4arch9wavefront6targetE0EEEvT1_, .Lfunc_end574-_ZN7rocprim17ROCPRIM_400000_NS6detail17trampoline_kernelINS0_14default_configENS1_25transform_config_selectorIsLb0EEEZNS1_14transform_implILb0ES3_S5_PsN6thrust23THRUST_200600_302600_NS6detail15normal_iteratorINS9_10device_ptrIsEEEENS0_8identityIsEEEE10hipError_tT2_T3_mT4_P12ihipStream_tbEUlT_E_NS1_11comp_targetILNS1_3genE4ELNS1_11target_archE910ELNS1_3gpuE8ELNS1_3repE0EEENS1_30default_config_static_selectorELNS0_4arch9wavefront6targetE0EEEvT1_
                                        ; -- End function
	.set _ZN7rocprim17ROCPRIM_400000_NS6detail17trampoline_kernelINS0_14default_configENS1_25transform_config_selectorIsLb0EEEZNS1_14transform_implILb0ES3_S5_PsN6thrust23THRUST_200600_302600_NS6detail15normal_iteratorINS9_10device_ptrIsEEEENS0_8identityIsEEEE10hipError_tT2_T3_mT4_P12ihipStream_tbEUlT_E_NS1_11comp_targetILNS1_3genE4ELNS1_11target_archE910ELNS1_3gpuE8ELNS1_3repE0EEENS1_30default_config_static_selectorELNS0_4arch9wavefront6targetE0EEEvT1_.num_vgpr, 0
	.set _ZN7rocprim17ROCPRIM_400000_NS6detail17trampoline_kernelINS0_14default_configENS1_25transform_config_selectorIsLb0EEEZNS1_14transform_implILb0ES3_S5_PsN6thrust23THRUST_200600_302600_NS6detail15normal_iteratorINS9_10device_ptrIsEEEENS0_8identityIsEEEE10hipError_tT2_T3_mT4_P12ihipStream_tbEUlT_E_NS1_11comp_targetILNS1_3genE4ELNS1_11target_archE910ELNS1_3gpuE8ELNS1_3repE0EEENS1_30default_config_static_selectorELNS0_4arch9wavefront6targetE0EEEvT1_.num_agpr, 0
	.set _ZN7rocprim17ROCPRIM_400000_NS6detail17trampoline_kernelINS0_14default_configENS1_25transform_config_selectorIsLb0EEEZNS1_14transform_implILb0ES3_S5_PsN6thrust23THRUST_200600_302600_NS6detail15normal_iteratorINS9_10device_ptrIsEEEENS0_8identityIsEEEE10hipError_tT2_T3_mT4_P12ihipStream_tbEUlT_E_NS1_11comp_targetILNS1_3genE4ELNS1_11target_archE910ELNS1_3gpuE8ELNS1_3repE0EEENS1_30default_config_static_selectorELNS0_4arch9wavefront6targetE0EEEvT1_.numbered_sgpr, 0
	.set _ZN7rocprim17ROCPRIM_400000_NS6detail17trampoline_kernelINS0_14default_configENS1_25transform_config_selectorIsLb0EEEZNS1_14transform_implILb0ES3_S5_PsN6thrust23THRUST_200600_302600_NS6detail15normal_iteratorINS9_10device_ptrIsEEEENS0_8identityIsEEEE10hipError_tT2_T3_mT4_P12ihipStream_tbEUlT_E_NS1_11comp_targetILNS1_3genE4ELNS1_11target_archE910ELNS1_3gpuE8ELNS1_3repE0EEENS1_30default_config_static_selectorELNS0_4arch9wavefront6targetE0EEEvT1_.num_named_barrier, 0
	.set _ZN7rocprim17ROCPRIM_400000_NS6detail17trampoline_kernelINS0_14default_configENS1_25transform_config_selectorIsLb0EEEZNS1_14transform_implILb0ES3_S5_PsN6thrust23THRUST_200600_302600_NS6detail15normal_iteratorINS9_10device_ptrIsEEEENS0_8identityIsEEEE10hipError_tT2_T3_mT4_P12ihipStream_tbEUlT_E_NS1_11comp_targetILNS1_3genE4ELNS1_11target_archE910ELNS1_3gpuE8ELNS1_3repE0EEENS1_30default_config_static_selectorELNS0_4arch9wavefront6targetE0EEEvT1_.private_seg_size, 0
	.set _ZN7rocprim17ROCPRIM_400000_NS6detail17trampoline_kernelINS0_14default_configENS1_25transform_config_selectorIsLb0EEEZNS1_14transform_implILb0ES3_S5_PsN6thrust23THRUST_200600_302600_NS6detail15normal_iteratorINS9_10device_ptrIsEEEENS0_8identityIsEEEE10hipError_tT2_T3_mT4_P12ihipStream_tbEUlT_E_NS1_11comp_targetILNS1_3genE4ELNS1_11target_archE910ELNS1_3gpuE8ELNS1_3repE0EEENS1_30default_config_static_selectorELNS0_4arch9wavefront6targetE0EEEvT1_.uses_vcc, 0
	.set _ZN7rocprim17ROCPRIM_400000_NS6detail17trampoline_kernelINS0_14default_configENS1_25transform_config_selectorIsLb0EEEZNS1_14transform_implILb0ES3_S5_PsN6thrust23THRUST_200600_302600_NS6detail15normal_iteratorINS9_10device_ptrIsEEEENS0_8identityIsEEEE10hipError_tT2_T3_mT4_P12ihipStream_tbEUlT_E_NS1_11comp_targetILNS1_3genE4ELNS1_11target_archE910ELNS1_3gpuE8ELNS1_3repE0EEENS1_30default_config_static_selectorELNS0_4arch9wavefront6targetE0EEEvT1_.uses_flat_scratch, 0
	.set _ZN7rocprim17ROCPRIM_400000_NS6detail17trampoline_kernelINS0_14default_configENS1_25transform_config_selectorIsLb0EEEZNS1_14transform_implILb0ES3_S5_PsN6thrust23THRUST_200600_302600_NS6detail15normal_iteratorINS9_10device_ptrIsEEEENS0_8identityIsEEEE10hipError_tT2_T3_mT4_P12ihipStream_tbEUlT_E_NS1_11comp_targetILNS1_3genE4ELNS1_11target_archE910ELNS1_3gpuE8ELNS1_3repE0EEENS1_30default_config_static_selectorELNS0_4arch9wavefront6targetE0EEEvT1_.has_dyn_sized_stack, 0
	.set _ZN7rocprim17ROCPRIM_400000_NS6detail17trampoline_kernelINS0_14default_configENS1_25transform_config_selectorIsLb0EEEZNS1_14transform_implILb0ES3_S5_PsN6thrust23THRUST_200600_302600_NS6detail15normal_iteratorINS9_10device_ptrIsEEEENS0_8identityIsEEEE10hipError_tT2_T3_mT4_P12ihipStream_tbEUlT_E_NS1_11comp_targetILNS1_3genE4ELNS1_11target_archE910ELNS1_3gpuE8ELNS1_3repE0EEENS1_30default_config_static_selectorELNS0_4arch9wavefront6targetE0EEEvT1_.has_recursion, 0
	.set _ZN7rocprim17ROCPRIM_400000_NS6detail17trampoline_kernelINS0_14default_configENS1_25transform_config_selectorIsLb0EEEZNS1_14transform_implILb0ES3_S5_PsN6thrust23THRUST_200600_302600_NS6detail15normal_iteratorINS9_10device_ptrIsEEEENS0_8identityIsEEEE10hipError_tT2_T3_mT4_P12ihipStream_tbEUlT_E_NS1_11comp_targetILNS1_3genE4ELNS1_11target_archE910ELNS1_3gpuE8ELNS1_3repE0EEENS1_30default_config_static_selectorELNS0_4arch9wavefront6targetE0EEEvT1_.has_indirect_call, 0
	.section	.AMDGPU.csdata,"",@progbits
; Kernel info:
; codeLenInByte = 0
; TotalNumSgprs: 0
; NumVgprs: 0
; ScratchSize: 0
; MemoryBound: 0
; FloatMode: 240
; IeeeMode: 1
; LDSByteSize: 0 bytes/workgroup (compile time only)
; SGPRBlocks: 0
; VGPRBlocks: 0
; NumSGPRsForWavesPerEU: 1
; NumVGPRsForWavesPerEU: 1
; Occupancy: 16
; WaveLimiterHint : 0
; COMPUTE_PGM_RSRC2:SCRATCH_EN: 0
; COMPUTE_PGM_RSRC2:USER_SGPR: 6
; COMPUTE_PGM_RSRC2:TRAP_HANDLER: 0
; COMPUTE_PGM_RSRC2:TGID_X_EN: 1
; COMPUTE_PGM_RSRC2:TGID_Y_EN: 0
; COMPUTE_PGM_RSRC2:TGID_Z_EN: 0
; COMPUTE_PGM_RSRC2:TIDIG_COMP_CNT: 0
	.section	.text._ZN7rocprim17ROCPRIM_400000_NS6detail17trampoline_kernelINS0_14default_configENS1_25transform_config_selectorIsLb0EEEZNS1_14transform_implILb0ES3_S5_PsN6thrust23THRUST_200600_302600_NS6detail15normal_iteratorINS9_10device_ptrIsEEEENS0_8identityIsEEEE10hipError_tT2_T3_mT4_P12ihipStream_tbEUlT_E_NS1_11comp_targetILNS1_3genE3ELNS1_11target_archE908ELNS1_3gpuE7ELNS1_3repE0EEENS1_30default_config_static_selectorELNS0_4arch9wavefront6targetE0EEEvT1_,"axG",@progbits,_ZN7rocprim17ROCPRIM_400000_NS6detail17trampoline_kernelINS0_14default_configENS1_25transform_config_selectorIsLb0EEEZNS1_14transform_implILb0ES3_S5_PsN6thrust23THRUST_200600_302600_NS6detail15normal_iteratorINS9_10device_ptrIsEEEENS0_8identityIsEEEE10hipError_tT2_T3_mT4_P12ihipStream_tbEUlT_E_NS1_11comp_targetILNS1_3genE3ELNS1_11target_archE908ELNS1_3gpuE7ELNS1_3repE0EEENS1_30default_config_static_selectorELNS0_4arch9wavefront6targetE0EEEvT1_,comdat
	.protected	_ZN7rocprim17ROCPRIM_400000_NS6detail17trampoline_kernelINS0_14default_configENS1_25transform_config_selectorIsLb0EEEZNS1_14transform_implILb0ES3_S5_PsN6thrust23THRUST_200600_302600_NS6detail15normal_iteratorINS9_10device_ptrIsEEEENS0_8identityIsEEEE10hipError_tT2_T3_mT4_P12ihipStream_tbEUlT_E_NS1_11comp_targetILNS1_3genE3ELNS1_11target_archE908ELNS1_3gpuE7ELNS1_3repE0EEENS1_30default_config_static_selectorELNS0_4arch9wavefront6targetE0EEEvT1_ ; -- Begin function _ZN7rocprim17ROCPRIM_400000_NS6detail17trampoline_kernelINS0_14default_configENS1_25transform_config_selectorIsLb0EEEZNS1_14transform_implILb0ES3_S5_PsN6thrust23THRUST_200600_302600_NS6detail15normal_iteratorINS9_10device_ptrIsEEEENS0_8identityIsEEEE10hipError_tT2_T3_mT4_P12ihipStream_tbEUlT_E_NS1_11comp_targetILNS1_3genE3ELNS1_11target_archE908ELNS1_3gpuE7ELNS1_3repE0EEENS1_30default_config_static_selectorELNS0_4arch9wavefront6targetE0EEEvT1_
	.globl	_ZN7rocprim17ROCPRIM_400000_NS6detail17trampoline_kernelINS0_14default_configENS1_25transform_config_selectorIsLb0EEEZNS1_14transform_implILb0ES3_S5_PsN6thrust23THRUST_200600_302600_NS6detail15normal_iteratorINS9_10device_ptrIsEEEENS0_8identityIsEEEE10hipError_tT2_T3_mT4_P12ihipStream_tbEUlT_E_NS1_11comp_targetILNS1_3genE3ELNS1_11target_archE908ELNS1_3gpuE7ELNS1_3repE0EEENS1_30default_config_static_selectorELNS0_4arch9wavefront6targetE0EEEvT1_
	.p2align	8
	.type	_ZN7rocprim17ROCPRIM_400000_NS6detail17trampoline_kernelINS0_14default_configENS1_25transform_config_selectorIsLb0EEEZNS1_14transform_implILb0ES3_S5_PsN6thrust23THRUST_200600_302600_NS6detail15normal_iteratorINS9_10device_ptrIsEEEENS0_8identityIsEEEE10hipError_tT2_T3_mT4_P12ihipStream_tbEUlT_E_NS1_11comp_targetILNS1_3genE3ELNS1_11target_archE908ELNS1_3gpuE7ELNS1_3repE0EEENS1_30default_config_static_selectorELNS0_4arch9wavefront6targetE0EEEvT1_,@function
_ZN7rocprim17ROCPRIM_400000_NS6detail17trampoline_kernelINS0_14default_configENS1_25transform_config_selectorIsLb0EEEZNS1_14transform_implILb0ES3_S5_PsN6thrust23THRUST_200600_302600_NS6detail15normal_iteratorINS9_10device_ptrIsEEEENS0_8identityIsEEEE10hipError_tT2_T3_mT4_P12ihipStream_tbEUlT_E_NS1_11comp_targetILNS1_3genE3ELNS1_11target_archE908ELNS1_3gpuE7ELNS1_3repE0EEENS1_30default_config_static_selectorELNS0_4arch9wavefront6targetE0EEEvT1_: ; @_ZN7rocprim17ROCPRIM_400000_NS6detail17trampoline_kernelINS0_14default_configENS1_25transform_config_selectorIsLb0EEEZNS1_14transform_implILb0ES3_S5_PsN6thrust23THRUST_200600_302600_NS6detail15normal_iteratorINS9_10device_ptrIsEEEENS0_8identityIsEEEE10hipError_tT2_T3_mT4_P12ihipStream_tbEUlT_E_NS1_11comp_targetILNS1_3genE3ELNS1_11target_archE908ELNS1_3gpuE7ELNS1_3repE0EEENS1_30default_config_static_selectorELNS0_4arch9wavefront6targetE0EEEvT1_
; %bb.0:
	.section	.rodata,"a",@progbits
	.p2align	6, 0x0
	.amdhsa_kernel _ZN7rocprim17ROCPRIM_400000_NS6detail17trampoline_kernelINS0_14default_configENS1_25transform_config_selectorIsLb0EEEZNS1_14transform_implILb0ES3_S5_PsN6thrust23THRUST_200600_302600_NS6detail15normal_iteratorINS9_10device_ptrIsEEEENS0_8identityIsEEEE10hipError_tT2_T3_mT4_P12ihipStream_tbEUlT_E_NS1_11comp_targetILNS1_3genE3ELNS1_11target_archE908ELNS1_3gpuE7ELNS1_3repE0EEENS1_30default_config_static_selectorELNS0_4arch9wavefront6targetE0EEEvT1_
		.amdhsa_group_segment_fixed_size 0
		.amdhsa_private_segment_fixed_size 0
		.amdhsa_kernarg_size 40
		.amdhsa_user_sgpr_count 6
		.amdhsa_user_sgpr_private_segment_buffer 1
		.amdhsa_user_sgpr_dispatch_ptr 0
		.amdhsa_user_sgpr_queue_ptr 0
		.amdhsa_user_sgpr_kernarg_segment_ptr 1
		.amdhsa_user_sgpr_dispatch_id 0
		.amdhsa_user_sgpr_flat_scratch_init 0
		.amdhsa_user_sgpr_private_segment_size 0
		.amdhsa_wavefront_size32 1
		.amdhsa_uses_dynamic_stack 0
		.amdhsa_system_sgpr_private_segment_wavefront_offset 0
		.amdhsa_system_sgpr_workgroup_id_x 1
		.amdhsa_system_sgpr_workgroup_id_y 0
		.amdhsa_system_sgpr_workgroup_id_z 0
		.amdhsa_system_sgpr_workgroup_info 0
		.amdhsa_system_vgpr_workitem_id 0
		.amdhsa_next_free_vgpr 1
		.amdhsa_next_free_sgpr 1
		.amdhsa_reserve_vcc 0
		.amdhsa_reserve_flat_scratch 0
		.amdhsa_float_round_mode_32 0
		.amdhsa_float_round_mode_16_64 0
		.amdhsa_float_denorm_mode_32 3
		.amdhsa_float_denorm_mode_16_64 3
		.amdhsa_dx10_clamp 1
		.amdhsa_ieee_mode 1
		.amdhsa_fp16_overflow 0
		.amdhsa_workgroup_processor_mode 1
		.amdhsa_memory_ordered 1
		.amdhsa_forward_progress 1
		.amdhsa_shared_vgpr_count 0
		.amdhsa_exception_fp_ieee_invalid_op 0
		.amdhsa_exception_fp_denorm_src 0
		.amdhsa_exception_fp_ieee_div_zero 0
		.amdhsa_exception_fp_ieee_overflow 0
		.amdhsa_exception_fp_ieee_underflow 0
		.amdhsa_exception_fp_ieee_inexact 0
		.amdhsa_exception_int_div_zero 0
	.end_amdhsa_kernel
	.section	.text._ZN7rocprim17ROCPRIM_400000_NS6detail17trampoline_kernelINS0_14default_configENS1_25transform_config_selectorIsLb0EEEZNS1_14transform_implILb0ES3_S5_PsN6thrust23THRUST_200600_302600_NS6detail15normal_iteratorINS9_10device_ptrIsEEEENS0_8identityIsEEEE10hipError_tT2_T3_mT4_P12ihipStream_tbEUlT_E_NS1_11comp_targetILNS1_3genE3ELNS1_11target_archE908ELNS1_3gpuE7ELNS1_3repE0EEENS1_30default_config_static_selectorELNS0_4arch9wavefront6targetE0EEEvT1_,"axG",@progbits,_ZN7rocprim17ROCPRIM_400000_NS6detail17trampoline_kernelINS0_14default_configENS1_25transform_config_selectorIsLb0EEEZNS1_14transform_implILb0ES3_S5_PsN6thrust23THRUST_200600_302600_NS6detail15normal_iteratorINS9_10device_ptrIsEEEENS0_8identityIsEEEE10hipError_tT2_T3_mT4_P12ihipStream_tbEUlT_E_NS1_11comp_targetILNS1_3genE3ELNS1_11target_archE908ELNS1_3gpuE7ELNS1_3repE0EEENS1_30default_config_static_selectorELNS0_4arch9wavefront6targetE0EEEvT1_,comdat
.Lfunc_end575:
	.size	_ZN7rocprim17ROCPRIM_400000_NS6detail17trampoline_kernelINS0_14default_configENS1_25transform_config_selectorIsLb0EEEZNS1_14transform_implILb0ES3_S5_PsN6thrust23THRUST_200600_302600_NS6detail15normal_iteratorINS9_10device_ptrIsEEEENS0_8identityIsEEEE10hipError_tT2_T3_mT4_P12ihipStream_tbEUlT_E_NS1_11comp_targetILNS1_3genE3ELNS1_11target_archE908ELNS1_3gpuE7ELNS1_3repE0EEENS1_30default_config_static_selectorELNS0_4arch9wavefront6targetE0EEEvT1_, .Lfunc_end575-_ZN7rocprim17ROCPRIM_400000_NS6detail17trampoline_kernelINS0_14default_configENS1_25transform_config_selectorIsLb0EEEZNS1_14transform_implILb0ES3_S5_PsN6thrust23THRUST_200600_302600_NS6detail15normal_iteratorINS9_10device_ptrIsEEEENS0_8identityIsEEEE10hipError_tT2_T3_mT4_P12ihipStream_tbEUlT_E_NS1_11comp_targetILNS1_3genE3ELNS1_11target_archE908ELNS1_3gpuE7ELNS1_3repE0EEENS1_30default_config_static_selectorELNS0_4arch9wavefront6targetE0EEEvT1_
                                        ; -- End function
	.set _ZN7rocprim17ROCPRIM_400000_NS6detail17trampoline_kernelINS0_14default_configENS1_25transform_config_selectorIsLb0EEEZNS1_14transform_implILb0ES3_S5_PsN6thrust23THRUST_200600_302600_NS6detail15normal_iteratorINS9_10device_ptrIsEEEENS0_8identityIsEEEE10hipError_tT2_T3_mT4_P12ihipStream_tbEUlT_E_NS1_11comp_targetILNS1_3genE3ELNS1_11target_archE908ELNS1_3gpuE7ELNS1_3repE0EEENS1_30default_config_static_selectorELNS0_4arch9wavefront6targetE0EEEvT1_.num_vgpr, 0
	.set _ZN7rocprim17ROCPRIM_400000_NS6detail17trampoline_kernelINS0_14default_configENS1_25transform_config_selectorIsLb0EEEZNS1_14transform_implILb0ES3_S5_PsN6thrust23THRUST_200600_302600_NS6detail15normal_iteratorINS9_10device_ptrIsEEEENS0_8identityIsEEEE10hipError_tT2_T3_mT4_P12ihipStream_tbEUlT_E_NS1_11comp_targetILNS1_3genE3ELNS1_11target_archE908ELNS1_3gpuE7ELNS1_3repE0EEENS1_30default_config_static_selectorELNS0_4arch9wavefront6targetE0EEEvT1_.num_agpr, 0
	.set _ZN7rocprim17ROCPRIM_400000_NS6detail17trampoline_kernelINS0_14default_configENS1_25transform_config_selectorIsLb0EEEZNS1_14transform_implILb0ES3_S5_PsN6thrust23THRUST_200600_302600_NS6detail15normal_iteratorINS9_10device_ptrIsEEEENS0_8identityIsEEEE10hipError_tT2_T3_mT4_P12ihipStream_tbEUlT_E_NS1_11comp_targetILNS1_3genE3ELNS1_11target_archE908ELNS1_3gpuE7ELNS1_3repE0EEENS1_30default_config_static_selectorELNS0_4arch9wavefront6targetE0EEEvT1_.numbered_sgpr, 0
	.set _ZN7rocprim17ROCPRIM_400000_NS6detail17trampoline_kernelINS0_14default_configENS1_25transform_config_selectorIsLb0EEEZNS1_14transform_implILb0ES3_S5_PsN6thrust23THRUST_200600_302600_NS6detail15normal_iteratorINS9_10device_ptrIsEEEENS0_8identityIsEEEE10hipError_tT2_T3_mT4_P12ihipStream_tbEUlT_E_NS1_11comp_targetILNS1_3genE3ELNS1_11target_archE908ELNS1_3gpuE7ELNS1_3repE0EEENS1_30default_config_static_selectorELNS0_4arch9wavefront6targetE0EEEvT1_.num_named_barrier, 0
	.set _ZN7rocprim17ROCPRIM_400000_NS6detail17trampoline_kernelINS0_14default_configENS1_25transform_config_selectorIsLb0EEEZNS1_14transform_implILb0ES3_S5_PsN6thrust23THRUST_200600_302600_NS6detail15normal_iteratorINS9_10device_ptrIsEEEENS0_8identityIsEEEE10hipError_tT2_T3_mT4_P12ihipStream_tbEUlT_E_NS1_11comp_targetILNS1_3genE3ELNS1_11target_archE908ELNS1_3gpuE7ELNS1_3repE0EEENS1_30default_config_static_selectorELNS0_4arch9wavefront6targetE0EEEvT1_.private_seg_size, 0
	.set _ZN7rocprim17ROCPRIM_400000_NS6detail17trampoline_kernelINS0_14default_configENS1_25transform_config_selectorIsLb0EEEZNS1_14transform_implILb0ES3_S5_PsN6thrust23THRUST_200600_302600_NS6detail15normal_iteratorINS9_10device_ptrIsEEEENS0_8identityIsEEEE10hipError_tT2_T3_mT4_P12ihipStream_tbEUlT_E_NS1_11comp_targetILNS1_3genE3ELNS1_11target_archE908ELNS1_3gpuE7ELNS1_3repE0EEENS1_30default_config_static_selectorELNS0_4arch9wavefront6targetE0EEEvT1_.uses_vcc, 0
	.set _ZN7rocprim17ROCPRIM_400000_NS6detail17trampoline_kernelINS0_14default_configENS1_25transform_config_selectorIsLb0EEEZNS1_14transform_implILb0ES3_S5_PsN6thrust23THRUST_200600_302600_NS6detail15normal_iteratorINS9_10device_ptrIsEEEENS0_8identityIsEEEE10hipError_tT2_T3_mT4_P12ihipStream_tbEUlT_E_NS1_11comp_targetILNS1_3genE3ELNS1_11target_archE908ELNS1_3gpuE7ELNS1_3repE0EEENS1_30default_config_static_selectorELNS0_4arch9wavefront6targetE0EEEvT1_.uses_flat_scratch, 0
	.set _ZN7rocprim17ROCPRIM_400000_NS6detail17trampoline_kernelINS0_14default_configENS1_25transform_config_selectorIsLb0EEEZNS1_14transform_implILb0ES3_S5_PsN6thrust23THRUST_200600_302600_NS6detail15normal_iteratorINS9_10device_ptrIsEEEENS0_8identityIsEEEE10hipError_tT2_T3_mT4_P12ihipStream_tbEUlT_E_NS1_11comp_targetILNS1_3genE3ELNS1_11target_archE908ELNS1_3gpuE7ELNS1_3repE0EEENS1_30default_config_static_selectorELNS0_4arch9wavefront6targetE0EEEvT1_.has_dyn_sized_stack, 0
	.set _ZN7rocprim17ROCPRIM_400000_NS6detail17trampoline_kernelINS0_14default_configENS1_25transform_config_selectorIsLb0EEEZNS1_14transform_implILb0ES3_S5_PsN6thrust23THRUST_200600_302600_NS6detail15normal_iteratorINS9_10device_ptrIsEEEENS0_8identityIsEEEE10hipError_tT2_T3_mT4_P12ihipStream_tbEUlT_E_NS1_11comp_targetILNS1_3genE3ELNS1_11target_archE908ELNS1_3gpuE7ELNS1_3repE0EEENS1_30default_config_static_selectorELNS0_4arch9wavefront6targetE0EEEvT1_.has_recursion, 0
	.set _ZN7rocprim17ROCPRIM_400000_NS6detail17trampoline_kernelINS0_14default_configENS1_25transform_config_selectorIsLb0EEEZNS1_14transform_implILb0ES3_S5_PsN6thrust23THRUST_200600_302600_NS6detail15normal_iteratorINS9_10device_ptrIsEEEENS0_8identityIsEEEE10hipError_tT2_T3_mT4_P12ihipStream_tbEUlT_E_NS1_11comp_targetILNS1_3genE3ELNS1_11target_archE908ELNS1_3gpuE7ELNS1_3repE0EEENS1_30default_config_static_selectorELNS0_4arch9wavefront6targetE0EEEvT1_.has_indirect_call, 0
	.section	.AMDGPU.csdata,"",@progbits
; Kernel info:
; codeLenInByte = 0
; TotalNumSgprs: 0
; NumVgprs: 0
; ScratchSize: 0
; MemoryBound: 0
; FloatMode: 240
; IeeeMode: 1
; LDSByteSize: 0 bytes/workgroup (compile time only)
; SGPRBlocks: 0
; VGPRBlocks: 0
; NumSGPRsForWavesPerEU: 1
; NumVGPRsForWavesPerEU: 1
; Occupancy: 16
; WaveLimiterHint : 0
; COMPUTE_PGM_RSRC2:SCRATCH_EN: 0
; COMPUTE_PGM_RSRC2:USER_SGPR: 6
; COMPUTE_PGM_RSRC2:TRAP_HANDLER: 0
; COMPUTE_PGM_RSRC2:TGID_X_EN: 1
; COMPUTE_PGM_RSRC2:TGID_Y_EN: 0
; COMPUTE_PGM_RSRC2:TGID_Z_EN: 0
; COMPUTE_PGM_RSRC2:TIDIG_COMP_CNT: 0
	.section	.text._ZN7rocprim17ROCPRIM_400000_NS6detail17trampoline_kernelINS0_14default_configENS1_25transform_config_selectorIsLb0EEEZNS1_14transform_implILb0ES3_S5_PsN6thrust23THRUST_200600_302600_NS6detail15normal_iteratorINS9_10device_ptrIsEEEENS0_8identityIsEEEE10hipError_tT2_T3_mT4_P12ihipStream_tbEUlT_E_NS1_11comp_targetILNS1_3genE2ELNS1_11target_archE906ELNS1_3gpuE6ELNS1_3repE0EEENS1_30default_config_static_selectorELNS0_4arch9wavefront6targetE0EEEvT1_,"axG",@progbits,_ZN7rocprim17ROCPRIM_400000_NS6detail17trampoline_kernelINS0_14default_configENS1_25transform_config_selectorIsLb0EEEZNS1_14transform_implILb0ES3_S5_PsN6thrust23THRUST_200600_302600_NS6detail15normal_iteratorINS9_10device_ptrIsEEEENS0_8identityIsEEEE10hipError_tT2_T3_mT4_P12ihipStream_tbEUlT_E_NS1_11comp_targetILNS1_3genE2ELNS1_11target_archE906ELNS1_3gpuE6ELNS1_3repE0EEENS1_30default_config_static_selectorELNS0_4arch9wavefront6targetE0EEEvT1_,comdat
	.protected	_ZN7rocprim17ROCPRIM_400000_NS6detail17trampoline_kernelINS0_14default_configENS1_25transform_config_selectorIsLb0EEEZNS1_14transform_implILb0ES3_S5_PsN6thrust23THRUST_200600_302600_NS6detail15normal_iteratorINS9_10device_ptrIsEEEENS0_8identityIsEEEE10hipError_tT2_T3_mT4_P12ihipStream_tbEUlT_E_NS1_11comp_targetILNS1_3genE2ELNS1_11target_archE906ELNS1_3gpuE6ELNS1_3repE0EEENS1_30default_config_static_selectorELNS0_4arch9wavefront6targetE0EEEvT1_ ; -- Begin function _ZN7rocprim17ROCPRIM_400000_NS6detail17trampoline_kernelINS0_14default_configENS1_25transform_config_selectorIsLb0EEEZNS1_14transform_implILb0ES3_S5_PsN6thrust23THRUST_200600_302600_NS6detail15normal_iteratorINS9_10device_ptrIsEEEENS0_8identityIsEEEE10hipError_tT2_T3_mT4_P12ihipStream_tbEUlT_E_NS1_11comp_targetILNS1_3genE2ELNS1_11target_archE906ELNS1_3gpuE6ELNS1_3repE0EEENS1_30default_config_static_selectorELNS0_4arch9wavefront6targetE0EEEvT1_
	.globl	_ZN7rocprim17ROCPRIM_400000_NS6detail17trampoline_kernelINS0_14default_configENS1_25transform_config_selectorIsLb0EEEZNS1_14transform_implILb0ES3_S5_PsN6thrust23THRUST_200600_302600_NS6detail15normal_iteratorINS9_10device_ptrIsEEEENS0_8identityIsEEEE10hipError_tT2_T3_mT4_P12ihipStream_tbEUlT_E_NS1_11comp_targetILNS1_3genE2ELNS1_11target_archE906ELNS1_3gpuE6ELNS1_3repE0EEENS1_30default_config_static_selectorELNS0_4arch9wavefront6targetE0EEEvT1_
	.p2align	8
	.type	_ZN7rocprim17ROCPRIM_400000_NS6detail17trampoline_kernelINS0_14default_configENS1_25transform_config_selectorIsLb0EEEZNS1_14transform_implILb0ES3_S5_PsN6thrust23THRUST_200600_302600_NS6detail15normal_iteratorINS9_10device_ptrIsEEEENS0_8identityIsEEEE10hipError_tT2_T3_mT4_P12ihipStream_tbEUlT_E_NS1_11comp_targetILNS1_3genE2ELNS1_11target_archE906ELNS1_3gpuE6ELNS1_3repE0EEENS1_30default_config_static_selectorELNS0_4arch9wavefront6targetE0EEEvT1_,@function
_ZN7rocprim17ROCPRIM_400000_NS6detail17trampoline_kernelINS0_14default_configENS1_25transform_config_selectorIsLb0EEEZNS1_14transform_implILb0ES3_S5_PsN6thrust23THRUST_200600_302600_NS6detail15normal_iteratorINS9_10device_ptrIsEEEENS0_8identityIsEEEE10hipError_tT2_T3_mT4_P12ihipStream_tbEUlT_E_NS1_11comp_targetILNS1_3genE2ELNS1_11target_archE906ELNS1_3gpuE6ELNS1_3repE0EEENS1_30default_config_static_selectorELNS0_4arch9wavefront6targetE0EEEvT1_: ; @_ZN7rocprim17ROCPRIM_400000_NS6detail17trampoline_kernelINS0_14default_configENS1_25transform_config_selectorIsLb0EEEZNS1_14transform_implILb0ES3_S5_PsN6thrust23THRUST_200600_302600_NS6detail15normal_iteratorINS9_10device_ptrIsEEEENS0_8identityIsEEEE10hipError_tT2_T3_mT4_P12ihipStream_tbEUlT_E_NS1_11comp_targetILNS1_3genE2ELNS1_11target_archE906ELNS1_3gpuE6ELNS1_3repE0EEENS1_30default_config_static_selectorELNS0_4arch9wavefront6targetE0EEEvT1_
; %bb.0:
	.section	.rodata,"a",@progbits
	.p2align	6, 0x0
	.amdhsa_kernel _ZN7rocprim17ROCPRIM_400000_NS6detail17trampoline_kernelINS0_14default_configENS1_25transform_config_selectorIsLb0EEEZNS1_14transform_implILb0ES3_S5_PsN6thrust23THRUST_200600_302600_NS6detail15normal_iteratorINS9_10device_ptrIsEEEENS0_8identityIsEEEE10hipError_tT2_T3_mT4_P12ihipStream_tbEUlT_E_NS1_11comp_targetILNS1_3genE2ELNS1_11target_archE906ELNS1_3gpuE6ELNS1_3repE0EEENS1_30default_config_static_selectorELNS0_4arch9wavefront6targetE0EEEvT1_
		.amdhsa_group_segment_fixed_size 0
		.amdhsa_private_segment_fixed_size 0
		.amdhsa_kernarg_size 40
		.amdhsa_user_sgpr_count 6
		.amdhsa_user_sgpr_private_segment_buffer 1
		.amdhsa_user_sgpr_dispatch_ptr 0
		.amdhsa_user_sgpr_queue_ptr 0
		.amdhsa_user_sgpr_kernarg_segment_ptr 1
		.amdhsa_user_sgpr_dispatch_id 0
		.amdhsa_user_sgpr_flat_scratch_init 0
		.amdhsa_user_sgpr_private_segment_size 0
		.amdhsa_wavefront_size32 1
		.amdhsa_uses_dynamic_stack 0
		.amdhsa_system_sgpr_private_segment_wavefront_offset 0
		.amdhsa_system_sgpr_workgroup_id_x 1
		.amdhsa_system_sgpr_workgroup_id_y 0
		.amdhsa_system_sgpr_workgroup_id_z 0
		.amdhsa_system_sgpr_workgroup_info 0
		.amdhsa_system_vgpr_workitem_id 0
		.amdhsa_next_free_vgpr 1
		.amdhsa_next_free_sgpr 1
		.amdhsa_reserve_vcc 0
		.amdhsa_reserve_flat_scratch 0
		.amdhsa_float_round_mode_32 0
		.amdhsa_float_round_mode_16_64 0
		.amdhsa_float_denorm_mode_32 3
		.amdhsa_float_denorm_mode_16_64 3
		.amdhsa_dx10_clamp 1
		.amdhsa_ieee_mode 1
		.amdhsa_fp16_overflow 0
		.amdhsa_workgroup_processor_mode 1
		.amdhsa_memory_ordered 1
		.amdhsa_forward_progress 1
		.amdhsa_shared_vgpr_count 0
		.amdhsa_exception_fp_ieee_invalid_op 0
		.amdhsa_exception_fp_denorm_src 0
		.amdhsa_exception_fp_ieee_div_zero 0
		.amdhsa_exception_fp_ieee_overflow 0
		.amdhsa_exception_fp_ieee_underflow 0
		.amdhsa_exception_fp_ieee_inexact 0
		.amdhsa_exception_int_div_zero 0
	.end_amdhsa_kernel
	.section	.text._ZN7rocprim17ROCPRIM_400000_NS6detail17trampoline_kernelINS0_14default_configENS1_25transform_config_selectorIsLb0EEEZNS1_14transform_implILb0ES3_S5_PsN6thrust23THRUST_200600_302600_NS6detail15normal_iteratorINS9_10device_ptrIsEEEENS0_8identityIsEEEE10hipError_tT2_T3_mT4_P12ihipStream_tbEUlT_E_NS1_11comp_targetILNS1_3genE2ELNS1_11target_archE906ELNS1_3gpuE6ELNS1_3repE0EEENS1_30default_config_static_selectorELNS0_4arch9wavefront6targetE0EEEvT1_,"axG",@progbits,_ZN7rocprim17ROCPRIM_400000_NS6detail17trampoline_kernelINS0_14default_configENS1_25transform_config_selectorIsLb0EEEZNS1_14transform_implILb0ES3_S5_PsN6thrust23THRUST_200600_302600_NS6detail15normal_iteratorINS9_10device_ptrIsEEEENS0_8identityIsEEEE10hipError_tT2_T3_mT4_P12ihipStream_tbEUlT_E_NS1_11comp_targetILNS1_3genE2ELNS1_11target_archE906ELNS1_3gpuE6ELNS1_3repE0EEENS1_30default_config_static_selectorELNS0_4arch9wavefront6targetE0EEEvT1_,comdat
.Lfunc_end576:
	.size	_ZN7rocprim17ROCPRIM_400000_NS6detail17trampoline_kernelINS0_14default_configENS1_25transform_config_selectorIsLb0EEEZNS1_14transform_implILb0ES3_S5_PsN6thrust23THRUST_200600_302600_NS6detail15normal_iteratorINS9_10device_ptrIsEEEENS0_8identityIsEEEE10hipError_tT2_T3_mT4_P12ihipStream_tbEUlT_E_NS1_11comp_targetILNS1_3genE2ELNS1_11target_archE906ELNS1_3gpuE6ELNS1_3repE0EEENS1_30default_config_static_selectorELNS0_4arch9wavefront6targetE0EEEvT1_, .Lfunc_end576-_ZN7rocprim17ROCPRIM_400000_NS6detail17trampoline_kernelINS0_14default_configENS1_25transform_config_selectorIsLb0EEEZNS1_14transform_implILb0ES3_S5_PsN6thrust23THRUST_200600_302600_NS6detail15normal_iteratorINS9_10device_ptrIsEEEENS0_8identityIsEEEE10hipError_tT2_T3_mT4_P12ihipStream_tbEUlT_E_NS1_11comp_targetILNS1_3genE2ELNS1_11target_archE906ELNS1_3gpuE6ELNS1_3repE0EEENS1_30default_config_static_selectorELNS0_4arch9wavefront6targetE0EEEvT1_
                                        ; -- End function
	.set _ZN7rocprim17ROCPRIM_400000_NS6detail17trampoline_kernelINS0_14default_configENS1_25transform_config_selectorIsLb0EEEZNS1_14transform_implILb0ES3_S5_PsN6thrust23THRUST_200600_302600_NS6detail15normal_iteratorINS9_10device_ptrIsEEEENS0_8identityIsEEEE10hipError_tT2_T3_mT4_P12ihipStream_tbEUlT_E_NS1_11comp_targetILNS1_3genE2ELNS1_11target_archE906ELNS1_3gpuE6ELNS1_3repE0EEENS1_30default_config_static_selectorELNS0_4arch9wavefront6targetE0EEEvT1_.num_vgpr, 0
	.set _ZN7rocprim17ROCPRIM_400000_NS6detail17trampoline_kernelINS0_14default_configENS1_25transform_config_selectorIsLb0EEEZNS1_14transform_implILb0ES3_S5_PsN6thrust23THRUST_200600_302600_NS6detail15normal_iteratorINS9_10device_ptrIsEEEENS0_8identityIsEEEE10hipError_tT2_T3_mT4_P12ihipStream_tbEUlT_E_NS1_11comp_targetILNS1_3genE2ELNS1_11target_archE906ELNS1_3gpuE6ELNS1_3repE0EEENS1_30default_config_static_selectorELNS0_4arch9wavefront6targetE0EEEvT1_.num_agpr, 0
	.set _ZN7rocprim17ROCPRIM_400000_NS6detail17trampoline_kernelINS0_14default_configENS1_25transform_config_selectorIsLb0EEEZNS1_14transform_implILb0ES3_S5_PsN6thrust23THRUST_200600_302600_NS6detail15normal_iteratorINS9_10device_ptrIsEEEENS0_8identityIsEEEE10hipError_tT2_T3_mT4_P12ihipStream_tbEUlT_E_NS1_11comp_targetILNS1_3genE2ELNS1_11target_archE906ELNS1_3gpuE6ELNS1_3repE0EEENS1_30default_config_static_selectorELNS0_4arch9wavefront6targetE0EEEvT1_.numbered_sgpr, 0
	.set _ZN7rocprim17ROCPRIM_400000_NS6detail17trampoline_kernelINS0_14default_configENS1_25transform_config_selectorIsLb0EEEZNS1_14transform_implILb0ES3_S5_PsN6thrust23THRUST_200600_302600_NS6detail15normal_iteratorINS9_10device_ptrIsEEEENS0_8identityIsEEEE10hipError_tT2_T3_mT4_P12ihipStream_tbEUlT_E_NS1_11comp_targetILNS1_3genE2ELNS1_11target_archE906ELNS1_3gpuE6ELNS1_3repE0EEENS1_30default_config_static_selectorELNS0_4arch9wavefront6targetE0EEEvT1_.num_named_barrier, 0
	.set _ZN7rocprim17ROCPRIM_400000_NS6detail17trampoline_kernelINS0_14default_configENS1_25transform_config_selectorIsLb0EEEZNS1_14transform_implILb0ES3_S5_PsN6thrust23THRUST_200600_302600_NS6detail15normal_iteratorINS9_10device_ptrIsEEEENS0_8identityIsEEEE10hipError_tT2_T3_mT4_P12ihipStream_tbEUlT_E_NS1_11comp_targetILNS1_3genE2ELNS1_11target_archE906ELNS1_3gpuE6ELNS1_3repE0EEENS1_30default_config_static_selectorELNS0_4arch9wavefront6targetE0EEEvT1_.private_seg_size, 0
	.set _ZN7rocprim17ROCPRIM_400000_NS6detail17trampoline_kernelINS0_14default_configENS1_25transform_config_selectorIsLb0EEEZNS1_14transform_implILb0ES3_S5_PsN6thrust23THRUST_200600_302600_NS6detail15normal_iteratorINS9_10device_ptrIsEEEENS0_8identityIsEEEE10hipError_tT2_T3_mT4_P12ihipStream_tbEUlT_E_NS1_11comp_targetILNS1_3genE2ELNS1_11target_archE906ELNS1_3gpuE6ELNS1_3repE0EEENS1_30default_config_static_selectorELNS0_4arch9wavefront6targetE0EEEvT1_.uses_vcc, 0
	.set _ZN7rocprim17ROCPRIM_400000_NS6detail17trampoline_kernelINS0_14default_configENS1_25transform_config_selectorIsLb0EEEZNS1_14transform_implILb0ES3_S5_PsN6thrust23THRUST_200600_302600_NS6detail15normal_iteratorINS9_10device_ptrIsEEEENS0_8identityIsEEEE10hipError_tT2_T3_mT4_P12ihipStream_tbEUlT_E_NS1_11comp_targetILNS1_3genE2ELNS1_11target_archE906ELNS1_3gpuE6ELNS1_3repE0EEENS1_30default_config_static_selectorELNS0_4arch9wavefront6targetE0EEEvT1_.uses_flat_scratch, 0
	.set _ZN7rocprim17ROCPRIM_400000_NS6detail17trampoline_kernelINS0_14default_configENS1_25transform_config_selectorIsLb0EEEZNS1_14transform_implILb0ES3_S5_PsN6thrust23THRUST_200600_302600_NS6detail15normal_iteratorINS9_10device_ptrIsEEEENS0_8identityIsEEEE10hipError_tT2_T3_mT4_P12ihipStream_tbEUlT_E_NS1_11comp_targetILNS1_3genE2ELNS1_11target_archE906ELNS1_3gpuE6ELNS1_3repE0EEENS1_30default_config_static_selectorELNS0_4arch9wavefront6targetE0EEEvT1_.has_dyn_sized_stack, 0
	.set _ZN7rocprim17ROCPRIM_400000_NS6detail17trampoline_kernelINS0_14default_configENS1_25transform_config_selectorIsLb0EEEZNS1_14transform_implILb0ES3_S5_PsN6thrust23THRUST_200600_302600_NS6detail15normal_iteratorINS9_10device_ptrIsEEEENS0_8identityIsEEEE10hipError_tT2_T3_mT4_P12ihipStream_tbEUlT_E_NS1_11comp_targetILNS1_3genE2ELNS1_11target_archE906ELNS1_3gpuE6ELNS1_3repE0EEENS1_30default_config_static_selectorELNS0_4arch9wavefront6targetE0EEEvT1_.has_recursion, 0
	.set _ZN7rocprim17ROCPRIM_400000_NS6detail17trampoline_kernelINS0_14default_configENS1_25transform_config_selectorIsLb0EEEZNS1_14transform_implILb0ES3_S5_PsN6thrust23THRUST_200600_302600_NS6detail15normal_iteratorINS9_10device_ptrIsEEEENS0_8identityIsEEEE10hipError_tT2_T3_mT4_P12ihipStream_tbEUlT_E_NS1_11comp_targetILNS1_3genE2ELNS1_11target_archE906ELNS1_3gpuE6ELNS1_3repE0EEENS1_30default_config_static_selectorELNS0_4arch9wavefront6targetE0EEEvT1_.has_indirect_call, 0
	.section	.AMDGPU.csdata,"",@progbits
; Kernel info:
; codeLenInByte = 0
; TotalNumSgprs: 0
; NumVgprs: 0
; ScratchSize: 0
; MemoryBound: 0
; FloatMode: 240
; IeeeMode: 1
; LDSByteSize: 0 bytes/workgroup (compile time only)
; SGPRBlocks: 0
; VGPRBlocks: 0
; NumSGPRsForWavesPerEU: 1
; NumVGPRsForWavesPerEU: 1
; Occupancy: 16
; WaveLimiterHint : 0
; COMPUTE_PGM_RSRC2:SCRATCH_EN: 0
; COMPUTE_PGM_RSRC2:USER_SGPR: 6
; COMPUTE_PGM_RSRC2:TRAP_HANDLER: 0
; COMPUTE_PGM_RSRC2:TGID_X_EN: 1
; COMPUTE_PGM_RSRC2:TGID_Y_EN: 0
; COMPUTE_PGM_RSRC2:TGID_Z_EN: 0
; COMPUTE_PGM_RSRC2:TIDIG_COMP_CNT: 0
	.section	.text._ZN7rocprim17ROCPRIM_400000_NS6detail17trampoline_kernelINS0_14default_configENS1_25transform_config_selectorIsLb0EEEZNS1_14transform_implILb0ES3_S5_PsN6thrust23THRUST_200600_302600_NS6detail15normal_iteratorINS9_10device_ptrIsEEEENS0_8identityIsEEEE10hipError_tT2_T3_mT4_P12ihipStream_tbEUlT_E_NS1_11comp_targetILNS1_3genE10ELNS1_11target_archE1201ELNS1_3gpuE5ELNS1_3repE0EEENS1_30default_config_static_selectorELNS0_4arch9wavefront6targetE0EEEvT1_,"axG",@progbits,_ZN7rocprim17ROCPRIM_400000_NS6detail17trampoline_kernelINS0_14default_configENS1_25transform_config_selectorIsLb0EEEZNS1_14transform_implILb0ES3_S5_PsN6thrust23THRUST_200600_302600_NS6detail15normal_iteratorINS9_10device_ptrIsEEEENS0_8identityIsEEEE10hipError_tT2_T3_mT4_P12ihipStream_tbEUlT_E_NS1_11comp_targetILNS1_3genE10ELNS1_11target_archE1201ELNS1_3gpuE5ELNS1_3repE0EEENS1_30default_config_static_selectorELNS0_4arch9wavefront6targetE0EEEvT1_,comdat
	.protected	_ZN7rocprim17ROCPRIM_400000_NS6detail17trampoline_kernelINS0_14default_configENS1_25transform_config_selectorIsLb0EEEZNS1_14transform_implILb0ES3_S5_PsN6thrust23THRUST_200600_302600_NS6detail15normal_iteratorINS9_10device_ptrIsEEEENS0_8identityIsEEEE10hipError_tT2_T3_mT4_P12ihipStream_tbEUlT_E_NS1_11comp_targetILNS1_3genE10ELNS1_11target_archE1201ELNS1_3gpuE5ELNS1_3repE0EEENS1_30default_config_static_selectorELNS0_4arch9wavefront6targetE0EEEvT1_ ; -- Begin function _ZN7rocprim17ROCPRIM_400000_NS6detail17trampoline_kernelINS0_14default_configENS1_25transform_config_selectorIsLb0EEEZNS1_14transform_implILb0ES3_S5_PsN6thrust23THRUST_200600_302600_NS6detail15normal_iteratorINS9_10device_ptrIsEEEENS0_8identityIsEEEE10hipError_tT2_T3_mT4_P12ihipStream_tbEUlT_E_NS1_11comp_targetILNS1_3genE10ELNS1_11target_archE1201ELNS1_3gpuE5ELNS1_3repE0EEENS1_30default_config_static_selectorELNS0_4arch9wavefront6targetE0EEEvT1_
	.globl	_ZN7rocprim17ROCPRIM_400000_NS6detail17trampoline_kernelINS0_14default_configENS1_25transform_config_selectorIsLb0EEEZNS1_14transform_implILb0ES3_S5_PsN6thrust23THRUST_200600_302600_NS6detail15normal_iteratorINS9_10device_ptrIsEEEENS0_8identityIsEEEE10hipError_tT2_T3_mT4_P12ihipStream_tbEUlT_E_NS1_11comp_targetILNS1_3genE10ELNS1_11target_archE1201ELNS1_3gpuE5ELNS1_3repE0EEENS1_30default_config_static_selectorELNS0_4arch9wavefront6targetE0EEEvT1_
	.p2align	8
	.type	_ZN7rocprim17ROCPRIM_400000_NS6detail17trampoline_kernelINS0_14default_configENS1_25transform_config_selectorIsLb0EEEZNS1_14transform_implILb0ES3_S5_PsN6thrust23THRUST_200600_302600_NS6detail15normal_iteratorINS9_10device_ptrIsEEEENS0_8identityIsEEEE10hipError_tT2_T3_mT4_P12ihipStream_tbEUlT_E_NS1_11comp_targetILNS1_3genE10ELNS1_11target_archE1201ELNS1_3gpuE5ELNS1_3repE0EEENS1_30default_config_static_selectorELNS0_4arch9wavefront6targetE0EEEvT1_,@function
_ZN7rocprim17ROCPRIM_400000_NS6detail17trampoline_kernelINS0_14default_configENS1_25transform_config_selectorIsLb0EEEZNS1_14transform_implILb0ES3_S5_PsN6thrust23THRUST_200600_302600_NS6detail15normal_iteratorINS9_10device_ptrIsEEEENS0_8identityIsEEEE10hipError_tT2_T3_mT4_P12ihipStream_tbEUlT_E_NS1_11comp_targetILNS1_3genE10ELNS1_11target_archE1201ELNS1_3gpuE5ELNS1_3repE0EEENS1_30default_config_static_selectorELNS0_4arch9wavefront6targetE0EEEvT1_: ; @_ZN7rocprim17ROCPRIM_400000_NS6detail17trampoline_kernelINS0_14default_configENS1_25transform_config_selectorIsLb0EEEZNS1_14transform_implILb0ES3_S5_PsN6thrust23THRUST_200600_302600_NS6detail15normal_iteratorINS9_10device_ptrIsEEEENS0_8identityIsEEEE10hipError_tT2_T3_mT4_P12ihipStream_tbEUlT_E_NS1_11comp_targetILNS1_3genE10ELNS1_11target_archE1201ELNS1_3gpuE5ELNS1_3repE0EEENS1_30default_config_static_selectorELNS0_4arch9wavefront6targetE0EEEvT1_
; %bb.0:
	.section	.rodata,"a",@progbits
	.p2align	6, 0x0
	.amdhsa_kernel _ZN7rocprim17ROCPRIM_400000_NS6detail17trampoline_kernelINS0_14default_configENS1_25transform_config_selectorIsLb0EEEZNS1_14transform_implILb0ES3_S5_PsN6thrust23THRUST_200600_302600_NS6detail15normal_iteratorINS9_10device_ptrIsEEEENS0_8identityIsEEEE10hipError_tT2_T3_mT4_P12ihipStream_tbEUlT_E_NS1_11comp_targetILNS1_3genE10ELNS1_11target_archE1201ELNS1_3gpuE5ELNS1_3repE0EEENS1_30default_config_static_selectorELNS0_4arch9wavefront6targetE0EEEvT1_
		.amdhsa_group_segment_fixed_size 0
		.amdhsa_private_segment_fixed_size 0
		.amdhsa_kernarg_size 40
		.amdhsa_user_sgpr_count 6
		.amdhsa_user_sgpr_private_segment_buffer 1
		.amdhsa_user_sgpr_dispatch_ptr 0
		.amdhsa_user_sgpr_queue_ptr 0
		.amdhsa_user_sgpr_kernarg_segment_ptr 1
		.amdhsa_user_sgpr_dispatch_id 0
		.amdhsa_user_sgpr_flat_scratch_init 0
		.amdhsa_user_sgpr_private_segment_size 0
		.amdhsa_wavefront_size32 1
		.amdhsa_uses_dynamic_stack 0
		.amdhsa_system_sgpr_private_segment_wavefront_offset 0
		.amdhsa_system_sgpr_workgroup_id_x 1
		.amdhsa_system_sgpr_workgroup_id_y 0
		.amdhsa_system_sgpr_workgroup_id_z 0
		.amdhsa_system_sgpr_workgroup_info 0
		.amdhsa_system_vgpr_workitem_id 0
		.amdhsa_next_free_vgpr 1
		.amdhsa_next_free_sgpr 1
		.amdhsa_reserve_vcc 0
		.amdhsa_reserve_flat_scratch 0
		.amdhsa_float_round_mode_32 0
		.amdhsa_float_round_mode_16_64 0
		.amdhsa_float_denorm_mode_32 3
		.amdhsa_float_denorm_mode_16_64 3
		.amdhsa_dx10_clamp 1
		.amdhsa_ieee_mode 1
		.amdhsa_fp16_overflow 0
		.amdhsa_workgroup_processor_mode 1
		.amdhsa_memory_ordered 1
		.amdhsa_forward_progress 1
		.amdhsa_shared_vgpr_count 0
		.amdhsa_exception_fp_ieee_invalid_op 0
		.amdhsa_exception_fp_denorm_src 0
		.amdhsa_exception_fp_ieee_div_zero 0
		.amdhsa_exception_fp_ieee_overflow 0
		.amdhsa_exception_fp_ieee_underflow 0
		.amdhsa_exception_fp_ieee_inexact 0
		.amdhsa_exception_int_div_zero 0
	.end_amdhsa_kernel
	.section	.text._ZN7rocprim17ROCPRIM_400000_NS6detail17trampoline_kernelINS0_14default_configENS1_25transform_config_selectorIsLb0EEEZNS1_14transform_implILb0ES3_S5_PsN6thrust23THRUST_200600_302600_NS6detail15normal_iteratorINS9_10device_ptrIsEEEENS0_8identityIsEEEE10hipError_tT2_T3_mT4_P12ihipStream_tbEUlT_E_NS1_11comp_targetILNS1_3genE10ELNS1_11target_archE1201ELNS1_3gpuE5ELNS1_3repE0EEENS1_30default_config_static_selectorELNS0_4arch9wavefront6targetE0EEEvT1_,"axG",@progbits,_ZN7rocprim17ROCPRIM_400000_NS6detail17trampoline_kernelINS0_14default_configENS1_25transform_config_selectorIsLb0EEEZNS1_14transform_implILb0ES3_S5_PsN6thrust23THRUST_200600_302600_NS6detail15normal_iteratorINS9_10device_ptrIsEEEENS0_8identityIsEEEE10hipError_tT2_T3_mT4_P12ihipStream_tbEUlT_E_NS1_11comp_targetILNS1_3genE10ELNS1_11target_archE1201ELNS1_3gpuE5ELNS1_3repE0EEENS1_30default_config_static_selectorELNS0_4arch9wavefront6targetE0EEEvT1_,comdat
.Lfunc_end577:
	.size	_ZN7rocprim17ROCPRIM_400000_NS6detail17trampoline_kernelINS0_14default_configENS1_25transform_config_selectorIsLb0EEEZNS1_14transform_implILb0ES3_S5_PsN6thrust23THRUST_200600_302600_NS6detail15normal_iteratorINS9_10device_ptrIsEEEENS0_8identityIsEEEE10hipError_tT2_T3_mT4_P12ihipStream_tbEUlT_E_NS1_11comp_targetILNS1_3genE10ELNS1_11target_archE1201ELNS1_3gpuE5ELNS1_3repE0EEENS1_30default_config_static_selectorELNS0_4arch9wavefront6targetE0EEEvT1_, .Lfunc_end577-_ZN7rocprim17ROCPRIM_400000_NS6detail17trampoline_kernelINS0_14default_configENS1_25transform_config_selectorIsLb0EEEZNS1_14transform_implILb0ES3_S5_PsN6thrust23THRUST_200600_302600_NS6detail15normal_iteratorINS9_10device_ptrIsEEEENS0_8identityIsEEEE10hipError_tT2_T3_mT4_P12ihipStream_tbEUlT_E_NS1_11comp_targetILNS1_3genE10ELNS1_11target_archE1201ELNS1_3gpuE5ELNS1_3repE0EEENS1_30default_config_static_selectorELNS0_4arch9wavefront6targetE0EEEvT1_
                                        ; -- End function
	.set _ZN7rocprim17ROCPRIM_400000_NS6detail17trampoline_kernelINS0_14default_configENS1_25transform_config_selectorIsLb0EEEZNS1_14transform_implILb0ES3_S5_PsN6thrust23THRUST_200600_302600_NS6detail15normal_iteratorINS9_10device_ptrIsEEEENS0_8identityIsEEEE10hipError_tT2_T3_mT4_P12ihipStream_tbEUlT_E_NS1_11comp_targetILNS1_3genE10ELNS1_11target_archE1201ELNS1_3gpuE5ELNS1_3repE0EEENS1_30default_config_static_selectorELNS0_4arch9wavefront6targetE0EEEvT1_.num_vgpr, 0
	.set _ZN7rocprim17ROCPRIM_400000_NS6detail17trampoline_kernelINS0_14default_configENS1_25transform_config_selectorIsLb0EEEZNS1_14transform_implILb0ES3_S5_PsN6thrust23THRUST_200600_302600_NS6detail15normal_iteratorINS9_10device_ptrIsEEEENS0_8identityIsEEEE10hipError_tT2_T3_mT4_P12ihipStream_tbEUlT_E_NS1_11comp_targetILNS1_3genE10ELNS1_11target_archE1201ELNS1_3gpuE5ELNS1_3repE0EEENS1_30default_config_static_selectorELNS0_4arch9wavefront6targetE0EEEvT1_.num_agpr, 0
	.set _ZN7rocprim17ROCPRIM_400000_NS6detail17trampoline_kernelINS0_14default_configENS1_25transform_config_selectorIsLb0EEEZNS1_14transform_implILb0ES3_S5_PsN6thrust23THRUST_200600_302600_NS6detail15normal_iteratorINS9_10device_ptrIsEEEENS0_8identityIsEEEE10hipError_tT2_T3_mT4_P12ihipStream_tbEUlT_E_NS1_11comp_targetILNS1_3genE10ELNS1_11target_archE1201ELNS1_3gpuE5ELNS1_3repE0EEENS1_30default_config_static_selectorELNS0_4arch9wavefront6targetE0EEEvT1_.numbered_sgpr, 0
	.set _ZN7rocprim17ROCPRIM_400000_NS6detail17trampoline_kernelINS0_14default_configENS1_25transform_config_selectorIsLb0EEEZNS1_14transform_implILb0ES3_S5_PsN6thrust23THRUST_200600_302600_NS6detail15normal_iteratorINS9_10device_ptrIsEEEENS0_8identityIsEEEE10hipError_tT2_T3_mT4_P12ihipStream_tbEUlT_E_NS1_11comp_targetILNS1_3genE10ELNS1_11target_archE1201ELNS1_3gpuE5ELNS1_3repE0EEENS1_30default_config_static_selectorELNS0_4arch9wavefront6targetE0EEEvT1_.num_named_barrier, 0
	.set _ZN7rocprim17ROCPRIM_400000_NS6detail17trampoline_kernelINS0_14default_configENS1_25transform_config_selectorIsLb0EEEZNS1_14transform_implILb0ES3_S5_PsN6thrust23THRUST_200600_302600_NS6detail15normal_iteratorINS9_10device_ptrIsEEEENS0_8identityIsEEEE10hipError_tT2_T3_mT4_P12ihipStream_tbEUlT_E_NS1_11comp_targetILNS1_3genE10ELNS1_11target_archE1201ELNS1_3gpuE5ELNS1_3repE0EEENS1_30default_config_static_selectorELNS0_4arch9wavefront6targetE0EEEvT1_.private_seg_size, 0
	.set _ZN7rocprim17ROCPRIM_400000_NS6detail17trampoline_kernelINS0_14default_configENS1_25transform_config_selectorIsLb0EEEZNS1_14transform_implILb0ES3_S5_PsN6thrust23THRUST_200600_302600_NS6detail15normal_iteratorINS9_10device_ptrIsEEEENS0_8identityIsEEEE10hipError_tT2_T3_mT4_P12ihipStream_tbEUlT_E_NS1_11comp_targetILNS1_3genE10ELNS1_11target_archE1201ELNS1_3gpuE5ELNS1_3repE0EEENS1_30default_config_static_selectorELNS0_4arch9wavefront6targetE0EEEvT1_.uses_vcc, 0
	.set _ZN7rocprim17ROCPRIM_400000_NS6detail17trampoline_kernelINS0_14default_configENS1_25transform_config_selectorIsLb0EEEZNS1_14transform_implILb0ES3_S5_PsN6thrust23THRUST_200600_302600_NS6detail15normal_iteratorINS9_10device_ptrIsEEEENS0_8identityIsEEEE10hipError_tT2_T3_mT4_P12ihipStream_tbEUlT_E_NS1_11comp_targetILNS1_3genE10ELNS1_11target_archE1201ELNS1_3gpuE5ELNS1_3repE0EEENS1_30default_config_static_selectorELNS0_4arch9wavefront6targetE0EEEvT1_.uses_flat_scratch, 0
	.set _ZN7rocprim17ROCPRIM_400000_NS6detail17trampoline_kernelINS0_14default_configENS1_25transform_config_selectorIsLb0EEEZNS1_14transform_implILb0ES3_S5_PsN6thrust23THRUST_200600_302600_NS6detail15normal_iteratorINS9_10device_ptrIsEEEENS0_8identityIsEEEE10hipError_tT2_T3_mT4_P12ihipStream_tbEUlT_E_NS1_11comp_targetILNS1_3genE10ELNS1_11target_archE1201ELNS1_3gpuE5ELNS1_3repE0EEENS1_30default_config_static_selectorELNS0_4arch9wavefront6targetE0EEEvT1_.has_dyn_sized_stack, 0
	.set _ZN7rocprim17ROCPRIM_400000_NS6detail17trampoline_kernelINS0_14default_configENS1_25transform_config_selectorIsLb0EEEZNS1_14transform_implILb0ES3_S5_PsN6thrust23THRUST_200600_302600_NS6detail15normal_iteratorINS9_10device_ptrIsEEEENS0_8identityIsEEEE10hipError_tT2_T3_mT4_P12ihipStream_tbEUlT_E_NS1_11comp_targetILNS1_3genE10ELNS1_11target_archE1201ELNS1_3gpuE5ELNS1_3repE0EEENS1_30default_config_static_selectorELNS0_4arch9wavefront6targetE0EEEvT1_.has_recursion, 0
	.set _ZN7rocprim17ROCPRIM_400000_NS6detail17trampoline_kernelINS0_14default_configENS1_25transform_config_selectorIsLb0EEEZNS1_14transform_implILb0ES3_S5_PsN6thrust23THRUST_200600_302600_NS6detail15normal_iteratorINS9_10device_ptrIsEEEENS0_8identityIsEEEE10hipError_tT2_T3_mT4_P12ihipStream_tbEUlT_E_NS1_11comp_targetILNS1_3genE10ELNS1_11target_archE1201ELNS1_3gpuE5ELNS1_3repE0EEENS1_30default_config_static_selectorELNS0_4arch9wavefront6targetE0EEEvT1_.has_indirect_call, 0
	.section	.AMDGPU.csdata,"",@progbits
; Kernel info:
; codeLenInByte = 0
; TotalNumSgprs: 0
; NumVgprs: 0
; ScratchSize: 0
; MemoryBound: 0
; FloatMode: 240
; IeeeMode: 1
; LDSByteSize: 0 bytes/workgroup (compile time only)
; SGPRBlocks: 0
; VGPRBlocks: 0
; NumSGPRsForWavesPerEU: 1
; NumVGPRsForWavesPerEU: 1
; Occupancy: 16
; WaveLimiterHint : 0
; COMPUTE_PGM_RSRC2:SCRATCH_EN: 0
; COMPUTE_PGM_RSRC2:USER_SGPR: 6
; COMPUTE_PGM_RSRC2:TRAP_HANDLER: 0
; COMPUTE_PGM_RSRC2:TGID_X_EN: 1
; COMPUTE_PGM_RSRC2:TGID_Y_EN: 0
; COMPUTE_PGM_RSRC2:TGID_Z_EN: 0
; COMPUTE_PGM_RSRC2:TIDIG_COMP_CNT: 0
	.section	.text._ZN7rocprim17ROCPRIM_400000_NS6detail17trampoline_kernelINS0_14default_configENS1_25transform_config_selectorIsLb0EEEZNS1_14transform_implILb0ES3_S5_PsN6thrust23THRUST_200600_302600_NS6detail15normal_iteratorINS9_10device_ptrIsEEEENS0_8identityIsEEEE10hipError_tT2_T3_mT4_P12ihipStream_tbEUlT_E_NS1_11comp_targetILNS1_3genE10ELNS1_11target_archE1200ELNS1_3gpuE4ELNS1_3repE0EEENS1_30default_config_static_selectorELNS0_4arch9wavefront6targetE0EEEvT1_,"axG",@progbits,_ZN7rocprim17ROCPRIM_400000_NS6detail17trampoline_kernelINS0_14default_configENS1_25transform_config_selectorIsLb0EEEZNS1_14transform_implILb0ES3_S5_PsN6thrust23THRUST_200600_302600_NS6detail15normal_iteratorINS9_10device_ptrIsEEEENS0_8identityIsEEEE10hipError_tT2_T3_mT4_P12ihipStream_tbEUlT_E_NS1_11comp_targetILNS1_3genE10ELNS1_11target_archE1200ELNS1_3gpuE4ELNS1_3repE0EEENS1_30default_config_static_selectorELNS0_4arch9wavefront6targetE0EEEvT1_,comdat
	.protected	_ZN7rocprim17ROCPRIM_400000_NS6detail17trampoline_kernelINS0_14default_configENS1_25transform_config_selectorIsLb0EEEZNS1_14transform_implILb0ES3_S5_PsN6thrust23THRUST_200600_302600_NS6detail15normal_iteratorINS9_10device_ptrIsEEEENS0_8identityIsEEEE10hipError_tT2_T3_mT4_P12ihipStream_tbEUlT_E_NS1_11comp_targetILNS1_3genE10ELNS1_11target_archE1200ELNS1_3gpuE4ELNS1_3repE0EEENS1_30default_config_static_selectorELNS0_4arch9wavefront6targetE0EEEvT1_ ; -- Begin function _ZN7rocprim17ROCPRIM_400000_NS6detail17trampoline_kernelINS0_14default_configENS1_25transform_config_selectorIsLb0EEEZNS1_14transform_implILb0ES3_S5_PsN6thrust23THRUST_200600_302600_NS6detail15normal_iteratorINS9_10device_ptrIsEEEENS0_8identityIsEEEE10hipError_tT2_T3_mT4_P12ihipStream_tbEUlT_E_NS1_11comp_targetILNS1_3genE10ELNS1_11target_archE1200ELNS1_3gpuE4ELNS1_3repE0EEENS1_30default_config_static_selectorELNS0_4arch9wavefront6targetE0EEEvT1_
	.globl	_ZN7rocprim17ROCPRIM_400000_NS6detail17trampoline_kernelINS0_14default_configENS1_25transform_config_selectorIsLb0EEEZNS1_14transform_implILb0ES3_S5_PsN6thrust23THRUST_200600_302600_NS6detail15normal_iteratorINS9_10device_ptrIsEEEENS0_8identityIsEEEE10hipError_tT2_T3_mT4_P12ihipStream_tbEUlT_E_NS1_11comp_targetILNS1_3genE10ELNS1_11target_archE1200ELNS1_3gpuE4ELNS1_3repE0EEENS1_30default_config_static_selectorELNS0_4arch9wavefront6targetE0EEEvT1_
	.p2align	8
	.type	_ZN7rocprim17ROCPRIM_400000_NS6detail17trampoline_kernelINS0_14default_configENS1_25transform_config_selectorIsLb0EEEZNS1_14transform_implILb0ES3_S5_PsN6thrust23THRUST_200600_302600_NS6detail15normal_iteratorINS9_10device_ptrIsEEEENS0_8identityIsEEEE10hipError_tT2_T3_mT4_P12ihipStream_tbEUlT_E_NS1_11comp_targetILNS1_3genE10ELNS1_11target_archE1200ELNS1_3gpuE4ELNS1_3repE0EEENS1_30default_config_static_selectorELNS0_4arch9wavefront6targetE0EEEvT1_,@function
_ZN7rocprim17ROCPRIM_400000_NS6detail17trampoline_kernelINS0_14default_configENS1_25transform_config_selectorIsLb0EEEZNS1_14transform_implILb0ES3_S5_PsN6thrust23THRUST_200600_302600_NS6detail15normal_iteratorINS9_10device_ptrIsEEEENS0_8identityIsEEEE10hipError_tT2_T3_mT4_P12ihipStream_tbEUlT_E_NS1_11comp_targetILNS1_3genE10ELNS1_11target_archE1200ELNS1_3gpuE4ELNS1_3repE0EEENS1_30default_config_static_selectorELNS0_4arch9wavefront6targetE0EEEvT1_: ; @_ZN7rocprim17ROCPRIM_400000_NS6detail17trampoline_kernelINS0_14default_configENS1_25transform_config_selectorIsLb0EEEZNS1_14transform_implILb0ES3_S5_PsN6thrust23THRUST_200600_302600_NS6detail15normal_iteratorINS9_10device_ptrIsEEEENS0_8identityIsEEEE10hipError_tT2_T3_mT4_P12ihipStream_tbEUlT_E_NS1_11comp_targetILNS1_3genE10ELNS1_11target_archE1200ELNS1_3gpuE4ELNS1_3repE0EEENS1_30default_config_static_selectorELNS0_4arch9wavefront6targetE0EEEvT1_
; %bb.0:
	.section	.rodata,"a",@progbits
	.p2align	6, 0x0
	.amdhsa_kernel _ZN7rocprim17ROCPRIM_400000_NS6detail17trampoline_kernelINS0_14default_configENS1_25transform_config_selectorIsLb0EEEZNS1_14transform_implILb0ES3_S5_PsN6thrust23THRUST_200600_302600_NS6detail15normal_iteratorINS9_10device_ptrIsEEEENS0_8identityIsEEEE10hipError_tT2_T3_mT4_P12ihipStream_tbEUlT_E_NS1_11comp_targetILNS1_3genE10ELNS1_11target_archE1200ELNS1_3gpuE4ELNS1_3repE0EEENS1_30default_config_static_selectorELNS0_4arch9wavefront6targetE0EEEvT1_
		.amdhsa_group_segment_fixed_size 0
		.amdhsa_private_segment_fixed_size 0
		.amdhsa_kernarg_size 40
		.amdhsa_user_sgpr_count 6
		.amdhsa_user_sgpr_private_segment_buffer 1
		.amdhsa_user_sgpr_dispatch_ptr 0
		.amdhsa_user_sgpr_queue_ptr 0
		.amdhsa_user_sgpr_kernarg_segment_ptr 1
		.amdhsa_user_sgpr_dispatch_id 0
		.amdhsa_user_sgpr_flat_scratch_init 0
		.amdhsa_user_sgpr_private_segment_size 0
		.amdhsa_wavefront_size32 1
		.amdhsa_uses_dynamic_stack 0
		.amdhsa_system_sgpr_private_segment_wavefront_offset 0
		.amdhsa_system_sgpr_workgroup_id_x 1
		.amdhsa_system_sgpr_workgroup_id_y 0
		.amdhsa_system_sgpr_workgroup_id_z 0
		.amdhsa_system_sgpr_workgroup_info 0
		.amdhsa_system_vgpr_workitem_id 0
		.amdhsa_next_free_vgpr 1
		.amdhsa_next_free_sgpr 1
		.amdhsa_reserve_vcc 0
		.amdhsa_reserve_flat_scratch 0
		.amdhsa_float_round_mode_32 0
		.amdhsa_float_round_mode_16_64 0
		.amdhsa_float_denorm_mode_32 3
		.amdhsa_float_denorm_mode_16_64 3
		.amdhsa_dx10_clamp 1
		.amdhsa_ieee_mode 1
		.amdhsa_fp16_overflow 0
		.amdhsa_workgroup_processor_mode 1
		.amdhsa_memory_ordered 1
		.amdhsa_forward_progress 1
		.amdhsa_shared_vgpr_count 0
		.amdhsa_exception_fp_ieee_invalid_op 0
		.amdhsa_exception_fp_denorm_src 0
		.amdhsa_exception_fp_ieee_div_zero 0
		.amdhsa_exception_fp_ieee_overflow 0
		.amdhsa_exception_fp_ieee_underflow 0
		.amdhsa_exception_fp_ieee_inexact 0
		.amdhsa_exception_int_div_zero 0
	.end_amdhsa_kernel
	.section	.text._ZN7rocprim17ROCPRIM_400000_NS6detail17trampoline_kernelINS0_14default_configENS1_25transform_config_selectorIsLb0EEEZNS1_14transform_implILb0ES3_S5_PsN6thrust23THRUST_200600_302600_NS6detail15normal_iteratorINS9_10device_ptrIsEEEENS0_8identityIsEEEE10hipError_tT2_T3_mT4_P12ihipStream_tbEUlT_E_NS1_11comp_targetILNS1_3genE10ELNS1_11target_archE1200ELNS1_3gpuE4ELNS1_3repE0EEENS1_30default_config_static_selectorELNS0_4arch9wavefront6targetE0EEEvT1_,"axG",@progbits,_ZN7rocprim17ROCPRIM_400000_NS6detail17trampoline_kernelINS0_14default_configENS1_25transform_config_selectorIsLb0EEEZNS1_14transform_implILb0ES3_S5_PsN6thrust23THRUST_200600_302600_NS6detail15normal_iteratorINS9_10device_ptrIsEEEENS0_8identityIsEEEE10hipError_tT2_T3_mT4_P12ihipStream_tbEUlT_E_NS1_11comp_targetILNS1_3genE10ELNS1_11target_archE1200ELNS1_3gpuE4ELNS1_3repE0EEENS1_30default_config_static_selectorELNS0_4arch9wavefront6targetE0EEEvT1_,comdat
.Lfunc_end578:
	.size	_ZN7rocprim17ROCPRIM_400000_NS6detail17trampoline_kernelINS0_14default_configENS1_25transform_config_selectorIsLb0EEEZNS1_14transform_implILb0ES3_S5_PsN6thrust23THRUST_200600_302600_NS6detail15normal_iteratorINS9_10device_ptrIsEEEENS0_8identityIsEEEE10hipError_tT2_T3_mT4_P12ihipStream_tbEUlT_E_NS1_11comp_targetILNS1_3genE10ELNS1_11target_archE1200ELNS1_3gpuE4ELNS1_3repE0EEENS1_30default_config_static_selectorELNS0_4arch9wavefront6targetE0EEEvT1_, .Lfunc_end578-_ZN7rocprim17ROCPRIM_400000_NS6detail17trampoline_kernelINS0_14default_configENS1_25transform_config_selectorIsLb0EEEZNS1_14transform_implILb0ES3_S5_PsN6thrust23THRUST_200600_302600_NS6detail15normal_iteratorINS9_10device_ptrIsEEEENS0_8identityIsEEEE10hipError_tT2_T3_mT4_P12ihipStream_tbEUlT_E_NS1_11comp_targetILNS1_3genE10ELNS1_11target_archE1200ELNS1_3gpuE4ELNS1_3repE0EEENS1_30default_config_static_selectorELNS0_4arch9wavefront6targetE0EEEvT1_
                                        ; -- End function
	.set _ZN7rocprim17ROCPRIM_400000_NS6detail17trampoline_kernelINS0_14default_configENS1_25transform_config_selectorIsLb0EEEZNS1_14transform_implILb0ES3_S5_PsN6thrust23THRUST_200600_302600_NS6detail15normal_iteratorINS9_10device_ptrIsEEEENS0_8identityIsEEEE10hipError_tT2_T3_mT4_P12ihipStream_tbEUlT_E_NS1_11comp_targetILNS1_3genE10ELNS1_11target_archE1200ELNS1_3gpuE4ELNS1_3repE0EEENS1_30default_config_static_selectorELNS0_4arch9wavefront6targetE0EEEvT1_.num_vgpr, 0
	.set _ZN7rocprim17ROCPRIM_400000_NS6detail17trampoline_kernelINS0_14default_configENS1_25transform_config_selectorIsLb0EEEZNS1_14transform_implILb0ES3_S5_PsN6thrust23THRUST_200600_302600_NS6detail15normal_iteratorINS9_10device_ptrIsEEEENS0_8identityIsEEEE10hipError_tT2_T3_mT4_P12ihipStream_tbEUlT_E_NS1_11comp_targetILNS1_3genE10ELNS1_11target_archE1200ELNS1_3gpuE4ELNS1_3repE0EEENS1_30default_config_static_selectorELNS0_4arch9wavefront6targetE0EEEvT1_.num_agpr, 0
	.set _ZN7rocprim17ROCPRIM_400000_NS6detail17trampoline_kernelINS0_14default_configENS1_25transform_config_selectorIsLb0EEEZNS1_14transform_implILb0ES3_S5_PsN6thrust23THRUST_200600_302600_NS6detail15normal_iteratorINS9_10device_ptrIsEEEENS0_8identityIsEEEE10hipError_tT2_T3_mT4_P12ihipStream_tbEUlT_E_NS1_11comp_targetILNS1_3genE10ELNS1_11target_archE1200ELNS1_3gpuE4ELNS1_3repE0EEENS1_30default_config_static_selectorELNS0_4arch9wavefront6targetE0EEEvT1_.numbered_sgpr, 0
	.set _ZN7rocprim17ROCPRIM_400000_NS6detail17trampoline_kernelINS0_14default_configENS1_25transform_config_selectorIsLb0EEEZNS1_14transform_implILb0ES3_S5_PsN6thrust23THRUST_200600_302600_NS6detail15normal_iteratorINS9_10device_ptrIsEEEENS0_8identityIsEEEE10hipError_tT2_T3_mT4_P12ihipStream_tbEUlT_E_NS1_11comp_targetILNS1_3genE10ELNS1_11target_archE1200ELNS1_3gpuE4ELNS1_3repE0EEENS1_30default_config_static_selectorELNS0_4arch9wavefront6targetE0EEEvT1_.num_named_barrier, 0
	.set _ZN7rocprim17ROCPRIM_400000_NS6detail17trampoline_kernelINS0_14default_configENS1_25transform_config_selectorIsLb0EEEZNS1_14transform_implILb0ES3_S5_PsN6thrust23THRUST_200600_302600_NS6detail15normal_iteratorINS9_10device_ptrIsEEEENS0_8identityIsEEEE10hipError_tT2_T3_mT4_P12ihipStream_tbEUlT_E_NS1_11comp_targetILNS1_3genE10ELNS1_11target_archE1200ELNS1_3gpuE4ELNS1_3repE0EEENS1_30default_config_static_selectorELNS0_4arch9wavefront6targetE0EEEvT1_.private_seg_size, 0
	.set _ZN7rocprim17ROCPRIM_400000_NS6detail17trampoline_kernelINS0_14default_configENS1_25transform_config_selectorIsLb0EEEZNS1_14transform_implILb0ES3_S5_PsN6thrust23THRUST_200600_302600_NS6detail15normal_iteratorINS9_10device_ptrIsEEEENS0_8identityIsEEEE10hipError_tT2_T3_mT4_P12ihipStream_tbEUlT_E_NS1_11comp_targetILNS1_3genE10ELNS1_11target_archE1200ELNS1_3gpuE4ELNS1_3repE0EEENS1_30default_config_static_selectorELNS0_4arch9wavefront6targetE0EEEvT1_.uses_vcc, 0
	.set _ZN7rocprim17ROCPRIM_400000_NS6detail17trampoline_kernelINS0_14default_configENS1_25transform_config_selectorIsLb0EEEZNS1_14transform_implILb0ES3_S5_PsN6thrust23THRUST_200600_302600_NS6detail15normal_iteratorINS9_10device_ptrIsEEEENS0_8identityIsEEEE10hipError_tT2_T3_mT4_P12ihipStream_tbEUlT_E_NS1_11comp_targetILNS1_3genE10ELNS1_11target_archE1200ELNS1_3gpuE4ELNS1_3repE0EEENS1_30default_config_static_selectorELNS0_4arch9wavefront6targetE0EEEvT1_.uses_flat_scratch, 0
	.set _ZN7rocprim17ROCPRIM_400000_NS6detail17trampoline_kernelINS0_14default_configENS1_25transform_config_selectorIsLb0EEEZNS1_14transform_implILb0ES3_S5_PsN6thrust23THRUST_200600_302600_NS6detail15normal_iteratorINS9_10device_ptrIsEEEENS0_8identityIsEEEE10hipError_tT2_T3_mT4_P12ihipStream_tbEUlT_E_NS1_11comp_targetILNS1_3genE10ELNS1_11target_archE1200ELNS1_3gpuE4ELNS1_3repE0EEENS1_30default_config_static_selectorELNS0_4arch9wavefront6targetE0EEEvT1_.has_dyn_sized_stack, 0
	.set _ZN7rocprim17ROCPRIM_400000_NS6detail17trampoline_kernelINS0_14default_configENS1_25transform_config_selectorIsLb0EEEZNS1_14transform_implILb0ES3_S5_PsN6thrust23THRUST_200600_302600_NS6detail15normal_iteratorINS9_10device_ptrIsEEEENS0_8identityIsEEEE10hipError_tT2_T3_mT4_P12ihipStream_tbEUlT_E_NS1_11comp_targetILNS1_3genE10ELNS1_11target_archE1200ELNS1_3gpuE4ELNS1_3repE0EEENS1_30default_config_static_selectorELNS0_4arch9wavefront6targetE0EEEvT1_.has_recursion, 0
	.set _ZN7rocprim17ROCPRIM_400000_NS6detail17trampoline_kernelINS0_14default_configENS1_25transform_config_selectorIsLb0EEEZNS1_14transform_implILb0ES3_S5_PsN6thrust23THRUST_200600_302600_NS6detail15normal_iteratorINS9_10device_ptrIsEEEENS0_8identityIsEEEE10hipError_tT2_T3_mT4_P12ihipStream_tbEUlT_E_NS1_11comp_targetILNS1_3genE10ELNS1_11target_archE1200ELNS1_3gpuE4ELNS1_3repE0EEENS1_30default_config_static_selectorELNS0_4arch9wavefront6targetE0EEEvT1_.has_indirect_call, 0
	.section	.AMDGPU.csdata,"",@progbits
; Kernel info:
; codeLenInByte = 0
; TotalNumSgprs: 0
; NumVgprs: 0
; ScratchSize: 0
; MemoryBound: 0
; FloatMode: 240
; IeeeMode: 1
; LDSByteSize: 0 bytes/workgroup (compile time only)
; SGPRBlocks: 0
; VGPRBlocks: 0
; NumSGPRsForWavesPerEU: 1
; NumVGPRsForWavesPerEU: 1
; Occupancy: 16
; WaveLimiterHint : 0
; COMPUTE_PGM_RSRC2:SCRATCH_EN: 0
; COMPUTE_PGM_RSRC2:USER_SGPR: 6
; COMPUTE_PGM_RSRC2:TRAP_HANDLER: 0
; COMPUTE_PGM_RSRC2:TGID_X_EN: 1
; COMPUTE_PGM_RSRC2:TGID_Y_EN: 0
; COMPUTE_PGM_RSRC2:TGID_Z_EN: 0
; COMPUTE_PGM_RSRC2:TIDIG_COMP_CNT: 0
	.section	.text._ZN7rocprim17ROCPRIM_400000_NS6detail17trampoline_kernelINS0_14default_configENS1_25transform_config_selectorIsLb0EEEZNS1_14transform_implILb0ES3_S5_PsN6thrust23THRUST_200600_302600_NS6detail15normal_iteratorINS9_10device_ptrIsEEEENS0_8identityIsEEEE10hipError_tT2_T3_mT4_P12ihipStream_tbEUlT_E_NS1_11comp_targetILNS1_3genE9ELNS1_11target_archE1100ELNS1_3gpuE3ELNS1_3repE0EEENS1_30default_config_static_selectorELNS0_4arch9wavefront6targetE0EEEvT1_,"axG",@progbits,_ZN7rocprim17ROCPRIM_400000_NS6detail17trampoline_kernelINS0_14default_configENS1_25transform_config_selectorIsLb0EEEZNS1_14transform_implILb0ES3_S5_PsN6thrust23THRUST_200600_302600_NS6detail15normal_iteratorINS9_10device_ptrIsEEEENS0_8identityIsEEEE10hipError_tT2_T3_mT4_P12ihipStream_tbEUlT_E_NS1_11comp_targetILNS1_3genE9ELNS1_11target_archE1100ELNS1_3gpuE3ELNS1_3repE0EEENS1_30default_config_static_selectorELNS0_4arch9wavefront6targetE0EEEvT1_,comdat
	.protected	_ZN7rocprim17ROCPRIM_400000_NS6detail17trampoline_kernelINS0_14default_configENS1_25transform_config_selectorIsLb0EEEZNS1_14transform_implILb0ES3_S5_PsN6thrust23THRUST_200600_302600_NS6detail15normal_iteratorINS9_10device_ptrIsEEEENS0_8identityIsEEEE10hipError_tT2_T3_mT4_P12ihipStream_tbEUlT_E_NS1_11comp_targetILNS1_3genE9ELNS1_11target_archE1100ELNS1_3gpuE3ELNS1_3repE0EEENS1_30default_config_static_selectorELNS0_4arch9wavefront6targetE0EEEvT1_ ; -- Begin function _ZN7rocprim17ROCPRIM_400000_NS6detail17trampoline_kernelINS0_14default_configENS1_25transform_config_selectorIsLb0EEEZNS1_14transform_implILb0ES3_S5_PsN6thrust23THRUST_200600_302600_NS6detail15normal_iteratorINS9_10device_ptrIsEEEENS0_8identityIsEEEE10hipError_tT2_T3_mT4_P12ihipStream_tbEUlT_E_NS1_11comp_targetILNS1_3genE9ELNS1_11target_archE1100ELNS1_3gpuE3ELNS1_3repE0EEENS1_30default_config_static_selectorELNS0_4arch9wavefront6targetE0EEEvT1_
	.globl	_ZN7rocprim17ROCPRIM_400000_NS6detail17trampoline_kernelINS0_14default_configENS1_25transform_config_selectorIsLb0EEEZNS1_14transform_implILb0ES3_S5_PsN6thrust23THRUST_200600_302600_NS6detail15normal_iteratorINS9_10device_ptrIsEEEENS0_8identityIsEEEE10hipError_tT2_T3_mT4_P12ihipStream_tbEUlT_E_NS1_11comp_targetILNS1_3genE9ELNS1_11target_archE1100ELNS1_3gpuE3ELNS1_3repE0EEENS1_30default_config_static_selectorELNS0_4arch9wavefront6targetE0EEEvT1_
	.p2align	8
	.type	_ZN7rocprim17ROCPRIM_400000_NS6detail17trampoline_kernelINS0_14default_configENS1_25transform_config_selectorIsLb0EEEZNS1_14transform_implILb0ES3_S5_PsN6thrust23THRUST_200600_302600_NS6detail15normal_iteratorINS9_10device_ptrIsEEEENS0_8identityIsEEEE10hipError_tT2_T3_mT4_P12ihipStream_tbEUlT_E_NS1_11comp_targetILNS1_3genE9ELNS1_11target_archE1100ELNS1_3gpuE3ELNS1_3repE0EEENS1_30default_config_static_selectorELNS0_4arch9wavefront6targetE0EEEvT1_,@function
_ZN7rocprim17ROCPRIM_400000_NS6detail17trampoline_kernelINS0_14default_configENS1_25transform_config_selectorIsLb0EEEZNS1_14transform_implILb0ES3_S5_PsN6thrust23THRUST_200600_302600_NS6detail15normal_iteratorINS9_10device_ptrIsEEEENS0_8identityIsEEEE10hipError_tT2_T3_mT4_P12ihipStream_tbEUlT_E_NS1_11comp_targetILNS1_3genE9ELNS1_11target_archE1100ELNS1_3gpuE3ELNS1_3repE0EEENS1_30default_config_static_selectorELNS0_4arch9wavefront6targetE0EEEvT1_: ; @_ZN7rocprim17ROCPRIM_400000_NS6detail17trampoline_kernelINS0_14default_configENS1_25transform_config_selectorIsLb0EEEZNS1_14transform_implILb0ES3_S5_PsN6thrust23THRUST_200600_302600_NS6detail15normal_iteratorINS9_10device_ptrIsEEEENS0_8identityIsEEEE10hipError_tT2_T3_mT4_P12ihipStream_tbEUlT_E_NS1_11comp_targetILNS1_3genE9ELNS1_11target_archE1100ELNS1_3gpuE3ELNS1_3repE0EEENS1_30default_config_static_selectorELNS0_4arch9wavefront6targetE0EEEvT1_
; %bb.0:
	.section	.rodata,"a",@progbits
	.p2align	6, 0x0
	.amdhsa_kernel _ZN7rocprim17ROCPRIM_400000_NS6detail17trampoline_kernelINS0_14default_configENS1_25transform_config_selectorIsLb0EEEZNS1_14transform_implILb0ES3_S5_PsN6thrust23THRUST_200600_302600_NS6detail15normal_iteratorINS9_10device_ptrIsEEEENS0_8identityIsEEEE10hipError_tT2_T3_mT4_P12ihipStream_tbEUlT_E_NS1_11comp_targetILNS1_3genE9ELNS1_11target_archE1100ELNS1_3gpuE3ELNS1_3repE0EEENS1_30default_config_static_selectorELNS0_4arch9wavefront6targetE0EEEvT1_
		.amdhsa_group_segment_fixed_size 0
		.amdhsa_private_segment_fixed_size 0
		.amdhsa_kernarg_size 40
		.amdhsa_user_sgpr_count 6
		.amdhsa_user_sgpr_private_segment_buffer 1
		.amdhsa_user_sgpr_dispatch_ptr 0
		.amdhsa_user_sgpr_queue_ptr 0
		.amdhsa_user_sgpr_kernarg_segment_ptr 1
		.amdhsa_user_sgpr_dispatch_id 0
		.amdhsa_user_sgpr_flat_scratch_init 0
		.amdhsa_user_sgpr_private_segment_size 0
		.amdhsa_wavefront_size32 1
		.amdhsa_uses_dynamic_stack 0
		.amdhsa_system_sgpr_private_segment_wavefront_offset 0
		.amdhsa_system_sgpr_workgroup_id_x 1
		.amdhsa_system_sgpr_workgroup_id_y 0
		.amdhsa_system_sgpr_workgroup_id_z 0
		.amdhsa_system_sgpr_workgroup_info 0
		.amdhsa_system_vgpr_workitem_id 0
		.amdhsa_next_free_vgpr 1
		.amdhsa_next_free_sgpr 1
		.amdhsa_reserve_vcc 0
		.amdhsa_reserve_flat_scratch 0
		.amdhsa_float_round_mode_32 0
		.amdhsa_float_round_mode_16_64 0
		.amdhsa_float_denorm_mode_32 3
		.amdhsa_float_denorm_mode_16_64 3
		.amdhsa_dx10_clamp 1
		.amdhsa_ieee_mode 1
		.amdhsa_fp16_overflow 0
		.amdhsa_workgroup_processor_mode 1
		.amdhsa_memory_ordered 1
		.amdhsa_forward_progress 1
		.amdhsa_shared_vgpr_count 0
		.amdhsa_exception_fp_ieee_invalid_op 0
		.amdhsa_exception_fp_denorm_src 0
		.amdhsa_exception_fp_ieee_div_zero 0
		.amdhsa_exception_fp_ieee_overflow 0
		.amdhsa_exception_fp_ieee_underflow 0
		.amdhsa_exception_fp_ieee_inexact 0
		.amdhsa_exception_int_div_zero 0
	.end_amdhsa_kernel
	.section	.text._ZN7rocprim17ROCPRIM_400000_NS6detail17trampoline_kernelINS0_14default_configENS1_25transform_config_selectorIsLb0EEEZNS1_14transform_implILb0ES3_S5_PsN6thrust23THRUST_200600_302600_NS6detail15normal_iteratorINS9_10device_ptrIsEEEENS0_8identityIsEEEE10hipError_tT2_T3_mT4_P12ihipStream_tbEUlT_E_NS1_11comp_targetILNS1_3genE9ELNS1_11target_archE1100ELNS1_3gpuE3ELNS1_3repE0EEENS1_30default_config_static_selectorELNS0_4arch9wavefront6targetE0EEEvT1_,"axG",@progbits,_ZN7rocprim17ROCPRIM_400000_NS6detail17trampoline_kernelINS0_14default_configENS1_25transform_config_selectorIsLb0EEEZNS1_14transform_implILb0ES3_S5_PsN6thrust23THRUST_200600_302600_NS6detail15normal_iteratorINS9_10device_ptrIsEEEENS0_8identityIsEEEE10hipError_tT2_T3_mT4_P12ihipStream_tbEUlT_E_NS1_11comp_targetILNS1_3genE9ELNS1_11target_archE1100ELNS1_3gpuE3ELNS1_3repE0EEENS1_30default_config_static_selectorELNS0_4arch9wavefront6targetE0EEEvT1_,comdat
.Lfunc_end579:
	.size	_ZN7rocprim17ROCPRIM_400000_NS6detail17trampoline_kernelINS0_14default_configENS1_25transform_config_selectorIsLb0EEEZNS1_14transform_implILb0ES3_S5_PsN6thrust23THRUST_200600_302600_NS6detail15normal_iteratorINS9_10device_ptrIsEEEENS0_8identityIsEEEE10hipError_tT2_T3_mT4_P12ihipStream_tbEUlT_E_NS1_11comp_targetILNS1_3genE9ELNS1_11target_archE1100ELNS1_3gpuE3ELNS1_3repE0EEENS1_30default_config_static_selectorELNS0_4arch9wavefront6targetE0EEEvT1_, .Lfunc_end579-_ZN7rocprim17ROCPRIM_400000_NS6detail17trampoline_kernelINS0_14default_configENS1_25transform_config_selectorIsLb0EEEZNS1_14transform_implILb0ES3_S5_PsN6thrust23THRUST_200600_302600_NS6detail15normal_iteratorINS9_10device_ptrIsEEEENS0_8identityIsEEEE10hipError_tT2_T3_mT4_P12ihipStream_tbEUlT_E_NS1_11comp_targetILNS1_3genE9ELNS1_11target_archE1100ELNS1_3gpuE3ELNS1_3repE0EEENS1_30default_config_static_selectorELNS0_4arch9wavefront6targetE0EEEvT1_
                                        ; -- End function
	.set _ZN7rocprim17ROCPRIM_400000_NS6detail17trampoline_kernelINS0_14default_configENS1_25transform_config_selectorIsLb0EEEZNS1_14transform_implILb0ES3_S5_PsN6thrust23THRUST_200600_302600_NS6detail15normal_iteratorINS9_10device_ptrIsEEEENS0_8identityIsEEEE10hipError_tT2_T3_mT4_P12ihipStream_tbEUlT_E_NS1_11comp_targetILNS1_3genE9ELNS1_11target_archE1100ELNS1_3gpuE3ELNS1_3repE0EEENS1_30default_config_static_selectorELNS0_4arch9wavefront6targetE0EEEvT1_.num_vgpr, 0
	.set _ZN7rocprim17ROCPRIM_400000_NS6detail17trampoline_kernelINS0_14default_configENS1_25transform_config_selectorIsLb0EEEZNS1_14transform_implILb0ES3_S5_PsN6thrust23THRUST_200600_302600_NS6detail15normal_iteratorINS9_10device_ptrIsEEEENS0_8identityIsEEEE10hipError_tT2_T3_mT4_P12ihipStream_tbEUlT_E_NS1_11comp_targetILNS1_3genE9ELNS1_11target_archE1100ELNS1_3gpuE3ELNS1_3repE0EEENS1_30default_config_static_selectorELNS0_4arch9wavefront6targetE0EEEvT1_.num_agpr, 0
	.set _ZN7rocprim17ROCPRIM_400000_NS6detail17trampoline_kernelINS0_14default_configENS1_25transform_config_selectorIsLb0EEEZNS1_14transform_implILb0ES3_S5_PsN6thrust23THRUST_200600_302600_NS6detail15normal_iteratorINS9_10device_ptrIsEEEENS0_8identityIsEEEE10hipError_tT2_T3_mT4_P12ihipStream_tbEUlT_E_NS1_11comp_targetILNS1_3genE9ELNS1_11target_archE1100ELNS1_3gpuE3ELNS1_3repE0EEENS1_30default_config_static_selectorELNS0_4arch9wavefront6targetE0EEEvT1_.numbered_sgpr, 0
	.set _ZN7rocprim17ROCPRIM_400000_NS6detail17trampoline_kernelINS0_14default_configENS1_25transform_config_selectorIsLb0EEEZNS1_14transform_implILb0ES3_S5_PsN6thrust23THRUST_200600_302600_NS6detail15normal_iteratorINS9_10device_ptrIsEEEENS0_8identityIsEEEE10hipError_tT2_T3_mT4_P12ihipStream_tbEUlT_E_NS1_11comp_targetILNS1_3genE9ELNS1_11target_archE1100ELNS1_3gpuE3ELNS1_3repE0EEENS1_30default_config_static_selectorELNS0_4arch9wavefront6targetE0EEEvT1_.num_named_barrier, 0
	.set _ZN7rocprim17ROCPRIM_400000_NS6detail17trampoline_kernelINS0_14default_configENS1_25transform_config_selectorIsLb0EEEZNS1_14transform_implILb0ES3_S5_PsN6thrust23THRUST_200600_302600_NS6detail15normal_iteratorINS9_10device_ptrIsEEEENS0_8identityIsEEEE10hipError_tT2_T3_mT4_P12ihipStream_tbEUlT_E_NS1_11comp_targetILNS1_3genE9ELNS1_11target_archE1100ELNS1_3gpuE3ELNS1_3repE0EEENS1_30default_config_static_selectorELNS0_4arch9wavefront6targetE0EEEvT1_.private_seg_size, 0
	.set _ZN7rocprim17ROCPRIM_400000_NS6detail17trampoline_kernelINS0_14default_configENS1_25transform_config_selectorIsLb0EEEZNS1_14transform_implILb0ES3_S5_PsN6thrust23THRUST_200600_302600_NS6detail15normal_iteratorINS9_10device_ptrIsEEEENS0_8identityIsEEEE10hipError_tT2_T3_mT4_P12ihipStream_tbEUlT_E_NS1_11comp_targetILNS1_3genE9ELNS1_11target_archE1100ELNS1_3gpuE3ELNS1_3repE0EEENS1_30default_config_static_selectorELNS0_4arch9wavefront6targetE0EEEvT1_.uses_vcc, 0
	.set _ZN7rocprim17ROCPRIM_400000_NS6detail17trampoline_kernelINS0_14default_configENS1_25transform_config_selectorIsLb0EEEZNS1_14transform_implILb0ES3_S5_PsN6thrust23THRUST_200600_302600_NS6detail15normal_iteratorINS9_10device_ptrIsEEEENS0_8identityIsEEEE10hipError_tT2_T3_mT4_P12ihipStream_tbEUlT_E_NS1_11comp_targetILNS1_3genE9ELNS1_11target_archE1100ELNS1_3gpuE3ELNS1_3repE0EEENS1_30default_config_static_selectorELNS0_4arch9wavefront6targetE0EEEvT1_.uses_flat_scratch, 0
	.set _ZN7rocprim17ROCPRIM_400000_NS6detail17trampoline_kernelINS0_14default_configENS1_25transform_config_selectorIsLb0EEEZNS1_14transform_implILb0ES3_S5_PsN6thrust23THRUST_200600_302600_NS6detail15normal_iteratorINS9_10device_ptrIsEEEENS0_8identityIsEEEE10hipError_tT2_T3_mT4_P12ihipStream_tbEUlT_E_NS1_11comp_targetILNS1_3genE9ELNS1_11target_archE1100ELNS1_3gpuE3ELNS1_3repE0EEENS1_30default_config_static_selectorELNS0_4arch9wavefront6targetE0EEEvT1_.has_dyn_sized_stack, 0
	.set _ZN7rocprim17ROCPRIM_400000_NS6detail17trampoline_kernelINS0_14default_configENS1_25transform_config_selectorIsLb0EEEZNS1_14transform_implILb0ES3_S5_PsN6thrust23THRUST_200600_302600_NS6detail15normal_iteratorINS9_10device_ptrIsEEEENS0_8identityIsEEEE10hipError_tT2_T3_mT4_P12ihipStream_tbEUlT_E_NS1_11comp_targetILNS1_3genE9ELNS1_11target_archE1100ELNS1_3gpuE3ELNS1_3repE0EEENS1_30default_config_static_selectorELNS0_4arch9wavefront6targetE0EEEvT1_.has_recursion, 0
	.set _ZN7rocprim17ROCPRIM_400000_NS6detail17trampoline_kernelINS0_14default_configENS1_25transform_config_selectorIsLb0EEEZNS1_14transform_implILb0ES3_S5_PsN6thrust23THRUST_200600_302600_NS6detail15normal_iteratorINS9_10device_ptrIsEEEENS0_8identityIsEEEE10hipError_tT2_T3_mT4_P12ihipStream_tbEUlT_E_NS1_11comp_targetILNS1_3genE9ELNS1_11target_archE1100ELNS1_3gpuE3ELNS1_3repE0EEENS1_30default_config_static_selectorELNS0_4arch9wavefront6targetE0EEEvT1_.has_indirect_call, 0
	.section	.AMDGPU.csdata,"",@progbits
; Kernel info:
; codeLenInByte = 0
; TotalNumSgprs: 0
; NumVgprs: 0
; ScratchSize: 0
; MemoryBound: 0
; FloatMode: 240
; IeeeMode: 1
; LDSByteSize: 0 bytes/workgroup (compile time only)
; SGPRBlocks: 0
; VGPRBlocks: 0
; NumSGPRsForWavesPerEU: 1
; NumVGPRsForWavesPerEU: 1
; Occupancy: 16
; WaveLimiterHint : 0
; COMPUTE_PGM_RSRC2:SCRATCH_EN: 0
; COMPUTE_PGM_RSRC2:USER_SGPR: 6
; COMPUTE_PGM_RSRC2:TRAP_HANDLER: 0
; COMPUTE_PGM_RSRC2:TGID_X_EN: 1
; COMPUTE_PGM_RSRC2:TGID_Y_EN: 0
; COMPUTE_PGM_RSRC2:TGID_Z_EN: 0
; COMPUTE_PGM_RSRC2:TIDIG_COMP_CNT: 0
	.section	.text._ZN7rocprim17ROCPRIM_400000_NS6detail17trampoline_kernelINS0_14default_configENS1_25transform_config_selectorIsLb0EEEZNS1_14transform_implILb0ES3_S5_PsN6thrust23THRUST_200600_302600_NS6detail15normal_iteratorINS9_10device_ptrIsEEEENS0_8identityIsEEEE10hipError_tT2_T3_mT4_P12ihipStream_tbEUlT_E_NS1_11comp_targetILNS1_3genE8ELNS1_11target_archE1030ELNS1_3gpuE2ELNS1_3repE0EEENS1_30default_config_static_selectorELNS0_4arch9wavefront6targetE0EEEvT1_,"axG",@progbits,_ZN7rocprim17ROCPRIM_400000_NS6detail17trampoline_kernelINS0_14default_configENS1_25transform_config_selectorIsLb0EEEZNS1_14transform_implILb0ES3_S5_PsN6thrust23THRUST_200600_302600_NS6detail15normal_iteratorINS9_10device_ptrIsEEEENS0_8identityIsEEEE10hipError_tT2_T3_mT4_P12ihipStream_tbEUlT_E_NS1_11comp_targetILNS1_3genE8ELNS1_11target_archE1030ELNS1_3gpuE2ELNS1_3repE0EEENS1_30default_config_static_selectorELNS0_4arch9wavefront6targetE0EEEvT1_,comdat
	.protected	_ZN7rocprim17ROCPRIM_400000_NS6detail17trampoline_kernelINS0_14default_configENS1_25transform_config_selectorIsLb0EEEZNS1_14transform_implILb0ES3_S5_PsN6thrust23THRUST_200600_302600_NS6detail15normal_iteratorINS9_10device_ptrIsEEEENS0_8identityIsEEEE10hipError_tT2_T3_mT4_P12ihipStream_tbEUlT_E_NS1_11comp_targetILNS1_3genE8ELNS1_11target_archE1030ELNS1_3gpuE2ELNS1_3repE0EEENS1_30default_config_static_selectorELNS0_4arch9wavefront6targetE0EEEvT1_ ; -- Begin function _ZN7rocprim17ROCPRIM_400000_NS6detail17trampoline_kernelINS0_14default_configENS1_25transform_config_selectorIsLb0EEEZNS1_14transform_implILb0ES3_S5_PsN6thrust23THRUST_200600_302600_NS6detail15normal_iteratorINS9_10device_ptrIsEEEENS0_8identityIsEEEE10hipError_tT2_T3_mT4_P12ihipStream_tbEUlT_E_NS1_11comp_targetILNS1_3genE8ELNS1_11target_archE1030ELNS1_3gpuE2ELNS1_3repE0EEENS1_30default_config_static_selectorELNS0_4arch9wavefront6targetE0EEEvT1_
	.globl	_ZN7rocprim17ROCPRIM_400000_NS6detail17trampoline_kernelINS0_14default_configENS1_25transform_config_selectorIsLb0EEEZNS1_14transform_implILb0ES3_S5_PsN6thrust23THRUST_200600_302600_NS6detail15normal_iteratorINS9_10device_ptrIsEEEENS0_8identityIsEEEE10hipError_tT2_T3_mT4_P12ihipStream_tbEUlT_E_NS1_11comp_targetILNS1_3genE8ELNS1_11target_archE1030ELNS1_3gpuE2ELNS1_3repE0EEENS1_30default_config_static_selectorELNS0_4arch9wavefront6targetE0EEEvT1_
	.p2align	8
	.type	_ZN7rocprim17ROCPRIM_400000_NS6detail17trampoline_kernelINS0_14default_configENS1_25transform_config_selectorIsLb0EEEZNS1_14transform_implILb0ES3_S5_PsN6thrust23THRUST_200600_302600_NS6detail15normal_iteratorINS9_10device_ptrIsEEEENS0_8identityIsEEEE10hipError_tT2_T3_mT4_P12ihipStream_tbEUlT_E_NS1_11comp_targetILNS1_3genE8ELNS1_11target_archE1030ELNS1_3gpuE2ELNS1_3repE0EEENS1_30default_config_static_selectorELNS0_4arch9wavefront6targetE0EEEvT1_,@function
_ZN7rocprim17ROCPRIM_400000_NS6detail17trampoline_kernelINS0_14default_configENS1_25transform_config_selectorIsLb0EEEZNS1_14transform_implILb0ES3_S5_PsN6thrust23THRUST_200600_302600_NS6detail15normal_iteratorINS9_10device_ptrIsEEEENS0_8identityIsEEEE10hipError_tT2_T3_mT4_P12ihipStream_tbEUlT_E_NS1_11comp_targetILNS1_3genE8ELNS1_11target_archE1030ELNS1_3gpuE2ELNS1_3repE0EEENS1_30default_config_static_selectorELNS0_4arch9wavefront6targetE0EEEvT1_: ; @_ZN7rocprim17ROCPRIM_400000_NS6detail17trampoline_kernelINS0_14default_configENS1_25transform_config_selectorIsLb0EEEZNS1_14transform_implILb0ES3_S5_PsN6thrust23THRUST_200600_302600_NS6detail15normal_iteratorINS9_10device_ptrIsEEEENS0_8identityIsEEEE10hipError_tT2_T3_mT4_P12ihipStream_tbEUlT_E_NS1_11comp_targetILNS1_3genE8ELNS1_11target_archE1030ELNS1_3gpuE2ELNS1_3repE0EEENS1_30default_config_static_selectorELNS0_4arch9wavefront6targetE0EEEvT1_
; %bb.0:
	s_clause 0x1
	s_load_dword s0, s[4:5], 0x28
	s_load_dword s1, s[4:5], 0x10
	s_waitcnt lgkmcnt(0)
	s_add_i32 s2, s0, -1
	s_lshl_b32 s0, s6, 10
	s_cmp_lg_u32 s6, s2
	s_cselect_b32 s2, -1, 0
	s_sub_i32 s1, s1, s0
	v_cmp_gt_u32_e32 vcc_lo, s1, v0
	s_or_b32 s1, vcc_lo, s2
	s_and_saveexec_b32 s2, s1
	s_cbranch_execz .LBB580_2
; %bb.1:
	s_clause 0x1
	s_load_dwordx4 s[8:11], s[4:5], 0x0
	s_load_dwordx2 s[2:3], s[4:5], 0x18
	s_mov_b32 s1, 0
	v_lshlrev_b32_e32 v0, 1, v0
	s_waitcnt lgkmcnt(0)
	s_lshl_b64 s[4:5], s[10:11], 1
	s_add_u32 s6, s8, s4
	s_addc_u32 s7, s9, s5
	s_lshl_b64 s[0:1], s[0:1], 1
	s_add_u32 s6, s6, s0
	s_addc_u32 s7, s7, s1
	s_add_u32 s2, s2, s4
	global_load_ushort v2, v0, s[6:7]
	s_addc_u32 s3, s3, s5
	s_add_u32 s0, s2, s0
	s_addc_u32 s1, s3, s1
	v_add_co_u32 v0, s0, s0, v0
	v_add_co_ci_u32_e64 v1, null, s1, 0, s0
	s_waitcnt vmcnt(0)
	flat_store_short v[0:1], v2
.LBB580_2:
	s_endpgm
	.section	.rodata,"a",@progbits
	.p2align	6, 0x0
	.amdhsa_kernel _ZN7rocprim17ROCPRIM_400000_NS6detail17trampoline_kernelINS0_14default_configENS1_25transform_config_selectorIsLb0EEEZNS1_14transform_implILb0ES3_S5_PsN6thrust23THRUST_200600_302600_NS6detail15normal_iteratorINS9_10device_ptrIsEEEENS0_8identityIsEEEE10hipError_tT2_T3_mT4_P12ihipStream_tbEUlT_E_NS1_11comp_targetILNS1_3genE8ELNS1_11target_archE1030ELNS1_3gpuE2ELNS1_3repE0EEENS1_30default_config_static_selectorELNS0_4arch9wavefront6targetE0EEEvT1_
		.amdhsa_group_segment_fixed_size 0
		.amdhsa_private_segment_fixed_size 0
		.amdhsa_kernarg_size 296
		.amdhsa_user_sgpr_count 6
		.amdhsa_user_sgpr_private_segment_buffer 1
		.amdhsa_user_sgpr_dispatch_ptr 0
		.amdhsa_user_sgpr_queue_ptr 0
		.amdhsa_user_sgpr_kernarg_segment_ptr 1
		.amdhsa_user_sgpr_dispatch_id 0
		.amdhsa_user_sgpr_flat_scratch_init 0
		.amdhsa_user_sgpr_private_segment_size 0
		.amdhsa_wavefront_size32 1
		.amdhsa_uses_dynamic_stack 0
		.amdhsa_system_sgpr_private_segment_wavefront_offset 0
		.amdhsa_system_sgpr_workgroup_id_x 1
		.amdhsa_system_sgpr_workgroup_id_y 0
		.amdhsa_system_sgpr_workgroup_id_z 0
		.amdhsa_system_sgpr_workgroup_info 0
		.amdhsa_system_vgpr_workitem_id 0
		.amdhsa_next_free_vgpr 3
		.amdhsa_next_free_sgpr 12
		.amdhsa_reserve_vcc 1
		.amdhsa_reserve_flat_scratch 0
		.amdhsa_float_round_mode_32 0
		.amdhsa_float_round_mode_16_64 0
		.amdhsa_float_denorm_mode_32 3
		.amdhsa_float_denorm_mode_16_64 3
		.amdhsa_dx10_clamp 1
		.amdhsa_ieee_mode 1
		.amdhsa_fp16_overflow 0
		.amdhsa_workgroup_processor_mode 1
		.amdhsa_memory_ordered 1
		.amdhsa_forward_progress 1
		.amdhsa_shared_vgpr_count 0
		.amdhsa_exception_fp_ieee_invalid_op 0
		.amdhsa_exception_fp_denorm_src 0
		.amdhsa_exception_fp_ieee_div_zero 0
		.amdhsa_exception_fp_ieee_overflow 0
		.amdhsa_exception_fp_ieee_underflow 0
		.amdhsa_exception_fp_ieee_inexact 0
		.amdhsa_exception_int_div_zero 0
	.end_amdhsa_kernel
	.section	.text._ZN7rocprim17ROCPRIM_400000_NS6detail17trampoline_kernelINS0_14default_configENS1_25transform_config_selectorIsLb0EEEZNS1_14transform_implILb0ES3_S5_PsN6thrust23THRUST_200600_302600_NS6detail15normal_iteratorINS9_10device_ptrIsEEEENS0_8identityIsEEEE10hipError_tT2_T3_mT4_P12ihipStream_tbEUlT_E_NS1_11comp_targetILNS1_3genE8ELNS1_11target_archE1030ELNS1_3gpuE2ELNS1_3repE0EEENS1_30default_config_static_selectorELNS0_4arch9wavefront6targetE0EEEvT1_,"axG",@progbits,_ZN7rocprim17ROCPRIM_400000_NS6detail17trampoline_kernelINS0_14default_configENS1_25transform_config_selectorIsLb0EEEZNS1_14transform_implILb0ES3_S5_PsN6thrust23THRUST_200600_302600_NS6detail15normal_iteratorINS9_10device_ptrIsEEEENS0_8identityIsEEEE10hipError_tT2_T3_mT4_P12ihipStream_tbEUlT_E_NS1_11comp_targetILNS1_3genE8ELNS1_11target_archE1030ELNS1_3gpuE2ELNS1_3repE0EEENS1_30default_config_static_selectorELNS0_4arch9wavefront6targetE0EEEvT1_,comdat
.Lfunc_end580:
	.size	_ZN7rocprim17ROCPRIM_400000_NS6detail17trampoline_kernelINS0_14default_configENS1_25transform_config_selectorIsLb0EEEZNS1_14transform_implILb0ES3_S5_PsN6thrust23THRUST_200600_302600_NS6detail15normal_iteratorINS9_10device_ptrIsEEEENS0_8identityIsEEEE10hipError_tT2_T3_mT4_P12ihipStream_tbEUlT_E_NS1_11comp_targetILNS1_3genE8ELNS1_11target_archE1030ELNS1_3gpuE2ELNS1_3repE0EEENS1_30default_config_static_selectorELNS0_4arch9wavefront6targetE0EEEvT1_, .Lfunc_end580-_ZN7rocprim17ROCPRIM_400000_NS6detail17trampoline_kernelINS0_14default_configENS1_25transform_config_selectorIsLb0EEEZNS1_14transform_implILb0ES3_S5_PsN6thrust23THRUST_200600_302600_NS6detail15normal_iteratorINS9_10device_ptrIsEEEENS0_8identityIsEEEE10hipError_tT2_T3_mT4_P12ihipStream_tbEUlT_E_NS1_11comp_targetILNS1_3genE8ELNS1_11target_archE1030ELNS1_3gpuE2ELNS1_3repE0EEENS1_30default_config_static_selectorELNS0_4arch9wavefront6targetE0EEEvT1_
                                        ; -- End function
	.set _ZN7rocprim17ROCPRIM_400000_NS6detail17trampoline_kernelINS0_14default_configENS1_25transform_config_selectorIsLb0EEEZNS1_14transform_implILb0ES3_S5_PsN6thrust23THRUST_200600_302600_NS6detail15normal_iteratorINS9_10device_ptrIsEEEENS0_8identityIsEEEE10hipError_tT2_T3_mT4_P12ihipStream_tbEUlT_E_NS1_11comp_targetILNS1_3genE8ELNS1_11target_archE1030ELNS1_3gpuE2ELNS1_3repE0EEENS1_30default_config_static_selectorELNS0_4arch9wavefront6targetE0EEEvT1_.num_vgpr, 3
	.set _ZN7rocprim17ROCPRIM_400000_NS6detail17trampoline_kernelINS0_14default_configENS1_25transform_config_selectorIsLb0EEEZNS1_14transform_implILb0ES3_S5_PsN6thrust23THRUST_200600_302600_NS6detail15normal_iteratorINS9_10device_ptrIsEEEENS0_8identityIsEEEE10hipError_tT2_T3_mT4_P12ihipStream_tbEUlT_E_NS1_11comp_targetILNS1_3genE8ELNS1_11target_archE1030ELNS1_3gpuE2ELNS1_3repE0EEENS1_30default_config_static_selectorELNS0_4arch9wavefront6targetE0EEEvT1_.num_agpr, 0
	.set _ZN7rocprim17ROCPRIM_400000_NS6detail17trampoline_kernelINS0_14default_configENS1_25transform_config_selectorIsLb0EEEZNS1_14transform_implILb0ES3_S5_PsN6thrust23THRUST_200600_302600_NS6detail15normal_iteratorINS9_10device_ptrIsEEEENS0_8identityIsEEEE10hipError_tT2_T3_mT4_P12ihipStream_tbEUlT_E_NS1_11comp_targetILNS1_3genE8ELNS1_11target_archE1030ELNS1_3gpuE2ELNS1_3repE0EEENS1_30default_config_static_selectorELNS0_4arch9wavefront6targetE0EEEvT1_.numbered_sgpr, 12
	.set _ZN7rocprim17ROCPRIM_400000_NS6detail17trampoline_kernelINS0_14default_configENS1_25transform_config_selectorIsLb0EEEZNS1_14transform_implILb0ES3_S5_PsN6thrust23THRUST_200600_302600_NS6detail15normal_iteratorINS9_10device_ptrIsEEEENS0_8identityIsEEEE10hipError_tT2_T3_mT4_P12ihipStream_tbEUlT_E_NS1_11comp_targetILNS1_3genE8ELNS1_11target_archE1030ELNS1_3gpuE2ELNS1_3repE0EEENS1_30default_config_static_selectorELNS0_4arch9wavefront6targetE0EEEvT1_.num_named_barrier, 0
	.set _ZN7rocprim17ROCPRIM_400000_NS6detail17trampoline_kernelINS0_14default_configENS1_25transform_config_selectorIsLb0EEEZNS1_14transform_implILb0ES3_S5_PsN6thrust23THRUST_200600_302600_NS6detail15normal_iteratorINS9_10device_ptrIsEEEENS0_8identityIsEEEE10hipError_tT2_T3_mT4_P12ihipStream_tbEUlT_E_NS1_11comp_targetILNS1_3genE8ELNS1_11target_archE1030ELNS1_3gpuE2ELNS1_3repE0EEENS1_30default_config_static_selectorELNS0_4arch9wavefront6targetE0EEEvT1_.private_seg_size, 0
	.set _ZN7rocprim17ROCPRIM_400000_NS6detail17trampoline_kernelINS0_14default_configENS1_25transform_config_selectorIsLb0EEEZNS1_14transform_implILb0ES3_S5_PsN6thrust23THRUST_200600_302600_NS6detail15normal_iteratorINS9_10device_ptrIsEEEENS0_8identityIsEEEE10hipError_tT2_T3_mT4_P12ihipStream_tbEUlT_E_NS1_11comp_targetILNS1_3genE8ELNS1_11target_archE1030ELNS1_3gpuE2ELNS1_3repE0EEENS1_30default_config_static_selectorELNS0_4arch9wavefront6targetE0EEEvT1_.uses_vcc, 1
	.set _ZN7rocprim17ROCPRIM_400000_NS6detail17trampoline_kernelINS0_14default_configENS1_25transform_config_selectorIsLb0EEEZNS1_14transform_implILb0ES3_S5_PsN6thrust23THRUST_200600_302600_NS6detail15normal_iteratorINS9_10device_ptrIsEEEENS0_8identityIsEEEE10hipError_tT2_T3_mT4_P12ihipStream_tbEUlT_E_NS1_11comp_targetILNS1_3genE8ELNS1_11target_archE1030ELNS1_3gpuE2ELNS1_3repE0EEENS1_30default_config_static_selectorELNS0_4arch9wavefront6targetE0EEEvT1_.uses_flat_scratch, 0
	.set _ZN7rocprim17ROCPRIM_400000_NS6detail17trampoline_kernelINS0_14default_configENS1_25transform_config_selectorIsLb0EEEZNS1_14transform_implILb0ES3_S5_PsN6thrust23THRUST_200600_302600_NS6detail15normal_iteratorINS9_10device_ptrIsEEEENS0_8identityIsEEEE10hipError_tT2_T3_mT4_P12ihipStream_tbEUlT_E_NS1_11comp_targetILNS1_3genE8ELNS1_11target_archE1030ELNS1_3gpuE2ELNS1_3repE0EEENS1_30default_config_static_selectorELNS0_4arch9wavefront6targetE0EEEvT1_.has_dyn_sized_stack, 0
	.set _ZN7rocprim17ROCPRIM_400000_NS6detail17trampoline_kernelINS0_14default_configENS1_25transform_config_selectorIsLb0EEEZNS1_14transform_implILb0ES3_S5_PsN6thrust23THRUST_200600_302600_NS6detail15normal_iteratorINS9_10device_ptrIsEEEENS0_8identityIsEEEE10hipError_tT2_T3_mT4_P12ihipStream_tbEUlT_E_NS1_11comp_targetILNS1_3genE8ELNS1_11target_archE1030ELNS1_3gpuE2ELNS1_3repE0EEENS1_30default_config_static_selectorELNS0_4arch9wavefront6targetE0EEEvT1_.has_recursion, 0
	.set _ZN7rocprim17ROCPRIM_400000_NS6detail17trampoline_kernelINS0_14default_configENS1_25transform_config_selectorIsLb0EEEZNS1_14transform_implILb0ES3_S5_PsN6thrust23THRUST_200600_302600_NS6detail15normal_iteratorINS9_10device_ptrIsEEEENS0_8identityIsEEEE10hipError_tT2_T3_mT4_P12ihipStream_tbEUlT_E_NS1_11comp_targetILNS1_3genE8ELNS1_11target_archE1030ELNS1_3gpuE2ELNS1_3repE0EEENS1_30default_config_static_selectorELNS0_4arch9wavefront6targetE0EEEvT1_.has_indirect_call, 0
	.section	.AMDGPU.csdata,"",@progbits
; Kernel info:
; codeLenInByte = 172
; TotalNumSgprs: 14
; NumVgprs: 3
; ScratchSize: 0
; MemoryBound: 0
; FloatMode: 240
; IeeeMode: 1
; LDSByteSize: 0 bytes/workgroup (compile time only)
; SGPRBlocks: 0
; VGPRBlocks: 0
; NumSGPRsForWavesPerEU: 14
; NumVGPRsForWavesPerEU: 3
; Occupancy: 16
; WaveLimiterHint : 0
; COMPUTE_PGM_RSRC2:SCRATCH_EN: 0
; COMPUTE_PGM_RSRC2:USER_SGPR: 6
; COMPUTE_PGM_RSRC2:TRAP_HANDLER: 0
; COMPUTE_PGM_RSRC2:TGID_X_EN: 1
; COMPUTE_PGM_RSRC2:TGID_Y_EN: 0
; COMPUTE_PGM_RSRC2:TGID_Z_EN: 0
; COMPUTE_PGM_RSRC2:TIDIG_COMP_CNT: 0
	.section	.text._ZN7rocprim17ROCPRIM_400000_NS6detail17trampoline_kernelINS0_14default_configENS1_22reduce_config_selectorIN6thrust23THRUST_200600_302600_NS5tupleIblNS6_9null_typeES8_S8_S8_S8_S8_S8_S8_EEEEZNS1_11reduce_implILb1ES3_NS6_12zip_iteratorINS7_INS6_11hip_rocprim26transform_input_iterator_tIbNSD_35transform_pair_of_input_iterators_tIbNS6_6detail15normal_iteratorINS6_10device_ptrIKsEEEESL_NS6_8equal_toIsEEEENSG_9not_fun_tINSD_8identityEEEEENSD_19counting_iterator_tIlEES8_S8_S8_S8_S8_S8_S8_S8_EEEEPS9_S9_NSD_9__find_if7functorIS9_EEEE10hipError_tPvRmT1_T2_T3_mT4_P12ihipStream_tbEUlT_E0_NS1_11comp_targetILNS1_3genE0ELNS1_11target_archE4294967295ELNS1_3gpuE0ELNS1_3repE0EEENS1_30default_config_static_selectorELNS0_4arch9wavefront6targetE0EEEvS14_,"axG",@progbits,_ZN7rocprim17ROCPRIM_400000_NS6detail17trampoline_kernelINS0_14default_configENS1_22reduce_config_selectorIN6thrust23THRUST_200600_302600_NS5tupleIblNS6_9null_typeES8_S8_S8_S8_S8_S8_S8_EEEEZNS1_11reduce_implILb1ES3_NS6_12zip_iteratorINS7_INS6_11hip_rocprim26transform_input_iterator_tIbNSD_35transform_pair_of_input_iterators_tIbNS6_6detail15normal_iteratorINS6_10device_ptrIKsEEEESL_NS6_8equal_toIsEEEENSG_9not_fun_tINSD_8identityEEEEENSD_19counting_iterator_tIlEES8_S8_S8_S8_S8_S8_S8_S8_EEEEPS9_S9_NSD_9__find_if7functorIS9_EEEE10hipError_tPvRmT1_T2_T3_mT4_P12ihipStream_tbEUlT_E0_NS1_11comp_targetILNS1_3genE0ELNS1_11target_archE4294967295ELNS1_3gpuE0ELNS1_3repE0EEENS1_30default_config_static_selectorELNS0_4arch9wavefront6targetE0EEEvS14_,comdat
	.protected	_ZN7rocprim17ROCPRIM_400000_NS6detail17trampoline_kernelINS0_14default_configENS1_22reduce_config_selectorIN6thrust23THRUST_200600_302600_NS5tupleIblNS6_9null_typeES8_S8_S8_S8_S8_S8_S8_EEEEZNS1_11reduce_implILb1ES3_NS6_12zip_iteratorINS7_INS6_11hip_rocprim26transform_input_iterator_tIbNSD_35transform_pair_of_input_iterators_tIbNS6_6detail15normal_iteratorINS6_10device_ptrIKsEEEESL_NS6_8equal_toIsEEEENSG_9not_fun_tINSD_8identityEEEEENSD_19counting_iterator_tIlEES8_S8_S8_S8_S8_S8_S8_S8_EEEEPS9_S9_NSD_9__find_if7functorIS9_EEEE10hipError_tPvRmT1_T2_T3_mT4_P12ihipStream_tbEUlT_E0_NS1_11comp_targetILNS1_3genE0ELNS1_11target_archE4294967295ELNS1_3gpuE0ELNS1_3repE0EEENS1_30default_config_static_selectorELNS0_4arch9wavefront6targetE0EEEvS14_ ; -- Begin function _ZN7rocprim17ROCPRIM_400000_NS6detail17trampoline_kernelINS0_14default_configENS1_22reduce_config_selectorIN6thrust23THRUST_200600_302600_NS5tupleIblNS6_9null_typeES8_S8_S8_S8_S8_S8_S8_EEEEZNS1_11reduce_implILb1ES3_NS6_12zip_iteratorINS7_INS6_11hip_rocprim26transform_input_iterator_tIbNSD_35transform_pair_of_input_iterators_tIbNS6_6detail15normal_iteratorINS6_10device_ptrIKsEEEESL_NS6_8equal_toIsEEEENSG_9not_fun_tINSD_8identityEEEEENSD_19counting_iterator_tIlEES8_S8_S8_S8_S8_S8_S8_S8_EEEEPS9_S9_NSD_9__find_if7functorIS9_EEEE10hipError_tPvRmT1_T2_T3_mT4_P12ihipStream_tbEUlT_E0_NS1_11comp_targetILNS1_3genE0ELNS1_11target_archE4294967295ELNS1_3gpuE0ELNS1_3repE0EEENS1_30default_config_static_selectorELNS0_4arch9wavefront6targetE0EEEvS14_
	.globl	_ZN7rocprim17ROCPRIM_400000_NS6detail17trampoline_kernelINS0_14default_configENS1_22reduce_config_selectorIN6thrust23THRUST_200600_302600_NS5tupleIblNS6_9null_typeES8_S8_S8_S8_S8_S8_S8_EEEEZNS1_11reduce_implILb1ES3_NS6_12zip_iteratorINS7_INS6_11hip_rocprim26transform_input_iterator_tIbNSD_35transform_pair_of_input_iterators_tIbNS6_6detail15normal_iteratorINS6_10device_ptrIKsEEEESL_NS6_8equal_toIsEEEENSG_9not_fun_tINSD_8identityEEEEENSD_19counting_iterator_tIlEES8_S8_S8_S8_S8_S8_S8_S8_EEEEPS9_S9_NSD_9__find_if7functorIS9_EEEE10hipError_tPvRmT1_T2_T3_mT4_P12ihipStream_tbEUlT_E0_NS1_11comp_targetILNS1_3genE0ELNS1_11target_archE4294967295ELNS1_3gpuE0ELNS1_3repE0EEENS1_30default_config_static_selectorELNS0_4arch9wavefront6targetE0EEEvS14_
	.p2align	8
	.type	_ZN7rocprim17ROCPRIM_400000_NS6detail17trampoline_kernelINS0_14default_configENS1_22reduce_config_selectorIN6thrust23THRUST_200600_302600_NS5tupleIblNS6_9null_typeES8_S8_S8_S8_S8_S8_S8_EEEEZNS1_11reduce_implILb1ES3_NS6_12zip_iteratorINS7_INS6_11hip_rocprim26transform_input_iterator_tIbNSD_35transform_pair_of_input_iterators_tIbNS6_6detail15normal_iteratorINS6_10device_ptrIKsEEEESL_NS6_8equal_toIsEEEENSG_9not_fun_tINSD_8identityEEEEENSD_19counting_iterator_tIlEES8_S8_S8_S8_S8_S8_S8_S8_EEEEPS9_S9_NSD_9__find_if7functorIS9_EEEE10hipError_tPvRmT1_T2_T3_mT4_P12ihipStream_tbEUlT_E0_NS1_11comp_targetILNS1_3genE0ELNS1_11target_archE4294967295ELNS1_3gpuE0ELNS1_3repE0EEENS1_30default_config_static_selectorELNS0_4arch9wavefront6targetE0EEEvS14_,@function
_ZN7rocprim17ROCPRIM_400000_NS6detail17trampoline_kernelINS0_14default_configENS1_22reduce_config_selectorIN6thrust23THRUST_200600_302600_NS5tupleIblNS6_9null_typeES8_S8_S8_S8_S8_S8_S8_EEEEZNS1_11reduce_implILb1ES3_NS6_12zip_iteratorINS7_INS6_11hip_rocprim26transform_input_iterator_tIbNSD_35transform_pair_of_input_iterators_tIbNS6_6detail15normal_iteratorINS6_10device_ptrIKsEEEESL_NS6_8equal_toIsEEEENSG_9not_fun_tINSD_8identityEEEEENSD_19counting_iterator_tIlEES8_S8_S8_S8_S8_S8_S8_S8_EEEEPS9_S9_NSD_9__find_if7functorIS9_EEEE10hipError_tPvRmT1_T2_T3_mT4_P12ihipStream_tbEUlT_E0_NS1_11comp_targetILNS1_3genE0ELNS1_11target_archE4294967295ELNS1_3gpuE0ELNS1_3repE0EEENS1_30default_config_static_selectorELNS0_4arch9wavefront6targetE0EEEvS14_: ; @_ZN7rocprim17ROCPRIM_400000_NS6detail17trampoline_kernelINS0_14default_configENS1_22reduce_config_selectorIN6thrust23THRUST_200600_302600_NS5tupleIblNS6_9null_typeES8_S8_S8_S8_S8_S8_S8_EEEEZNS1_11reduce_implILb1ES3_NS6_12zip_iteratorINS7_INS6_11hip_rocprim26transform_input_iterator_tIbNSD_35transform_pair_of_input_iterators_tIbNS6_6detail15normal_iteratorINS6_10device_ptrIKsEEEESL_NS6_8equal_toIsEEEENSG_9not_fun_tINSD_8identityEEEEENSD_19counting_iterator_tIlEES8_S8_S8_S8_S8_S8_S8_S8_EEEEPS9_S9_NSD_9__find_if7functorIS9_EEEE10hipError_tPvRmT1_T2_T3_mT4_P12ihipStream_tbEUlT_E0_NS1_11comp_targetILNS1_3genE0ELNS1_11target_archE4294967295ELNS1_3gpuE0ELNS1_3repE0EEENS1_30default_config_static_selectorELNS0_4arch9wavefront6targetE0EEEvS14_
; %bb.0:
	.section	.rodata,"a",@progbits
	.p2align	6, 0x0
	.amdhsa_kernel _ZN7rocprim17ROCPRIM_400000_NS6detail17trampoline_kernelINS0_14default_configENS1_22reduce_config_selectorIN6thrust23THRUST_200600_302600_NS5tupleIblNS6_9null_typeES8_S8_S8_S8_S8_S8_S8_EEEEZNS1_11reduce_implILb1ES3_NS6_12zip_iteratorINS7_INS6_11hip_rocprim26transform_input_iterator_tIbNSD_35transform_pair_of_input_iterators_tIbNS6_6detail15normal_iteratorINS6_10device_ptrIKsEEEESL_NS6_8equal_toIsEEEENSG_9not_fun_tINSD_8identityEEEEENSD_19counting_iterator_tIlEES8_S8_S8_S8_S8_S8_S8_S8_EEEEPS9_S9_NSD_9__find_if7functorIS9_EEEE10hipError_tPvRmT1_T2_T3_mT4_P12ihipStream_tbEUlT_E0_NS1_11comp_targetILNS1_3genE0ELNS1_11target_archE4294967295ELNS1_3gpuE0ELNS1_3repE0EEENS1_30default_config_static_selectorELNS0_4arch9wavefront6targetE0EEEvS14_
		.amdhsa_group_segment_fixed_size 0
		.amdhsa_private_segment_fixed_size 0
		.amdhsa_kernarg_size 104
		.amdhsa_user_sgpr_count 6
		.amdhsa_user_sgpr_private_segment_buffer 1
		.amdhsa_user_sgpr_dispatch_ptr 0
		.amdhsa_user_sgpr_queue_ptr 0
		.amdhsa_user_sgpr_kernarg_segment_ptr 1
		.amdhsa_user_sgpr_dispatch_id 0
		.amdhsa_user_sgpr_flat_scratch_init 0
		.amdhsa_user_sgpr_private_segment_size 0
		.amdhsa_wavefront_size32 1
		.amdhsa_uses_dynamic_stack 0
		.amdhsa_system_sgpr_private_segment_wavefront_offset 0
		.amdhsa_system_sgpr_workgroup_id_x 1
		.amdhsa_system_sgpr_workgroup_id_y 0
		.amdhsa_system_sgpr_workgroup_id_z 0
		.amdhsa_system_sgpr_workgroup_info 0
		.amdhsa_system_vgpr_workitem_id 0
		.amdhsa_next_free_vgpr 1
		.amdhsa_next_free_sgpr 1
		.amdhsa_reserve_vcc 0
		.amdhsa_reserve_flat_scratch 0
		.amdhsa_float_round_mode_32 0
		.amdhsa_float_round_mode_16_64 0
		.amdhsa_float_denorm_mode_32 3
		.amdhsa_float_denorm_mode_16_64 3
		.amdhsa_dx10_clamp 1
		.amdhsa_ieee_mode 1
		.amdhsa_fp16_overflow 0
		.amdhsa_workgroup_processor_mode 1
		.amdhsa_memory_ordered 1
		.amdhsa_forward_progress 1
		.amdhsa_shared_vgpr_count 0
		.amdhsa_exception_fp_ieee_invalid_op 0
		.amdhsa_exception_fp_denorm_src 0
		.amdhsa_exception_fp_ieee_div_zero 0
		.amdhsa_exception_fp_ieee_overflow 0
		.amdhsa_exception_fp_ieee_underflow 0
		.amdhsa_exception_fp_ieee_inexact 0
		.amdhsa_exception_int_div_zero 0
	.end_amdhsa_kernel
	.section	.text._ZN7rocprim17ROCPRIM_400000_NS6detail17trampoline_kernelINS0_14default_configENS1_22reduce_config_selectorIN6thrust23THRUST_200600_302600_NS5tupleIblNS6_9null_typeES8_S8_S8_S8_S8_S8_S8_EEEEZNS1_11reduce_implILb1ES3_NS6_12zip_iteratorINS7_INS6_11hip_rocprim26transform_input_iterator_tIbNSD_35transform_pair_of_input_iterators_tIbNS6_6detail15normal_iteratorINS6_10device_ptrIKsEEEESL_NS6_8equal_toIsEEEENSG_9not_fun_tINSD_8identityEEEEENSD_19counting_iterator_tIlEES8_S8_S8_S8_S8_S8_S8_S8_EEEEPS9_S9_NSD_9__find_if7functorIS9_EEEE10hipError_tPvRmT1_T2_T3_mT4_P12ihipStream_tbEUlT_E0_NS1_11comp_targetILNS1_3genE0ELNS1_11target_archE4294967295ELNS1_3gpuE0ELNS1_3repE0EEENS1_30default_config_static_selectorELNS0_4arch9wavefront6targetE0EEEvS14_,"axG",@progbits,_ZN7rocprim17ROCPRIM_400000_NS6detail17trampoline_kernelINS0_14default_configENS1_22reduce_config_selectorIN6thrust23THRUST_200600_302600_NS5tupleIblNS6_9null_typeES8_S8_S8_S8_S8_S8_S8_EEEEZNS1_11reduce_implILb1ES3_NS6_12zip_iteratorINS7_INS6_11hip_rocprim26transform_input_iterator_tIbNSD_35transform_pair_of_input_iterators_tIbNS6_6detail15normal_iteratorINS6_10device_ptrIKsEEEESL_NS6_8equal_toIsEEEENSG_9not_fun_tINSD_8identityEEEEENSD_19counting_iterator_tIlEES8_S8_S8_S8_S8_S8_S8_S8_EEEEPS9_S9_NSD_9__find_if7functorIS9_EEEE10hipError_tPvRmT1_T2_T3_mT4_P12ihipStream_tbEUlT_E0_NS1_11comp_targetILNS1_3genE0ELNS1_11target_archE4294967295ELNS1_3gpuE0ELNS1_3repE0EEENS1_30default_config_static_selectorELNS0_4arch9wavefront6targetE0EEEvS14_,comdat
.Lfunc_end581:
	.size	_ZN7rocprim17ROCPRIM_400000_NS6detail17trampoline_kernelINS0_14default_configENS1_22reduce_config_selectorIN6thrust23THRUST_200600_302600_NS5tupleIblNS6_9null_typeES8_S8_S8_S8_S8_S8_S8_EEEEZNS1_11reduce_implILb1ES3_NS6_12zip_iteratorINS7_INS6_11hip_rocprim26transform_input_iterator_tIbNSD_35transform_pair_of_input_iterators_tIbNS6_6detail15normal_iteratorINS6_10device_ptrIKsEEEESL_NS6_8equal_toIsEEEENSG_9not_fun_tINSD_8identityEEEEENSD_19counting_iterator_tIlEES8_S8_S8_S8_S8_S8_S8_S8_EEEEPS9_S9_NSD_9__find_if7functorIS9_EEEE10hipError_tPvRmT1_T2_T3_mT4_P12ihipStream_tbEUlT_E0_NS1_11comp_targetILNS1_3genE0ELNS1_11target_archE4294967295ELNS1_3gpuE0ELNS1_3repE0EEENS1_30default_config_static_selectorELNS0_4arch9wavefront6targetE0EEEvS14_, .Lfunc_end581-_ZN7rocprim17ROCPRIM_400000_NS6detail17trampoline_kernelINS0_14default_configENS1_22reduce_config_selectorIN6thrust23THRUST_200600_302600_NS5tupleIblNS6_9null_typeES8_S8_S8_S8_S8_S8_S8_EEEEZNS1_11reduce_implILb1ES3_NS6_12zip_iteratorINS7_INS6_11hip_rocprim26transform_input_iterator_tIbNSD_35transform_pair_of_input_iterators_tIbNS6_6detail15normal_iteratorINS6_10device_ptrIKsEEEESL_NS6_8equal_toIsEEEENSG_9not_fun_tINSD_8identityEEEEENSD_19counting_iterator_tIlEES8_S8_S8_S8_S8_S8_S8_S8_EEEEPS9_S9_NSD_9__find_if7functorIS9_EEEE10hipError_tPvRmT1_T2_T3_mT4_P12ihipStream_tbEUlT_E0_NS1_11comp_targetILNS1_3genE0ELNS1_11target_archE4294967295ELNS1_3gpuE0ELNS1_3repE0EEENS1_30default_config_static_selectorELNS0_4arch9wavefront6targetE0EEEvS14_
                                        ; -- End function
	.set _ZN7rocprim17ROCPRIM_400000_NS6detail17trampoline_kernelINS0_14default_configENS1_22reduce_config_selectorIN6thrust23THRUST_200600_302600_NS5tupleIblNS6_9null_typeES8_S8_S8_S8_S8_S8_S8_EEEEZNS1_11reduce_implILb1ES3_NS6_12zip_iteratorINS7_INS6_11hip_rocprim26transform_input_iterator_tIbNSD_35transform_pair_of_input_iterators_tIbNS6_6detail15normal_iteratorINS6_10device_ptrIKsEEEESL_NS6_8equal_toIsEEEENSG_9not_fun_tINSD_8identityEEEEENSD_19counting_iterator_tIlEES8_S8_S8_S8_S8_S8_S8_S8_EEEEPS9_S9_NSD_9__find_if7functorIS9_EEEE10hipError_tPvRmT1_T2_T3_mT4_P12ihipStream_tbEUlT_E0_NS1_11comp_targetILNS1_3genE0ELNS1_11target_archE4294967295ELNS1_3gpuE0ELNS1_3repE0EEENS1_30default_config_static_selectorELNS0_4arch9wavefront6targetE0EEEvS14_.num_vgpr, 0
	.set _ZN7rocprim17ROCPRIM_400000_NS6detail17trampoline_kernelINS0_14default_configENS1_22reduce_config_selectorIN6thrust23THRUST_200600_302600_NS5tupleIblNS6_9null_typeES8_S8_S8_S8_S8_S8_S8_EEEEZNS1_11reduce_implILb1ES3_NS6_12zip_iteratorINS7_INS6_11hip_rocprim26transform_input_iterator_tIbNSD_35transform_pair_of_input_iterators_tIbNS6_6detail15normal_iteratorINS6_10device_ptrIKsEEEESL_NS6_8equal_toIsEEEENSG_9not_fun_tINSD_8identityEEEEENSD_19counting_iterator_tIlEES8_S8_S8_S8_S8_S8_S8_S8_EEEEPS9_S9_NSD_9__find_if7functorIS9_EEEE10hipError_tPvRmT1_T2_T3_mT4_P12ihipStream_tbEUlT_E0_NS1_11comp_targetILNS1_3genE0ELNS1_11target_archE4294967295ELNS1_3gpuE0ELNS1_3repE0EEENS1_30default_config_static_selectorELNS0_4arch9wavefront6targetE0EEEvS14_.num_agpr, 0
	.set _ZN7rocprim17ROCPRIM_400000_NS6detail17trampoline_kernelINS0_14default_configENS1_22reduce_config_selectorIN6thrust23THRUST_200600_302600_NS5tupleIblNS6_9null_typeES8_S8_S8_S8_S8_S8_S8_EEEEZNS1_11reduce_implILb1ES3_NS6_12zip_iteratorINS7_INS6_11hip_rocprim26transform_input_iterator_tIbNSD_35transform_pair_of_input_iterators_tIbNS6_6detail15normal_iteratorINS6_10device_ptrIKsEEEESL_NS6_8equal_toIsEEEENSG_9not_fun_tINSD_8identityEEEEENSD_19counting_iterator_tIlEES8_S8_S8_S8_S8_S8_S8_S8_EEEEPS9_S9_NSD_9__find_if7functorIS9_EEEE10hipError_tPvRmT1_T2_T3_mT4_P12ihipStream_tbEUlT_E0_NS1_11comp_targetILNS1_3genE0ELNS1_11target_archE4294967295ELNS1_3gpuE0ELNS1_3repE0EEENS1_30default_config_static_selectorELNS0_4arch9wavefront6targetE0EEEvS14_.numbered_sgpr, 0
	.set _ZN7rocprim17ROCPRIM_400000_NS6detail17trampoline_kernelINS0_14default_configENS1_22reduce_config_selectorIN6thrust23THRUST_200600_302600_NS5tupleIblNS6_9null_typeES8_S8_S8_S8_S8_S8_S8_EEEEZNS1_11reduce_implILb1ES3_NS6_12zip_iteratorINS7_INS6_11hip_rocprim26transform_input_iterator_tIbNSD_35transform_pair_of_input_iterators_tIbNS6_6detail15normal_iteratorINS6_10device_ptrIKsEEEESL_NS6_8equal_toIsEEEENSG_9not_fun_tINSD_8identityEEEEENSD_19counting_iterator_tIlEES8_S8_S8_S8_S8_S8_S8_S8_EEEEPS9_S9_NSD_9__find_if7functorIS9_EEEE10hipError_tPvRmT1_T2_T3_mT4_P12ihipStream_tbEUlT_E0_NS1_11comp_targetILNS1_3genE0ELNS1_11target_archE4294967295ELNS1_3gpuE0ELNS1_3repE0EEENS1_30default_config_static_selectorELNS0_4arch9wavefront6targetE0EEEvS14_.num_named_barrier, 0
	.set _ZN7rocprim17ROCPRIM_400000_NS6detail17trampoline_kernelINS0_14default_configENS1_22reduce_config_selectorIN6thrust23THRUST_200600_302600_NS5tupleIblNS6_9null_typeES8_S8_S8_S8_S8_S8_S8_EEEEZNS1_11reduce_implILb1ES3_NS6_12zip_iteratorINS7_INS6_11hip_rocprim26transform_input_iterator_tIbNSD_35transform_pair_of_input_iterators_tIbNS6_6detail15normal_iteratorINS6_10device_ptrIKsEEEESL_NS6_8equal_toIsEEEENSG_9not_fun_tINSD_8identityEEEEENSD_19counting_iterator_tIlEES8_S8_S8_S8_S8_S8_S8_S8_EEEEPS9_S9_NSD_9__find_if7functorIS9_EEEE10hipError_tPvRmT1_T2_T3_mT4_P12ihipStream_tbEUlT_E0_NS1_11comp_targetILNS1_3genE0ELNS1_11target_archE4294967295ELNS1_3gpuE0ELNS1_3repE0EEENS1_30default_config_static_selectorELNS0_4arch9wavefront6targetE0EEEvS14_.private_seg_size, 0
	.set _ZN7rocprim17ROCPRIM_400000_NS6detail17trampoline_kernelINS0_14default_configENS1_22reduce_config_selectorIN6thrust23THRUST_200600_302600_NS5tupleIblNS6_9null_typeES8_S8_S8_S8_S8_S8_S8_EEEEZNS1_11reduce_implILb1ES3_NS6_12zip_iteratorINS7_INS6_11hip_rocprim26transform_input_iterator_tIbNSD_35transform_pair_of_input_iterators_tIbNS6_6detail15normal_iteratorINS6_10device_ptrIKsEEEESL_NS6_8equal_toIsEEEENSG_9not_fun_tINSD_8identityEEEEENSD_19counting_iterator_tIlEES8_S8_S8_S8_S8_S8_S8_S8_EEEEPS9_S9_NSD_9__find_if7functorIS9_EEEE10hipError_tPvRmT1_T2_T3_mT4_P12ihipStream_tbEUlT_E0_NS1_11comp_targetILNS1_3genE0ELNS1_11target_archE4294967295ELNS1_3gpuE0ELNS1_3repE0EEENS1_30default_config_static_selectorELNS0_4arch9wavefront6targetE0EEEvS14_.uses_vcc, 0
	.set _ZN7rocprim17ROCPRIM_400000_NS6detail17trampoline_kernelINS0_14default_configENS1_22reduce_config_selectorIN6thrust23THRUST_200600_302600_NS5tupleIblNS6_9null_typeES8_S8_S8_S8_S8_S8_S8_EEEEZNS1_11reduce_implILb1ES3_NS6_12zip_iteratorINS7_INS6_11hip_rocprim26transform_input_iterator_tIbNSD_35transform_pair_of_input_iterators_tIbNS6_6detail15normal_iteratorINS6_10device_ptrIKsEEEESL_NS6_8equal_toIsEEEENSG_9not_fun_tINSD_8identityEEEEENSD_19counting_iterator_tIlEES8_S8_S8_S8_S8_S8_S8_S8_EEEEPS9_S9_NSD_9__find_if7functorIS9_EEEE10hipError_tPvRmT1_T2_T3_mT4_P12ihipStream_tbEUlT_E0_NS1_11comp_targetILNS1_3genE0ELNS1_11target_archE4294967295ELNS1_3gpuE0ELNS1_3repE0EEENS1_30default_config_static_selectorELNS0_4arch9wavefront6targetE0EEEvS14_.uses_flat_scratch, 0
	.set _ZN7rocprim17ROCPRIM_400000_NS6detail17trampoline_kernelINS0_14default_configENS1_22reduce_config_selectorIN6thrust23THRUST_200600_302600_NS5tupleIblNS6_9null_typeES8_S8_S8_S8_S8_S8_S8_EEEEZNS1_11reduce_implILb1ES3_NS6_12zip_iteratorINS7_INS6_11hip_rocprim26transform_input_iterator_tIbNSD_35transform_pair_of_input_iterators_tIbNS6_6detail15normal_iteratorINS6_10device_ptrIKsEEEESL_NS6_8equal_toIsEEEENSG_9not_fun_tINSD_8identityEEEEENSD_19counting_iterator_tIlEES8_S8_S8_S8_S8_S8_S8_S8_EEEEPS9_S9_NSD_9__find_if7functorIS9_EEEE10hipError_tPvRmT1_T2_T3_mT4_P12ihipStream_tbEUlT_E0_NS1_11comp_targetILNS1_3genE0ELNS1_11target_archE4294967295ELNS1_3gpuE0ELNS1_3repE0EEENS1_30default_config_static_selectorELNS0_4arch9wavefront6targetE0EEEvS14_.has_dyn_sized_stack, 0
	.set _ZN7rocprim17ROCPRIM_400000_NS6detail17trampoline_kernelINS0_14default_configENS1_22reduce_config_selectorIN6thrust23THRUST_200600_302600_NS5tupleIblNS6_9null_typeES8_S8_S8_S8_S8_S8_S8_EEEEZNS1_11reduce_implILb1ES3_NS6_12zip_iteratorINS7_INS6_11hip_rocprim26transform_input_iterator_tIbNSD_35transform_pair_of_input_iterators_tIbNS6_6detail15normal_iteratorINS6_10device_ptrIKsEEEESL_NS6_8equal_toIsEEEENSG_9not_fun_tINSD_8identityEEEEENSD_19counting_iterator_tIlEES8_S8_S8_S8_S8_S8_S8_S8_EEEEPS9_S9_NSD_9__find_if7functorIS9_EEEE10hipError_tPvRmT1_T2_T3_mT4_P12ihipStream_tbEUlT_E0_NS1_11comp_targetILNS1_3genE0ELNS1_11target_archE4294967295ELNS1_3gpuE0ELNS1_3repE0EEENS1_30default_config_static_selectorELNS0_4arch9wavefront6targetE0EEEvS14_.has_recursion, 0
	.set _ZN7rocprim17ROCPRIM_400000_NS6detail17trampoline_kernelINS0_14default_configENS1_22reduce_config_selectorIN6thrust23THRUST_200600_302600_NS5tupleIblNS6_9null_typeES8_S8_S8_S8_S8_S8_S8_EEEEZNS1_11reduce_implILb1ES3_NS6_12zip_iteratorINS7_INS6_11hip_rocprim26transform_input_iterator_tIbNSD_35transform_pair_of_input_iterators_tIbNS6_6detail15normal_iteratorINS6_10device_ptrIKsEEEESL_NS6_8equal_toIsEEEENSG_9not_fun_tINSD_8identityEEEEENSD_19counting_iterator_tIlEES8_S8_S8_S8_S8_S8_S8_S8_EEEEPS9_S9_NSD_9__find_if7functorIS9_EEEE10hipError_tPvRmT1_T2_T3_mT4_P12ihipStream_tbEUlT_E0_NS1_11comp_targetILNS1_3genE0ELNS1_11target_archE4294967295ELNS1_3gpuE0ELNS1_3repE0EEENS1_30default_config_static_selectorELNS0_4arch9wavefront6targetE0EEEvS14_.has_indirect_call, 0
	.section	.AMDGPU.csdata,"",@progbits
; Kernel info:
; codeLenInByte = 0
; TotalNumSgprs: 0
; NumVgprs: 0
; ScratchSize: 0
; MemoryBound: 0
; FloatMode: 240
; IeeeMode: 1
; LDSByteSize: 0 bytes/workgroup (compile time only)
; SGPRBlocks: 0
; VGPRBlocks: 0
; NumSGPRsForWavesPerEU: 1
; NumVGPRsForWavesPerEU: 1
; Occupancy: 16
; WaveLimiterHint : 0
; COMPUTE_PGM_RSRC2:SCRATCH_EN: 0
; COMPUTE_PGM_RSRC2:USER_SGPR: 6
; COMPUTE_PGM_RSRC2:TRAP_HANDLER: 0
; COMPUTE_PGM_RSRC2:TGID_X_EN: 1
; COMPUTE_PGM_RSRC2:TGID_Y_EN: 0
; COMPUTE_PGM_RSRC2:TGID_Z_EN: 0
; COMPUTE_PGM_RSRC2:TIDIG_COMP_CNT: 0
	.section	.text._ZN7rocprim17ROCPRIM_400000_NS6detail17trampoline_kernelINS0_14default_configENS1_22reduce_config_selectorIN6thrust23THRUST_200600_302600_NS5tupleIblNS6_9null_typeES8_S8_S8_S8_S8_S8_S8_EEEEZNS1_11reduce_implILb1ES3_NS6_12zip_iteratorINS7_INS6_11hip_rocprim26transform_input_iterator_tIbNSD_35transform_pair_of_input_iterators_tIbNS6_6detail15normal_iteratorINS6_10device_ptrIKsEEEESL_NS6_8equal_toIsEEEENSG_9not_fun_tINSD_8identityEEEEENSD_19counting_iterator_tIlEES8_S8_S8_S8_S8_S8_S8_S8_EEEEPS9_S9_NSD_9__find_if7functorIS9_EEEE10hipError_tPvRmT1_T2_T3_mT4_P12ihipStream_tbEUlT_E0_NS1_11comp_targetILNS1_3genE5ELNS1_11target_archE942ELNS1_3gpuE9ELNS1_3repE0EEENS1_30default_config_static_selectorELNS0_4arch9wavefront6targetE0EEEvS14_,"axG",@progbits,_ZN7rocprim17ROCPRIM_400000_NS6detail17trampoline_kernelINS0_14default_configENS1_22reduce_config_selectorIN6thrust23THRUST_200600_302600_NS5tupleIblNS6_9null_typeES8_S8_S8_S8_S8_S8_S8_EEEEZNS1_11reduce_implILb1ES3_NS6_12zip_iteratorINS7_INS6_11hip_rocprim26transform_input_iterator_tIbNSD_35transform_pair_of_input_iterators_tIbNS6_6detail15normal_iteratorINS6_10device_ptrIKsEEEESL_NS6_8equal_toIsEEEENSG_9not_fun_tINSD_8identityEEEEENSD_19counting_iterator_tIlEES8_S8_S8_S8_S8_S8_S8_S8_EEEEPS9_S9_NSD_9__find_if7functorIS9_EEEE10hipError_tPvRmT1_T2_T3_mT4_P12ihipStream_tbEUlT_E0_NS1_11comp_targetILNS1_3genE5ELNS1_11target_archE942ELNS1_3gpuE9ELNS1_3repE0EEENS1_30default_config_static_selectorELNS0_4arch9wavefront6targetE0EEEvS14_,comdat
	.protected	_ZN7rocprim17ROCPRIM_400000_NS6detail17trampoline_kernelINS0_14default_configENS1_22reduce_config_selectorIN6thrust23THRUST_200600_302600_NS5tupleIblNS6_9null_typeES8_S8_S8_S8_S8_S8_S8_EEEEZNS1_11reduce_implILb1ES3_NS6_12zip_iteratorINS7_INS6_11hip_rocprim26transform_input_iterator_tIbNSD_35transform_pair_of_input_iterators_tIbNS6_6detail15normal_iteratorINS6_10device_ptrIKsEEEESL_NS6_8equal_toIsEEEENSG_9not_fun_tINSD_8identityEEEEENSD_19counting_iterator_tIlEES8_S8_S8_S8_S8_S8_S8_S8_EEEEPS9_S9_NSD_9__find_if7functorIS9_EEEE10hipError_tPvRmT1_T2_T3_mT4_P12ihipStream_tbEUlT_E0_NS1_11comp_targetILNS1_3genE5ELNS1_11target_archE942ELNS1_3gpuE9ELNS1_3repE0EEENS1_30default_config_static_selectorELNS0_4arch9wavefront6targetE0EEEvS14_ ; -- Begin function _ZN7rocprim17ROCPRIM_400000_NS6detail17trampoline_kernelINS0_14default_configENS1_22reduce_config_selectorIN6thrust23THRUST_200600_302600_NS5tupleIblNS6_9null_typeES8_S8_S8_S8_S8_S8_S8_EEEEZNS1_11reduce_implILb1ES3_NS6_12zip_iteratorINS7_INS6_11hip_rocprim26transform_input_iterator_tIbNSD_35transform_pair_of_input_iterators_tIbNS6_6detail15normal_iteratorINS6_10device_ptrIKsEEEESL_NS6_8equal_toIsEEEENSG_9not_fun_tINSD_8identityEEEEENSD_19counting_iterator_tIlEES8_S8_S8_S8_S8_S8_S8_S8_EEEEPS9_S9_NSD_9__find_if7functorIS9_EEEE10hipError_tPvRmT1_T2_T3_mT4_P12ihipStream_tbEUlT_E0_NS1_11comp_targetILNS1_3genE5ELNS1_11target_archE942ELNS1_3gpuE9ELNS1_3repE0EEENS1_30default_config_static_selectorELNS0_4arch9wavefront6targetE0EEEvS14_
	.globl	_ZN7rocprim17ROCPRIM_400000_NS6detail17trampoline_kernelINS0_14default_configENS1_22reduce_config_selectorIN6thrust23THRUST_200600_302600_NS5tupleIblNS6_9null_typeES8_S8_S8_S8_S8_S8_S8_EEEEZNS1_11reduce_implILb1ES3_NS6_12zip_iteratorINS7_INS6_11hip_rocprim26transform_input_iterator_tIbNSD_35transform_pair_of_input_iterators_tIbNS6_6detail15normal_iteratorINS6_10device_ptrIKsEEEESL_NS6_8equal_toIsEEEENSG_9not_fun_tINSD_8identityEEEEENSD_19counting_iterator_tIlEES8_S8_S8_S8_S8_S8_S8_S8_EEEEPS9_S9_NSD_9__find_if7functorIS9_EEEE10hipError_tPvRmT1_T2_T3_mT4_P12ihipStream_tbEUlT_E0_NS1_11comp_targetILNS1_3genE5ELNS1_11target_archE942ELNS1_3gpuE9ELNS1_3repE0EEENS1_30default_config_static_selectorELNS0_4arch9wavefront6targetE0EEEvS14_
	.p2align	8
	.type	_ZN7rocprim17ROCPRIM_400000_NS6detail17trampoline_kernelINS0_14default_configENS1_22reduce_config_selectorIN6thrust23THRUST_200600_302600_NS5tupleIblNS6_9null_typeES8_S8_S8_S8_S8_S8_S8_EEEEZNS1_11reduce_implILb1ES3_NS6_12zip_iteratorINS7_INS6_11hip_rocprim26transform_input_iterator_tIbNSD_35transform_pair_of_input_iterators_tIbNS6_6detail15normal_iteratorINS6_10device_ptrIKsEEEESL_NS6_8equal_toIsEEEENSG_9not_fun_tINSD_8identityEEEEENSD_19counting_iterator_tIlEES8_S8_S8_S8_S8_S8_S8_S8_EEEEPS9_S9_NSD_9__find_if7functorIS9_EEEE10hipError_tPvRmT1_T2_T3_mT4_P12ihipStream_tbEUlT_E0_NS1_11comp_targetILNS1_3genE5ELNS1_11target_archE942ELNS1_3gpuE9ELNS1_3repE0EEENS1_30default_config_static_selectorELNS0_4arch9wavefront6targetE0EEEvS14_,@function
_ZN7rocprim17ROCPRIM_400000_NS6detail17trampoline_kernelINS0_14default_configENS1_22reduce_config_selectorIN6thrust23THRUST_200600_302600_NS5tupleIblNS6_9null_typeES8_S8_S8_S8_S8_S8_S8_EEEEZNS1_11reduce_implILb1ES3_NS6_12zip_iteratorINS7_INS6_11hip_rocprim26transform_input_iterator_tIbNSD_35transform_pair_of_input_iterators_tIbNS6_6detail15normal_iteratorINS6_10device_ptrIKsEEEESL_NS6_8equal_toIsEEEENSG_9not_fun_tINSD_8identityEEEEENSD_19counting_iterator_tIlEES8_S8_S8_S8_S8_S8_S8_S8_EEEEPS9_S9_NSD_9__find_if7functorIS9_EEEE10hipError_tPvRmT1_T2_T3_mT4_P12ihipStream_tbEUlT_E0_NS1_11comp_targetILNS1_3genE5ELNS1_11target_archE942ELNS1_3gpuE9ELNS1_3repE0EEENS1_30default_config_static_selectorELNS0_4arch9wavefront6targetE0EEEvS14_: ; @_ZN7rocprim17ROCPRIM_400000_NS6detail17trampoline_kernelINS0_14default_configENS1_22reduce_config_selectorIN6thrust23THRUST_200600_302600_NS5tupleIblNS6_9null_typeES8_S8_S8_S8_S8_S8_S8_EEEEZNS1_11reduce_implILb1ES3_NS6_12zip_iteratorINS7_INS6_11hip_rocprim26transform_input_iterator_tIbNSD_35transform_pair_of_input_iterators_tIbNS6_6detail15normal_iteratorINS6_10device_ptrIKsEEEESL_NS6_8equal_toIsEEEENSG_9not_fun_tINSD_8identityEEEEENSD_19counting_iterator_tIlEES8_S8_S8_S8_S8_S8_S8_S8_EEEEPS9_S9_NSD_9__find_if7functorIS9_EEEE10hipError_tPvRmT1_T2_T3_mT4_P12ihipStream_tbEUlT_E0_NS1_11comp_targetILNS1_3genE5ELNS1_11target_archE942ELNS1_3gpuE9ELNS1_3repE0EEENS1_30default_config_static_selectorELNS0_4arch9wavefront6targetE0EEEvS14_
; %bb.0:
	.section	.rodata,"a",@progbits
	.p2align	6, 0x0
	.amdhsa_kernel _ZN7rocprim17ROCPRIM_400000_NS6detail17trampoline_kernelINS0_14default_configENS1_22reduce_config_selectorIN6thrust23THRUST_200600_302600_NS5tupleIblNS6_9null_typeES8_S8_S8_S8_S8_S8_S8_EEEEZNS1_11reduce_implILb1ES3_NS6_12zip_iteratorINS7_INS6_11hip_rocprim26transform_input_iterator_tIbNSD_35transform_pair_of_input_iterators_tIbNS6_6detail15normal_iteratorINS6_10device_ptrIKsEEEESL_NS6_8equal_toIsEEEENSG_9not_fun_tINSD_8identityEEEEENSD_19counting_iterator_tIlEES8_S8_S8_S8_S8_S8_S8_S8_EEEEPS9_S9_NSD_9__find_if7functorIS9_EEEE10hipError_tPvRmT1_T2_T3_mT4_P12ihipStream_tbEUlT_E0_NS1_11comp_targetILNS1_3genE5ELNS1_11target_archE942ELNS1_3gpuE9ELNS1_3repE0EEENS1_30default_config_static_selectorELNS0_4arch9wavefront6targetE0EEEvS14_
		.amdhsa_group_segment_fixed_size 0
		.amdhsa_private_segment_fixed_size 0
		.amdhsa_kernarg_size 104
		.amdhsa_user_sgpr_count 6
		.amdhsa_user_sgpr_private_segment_buffer 1
		.amdhsa_user_sgpr_dispatch_ptr 0
		.amdhsa_user_sgpr_queue_ptr 0
		.amdhsa_user_sgpr_kernarg_segment_ptr 1
		.amdhsa_user_sgpr_dispatch_id 0
		.amdhsa_user_sgpr_flat_scratch_init 0
		.amdhsa_user_sgpr_private_segment_size 0
		.amdhsa_wavefront_size32 1
		.amdhsa_uses_dynamic_stack 0
		.amdhsa_system_sgpr_private_segment_wavefront_offset 0
		.amdhsa_system_sgpr_workgroup_id_x 1
		.amdhsa_system_sgpr_workgroup_id_y 0
		.amdhsa_system_sgpr_workgroup_id_z 0
		.amdhsa_system_sgpr_workgroup_info 0
		.amdhsa_system_vgpr_workitem_id 0
		.amdhsa_next_free_vgpr 1
		.amdhsa_next_free_sgpr 1
		.amdhsa_reserve_vcc 0
		.amdhsa_reserve_flat_scratch 0
		.amdhsa_float_round_mode_32 0
		.amdhsa_float_round_mode_16_64 0
		.amdhsa_float_denorm_mode_32 3
		.amdhsa_float_denorm_mode_16_64 3
		.amdhsa_dx10_clamp 1
		.amdhsa_ieee_mode 1
		.amdhsa_fp16_overflow 0
		.amdhsa_workgroup_processor_mode 1
		.amdhsa_memory_ordered 1
		.amdhsa_forward_progress 1
		.amdhsa_shared_vgpr_count 0
		.amdhsa_exception_fp_ieee_invalid_op 0
		.amdhsa_exception_fp_denorm_src 0
		.amdhsa_exception_fp_ieee_div_zero 0
		.amdhsa_exception_fp_ieee_overflow 0
		.amdhsa_exception_fp_ieee_underflow 0
		.amdhsa_exception_fp_ieee_inexact 0
		.amdhsa_exception_int_div_zero 0
	.end_amdhsa_kernel
	.section	.text._ZN7rocprim17ROCPRIM_400000_NS6detail17trampoline_kernelINS0_14default_configENS1_22reduce_config_selectorIN6thrust23THRUST_200600_302600_NS5tupleIblNS6_9null_typeES8_S8_S8_S8_S8_S8_S8_EEEEZNS1_11reduce_implILb1ES3_NS6_12zip_iteratorINS7_INS6_11hip_rocprim26transform_input_iterator_tIbNSD_35transform_pair_of_input_iterators_tIbNS6_6detail15normal_iteratorINS6_10device_ptrIKsEEEESL_NS6_8equal_toIsEEEENSG_9not_fun_tINSD_8identityEEEEENSD_19counting_iterator_tIlEES8_S8_S8_S8_S8_S8_S8_S8_EEEEPS9_S9_NSD_9__find_if7functorIS9_EEEE10hipError_tPvRmT1_T2_T3_mT4_P12ihipStream_tbEUlT_E0_NS1_11comp_targetILNS1_3genE5ELNS1_11target_archE942ELNS1_3gpuE9ELNS1_3repE0EEENS1_30default_config_static_selectorELNS0_4arch9wavefront6targetE0EEEvS14_,"axG",@progbits,_ZN7rocprim17ROCPRIM_400000_NS6detail17trampoline_kernelINS0_14default_configENS1_22reduce_config_selectorIN6thrust23THRUST_200600_302600_NS5tupleIblNS6_9null_typeES8_S8_S8_S8_S8_S8_S8_EEEEZNS1_11reduce_implILb1ES3_NS6_12zip_iteratorINS7_INS6_11hip_rocprim26transform_input_iterator_tIbNSD_35transform_pair_of_input_iterators_tIbNS6_6detail15normal_iteratorINS6_10device_ptrIKsEEEESL_NS6_8equal_toIsEEEENSG_9not_fun_tINSD_8identityEEEEENSD_19counting_iterator_tIlEES8_S8_S8_S8_S8_S8_S8_S8_EEEEPS9_S9_NSD_9__find_if7functorIS9_EEEE10hipError_tPvRmT1_T2_T3_mT4_P12ihipStream_tbEUlT_E0_NS1_11comp_targetILNS1_3genE5ELNS1_11target_archE942ELNS1_3gpuE9ELNS1_3repE0EEENS1_30default_config_static_selectorELNS0_4arch9wavefront6targetE0EEEvS14_,comdat
.Lfunc_end582:
	.size	_ZN7rocprim17ROCPRIM_400000_NS6detail17trampoline_kernelINS0_14default_configENS1_22reduce_config_selectorIN6thrust23THRUST_200600_302600_NS5tupleIblNS6_9null_typeES8_S8_S8_S8_S8_S8_S8_EEEEZNS1_11reduce_implILb1ES3_NS6_12zip_iteratorINS7_INS6_11hip_rocprim26transform_input_iterator_tIbNSD_35transform_pair_of_input_iterators_tIbNS6_6detail15normal_iteratorINS6_10device_ptrIKsEEEESL_NS6_8equal_toIsEEEENSG_9not_fun_tINSD_8identityEEEEENSD_19counting_iterator_tIlEES8_S8_S8_S8_S8_S8_S8_S8_EEEEPS9_S9_NSD_9__find_if7functorIS9_EEEE10hipError_tPvRmT1_T2_T3_mT4_P12ihipStream_tbEUlT_E0_NS1_11comp_targetILNS1_3genE5ELNS1_11target_archE942ELNS1_3gpuE9ELNS1_3repE0EEENS1_30default_config_static_selectorELNS0_4arch9wavefront6targetE0EEEvS14_, .Lfunc_end582-_ZN7rocprim17ROCPRIM_400000_NS6detail17trampoline_kernelINS0_14default_configENS1_22reduce_config_selectorIN6thrust23THRUST_200600_302600_NS5tupleIblNS6_9null_typeES8_S8_S8_S8_S8_S8_S8_EEEEZNS1_11reduce_implILb1ES3_NS6_12zip_iteratorINS7_INS6_11hip_rocprim26transform_input_iterator_tIbNSD_35transform_pair_of_input_iterators_tIbNS6_6detail15normal_iteratorINS6_10device_ptrIKsEEEESL_NS6_8equal_toIsEEEENSG_9not_fun_tINSD_8identityEEEEENSD_19counting_iterator_tIlEES8_S8_S8_S8_S8_S8_S8_S8_EEEEPS9_S9_NSD_9__find_if7functorIS9_EEEE10hipError_tPvRmT1_T2_T3_mT4_P12ihipStream_tbEUlT_E0_NS1_11comp_targetILNS1_3genE5ELNS1_11target_archE942ELNS1_3gpuE9ELNS1_3repE0EEENS1_30default_config_static_selectorELNS0_4arch9wavefront6targetE0EEEvS14_
                                        ; -- End function
	.set _ZN7rocprim17ROCPRIM_400000_NS6detail17trampoline_kernelINS0_14default_configENS1_22reduce_config_selectorIN6thrust23THRUST_200600_302600_NS5tupleIblNS6_9null_typeES8_S8_S8_S8_S8_S8_S8_EEEEZNS1_11reduce_implILb1ES3_NS6_12zip_iteratorINS7_INS6_11hip_rocprim26transform_input_iterator_tIbNSD_35transform_pair_of_input_iterators_tIbNS6_6detail15normal_iteratorINS6_10device_ptrIKsEEEESL_NS6_8equal_toIsEEEENSG_9not_fun_tINSD_8identityEEEEENSD_19counting_iterator_tIlEES8_S8_S8_S8_S8_S8_S8_S8_EEEEPS9_S9_NSD_9__find_if7functorIS9_EEEE10hipError_tPvRmT1_T2_T3_mT4_P12ihipStream_tbEUlT_E0_NS1_11comp_targetILNS1_3genE5ELNS1_11target_archE942ELNS1_3gpuE9ELNS1_3repE0EEENS1_30default_config_static_selectorELNS0_4arch9wavefront6targetE0EEEvS14_.num_vgpr, 0
	.set _ZN7rocprim17ROCPRIM_400000_NS6detail17trampoline_kernelINS0_14default_configENS1_22reduce_config_selectorIN6thrust23THRUST_200600_302600_NS5tupleIblNS6_9null_typeES8_S8_S8_S8_S8_S8_S8_EEEEZNS1_11reduce_implILb1ES3_NS6_12zip_iteratorINS7_INS6_11hip_rocprim26transform_input_iterator_tIbNSD_35transform_pair_of_input_iterators_tIbNS6_6detail15normal_iteratorINS6_10device_ptrIKsEEEESL_NS6_8equal_toIsEEEENSG_9not_fun_tINSD_8identityEEEEENSD_19counting_iterator_tIlEES8_S8_S8_S8_S8_S8_S8_S8_EEEEPS9_S9_NSD_9__find_if7functorIS9_EEEE10hipError_tPvRmT1_T2_T3_mT4_P12ihipStream_tbEUlT_E0_NS1_11comp_targetILNS1_3genE5ELNS1_11target_archE942ELNS1_3gpuE9ELNS1_3repE0EEENS1_30default_config_static_selectorELNS0_4arch9wavefront6targetE0EEEvS14_.num_agpr, 0
	.set _ZN7rocprim17ROCPRIM_400000_NS6detail17trampoline_kernelINS0_14default_configENS1_22reduce_config_selectorIN6thrust23THRUST_200600_302600_NS5tupleIblNS6_9null_typeES8_S8_S8_S8_S8_S8_S8_EEEEZNS1_11reduce_implILb1ES3_NS6_12zip_iteratorINS7_INS6_11hip_rocprim26transform_input_iterator_tIbNSD_35transform_pair_of_input_iterators_tIbNS6_6detail15normal_iteratorINS6_10device_ptrIKsEEEESL_NS6_8equal_toIsEEEENSG_9not_fun_tINSD_8identityEEEEENSD_19counting_iterator_tIlEES8_S8_S8_S8_S8_S8_S8_S8_EEEEPS9_S9_NSD_9__find_if7functorIS9_EEEE10hipError_tPvRmT1_T2_T3_mT4_P12ihipStream_tbEUlT_E0_NS1_11comp_targetILNS1_3genE5ELNS1_11target_archE942ELNS1_3gpuE9ELNS1_3repE0EEENS1_30default_config_static_selectorELNS0_4arch9wavefront6targetE0EEEvS14_.numbered_sgpr, 0
	.set _ZN7rocprim17ROCPRIM_400000_NS6detail17trampoline_kernelINS0_14default_configENS1_22reduce_config_selectorIN6thrust23THRUST_200600_302600_NS5tupleIblNS6_9null_typeES8_S8_S8_S8_S8_S8_S8_EEEEZNS1_11reduce_implILb1ES3_NS6_12zip_iteratorINS7_INS6_11hip_rocprim26transform_input_iterator_tIbNSD_35transform_pair_of_input_iterators_tIbNS6_6detail15normal_iteratorINS6_10device_ptrIKsEEEESL_NS6_8equal_toIsEEEENSG_9not_fun_tINSD_8identityEEEEENSD_19counting_iterator_tIlEES8_S8_S8_S8_S8_S8_S8_S8_EEEEPS9_S9_NSD_9__find_if7functorIS9_EEEE10hipError_tPvRmT1_T2_T3_mT4_P12ihipStream_tbEUlT_E0_NS1_11comp_targetILNS1_3genE5ELNS1_11target_archE942ELNS1_3gpuE9ELNS1_3repE0EEENS1_30default_config_static_selectorELNS0_4arch9wavefront6targetE0EEEvS14_.num_named_barrier, 0
	.set _ZN7rocprim17ROCPRIM_400000_NS6detail17trampoline_kernelINS0_14default_configENS1_22reduce_config_selectorIN6thrust23THRUST_200600_302600_NS5tupleIblNS6_9null_typeES8_S8_S8_S8_S8_S8_S8_EEEEZNS1_11reduce_implILb1ES3_NS6_12zip_iteratorINS7_INS6_11hip_rocprim26transform_input_iterator_tIbNSD_35transform_pair_of_input_iterators_tIbNS6_6detail15normal_iteratorINS6_10device_ptrIKsEEEESL_NS6_8equal_toIsEEEENSG_9not_fun_tINSD_8identityEEEEENSD_19counting_iterator_tIlEES8_S8_S8_S8_S8_S8_S8_S8_EEEEPS9_S9_NSD_9__find_if7functorIS9_EEEE10hipError_tPvRmT1_T2_T3_mT4_P12ihipStream_tbEUlT_E0_NS1_11comp_targetILNS1_3genE5ELNS1_11target_archE942ELNS1_3gpuE9ELNS1_3repE0EEENS1_30default_config_static_selectorELNS0_4arch9wavefront6targetE0EEEvS14_.private_seg_size, 0
	.set _ZN7rocprim17ROCPRIM_400000_NS6detail17trampoline_kernelINS0_14default_configENS1_22reduce_config_selectorIN6thrust23THRUST_200600_302600_NS5tupleIblNS6_9null_typeES8_S8_S8_S8_S8_S8_S8_EEEEZNS1_11reduce_implILb1ES3_NS6_12zip_iteratorINS7_INS6_11hip_rocprim26transform_input_iterator_tIbNSD_35transform_pair_of_input_iterators_tIbNS6_6detail15normal_iteratorINS6_10device_ptrIKsEEEESL_NS6_8equal_toIsEEEENSG_9not_fun_tINSD_8identityEEEEENSD_19counting_iterator_tIlEES8_S8_S8_S8_S8_S8_S8_S8_EEEEPS9_S9_NSD_9__find_if7functorIS9_EEEE10hipError_tPvRmT1_T2_T3_mT4_P12ihipStream_tbEUlT_E0_NS1_11comp_targetILNS1_3genE5ELNS1_11target_archE942ELNS1_3gpuE9ELNS1_3repE0EEENS1_30default_config_static_selectorELNS0_4arch9wavefront6targetE0EEEvS14_.uses_vcc, 0
	.set _ZN7rocprim17ROCPRIM_400000_NS6detail17trampoline_kernelINS0_14default_configENS1_22reduce_config_selectorIN6thrust23THRUST_200600_302600_NS5tupleIblNS6_9null_typeES8_S8_S8_S8_S8_S8_S8_EEEEZNS1_11reduce_implILb1ES3_NS6_12zip_iteratorINS7_INS6_11hip_rocprim26transform_input_iterator_tIbNSD_35transform_pair_of_input_iterators_tIbNS6_6detail15normal_iteratorINS6_10device_ptrIKsEEEESL_NS6_8equal_toIsEEEENSG_9not_fun_tINSD_8identityEEEEENSD_19counting_iterator_tIlEES8_S8_S8_S8_S8_S8_S8_S8_EEEEPS9_S9_NSD_9__find_if7functorIS9_EEEE10hipError_tPvRmT1_T2_T3_mT4_P12ihipStream_tbEUlT_E0_NS1_11comp_targetILNS1_3genE5ELNS1_11target_archE942ELNS1_3gpuE9ELNS1_3repE0EEENS1_30default_config_static_selectorELNS0_4arch9wavefront6targetE0EEEvS14_.uses_flat_scratch, 0
	.set _ZN7rocprim17ROCPRIM_400000_NS6detail17trampoline_kernelINS0_14default_configENS1_22reduce_config_selectorIN6thrust23THRUST_200600_302600_NS5tupleIblNS6_9null_typeES8_S8_S8_S8_S8_S8_S8_EEEEZNS1_11reduce_implILb1ES3_NS6_12zip_iteratorINS7_INS6_11hip_rocprim26transform_input_iterator_tIbNSD_35transform_pair_of_input_iterators_tIbNS6_6detail15normal_iteratorINS6_10device_ptrIKsEEEESL_NS6_8equal_toIsEEEENSG_9not_fun_tINSD_8identityEEEEENSD_19counting_iterator_tIlEES8_S8_S8_S8_S8_S8_S8_S8_EEEEPS9_S9_NSD_9__find_if7functorIS9_EEEE10hipError_tPvRmT1_T2_T3_mT4_P12ihipStream_tbEUlT_E0_NS1_11comp_targetILNS1_3genE5ELNS1_11target_archE942ELNS1_3gpuE9ELNS1_3repE0EEENS1_30default_config_static_selectorELNS0_4arch9wavefront6targetE0EEEvS14_.has_dyn_sized_stack, 0
	.set _ZN7rocprim17ROCPRIM_400000_NS6detail17trampoline_kernelINS0_14default_configENS1_22reduce_config_selectorIN6thrust23THRUST_200600_302600_NS5tupleIblNS6_9null_typeES8_S8_S8_S8_S8_S8_S8_EEEEZNS1_11reduce_implILb1ES3_NS6_12zip_iteratorINS7_INS6_11hip_rocprim26transform_input_iterator_tIbNSD_35transform_pair_of_input_iterators_tIbNS6_6detail15normal_iteratorINS6_10device_ptrIKsEEEESL_NS6_8equal_toIsEEEENSG_9not_fun_tINSD_8identityEEEEENSD_19counting_iterator_tIlEES8_S8_S8_S8_S8_S8_S8_S8_EEEEPS9_S9_NSD_9__find_if7functorIS9_EEEE10hipError_tPvRmT1_T2_T3_mT4_P12ihipStream_tbEUlT_E0_NS1_11comp_targetILNS1_3genE5ELNS1_11target_archE942ELNS1_3gpuE9ELNS1_3repE0EEENS1_30default_config_static_selectorELNS0_4arch9wavefront6targetE0EEEvS14_.has_recursion, 0
	.set _ZN7rocprim17ROCPRIM_400000_NS6detail17trampoline_kernelINS0_14default_configENS1_22reduce_config_selectorIN6thrust23THRUST_200600_302600_NS5tupleIblNS6_9null_typeES8_S8_S8_S8_S8_S8_S8_EEEEZNS1_11reduce_implILb1ES3_NS6_12zip_iteratorINS7_INS6_11hip_rocprim26transform_input_iterator_tIbNSD_35transform_pair_of_input_iterators_tIbNS6_6detail15normal_iteratorINS6_10device_ptrIKsEEEESL_NS6_8equal_toIsEEEENSG_9not_fun_tINSD_8identityEEEEENSD_19counting_iterator_tIlEES8_S8_S8_S8_S8_S8_S8_S8_EEEEPS9_S9_NSD_9__find_if7functorIS9_EEEE10hipError_tPvRmT1_T2_T3_mT4_P12ihipStream_tbEUlT_E0_NS1_11comp_targetILNS1_3genE5ELNS1_11target_archE942ELNS1_3gpuE9ELNS1_3repE0EEENS1_30default_config_static_selectorELNS0_4arch9wavefront6targetE0EEEvS14_.has_indirect_call, 0
	.section	.AMDGPU.csdata,"",@progbits
; Kernel info:
; codeLenInByte = 0
; TotalNumSgprs: 0
; NumVgprs: 0
; ScratchSize: 0
; MemoryBound: 0
; FloatMode: 240
; IeeeMode: 1
; LDSByteSize: 0 bytes/workgroup (compile time only)
; SGPRBlocks: 0
; VGPRBlocks: 0
; NumSGPRsForWavesPerEU: 1
; NumVGPRsForWavesPerEU: 1
; Occupancy: 16
; WaveLimiterHint : 0
; COMPUTE_PGM_RSRC2:SCRATCH_EN: 0
; COMPUTE_PGM_RSRC2:USER_SGPR: 6
; COMPUTE_PGM_RSRC2:TRAP_HANDLER: 0
; COMPUTE_PGM_RSRC2:TGID_X_EN: 1
; COMPUTE_PGM_RSRC2:TGID_Y_EN: 0
; COMPUTE_PGM_RSRC2:TGID_Z_EN: 0
; COMPUTE_PGM_RSRC2:TIDIG_COMP_CNT: 0
	.section	.text._ZN7rocprim17ROCPRIM_400000_NS6detail17trampoline_kernelINS0_14default_configENS1_22reduce_config_selectorIN6thrust23THRUST_200600_302600_NS5tupleIblNS6_9null_typeES8_S8_S8_S8_S8_S8_S8_EEEEZNS1_11reduce_implILb1ES3_NS6_12zip_iteratorINS7_INS6_11hip_rocprim26transform_input_iterator_tIbNSD_35transform_pair_of_input_iterators_tIbNS6_6detail15normal_iteratorINS6_10device_ptrIKsEEEESL_NS6_8equal_toIsEEEENSG_9not_fun_tINSD_8identityEEEEENSD_19counting_iterator_tIlEES8_S8_S8_S8_S8_S8_S8_S8_EEEEPS9_S9_NSD_9__find_if7functorIS9_EEEE10hipError_tPvRmT1_T2_T3_mT4_P12ihipStream_tbEUlT_E0_NS1_11comp_targetILNS1_3genE4ELNS1_11target_archE910ELNS1_3gpuE8ELNS1_3repE0EEENS1_30default_config_static_selectorELNS0_4arch9wavefront6targetE0EEEvS14_,"axG",@progbits,_ZN7rocprim17ROCPRIM_400000_NS6detail17trampoline_kernelINS0_14default_configENS1_22reduce_config_selectorIN6thrust23THRUST_200600_302600_NS5tupleIblNS6_9null_typeES8_S8_S8_S8_S8_S8_S8_EEEEZNS1_11reduce_implILb1ES3_NS6_12zip_iteratorINS7_INS6_11hip_rocprim26transform_input_iterator_tIbNSD_35transform_pair_of_input_iterators_tIbNS6_6detail15normal_iteratorINS6_10device_ptrIKsEEEESL_NS6_8equal_toIsEEEENSG_9not_fun_tINSD_8identityEEEEENSD_19counting_iterator_tIlEES8_S8_S8_S8_S8_S8_S8_S8_EEEEPS9_S9_NSD_9__find_if7functorIS9_EEEE10hipError_tPvRmT1_T2_T3_mT4_P12ihipStream_tbEUlT_E0_NS1_11comp_targetILNS1_3genE4ELNS1_11target_archE910ELNS1_3gpuE8ELNS1_3repE0EEENS1_30default_config_static_selectorELNS0_4arch9wavefront6targetE0EEEvS14_,comdat
	.protected	_ZN7rocprim17ROCPRIM_400000_NS6detail17trampoline_kernelINS0_14default_configENS1_22reduce_config_selectorIN6thrust23THRUST_200600_302600_NS5tupleIblNS6_9null_typeES8_S8_S8_S8_S8_S8_S8_EEEEZNS1_11reduce_implILb1ES3_NS6_12zip_iteratorINS7_INS6_11hip_rocprim26transform_input_iterator_tIbNSD_35transform_pair_of_input_iterators_tIbNS6_6detail15normal_iteratorINS6_10device_ptrIKsEEEESL_NS6_8equal_toIsEEEENSG_9not_fun_tINSD_8identityEEEEENSD_19counting_iterator_tIlEES8_S8_S8_S8_S8_S8_S8_S8_EEEEPS9_S9_NSD_9__find_if7functorIS9_EEEE10hipError_tPvRmT1_T2_T3_mT4_P12ihipStream_tbEUlT_E0_NS1_11comp_targetILNS1_3genE4ELNS1_11target_archE910ELNS1_3gpuE8ELNS1_3repE0EEENS1_30default_config_static_selectorELNS0_4arch9wavefront6targetE0EEEvS14_ ; -- Begin function _ZN7rocprim17ROCPRIM_400000_NS6detail17trampoline_kernelINS0_14default_configENS1_22reduce_config_selectorIN6thrust23THRUST_200600_302600_NS5tupleIblNS6_9null_typeES8_S8_S8_S8_S8_S8_S8_EEEEZNS1_11reduce_implILb1ES3_NS6_12zip_iteratorINS7_INS6_11hip_rocprim26transform_input_iterator_tIbNSD_35transform_pair_of_input_iterators_tIbNS6_6detail15normal_iteratorINS6_10device_ptrIKsEEEESL_NS6_8equal_toIsEEEENSG_9not_fun_tINSD_8identityEEEEENSD_19counting_iterator_tIlEES8_S8_S8_S8_S8_S8_S8_S8_EEEEPS9_S9_NSD_9__find_if7functorIS9_EEEE10hipError_tPvRmT1_T2_T3_mT4_P12ihipStream_tbEUlT_E0_NS1_11comp_targetILNS1_3genE4ELNS1_11target_archE910ELNS1_3gpuE8ELNS1_3repE0EEENS1_30default_config_static_selectorELNS0_4arch9wavefront6targetE0EEEvS14_
	.globl	_ZN7rocprim17ROCPRIM_400000_NS6detail17trampoline_kernelINS0_14default_configENS1_22reduce_config_selectorIN6thrust23THRUST_200600_302600_NS5tupleIblNS6_9null_typeES8_S8_S8_S8_S8_S8_S8_EEEEZNS1_11reduce_implILb1ES3_NS6_12zip_iteratorINS7_INS6_11hip_rocprim26transform_input_iterator_tIbNSD_35transform_pair_of_input_iterators_tIbNS6_6detail15normal_iteratorINS6_10device_ptrIKsEEEESL_NS6_8equal_toIsEEEENSG_9not_fun_tINSD_8identityEEEEENSD_19counting_iterator_tIlEES8_S8_S8_S8_S8_S8_S8_S8_EEEEPS9_S9_NSD_9__find_if7functorIS9_EEEE10hipError_tPvRmT1_T2_T3_mT4_P12ihipStream_tbEUlT_E0_NS1_11comp_targetILNS1_3genE4ELNS1_11target_archE910ELNS1_3gpuE8ELNS1_3repE0EEENS1_30default_config_static_selectorELNS0_4arch9wavefront6targetE0EEEvS14_
	.p2align	8
	.type	_ZN7rocprim17ROCPRIM_400000_NS6detail17trampoline_kernelINS0_14default_configENS1_22reduce_config_selectorIN6thrust23THRUST_200600_302600_NS5tupleIblNS6_9null_typeES8_S8_S8_S8_S8_S8_S8_EEEEZNS1_11reduce_implILb1ES3_NS6_12zip_iteratorINS7_INS6_11hip_rocprim26transform_input_iterator_tIbNSD_35transform_pair_of_input_iterators_tIbNS6_6detail15normal_iteratorINS6_10device_ptrIKsEEEESL_NS6_8equal_toIsEEEENSG_9not_fun_tINSD_8identityEEEEENSD_19counting_iterator_tIlEES8_S8_S8_S8_S8_S8_S8_S8_EEEEPS9_S9_NSD_9__find_if7functorIS9_EEEE10hipError_tPvRmT1_T2_T3_mT4_P12ihipStream_tbEUlT_E0_NS1_11comp_targetILNS1_3genE4ELNS1_11target_archE910ELNS1_3gpuE8ELNS1_3repE0EEENS1_30default_config_static_selectorELNS0_4arch9wavefront6targetE0EEEvS14_,@function
_ZN7rocprim17ROCPRIM_400000_NS6detail17trampoline_kernelINS0_14default_configENS1_22reduce_config_selectorIN6thrust23THRUST_200600_302600_NS5tupleIblNS6_9null_typeES8_S8_S8_S8_S8_S8_S8_EEEEZNS1_11reduce_implILb1ES3_NS6_12zip_iteratorINS7_INS6_11hip_rocprim26transform_input_iterator_tIbNSD_35transform_pair_of_input_iterators_tIbNS6_6detail15normal_iteratorINS6_10device_ptrIKsEEEESL_NS6_8equal_toIsEEEENSG_9not_fun_tINSD_8identityEEEEENSD_19counting_iterator_tIlEES8_S8_S8_S8_S8_S8_S8_S8_EEEEPS9_S9_NSD_9__find_if7functorIS9_EEEE10hipError_tPvRmT1_T2_T3_mT4_P12ihipStream_tbEUlT_E0_NS1_11comp_targetILNS1_3genE4ELNS1_11target_archE910ELNS1_3gpuE8ELNS1_3repE0EEENS1_30default_config_static_selectorELNS0_4arch9wavefront6targetE0EEEvS14_: ; @_ZN7rocprim17ROCPRIM_400000_NS6detail17trampoline_kernelINS0_14default_configENS1_22reduce_config_selectorIN6thrust23THRUST_200600_302600_NS5tupleIblNS6_9null_typeES8_S8_S8_S8_S8_S8_S8_EEEEZNS1_11reduce_implILb1ES3_NS6_12zip_iteratorINS7_INS6_11hip_rocprim26transform_input_iterator_tIbNSD_35transform_pair_of_input_iterators_tIbNS6_6detail15normal_iteratorINS6_10device_ptrIKsEEEESL_NS6_8equal_toIsEEEENSG_9not_fun_tINSD_8identityEEEEENSD_19counting_iterator_tIlEES8_S8_S8_S8_S8_S8_S8_S8_EEEEPS9_S9_NSD_9__find_if7functorIS9_EEEE10hipError_tPvRmT1_T2_T3_mT4_P12ihipStream_tbEUlT_E0_NS1_11comp_targetILNS1_3genE4ELNS1_11target_archE910ELNS1_3gpuE8ELNS1_3repE0EEENS1_30default_config_static_selectorELNS0_4arch9wavefront6targetE0EEEvS14_
; %bb.0:
	.section	.rodata,"a",@progbits
	.p2align	6, 0x0
	.amdhsa_kernel _ZN7rocprim17ROCPRIM_400000_NS6detail17trampoline_kernelINS0_14default_configENS1_22reduce_config_selectorIN6thrust23THRUST_200600_302600_NS5tupleIblNS6_9null_typeES8_S8_S8_S8_S8_S8_S8_EEEEZNS1_11reduce_implILb1ES3_NS6_12zip_iteratorINS7_INS6_11hip_rocprim26transform_input_iterator_tIbNSD_35transform_pair_of_input_iterators_tIbNS6_6detail15normal_iteratorINS6_10device_ptrIKsEEEESL_NS6_8equal_toIsEEEENSG_9not_fun_tINSD_8identityEEEEENSD_19counting_iterator_tIlEES8_S8_S8_S8_S8_S8_S8_S8_EEEEPS9_S9_NSD_9__find_if7functorIS9_EEEE10hipError_tPvRmT1_T2_T3_mT4_P12ihipStream_tbEUlT_E0_NS1_11comp_targetILNS1_3genE4ELNS1_11target_archE910ELNS1_3gpuE8ELNS1_3repE0EEENS1_30default_config_static_selectorELNS0_4arch9wavefront6targetE0EEEvS14_
		.amdhsa_group_segment_fixed_size 0
		.amdhsa_private_segment_fixed_size 0
		.amdhsa_kernarg_size 104
		.amdhsa_user_sgpr_count 6
		.amdhsa_user_sgpr_private_segment_buffer 1
		.amdhsa_user_sgpr_dispatch_ptr 0
		.amdhsa_user_sgpr_queue_ptr 0
		.amdhsa_user_sgpr_kernarg_segment_ptr 1
		.amdhsa_user_sgpr_dispatch_id 0
		.amdhsa_user_sgpr_flat_scratch_init 0
		.amdhsa_user_sgpr_private_segment_size 0
		.amdhsa_wavefront_size32 1
		.amdhsa_uses_dynamic_stack 0
		.amdhsa_system_sgpr_private_segment_wavefront_offset 0
		.amdhsa_system_sgpr_workgroup_id_x 1
		.amdhsa_system_sgpr_workgroup_id_y 0
		.amdhsa_system_sgpr_workgroup_id_z 0
		.amdhsa_system_sgpr_workgroup_info 0
		.amdhsa_system_vgpr_workitem_id 0
		.amdhsa_next_free_vgpr 1
		.amdhsa_next_free_sgpr 1
		.amdhsa_reserve_vcc 0
		.amdhsa_reserve_flat_scratch 0
		.amdhsa_float_round_mode_32 0
		.amdhsa_float_round_mode_16_64 0
		.amdhsa_float_denorm_mode_32 3
		.amdhsa_float_denorm_mode_16_64 3
		.amdhsa_dx10_clamp 1
		.amdhsa_ieee_mode 1
		.amdhsa_fp16_overflow 0
		.amdhsa_workgroup_processor_mode 1
		.amdhsa_memory_ordered 1
		.amdhsa_forward_progress 1
		.amdhsa_shared_vgpr_count 0
		.amdhsa_exception_fp_ieee_invalid_op 0
		.amdhsa_exception_fp_denorm_src 0
		.amdhsa_exception_fp_ieee_div_zero 0
		.amdhsa_exception_fp_ieee_overflow 0
		.amdhsa_exception_fp_ieee_underflow 0
		.amdhsa_exception_fp_ieee_inexact 0
		.amdhsa_exception_int_div_zero 0
	.end_amdhsa_kernel
	.section	.text._ZN7rocprim17ROCPRIM_400000_NS6detail17trampoline_kernelINS0_14default_configENS1_22reduce_config_selectorIN6thrust23THRUST_200600_302600_NS5tupleIblNS6_9null_typeES8_S8_S8_S8_S8_S8_S8_EEEEZNS1_11reduce_implILb1ES3_NS6_12zip_iteratorINS7_INS6_11hip_rocprim26transform_input_iterator_tIbNSD_35transform_pair_of_input_iterators_tIbNS6_6detail15normal_iteratorINS6_10device_ptrIKsEEEESL_NS6_8equal_toIsEEEENSG_9not_fun_tINSD_8identityEEEEENSD_19counting_iterator_tIlEES8_S8_S8_S8_S8_S8_S8_S8_EEEEPS9_S9_NSD_9__find_if7functorIS9_EEEE10hipError_tPvRmT1_T2_T3_mT4_P12ihipStream_tbEUlT_E0_NS1_11comp_targetILNS1_3genE4ELNS1_11target_archE910ELNS1_3gpuE8ELNS1_3repE0EEENS1_30default_config_static_selectorELNS0_4arch9wavefront6targetE0EEEvS14_,"axG",@progbits,_ZN7rocprim17ROCPRIM_400000_NS6detail17trampoline_kernelINS0_14default_configENS1_22reduce_config_selectorIN6thrust23THRUST_200600_302600_NS5tupleIblNS6_9null_typeES8_S8_S8_S8_S8_S8_S8_EEEEZNS1_11reduce_implILb1ES3_NS6_12zip_iteratorINS7_INS6_11hip_rocprim26transform_input_iterator_tIbNSD_35transform_pair_of_input_iterators_tIbNS6_6detail15normal_iteratorINS6_10device_ptrIKsEEEESL_NS6_8equal_toIsEEEENSG_9not_fun_tINSD_8identityEEEEENSD_19counting_iterator_tIlEES8_S8_S8_S8_S8_S8_S8_S8_EEEEPS9_S9_NSD_9__find_if7functorIS9_EEEE10hipError_tPvRmT1_T2_T3_mT4_P12ihipStream_tbEUlT_E0_NS1_11comp_targetILNS1_3genE4ELNS1_11target_archE910ELNS1_3gpuE8ELNS1_3repE0EEENS1_30default_config_static_selectorELNS0_4arch9wavefront6targetE0EEEvS14_,comdat
.Lfunc_end583:
	.size	_ZN7rocprim17ROCPRIM_400000_NS6detail17trampoline_kernelINS0_14default_configENS1_22reduce_config_selectorIN6thrust23THRUST_200600_302600_NS5tupleIblNS6_9null_typeES8_S8_S8_S8_S8_S8_S8_EEEEZNS1_11reduce_implILb1ES3_NS6_12zip_iteratorINS7_INS6_11hip_rocprim26transform_input_iterator_tIbNSD_35transform_pair_of_input_iterators_tIbNS6_6detail15normal_iteratorINS6_10device_ptrIKsEEEESL_NS6_8equal_toIsEEEENSG_9not_fun_tINSD_8identityEEEEENSD_19counting_iterator_tIlEES8_S8_S8_S8_S8_S8_S8_S8_EEEEPS9_S9_NSD_9__find_if7functorIS9_EEEE10hipError_tPvRmT1_T2_T3_mT4_P12ihipStream_tbEUlT_E0_NS1_11comp_targetILNS1_3genE4ELNS1_11target_archE910ELNS1_3gpuE8ELNS1_3repE0EEENS1_30default_config_static_selectorELNS0_4arch9wavefront6targetE0EEEvS14_, .Lfunc_end583-_ZN7rocprim17ROCPRIM_400000_NS6detail17trampoline_kernelINS0_14default_configENS1_22reduce_config_selectorIN6thrust23THRUST_200600_302600_NS5tupleIblNS6_9null_typeES8_S8_S8_S8_S8_S8_S8_EEEEZNS1_11reduce_implILb1ES3_NS6_12zip_iteratorINS7_INS6_11hip_rocprim26transform_input_iterator_tIbNSD_35transform_pair_of_input_iterators_tIbNS6_6detail15normal_iteratorINS6_10device_ptrIKsEEEESL_NS6_8equal_toIsEEEENSG_9not_fun_tINSD_8identityEEEEENSD_19counting_iterator_tIlEES8_S8_S8_S8_S8_S8_S8_S8_EEEEPS9_S9_NSD_9__find_if7functorIS9_EEEE10hipError_tPvRmT1_T2_T3_mT4_P12ihipStream_tbEUlT_E0_NS1_11comp_targetILNS1_3genE4ELNS1_11target_archE910ELNS1_3gpuE8ELNS1_3repE0EEENS1_30default_config_static_selectorELNS0_4arch9wavefront6targetE0EEEvS14_
                                        ; -- End function
	.set _ZN7rocprim17ROCPRIM_400000_NS6detail17trampoline_kernelINS0_14default_configENS1_22reduce_config_selectorIN6thrust23THRUST_200600_302600_NS5tupleIblNS6_9null_typeES8_S8_S8_S8_S8_S8_S8_EEEEZNS1_11reduce_implILb1ES3_NS6_12zip_iteratorINS7_INS6_11hip_rocprim26transform_input_iterator_tIbNSD_35transform_pair_of_input_iterators_tIbNS6_6detail15normal_iteratorINS6_10device_ptrIKsEEEESL_NS6_8equal_toIsEEEENSG_9not_fun_tINSD_8identityEEEEENSD_19counting_iterator_tIlEES8_S8_S8_S8_S8_S8_S8_S8_EEEEPS9_S9_NSD_9__find_if7functorIS9_EEEE10hipError_tPvRmT1_T2_T3_mT4_P12ihipStream_tbEUlT_E0_NS1_11comp_targetILNS1_3genE4ELNS1_11target_archE910ELNS1_3gpuE8ELNS1_3repE0EEENS1_30default_config_static_selectorELNS0_4arch9wavefront6targetE0EEEvS14_.num_vgpr, 0
	.set _ZN7rocprim17ROCPRIM_400000_NS6detail17trampoline_kernelINS0_14default_configENS1_22reduce_config_selectorIN6thrust23THRUST_200600_302600_NS5tupleIblNS6_9null_typeES8_S8_S8_S8_S8_S8_S8_EEEEZNS1_11reduce_implILb1ES3_NS6_12zip_iteratorINS7_INS6_11hip_rocprim26transform_input_iterator_tIbNSD_35transform_pair_of_input_iterators_tIbNS6_6detail15normal_iteratorINS6_10device_ptrIKsEEEESL_NS6_8equal_toIsEEEENSG_9not_fun_tINSD_8identityEEEEENSD_19counting_iterator_tIlEES8_S8_S8_S8_S8_S8_S8_S8_EEEEPS9_S9_NSD_9__find_if7functorIS9_EEEE10hipError_tPvRmT1_T2_T3_mT4_P12ihipStream_tbEUlT_E0_NS1_11comp_targetILNS1_3genE4ELNS1_11target_archE910ELNS1_3gpuE8ELNS1_3repE0EEENS1_30default_config_static_selectorELNS0_4arch9wavefront6targetE0EEEvS14_.num_agpr, 0
	.set _ZN7rocprim17ROCPRIM_400000_NS6detail17trampoline_kernelINS0_14default_configENS1_22reduce_config_selectorIN6thrust23THRUST_200600_302600_NS5tupleIblNS6_9null_typeES8_S8_S8_S8_S8_S8_S8_EEEEZNS1_11reduce_implILb1ES3_NS6_12zip_iteratorINS7_INS6_11hip_rocprim26transform_input_iterator_tIbNSD_35transform_pair_of_input_iterators_tIbNS6_6detail15normal_iteratorINS6_10device_ptrIKsEEEESL_NS6_8equal_toIsEEEENSG_9not_fun_tINSD_8identityEEEEENSD_19counting_iterator_tIlEES8_S8_S8_S8_S8_S8_S8_S8_EEEEPS9_S9_NSD_9__find_if7functorIS9_EEEE10hipError_tPvRmT1_T2_T3_mT4_P12ihipStream_tbEUlT_E0_NS1_11comp_targetILNS1_3genE4ELNS1_11target_archE910ELNS1_3gpuE8ELNS1_3repE0EEENS1_30default_config_static_selectorELNS0_4arch9wavefront6targetE0EEEvS14_.numbered_sgpr, 0
	.set _ZN7rocprim17ROCPRIM_400000_NS6detail17trampoline_kernelINS0_14default_configENS1_22reduce_config_selectorIN6thrust23THRUST_200600_302600_NS5tupleIblNS6_9null_typeES8_S8_S8_S8_S8_S8_S8_EEEEZNS1_11reduce_implILb1ES3_NS6_12zip_iteratorINS7_INS6_11hip_rocprim26transform_input_iterator_tIbNSD_35transform_pair_of_input_iterators_tIbNS6_6detail15normal_iteratorINS6_10device_ptrIKsEEEESL_NS6_8equal_toIsEEEENSG_9not_fun_tINSD_8identityEEEEENSD_19counting_iterator_tIlEES8_S8_S8_S8_S8_S8_S8_S8_EEEEPS9_S9_NSD_9__find_if7functorIS9_EEEE10hipError_tPvRmT1_T2_T3_mT4_P12ihipStream_tbEUlT_E0_NS1_11comp_targetILNS1_3genE4ELNS1_11target_archE910ELNS1_3gpuE8ELNS1_3repE0EEENS1_30default_config_static_selectorELNS0_4arch9wavefront6targetE0EEEvS14_.num_named_barrier, 0
	.set _ZN7rocprim17ROCPRIM_400000_NS6detail17trampoline_kernelINS0_14default_configENS1_22reduce_config_selectorIN6thrust23THRUST_200600_302600_NS5tupleIblNS6_9null_typeES8_S8_S8_S8_S8_S8_S8_EEEEZNS1_11reduce_implILb1ES3_NS6_12zip_iteratorINS7_INS6_11hip_rocprim26transform_input_iterator_tIbNSD_35transform_pair_of_input_iterators_tIbNS6_6detail15normal_iteratorINS6_10device_ptrIKsEEEESL_NS6_8equal_toIsEEEENSG_9not_fun_tINSD_8identityEEEEENSD_19counting_iterator_tIlEES8_S8_S8_S8_S8_S8_S8_S8_EEEEPS9_S9_NSD_9__find_if7functorIS9_EEEE10hipError_tPvRmT1_T2_T3_mT4_P12ihipStream_tbEUlT_E0_NS1_11comp_targetILNS1_3genE4ELNS1_11target_archE910ELNS1_3gpuE8ELNS1_3repE0EEENS1_30default_config_static_selectorELNS0_4arch9wavefront6targetE0EEEvS14_.private_seg_size, 0
	.set _ZN7rocprim17ROCPRIM_400000_NS6detail17trampoline_kernelINS0_14default_configENS1_22reduce_config_selectorIN6thrust23THRUST_200600_302600_NS5tupleIblNS6_9null_typeES8_S8_S8_S8_S8_S8_S8_EEEEZNS1_11reduce_implILb1ES3_NS6_12zip_iteratorINS7_INS6_11hip_rocprim26transform_input_iterator_tIbNSD_35transform_pair_of_input_iterators_tIbNS6_6detail15normal_iteratorINS6_10device_ptrIKsEEEESL_NS6_8equal_toIsEEEENSG_9not_fun_tINSD_8identityEEEEENSD_19counting_iterator_tIlEES8_S8_S8_S8_S8_S8_S8_S8_EEEEPS9_S9_NSD_9__find_if7functorIS9_EEEE10hipError_tPvRmT1_T2_T3_mT4_P12ihipStream_tbEUlT_E0_NS1_11comp_targetILNS1_3genE4ELNS1_11target_archE910ELNS1_3gpuE8ELNS1_3repE0EEENS1_30default_config_static_selectorELNS0_4arch9wavefront6targetE0EEEvS14_.uses_vcc, 0
	.set _ZN7rocprim17ROCPRIM_400000_NS6detail17trampoline_kernelINS0_14default_configENS1_22reduce_config_selectorIN6thrust23THRUST_200600_302600_NS5tupleIblNS6_9null_typeES8_S8_S8_S8_S8_S8_S8_EEEEZNS1_11reduce_implILb1ES3_NS6_12zip_iteratorINS7_INS6_11hip_rocprim26transform_input_iterator_tIbNSD_35transform_pair_of_input_iterators_tIbNS6_6detail15normal_iteratorINS6_10device_ptrIKsEEEESL_NS6_8equal_toIsEEEENSG_9not_fun_tINSD_8identityEEEEENSD_19counting_iterator_tIlEES8_S8_S8_S8_S8_S8_S8_S8_EEEEPS9_S9_NSD_9__find_if7functorIS9_EEEE10hipError_tPvRmT1_T2_T3_mT4_P12ihipStream_tbEUlT_E0_NS1_11comp_targetILNS1_3genE4ELNS1_11target_archE910ELNS1_3gpuE8ELNS1_3repE0EEENS1_30default_config_static_selectorELNS0_4arch9wavefront6targetE0EEEvS14_.uses_flat_scratch, 0
	.set _ZN7rocprim17ROCPRIM_400000_NS6detail17trampoline_kernelINS0_14default_configENS1_22reduce_config_selectorIN6thrust23THRUST_200600_302600_NS5tupleIblNS6_9null_typeES8_S8_S8_S8_S8_S8_S8_EEEEZNS1_11reduce_implILb1ES3_NS6_12zip_iteratorINS7_INS6_11hip_rocprim26transform_input_iterator_tIbNSD_35transform_pair_of_input_iterators_tIbNS6_6detail15normal_iteratorINS6_10device_ptrIKsEEEESL_NS6_8equal_toIsEEEENSG_9not_fun_tINSD_8identityEEEEENSD_19counting_iterator_tIlEES8_S8_S8_S8_S8_S8_S8_S8_EEEEPS9_S9_NSD_9__find_if7functorIS9_EEEE10hipError_tPvRmT1_T2_T3_mT4_P12ihipStream_tbEUlT_E0_NS1_11comp_targetILNS1_3genE4ELNS1_11target_archE910ELNS1_3gpuE8ELNS1_3repE0EEENS1_30default_config_static_selectorELNS0_4arch9wavefront6targetE0EEEvS14_.has_dyn_sized_stack, 0
	.set _ZN7rocprim17ROCPRIM_400000_NS6detail17trampoline_kernelINS0_14default_configENS1_22reduce_config_selectorIN6thrust23THRUST_200600_302600_NS5tupleIblNS6_9null_typeES8_S8_S8_S8_S8_S8_S8_EEEEZNS1_11reduce_implILb1ES3_NS6_12zip_iteratorINS7_INS6_11hip_rocprim26transform_input_iterator_tIbNSD_35transform_pair_of_input_iterators_tIbNS6_6detail15normal_iteratorINS6_10device_ptrIKsEEEESL_NS6_8equal_toIsEEEENSG_9not_fun_tINSD_8identityEEEEENSD_19counting_iterator_tIlEES8_S8_S8_S8_S8_S8_S8_S8_EEEEPS9_S9_NSD_9__find_if7functorIS9_EEEE10hipError_tPvRmT1_T2_T3_mT4_P12ihipStream_tbEUlT_E0_NS1_11comp_targetILNS1_3genE4ELNS1_11target_archE910ELNS1_3gpuE8ELNS1_3repE0EEENS1_30default_config_static_selectorELNS0_4arch9wavefront6targetE0EEEvS14_.has_recursion, 0
	.set _ZN7rocprim17ROCPRIM_400000_NS6detail17trampoline_kernelINS0_14default_configENS1_22reduce_config_selectorIN6thrust23THRUST_200600_302600_NS5tupleIblNS6_9null_typeES8_S8_S8_S8_S8_S8_S8_EEEEZNS1_11reduce_implILb1ES3_NS6_12zip_iteratorINS7_INS6_11hip_rocprim26transform_input_iterator_tIbNSD_35transform_pair_of_input_iterators_tIbNS6_6detail15normal_iteratorINS6_10device_ptrIKsEEEESL_NS6_8equal_toIsEEEENSG_9not_fun_tINSD_8identityEEEEENSD_19counting_iterator_tIlEES8_S8_S8_S8_S8_S8_S8_S8_EEEEPS9_S9_NSD_9__find_if7functorIS9_EEEE10hipError_tPvRmT1_T2_T3_mT4_P12ihipStream_tbEUlT_E0_NS1_11comp_targetILNS1_3genE4ELNS1_11target_archE910ELNS1_3gpuE8ELNS1_3repE0EEENS1_30default_config_static_selectorELNS0_4arch9wavefront6targetE0EEEvS14_.has_indirect_call, 0
	.section	.AMDGPU.csdata,"",@progbits
; Kernel info:
; codeLenInByte = 0
; TotalNumSgprs: 0
; NumVgprs: 0
; ScratchSize: 0
; MemoryBound: 0
; FloatMode: 240
; IeeeMode: 1
; LDSByteSize: 0 bytes/workgroup (compile time only)
; SGPRBlocks: 0
; VGPRBlocks: 0
; NumSGPRsForWavesPerEU: 1
; NumVGPRsForWavesPerEU: 1
; Occupancy: 16
; WaveLimiterHint : 0
; COMPUTE_PGM_RSRC2:SCRATCH_EN: 0
; COMPUTE_PGM_RSRC2:USER_SGPR: 6
; COMPUTE_PGM_RSRC2:TRAP_HANDLER: 0
; COMPUTE_PGM_RSRC2:TGID_X_EN: 1
; COMPUTE_PGM_RSRC2:TGID_Y_EN: 0
; COMPUTE_PGM_RSRC2:TGID_Z_EN: 0
; COMPUTE_PGM_RSRC2:TIDIG_COMP_CNT: 0
	.section	.text._ZN7rocprim17ROCPRIM_400000_NS6detail17trampoline_kernelINS0_14default_configENS1_22reduce_config_selectorIN6thrust23THRUST_200600_302600_NS5tupleIblNS6_9null_typeES8_S8_S8_S8_S8_S8_S8_EEEEZNS1_11reduce_implILb1ES3_NS6_12zip_iteratorINS7_INS6_11hip_rocprim26transform_input_iterator_tIbNSD_35transform_pair_of_input_iterators_tIbNS6_6detail15normal_iteratorINS6_10device_ptrIKsEEEESL_NS6_8equal_toIsEEEENSG_9not_fun_tINSD_8identityEEEEENSD_19counting_iterator_tIlEES8_S8_S8_S8_S8_S8_S8_S8_EEEEPS9_S9_NSD_9__find_if7functorIS9_EEEE10hipError_tPvRmT1_T2_T3_mT4_P12ihipStream_tbEUlT_E0_NS1_11comp_targetILNS1_3genE3ELNS1_11target_archE908ELNS1_3gpuE7ELNS1_3repE0EEENS1_30default_config_static_selectorELNS0_4arch9wavefront6targetE0EEEvS14_,"axG",@progbits,_ZN7rocprim17ROCPRIM_400000_NS6detail17trampoline_kernelINS0_14default_configENS1_22reduce_config_selectorIN6thrust23THRUST_200600_302600_NS5tupleIblNS6_9null_typeES8_S8_S8_S8_S8_S8_S8_EEEEZNS1_11reduce_implILb1ES3_NS6_12zip_iteratorINS7_INS6_11hip_rocprim26transform_input_iterator_tIbNSD_35transform_pair_of_input_iterators_tIbNS6_6detail15normal_iteratorINS6_10device_ptrIKsEEEESL_NS6_8equal_toIsEEEENSG_9not_fun_tINSD_8identityEEEEENSD_19counting_iterator_tIlEES8_S8_S8_S8_S8_S8_S8_S8_EEEEPS9_S9_NSD_9__find_if7functorIS9_EEEE10hipError_tPvRmT1_T2_T3_mT4_P12ihipStream_tbEUlT_E0_NS1_11comp_targetILNS1_3genE3ELNS1_11target_archE908ELNS1_3gpuE7ELNS1_3repE0EEENS1_30default_config_static_selectorELNS0_4arch9wavefront6targetE0EEEvS14_,comdat
	.protected	_ZN7rocprim17ROCPRIM_400000_NS6detail17trampoline_kernelINS0_14default_configENS1_22reduce_config_selectorIN6thrust23THRUST_200600_302600_NS5tupleIblNS6_9null_typeES8_S8_S8_S8_S8_S8_S8_EEEEZNS1_11reduce_implILb1ES3_NS6_12zip_iteratorINS7_INS6_11hip_rocprim26transform_input_iterator_tIbNSD_35transform_pair_of_input_iterators_tIbNS6_6detail15normal_iteratorINS6_10device_ptrIKsEEEESL_NS6_8equal_toIsEEEENSG_9not_fun_tINSD_8identityEEEEENSD_19counting_iterator_tIlEES8_S8_S8_S8_S8_S8_S8_S8_EEEEPS9_S9_NSD_9__find_if7functorIS9_EEEE10hipError_tPvRmT1_T2_T3_mT4_P12ihipStream_tbEUlT_E0_NS1_11comp_targetILNS1_3genE3ELNS1_11target_archE908ELNS1_3gpuE7ELNS1_3repE0EEENS1_30default_config_static_selectorELNS0_4arch9wavefront6targetE0EEEvS14_ ; -- Begin function _ZN7rocprim17ROCPRIM_400000_NS6detail17trampoline_kernelINS0_14default_configENS1_22reduce_config_selectorIN6thrust23THRUST_200600_302600_NS5tupleIblNS6_9null_typeES8_S8_S8_S8_S8_S8_S8_EEEEZNS1_11reduce_implILb1ES3_NS6_12zip_iteratorINS7_INS6_11hip_rocprim26transform_input_iterator_tIbNSD_35transform_pair_of_input_iterators_tIbNS6_6detail15normal_iteratorINS6_10device_ptrIKsEEEESL_NS6_8equal_toIsEEEENSG_9not_fun_tINSD_8identityEEEEENSD_19counting_iterator_tIlEES8_S8_S8_S8_S8_S8_S8_S8_EEEEPS9_S9_NSD_9__find_if7functorIS9_EEEE10hipError_tPvRmT1_T2_T3_mT4_P12ihipStream_tbEUlT_E0_NS1_11comp_targetILNS1_3genE3ELNS1_11target_archE908ELNS1_3gpuE7ELNS1_3repE0EEENS1_30default_config_static_selectorELNS0_4arch9wavefront6targetE0EEEvS14_
	.globl	_ZN7rocprim17ROCPRIM_400000_NS6detail17trampoline_kernelINS0_14default_configENS1_22reduce_config_selectorIN6thrust23THRUST_200600_302600_NS5tupleIblNS6_9null_typeES8_S8_S8_S8_S8_S8_S8_EEEEZNS1_11reduce_implILb1ES3_NS6_12zip_iteratorINS7_INS6_11hip_rocprim26transform_input_iterator_tIbNSD_35transform_pair_of_input_iterators_tIbNS6_6detail15normal_iteratorINS6_10device_ptrIKsEEEESL_NS6_8equal_toIsEEEENSG_9not_fun_tINSD_8identityEEEEENSD_19counting_iterator_tIlEES8_S8_S8_S8_S8_S8_S8_S8_EEEEPS9_S9_NSD_9__find_if7functorIS9_EEEE10hipError_tPvRmT1_T2_T3_mT4_P12ihipStream_tbEUlT_E0_NS1_11comp_targetILNS1_3genE3ELNS1_11target_archE908ELNS1_3gpuE7ELNS1_3repE0EEENS1_30default_config_static_selectorELNS0_4arch9wavefront6targetE0EEEvS14_
	.p2align	8
	.type	_ZN7rocprim17ROCPRIM_400000_NS6detail17trampoline_kernelINS0_14default_configENS1_22reduce_config_selectorIN6thrust23THRUST_200600_302600_NS5tupleIblNS6_9null_typeES8_S8_S8_S8_S8_S8_S8_EEEEZNS1_11reduce_implILb1ES3_NS6_12zip_iteratorINS7_INS6_11hip_rocprim26transform_input_iterator_tIbNSD_35transform_pair_of_input_iterators_tIbNS6_6detail15normal_iteratorINS6_10device_ptrIKsEEEESL_NS6_8equal_toIsEEEENSG_9not_fun_tINSD_8identityEEEEENSD_19counting_iterator_tIlEES8_S8_S8_S8_S8_S8_S8_S8_EEEEPS9_S9_NSD_9__find_if7functorIS9_EEEE10hipError_tPvRmT1_T2_T3_mT4_P12ihipStream_tbEUlT_E0_NS1_11comp_targetILNS1_3genE3ELNS1_11target_archE908ELNS1_3gpuE7ELNS1_3repE0EEENS1_30default_config_static_selectorELNS0_4arch9wavefront6targetE0EEEvS14_,@function
_ZN7rocprim17ROCPRIM_400000_NS6detail17trampoline_kernelINS0_14default_configENS1_22reduce_config_selectorIN6thrust23THRUST_200600_302600_NS5tupleIblNS6_9null_typeES8_S8_S8_S8_S8_S8_S8_EEEEZNS1_11reduce_implILb1ES3_NS6_12zip_iteratorINS7_INS6_11hip_rocprim26transform_input_iterator_tIbNSD_35transform_pair_of_input_iterators_tIbNS6_6detail15normal_iteratorINS6_10device_ptrIKsEEEESL_NS6_8equal_toIsEEEENSG_9not_fun_tINSD_8identityEEEEENSD_19counting_iterator_tIlEES8_S8_S8_S8_S8_S8_S8_S8_EEEEPS9_S9_NSD_9__find_if7functorIS9_EEEE10hipError_tPvRmT1_T2_T3_mT4_P12ihipStream_tbEUlT_E0_NS1_11comp_targetILNS1_3genE3ELNS1_11target_archE908ELNS1_3gpuE7ELNS1_3repE0EEENS1_30default_config_static_selectorELNS0_4arch9wavefront6targetE0EEEvS14_: ; @_ZN7rocprim17ROCPRIM_400000_NS6detail17trampoline_kernelINS0_14default_configENS1_22reduce_config_selectorIN6thrust23THRUST_200600_302600_NS5tupleIblNS6_9null_typeES8_S8_S8_S8_S8_S8_S8_EEEEZNS1_11reduce_implILb1ES3_NS6_12zip_iteratorINS7_INS6_11hip_rocprim26transform_input_iterator_tIbNSD_35transform_pair_of_input_iterators_tIbNS6_6detail15normal_iteratorINS6_10device_ptrIKsEEEESL_NS6_8equal_toIsEEEENSG_9not_fun_tINSD_8identityEEEEENSD_19counting_iterator_tIlEES8_S8_S8_S8_S8_S8_S8_S8_EEEEPS9_S9_NSD_9__find_if7functorIS9_EEEE10hipError_tPvRmT1_T2_T3_mT4_P12ihipStream_tbEUlT_E0_NS1_11comp_targetILNS1_3genE3ELNS1_11target_archE908ELNS1_3gpuE7ELNS1_3repE0EEENS1_30default_config_static_selectorELNS0_4arch9wavefront6targetE0EEEvS14_
; %bb.0:
	.section	.rodata,"a",@progbits
	.p2align	6, 0x0
	.amdhsa_kernel _ZN7rocprim17ROCPRIM_400000_NS6detail17trampoline_kernelINS0_14default_configENS1_22reduce_config_selectorIN6thrust23THRUST_200600_302600_NS5tupleIblNS6_9null_typeES8_S8_S8_S8_S8_S8_S8_EEEEZNS1_11reduce_implILb1ES3_NS6_12zip_iteratorINS7_INS6_11hip_rocprim26transform_input_iterator_tIbNSD_35transform_pair_of_input_iterators_tIbNS6_6detail15normal_iteratorINS6_10device_ptrIKsEEEESL_NS6_8equal_toIsEEEENSG_9not_fun_tINSD_8identityEEEEENSD_19counting_iterator_tIlEES8_S8_S8_S8_S8_S8_S8_S8_EEEEPS9_S9_NSD_9__find_if7functorIS9_EEEE10hipError_tPvRmT1_T2_T3_mT4_P12ihipStream_tbEUlT_E0_NS1_11comp_targetILNS1_3genE3ELNS1_11target_archE908ELNS1_3gpuE7ELNS1_3repE0EEENS1_30default_config_static_selectorELNS0_4arch9wavefront6targetE0EEEvS14_
		.amdhsa_group_segment_fixed_size 0
		.amdhsa_private_segment_fixed_size 0
		.amdhsa_kernarg_size 104
		.amdhsa_user_sgpr_count 6
		.amdhsa_user_sgpr_private_segment_buffer 1
		.amdhsa_user_sgpr_dispatch_ptr 0
		.amdhsa_user_sgpr_queue_ptr 0
		.amdhsa_user_sgpr_kernarg_segment_ptr 1
		.amdhsa_user_sgpr_dispatch_id 0
		.amdhsa_user_sgpr_flat_scratch_init 0
		.amdhsa_user_sgpr_private_segment_size 0
		.amdhsa_wavefront_size32 1
		.amdhsa_uses_dynamic_stack 0
		.amdhsa_system_sgpr_private_segment_wavefront_offset 0
		.amdhsa_system_sgpr_workgroup_id_x 1
		.amdhsa_system_sgpr_workgroup_id_y 0
		.amdhsa_system_sgpr_workgroup_id_z 0
		.amdhsa_system_sgpr_workgroup_info 0
		.amdhsa_system_vgpr_workitem_id 0
		.amdhsa_next_free_vgpr 1
		.amdhsa_next_free_sgpr 1
		.amdhsa_reserve_vcc 0
		.amdhsa_reserve_flat_scratch 0
		.amdhsa_float_round_mode_32 0
		.amdhsa_float_round_mode_16_64 0
		.amdhsa_float_denorm_mode_32 3
		.amdhsa_float_denorm_mode_16_64 3
		.amdhsa_dx10_clamp 1
		.amdhsa_ieee_mode 1
		.amdhsa_fp16_overflow 0
		.amdhsa_workgroup_processor_mode 1
		.amdhsa_memory_ordered 1
		.amdhsa_forward_progress 1
		.amdhsa_shared_vgpr_count 0
		.amdhsa_exception_fp_ieee_invalid_op 0
		.amdhsa_exception_fp_denorm_src 0
		.amdhsa_exception_fp_ieee_div_zero 0
		.amdhsa_exception_fp_ieee_overflow 0
		.amdhsa_exception_fp_ieee_underflow 0
		.amdhsa_exception_fp_ieee_inexact 0
		.amdhsa_exception_int_div_zero 0
	.end_amdhsa_kernel
	.section	.text._ZN7rocprim17ROCPRIM_400000_NS6detail17trampoline_kernelINS0_14default_configENS1_22reduce_config_selectorIN6thrust23THRUST_200600_302600_NS5tupleIblNS6_9null_typeES8_S8_S8_S8_S8_S8_S8_EEEEZNS1_11reduce_implILb1ES3_NS6_12zip_iteratorINS7_INS6_11hip_rocprim26transform_input_iterator_tIbNSD_35transform_pair_of_input_iterators_tIbNS6_6detail15normal_iteratorINS6_10device_ptrIKsEEEESL_NS6_8equal_toIsEEEENSG_9not_fun_tINSD_8identityEEEEENSD_19counting_iterator_tIlEES8_S8_S8_S8_S8_S8_S8_S8_EEEEPS9_S9_NSD_9__find_if7functorIS9_EEEE10hipError_tPvRmT1_T2_T3_mT4_P12ihipStream_tbEUlT_E0_NS1_11comp_targetILNS1_3genE3ELNS1_11target_archE908ELNS1_3gpuE7ELNS1_3repE0EEENS1_30default_config_static_selectorELNS0_4arch9wavefront6targetE0EEEvS14_,"axG",@progbits,_ZN7rocprim17ROCPRIM_400000_NS6detail17trampoline_kernelINS0_14default_configENS1_22reduce_config_selectorIN6thrust23THRUST_200600_302600_NS5tupleIblNS6_9null_typeES8_S8_S8_S8_S8_S8_S8_EEEEZNS1_11reduce_implILb1ES3_NS6_12zip_iteratorINS7_INS6_11hip_rocprim26transform_input_iterator_tIbNSD_35transform_pair_of_input_iterators_tIbNS6_6detail15normal_iteratorINS6_10device_ptrIKsEEEESL_NS6_8equal_toIsEEEENSG_9not_fun_tINSD_8identityEEEEENSD_19counting_iterator_tIlEES8_S8_S8_S8_S8_S8_S8_S8_EEEEPS9_S9_NSD_9__find_if7functorIS9_EEEE10hipError_tPvRmT1_T2_T3_mT4_P12ihipStream_tbEUlT_E0_NS1_11comp_targetILNS1_3genE3ELNS1_11target_archE908ELNS1_3gpuE7ELNS1_3repE0EEENS1_30default_config_static_selectorELNS0_4arch9wavefront6targetE0EEEvS14_,comdat
.Lfunc_end584:
	.size	_ZN7rocprim17ROCPRIM_400000_NS6detail17trampoline_kernelINS0_14default_configENS1_22reduce_config_selectorIN6thrust23THRUST_200600_302600_NS5tupleIblNS6_9null_typeES8_S8_S8_S8_S8_S8_S8_EEEEZNS1_11reduce_implILb1ES3_NS6_12zip_iteratorINS7_INS6_11hip_rocprim26transform_input_iterator_tIbNSD_35transform_pair_of_input_iterators_tIbNS6_6detail15normal_iteratorINS6_10device_ptrIKsEEEESL_NS6_8equal_toIsEEEENSG_9not_fun_tINSD_8identityEEEEENSD_19counting_iterator_tIlEES8_S8_S8_S8_S8_S8_S8_S8_EEEEPS9_S9_NSD_9__find_if7functorIS9_EEEE10hipError_tPvRmT1_T2_T3_mT4_P12ihipStream_tbEUlT_E0_NS1_11comp_targetILNS1_3genE3ELNS1_11target_archE908ELNS1_3gpuE7ELNS1_3repE0EEENS1_30default_config_static_selectorELNS0_4arch9wavefront6targetE0EEEvS14_, .Lfunc_end584-_ZN7rocprim17ROCPRIM_400000_NS6detail17trampoline_kernelINS0_14default_configENS1_22reduce_config_selectorIN6thrust23THRUST_200600_302600_NS5tupleIblNS6_9null_typeES8_S8_S8_S8_S8_S8_S8_EEEEZNS1_11reduce_implILb1ES3_NS6_12zip_iteratorINS7_INS6_11hip_rocprim26transform_input_iterator_tIbNSD_35transform_pair_of_input_iterators_tIbNS6_6detail15normal_iteratorINS6_10device_ptrIKsEEEESL_NS6_8equal_toIsEEEENSG_9not_fun_tINSD_8identityEEEEENSD_19counting_iterator_tIlEES8_S8_S8_S8_S8_S8_S8_S8_EEEEPS9_S9_NSD_9__find_if7functorIS9_EEEE10hipError_tPvRmT1_T2_T3_mT4_P12ihipStream_tbEUlT_E0_NS1_11comp_targetILNS1_3genE3ELNS1_11target_archE908ELNS1_3gpuE7ELNS1_3repE0EEENS1_30default_config_static_selectorELNS0_4arch9wavefront6targetE0EEEvS14_
                                        ; -- End function
	.set _ZN7rocprim17ROCPRIM_400000_NS6detail17trampoline_kernelINS0_14default_configENS1_22reduce_config_selectorIN6thrust23THRUST_200600_302600_NS5tupleIblNS6_9null_typeES8_S8_S8_S8_S8_S8_S8_EEEEZNS1_11reduce_implILb1ES3_NS6_12zip_iteratorINS7_INS6_11hip_rocprim26transform_input_iterator_tIbNSD_35transform_pair_of_input_iterators_tIbNS6_6detail15normal_iteratorINS6_10device_ptrIKsEEEESL_NS6_8equal_toIsEEEENSG_9not_fun_tINSD_8identityEEEEENSD_19counting_iterator_tIlEES8_S8_S8_S8_S8_S8_S8_S8_EEEEPS9_S9_NSD_9__find_if7functorIS9_EEEE10hipError_tPvRmT1_T2_T3_mT4_P12ihipStream_tbEUlT_E0_NS1_11comp_targetILNS1_3genE3ELNS1_11target_archE908ELNS1_3gpuE7ELNS1_3repE0EEENS1_30default_config_static_selectorELNS0_4arch9wavefront6targetE0EEEvS14_.num_vgpr, 0
	.set _ZN7rocprim17ROCPRIM_400000_NS6detail17trampoline_kernelINS0_14default_configENS1_22reduce_config_selectorIN6thrust23THRUST_200600_302600_NS5tupleIblNS6_9null_typeES8_S8_S8_S8_S8_S8_S8_EEEEZNS1_11reduce_implILb1ES3_NS6_12zip_iteratorINS7_INS6_11hip_rocprim26transform_input_iterator_tIbNSD_35transform_pair_of_input_iterators_tIbNS6_6detail15normal_iteratorINS6_10device_ptrIKsEEEESL_NS6_8equal_toIsEEEENSG_9not_fun_tINSD_8identityEEEEENSD_19counting_iterator_tIlEES8_S8_S8_S8_S8_S8_S8_S8_EEEEPS9_S9_NSD_9__find_if7functorIS9_EEEE10hipError_tPvRmT1_T2_T3_mT4_P12ihipStream_tbEUlT_E0_NS1_11comp_targetILNS1_3genE3ELNS1_11target_archE908ELNS1_3gpuE7ELNS1_3repE0EEENS1_30default_config_static_selectorELNS0_4arch9wavefront6targetE0EEEvS14_.num_agpr, 0
	.set _ZN7rocprim17ROCPRIM_400000_NS6detail17trampoline_kernelINS0_14default_configENS1_22reduce_config_selectorIN6thrust23THRUST_200600_302600_NS5tupleIblNS6_9null_typeES8_S8_S8_S8_S8_S8_S8_EEEEZNS1_11reduce_implILb1ES3_NS6_12zip_iteratorINS7_INS6_11hip_rocprim26transform_input_iterator_tIbNSD_35transform_pair_of_input_iterators_tIbNS6_6detail15normal_iteratorINS6_10device_ptrIKsEEEESL_NS6_8equal_toIsEEEENSG_9not_fun_tINSD_8identityEEEEENSD_19counting_iterator_tIlEES8_S8_S8_S8_S8_S8_S8_S8_EEEEPS9_S9_NSD_9__find_if7functorIS9_EEEE10hipError_tPvRmT1_T2_T3_mT4_P12ihipStream_tbEUlT_E0_NS1_11comp_targetILNS1_3genE3ELNS1_11target_archE908ELNS1_3gpuE7ELNS1_3repE0EEENS1_30default_config_static_selectorELNS0_4arch9wavefront6targetE0EEEvS14_.numbered_sgpr, 0
	.set _ZN7rocprim17ROCPRIM_400000_NS6detail17trampoline_kernelINS0_14default_configENS1_22reduce_config_selectorIN6thrust23THRUST_200600_302600_NS5tupleIblNS6_9null_typeES8_S8_S8_S8_S8_S8_S8_EEEEZNS1_11reduce_implILb1ES3_NS6_12zip_iteratorINS7_INS6_11hip_rocprim26transform_input_iterator_tIbNSD_35transform_pair_of_input_iterators_tIbNS6_6detail15normal_iteratorINS6_10device_ptrIKsEEEESL_NS6_8equal_toIsEEEENSG_9not_fun_tINSD_8identityEEEEENSD_19counting_iterator_tIlEES8_S8_S8_S8_S8_S8_S8_S8_EEEEPS9_S9_NSD_9__find_if7functorIS9_EEEE10hipError_tPvRmT1_T2_T3_mT4_P12ihipStream_tbEUlT_E0_NS1_11comp_targetILNS1_3genE3ELNS1_11target_archE908ELNS1_3gpuE7ELNS1_3repE0EEENS1_30default_config_static_selectorELNS0_4arch9wavefront6targetE0EEEvS14_.num_named_barrier, 0
	.set _ZN7rocprim17ROCPRIM_400000_NS6detail17trampoline_kernelINS0_14default_configENS1_22reduce_config_selectorIN6thrust23THRUST_200600_302600_NS5tupleIblNS6_9null_typeES8_S8_S8_S8_S8_S8_S8_EEEEZNS1_11reduce_implILb1ES3_NS6_12zip_iteratorINS7_INS6_11hip_rocprim26transform_input_iterator_tIbNSD_35transform_pair_of_input_iterators_tIbNS6_6detail15normal_iteratorINS6_10device_ptrIKsEEEESL_NS6_8equal_toIsEEEENSG_9not_fun_tINSD_8identityEEEEENSD_19counting_iterator_tIlEES8_S8_S8_S8_S8_S8_S8_S8_EEEEPS9_S9_NSD_9__find_if7functorIS9_EEEE10hipError_tPvRmT1_T2_T3_mT4_P12ihipStream_tbEUlT_E0_NS1_11comp_targetILNS1_3genE3ELNS1_11target_archE908ELNS1_3gpuE7ELNS1_3repE0EEENS1_30default_config_static_selectorELNS0_4arch9wavefront6targetE0EEEvS14_.private_seg_size, 0
	.set _ZN7rocprim17ROCPRIM_400000_NS6detail17trampoline_kernelINS0_14default_configENS1_22reduce_config_selectorIN6thrust23THRUST_200600_302600_NS5tupleIblNS6_9null_typeES8_S8_S8_S8_S8_S8_S8_EEEEZNS1_11reduce_implILb1ES3_NS6_12zip_iteratorINS7_INS6_11hip_rocprim26transform_input_iterator_tIbNSD_35transform_pair_of_input_iterators_tIbNS6_6detail15normal_iteratorINS6_10device_ptrIKsEEEESL_NS6_8equal_toIsEEEENSG_9not_fun_tINSD_8identityEEEEENSD_19counting_iterator_tIlEES8_S8_S8_S8_S8_S8_S8_S8_EEEEPS9_S9_NSD_9__find_if7functorIS9_EEEE10hipError_tPvRmT1_T2_T3_mT4_P12ihipStream_tbEUlT_E0_NS1_11comp_targetILNS1_3genE3ELNS1_11target_archE908ELNS1_3gpuE7ELNS1_3repE0EEENS1_30default_config_static_selectorELNS0_4arch9wavefront6targetE0EEEvS14_.uses_vcc, 0
	.set _ZN7rocprim17ROCPRIM_400000_NS6detail17trampoline_kernelINS0_14default_configENS1_22reduce_config_selectorIN6thrust23THRUST_200600_302600_NS5tupleIblNS6_9null_typeES8_S8_S8_S8_S8_S8_S8_EEEEZNS1_11reduce_implILb1ES3_NS6_12zip_iteratorINS7_INS6_11hip_rocprim26transform_input_iterator_tIbNSD_35transform_pair_of_input_iterators_tIbNS6_6detail15normal_iteratorINS6_10device_ptrIKsEEEESL_NS6_8equal_toIsEEEENSG_9not_fun_tINSD_8identityEEEEENSD_19counting_iterator_tIlEES8_S8_S8_S8_S8_S8_S8_S8_EEEEPS9_S9_NSD_9__find_if7functorIS9_EEEE10hipError_tPvRmT1_T2_T3_mT4_P12ihipStream_tbEUlT_E0_NS1_11comp_targetILNS1_3genE3ELNS1_11target_archE908ELNS1_3gpuE7ELNS1_3repE0EEENS1_30default_config_static_selectorELNS0_4arch9wavefront6targetE0EEEvS14_.uses_flat_scratch, 0
	.set _ZN7rocprim17ROCPRIM_400000_NS6detail17trampoline_kernelINS0_14default_configENS1_22reduce_config_selectorIN6thrust23THRUST_200600_302600_NS5tupleIblNS6_9null_typeES8_S8_S8_S8_S8_S8_S8_EEEEZNS1_11reduce_implILb1ES3_NS6_12zip_iteratorINS7_INS6_11hip_rocprim26transform_input_iterator_tIbNSD_35transform_pair_of_input_iterators_tIbNS6_6detail15normal_iteratorINS6_10device_ptrIKsEEEESL_NS6_8equal_toIsEEEENSG_9not_fun_tINSD_8identityEEEEENSD_19counting_iterator_tIlEES8_S8_S8_S8_S8_S8_S8_S8_EEEEPS9_S9_NSD_9__find_if7functorIS9_EEEE10hipError_tPvRmT1_T2_T3_mT4_P12ihipStream_tbEUlT_E0_NS1_11comp_targetILNS1_3genE3ELNS1_11target_archE908ELNS1_3gpuE7ELNS1_3repE0EEENS1_30default_config_static_selectorELNS0_4arch9wavefront6targetE0EEEvS14_.has_dyn_sized_stack, 0
	.set _ZN7rocprim17ROCPRIM_400000_NS6detail17trampoline_kernelINS0_14default_configENS1_22reduce_config_selectorIN6thrust23THRUST_200600_302600_NS5tupleIblNS6_9null_typeES8_S8_S8_S8_S8_S8_S8_EEEEZNS1_11reduce_implILb1ES3_NS6_12zip_iteratorINS7_INS6_11hip_rocprim26transform_input_iterator_tIbNSD_35transform_pair_of_input_iterators_tIbNS6_6detail15normal_iteratorINS6_10device_ptrIKsEEEESL_NS6_8equal_toIsEEEENSG_9not_fun_tINSD_8identityEEEEENSD_19counting_iterator_tIlEES8_S8_S8_S8_S8_S8_S8_S8_EEEEPS9_S9_NSD_9__find_if7functorIS9_EEEE10hipError_tPvRmT1_T2_T3_mT4_P12ihipStream_tbEUlT_E0_NS1_11comp_targetILNS1_3genE3ELNS1_11target_archE908ELNS1_3gpuE7ELNS1_3repE0EEENS1_30default_config_static_selectorELNS0_4arch9wavefront6targetE0EEEvS14_.has_recursion, 0
	.set _ZN7rocprim17ROCPRIM_400000_NS6detail17trampoline_kernelINS0_14default_configENS1_22reduce_config_selectorIN6thrust23THRUST_200600_302600_NS5tupleIblNS6_9null_typeES8_S8_S8_S8_S8_S8_S8_EEEEZNS1_11reduce_implILb1ES3_NS6_12zip_iteratorINS7_INS6_11hip_rocprim26transform_input_iterator_tIbNSD_35transform_pair_of_input_iterators_tIbNS6_6detail15normal_iteratorINS6_10device_ptrIKsEEEESL_NS6_8equal_toIsEEEENSG_9not_fun_tINSD_8identityEEEEENSD_19counting_iterator_tIlEES8_S8_S8_S8_S8_S8_S8_S8_EEEEPS9_S9_NSD_9__find_if7functorIS9_EEEE10hipError_tPvRmT1_T2_T3_mT4_P12ihipStream_tbEUlT_E0_NS1_11comp_targetILNS1_3genE3ELNS1_11target_archE908ELNS1_3gpuE7ELNS1_3repE0EEENS1_30default_config_static_selectorELNS0_4arch9wavefront6targetE0EEEvS14_.has_indirect_call, 0
	.section	.AMDGPU.csdata,"",@progbits
; Kernel info:
; codeLenInByte = 0
; TotalNumSgprs: 0
; NumVgprs: 0
; ScratchSize: 0
; MemoryBound: 0
; FloatMode: 240
; IeeeMode: 1
; LDSByteSize: 0 bytes/workgroup (compile time only)
; SGPRBlocks: 0
; VGPRBlocks: 0
; NumSGPRsForWavesPerEU: 1
; NumVGPRsForWavesPerEU: 1
; Occupancy: 16
; WaveLimiterHint : 0
; COMPUTE_PGM_RSRC2:SCRATCH_EN: 0
; COMPUTE_PGM_RSRC2:USER_SGPR: 6
; COMPUTE_PGM_RSRC2:TRAP_HANDLER: 0
; COMPUTE_PGM_RSRC2:TGID_X_EN: 1
; COMPUTE_PGM_RSRC2:TGID_Y_EN: 0
; COMPUTE_PGM_RSRC2:TGID_Z_EN: 0
; COMPUTE_PGM_RSRC2:TIDIG_COMP_CNT: 0
	.section	.text._ZN7rocprim17ROCPRIM_400000_NS6detail17trampoline_kernelINS0_14default_configENS1_22reduce_config_selectorIN6thrust23THRUST_200600_302600_NS5tupleIblNS6_9null_typeES8_S8_S8_S8_S8_S8_S8_EEEEZNS1_11reduce_implILb1ES3_NS6_12zip_iteratorINS7_INS6_11hip_rocprim26transform_input_iterator_tIbNSD_35transform_pair_of_input_iterators_tIbNS6_6detail15normal_iteratorINS6_10device_ptrIKsEEEESL_NS6_8equal_toIsEEEENSG_9not_fun_tINSD_8identityEEEEENSD_19counting_iterator_tIlEES8_S8_S8_S8_S8_S8_S8_S8_EEEEPS9_S9_NSD_9__find_if7functorIS9_EEEE10hipError_tPvRmT1_T2_T3_mT4_P12ihipStream_tbEUlT_E0_NS1_11comp_targetILNS1_3genE2ELNS1_11target_archE906ELNS1_3gpuE6ELNS1_3repE0EEENS1_30default_config_static_selectorELNS0_4arch9wavefront6targetE0EEEvS14_,"axG",@progbits,_ZN7rocprim17ROCPRIM_400000_NS6detail17trampoline_kernelINS0_14default_configENS1_22reduce_config_selectorIN6thrust23THRUST_200600_302600_NS5tupleIblNS6_9null_typeES8_S8_S8_S8_S8_S8_S8_EEEEZNS1_11reduce_implILb1ES3_NS6_12zip_iteratorINS7_INS6_11hip_rocprim26transform_input_iterator_tIbNSD_35transform_pair_of_input_iterators_tIbNS6_6detail15normal_iteratorINS6_10device_ptrIKsEEEESL_NS6_8equal_toIsEEEENSG_9not_fun_tINSD_8identityEEEEENSD_19counting_iterator_tIlEES8_S8_S8_S8_S8_S8_S8_S8_EEEEPS9_S9_NSD_9__find_if7functorIS9_EEEE10hipError_tPvRmT1_T2_T3_mT4_P12ihipStream_tbEUlT_E0_NS1_11comp_targetILNS1_3genE2ELNS1_11target_archE906ELNS1_3gpuE6ELNS1_3repE0EEENS1_30default_config_static_selectorELNS0_4arch9wavefront6targetE0EEEvS14_,comdat
	.protected	_ZN7rocprim17ROCPRIM_400000_NS6detail17trampoline_kernelINS0_14default_configENS1_22reduce_config_selectorIN6thrust23THRUST_200600_302600_NS5tupleIblNS6_9null_typeES8_S8_S8_S8_S8_S8_S8_EEEEZNS1_11reduce_implILb1ES3_NS6_12zip_iteratorINS7_INS6_11hip_rocprim26transform_input_iterator_tIbNSD_35transform_pair_of_input_iterators_tIbNS6_6detail15normal_iteratorINS6_10device_ptrIKsEEEESL_NS6_8equal_toIsEEEENSG_9not_fun_tINSD_8identityEEEEENSD_19counting_iterator_tIlEES8_S8_S8_S8_S8_S8_S8_S8_EEEEPS9_S9_NSD_9__find_if7functorIS9_EEEE10hipError_tPvRmT1_T2_T3_mT4_P12ihipStream_tbEUlT_E0_NS1_11comp_targetILNS1_3genE2ELNS1_11target_archE906ELNS1_3gpuE6ELNS1_3repE0EEENS1_30default_config_static_selectorELNS0_4arch9wavefront6targetE0EEEvS14_ ; -- Begin function _ZN7rocprim17ROCPRIM_400000_NS6detail17trampoline_kernelINS0_14default_configENS1_22reduce_config_selectorIN6thrust23THRUST_200600_302600_NS5tupleIblNS6_9null_typeES8_S8_S8_S8_S8_S8_S8_EEEEZNS1_11reduce_implILb1ES3_NS6_12zip_iteratorINS7_INS6_11hip_rocprim26transform_input_iterator_tIbNSD_35transform_pair_of_input_iterators_tIbNS6_6detail15normal_iteratorINS6_10device_ptrIKsEEEESL_NS6_8equal_toIsEEEENSG_9not_fun_tINSD_8identityEEEEENSD_19counting_iterator_tIlEES8_S8_S8_S8_S8_S8_S8_S8_EEEEPS9_S9_NSD_9__find_if7functorIS9_EEEE10hipError_tPvRmT1_T2_T3_mT4_P12ihipStream_tbEUlT_E0_NS1_11comp_targetILNS1_3genE2ELNS1_11target_archE906ELNS1_3gpuE6ELNS1_3repE0EEENS1_30default_config_static_selectorELNS0_4arch9wavefront6targetE0EEEvS14_
	.globl	_ZN7rocprim17ROCPRIM_400000_NS6detail17trampoline_kernelINS0_14default_configENS1_22reduce_config_selectorIN6thrust23THRUST_200600_302600_NS5tupleIblNS6_9null_typeES8_S8_S8_S8_S8_S8_S8_EEEEZNS1_11reduce_implILb1ES3_NS6_12zip_iteratorINS7_INS6_11hip_rocprim26transform_input_iterator_tIbNSD_35transform_pair_of_input_iterators_tIbNS6_6detail15normal_iteratorINS6_10device_ptrIKsEEEESL_NS6_8equal_toIsEEEENSG_9not_fun_tINSD_8identityEEEEENSD_19counting_iterator_tIlEES8_S8_S8_S8_S8_S8_S8_S8_EEEEPS9_S9_NSD_9__find_if7functorIS9_EEEE10hipError_tPvRmT1_T2_T3_mT4_P12ihipStream_tbEUlT_E0_NS1_11comp_targetILNS1_3genE2ELNS1_11target_archE906ELNS1_3gpuE6ELNS1_3repE0EEENS1_30default_config_static_selectorELNS0_4arch9wavefront6targetE0EEEvS14_
	.p2align	8
	.type	_ZN7rocprim17ROCPRIM_400000_NS6detail17trampoline_kernelINS0_14default_configENS1_22reduce_config_selectorIN6thrust23THRUST_200600_302600_NS5tupleIblNS6_9null_typeES8_S8_S8_S8_S8_S8_S8_EEEEZNS1_11reduce_implILb1ES3_NS6_12zip_iteratorINS7_INS6_11hip_rocprim26transform_input_iterator_tIbNSD_35transform_pair_of_input_iterators_tIbNS6_6detail15normal_iteratorINS6_10device_ptrIKsEEEESL_NS6_8equal_toIsEEEENSG_9not_fun_tINSD_8identityEEEEENSD_19counting_iterator_tIlEES8_S8_S8_S8_S8_S8_S8_S8_EEEEPS9_S9_NSD_9__find_if7functorIS9_EEEE10hipError_tPvRmT1_T2_T3_mT4_P12ihipStream_tbEUlT_E0_NS1_11comp_targetILNS1_3genE2ELNS1_11target_archE906ELNS1_3gpuE6ELNS1_3repE0EEENS1_30default_config_static_selectorELNS0_4arch9wavefront6targetE0EEEvS14_,@function
_ZN7rocprim17ROCPRIM_400000_NS6detail17trampoline_kernelINS0_14default_configENS1_22reduce_config_selectorIN6thrust23THRUST_200600_302600_NS5tupleIblNS6_9null_typeES8_S8_S8_S8_S8_S8_S8_EEEEZNS1_11reduce_implILb1ES3_NS6_12zip_iteratorINS7_INS6_11hip_rocprim26transform_input_iterator_tIbNSD_35transform_pair_of_input_iterators_tIbNS6_6detail15normal_iteratorINS6_10device_ptrIKsEEEESL_NS6_8equal_toIsEEEENSG_9not_fun_tINSD_8identityEEEEENSD_19counting_iterator_tIlEES8_S8_S8_S8_S8_S8_S8_S8_EEEEPS9_S9_NSD_9__find_if7functorIS9_EEEE10hipError_tPvRmT1_T2_T3_mT4_P12ihipStream_tbEUlT_E0_NS1_11comp_targetILNS1_3genE2ELNS1_11target_archE906ELNS1_3gpuE6ELNS1_3repE0EEENS1_30default_config_static_selectorELNS0_4arch9wavefront6targetE0EEEvS14_: ; @_ZN7rocprim17ROCPRIM_400000_NS6detail17trampoline_kernelINS0_14default_configENS1_22reduce_config_selectorIN6thrust23THRUST_200600_302600_NS5tupleIblNS6_9null_typeES8_S8_S8_S8_S8_S8_S8_EEEEZNS1_11reduce_implILb1ES3_NS6_12zip_iteratorINS7_INS6_11hip_rocprim26transform_input_iterator_tIbNSD_35transform_pair_of_input_iterators_tIbNS6_6detail15normal_iteratorINS6_10device_ptrIKsEEEESL_NS6_8equal_toIsEEEENSG_9not_fun_tINSD_8identityEEEEENSD_19counting_iterator_tIlEES8_S8_S8_S8_S8_S8_S8_S8_EEEEPS9_S9_NSD_9__find_if7functorIS9_EEEE10hipError_tPvRmT1_T2_T3_mT4_P12ihipStream_tbEUlT_E0_NS1_11comp_targetILNS1_3genE2ELNS1_11target_archE906ELNS1_3gpuE6ELNS1_3repE0EEENS1_30default_config_static_selectorELNS0_4arch9wavefront6targetE0EEEvS14_
; %bb.0:
	.section	.rodata,"a",@progbits
	.p2align	6, 0x0
	.amdhsa_kernel _ZN7rocprim17ROCPRIM_400000_NS6detail17trampoline_kernelINS0_14default_configENS1_22reduce_config_selectorIN6thrust23THRUST_200600_302600_NS5tupleIblNS6_9null_typeES8_S8_S8_S8_S8_S8_S8_EEEEZNS1_11reduce_implILb1ES3_NS6_12zip_iteratorINS7_INS6_11hip_rocprim26transform_input_iterator_tIbNSD_35transform_pair_of_input_iterators_tIbNS6_6detail15normal_iteratorINS6_10device_ptrIKsEEEESL_NS6_8equal_toIsEEEENSG_9not_fun_tINSD_8identityEEEEENSD_19counting_iterator_tIlEES8_S8_S8_S8_S8_S8_S8_S8_EEEEPS9_S9_NSD_9__find_if7functorIS9_EEEE10hipError_tPvRmT1_T2_T3_mT4_P12ihipStream_tbEUlT_E0_NS1_11comp_targetILNS1_3genE2ELNS1_11target_archE906ELNS1_3gpuE6ELNS1_3repE0EEENS1_30default_config_static_selectorELNS0_4arch9wavefront6targetE0EEEvS14_
		.amdhsa_group_segment_fixed_size 0
		.amdhsa_private_segment_fixed_size 0
		.amdhsa_kernarg_size 104
		.amdhsa_user_sgpr_count 6
		.amdhsa_user_sgpr_private_segment_buffer 1
		.amdhsa_user_sgpr_dispatch_ptr 0
		.amdhsa_user_sgpr_queue_ptr 0
		.amdhsa_user_sgpr_kernarg_segment_ptr 1
		.amdhsa_user_sgpr_dispatch_id 0
		.amdhsa_user_sgpr_flat_scratch_init 0
		.amdhsa_user_sgpr_private_segment_size 0
		.amdhsa_wavefront_size32 1
		.amdhsa_uses_dynamic_stack 0
		.amdhsa_system_sgpr_private_segment_wavefront_offset 0
		.amdhsa_system_sgpr_workgroup_id_x 1
		.amdhsa_system_sgpr_workgroup_id_y 0
		.amdhsa_system_sgpr_workgroup_id_z 0
		.amdhsa_system_sgpr_workgroup_info 0
		.amdhsa_system_vgpr_workitem_id 0
		.amdhsa_next_free_vgpr 1
		.amdhsa_next_free_sgpr 1
		.amdhsa_reserve_vcc 0
		.amdhsa_reserve_flat_scratch 0
		.amdhsa_float_round_mode_32 0
		.amdhsa_float_round_mode_16_64 0
		.amdhsa_float_denorm_mode_32 3
		.amdhsa_float_denorm_mode_16_64 3
		.amdhsa_dx10_clamp 1
		.amdhsa_ieee_mode 1
		.amdhsa_fp16_overflow 0
		.amdhsa_workgroup_processor_mode 1
		.amdhsa_memory_ordered 1
		.amdhsa_forward_progress 1
		.amdhsa_shared_vgpr_count 0
		.amdhsa_exception_fp_ieee_invalid_op 0
		.amdhsa_exception_fp_denorm_src 0
		.amdhsa_exception_fp_ieee_div_zero 0
		.amdhsa_exception_fp_ieee_overflow 0
		.amdhsa_exception_fp_ieee_underflow 0
		.amdhsa_exception_fp_ieee_inexact 0
		.amdhsa_exception_int_div_zero 0
	.end_amdhsa_kernel
	.section	.text._ZN7rocprim17ROCPRIM_400000_NS6detail17trampoline_kernelINS0_14default_configENS1_22reduce_config_selectorIN6thrust23THRUST_200600_302600_NS5tupleIblNS6_9null_typeES8_S8_S8_S8_S8_S8_S8_EEEEZNS1_11reduce_implILb1ES3_NS6_12zip_iteratorINS7_INS6_11hip_rocprim26transform_input_iterator_tIbNSD_35transform_pair_of_input_iterators_tIbNS6_6detail15normal_iteratorINS6_10device_ptrIKsEEEESL_NS6_8equal_toIsEEEENSG_9not_fun_tINSD_8identityEEEEENSD_19counting_iterator_tIlEES8_S8_S8_S8_S8_S8_S8_S8_EEEEPS9_S9_NSD_9__find_if7functorIS9_EEEE10hipError_tPvRmT1_T2_T3_mT4_P12ihipStream_tbEUlT_E0_NS1_11comp_targetILNS1_3genE2ELNS1_11target_archE906ELNS1_3gpuE6ELNS1_3repE0EEENS1_30default_config_static_selectorELNS0_4arch9wavefront6targetE0EEEvS14_,"axG",@progbits,_ZN7rocprim17ROCPRIM_400000_NS6detail17trampoline_kernelINS0_14default_configENS1_22reduce_config_selectorIN6thrust23THRUST_200600_302600_NS5tupleIblNS6_9null_typeES8_S8_S8_S8_S8_S8_S8_EEEEZNS1_11reduce_implILb1ES3_NS6_12zip_iteratorINS7_INS6_11hip_rocprim26transform_input_iterator_tIbNSD_35transform_pair_of_input_iterators_tIbNS6_6detail15normal_iteratorINS6_10device_ptrIKsEEEESL_NS6_8equal_toIsEEEENSG_9not_fun_tINSD_8identityEEEEENSD_19counting_iterator_tIlEES8_S8_S8_S8_S8_S8_S8_S8_EEEEPS9_S9_NSD_9__find_if7functorIS9_EEEE10hipError_tPvRmT1_T2_T3_mT4_P12ihipStream_tbEUlT_E0_NS1_11comp_targetILNS1_3genE2ELNS1_11target_archE906ELNS1_3gpuE6ELNS1_3repE0EEENS1_30default_config_static_selectorELNS0_4arch9wavefront6targetE0EEEvS14_,comdat
.Lfunc_end585:
	.size	_ZN7rocprim17ROCPRIM_400000_NS6detail17trampoline_kernelINS0_14default_configENS1_22reduce_config_selectorIN6thrust23THRUST_200600_302600_NS5tupleIblNS6_9null_typeES8_S8_S8_S8_S8_S8_S8_EEEEZNS1_11reduce_implILb1ES3_NS6_12zip_iteratorINS7_INS6_11hip_rocprim26transform_input_iterator_tIbNSD_35transform_pair_of_input_iterators_tIbNS6_6detail15normal_iteratorINS6_10device_ptrIKsEEEESL_NS6_8equal_toIsEEEENSG_9not_fun_tINSD_8identityEEEEENSD_19counting_iterator_tIlEES8_S8_S8_S8_S8_S8_S8_S8_EEEEPS9_S9_NSD_9__find_if7functorIS9_EEEE10hipError_tPvRmT1_T2_T3_mT4_P12ihipStream_tbEUlT_E0_NS1_11comp_targetILNS1_3genE2ELNS1_11target_archE906ELNS1_3gpuE6ELNS1_3repE0EEENS1_30default_config_static_selectorELNS0_4arch9wavefront6targetE0EEEvS14_, .Lfunc_end585-_ZN7rocprim17ROCPRIM_400000_NS6detail17trampoline_kernelINS0_14default_configENS1_22reduce_config_selectorIN6thrust23THRUST_200600_302600_NS5tupleIblNS6_9null_typeES8_S8_S8_S8_S8_S8_S8_EEEEZNS1_11reduce_implILb1ES3_NS6_12zip_iteratorINS7_INS6_11hip_rocprim26transform_input_iterator_tIbNSD_35transform_pair_of_input_iterators_tIbNS6_6detail15normal_iteratorINS6_10device_ptrIKsEEEESL_NS6_8equal_toIsEEEENSG_9not_fun_tINSD_8identityEEEEENSD_19counting_iterator_tIlEES8_S8_S8_S8_S8_S8_S8_S8_EEEEPS9_S9_NSD_9__find_if7functorIS9_EEEE10hipError_tPvRmT1_T2_T3_mT4_P12ihipStream_tbEUlT_E0_NS1_11comp_targetILNS1_3genE2ELNS1_11target_archE906ELNS1_3gpuE6ELNS1_3repE0EEENS1_30default_config_static_selectorELNS0_4arch9wavefront6targetE0EEEvS14_
                                        ; -- End function
	.set _ZN7rocprim17ROCPRIM_400000_NS6detail17trampoline_kernelINS0_14default_configENS1_22reduce_config_selectorIN6thrust23THRUST_200600_302600_NS5tupleIblNS6_9null_typeES8_S8_S8_S8_S8_S8_S8_EEEEZNS1_11reduce_implILb1ES3_NS6_12zip_iteratorINS7_INS6_11hip_rocprim26transform_input_iterator_tIbNSD_35transform_pair_of_input_iterators_tIbNS6_6detail15normal_iteratorINS6_10device_ptrIKsEEEESL_NS6_8equal_toIsEEEENSG_9not_fun_tINSD_8identityEEEEENSD_19counting_iterator_tIlEES8_S8_S8_S8_S8_S8_S8_S8_EEEEPS9_S9_NSD_9__find_if7functorIS9_EEEE10hipError_tPvRmT1_T2_T3_mT4_P12ihipStream_tbEUlT_E0_NS1_11comp_targetILNS1_3genE2ELNS1_11target_archE906ELNS1_3gpuE6ELNS1_3repE0EEENS1_30default_config_static_selectorELNS0_4arch9wavefront6targetE0EEEvS14_.num_vgpr, 0
	.set _ZN7rocprim17ROCPRIM_400000_NS6detail17trampoline_kernelINS0_14default_configENS1_22reduce_config_selectorIN6thrust23THRUST_200600_302600_NS5tupleIblNS6_9null_typeES8_S8_S8_S8_S8_S8_S8_EEEEZNS1_11reduce_implILb1ES3_NS6_12zip_iteratorINS7_INS6_11hip_rocprim26transform_input_iterator_tIbNSD_35transform_pair_of_input_iterators_tIbNS6_6detail15normal_iteratorINS6_10device_ptrIKsEEEESL_NS6_8equal_toIsEEEENSG_9not_fun_tINSD_8identityEEEEENSD_19counting_iterator_tIlEES8_S8_S8_S8_S8_S8_S8_S8_EEEEPS9_S9_NSD_9__find_if7functorIS9_EEEE10hipError_tPvRmT1_T2_T3_mT4_P12ihipStream_tbEUlT_E0_NS1_11comp_targetILNS1_3genE2ELNS1_11target_archE906ELNS1_3gpuE6ELNS1_3repE0EEENS1_30default_config_static_selectorELNS0_4arch9wavefront6targetE0EEEvS14_.num_agpr, 0
	.set _ZN7rocprim17ROCPRIM_400000_NS6detail17trampoline_kernelINS0_14default_configENS1_22reduce_config_selectorIN6thrust23THRUST_200600_302600_NS5tupleIblNS6_9null_typeES8_S8_S8_S8_S8_S8_S8_EEEEZNS1_11reduce_implILb1ES3_NS6_12zip_iteratorINS7_INS6_11hip_rocprim26transform_input_iterator_tIbNSD_35transform_pair_of_input_iterators_tIbNS6_6detail15normal_iteratorINS6_10device_ptrIKsEEEESL_NS6_8equal_toIsEEEENSG_9not_fun_tINSD_8identityEEEEENSD_19counting_iterator_tIlEES8_S8_S8_S8_S8_S8_S8_S8_EEEEPS9_S9_NSD_9__find_if7functorIS9_EEEE10hipError_tPvRmT1_T2_T3_mT4_P12ihipStream_tbEUlT_E0_NS1_11comp_targetILNS1_3genE2ELNS1_11target_archE906ELNS1_3gpuE6ELNS1_3repE0EEENS1_30default_config_static_selectorELNS0_4arch9wavefront6targetE0EEEvS14_.numbered_sgpr, 0
	.set _ZN7rocprim17ROCPRIM_400000_NS6detail17trampoline_kernelINS0_14default_configENS1_22reduce_config_selectorIN6thrust23THRUST_200600_302600_NS5tupleIblNS6_9null_typeES8_S8_S8_S8_S8_S8_S8_EEEEZNS1_11reduce_implILb1ES3_NS6_12zip_iteratorINS7_INS6_11hip_rocprim26transform_input_iterator_tIbNSD_35transform_pair_of_input_iterators_tIbNS6_6detail15normal_iteratorINS6_10device_ptrIKsEEEESL_NS6_8equal_toIsEEEENSG_9not_fun_tINSD_8identityEEEEENSD_19counting_iterator_tIlEES8_S8_S8_S8_S8_S8_S8_S8_EEEEPS9_S9_NSD_9__find_if7functorIS9_EEEE10hipError_tPvRmT1_T2_T3_mT4_P12ihipStream_tbEUlT_E0_NS1_11comp_targetILNS1_3genE2ELNS1_11target_archE906ELNS1_3gpuE6ELNS1_3repE0EEENS1_30default_config_static_selectorELNS0_4arch9wavefront6targetE0EEEvS14_.num_named_barrier, 0
	.set _ZN7rocprim17ROCPRIM_400000_NS6detail17trampoline_kernelINS0_14default_configENS1_22reduce_config_selectorIN6thrust23THRUST_200600_302600_NS5tupleIblNS6_9null_typeES8_S8_S8_S8_S8_S8_S8_EEEEZNS1_11reduce_implILb1ES3_NS6_12zip_iteratorINS7_INS6_11hip_rocprim26transform_input_iterator_tIbNSD_35transform_pair_of_input_iterators_tIbNS6_6detail15normal_iteratorINS6_10device_ptrIKsEEEESL_NS6_8equal_toIsEEEENSG_9not_fun_tINSD_8identityEEEEENSD_19counting_iterator_tIlEES8_S8_S8_S8_S8_S8_S8_S8_EEEEPS9_S9_NSD_9__find_if7functorIS9_EEEE10hipError_tPvRmT1_T2_T3_mT4_P12ihipStream_tbEUlT_E0_NS1_11comp_targetILNS1_3genE2ELNS1_11target_archE906ELNS1_3gpuE6ELNS1_3repE0EEENS1_30default_config_static_selectorELNS0_4arch9wavefront6targetE0EEEvS14_.private_seg_size, 0
	.set _ZN7rocprim17ROCPRIM_400000_NS6detail17trampoline_kernelINS0_14default_configENS1_22reduce_config_selectorIN6thrust23THRUST_200600_302600_NS5tupleIblNS6_9null_typeES8_S8_S8_S8_S8_S8_S8_EEEEZNS1_11reduce_implILb1ES3_NS6_12zip_iteratorINS7_INS6_11hip_rocprim26transform_input_iterator_tIbNSD_35transform_pair_of_input_iterators_tIbNS6_6detail15normal_iteratorINS6_10device_ptrIKsEEEESL_NS6_8equal_toIsEEEENSG_9not_fun_tINSD_8identityEEEEENSD_19counting_iterator_tIlEES8_S8_S8_S8_S8_S8_S8_S8_EEEEPS9_S9_NSD_9__find_if7functorIS9_EEEE10hipError_tPvRmT1_T2_T3_mT4_P12ihipStream_tbEUlT_E0_NS1_11comp_targetILNS1_3genE2ELNS1_11target_archE906ELNS1_3gpuE6ELNS1_3repE0EEENS1_30default_config_static_selectorELNS0_4arch9wavefront6targetE0EEEvS14_.uses_vcc, 0
	.set _ZN7rocprim17ROCPRIM_400000_NS6detail17trampoline_kernelINS0_14default_configENS1_22reduce_config_selectorIN6thrust23THRUST_200600_302600_NS5tupleIblNS6_9null_typeES8_S8_S8_S8_S8_S8_S8_EEEEZNS1_11reduce_implILb1ES3_NS6_12zip_iteratorINS7_INS6_11hip_rocprim26transform_input_iterator_tIbNSD_35transform_pair_of_input_iterators_tIbNS6_6detail15normal_iteratorINS6_10device_ptrIKsEEEESL_NS6_8equal_toIsEEEENSG_9not_fun_tINSD_8identityEEEEENSD_19counting_iterator_tIlEES8_S8_S8_S8_S8_S8_S8_S8_EEEEPS9_S9_NSD_9__find_if7functorIS9_EEEE10hipError_tPvRmT1_T2_T3_mT4_P12ihipStream_tbEUlT_E0_NS1_11comp_targetILNS1_3genE2ELNS1_11target_archE906ELNS1_3gpuE6ELNS1_3repE0EEENS1_30default_config_static_selectorELNS0_4arch9wavefront6targetE0EEEvS14_.uses_flat_scratch, 0
	.set _ZN7rocprim17ROCPRIM_400000_NS6detail17trampoline_kernelINS0_14default_configENS1_22reduce_config_selectorIN6thrust23THRUST_200600_302600_NS5tupleIblNS6_9null_typeES8_S8_S8_S8_S8_S8_S8_EEEEZNS1_11reduce_implILb1ES3_NS6_12zip_iteratorINS7_INS6_11hip_rocprim26transform_input_iterator_tIbNSD_35transform_pair_of_input_iterators_tIbNS6_6detail15normal_iteratorINS6_10device_ptrIKsEEEESL_NS6_8equal_toIsEEEENSG_9not_fun_tINSD_8identityEEEEENSD_19counting_iterator_tIlEES8_S8_S8_S8_S8_S8_S8_S8_EEEEPS9_S9_NSD_9__find_if7functorIS9_EEEE10hipError_tPvRmT1_T2_T3_mT4_P12ihipStream_tbEUlT_E0_NS1_11comp_targetILNS1_3genE2ELNS1_11target_archE906ELNS1_3gpuE6ELNS1_3repE0EEENS1_30default_config_static_selectorELNS0_4arch9wavefront6targetE0EEEvS14_.has_dyn_sized_stack, 0
	.set _ZN7rocprim17ROCPRIM_400000_NS6detail17trampoline_kernelINS0_14default_configENS1_22reduce_config_selectorIN6thrust23THRUST_200600_302600_NS5tupleIblNS6_9null_typeES8_S8_S8_S8_S8_S8_S8_EEEEZNS1_11reduce_implILb1ES3_NS6_12zip_iteratorINS7_INS6_11hip_rocprim26transform_input_iterator_tIbNSD_35transform_pair_of_input_iterators_tIbNS6_6detail15normal_iteratorINS6_10device_ptrIKsEEEESL_NS6_8equal_toIsEEEENSG_9not_fun_tINSD_8identityEEEEENSD_19counting_iterator_tIlEES8_S8_S8_S8_S8_S8_S8_S8_EEEEPS9_S9_NSD_9__find_if7functorIS9_EEEE10hipError_tPvRmT1_T2_T3_mT4_P12ihipStream_tbEUlT_E0_NS1_11comp_targetILNS1_3genE2ELNS1_11target_archE906ELNS1_3gpuE6ELNS1_3repE0EEENS1_30default_config_static_selectorELNS0_4arch9wavefront6targetE0EEEvS14_.has_recursion, 0
	.set _ZN7rocprim17ROCPRIM_400000_NS6detail17trampoline_kernelINS0_14default_configENS1_22reduce_config_selectorIN6thrust23THRUST_200600_302600_NS5tupleIblNS6_9null_typeES8_S8_S8_S8_S8_S8_S8_EEEEZNS1_11reduce_implILb1ES3_NS6_12zip_iteratorINS7_INS6_11hip_rocprim26transform_input_iterator_tIbNSD_35transform_pair_of_input_iterators_tIbNS6_6detail15normal_iteratorINS6_10device_ptrIKsEEEESL_NS6_8equal_toIsEEEENSG_9not_fun_tINSD_8identityEEEEENSD_19counting_iterator_tIlEES8_S8_S8_S8_S8_S8_S8_S8_EEEEPS9_S9_NSD_9__find_if7functorIS9_EEEE10hipError_tPvRmT1_T2_T3_mT4_P12ihipStream_tbEUlT_E0_NS1_11comp_targetILNS1_3genE2ELNS1_11target_archE906ELNS1_3gpuE6ELNS1_3repE0EEENS1_30default_config_static_selectorELNS0_4arch9wavefront6targetE0EEEvS14_.has_indirect_call, 0
	.section	.AMDGPU.csdata,"",@progbits
; Kernel info:
; codeLenInByte = 0
; TotalNumSgprs: 0
; NumVgprs: 0
; ScratchSize: 0
; MemoryBound: 0
; FloatMode: 240
; IeeeMode: 1
; LDSByteSize: 0 bytes/workgroup (compile time only)
; SGPRBlocks: 0
; VGPRBlocks: 0
; NumSGPRsForWavesPerEU: 1
; NumVGPRsForWavesPerEU: 1
; Occupancy: 16
; WaveLimiterHint : 0
; COMPUTE_PGM_RSRC2:SCRATCH_EN: 0
; COMPUTE_PGM_RSRC2:USER_SGPR: 6
; COMPUTE_PGM_RSRC2:TRAP_HANDLER: 0
; COMPUTE_PGM_RSRC2:TGID_X_EN: 1
; COMPUTE_PGM_RSRC2:TGID_Y_EN: 0
; COMPUTE_PGM_RSRC2:TGID_Z_EN: 0
; COMPUTE_PGM_RSRC2:TIDIG_COMP_CNT: 0
	.section	.text._ZN7rocprim17ROCPRIM_400000_NS6detail17trampoline_kernelINS0_14default_configENS1_22reduce_config_selectorIN6thrust23THRUST_200600_302600_NS5tupleIblNS6_9null_typeES8_S8_S8_S8_S8_S8_S8_EEEEZNS1_11reduce_implILb1ES3_NS6_12zip_iteratorINS7_INS6_11hip_rocprim26transform_input_iterator_tIbNSD_35transform_pair_of_input_iterators_tIbNS6_6detail15normal_iteratorINS6_10device_ptrIKsEEEESL_NS6_8equal_toIsEEEENSG_9not_fun_tINSD_8identityEEEEENSD_19counting_iterator_tIlEES8_S8_S8_S8_S8_S8_S8_S8_EEEEPS9_S9_NSD_9__find_if7functorIS9_EEEE10hipError_tPvRmT1_T2_T3_mT4_P12ihipStream_tbEUlT_E0_NS1_11comp_targetILNS1_3genE10ELNS1_11target_archE1201ELNS1_3gpuE5ELNS1_3repE0EEENS1_30default_config_static_selectorELNS0_4arch9wavefront6targetE0EEEvS14_,"axG",@progbits,_ZN7rocprim17ROCPRIM_400000_NS6detail17trampoline_kernelINS0_14default_configENS1_22reduce_config_selectorIN6thrust23THRUST_200600_302600_NS5tupleIblNS6_9null_typeES8_S8_S8_S8_S8_S8_S8_EEEEZNS1_11reduce_implILb1ES3_NS6_12zip_iteratorINS7_INS6_11hip_rocprim26transform_input_iterator_tIbNSD_35transform_pair_of_input_iterators_tIbNS6_6detail15normal_iteratorINS6_10device_ptrIKsEEEESL_NS6_8equal_toIsEEEENSG_9not_fun_tINSD_8identityEEEEENSD_19counting_iterator_tIlEES8_S8_S8_S8_S8_S8_S8_S8_EEEEPS9_S9_NSD_9__find_if7functorIS9_EEEE10hipError_tPvRmT1_T2_T3_mT4_P12ihipStream_tbEUlT_E0_NS1_11comp_targetILNS1_3genE10ELNS1_11target_archE1201ELNS1_3gpuE5ELNS1_3repE0EEENS1_30default_config_static_selectorELNS0_4arch9wavefront6targetE0EEEvS14_,comdat
	.protected	_ZN7rocprim17ROCPRIM_400000_NS6detail17trampoline_kernelINS0_14default_configENS1_22reduce_config_selectorIN6thrust23THRUST_200600_302600_NS5tupleIblNS6_9null_typeES8_S8_S8_S8_S8_S8_S8_EEEEZNS1_11reduce_implILb1ES3_NS6_12zip_iteratorINS7_INS6_11hip_rocprim26transform_input_iterator_tIbNSD_35transform_pair_of_input_iterators_tIbNS6_6detail15normal_iteratorINS6_10device_ptrIKsEEEESL_NS6_8equal_toIsEEEENSG_9not_fun_tINSD_8identityEEEEENSD_19counting_iterator_tIlEES8_S8_S8_S8_S8_S8_S8_S8_EEEEPS9_S9_NSD_9__find_if7functorIS9_EEEE10hipError_tPvRmT1_T2_T3_mT4_P12ihipStream_tbEUlT_E0_NS1_11comp_targetILNS1_3genE10ELNS1_11target_archE1201ELNS1_3gpuE5ELNS1_3repE0EEENS1_30default_config_static_selectorELNS0_4arch9wavefront6targetE0EEEvS14_ ; -- Begin function _ZN7rocprim17ROCPRIM_400000_NS6detail17trampoline_kernelINS0_14default_configENS1_22reduce_config_selectorIN6thrust23THRUST_200600_302600_NS5tupleIblNS6_9null_typeES8_S8_S8_S8_S8_S8_S8_EEEEZNS1_11reduce_implILb1ES3_NS6_12zip_iteratorINS7_INS6_11hip_rocprim26transform_input_iterator_tIbNSD_35transform_pair_of_input_iterators_tIbNS6_6detail15normal_iteratorINS6_10device_ptrIKsEEEESL_NS6_8equal_toIsEEEENSG_9not_fun_tINSD_8identityEEEEENSD_19counting_iterator_tIlEES8_S8_S8_S8_S8_S8_S8_S8_EEEEPS9_S9_NSD_9__find_if7functorIS9_EEEE10hipError_tPvRmT1_T2_T3_mT4_P12ihipStream_tbEUlT_E0_NS1_11comp_targetILNS1_3genE10ELNS1_11target_archE1201ELNS1_3gpuE5ELNS1_3repE0EEENS1_30default_config_static_selectorELNS0_4arch9wavefront6targetE0EEEvS14_
	.globl	_ZN7rocprim17ROCPRIM_400000_NS6detail17trampoline_kernelINS0_14default_configENS1_22reduce_config_selectorIN6thrust23THRUST_200600_302600_NS5tupleIblNS6_9null_typeES8_S8_S8_S8_S8_S8_S8_EEEEZNS1_11reduce_implILb1ES3_NS6_12zip_iteratorINS7_INS6_11hip_rocprim26transform_input_iterator_tIbNSD_35transform_pair_of_input_iterators_tIbNS6_6detail15normal_iteratorINS6_10device_ptrIKsEEEESL_NS6_8equal_toIsEEEENSG_9not_fun_tINSD_8identityEEEEENSD_19counting_iterator_tIlEES8_S8_S8_S8_S8_S8_S8_S8_EEEEPS9_S9_NSD_9__find_if7functorIS9_EEEE10hipError_tPvRmT1_T2_T3_mT4_P12ihipStream_tbEUlT_E0_NS1_11comp_targetILNS1_3genE10ELNS1_11target_archE1201ELNS1_3gpuE5ELNS1_3repE0EEENS1_30default_config_static_selectorELNS0_4arch9wavefront6targetE0EEEvS14_
	.p2align	8
	.type	_ZN7rocprim17ROCPRIM_400000_NS6detail17trampoline_kernelINS0_14default_configENS1_22reduce_config_selectorIN6thrust23THRUST_200600_302600_NS5tupleIblNS6_9null_typeES8_S8_S8_S8_S8_S8_S8_EEEEZNS1_11reduce_implILb1ES3_NS6_12zip_iteratorINS7_INS6_11hip_rocprim26transform_input_iterator_tIbNSD_35transform_pair_of_input_iterators_tIbNS6_6detail15normal_iteratorINS6_10device_ptrIKsEEEESL_NS6_8equal_toIsEEEENSG_9not_fun_tINSD_8identityEEEEENSD_19counting_iterator_tIlEES8_S8_S8_S8_S8_S8_S8_S8_EEEEPS9_S9_NSD_9__find_if7functorIS9_EEEE10hipError_tPvRmT1_T2_T3_mT4_P12ihipStream_tbEUlT_E0_NS1_11comp_targetILNS1_3genE10ELNS1_11target_archE1201ELNS1_3gpuE5ELNS1_3repE0EEENS1_30default_config_static_selectorELNS0_4arch9wavefront6targetE0EEEvS14_,@function
_ZN7rocprim17ROCPRIM_400000_NS6detail17trampoline_kernelINS0_14default_configENS1_22reduce_config_selectorIN6thrust23THRUST_200600_302600_NS5tupleIblNS6_9null_typeES8_S8_S8_S8_S8_S8_S8_EEEEZNS1_11reduce_implILb1ES3_NS6_12zip_iteratorINS7_INS6_11hip_rocprim26transform_input_iterator_tIbNSD_35transform_pair_of_input_iterators_tIbNS6_6detail15normal_iteratorINS6_10device_ptrIKsEEEESL_NS6_8equal_toIsEEEENSG_9not_fun_tINSD_8identityEEEEENSD_19counting_iterator_tIlEES8_S8_S8_S8_S8_S8_S8_S8_EEEEPS9_S9_NSD_9__find_if7functorIS9_EEEE10hipError_tPvRmT1_T2_T3_mT4_P12ihipStream_tbEUlT_E0_NS1_11comp_targetILNS1_3genE10ELNS1_11target_archE1201ELNS1_3gpuE5ELNS1_3repE0EEENS1_30default_config_static_selectorELNS0_4arch9wavefront6targetE0EEEvS14_: ; @_ZN7rocprim17ROCPRIM_400000_NS6detail17trampoline_kernelINS0_14default_configENS1_22reduce_config_selectorIN6thrust23THRUST_200600_302600_NS5tupleIblNS6_9null_typeES8_S8_S8_S8_S8_S8_S8_EEEEZNS1_11reduce_implILb1ES3_NS6_12zip_iteratorINS7_INS6_11hip_rocprim26transform_input_iterator_tIbNSD_35transform_pair_of_input_iterators_tIbNS6_6detail15normal_iteratorINS6_10device_ptrIKsEEEESL_NS6_8equal_toIsEEEENSG_9not_fun_tINSD_8identityEEEEENSD_19counting_iterator_tIlEES8_S8_S8_S8_S8_S8_S8_S8_EEEEPS9_S9_NSD_9__find_if7functorIS9_EEEE10hipError_tPvRmT1_T2_T3_mT4_P12ihipStream_tbEUlT_E0_NS1_11comp_targetILNS1_3genE10ELNS1_11target_archE1201ELNS1_3gpuE5ELNS1_3repE0EEENS1_30default_config_static_selectorELNS0_4arch9wavefront6targetE0EEEvS14_
; %bb.0:
	.section	.rodata,"a",@progbits
	.p2align	6, 0x0
	.amdhsa_kernel _ZN7rocprim17ROCPRIM_400000_NS6detail17trampoline_kernelINS0_14default_configENS1_22reduce_config_selectorIN6thrust23THRUST_200600_302600_NS5tupleIblNS6_9null_typeES8_S8_S8_S8_S8_S8_S8_EEEEZNS1_11reduce_implILb1ES3_NS6_12zip_iteratorINS7_INS6_11hip_rocprim26transform_input_iterator_tIbNSD_35transform_pair_of_input_iterators_tIbNS6_6detail15normal_iteratorINS6_10device_ptrIKsEEEESL_NS6_8equal_toIsEEEENSG_9not_fun_tINSD_8identityEEEEENSD_19counting_iterator_tIlEES8_S8_S8_S8_S8_S8_S8_S8_EEEEPS9_S9_NSD_9__find_if7functorIS9_EEEE10hipError_tPvRmT1_T2_T3_mT4_P12ihipStream_tbEUlT_E0_NS1_11comp_targetILNS1_3genE10ELNS1_11target_archE1201ELNS1_3gpuE5ELNS1_3repE0EEENS1_30default_config_static_selectorELNS0_4arch9wavefront6targetE0EEEvS14_
		.amdhsa_group_segment_fixed_size 0
		.amdhsa_private_segment_fixed_size 0
		.amdhsa_kernarg_size 104
		.amdhsa_user_sgpr_count 6
		.amdhsa_user_sgpr_private_segment_buffer 1
		.amdhsa_user_sgpr_dispatch_ptr 0
		.amdhsa_user_sgpr_queue_ptr 0
		.amdhsa_user_sgpr_kernarg_segment_ptr 1
		.amdhsa_user_sgpr_dispatch_id 0
		.amdhsa_user_sgpr_flat_scratch_init 0
		.amdhsa_user_sgpr_private_segment_size 0
		.amdhsa_wavefront_size32 1
		.amdhsa_uses_dynamic_stack 0
		.amdhsa_system_sgpr_private_segment_wavefront_offset 0
		.amdhsa_system_sgpr_workgroup_id_x 1
		.amdhsa_system_sgpr_workgroup_id_y 0
		.amdhsa_system_sgpr_workgroup_id_z 0
		.amdhsa_system_sgpr_workgroup_info 0
		.amdhsa_system_vgpr_workitem_id 0
		.amdhsa_next_free_vgpr 1
		.amdhsa_next_free_sgpr 1
		.amdhsa_reserve_vcc 0
		.amdhsa_reserve_flat_scratch 0
		.amdhsa_float_round_mode_32 0
		.amdhsa_float_round_mode_16_64 0
		.amdhsa_float_denorm_mode_32 3
		.amdhsa_float_denorm_mode_16_64 3
		.amdhsa_dx10_clamp 1
		.amdhsa_ieee_mode 1
		.amdhsa_fp16_overflow 0
		.amdhsa_workgroup_processor_mode 1
		.amdhsa_memory_ordered 1
		.amdhsa_forward_progress 1
		.amdhsa_shared_vgpr_count 0
		.amdhsa_exception_fp_ieee_invalid_op 0
		.amdhsa_exception_fp_denorm_src 0
		.amdhsa_exception_fp_ieee_div_zero 0
		.amdhsa_exception_fp_ieee_overflow 0
		.amdhsa_exception_fp_ieee_underflow 0
		.amdhsa_exception_fp_ieee_inexact 0
		.amdhsa_exception_int_div_zero 0
	.end_amdhsa_kernel
	.section	.text._ZN7rocprim17ROCPRIM_400000_NS6detail17trampoline_kernelINS0_14default_configENS1_22reduce_config_selectorIN6thrust23THRUST_200600_302600_NS5tupleIblNS6_9null_typeES8_S8_S8_S8_S8_S8_S8_EEEEZNS1_11reduce_implILb1ES3_NS6_12zip_iteratorINS7_INS6_11hip_rocprim26transform_input_iterator_tIbNSD_35transform_pair_of_input_iterators_tIbNS6_6detail15normal_iteratorINS6_10device_ptrIKsEEEESL_NS6_8equal_toIsEEEENSG_9not_fun_tINSD_8identityEEEEENSD_19counting_iterator_tIlEES8_S8_S8_S8_S8_S8_S8_S8_EEEEPS9_S9_NSD_9__find_if7functorIS9_EEEE10hipError_tPvRmT1_T2_T3_mT4_P12ihipStream_tbEUlT_E0_NS1_11comp_targetILNS1_3genE10ELNS1_11target_archE1201ELNS1_3gpuE5ELNS1_3repE0EEENS1_30default_config_static_selectorELNS0_4arch9wavefront6targetE0EEEvS14_,"axG",@progbits,_ZN7rocprim17ROCPRIM_400000_NS6detail17trampoline_kernelINS0_14default_configENS1_22reduce_config_selectorIN6thrust23THRUST_200600_302600_NS5tupleIblNS6_9null_typeES8_S8_S8_S8_S8_S8_S8_EEEEZNS1_11reduce_implILb1ES3_NS6_12zip_iteratorINS7_INS6_11hip_rocprim26transform_input_iterator_tIbNSD_35transform_pair_of_input_iterators_tIbNS6_6detail15normal_iteratorINS6_10device_ptrIKsEEEESL_NS6_8equal_toIsEEEENSG_9not_fun_tINSD_8identityEEEEENSD_19counting_iterator_tIlEES8_S8_S8_S8_S8_S8_S8_S8_EEEEPS9_S9_NSD_9__find_if7functorIS9_EEEE10hipError_tPvRmT1_T2_T3_mT4_P12ihipStream_tbEUlT_E0_NS1_11comp_targetILNS1_3genE10ELNS1_11target_archE1201ELNS1_3gpuE5ELNS1_3repE0EEENS1_30default_config_static_selectorELNS0_4arch9wavefront6targetE0EEEvS14_,comdat
.Lfunc_end586:
	.size	_ZN7rocprim17ROCPRIM_400000_NS6detail17trampoline_kernelINS0_14default_configENS1_22reduce_config_selectorIN6thrust23THRUST_200600_302600_NS5tupleIblNS6_9null_typeES8_S8_S8_S8_S8_S8_S8_EEEEZNS1_11reduce_implILb1ES3_NS6_12zip_iteratorINS7_INS6_11hip_rocprim26transform_input_iterator_tIbNSD_35transform_pair_of_input_iterators_tIbNS6_6detail15normal_iteratorINS6_10device_ptrIKsEEEESL_NS6_8equal_toIsEEEENSG_9not_fun_tINSD_8identityEEEEENSD_19counting_iterator_tIlEES8_S8_S8_S8_S8_S8_S8_S8_EEEEPS9_S9_NSD_9__find_if7functorIS9_EEEE10hipError_tPvRmT1_T2_T3_mT4_P12ihipStream_tbEUlT_E0_NS1_11comp_targetILNS1_3genE10ELNS1_11target_archE1201ELNS1_3gpuE5ELNS1_3repE0EEENS1_30default_config_static_selectorELNS0_4arch9wavefront6targetE0EEEvS14_, .Lfunc_end586-_ZN7rocprim17ROCPRIM_400000_NS6detail17trampoline_kernelINS0_14default_configENS1_22reduce_config_selectorIN6thrust23THRUST_200600_302600_NS5tupleIblNS6_9null_typeES8_S8_S8_S8_S8_S8_S8_EEEEZNS1_11reduce_implILb1ES3_NS6_12zip_iteratorINS7_INS6_11hip_rocprim26transform_input_iterator_tIbNSD_35transform_pair_of_input_iterators_tIbNS6_6detail15normal_iteratorINS6_10device_ptrIKsEEEESL_NS6_8equal_toIsEEEENSG_9not_fun_tINSD_8identityEEEEENSD_19counting_iterator_tIlEES8_S8_S8_S8_S8_S8_S8_S8_EEEEPS9_S9_NSD_9__find_if7functorIS9_EEEE10hipError_tPvRmT1_T2_T3_mT4_P12ihipStream_tbEUlT_E0_NS1_11comp_targetILNS1_3genE10ELNS1_11target_archE1201ELNS1_3gpuE5ELNS1_3repE0EEENS1_30default_config_static_selectorELNS0_4arch9wavefront6targetE0EEEvS14_
                                        ; -- End function
	.set _ZN7rocprim17ROCPRIM_400000_NS6detail17trampoline_kernelINS0_14default_configENS1_22reduce_config_selectorIN6thrust23THRUST_200600_302600_NS5tupleIblNS6_9null_typeES8_S8_S8_S8_S8_S8_S8_EEEEZNS1_11reduce_implILb1ES3_NS6_12zip_iteratorINS7_INS6_11hip_rocprim26transform_input_iterator_tIbNSD_35transform_pair_of_input_iterators_tIbNS6_6detail15normal_iteratorINS6_10device_ptrIKsEEEESL_NS6_8equal_toIsEEEENSG_9not_fun_tINSD_8identityEEEEENSD_19counting_iterator_tIlEES8_S8_S8_S8_S8_S8_S8_S8_EEEEPS9_S9_NSD_9__find_if7functorIS9_EEEE10hipError_tPvRmT1_T2_T3_mT4_P12ihipStream_tbEUlT_E0_NS1_11comp_targetILNS1_3genE10ELNS1_11target_archE1201ELNS1_3gpuE5ELNS1_3repE0EEENS1_30default_config_static_selectorELNS0_4arch9wavefront6targetE0EEEvS14_.num_vgpr, 0
	.set _ZN7rocprim17ROCPRIM_400000_NS6detail17trampoline_kernelINS0_14default_configENS1_22reduce_config_selectorIN6thrust23THRUST_200600_302600_NS5tupleIblNS6_9null_typeES8_S8_S8_S8_S8_S8_S8_EEEEZNS1_11reduce_implILb1ES3_NS6_12zip_iteratorINS7_INS6_11hip_rocprim26transform_input_iterator_tIbNSD_35transform_pair_of_input_iterators_tIbNS6_6detail15normal_iteratorINS6_10device_ptrIKsEEEESL_NS6_8equal_toIsEEEENSG_9not_fun_tINSD_8identityEEEEENSD_19counting_iterator_tIlEES8_S8_S8_S8_S8_S8_S8_S8_EEEEPS9_S9_NSD_9__find_if7functorIS9_EEEE10hipError_tPvRmT1_T2_T3_mT4_P12ihipStream_tbEUlT_E0_NS1_11comp_targetILNS1_3genE10ELNS1_11target_archE1201ELNS1_3gpuE5ELNS1_3repE0EEENS1_30default_config_static_selectorELNS0_4arch9wavefront6targetE0EEEvS14_.num_agpr, 0
	.set _ZN7rocprim17ROCPRIM_400000_NS6detail17trampoline_kernelINS0_14default_configENS1_22reduce_config_selectorIN6thrust23THRUST_200600_302600_NS5tupleIblNS6_9null_typeES8_S8_S8_S8_S8_S8_S8_EEEEZNS1_11reduce_implILb1ES3_NS6_12zip_iteratorINS7_INS6_11hip_rocprim26transform_input_iterator_tIbNSD_35transform_pair_of_input_iterators_tIbNS6_6detail15normal_iteratorINS6_10device_ptrIKsEEEESL_NS6_8equal_toIsEEEENSG_9not_fun_tINSD_8identityEEEEENSD_19counting_iterator_tIlEES8_S8_S8_S8_S8_S8_S8_S8_EEEEPS9_S9_NSD_9__find_if7functorIS9_EEEE10hipError_tPvRmT1_T2_T3_mT4_P12ihipStream_tbEUlT_E0_NS1_11comp_targetILNS1_3genE10ELNS1_11target_archE1201ELNS1_3gpuE5ELNS1_3repE0EEENS1_30default_config_static_selectorELNS0_4arch9wavefront6targetE0EEEvS14_.numbered_sgpr, 0
	.set _ZN7rocprim17ROCPRIM_400000_NS6detail17trampoline_kernelINS0_14default_configENS1_22reduce_config_selectorIN6thrust23THRUST_200600_302600_NS5tupleIblNS6_9null_typeES8_S8_S8_S8_S8_S8_S8_EEEEZNS1_11reduce_implILb1ES3_NS6_12zip_iteratorINS7_INS6_11hip_rocprim26transform_input_iterator_tIbNSD_35transform_pair_of_input_iterators_tIbNS6_6detail15normal_iteratorINS6_10device_ptrIKsEEEESL_NS6_8equal_toIsEEEENSG_9not_fun_tINSD_8identityEEEEENSD_19counting_iterator_tIlEES8_S8_S8_S8_S8_S8_S8_S8_EEEEPS9_S9_NSD_9__find_if7functorIS9_EEEE10hipError_tPvRmT1_T2_T3_mT4_P12ihipStream_tbEUlT_E0_NS1_11comp_targetILNS1_3genE10ELNS1_11target_archE1201ELNS1_3gpuE5ELNS1_3repE0EEENS1_30default_config_static_selectorELNS0_4arch9wavefront6targetE0EEEvS14_.num_named_barrier, 0
	.set _ZN7rocprim17ROCPRIM_400000_NS6detail17trampoline_kernelINS0_14default_configENS1_22reduce_config_selectorIN6thrust23THRUST_200600_302600_NS5tupleIblNS6_9null_typeES8_S8_S8_S8_S8_S8_S8_EEEEZNS1_11reduce_implILb1ES3_NS6_12zip_iteratorINS7_INS6_11hip_rocprim26transform_input_iterator_tIbNSD_35transform_pair_of_input_iterators_tIbNS6_6detail15normal_iteratorINS6_10device_ptrIKsEEEESL_NS6_8equal_toIsEEEENSG_9not_fun_tINSD_8identityEEEEENSD_19counting_iterator_tIlEES8_S8_S8_S8_S8_S8_S8_S8_EEEEPS9_S9_NSD_9__find_if7functorIS9_EEEE10hipError_tPvRmT1_T2_T3_mT4_P12ihipStream_tbEUlT_E0_NS1_11comp_targetILNS1_3genE10ELNS1_11target_archE1201ELNS1_3gpuE5ELNS1_3repE0EEENS1_30default_config_static_selectorELNS0_4arch9wavefront6targetE0EEEvS14_.private_seg_size, 0
	.set _ZN7rocprim17ROCPRIM_400000_NS6detail17trampoline_kernelINS0_14default_configENS1_22reduce_config_selectorIN6thrust23THRUST_200600_302600_NS5tupleIblNS6_9null_typeES8_S8_S8_S8_S8_S8_S8_EEEEZNS1_11reduce_implILb1ES3_NS6_12zip_iteratorINS7_INS6_11hip_rocprim26transform_input_iterator_tIbNSD_35transform_pair_of_input_iterators_tIbNS6_6detail15normal_iteratorINS6_10device_ptrIKsEEEESL_NS6_8equal_toIsEEEENSG_9not_fun_tINSD_8identityEEEEENSD_19counting_iterator_tIlEES8_S8_S8_S8_S8_S8_S8_S8_EEEEPS9_S9_NSD_9__find_if7functorIS9_EEEE10hipError_tPvRmT1_T2_T3_mT4_P12ihipStream_tbEUlT_E0_NS1_11comp_targetILNS1_3genE10ELNS1_11target_archE1201ELNS1_3gpuE5ELNS1_3repE0EEENS1_30default_config_static_selectorELNS0_4arch9wavefront6targetE0EEEvS14_.uses_vcc, 0
	.set _ZN7rocprim17ROCPRIM_400000_NS6detail17trampoline_kernelINS0_14default_configENS1_22reduce_config_selectorIN6thrust23THRUST_200600_302600_NS5tupleIblNS6_9null_typeES8_S8_S8_S8_S8_S8_S8_EEEEZNS1_11reduce_implILb1ES3_NS6_12zip_iteratorINS7_INS6_11hip_rocprim26transform_input_iterator_tIbNSD_35transform_pair_of_input_iterators_tIbNS6_6detail15normal_iteratorINS6_10device_ptrIKsEEEESL_NS6_8equal_toIsEEEENSG_9not_fun_tINSD_8identityEEEEENSD_19counting_iterator_tIlEES8_S8_S8_S8_S8_S8_S8_S8_EEEEPS9_S9_NSD_9__find_if7functorIS9_EEEE10hipError_tPvRmT1_T2_T3_mT4_P12ihipStream_tbEUlT_E0_NS1_11comp_targetILNS1_3genE10ELNS1_11target_archE1201ELNS1_3gpuE5ELNS1_3repE0EEENS1_30default_config_static_selectorELNS0_4arch9wavefront6targetE0EEEvS14_.uses_flat_scratch, 0
	.set _ZN7rocprim17ROCPRIM_400000_NS6detail17trampoline_kernelINS0_14default_configENS1_22reduce_config_selectorIN6thrust23THRUST_200600_302600_NS5tupleIblNS6_9null_typeES8_S8_S8_S8_S8_S8_S8_EEEEZNS1_11reduce_implILb1ES3_NS6_12zip_iteratorINS7_INS6_11hip_rocprim26transform_input_iterator_tIbNSD_35transform_pair_of_input_iterators_tIbNS6_6detail15normal_iteratorINS6_10device_ptrIKsEEEESL_NS6_8equal_toIsEEEENSG_9not_fun_tINSD_8identityEEEEENSD_19counting_iterator_tIlEES8_S8_S8_S8_S8_S8_S8_S8_EEEEPS9_S9_NSD_9__find_if7functorIS9_EEEE10hipError_tPvRmT1_T2_T3_mT4_P12ihipStream_tbEUlT_E0_NS1_11comp_targetILNS1_3genE10ELNS1_11target_archE1201ELNS1_3gpuE5ELNS1_3repE0EEENS1_30default_config_static_selectorELNS0_4arch9wavefront6targetE0EEEvS14_.has_dyn_sized_stack, 0
	.set _ZN7rocprim17ROCPRIM_400000_NS6detail17trampoline_kernelINS0_14default_configENS1_22reduce_config_selectorIN6thrust23THRUST_200600_302600_NS5tupleIblNS6_9null_typeES8_S8_S8_S8_S8_S8_S8_EEEEZNS1_11reduce_implILb1ES3_NS6_12zip_iteratorINS7_INS6_11hip_rocprim26transform_input_iterator_tIbNSD_35transform_pair_of_input_iterators_tIbNS6_6detail15normal_iteratorINS6_10device_ptrIKsEEEESL_NS6_8equal_toIsEEEENSG_9not_fun_tINSD_8identityEEEEENSD_19counting_iterator_tIlEES8_S8_S8_S8_S8_S8_S8_S8_EEEEPS9_S9_NSD_9__find_if7functorIS9_EEEE10hipError_tPvRmT1_T2_T3_mT4_P12ihipStream_tbEUlT_E0_NS1_11comp_targetILNS1_3genE10ELNS1_11target_archE1201ELNS1_3gpuE5ELNS1_3repE0EEENS1_30default_config_static_selectorELNS0_4arch9wavefront6targetE0EEEvS14_.has_recursion, 0
	.set _ZN7rocprim17ROCPRIM_400000_NS6detail17trampoline_kernelINS0_14default_configENS1_22reduce_config_selectorIN6thrust23THRUST_200600_302600_NS5tupleIblNS6_9null_typeES8_S8_S8_S8_S8_S8_S8_EEEEZNS1_11reduce_implILb1ES3_NS6_12zip_iteratorINS7_INS6_11hip_rocprim26transform_input_iterator_tIbNSD_35transform_pair_of_input_iterators_tIbNS6_6detail15normal_iteratorINS6_10device_ptrIKsEEEESL_NS6_8equal_toIsEEEENSG_9not_fun_tINSD_8identityEEEEENSD_19counting_iterator_tIlEES8_S8_S8_S8_S8_S8_S8_S8_EEEEPS9_S9_NSD_9__find_if7functorIS9_EEEE10hipError_tPvRmT1_T2_T3_mT4_P12ihipStream_tbEUlT_E0_NS1_11comp_targetILNS1_3genE10ELNS1_11target_archE1201ELNS1_3gpuE5ELNS1_3repE0EEENS1_30default_config_static_selectorELNS0_4arch9wavefront6targetE0EEEvS14_.has_indirect_call, 0
	.section	.AMDGPU.csdata,"",@progbits
; Kernel info:
; codeLenInByte = 0
; TotalNumSgprs: 0
; NumVgprs: 0
; ScratchSize: 0
; MemoryBound: 0
; FloatMode: 240
; IeeeMode: 1
; LDSByteSize: 0 bytes/workgroup (compile time only)
; SGPRBlocks: 0
; VGPRBlocks: 0
; NumSGPRsForWavesPerEU: 1
; NumVGPRsForWavesPerEU: 1
; Occupancy: 16
; WaveLimiterHint : 0
; COMPUTE_PGM_RSRC2:SCRATCH_EN: 0
; COMPUTE_PGM_RSRC2:USER_SGPR: 6
; COMPUTE_PGM_RSRC2:TRAP_HANDLER: 0
; COMPUTE_PGM_RSRC2:TGID_X_EN: 1
; COMPUTE_PGM_RSRC2:TGID_Y_EN: 0
; COMPUTE_PGM_RSRC2:TGID_Z_EN: 0
; COMPUTE_PGM_RSRC2:TIDIG_COMP_CNT: 0
	.section	.text._ZN7rocprim17ROCPRIM_400000_NS6detail17trampoline_kernelINS0_14default_configENS1_22reduce_config_selectorIN6thrust23THRUST_200600_302600_NS5tupleIblNS6_9null_typeES8_S8_S8_S8_S8_S8_S8_EEEEZNS1_11reduce_implILb1ES3_NS6_12zip_iteratorINS7_INS6_11hip_rocprim26transform_input_iterator_tIbNSD_35transform_pair_of_input_iterators_tIbNS6_6detail15normal_iteratorINS6_10device_ptrIKsEEEESL_NS6_8equal_toIsEEEENSG_9not_fun_tINSD_8identityEEEEENSD_19counting_iterator_tIlEES8_S8_S8_S8_S8_S8_S8_S8_EEEEPS9_S9_NSD_9__find_if7functorIS9_EEEE10hipError_tPvRmT1_T2_T3_mT4_P12ihipStream_tbEUlT_E0_NS1_11comp_targetILNS1_3genE10ELNS1_11target_archE1200ELNS1_3gpuE4ELNS1_3repE0EEENS1_30default_config_static_selectorELNS0_4arch9wavefront6targetE0EEEvS14_,"axG",@progbits,_ZN7rocprim17ROCPRIM_400000_NS6detail17trampoline_kernelINS0_14default_configENS1_22reduce_config_selectorIN6thrust23THRUST_200600_302600_NS5tupleIblNS6_9null_typeES8_S8_S8_S8_S8_S8_S8_EEEEZNS1_11reduce_implILb1ES3_NS6_12zip_iteratorINS7_INS6_11hip_rocprim26transform_input_iterator_tIbNSD_35transform_pair_of_input_iterators_tIbNS6_6detail15normal_iteratorINS6_10device_ptrIKsEEEESL_NS6_8equal_toIsEEEENSG_9not_fun_tINSD_8identityEEEEENSD_19counting_iterator_tIlEES8_S8_S8_S8_S8_S8_S8_S8_EEEEPS9_S9_NSD_9__find_if7functorIS9_EEEE10hipError_tPvRmT1_T2_T3_mT4_P12ihipStream_tbEUlT_E0_NS1_11comp_targetILNS1_3genE10ELNS1_11target_archE1200ELNS1_3gpuE4ELNS1_3repE0EEENS1_30default_config_static_selectorELNS0_4arch9wavefront6targetE0EEEvS14_,comdat
	.protected	_ZN7rocprim17ROCPRIM_400000_NS6detail17trampoline_kernelINS0_14default_configENS1_22reduce_config_selectorIN6thrust23THRUST_200600_302600_NS5tupleIblNS6_9null_typeES8_S8_S8_S8_S8_S8_S8_EEEEZNS1_11reduce_implILb1ES3_NS6_12zip_iteratorINS7_INS6_11hip_rocprim26transform_input_iterator_tIbNSD_35transform_pair_of_input_iterators_tIbNS6_6detail15normal_iteratorINS6_10device_ptrIKsEEEESL_NS6_8equal_toIsEEEENSG_9not_fun_tINSD_8identityEEEEENSD_19counting_iterator_tIlEES8_S8_S8_S8_S8_S8_S8_S8_EEEEPS9_S9_NSD_9__find_if7functorIS9_EEEE10hipError_tPvRmT1_T2_T3_mT4_P12ihipStream_tbEUlT_E0_NS1_11comp_targetILNS1_3genE10ELNS1_11target_archE1200ELNS1_3gpuE4ELNS1_3repE0EEENS1_30default_config_static_selectorELNS0_4arch9wavefront6targetE0EEEvS14_ ; -- Begin function _ZN7rocprim17ROCPRIM_400000_NS6detail17trampoline_kernelINS0_14default_configENS1_22reduce_config_selectorIN6thrust23THRUST_200600_302600_NS5tupleIblNS6_9null_typeES8_S8_S8_S8_S8_S8_S8_EEEEZNS1_11reduce_implILb1ES3_NS6_12zip_iteratorINS7_INS6_11hip_rocprim26transform_input_iterator_tIbNSD_35transform_pair_of_input_iterators_tIbNS6_6detail15normal_iteratorINS6_10device_ptrIKsEEEESL_NS6_8equal_toIsEEEENSG_9not_fun_tINSD_8identityEEEEENSD_19counting_iterator_tIlEES8_S8_S8_S8_S8_S8_S8_S8_EEEEPS9_S9_NSD_9__find_if7functorIS9_EEEE10hipError_tPvRmT1_T2_T3_mT4_P12ihipStream_tbEUlT_E0_NS1_11comp_targetILNS1_3genE10ELNS1_11target_archE1200ELNS1_3gpuE4ELNS1_3repE0EEENS1_30default_config_static_selectorELNS0_4arch9wavefront6targetE0EEEvS14_
	.globl	_ZN7rocprim17ROCPRIM_400000_NS6detail17trampoline_kernelINS0_14default_configENS1_22reduce_config_selectorIN6thrust23THRUST_200600_302600_NS5tupleIblNS6_9null_typeES8_S8_S8_S8_S8_S8_S8_EEEEZNS1_11reduce_implILb1ES3_NS6_12zip_iteratorINS7_INS6_11hip_rocprim26transform_input_iterator_tIbNSD_35transform_pair_of_input_iterators_tIbNS6_6detail15normal_iteratorINS6_10device_ptrIKsEEEESL_NS6_8equal_toIsEEEENSG_9not_fun_tINSD_8identityEEEEENSD_19counting_iterator_tIlEES8_S8_S8_S8_S8_S8_S8_S8_EEEEPS9_S9_NSD_9__find_if7functorIS9_EEEE10hipError_tPvRmT1_T2_T3_mT4_P12ihipStream_tbEUlT_E0_NS1_11comp_targetILNS1_3genE10ELNS1_11target_archE1200ELNS1_3gpuE4ELNS1_3repE0EEENS1_30default_config_static_selectorELNS0_4arch9wavefront6targetE0EEEvS14_
	.p2align	8
	.type	_ZN7rocprim17ROCPRIM_400000_NS6detail17trampoline_kernelINS0_14default_configENS1_22reduce_config_selectorIN6thrust23THRUST_200600_302600_NS5tupleIblNS6_9null_typeES8_S8_S8_S8_S8_S8_S8_EEEEZNS1_11reduce_implILb1ES3_NS6_12zip_iteratorINS7_INS6_11hip_rocprim26transform_input_iterator_tIbNSD_35transform_pair_of_input_iterators_tIbNS6_6detail15normal_iteratorINS6_10device_ptrIKsEEEESL_NS6_8equal_toIsEEEENSG_9not_fun_tINSD_8identityEEEEENSD_19counting_iterator_tIlEES8_S8_S8_S8_S8_S8_S8_S8_EEEEPS9_S9_NSD_9__find_if7functorIS9_EEEE10hipError_tPvRmT1_T2_T3_mT4_P12ihipStream_tbEUlT_E0_NS1_11comp_targetILNS1_3genE10ELNS1_11target_archE1200ELNS1_3gpuE4ELNS1_3repE0EEENS1_30default_config_static_selectorELNS0_4arch9wavefront6targetE0EEEvS14_,@function
_ZN7rocprim17ROCPRIM_400000_NS6detail17trampoline_kernelINS0_14default_configENS1_22reduce_config_selectorIN6thrust23THRUST_200600_302600_NS5tupleIblNS6_9null_typeES8_S8_S8_S8_S8_S8_S8_EEEEZNS1_11reduce_implILb1ES3_NS6_12zip_iteratorINS7_INS6_11hip_rocprim26transform_input_iterator_tIbNSD_35transform_pair_of_input_iterators_tIbNS6_6detail15normal_iteratorINS6_10device_ptrIKsEEEESL_NS6_8equal_toIsEEEENSG_9not_fun_tINSD_8identityEEEEENSD_19counting_iterator_tIlEES8_S8_S8_S8_S8_S8_S8_S8_EEEEPS9_S9_NSD_9__find_if7functorIS9_EEEE10hipError_tPvRmT1_T2_T3_mT4_P12ihipStream_tbEUlT_E0_NS1_11comp_targetILNS1_3genE10ELNS1_11target_archE1200ELNS1_3gpuE4ELNS1_3repE0EEENS1_30default_config_static_selectorELNS0_4arch9wavefront6targetE0EEEvS14_: ; @_ZN7rocprim17ROCPRIM_400000_NS6detail17trampoline_kernelINS0_14default_configENS1_22reduce_config_selectorIN6thrust23THRUST_200600_302600_NS5tupleIblNS6_9null_typeES8_S8_S8_S8_S8_S8_S8_EEEEZNS1_11reduce_implILb1ES3_NS6_12zip_iteratorINS7_INS6_11hip_rocprim26transform_input_iterator_tIbNSD_35transform_pair_of_input_iterators_tIbNS6_6detail15normal_iteratorINS6_10device_ptrIKsEEEESL_NS6_8equal_toIsEEEENSG_9not_fun_tINSD_8identityEEEEENSD_19counting_iterator_tIlEES8_S8_S8_S8_S8_S8_S8_S8_EEEEPS9_S9_NSD_9__find_if7functorIS9_EEEE10hipError_tPvRmT1_T2_T3_mT4_P12ihipStream_tbEUlT_E0_NS1_11comp_targetILNS1_3genE10ELNS1_11target_archE1200ELNS1_3gpuE4ELNS1_3repE0EEENS1_30default_config_static_selectorELNS0_4arch9wavefront6targetE0EEEvS14_
; %bb.0:
	.section	.rodata,"a",@progbits
	.p2align	6, 0x0
	.amdhsa_kernel _ZN7rocprim17ROCPRIM_400000_NS6detail17trampoline_kernelINS0_14default_configENS1_22reduce_config_selectorIN6thrust23THRUST_200600_302600_NS5tupleIblNS6_9null_typeES8_S8_S8_S8_S8_S8_S8_EEEEZNS1_11reduce_implILb1ES3_NS6_12zip_iteratorINS7_INS6_11hip_rocprim26transform_input_iterator_tIbNSD_35transform_pair_of_input_iterators_tIbNS6_6detail15normal_iteratorINS6_10device_ptrIKsEEEESL_NS6_8equal_toIsEEEENSG_9not_fun_tINSD_8identityEEEEENSD_19counting_iterator_tIlEES8_S8_S8_S8_S8_S8_S8_S8_EEEEPS9_S9_NSD_9__find_if7functorIS9_EEEE10hipError_tPvRmT1_T2_T3_mT4_P12ihipStream_tbEUlT_E0_NS1_11comp_targetILNS1_3genE10ELNS1_11target_archE1200ELNS1_3gpuE4ELNS1_3repE0EEENS1_30default_config_static_selectorELNS0_4arch9wavefront6targetE0EEEvS14_
		.amdhsa_group_segment_fixed_size 0
		.amdhsa_private_segment_fixed_size 0
		.amdhsa_kernarg_size 104
		.amdhsa_user_sgpr_count 6
		.amdhsa_user_sgpr_private_segment_buffer 1
		.amdhsa_user_sgpr_dispatch_ptr 0
		.amdhsa_user_sgpr_queue_ptr 0
		.amdhsa_user_sgpr_kernarg_segment_ptr 1
		.amdhsa_user_sgpr_dispatch_id 0
		.amdhsa_user_sgpr_flat_scratch_init 0
		.amdhsa_user_sgpr_private_segment_size 0
		.amdhsa_wavefront_size32 1
		.amdhsa_uses_dynamic_stack 0
		.amdhsa_system_sgpr_private_segment_wavefront_offset 0
		.amdhsa_system_sgpr_workgroup_id_x 1
		.amdhsa_system_sgpr_workgroup_id_y 0
		.amdhsa_system_sgpr_workgroup_id_z 0
		.amdhsa_system_sgpr_workgroup_info 0
		.amdhsa_system_vgpr_workitem_id 0
		.amdhsa_next_free_vgpr 1
		.amdhsa_next_free_sgpr 1
		.amdhsa_reserve_vcc 0
		.amdhsa_reserve_flat_scratch 0
		.amdhsa_float_round_mode_32 0
		.amdhsa_float_round_mode_16_64 0
		.amdhsa_float_denorm_mode_32 3
		.amdhsa_float_denorm_mode_16_64 3
		.amdhsa_dx10_clamp 1
		.amdhsa_ieee_mode 1
		.amdhsa_fp16_overflow 0
		.amdhsa_workgroup_processor_mode 1
		.amdhsa_memory_ordered 1
		.amdhsa_forward_progress 1
		.amdhsa_shared_vgpr_count 0
		.amdhsa_exception_fp_ieee_invalid_op 0
		.amdhsa_exception_fp_denorm_src 0
		.amdhsa_exception_fp_ieee_div_zero 0
		.amdhsa_exception_fp_ieee_overflow 0
		.amdhsa_exception_fp_ieee_underflow 0
		.amdhsa_exception_fp_ieee_inexact 0
		.amdhsa_exception_int_div_zero 0
	.end_amdhsa_kernel
	.section	.text._ZN7rocprim17ROCPRIM_400000_NS6detail17trampoline_kernelINS0_14default_configENS1_22reduce_config_selectorIN6thrust23THRUST_200600_302600_NS5tupleIblNS6_9null_typeES8_S8_S8_S8_S8_S8_S8_EEEEZNS1_11reduce_implILb1ES3_NS6_12zip_iteratorINS7_INS6_11hip_rocprim26transform_input_iterator_tIbNSD_35transform_pair_of_input_iterators_tIbNS6_6detail15normal_iteratorINS6_10device_ptrIKsEEEESL_NS6_8equal_toIsEEEENSG_9not_fun_tINSD_8identityEEEEENSD_19counting_iterator_tIlEES8_S8_S8_S8_S8_S8_S8_S8_EEEEPS9_S9_NSD_9__find_if7functorIS9_EEEE10hipError_tPvRmT1_T2_T3_mT4_P12ihipStream_tbEUlT_E0_NS1_11comp_targetILNS1_3genE10ELNS1_11target_archE1200ELNS1_3gpuE4ELNS1_3repE0EEENS1_30default_config_static_selectorELNS0_4arch9wavefront6targetE0EEEvS14_,"axG",@progbits,_ZN7rocprim17ROCPRIM_400000_NS6detail17trampoline_kernelINS0_14default_configENS1_22reduce_config_selectorIN6thrust23THRUST_200600_302600_NS5tupleIblNS6_9null_typeES8_S8_S8_S8_S8_S8_S8_EEEEZNS1_11reduce_implILb1ES3_NS6_12zip_iteratorINS7_INS6_11hip_rocprim26transform_input_iterator_tIbNSD_35transform_pair_of_input_iterators_tIbNS6_6detail15normal_iteratorINS6_10device_ptrIKsEEEESL_NS6_8equal_toIsEEEENSG_9not_fun_tINSD_8identityEEEEENSD_19counting_iterator_tIlEES8_S8_S8_S8_S8_S8_S8_S8_EEEEPS9_S9_NSD_9__find_if7functorIS9_EEEE10hipError_tPvRmT1_T2_T3_mT4_P12ihipStream_tbEUlT_E0_NS1_11comp_targetILNS1_3genE10ELNS1_11target_archE1200ELNS1_3gpuE4ELNS1_3repE0EEENS1_30default_config_static_selectorELNS0_4arch9wavefront6targetE0EEEvS14_,comdat
.Lfunc_end587:
	.size	_ZN7rocprim17ROCPRIM_400000_NS6detail17trampoline_kernelINS0_14default_configENS1_22reduce_config_selectorIN6thrust23THRUST_200600_302600_NS5tupleIblNS6_9null_typeES8_S8_S8_S8_S8_S8_S8_EEEEZNS1_11reduce_implILb1ES3_NS6_12zip_iteratorINS7_INS6_11hip_rocprim26transform_input_iterator_tIbNSD_35transform_pair_of_input_iterators_tIbNS6_6detail15normal_iteratorINS6_10device_ptrIKsEEEESL_NS6_8equal_toIsEEEENSG_9not_fun_tINSD_8identityEEEEENSD_19counting_iterator_tIlEES8_S8_S8_S8_S8_S8_S8_S8_EEEEPS9_S9_NSD_9__find_if7functorIS9_EEEE10hipError_tPvRmT1_T2_T3_mT4_P12ihipStream_tbEUlT_E0_NS1_11comp_targetILNS1_3genE10ELNS1_11target_archE1200ELNS1_3gpuE4ELNS1_3repE0EEENS1_30default_config_static_selectorELNS0_4arch9wavefront6targetE0EEEvS14_, .Lfunc_end587-_ZN7rocprim17ROCPRIM_400000_NS6detail17trampoline_kernelINS0_14default_configENS1_22reduce_config_selectorIN6thrust23THRUST_200600_302600_NS5tupleIblNS6_9null_typeES8_S8_S8_S8_S8_S8_S8_EEEEZNS1_11reduce_implILb1ES3_NS6_12zip_iteratorINS7_INS6_11hip_rocprim26transform_input_iterator_tIbNSD_35transform_pair_of_input_iterators_tIbNS6_6detail15normal_iteratorINS6_10device_ptrIKsEEEESL_NS6_8equal_toIsEEEENSG_9not_fun_tINSD_8identityEEEEENSD_19counting_iterator_tIlEES8_S8_S8_S8_S8_S8_S8_S8_EEEEPS9_S9_NSD_9__find_if7functorIS9_EEEE10hipError_tPvRmT1_T2_T3_mT4_P12ihipStream_tbEUlT_E0_NS1_11comp_targetILNS1_3genE10ELNS1_11target_archE1200ELNS1_3gpuE4ELNS1_3repE0EEENS1_30default_config_static_selectorELNS0_4arch9wavefront6targetE0EEEvS14_
                                        ; -- End function
	.set _ZN7rocprim17ROCPRIM_400000_NS6detail17trampoline_kernelINS0_14default_configENS1_22reduce_config_selectorIN6thrust23THRUST_200600_302600_NS5tupleIblNS6_9null_typeES8_S8_S8_S8_S8_S8_S8_EEEEZNS1_11reduce_implILb1ES3_NS6_12zip_iteratorINS7_INS6_11hip_rocprim26transform_input_iterator_tIbNSD_35transform_pair_of_input_iterators_tIbNS6_6detail15normal_iteratorINS6_10device_ptrIKsEEEESL_NS6_8equal_toIsEEEENSG_9not_fun_tINSD_8identityEEEEENSD_19counting_iterator_tIlEES8_S8_S8_S8_S8_S8_S8_S8_EEEEPS9_S9_NSD_9__find_if7functorIS9_EEEE10hipError_tPvRmT1_T2_T3_mT4_P12ihipStream_tbEUlT_E0_NS1_11comp_targetILNS1_3genE10ELNS1_11target_archE1200ELNS1_3gpuE4ELNS1_3repE0EEENS1_30default_config_static_selectorELNS0_4arch9wavefront6targetE0EEEvS14_.num_vgpr, 0
	.set _ZN7rocprim17ROCPRIM_400000_NS6detail17trampoline_kernelINS0_14default_configENS1_22reduce_config_selectorIN6thrust23THRUST_200600_302600_NS5tupleIblNS6_9null_typeES8_S8_S8_S8_S8_S8_S8_EEEEZNS1_11reduce_implILb1ES3_NS6_12zip_iteratorINS7_INS6_11hip_rocprim26transform_input_iterator_tIbNSD_35transform_pair_of_input_iterators_tIbNS6_6detail15normal_iteratorINS6_10device_ptrIKsEEEESL_NS6_8equal_toIsEEEENSG_9not_fun_tINSD_8identityEEEEENSD_19counting_iterator_tIlEES8_S8_S8_S8_S8_S8_S8_S8_EEEEPS9_S9_NSD_9__find_if7functorIS9_EEEE10hipError_tPvRmT1_T2_T3_mT4_P12ihipStream_tbEUlT_E0_NS1_11comp_targetILNS1_3genE10ELNS1_11target_archE1200ELNS1_3gpuE4ELNS1_3repE0EEENS1_30default_config_static_selectorELNS0_4arch9wavefront6targetE0EEEvS14_.num_agpr, 0
	.set _ZN7rocprim17ROCPRIM_400000_NS6detail17trampoline_kernelINS0_14default_configENS1_22reduce_config_selectorIN6thrust23THRUST_200600_302600_NS5tupleIblNS6_9null_typeES8_S8_S8_S8_S8_S8_S8_EEEEZNS1_11reduce_implILb1ES3_NS6_12zip_iteratorINS7_INS6_11hip_rocprim26transform_input_iterator_tIbNSD_35transform_pair_of_input_iterators_tIbNS6_6detail15normal_iteratorINS6_10device_ptrIKsEEEESL_NS6_8equal_toIsEEEENSG_9not_fun_tINSD_8identityEEEEENSD_19counting_iterator_tIlEES8_S8_S8_S8_S8_S8_S8_S8_EEEEPS9_S9_NSD_9__find_if7functorIS9_EEEE10hipError_tPvRmT1_T2_T3_mT4_P12ihipStream_tbEUlT_E0_NS1_11comp_targetILNS1_3genE10ELNS1_11target_archE1200ELNS1_3gpuE4ELNS1_3repE0EEENS1_30default_config_static_selectorELNS0_4arch9wavefront6targetE0EEEvS14_.numbered_sgpr, 0
	.set _ZN7rocprim17ROCPRIM_400000_NS6detail17trampoline_kernelINS0_14default_configENS1_22reduce_config_selectorIN6thrust23THRUST_200600_302600_NS5tupleIblNS6_9null_typeES8_S8_S8_S8_S8_S8_S8_EEEEZNS1_11reduce_implILb1ES3_NS6_12zip_iteratorINS7_INS6_11hip_rocprim26transform_input_iterator_tIbNSD_35transform_pair_of_input_iterators_tIbNS6_6detail15normal_iteratorINS6_10device_ptrIKsEEEESL_NS6_8equal_toIsEEEENSG_9not_fun_tINSD_8identityEEEEENSD_19counting_iterator_tIlEES8_S8_S8_S8_S8_S8_S8_S8_EEEEPS9_S9_NSD_9__find_if7functorIS9_EEEE10hipError_tPvRmT1_T2_T3_mT4_P12ihipStream_tbEUlT_E0_NS1_11comp_targetILNS1_3genE10ELNS1_11target_archE1200ELNS1_3gpuE4ELNS1_3repE0EEENS1_30default_config_static_selectorELNS0_4arch9wavefront6targetE0EEEvS14_.num_named_barrier, 0
	.set _ZN7rocprim17ROCPRIM_400000_NS6detail17trampoline_kernelINS0_14default_configENS1_22reduce_config_selectorIN6thrust23THRUST_200600_302600_NS5tupleIblNS6_9null_typeES8_S8_S8_S8_S8_S8_S8_EEEEZNS1_11reduce_implILb1ES3_NS6_12zip_iteratorINS7_INS6_11hip_rocprim26transform_input_iterator_tIbNSD_35transform_pair_of_input_iterators_tIbNS6_6detail15normal_iteratorINS6_10device_ptrIKsEEEESL_NS6_8equal_toIsEEEENSG_9not_fun_tINSD_8identityEEEEENSD_19counting_iterator_tIlEES8_S8_S8_S8_S8_S8_S8_S8_EEEEPS9_S9_NSD_9__find_if7functorIS9_EEEE10hipError_tPvRmT1_T2_T3_mT4_P12ihipStream_tbEUlT_E0_NS1_11comp_targetILNS1_3genE10ELNS1_11target_archE1200ELNS1_3gpuE4ELNS1_3repE0EEENS1_30default_config_static_selectorELNS0_4arch9wavefront6targetE0EEEvS14_.private_seg_size, 0
	.set _ZN7rocprim17ROCPRIM_400000_NS6detail17trampoline_kernelINS0_14default_configENS1_22reduce_config_selectorIN6thrust23THRUST_200600_302600_NS5tupleIblNS6_9null_typeES8_S8_S8_S8_S8_S8_S8_EEEEZNS1_11reduce_implILb1ES3_NS6_12zip_iteratorINS7_INS6_11hip_rocprim26transform_input_iterator_tIbNSD_35transform_pair_of_input_iterators_tIbNS6_6detail15normal_iteratorINS6_10device_ptrIKsEEEESL_NS6_8equal_toIsEEEENSG_9not_fun_tINSD_8identityEEEEENSD_19counting_iterator_tIlEES8_S8_S8_S8_S8_S8_S8_S8_EEEEPS9_S9_NSD_9__find_if7functorIS9_EEEE10hipError_tPvRmT1_T2_T3_mT4_P12ihipStream_tbEUlT_E0_NS1_11comp_targetILNS1_3genE10ELNS1_11target_archE1200ELNS1_3gpuE4ELNS1_3repE0EEENS1_30default_config_static_selectorELNS0_4arch9wavefront6targetE0EEEvS14_.uses_vcc, 0
	.set _ZN7rocprim17ROCPRIM_400000_NS6detail17trampoline_kernelINS0_14default_configENS1_22reduce_config_selectorIN6thrust23THRUST_200600_302600_NS5tupleIblNS6_9null_typeES8_S8_S8_S8_S8_S8_S8_EEEEZNS1_11reduce_implILb1ES3_NS6_12zip_iteratorINS7_INS6_11hip_rocprim26transform_input_iterator_tIbNSD_35transform_pair_of_input_iterators_tIbNS6_6detail15normal_iteratorINS6_10device_ptrIKsEEEESL_NS6_8equal_toIsEEEENSG_9not_fun_tINSD_8identityEEEEENSD_19counting_iterator_tIlEES8_S8_S8_S8_S8_S8_S8_S8_EEEEPS9_S9_NSD_9__find_if7functorIS9_EEEE10hipError_tPvRmT1_T2_T3_mT4_P12ihipStream_tbEUlT_E0_NS1_11comp_targetILNS1_3genE10ELNS1_11target_archE1200ELNS1_3gpuE4ELNS1_3repE0EEENS1_30default_config_static_selectorELNS0_4arch9wavefront6targetE0EEEvS14_.uses_flat_scratch, 0
	.set _ZN7rocprim17ROCPRIM_400000_NS6detail17trampoline_kernelINS0_14default_configENS1_22reduce_config_selectorIN6thrust23THRUST_200600_302600_NS5tupleIblNS6_9null_typeES8_S8_S8_S8_S8_S8_S8_EEEEZNS1_11reduce_implILb1ES3_NS6_12zip_iteratorINS7_INS6_11hip_rocprim26transform_input_iterator_tIbNSD_35transform_pair_of_input_iterators_tIbNS6_6detail15normal_iteratorINS6_10device_ptrIKsEEEESL_NS6_8equal_toIsEEEENSG_9not_fun_tINSD_8identityEEEEENSD_19counting_iterator_tIlEES8_S8_S8_S8_S8_S8_S8_S8_EEEEPS9_S9_NSD_9__find_if7functorIS9_EEEE10hipError_tPvRmT1_T2_T3_mT4_P12ihipStream_tbEUlT_E0_NS1_11comp_targetILNS1_3genE10ELNS1_11target_archE1200ELNS1_3gpuE4ELNS1_3repE0EEENS1_30default_config_static_selectorELNS0_4arch9wavefront6targetE0EEEvS14_.has_dyn_sized_stack, 0
	.set _ZN7rocprim17ROCPRIM_400000_NS6detail17trampoline_kernelINS0_14default_configENS1_22reduce_config_selectorIN6thrust23THRUST_200600_302600_NS5tupleIblNS6_9null_typeES8_S8_S8_S8_S8_S8_S8_EEEEZNS1_11reduce_implILb1ES3_NS6_12zip_iteratorINS7_INS6_11hip_rocprim26transform_input_iterator_tIbNSD_35transform_pair_of_input_iterators_tIbNS6_6detail15normal_iteratorINS6_10device_ptrIKsEEEESL_NS6_8equal_toIsEEEENSG_9not_fun_tINSD_8identityEEEEENSD_19counting_iterator_tIlEES8_S8_S8_S8_S8_S8_S8_S8_EEEEPS9_S9_NSD_9__find_if7functorIS9_EEEE10hipError_tPvRmT1_T2_T3_mT4_P12ihipStream_tbEUlT_E0_NS1_11comp_targetILNS1_3genE10ELNS1_11target_archE1200ELNS1_3gpuE4ELNS1_3repE0EEENS1_30default_config_static_selectorELNS0_4arch9wavefront6targetE0EEEvS14_.has_recursion, 0
	.set _ZN7rocprim17ROCPRIM_400000_NS6detail17trampoline_kernelINS0_14default_configENS1_22reduce_config_selectorIN6thrust23THRUST_200600_302600_NS5tupleIblNS6_9null_typeES8_S8_S8_S8_S8_S8_S8_EEEEZNS1_11reduce_implILb1ES3_NS6_12zip_iteratorINS7_INS6_11hip_rocprim26transform_input_iterator_tIbNSD_35transform_pair_of_input_iterators_tIbNS6_6detail15normal_iteratorINS6_10device_ptrIKsEEEESL_NS6_8equal_toIsEEEENSG_9not_fun_tINSD_8identityEEEEENSD_19counting_iterator_tIlEES8_S8_S8_S8_S8_S8_S8_S8_EEEEPS9_S9_NSD_9__find_if7functorIS9_EEEE10hipError_tPvRmT1_T2_T3_mT4_P12ihipStream_tbEUlT_E0_NS1_11comp_targetILNS1_3genE10ELNS1_11target_archE1200ELNS1_3gpuE4ELNS1_3repE0EEENS1_30default_config_static_selectorELNS0_4arch9wavefront6targetE0EEEvS14_.has_indirect_call, 0
	.section	.AMDGPU.csdata,"",@progbits
; Kernel info:
; codeLenInByte = 0
; TotalNumSgprs: 0
; NumVgprs: 0
; ScratchSize: 0
; MemoryBound: 0
; FloatMode: 240
; IeeeMode: 1
; LDSByteSize: 0 bytes/workgroup (compile time only)
; SGPRBlocks: 0
; VGPRBlocks: 0
; NumSGPRsForWavesPerEU: 1
; NumVGPRsForWavesPerEU: 1
; Occupancy: 16
; WaveLimiterHint : 0
; COMPUTE_PGM_RSRC2:SCRATCH_EN: 0
; COMPUTE_PGM_RSRC2:USER_SGPR: 6
; COMPUTE_PGM_RSRC2:TRAP_HANDLER: 0
; COMPUTE_PGM_RSRC2:TGID_X_EN: 1
; COMPUTE_PGM_RSRC2:TGID_Y_EN: 0
; COMPUTE_PGM_RSRC2:TGID_Z_EN: 0
; COMPUTE_PGM_RSRC2:TIDIG_COMP_CNT: 0
	.section	.text._ZN7rocprim17ROCPRIM_400000_NS6detail17trampoline_kernelINS0_14default_configENS1_22reduce_config_selectorIN6thrust23THRUST_200600_302600_NS5tupleIblNS6_9null_typeES8_S8_S8_S8_S8_S8_S8_EEEEZNS1_11reduce_implILb1ES3_NS6_12zip_iteratorINS7_INS6_11hip_rocprim26transform_input_iterator_tIbNSD_35transform_pair_of_input_iterators_tIbNS6_6detail15normal_iteratorINS6_10device_ptrIKsEEEESL_NS6_8equal_toIsEEEENSG_9not_fun_tINSD_8identityEEEEENSD_19counting_iterator_tIlEES8_S8_S8_S8_S8_S8_S8_S8_EEEEPS9_S9_NSD_9__find_if7functorIS9_EEEE10hipError_tPvRmT1_T2_T3_mT4_P12ihipStream_tbEUlT_E0_NS1_11comp_targetILNS1_3genE9ELNS1_11target_archE1100ELNS1_3gpuE3ELNS1_3repE0EEENS1_30default_config_static_selectorELNS0_4arch9wavefront6targetE0EEEvS14_,"axG",@progbits,_ZN7rocprim17ROCPRIM_400000_NS6detail17trampoline_kernelINS0_14default_configENS1_22reduce_config_selectorIN6thrust23THRUST_200600_302600_NS5tupleIblNS6_9null_typeES8_S8_S8_S8_S8_S8_S8_EEEEZNS1_11reduce_implILb1ES3_NS6_12zip_iteratorINS7_INS6_11hip_rocprim26transform_input_iterator_tIbNSD_35transform_pair_of_input_iterators_tIbNS6_6detail15normal_iteratorINS6_10device_ptrIKsEEEESL_NS6_8equal_toIsEEEENSG_9not_fun_tINSD_8identityEEEEENSD_19counting_iterator_tIlEES8_S8_S8_S8_S8_S8_S8_S8_EEEEPS9_S9_NSD_9__find_if7functorIS9_EEEE10hipError_tPvRmT1_T2_T3_mT4_P12ihipStream_tbEUlT_E0_NS1_11comp_targetILNS1_3genE9ELNS1_11target_archE1100ELNS1_3gpuE3ELNS1_3repE0EEENS1_30default_config_static_selectorELNS0_4arch9wavefront6targetE0EEEvS14_,comdat
	.protected	_ZN7rocprim17ROCPRIM_400000_NS6detail17trampoline_kernelINS0_14default_configENS1_22reduce_config_selectorIN6thrust23THRUST_200600_302600_NS5tupleIblNS6_9null_typeES8_S8_S8_S8_S8_S8_S8_EEEEZNS1_11reduce_implILb1ES3_NS6_12zip_iteratorINS7_INS6_11hip_rocprim26transform_input_iterator_tIbNSD_35transform_pair_of_input_iterators_tIbNS6_6detail15normal_iteratorINS6_10device_ptrIKsEEEESL_NS6_8equal_toIsEEEENSG_9not_fun_tINSD_8identityEEEEENSD_19counting_iterator_tIlEES8_S8_S8_S8_S8_S8_S8_S8_EEEEPS9_S9_NSD_9__find_if7functorIS9_EEEE10hipError_tPvRmT1_T2_T3_mT4_P12ihipStream_tbEUlT_E0_NS1_11comp_targetILNS1_3genE9ELNS1_11target_archE1100ELNS1_3gpuE3ELNS1_3repE0EEENS1_30default_config_static_selectorELNS0_4arch9wavefront6targetE0EEEvS14_ ; -- Begin function _ZN7rocprim17ROCPRIM_400000_NS6detail17trampoline_kernelINS0_14default_configENS1_22reduce_config_selectorIN6thrust23THRUST_200600_302600_NS5tupleIblNS6_9null_typeES8_S8_S8_S8_S8_S8_S8_EEEEZNS1_11reduce_implILb1ES3_NS6_12zip_iteratorINS7_INS6_11hip_rocprim26transform_input_iterator_tIbNSD_35transform_pair_of_input_iterators_tIbNS6_6detail15normal_iteratorINS6_10device_ptrIKsEEEESL_NS6_8equal_toIsEEEENSG_9not_fun_tINSD_8identityEEEEENSD_19counting_iterator_tIlEES8_S8_S8_S8_S8_S8_S8_S8_EEEEPS9_S9_NSD_9__find_if7functorIS9_EEEE10hipError_tPvRmT1_T2_T3_mT4_P12ihipStream_tbEUlT_E0_NS1_11comp_targetILNS1_3genE9ELNS1_11target_archE1100ELNS1_3gpuE3ELNS1_3repE0EEENS1_30default_config_static_selectorELNS0_4arch9wavefront6targetE0EEEvS14_
	.globl	_ZN7rocprim17ROCPRIM_400000_NS6detail17trampoline_kernelINS0_14default_configENS1_22reduce_config_selectorIN6thrust23THRUST_200600_302600_NS5tupleIblNS6_9null_typeES8_S8_S8_S8_S8_S8_S8_EEEEZNS1_11reduce_implILb1ES3_NS6_12zip_iteratorINS7_INS6_11hip_rocprim26transform_input_iterator_tIbNSD_35transform_pair_of_input_iterators_tIbNS6_6detail15normal_iteratorINS6_10device_ptrIKsEEEESL_NS6_8equal_toIsEEEENSG_9not_fun_tINSD_8identityEEEEENSD_19counting_iterator_tIlEES8_S8_S8_S8_S8_S8_S8_S8_EEEEPS9_S9_NSD_9__find_if7functorIS9_EEEE10hipError_tPvRmT1_T2_T3_mT4_P12ihipStream_tbEUlT_E0_NS1_11comp_targetILNS1_3genE9ELNS1_11target_archE1100ELNS1_3gpuE3ELNS1_3repE0EEENS1_30default_config_static_selectorELNS0_4arch9wavefront6targetE0EEEvS14_
	.p2align	8
	.type	_ZN7rocprim17ROCPRIM_400000_NS6detail17trampoline_kernelINS0_14default_configENS1_22reduce_config_selectorIN6thrust23THRUST_200600_302600_NS5tupleIblNS6_9null_typeES8_S8_S8_S8_S8_S8_S8_EEEEZNS1_11reduce_implILb1ES3_NS6_12zip_iteratorINS7_INS6_11hip_rocprim26transform_input_iterator_tIbNSD_35transform_pair_of_input_iterators_tIbNS6_6detail15normal_iteratorINS6_10device_ptrIKsEEEESL_NS6_8equal_toIsEEEENSG_9not_fun_tINSD_8identityEEEEENSD_19counting_iterator_tIlEES8_S8_S8_S8_S8_S8_S8_S8_EEEEPS9_S9_NSD_9__find_if7functorIS9_EEEE10hipError_tPvRmT1_T2_T3_mT4_P12ihipStream_tbEUlT_E0_NS1_11comp_targetILNS1_3genE9ELNS1_11target_archE1100ELNS1_3gpuE3ELNS1_3repE0EEENS1_30default_config_static_selectorELNS0_4arch9wavefront6targetE0EEEvS14_,@function
_ZN7rocprim17ROCPRIM_400000_NS6detail17trampoline_kernelINS0_14default_configENS1_22reduce_config_selectorIN6thrust23THRUST_200600_302600_NS5tupleIblNS6_9null_typeES8_S8_S8_S8_S8_S8_S8_EEEEZNS1_11reduce_implILb1ES3_NS6_12zip_iteratorINS7_INS6_11hip_rocprim26transform_input_iterator_tIbNSD_35transform_pair_of_input_iterators_tIbNS6_6detail15normal_iteratorINS6_10device_ptrIKsEEEESL_NS6_8equal_toIsEEEENSG_9not_fun_tINSD_8identityEEEEENSD_19counting_iterator_tIlEES8_S8_S8_S8_S8_S8_S8_S8_EEEEPS9_S9_NSD_9__find_if7functorIS9_EEEE10hipError_tPvRmT1_T2_T3_mT4_P12ihipStream_tbEUlT_E0_NS1_11comp_targetILNS1_3genE9ELNS1_11target_archE1100ELNS1_3gpuE3ELNS1_3repE0EEENS1_30default_config_static_selectorELNS0_4arch9wavefront6targetE0EEEvS14_: ; @_ZN7rocprim17ROCPRIM_400000_NS6detail17trampoline_kernelINS0_14default_configENS1_22reduce_config_selectorIN6thrust23THRUST_200600_302600_NS5tupleIblNS6_9null_typeES8_S8_S8_S8_S8_S8_S8_EEEEZNS1_11reduce_implILb1ES3_NS6_12zip_iteratorINS7_INS6_11hip_rocprim26transform_input_iterator_tIbNSD_35transform_pair_of_input_iterators_tIbNS6_6detail15normal_iteratorINS6_10device_ptrIKsEEEESL_NS6_8equal_toIsEEEENSG_9not_fun_tINSD_8identityEEEEENSD_19counting_iterator_tIlEES8_S8_S8_S8_S8_S8_S8_S8_EEEEPS9_S9_NSD_9__find_if7functorIS9_EEEE10hipError_tPvRmT1_T2_T3_mT4_P12ihipStream_tbEUlT_E0_NS1_11comp_targetILNS1_3genE9ELNS1_11target_archE1100ELNS1_3gpuE3ELNS1_3repE0EEENS1_30default_config_static_selectorELNS0_4arch9wavefront6targetE0EEEvS14_
; %bb.0:
	.section	.rodata,"a",@progbits
	.p2align	6, 0x0
	.amdhsa_kernel _ZN7rocprim17ROCPRIM_400000_NS6detail17trampoline_kernelINS0_14default_configENS1_22reduce_config_selectorIN6thrust23THRUST_200600_302600_NS5tupleIblNS6_9null_typeES8_S8_S8_S8_S8_S8_S8_EEEEZNS1_11reduce_implILb1ES3_NS6_12zip_iteratorINS7_INS6_11hip_rocprim26transform_input_iterator_tIbNSD_35transform_pair_of_input_iterators_tIbNS6_6detail15normal_iteratorINS6_10device_ptrIKsEEEESL_NS6_8equal_toIsEEEENSG_9not_fun_tINSD_8identityEEEEENSD_19counting_iterator_tIlEES8_S8_S8_S8_S8_S8_S8_S8_EEEEPS9_S9_NSD_9__find_if7functorIS9_EEEE10hipError_tPvRmT1_T2_T3_mT4_P12ihipStream_tbEUlT_E0_NS1_11comp_targetILNS1_3genE9ELNS1_11target_archE1100ELNS1_3gpuE3ELNS1_3repE0EEENS1_30default_config_static_selectorELNS0_4arch9wavefront6targetE0EEEvS14_
		.amdhsa_group_segment_fixed_size 0
		.amdhsa_private_segment_fixed_size 0
		.amdhsa_kernarg_size 104
		.amdhsa_user_sgpr_count 6
		.amdhsa_user_sgpr_private_segment_buffer 1
		.amdhsa_user_sgpr_dispatch_ptr 0
		.amdhsa_user_sgpr_queue_ptr 0
		.amdhsa_user_sgpr_kernarg_segment_ptr 1
		.amdhsa_user_sgpr_dispatch_id 0
		.amdhsa_user_sgpr_flat_scratch_init 0
		.amdhsa_user_sgpr_private_segment_size 0
		.amdhsa_wavefront_size32 1
		.amdhsa_uses_dynamic_stack 0
		.amdhsa_system_sgpr_private_segment_wavefront_offset 0
		.amdhsa_system_sgpr_workgroup_id_x 1
		.amdhsa_system_sgpr_workgroup_id_y 0
		.amdhsa_system_sgpr_workgroup_id_z 0
		.amdhsa_system_sgpr_workgroup_info 0
		.amdhsa_system_vgpr_workitem_id 0
		.amdhsa_next_free_vgpr 1
		.amdhsa_next_free_sgpr 1
		.amdhsa_reserve_vcc 0
		.amdhsa_reserve_flat_scratch 0
		.amdhsa_float_round_mode_32 0
		.amdhsa_float_round_mode_16_64 0
		.amdhsa_float_denorm_mode_32 3
		.amdhsa_float_denorm_mode_16_64 3
		.amdhsa_dx10_clamp 1
		.amdhsa_ieee_mode 1
		.amdhsa_fp16_overflow 0
		.amdhsa_workgroup_processor_mode 1
		.amdhsa_memory_ordered 1
		.amdhsa_forward_progress 1
		.amdhsa_shared_vgpr_count 0
		.amdhsa_exception_fp_ieee_invalid_op 0
		.amdhsa_exception_fp_denorm_src 0
		.amdhsa_exception_fp_ieee_div_zero 0
		.amdhsa_exception_fp_ieee_overflow 0
		.amdhsa_exception_fp_ieee_underflow 0
		.amdhsa_exception_fp_ieee_inexact 0
		.amdhsa_exception_int_div_zero 0
	.end_amdhsa_kernel
	.section	.text._ZN7rocprim17ROCPRIM_400000_NS6detail17trampoline_kernelINS0_14default_configENS1_22reduce_config_selectorIN6thrust23THRUST_200600_302600_NS5tupleIblNS6_9null_typeES8_S8_S8_S8_S8_S8_S8_EEEEZNS1_11reduce_implILb1ES3_NS6_12zip_iteratorINS7_INS6_11hip_rocprim26transform_input_iterator_tIbNSD_35transform_pair_of_input_iterators_tIbNS6_6detail15normal_iteratorINS6_10device_ptrIKsEEEESL_NS6_8equal_toIsEEEENSG_9not_fun_tINSD_8identityEEEEENSD_19counting_iterator_tIlEES8_S8_S8_S8_S8_S8_S8_S8_EEEEPS9_S9_NSD_9__find_if7functorIS9_EEEE10hipError_tPvRmT1_T2_T3_mT4_P12ihipStream_tbEUlT_E0_NS1_11comp_targetILNS1_3genE9ELNS1_11target_archE1100ELNS1_3gpuE3ELNS1_3repE0EEENS1_30default_config_static_selectorELNS0_4arch9wavefront6targetE0EEEvS14_,"axG",@progbits,_ZN7rocprim17ROCPRIM_400000_NS6detail17trampoline_kernelINS0_14default_configENS1_22reduce_config_selectorIN6thrust23THRUST_200600_302600_NS5tupleIblNS6_9null_typeES8_S8_S8_S8_S8_S8_S8_EEEEZNS1_11reduce_implILb1ES3_NS6_12zip_iteratorINS7_INS6_11hip_rocprim26transform_input_iterator_tIbNSD_35transform_pair_of_input_iterators_tIbNS6_6detail15normal_iteratorINS6_10device_ptrIKsEEEESL_NS6_8equal_toIsEEEENSG_9not_fun_tINSD_8identityEEEEENSD_19counting_iterator_tIlEES8_S8_S8_S8_S8_S8_S8_S8_EEEEPS9_S9_NSD_9__find_if7functorIS9_EEEE10hipError_tPvRmT1_T2_T3_mT4_P12ihipStream_tbEUlT_E0_NS1_11comp_targetILNS1_3genE9ELNS1_11target_archE1100ELNS1_3gpuE3ELNS1_3repE0EEENS1_30default_config_static_selectorELNS0_4arch9wavefront6targetE0EEEvS14_,comdat
.Lfunc_end588:
	.size	_ZN7rocprim17ROCPRIM_400000_NS6detail17trampoline_kernelINS0_14default_configENS1_22reduce_config_selectorIN6thrust23THRUST_200600_302600_NS5tupleIblNS6_9null_typeES8_S8_S8_S8_S8_S8_S8_EEEEZNS1_11reduce_implILb1ES3_NS6_12zip_iteratorINS7_INS6_11hip_rocprim26transform_input_iterator_tIbNSD_35transform_pair_of_input_iterators_tIbNS6_6detail15normal_iteratorINS6_10device_ptrIKsEEEESL_NS6_8equal_toIsEEEENSG_9not_fun_tINSD_8identityEEEEENSD_19counting_iterator_tIlEES8_S8_S8_S8_S8_S8_S8_S8_EEEEPS9_S9_NSD_9__find_if7functorIS9_EEEE10hipError_tPvRmT1_T2_T3_mT4_P12ihipStream_tbEUlT_E0_NS1_11comp_targetILNS1_3genE9ELNS1_11target_archE1100ELNS1_3gpuE3ELNS1_3repE0EEENS1_30default_config_static_selectorELNS0_4arch9wavefront6targetE0EEEvS14_, .Lfunc_end588-_ZN7rocprim17ROCPRIM_400000_NS6detail17trampoline_kernelINS0_14default_configENS1_22reduce_config_selectorIN6thrust23THRUST_200600_302600_NS5tupleIblNS6_9null_typeES8_S8_S8_S8_S8_S8_S8_EEEEZNS1_11reduce_implILb1ES3_NS6_12zip_iteratorINS7_INS6_11hip_rocprim26transform_input_iterator_tIbNSD_35transform_pair_of_input_iterators_tIbNS6_6detail15normal_iteratorINS6_10device_ptrIKsEEEESL_NS6_8equal_toIsEEEENSG_9not_fun_tINSD_8identityEEEEENSD_19counting_iterator_tIlEES8_S8_S8_S8_S8_S8_S8_S8_EEEEPS9_S9_NSD_9__find_if7functorIS9_EEEE10hipError_tPvRmT1_T2_T3_mT4_P12ihipStream_tbEUlT_E0_NS1_11comp_targetILNS1_3genE9ELNS1_11target_archE1100ELNS1_3gpuE3ELNS1_3repE0EEENS1_30default_config_static_selectorELNS0_4arch9wavefront6targetE0EEEvS14_
                                        ; -- End function
	.set _ZN7rocprim17ROCPRIM_400000_NS6detail17trampoline_kernelINS0_14default_configENS1_22reduce_config_selectorIN6thrust23THRUST_200600_302600_NS5tupleIblNS6_9null_typeES8_S8_S8_S8_S8_S8_S8_EEEEZNS1_11reduce_implILb1ES3_NS6_12zip_iteratorINS7_INS6_11hip_rocprim26transform_input_iterator_tIbNSD_35transform_pair_of_input_iterators_tIbNS6_6detail15normal_iteratorINS6_10device_ptrIKsEEEESL_NS6_8equal_toIsEEEENSG_9not_fun_tINSD_8identityEEEEENSD_19counting_iterator_tIlEES8_S8_S8_S8_S8_S8_S8_S8_EEEEPS9_S9_NSD_9__find_if7functorIS9_EEEE10hipError_tPvRmT1_T2_T3_mT4_P12ihipStream_tbEUlT_E0_NS1_11comp_targetILNS1_3genE9ELNS1_11target_archE1100ELNS1_3gpuE3ELNS1_3repE0EEENS1_30default_config_static_selectorELNS0_4arch9wavefront6targetE0EEEvS14_.num_vgpr, 0
	.set _ZN7rocprim17ROCPRIM_400000_NS6detail17trampoline_kernelINS0_14default_configENS1_22reduce_config_selectorIN6thrust23THRUST_200600_302600_NS5tupleIblNS6_9null_typeES8_S8_S8_S8_S8_S8_S8_EEEEZNS1_11reduce_implILb1ES3_NS6_12zip_iteratorINS7_INS6_11hip_rocprim26transform_input_iterator_tIbNSD_35transform_pair_of_input_iterators_tIbNS6_6detail15normal_iteratorINS6_10device_ptrIKsEEEESL_NS6_8equal_toIsEEEENSG_9not_fun_tINSD_8identityEEEEENSD_19counting_iterator_tIlEES8_S8_S8_S8_S8_S8_S8_S8_EEEEPS9_S9_NSD_9__find_if7functorIS9_EEEE10hipError_tPvRmT1_T2_T3_mT4_P12ihipStream_tbEUlT_E0_NS1_11comp_targetILNS1_3genE9ELNS1_11target_archE1100ELNS1_3gpuE3ELNS1_3repE0EEENS1_30default_config_static_selectorELNS0_4arch9wavefront6targetE0EEEvS14_.num_agpr, 0
	.set _ZN7rocprim17ROCPRIM_400000_NS6detail17trampoline_kernelINS0_14default_configENS1_22reduce_config_selectorIN6thrust23THRUST_200600_302600_NS5tupleIblNS6_9null_typeES8_S8_S8_S8_S8_S8_S8_EEEEZNS1_11reduce_implILb1ES3_NS6_12zip_iteratorINS7_INS6_11hip_rocprim26transform_input_iterator_tIbNSD_35transform_pair_of_input_iterators_tIbNS6_6detail15normal_iteratorINS6_10device_ptrIKsEEEESL_NS6_8equal_toIsEEEENSG_9not_fun_tINSD_8identityEEEEENSD_19counting_iterator_tIlEES8_S8_S8_S8_S8_S8_S8_S8_EEEEPS9_S9_NSD_9__find_if7functorIS9_EEEE10hipError_tPvRmT1_T2_T3_mT4_P12ihipStream_tbEUlT_E0_NS1_11comp_targetILNS1_3genE9ELNS1_11target_archE1100ELNS1_3gpuE3ELNS1_3repE0EEENS1_30default_config_static_selectorELNS0_4arch9wavefront6targetE0EEEvS14_.numbered_sgpr, 0
	.set _ZN7rocprim17ROCPRIM_400000_NS6detail17trampoline_kernelINS0_14default_configENS1_22reduce_config_selectorIN6thrust23THRUST_200600_302600_NS5tupleIblNS6_9null_typeES8_S8_S8_S8_S8_S8_S8_EEEEZNS1_11reduce_implILb1ES3_NS6_12zip_iteratorINS7_INS6_11hip_rocprim26transform_input_iterator_tIbNSD_35transform_pair_of_input_iterators_tIbNS6_6detail15normal_iteratorINS6_10device_ptrIKsEEEESL_NS6_8equal_toIsEEEENSG_9not_fun_tINSD_8identityEEEEENSD_19counting_iterator_tIlEES8_S8_S8_S8_S8_S8_S8_S8_EEEEPS9_S9_NSD_9__find_if7functorIS9_EEEE10hipError_tPvRmT1_T2_T3_mT4_P12ihipStream_tbEUlT_E0_NS1_11comp_targetILNS1_3genE9ELNS1_11target_archE1100ELNS1_3gpuE3ELNS1_3repE0EEENS1_30default_config_static_selectorELNS0_4arch9wavefront6targetE0EEEvS14_.num_named_barrier, 0
	.set _ZN7rocprim17ROCPRIM_400000_NS6detail17trampoline_kernelINS0_14default_configENS1_22reduce_config_selectorIN6thrust23THRUST_200600_302600_NS5tupleIblNS6_9null_typeES8_S8_S8_S8_S8_S8_S8_EEEEZNS1_11reduce_implILb1ES3_NS6_12zip_iteratorINS7_INS6_11hip_rocprim26transform_input_iterator_tIbNSD_35transform_pair_of_input_iterators_tIbNS6_6detail15normal_iteratorINS6_10device_ptrIKsEEEESL_NS6_8equal_toIsEEEENSG_9not_fun_tINSD_8identityEEEEENSD_19counting_iterator_tIlEES8_S8_S8_S8_S8_S8_S8_S8_EEEEPS9_S9_NSD_9__find_if7functorIS9_EEEE10hipError_tPvRmT1_T2_T3_mT4_P12ihipStream_tbEUlT_E0_NS1_11comp_targetILNS1_3genE9ELNS1_11target_archE1100ELNS1_3gpuE3ELNS1_3repE0EEENS1_30default_config_static_selectorELNS0_4arch9wavefront6targetE0EEEvS14_.private_seg_size, 0
	.set _ZN7rocprim17ROCPRIM_400000_NS6detail17trampoline_kernelINS0_14default_configENS1_22reduce_config_selectorIN6thrust23THRUST_200600_302600_NS5tupleIblNS6_9null_typeES8_S8_S8_S8_S8_S8_S8_EEEEZNS1_11reduce_implILb1ES3_NS6_12zip_iteratorINS7_INS6_11hip_rocprim26transform_input_iterator_tIbNSD_35transform_pair_of_input_iterators_tIbNS6_6detail15normal_iteratorINS6_10device_ptrIKsEEEESL_NS6_8equal_toIsEEEENSG_9not_fun_tINSD_8identityEEEEENSD_19counting_iterator_tIlEES8_S8_S8_S8_S8_S8_S8_S8_EEEEPS9_S9_NSD_9__find_if7functorIS9_EEEE10hipError_tPvRmT1_T2_T3_mT4_P12ihipStream_tbEUlT_E0_NS1_11comp_targetILNS1_3genE9ELNS1_11target_archE1100ELNS1_3gpuE3ELNS1_3repE0EEENS1_30default_config_static_selectorELNS0_4arch9wavefront6targetE0EEEvS14_.uses_vcc, 0
	.set _ZN7rocprim17ROCPRIM_400000_NS6detail17trampoline_kernelINS0_14default_configENS1_22reduce_config_selectorIN6thrust23THRUST_200600_302600_NS5tupleIblNS6_9null_typeES8_S8_S8_S8_S8_S8_S8_EEEEZNS1_11reduce_implILb1ES3_NS6_12zip_iteratorINS7_INS6_11hip_rocprim26transform_input_iterator_tIbNSD_35transform_pair_of_input_iterators_tIbNS6_6detail15normal_iteratorINS6_10device_ptrIKsEEEESL_NS6_8equal_toIsEEEENSG_9not_fun_tINSD_8identityEEEEENSD_19counting_iterator_tIlEES8_S8_S8_S8_S8_S8_S8_S8_EEEEPS9_S9_NSD_9__find_if7functorIS9_EEEE10hipError_tPvRmT1_T2_T3_mT4_P12ihipStream_tbEUlT_E0_NS1_11comp_targetILNS1_3genE9ELNS1_11target_archE1100ELNS1_3gpuE3ELNS1_3repE0EEENS1_30default_config_static_selectorELNS0_4arch9wavefront6targetE0EEEvS14_.uses_flat_scratch, 0
	.set _ZN7rocprim17ROCPRIM_400000_NS6detail17trampoline_kernelINS0_14default_configENS1_22reduce_config_selectorIN6thrust23THRUST_200600_302600_NS5tupleIblNS6_9null_typeES8_S8_S8_S8_S8_S8_S8_EEEEZNS1_11reduce_implILb1ES3_NS6_12zip_iteratorINS7_INS6_11hip_rocprim26transform_input_iterator_tIbNSD_35transform_pair_of_input_iterators_tIbNS6_6detail15normal_iteratorINS6_10device_ptrIKsEEEESL_NS6_8equal_toIsEEEENSG_9not_fun_tINSD_8identityEEEEENSD_19counting_iterator_tIlEES8_S8_S8_S8_S8_S8_S8_S8_EEEEPS9_S9_NSD_9__find_if7functorIS9_EEEE10hipError_tPvRmT1_T2_T3_mT4_P12ihipStream_tbEUlT_E0_NS1_11comp_targetILNS1_3genE9ELNS1_11target_archE1100ELNS1_3gpuE3ELNS1_3repE0EEENS1_30default_config_static_selectorELNS0_4arch9wavefront6targetE0EEEvS14_.has_dyn_sized_stack, 0
	.set _ZN7rocprim17ROCPRIM_400000_NS6detail17trampoline_kernelINS0_14default_configENS1_22reduce_config_selectorIN6thrust23THRUST_200600_302600_NS5tupleIblNS6_9null_typeES8_S8_S8_S8_S8_S8_S8_EEEEZNS1_11reduce_implILb1ES3_NS6_12zip_iteratorINS7_INS6_11hip_rocprim26transform_input_iterator_tIbNSD_35transform_pair_of_input_iterators_tIbNS6_6detail15normal_iteratorINS6_10device_ptrIKsEEEESL_NS6_8equal_toIsEEEENSG_9not_fun_tINSD_8identityEEEEENSD_19counting_iterator_tIlEES8_S8_S8_S8_S8_S8_S8_S8_EEEEPS9_S9_NSD_9__find_if7functorIS9_EEEE10hipError_tPvRmT1_T2_T3_mT4_P12ihipStream_tbEUlT_E0_NS1_11comp_targetILNS1_3genE9ELNS1_11target_archE1100ELNS1_3gpuE3ELNS1_3repE0EEENS1_30default_config_static_selectorELNS0_4arch9wavefront6targetE0EEEvS14_.has_recursion, 0
	.set _ZN7rocprim17ROCPRIM_400000_NS6detail17trampoline_kernelINS0_14default_configENS1_22reduce_config_selectorIN6thrust23THRUST_200600_302600_NS5tupleIblNS6_9null_typeES8_S8_S8_S8_S8_S8_S8_EEEEZNS1_11reduce_implILb1ES3_NS6_12zip_iteratorINS7_INS6_11hip_rocprim26transform_input_iterator_tIbNSD_35transform_pair_of_input_iterators_tIbNS6_6detail15normal_iteratorINS6_10device_ptrIKsEEEESL_NS6_8equal_toIsEEEENSG_9not_fun_tINSD_8identityEEEEENSD_19counting_iterator_tIlEES8_S8_S8_S8_S8_S8_S8_S8_EEEEPS9_S9_NSD_9__find_if7functorIS9_EEEE10hipError_tPvRmT1_T2_T3_mT4_P12ihipStream_tbEUlT_E0_NS1_11comp_targetILNS1_3genE9ELNS1_11target_archE1100ELNS1_3gpuE3ELNS1_3repE0EEENS1_30default_config_static_selectorELNS0_4arch9wavefront6targetE0EEEvS14_.has_indirect_call, 0
	.section	.AMDGPU.csdata,"",@progbits
; Kernel info:
; codeLenInByte = 0
; TotalNumSgprs: 0
; NumVgprs: 0
; ScratchSize: 0
; MemoryBound: 0
; FloatMode: 240
; IeeeMode: 1
; LDSByteSize: 0 bytes/workgroup (compile time only)
; SGPRBlocks: 0
; VGPRBlocks: 0
; NumSGPRsForWavesPerEU: 1
; NumVGPRsForWavesPerEU: 1
; Occupancy: 16
; WaveLimiterHint : 0
; COMPUTE_PGM_RSRC2:SCRATCH_EN: 0
; COMPUTE_PGM_RSRC2:USER_SGPR: 6
; COMPUTE_PGM_RSRC2:TRAP_HANDLER: 0
; COMPUTE_PGM_RSRC2:TGID_X_EN: 1
; COMPUTE_PGM_RSRC2:TGID_Y_EN: 0
; COMPUTE_PGM_RSRC2:TGID_Z_EN: 0
; COMPUTE_PGM_RSRC2:TIDIG_COMP_CNT: 0
	.section	.text._ZN7rocprim17ROCPRIM_400000_NS6detail17trampoline_kernelINS0_14default_configENS1_22reduce_config_selectorIN6thrust23THRUST_200600_302600_NS5tupleIblNS6_9null_typeES8_S8_S8_S8_S8_S8_S8_EEEEZNS1_11reduce_implILb1ES3_NS6_12zip_iteratorINS7_INS6_11hip_rocprim26transform_input_iterator_tIbNSD_35transform_pair_of_input_iterators_tIbNS6_6detail15normal_iteratorINS6_10device_ptrIKsEEEESL_NS6_8equal_toIsEEEENSG_9not_fun_tINSD_8identityEEEEENSD_19counting_iterator_tIlEES8_S8_S8_S8_S8_S8_S8_S8_EEEEPS9_S9_NSD_9__find_if7functorIS9_EEEE10hipError_tPvRmT1_T2_T3_mT4_P12ihipStream_tbEUlT_E0_NS1_11comp_targetILNS1_3genE8ELNS1_11target_archE1030ELNS1_3gpuE2ELNS1_3repE0EEENS1_30default_config_static_selectorELNS0_4arch9wavefront6targetE0EEEvS14_,"axG",@progbits,_ZN7rocprim17ROCPRIM_400000_NS6detail17trampoline_kernelINS0_14default_configENS1_22reduce_config_selectorIN6thrust23THRUST_200600_302600_NS5tupleIblNS6_9null_typeES8_S8_S8_S8_S8_S8_S8_EEEEZNS1_11reduce_implILb1ES3_NS6_12zip_iteratorINS7_INS6_11hip_rocprim26transform_input_iterator_tIbNSD_35transform_pair_of_input_iterators_tIbNS6_6detail15normal_iteratorINS6_10device_ptrIKsEEEESL_NS6_8equal_toIsEEEENSG_9not_fun_tINSD_8identityEEEEENSD_19counting_iterator_tIlEES8_S8_S8_S8_S8_S8_S8_S8_EEEEPS9_S9_NSD_9__find_if7functorIS9_EEEE10hipError_tPvRmT1_T2_T3_mT4_P12ihipStream_tbEUlT_E0_NS1_11comp_targetILNS1_3genE8ELNS1_11target_archE1030ELNS1_3gpuE2ELNS1_3repE0EEENS1_30default_config_static_selectorELNS0_4arch9wavefront6targetE0EEEvS14_,comdat
	.protected	_ZN7rocprim17ROCPRIM_400000_NS6detail17trampoline_kernelINS0_14default_configENS1_22reduce_config_selectorIN6thrust23THRUST_200600_302600_NS5tupleIblNS6_9null_typeES8_S8_S8_S8_S8_S8_S8_EEEEZNS1_11reduce_implILb1ES3_NS6_12zip_iteratorINS7_INS6_11hip_rocprim26transform_input_iterator_tIbNSD_35transform_pair_of_input_iterators_tIbNS6_6detail15normal_iteratorINS6_10device_ptrIKsEEEESL_NS6_8equal_toIsEEEENSG_9not_fun_tINSD_8identityEEEEENSD_19counting_iterator_tIlEES8_S8_S8_S8_S8_S8_S8_S8_EEEEPS9_S9_NSD_9__find_if7functorIS9_EEEE10hipError_tPvRmT1_T2_T3_mT4_P12ihipStream_tbEUlT_E0_NS1_11comp_targetILNS1_3genE8ELNS1_11target_archE1030ELNS1_3gpuE2ELNS1_3repE0EEENS1_30default_config_static_selectorELNS0_4arch9wavefront6targetE0EEEvS14_ ; -- Begin function _ZN7rocprim17ROCPRIM_400000_NS6detail17trampoline_kernelINS0_14default_configENS1_22reduce_config_selectorIN6thrust23THRUST_200600_302600_NS5tupleIblNS6_9null_typeES8_S8_S8_S8_S8_S8_S8_EEEEZNS1_11reduce_implILb1ES3_NS6_12zip_iteratorINS7_INS6_11hip_rocprim26transform_input_iterator_tIbNSD_35transform_pair_of_input_iterators_tIbNS6_6detail15normal_iteratorINS6_10device_ptrIKsEEEESL_NS6_8equal_toIsEEEENSG_9not_fun_tINSD_8identityEEEEENSD_19counting_iterator_tIlEES8_S8_S8_S8_S8_S8_S8_S8_EEEEPS9_S9_NSD_9__find_if7functorIS9_EEEE10hipError_tPvRmT1_T2_T3_mT4_P12ihipStream_tbEUlT_E0_NS1_11comp_targetILNS1_3genE8ELNS1_11target_archE1030ELNS1_3gpuE2ELNS1_3repE0EEENS1_30default_config_static_selectorELNS0_4arch9wavefront6targetE0EEEvS14_
	.globl	_ZN7rocprim17ROCPRIM_400000_NS6detail17trampoline_kernelINS0_14default_configENS1_22reduce_config_selectorIN6thrust23THRUST_200600_302600_NS5tupleIblNS6_9null_typeES8_S8_S8_S8_S8_S8_S8_EEEEZNS1_11reduce_implILb1ES3_NS6_12zip_iteratorINS7_INS6_11hip_rocprim26transform_input_iterator_tIbNSD_35transform_pair_of_input_iterators_tIbNS6_6detail15normal_iteratorINS6_10device_ptrIKsEEEESL_NS6_8equal_toIsEEEENSG_9not_fun_tINSD_8identityEEEEENSD_19counting_iterator_tIlEES8_S8_S8_S8_S8_S8_S8_S8_EEEEPS9_S9_NSD_9__find_if7functorIS9_EEEE10hipError_tPvRmT1_T2_T3_mT4_P12ihipStream_tbEUlT_E0_NS1_11comp_targetILNS1_3genE8ELNS1_11target_archE1030ELNS1_3gpuE2ELNS1_3repE0EEENS1_30default_config_static_selectorELNS0_4arch9wavefront6targetE0EEEvS14_
	.p2align	8
	.type	_ZN7rocprim17ROCPRIM_400000_NS6detail17trampoline_kernelINS0_14default_configENS1_22reduce_config_selectorIN6thrust23THRUST_200600_302600_NS5tupleIblNS6_9null_typeES8_S8_S8_S8_S8_S8_S8_EEEEZNS1_11reduce_implILb1ES3_NS6_12zip_iteratorINS7_INS6_11hip_rocprim26transform_input_iterator_tIbNSD_35transform_pair_of_input_iterators_tIbNS6_6detail15normal_iteratorINS6_10device_ptrIKsEEEESL_NS6_8equal_toIsEEEENSG_9not_fun_tINSD_8identityEEEEENSD_19counting_iterator_tIlEES8_S8_S8_S8_S8_S8_S8_S8_EEEEPS9_S9_NSD_9__find_if7functorIS9_EEEE10hipError_tPvRmT1_T2_T3_mT4_P12ihipStream_tbEUlT_E0_NS1_11comp_targetILNS1_3genE8ELNS1_11target_archE1030ELNS1_3gpuE2ELNS1_3repE0EEENS1_30default_config_static_selectorELNS0_4arch9wavefront6targetE0EEEvS14_,@function
_ZN7rocprim17ROCPRIM_400000_NS6detail17trampoline_kernelINS0_14default_configENS1_22reduce_config_selectorIN6thrust23THRUST_200600_302600_NS5tupleIblNS6_9null_typeES8_S8_S8_S8_S8_S8_S8_EEEEZNS1_11reduce_implILb1ES3_NS6_12zip_iteratorINS7_INS6_11hip_rocprim26transform_input_iterator_tIbNSD_35transform_pair_of_input_iterators_tIbNS6_6detail15normal_iteratorINS6_10device_ptrIKsEEEESL_NS6_8equal_toIsEEEENSG_9not_fun_tINSD_8identityEEEEENSD_19counting_iterator_tIlEES8_S8_S8_S8_S8_S8_S8_S8_EEEEPS9_S9_NSD_9__find_if7functorIS9_EEEE10hipError_tPvRmT1_T2_T3_mT4_P12ihipStream_tbEUlT_E0_NS1_11comp_targetILNS1_3genE8ELNS1_11target_archE1030ELNS1_3gpuE2ELNS1_3repE0EEENS1_30default_config_static_selectorELNS0_4arch9wavefront6targetE0EEEvS14_: ; @_ZN7rocprim17ROCPRIM_400000_NS6detail17trampoline_kernelINS0_14default_configENS1_22reduce_config_selectorIN6thrust23THRUST_200600_302600_NS5tupleIblNS6_9null_typeES8_S8_S8_S8_S8_S8_S8_EEEEZNS1_11reduce_implILb1ES3_NS6_12zip_iteratorINS7_INS6_11hip_rocprim26transform_input_iterator_tIbNSD_35transform_pair_of_input_iterators_tIbNS6_6detail15normal_iteratorINS6_10device_ptrIKsEEEESL_NS6_8equal_toIsEEEENSG_9not_fun_tINSD_8identityEEEEENSD_19counting_iterator_tIlEES8_S8_S8_S8_S8_S8_S8_S8_EEEEPS9_S9_NSD_9__find_if7functorIS9_EEEE10hipError_tPvRmT1_T2_T3_mT4_P12ihipStream_tbEUlT_E0_NS1_11comp_targetILNS1_3genE8ELNS1_11target_archE1030ELNS1_3gpuE2ELNS1_3repE0EEENS1_30default_config_static_selectorELNS0_4arch9wavefront6targetE0EEEvS14_
; %bb.0:
	s_clause 0x2
	s_load_dwordx8 s[8:15], s[4:5], 0x20
	s_load_dwordx4 s[0:3], s[4:5], 0x0
	s_load_dwordx4 s[16:19], s[4:5], 0x40
	s_mov_b32 s23, 0
	v_lshlrev_b32_e32 v9, 1, v0
	v_mbcnt_lo_u32_b32 v7, -1, 0
	s_mov_b32 s7, s23
	s_waitcnt lgkmcnt(0)
	s_lshl_b64 s[20:21], s[10:11], 1
	s_add_u32 s26, s0, s20
	s_addc_u32 s27, s1, s21
	s_add_u32 s20, s2, s20
	s_addc_u32 s21, s3, s21
	s_lshl_b32 s22, s6, 9
	s_lshr_b64 s[24:25], s[12:13], 9
	s_lshl_b64 s[0:1], s[22:23], 1
	s_add_u32 s2, s26, s0
	s_addc_u32 s3, s27, s1
	s_add_u32 s20, s20, s0
	s_addc_u32 s21, s21, s1
	;; [unrolled: 2-line block ×4, first 2 shown]
	s_cmp_lg_u64 s[24:25], s[6:7]
	s_cbranch_scc0 .LBB589_18
; %bb.1:
	s_clause 0x3
	global_load_ushort v1, v9, s[2:3]
	global_load_ushort v2, v9, s[20:21]
	global_load_ushort v3, v9, s[20:21] offset:512
	global_load_ushort v4, v9, s[2:3] offset:512
	v_add_co_u32 v5, s0, s10, v0
	v_add_co_ci_u32_e64 v6, null, s11, 0, s0
	v_add_co_u32 v8, vcc_lo, 0x100, v5
	v_add_co_ci_u32_e64 v10, null, 0, v6, vcc_lo
	s_waitcnt vmcnt(2)
	v_cmp_ne_u16_e32 vcc_lo, v1, v2
	s_waitcnt vmcnt(0)
	v_cmp_ne_u16_e64 s0, v4, v3
	v_cndmask_b32_e32 v2, v10, v6, vcc_lo
	v_cndmask_b32_e32 v1, v8, v5, vcc_lo
	s_or_b32 s0, vcc_lo, s0
	v_cndmask_b32_e64 v5, 0, 1, s0
	v_mov_b32_dpp v4, v2 quad_perm:[1,0,3,2] row_mask:0xf bank_mask:0xf
	v_mov_b32_dpp v3, v1 quad_perm:[1,0,3,2] row_mask:0xf bank_mask:0xf
	;; [unrolled: 1-line block ×3, first 2 shown]
	v_cmp_lt_i64_e32 vcc_lo, v[1:2], v[3:4]
	v_and_b32_e32 v6, 1, v6
	s_and_b32 vcc_lo, s0, vcc_lo
	v_cndmask_b32_e32 v3, v3, v1, vcc_lo
	v_cndmask_b32_e32 v4, v4, v2, vcc_lo
	v_cmp_eq_u32_e32 vcc_lo, 1, v6
	v_cndmask_b32_e32 v2, v2, v4, vcc_lo
	v_cndmask_b32_e32 v1, v1, v3, vcc_lo
	v_cndmask_b32_e64 v5, v5, 1, vcc_lo
	v_mov_b32_dpp v4, v2 quad_perm:[2,3,0,1] row_mask:0xf bank_mask:0xf
	v_mov_b32_dpp v3, v1 quad_perm:[2,3,0,1] row_mask:0xf bank_mask:0xf
	v_and_b32_e32 v8, 1, v5
	v_mov_b32_dpp v6, v5 quad_perm:[2,3,0,1] row_mask:0xf bank_mask:0xf
	v_cmp_lt_i64_e32 vcc_lo, v[1:2], v[3:4]
	v_cmp_eq_u32_e64 s0, 1, v8
	v_and_b32_e32 v6, 1, v6
	s_and_b32 vcc_lo, s0, vcc_lo
	v_cmp_eq_u32_e64 s1, 1, v6
	v_cndmask_b32_e32 v3, v3, v1, vcc_lo
	v_cndmask_b32_e32 v4, v4, v2, vcc_lo
	v_cndmask_b32_e64 v5, v5, 1, s1
	v_cndmask_b32_e64 v1, v1, v3, s1
	v_cndmask_b32_e64 v2, v2, v4, s1
	v_and_b32_e32 v8, 1, v5
	v_mov_b32_dpp v3, v1 row_ror:4 row_mask:0xf bank_mask:0xf
	v_mov_b32_dpp v4, v2 row_ror:4 row_mask:0xf bank_mask:0xf
	;; [unrolled: 1-line block ×3, first 2 shown]
	v_cmp_eq_u32_e64 s0, 1, v8
	v_cmp_lt_i64_e32 vcc_lo, v[1:2], v[3:4]
	v_and_b32_e32 v6, 1, v6
	s_and_b32 vcc_lo, s0, vcc_lo
	v_cmp_eq_u32_e64 s1, 1, v6
	v_cndmask_b32_e32 v3, v3, v1, vcc_lo
	v_cndmask_b32_e32 v4, v4, v2, vcc_lo
	v_cndmask_b32_e64 v5, v5, 1, s1
	v_cndmask_b32_e64 v1, v1, v3, s1
	;; [unrolled: 1-line block ×3, first 2 shown]
	v_and_b32_e32 v8, 1, v5
	v_mov_b32_dpp v3, v1 row_ror:8 row_mask:0xf bank_mask:0xf
	v_mov_b32_dpp v4, v2 row_ror:8 row_mask:0xf bank_mask:0xf
	;; [unrolled: 1-line block ×3, first 2 shown]
	v_cmp_eq_u32_e64 s0, 1, v8
	v_cmp_lt_i64_e32 vcc_lo, v[1:2], v[3:4]
	v_and_b32_e32 v6, 1, v6
	s_and_b32 vcc_lo, s0, vcc_lo
	v_cmp_eq_u32_e64 s1, 1, v6
	v_cndmask_b32_e32 v3, v3, v1, vcc_lo
	v_cndmask_b32_e32 v4, v4, v2, vcc_lo
	v_cndmask_b32_e64 v5, v5, 1, s1
	v_cndmask_b32_e64 v1, v1, v3, s1
	;; [unrolled: 1-line block ×3, first 2 shown]
	ds_swizzle_b32 v6, v5 offset:swizzle(BROADCAST,32,15)
	ds_swizzle_b32 v3, v1 offset:swizzle(BROADCAST,32,15)
	;; [unrolled: 1-line block ×3, first 2 shown]
	v_and_b32_e32 v8, 1, v5
	v_cmp_eq_u32_e64 s0, 1, v8
	s_waitcnt lgkmcnt(2)
	v_and_b32_e32 v6, 1, v6
	s_waitcnt lgkmcnt(0)
	v_cmp_lt_i64_e32 vcc_lo, v[1:2], v[3:4]
	v_cmp_eq_u32_e64 s1, 1, v6
	v_mov_b32_e32 v6, 0
	s_and_b32 vcc_lo, s0, vcc_lo
	s_mov_b32 s0, exec_lo
	v_cndmask_b32_e32 v3, v3, v1, vcc_lo
	v_cndmask_b32_e32 v4, v4, v2, vcc_lo
	v_cndmask_b32_e64 v5, v5, 1, s1
	v_cndmask_b32_e64 v1, v1, v3, s1
	;; [unrolled: 1-line block ×3, first 2 shown]
	ds_bpermute_b32 v8, v6, v5 offset:124
	ds_bpermute_b32 v1, v6, v1 offset:124
	;; [unrolled: 1-line block ×3, first 2 shown]
	v_cmpx_eq_u32_e32 0, v7
	s_cbranch_execz .LBB589_3
; %bb.2:
	v_lshrrev_b32_e32 v3, 1, v0
	v_and_b32_e32 v3, 0x70, v3
	s_waitcnt lgkmcnt(2)
	ds_write_b8 v3, v8
	s_waitcnt lgkmcnt(1)
	ds_write_b64 v3, v[1:2] offset:8
.LBB589_3:
	s_or_b32 exec_lo, exec_lo, s0
	s_mov_b32 s0, exec_lo
	s_waitcnt lgkmcnt(0)
	s_barrier
	buffer_gl0_inv
	v_cmpx_gt_u32_e32 32, v0
	s_cbranch_execz .LBB589_17
; %bb.4:
	v_and_b32_e32 v8, 7, v7
	v_lshlrev_b32_e32 v1, 4, v8
	v_cmp_ne_u32_e32 vcc_lo, 7, v8
	ds_read_u8 v11, v1
	ds_read_b64 v[3:4], v1 offset:8
	v_add_co_ci_u32_e64 v2, null, 0, v7, vcc_lo
	v_lshlrev_b32_e32 v2, 2, v2
	s_waitcnt lgkmcnt(1)
	v_and_b32_e32 v1, 0xff, v11
	s_waitcnt lgkmcnt(0)
	ds_bpermute_b32 v5, v2, v3
	ds_bpermute_b32 v6, v2, v4
	;; [unrolled: 1-line block ×3, first 2 shown]
	s_waitcnt lgkmcnt(0)
	v_and_b32_e32 v1, v11, v12
	v_and_b32_e32 v1, 1, v1
	v_cmp_eq_u32_e32 vcc_lo, 1, v1
                                        ; implicit-def: $vgpr1_vgpr2
	s_and_saveexec_b32 s1, vcc_lo
	s_xor_b32 s1, exec_lo, s1
; %bb.5:
	v_cmp_lt_i64_e32 vcc_lo, v[5:6], v[3:4]
                                        ; implicit-def: $vgpr11
                                        ; implicit-def: $vgpr12
	v_cndmask_b32_e32 v2, v4, v6, vcc_lo
	v_cndmask_b32_e32 v1, v3, v5, vcc_lo
                                        ; implicit-def: $vgpr5_vgpr6
                                        ; implicit-def: $vgpr3_vgpr4
; %bb.6:
	s_or_saveexec_b32 s1, s1
	v_mov_b32_e32 v10, 1
	s_xor_b32 exec_lo, exec_lo, s1
; %bb.7:
	v_and_b32_e32 v1, 1, v11
	v_and_b32_e32 v10, 0xff, v12
	v_cmp_eq_u32_e32 vcc_lo, 1, v1
	v_cndmask_b32_e32 v2, v6, v4, vcc_lo
	v_cndmask_b32_e32 v1, v5, v3, vcc_lo
	v_cndmask_b32_e64 v10, v10, 1, vcc_lo
; %bb.8:
	s_or_b32 exec_lo, exec_lo, s1
	v_cmp_gt_u32_e32 vcc_lo, 6, v8
	v_cndmask_b32_e64 v3, 0, 2, vcc_lo
	v_add_lshl_u32 v3, v3, v7, 2
	ds_bpermute_b32 v8, v3, v10
	ds_bpermute_b32 v5, v3, v1
	;; [unrolled: 1-line block ×3, first 2 shown]
	s_waitcnt lgkmcnt(2)
	v_and_b32_e32 v3, v10, v8
	v_and_b32_e32 v3, 1, v3
	v_cmp_eq_u32_e32 vcc_lo, 1, v3
                                        ; implicit-def: $vgpr3_vgpr4
	s_and_saveexec_b32 s1, vcc_lo
	s_xor_b32 s1, exec_lo, s1
	s_cbranch_execz .LBB589_10
; %bb.9:
	s_waitcnt lgkmcnt(0)
	v_cmp_lt_i64_e32 vcc_lo, v[5:6], v[1:2]
                                        ; implicit-def: $vgpr10
                                        ; implicit-def: $vgpr8
	v_cndmask_b32_e32 v4, v2, v6, vcc_lo
	v_cndmask_b32_e32 v3, v1, v5, vcc_lo
                                        ; implicit-def: $vgpr5_vgpr6
                                        ; implicit-def: $vgpr1_vgpr2
.LBB589_10:
	s_or_saveexec_b32 s1, s1
	v_lshlrev_b32_e32 v12, 2, v7
	v_mov_b32_e32 v11, 1
	s_xor_b32 exec_lo, exec_lo, s1
	s_cbranch_execz .LBB589_12
; %bb.11:
	v_and_b32_e32 v3, 1, v10
	v_and_b32_e32 v8, 0xff, v8
	v_cmp_eq_u32_e32 vcc_lo, 1, v3
	s_waitcnt lgkmcnt(0)
	v_cndmask_b32_e32 v4, v6, v2, vcc_lo
	v_cndmask_b32_e32 v3, v5, v1, vcc_lo
	v_cndmask_b32_e64 v11, v8, 1, vcc_lo
.LBB589_12:
	s_or_b32 exec_lo, exec_lo, s1
	v_or_b32_e32 v1, 16, v12
	ds_bpermute_b32 v10, v1, v11
	s_waitcnt lgkmcnt(2)
	ds_bpermute_b32 v5, v1, v3
	s_waitcnt lgkmcnt(2)
	;; [unrolled: 2-line block ×3, first 2 shown]
	v_and_b32_e32 v1, v11, v10
	v_and_b32_e32 v1, 1, v1
	v_cmp_eq_u32_e32 vcc_lo, 1, v1
                                        ; implicit-def: $vgpr1_vgpr2
	s_and_saveexec_b32 s1, vcc_lo
	s_xor_b32 s1, exec_lo, s1
	s_cbranch_execz .LBB589_14
; %bb.13:
	s_waitcnt lgkmcnt(0)
	v_cmp_lt_i64_e32 vcc_lo, v[5:6], v[3:4]
                                        ; implicit-def: $vgpr11
                                        ; implicit-def: $vgpr10
	v_cndmask_b32_e32 v2, v4, v6, vcc_lo
	v_cndmask_b32_e32 v1, v3, v5, vcc_lo
                                        ; implicit-def: $vgpr5_vgpr6
                                        ; implicit-def: $vgpr3_vgpr4
.LBB589_14:
	s_or_saveexec_b32 s1, s1
	v_mov_b32_e32 v8, 1
	s_xor_b32 exec_lo, exec_lo, s1
	s_cbranch_execz .LBB589_16
; %bb.15:
	v_and_b32_e32 v1, 1, v11
	v_cmp_eq_u32_e32 vcc_lo, 1, v1
	s_waitcnt lgkmcnt(0)
	v_cndmask_b32_e32 v2, v6, v4, vcc_lo
	v_cndmask_b32_e32 v1, v5, v3, vcc_lo
	v_cndmask_b32_e64 v8, v10, 1, vcc_lo
.LBB589_16:
	s_or_b32 exec_lo, exec_lo, s1
.LBB589_17:
	s_or_b32 exec_lo, exec_lo, s0
	s_load_dwordx2 s[8:9], s[4:5], 0x58
	s_branch .LBB589_76
.LBB589_18:
                                        ; implicit-def: $vgpr1_vgpr2
                                        ; implicit-def: $vgpr8
	s_load_dwordx2 s[8:9], s[4:5], 0x58
	s_cbranch_execz .LBB589_76
; %bb.19:
	v_mov_b32_e32 v3, 0
	v_mov_b32_e32 v1, 0
	s_waitcnt lgkmcnt(0)
	v_mov_b32_e32 v5, 0
	v_mov_b32_e32 v4, 0
	;; [unrolled: 1-line block ×4, first 2 shown]
	s_sub_i32 s22, s12, s22
	s_mov_b32 s0, exec_lo
	v_cmpx_gt_u32_e64 s22, v0
	s_cbranch_execz .LBB589_21
; %bb.20:
	s_clause 0x1
	global_load_ushort v6, v9, s[2:3]
	global_load_ushort v8, v9, s[20:21]
	v_add_co_u32 v1, s1, s10, v0
	v_add_co_ci_u32_e64 v2, null, s11, 0, s1
	s_waitcnt vmcnt(0)
	v_cmp_ne_u16_e32 vcc_lo, v6, v8
	v_cndmask_b32_e64 v6, 0, 1, vcc_lo
.LBB589_21:
	s_or_b32 exec_lo, exec_lo, s0
	v_or_b32_e32 v8, 0x100, v0
	v_cmp_gt_u32_e32 vcc_lo, s22, v8
	s_and_saveexec_b32 s1, vcc_lo
	s_cbranch_execz .LBB589_23
; %bb.22:
	s_clause 0x1
	global_load_ushort v5, v9, s[2:3] offset:512
	global_load_ushort v9, v9, s[20:21] offset:512
	v_add_co_u32 v3, s0, s10, v8
	v_add_co_ci_u32_e64 v4, null, s11, 0, s0
	s_waitcnt vmcnt(0)
	v_cmp_ne_u16_e64 s0, v5, v9
	v_cndmask_b32_e64 v5, 0, 1, s0
.LBB589_23:
	s_or_b32 exec_lo, exec_lo, s1
	v_and_b32_e32 v8, 1, v5
	v_cmp_lt_i64_e64 s0, v[3:4], v[1:2]
	v_and_b32_e32 v9, 1, v6
	v_and_b32_e32 v5, 0xffff, v5
	;; [unrolled: 1-line block ×3, first 2 shown]
	v_cmp_eq_u32_e64 s1, 1, v8
	v_cmp_eq_u32_e64 s2, 1, v9
	s_and_b32 s0, s1, s0
	s_mov_b32 s1, exec_lo
	v_cndmask_b32_e64 v8, v2, v4, s0
	v_cndmask_b32_e64 v9, v1, v3, s0
	v_cmp_ne_u32_e64 s0, 31, v7
	v_cndmask_b32_e64 v5, v5, 1, s2
	v_cndmask_b32_e64 v4, v4, v8, s2
	;; [unrolled: 1-line block ×3, first 2 shown]
	v_add_co_ci_u32_e64 v10, null, 0, v7, s0
	v_cndmask_b32_e32 v8, v6, v5, vcc_lo
	v_cndmask_b32_e32 v2, v2, v4, vcc_lo
	;; [unrolled: 1-line block ×3, first 2 shown]
	v_lshlrev_b32_e32 v9, 2, v10
	v_and_b32_e32 v5, 0xe0, v0
	s_min_u32 s0, s22, 0x100
	ds_bpermute_b32 v6, v9, v8
	ds_bpermute_b32 v3, v9, v1
	;; [unrolled: 1-line block ×3, first 2 shown]
	v_sub_nc_u32_e64 v5, s0, v5 clamp
	v_add_nc_u32_e32 v9, 1, v7
	v_cmpx_lt_u32_e64 v9, v5
	s_cbranch_execz .LBB589_29
; %bb.24:
	s_waitcnt lgkmcnt(2)
	v_and_b32_e32 v9, v8, v6
	s_mov_b32 s2, exec_lo
	v_cmpx_ne_u32_e32 0, v9
	s_xor_b32 s2, exec_lo, s2
	s_cbranch_execz .LBB589_26
; %bb.25:
	s_waitcnt lgkmcnt(0)
	v_cmp_lt_i64_e32 vcc_lo, v[3:4], v[1:2]
                                        ; implicit-def: $vgpr8
                                        ; implicit-def: $vgpr6
	v_cndmask_b32_e32 v2, v2, v4, vcc_lo
	v_cndmask_b32_e32 v1, v1, v3, vcc_lo
                                        ; implicit-def: $vgpr3_vgpr4
.LBB589_26:
	s_or_saveexec_b32 s2, s2
	v_mov_b32_e32 v9, 1
	s_xor_b32 exec_lo, exec_lo, s2
	s_cbranch_execz .LBB589_28
; %bb.27:
	v_and_b32_e32 v8, 1, v8
	v_and_b32_e32 v6, 0xff, v6
	v_cmp_eq_u32_e32 vcc_lo, 1, v8
	s_waitcnt lgkmcnt(0)
	v_cndmask_b32_e32 v2, v4, v2, vcc_lo
	v_cndmask_b32_e32 v1, v3, v1, vcc_lo
	v_cndmask_b32_e64 v9, v6, 1, vcc_lo
.LBB589_28:
	s_or_b32 exec_lo, exec_lo, s2
	v_mov_b32_e32 v8, v9
.LBB589_29:
	s_or_b32 exec_lo, exec_lo, s1
	v_cmp_gt_u32_e32 vcc_lo, 30, v7
	v_add_nc_u32_e32 v9, 2, v7
	s_mov_b32 s1, exec_lo
	s_waitcnt lgkmcnt(1)
	v_cndmask_b32_e64 v3, 0, 2, vcc_lo
	s_waitcnt lgkmcnt(0)
	v_add_lshl_u32 v4, v3, v7, 2
	ds_bpermute_b32 v6, v4, v8
	ds_bpermute_b32 v3, v4, v1
	ds_bpermute_b32 v4, v4, v2
	v_cmpx_lt_u32_e64 v9, v5
	s_cbranch_execz .LBB589_35
; %bb.30:
	s_waitcnt lgkmcnt(2)
	v_and_b32_e32 v9, v8, v6
	s_mov_b32 s2, exec_lo
	v_and_b32_e32 v9, 1, v9
	v_cmpx_eq_u32_e32 1, v9
	s_xor_b32 s2, exec_lo, s2
	s_cbranch_execz .LBB589_32
; %bb.31:
	s_waitcnt lgkmcnt(0)
	v_cmp_lt_i64_e32 vcc_lo, v[3:4], v[1:2]
                                        ; implicit-def: $vgpr8
                                        ; implicit-def: $vgpr6
	v_cndmask_b32_e32 v2, v2, v4, vcc_lo
	v_cndmask_b32_e32 v1, v1, v3, vcc_lo
                                        ; implicit-def: $vgpr3_vgpr4
.LBB589_32:
	s_or_saveexec_b32 s2, s2
	v_mov_b32_e32 v9, 1
	s_xor_b32 exec_lo, exec_lo, s2
	s_cbranch_execz .LBB589_34
; %bb.33:
	v_and_b32_e32 v8, 1, v8
	v_and_b32_e32 v6, 0xff, v6
	v_cmp_eq_u32_e32 vcc_lo, 1, v8
	s_waitcnt lgkmcnt(0)
	v_cndmask_b32_e32 v2, v4, v2, vcc_lo
	v_cndmask_b32_e32 v1, v3, v1, vcc_lo
	v_cndmask_b32_e64 v9, v6, 1, vcc_lo
.LBB589_34:
	s_or_b32 exec_lo, exec_lo, s2
	v_mov_b32_e32 v8, v9
.LBB589_35:
	s_or_b32 exec_lo, exec_lo, s1
	v_cmp_gt_u32_e32 vcc_lo, 28, v7
	v_add_nc_u32_e32 v9, 4, v7
	s_mov_b32 s1, exec_lo
	s_waitcnt lgkmcnt(1)
	v_cndmask_b32_e64 v3, 0, 4, vcc_lo
	s_waitcnt lgkmcnt(0)
	v_add_lshl_u32 v4, v3, v7, 2
	ds_bpermute_b32 v6, v4, v8
	ds_bpermute_b32 v3, v4, v1
	ds_bpermute_b32 v4, v4, v2
	v_cmpx_lt_u32_e64 v9, v5
	s_cbranch_execz .LBB589_41
; %bb.36:
	s_waitcnt lgkmcnt(2)
	v_and_b32_e32 v9, v8, v6
	s_mov_b32 s2, exec_lo
	v_and_b32_e32 v9, 1, v9
	v_cmpx_eq_u32_e32 1, v9
	s_xor_b32 s2, exec_lo, s2
	s_cbranch_execz .LBB589_38
; %bb.37:
	s_waitcnt lgkmcnt(0)
	v_cmp_lt_i64_e32 vcc_lo, v[3:4], v[1:2]
                                        ; implicit-def: $vgpr8
                                        ; implicit-def: $vgpr6
	v_cndmask_b32_e32 v2, v2, v4, vcc_lo
	v_cndmask_b32_e32 v1, v1, v3, vcc_lo
                                        ; implicit-def: $vgpr3_vgpr4
.LBB589_38:
	s_or_saveexec_b32 s2, s2
	v_mov_b32_e32 v9, 1
	s_xor_b32 exec_lo, exec_lo, s2
	s_cbranch_execz .LBB589_40
; %bb.39:
	v_and_b32_e32 v8, 1, v8
	v_and_b32_e32 v6, 0xff, v6
	v_cmp_eq_u32_e32 vcc_lo, 1, v8
	s_waitcnt lgkmcnt(0)
	v_cndmask_b32_e32 v2, v4, v2, vcc_lo
	v_cndmask_b32_e32 v1, v3, v1, vcc_lo
	v_cndmask_b32_e64 v9, v6, 1, vcc_lo
.LBB589_40:
	s_or_b32 exec_lo, exec_lo, s2
	v_mov_b32_e32 v8, v9
.LBB589_41:
	;; [unrolled: 46-line block ×3, first 2 shown]
	s_or_b32 exec_lo, exec_lo, s1
	s_waitcnt lgkmcnt(2)
	v_lshlrev_b32_e32 v6, 2, v7
	v_add_nc_u32_e32 v10, 16, v7
	s_waitcnt lgkmcnt(0)
	v_or_b32_e32 v4, 64, v6
	v_cmp_lt_u32_e32 vcc_lo, v10, v5
	v_mov_b32_e32 v5, v8
	ds_bpermute_b32 v9, v4, v8
	ds_bpermute_b32 v3, v4, v1
	;; [unrolled: 1-line block ×3, first 2 shown]
	s_and_saveexec_b32 s1, vcc_lo
	s_cbranch_execz .LBB589_53
; %bb.48:
	s_waitcnt lgkmcnt(2)
	v_and_b32_e32 v5, v8, v9
	s_mov_b32 s2, exec_lo
	v_and_b32_e32 v5, 1, v5
	v_cmpx_eq_u32_e32 1, v5
	s_xor_b32 s2, exec_lo, s2
	s_cbranch_execz .LBB589_50
; %bb.49:
	s_waitcnt lgkmcnt(0)
	v_cmp_lt_i64_e32 vcc_lo, v[3:4], v[1:2]
                                        ; implicit-def: $vgpr8
                                        ; implicit-def: $vgpr9
	v_cndmask_b32_e32 v2, v2, v4, vcc_lo
	v_cndmask_b32_e32 v1, v1, v3, vcc_lo
                                        ; implicit-def: $vgpr3_vgpr4
.LBB589_50:
	s_or_saveexec_b32 s2, s2
	v_mov_b32_e32 v5, 1
	s_xor_b32 exec_lo, exec_lo, s2
	s_cbranch_execz .LBB589_52
; %bb.51:
	v_and_b32_e32 v5, 1, v8
	v_cmp_eq_u32_e32 vcc_lo, 1, v5
	v_cndmask_b32_e64 v5, v9, 1, vcc_lo
	s_waitcnt lgkmcnt(0)
	v_cndmask_b32_e32 v2, v4, v2, vcc_lo
	v_cndmask_b32_e32 v1, v3, v1, vcc_lo
.LBB589_52:
	s_or_b32 exec_lo, exec_lo, s2
	v_and_b32_e32 v8, 0xff, v5
.LBB589_53:
	s_or_b32 exec_lo, exec_lo, s1
	s_mov_b32 s1, exec_lo
	v_cmpx_eq_u32_e32 0, v7
	s_cbranch_execz .LBB589_55
; %bb.54:
	s_waitcnt lgkmcnt(1)
	v_lshrrev_b32_e32 v3, 1, v0
	v_and_b32_e32 v3, 0x70, v3
	ds_write_b8 v3, v5 offset:128
	ds_write_b64 v3, v[1:2] offset:136
.LBB589_55:
	s_or_b32 exec_lo, exec_lo, s1
	s_mov_b32 s1, exec_lo
	s_waitcnt lgkmcnt(0)
	s_barrier
	buffer_gl0_inv
	v_cmpx_gt_u32_e32 8, v0
	s_cbranch_execz .LBB589_75
; %bb.56:
	v_lshlrev_b32_e32 v1, 4, v7
	v_and_b32_e32 v5, 7, v7
	s_add_i32 s0, s0, 31
	s_mov_b32 s2, exec_lo
	s_lshr_b32 s0, s0, 5
	ds_read_u8 v9, v1 offset:128
	ds_read_b64 v[1:2], v1 offset:136
	v_cmp_ne_u32_e32 vcc_lo, 7, v5
	v_add_nc_u32_e32 v11, 1, v5
	v_add_co_ci_u32_e64 v3, null, 0, v7, vcc_lo
	v_lshlrev_b32_e32 v4, 2, v3
	s_waitcnt lgkmcnt(1)
	v_and_b32_e32 v8, 0xff, v9
	s_waitcnt lgkmcnt(0)
	ds_bpermute_b32 v3, v4, v1
	ds_bpermute_b32 v10, v4, v8
	;; [unrolled: 1-line block ×3, first 2 shown]
	v_cmpx_gt_u32_e64 s0, v11
	s_cbranch_execz .LBB589_62
; %bb.57:
	s_waitcnt lgkmcnt(1)
	v_and_b32_e32 v8, v8, v10
	s_mov_b32 s3, exec_lo
	v_and_b32_e32 v8, 1, v8
	v_cmpx_eq_u32_e32 1, v8
	s_xor_b32 s3, exec_lo, s3
	s_cbranch_execz .LBB589_59
; %bb.58:
	s_waitcnt lgkmcnt(0)
	v_cmp_lt_i64_e32 vcc_lo, v[3:4], v[1:2]
                                        ; implicit-def: $vgpr9
                                        ; implicit-def: $vgpr10
	v_cndmask_b32_e32 v2, v2, v4, vcc_lo
	v_cndmask_b32_e32 v1, v1, v3, vcc_lo
                                        ; implicit-def: $vgpr3_vgpr4
.LBB589_59:
	s_or_saveexec_b32 s3, s3
	v_mov_b32_e32 v8, 1
	s_xor_b32 exec_lo, exec_lo, s3
	s_cbranch_execz .LBB589_61
; %bb.60:
	v_and_b32_e32 v8, 1, v9
	v_cmp_eq_u32_e32 vcc_lo, 1, v8
	v_and_b32_e32 v8, 0xff, v10
	s_waitcnt lgkmcnt(0)
	v_cndmask_b32_e32 v2, v4, v2, vcc_lo
	v_cndmask_b32_e32 v1, v3, v1, vcc_lo
	v_cndmask_b32_e64 v8, v8, 1, vcc_lo
.LBB589_61:
	s_or_b32 exec_lo, exec_lo, s3
.LBB589_62:
	s_or_b32 exec_lo, exec_lo, s2
	v_cmp_gt_u32_e32 vcc_lo, 6, v5
	v_add_nc_u32_e32 v9, 2, v5
	s_mov_b32 s2, exec_lo
	s_waitcnt lgkmcnt(2)
	v_cndmask_b32_e64 v3, 0, 2, vcc_lo
	s_waitcnt lgkmcnt(0)
	v_add_lshl_u32 v4, v3, v7, 2
	ds_bpermute_b32 v7, v4, v8
	ds_bpermute_b32 v3, v4, v1
	;; [unrolled: 1-line block ×3, first 2 shown]
	v_cmpx_gt_u32_e64 s0, v9
	s_cbranch_execz .LBB589_68
; %bb.63:
	s_waitcnt lgkmcnt(2)
	v_and_b32_e32 v9, v8, v7
	s_mov_b32 s3, exec_lo
	v_and_b32_e32 v9, 1, v9
	v_cmpx_eq_u32_e32 1, v9
	s_xor_b32 s3, exec_lo, s3
	s_cbranch_execz .LBB589_65
; %bb.64:
	s_waitcnt lgkmcnt(0)
	v_cmp_lt_i64_e32 vcc_lo, v[3:4], v[1:2]
                                        ; implicit-def: $vgpr8
                                        ; implicit-def: $vgpr7
	v_cndmask_b32_e32 v2, v2, v4, vcc_lo
	v_cndmask_b32_e32 v1, v1, v3, vcc_lo
                                        ; implicit-def: $vgpr3_vgpr4
.LBB589_65:
	s_or_saveexec_b32 s3, s3
	v_mov_b32_e32 v9, 1
	s_xor_b32 exec_lo, exec_lo, s3
	s_cbranch_execz .LBB589_67
; %bb.66:
	v_and_b32_e32 v8, 1, v8
	v_and_b32_e32 v7, 0xff, v7
	v_cmp_eq_u32_e32 vcc_lo, 1, v8
	s_waitcnt lgkmcnt(0)
	v_cndmask_b32_e32 v2, v4, v2, vcc_lo
	v_cndmask_b32_e32 v1, v3, v1, vcc_lo
	v_cndmask_b32_e64 v9, v7, 1, vcc_lo
.LBB589_67:
	s_or_b32 exec_lo, exec_lo, s3
	v_mov_b32_e32 v8, v9
.LBB589_68:
	s_or_b32 exec_lo, exec_lo, s2
	s_waitcnt lgkmcnt(0)
	v_or_b32_e32 v4, 16, v6
	v_add_nc_u32_e32 v5, 4, v5
	ds_bpermute_b32 v6, v4, v8
	ds_bpermute_b32 v3, v4, v1
	ds_bpermute_b32 v4, v4, v2
	v_cmp_gt_u32_e32 vcc_lo, s0, v5
	s_and_saveexec_b32 s0, vcc_lo
	s_cbranch_execz .LBB589_74
; %bb.69:
	s_waitcnt lgkmcnt(2)
	v_and_b32_e32 v5, v8, v6
	s_mov_b32 s2, exec_lo
	v_and_b32_e32 v5, 1, v5
	v_cmpx_eq_u32_e32 1, v5
	s_xor_b32 s2, exec_lo, s2
	s_cbranch_execz .LBB589_71
; %bb.70:
	s_waitcnt lgkmcnt(0)
	v_cmp_lt_i64_e32 vcc_lo, v[3:4], v[1:2]
                                        ; implicit-def: $vgpr8
                                        ; implicit-def: $vgpr6
	v_cndmask_b32_e32 v2, v2, v4, vcc_lo
	v_cndmask_b32_e32 v1, v1, v3, vcc_lo
                                        ; implicit-def: $vgpr3_vgpr4
.LBB589_71:
	s_or_saveexec_b32 s2, s2
	v_mov_b32_e32 v5, 1
	s_xor_b32 exec_lo, exec_lo, s2
	s_cbranch_execz .LBB589_73
; %bb.72:
	v_and_b32_e32 v5, 1, v8
	v_cmp_eq_u32_e32 vcc_lo, 1, v5
	s_waitcnt lgkmcnt(0)
	v_cndmask_b32_e32 v2, v4, v2, vcc_lo
	v_cndmask_b32_e32 v1, v3, v1, vcc_lo
	v_cndmask_b32_e64 v5, v6, 1, vcc_lo
.LBB589_73:
	s_or_b32 exec_lo, exec_lo, s2
	v_mov_b32_e32 v8, v5
.LBB589_74:
	s_or_b32 exec_lo, exec_lo, s0
.LBB589_75:
	s_or_b32 exec_lo, exec_lo, s1
.LBB589_76:
	s_load_dword s0, s[4:5], 0x50
	s_mov_b32 s1, exec_lo
	v_cmpx_eq_u32_e32 0, v0
	s_cbranch_execz .LBB589_78
; %bb.77:
	s_mul_i32 s1, s18, s17
	s_mul_hi_u32 s2, s18, s16
	s_mul_i32 s3, s19, s16
	s_add_i32 s1, s2, s1
	s_mul_i32 s2, s18, s16
	s_add_i32 s3, s1, s3
	v_mov_b32_e32 v0, 0
	s_lshl_b64 s[2:3], s[2:3], 4
	s_add_u32 s1, s14, s2
	s_addc_u32 s4, s15, s3
	s_cmp_eq_u64 s[12:13], 0
	s_cselect_b32 s5, -1, 0
	s_lshl_b64 s[2:3], s[6:7], 4
	s_waitcnt lgkmcnt(0)
	v_cndmask_b32_e64 v3, v8, s0, s5
	v_cndmask_b32_e64 v2, v2, s9, s5
	v_cndmask_b32_e64 v1, v1, s8, s5
	s_add_u32 s0, s1, s2
	s_addc_u32 s1, s4, s3
	global_store_byte v0, v3, s[0:1]
	global_store_dwordx2 v0, v[1:2], s[0:1] offset:8
.LBB589_78:
	s_endpgm
	.section	.rodata,"a",@progbits
	.p2align	6, 0x0
	.amdhsa_kernel _ZN7rocprim17ROCPRIM_400000_NS6detail17trampoline_kernelINS0_14default_configENS1_22reduce_config_selectorIN6thrust23THRUST_200600_302600_NS5tupleIblNS6_9null_typeES8_S8_S8_S8_S8_S8_S8_EEEEZNS1_11reduce_implILb1ES3_NS6_12zip_iteratorINS7_INS6_11hip_rocprim26transform_input_iterator_tIbNSD_35transform_pair_of_input_iterators_tIbNS6_6detail15normal_iteratorINS6_10device_ptrIKsEEEESL_NS6_8equal_toIsEEEENSG_9not_fun_tINSD_8identityEEEEENSD_19counting_iterator_tIlEES8_S8_S8_S8_S8_S8_S8_S8_EEEEPS9_S9_NSD_9__find_if7functorIS9_EEEE10hipError_tPvRmT1_T2_T3_mT4_P12ihipStream_tbEUlT_E0_NS1_11comp_targetILNS1_3genE8ELNS1_11target_archE1030ELNS1_3gpuE2ELNS1_3repE0EEENS1_30default_config_static_selectorELNS0_4arch9wavefront6targetE0EEEvS14_
		.amdhsa_group_segment_fixed_size 256
		.amdhsa_private_segment_fixed_size 0
		.amdhsa_kernarg_size 104
		.amdhsa_user_sgpr_count 6
		.amdhsa_user_sgpr_private_segment_buffer 1
		.amdhsa_user_sgpr_dispatch_ptr 0
		.amdhsa_user_sgpr_queue_ptr 0
		.amdhsa_user_sgpr_kernarg_segment_ptr 1
		.amdhsa_user_sgpr_dispatch_id 0
		.amdhsa_user_sgpr_flat_scratch_init 0
		.amdhsa_user_sgpr_private_segment_size 0
		.amdhsa_wavefront_size32 1
		.amdhsa_uses_dynamic_stack 0
		.amdhsa_system_sgpr_private_segment_wavefront_offset 0
		.amdhsa_system_sgpr_workgroup_id_x 1
		.amdhsa_system_sgpr_workgroup_id_y 0
		.amdhsa_system_sgpr_workgroup_id_z 0
		.amdhsa_system_sgpr_workgroup_info 0
		.amdhsa_system_vgpr_workitem_id 0
		.amdhsa_next_free_vgpr 13
		.amdhsa_next_free_sgpr 28
		.amdhsa_reserve_vcc 1
		.amdhsa_reserve_flat_scratch 0
		.amdhsa_float_round_mode_32 0
		.amdhsa_float_round_mode_16_64 0
		.amdhsa_float_denorm_mode_32 3
		.amdhsa_float_denorm_mode_16_64 3
		.amdhsa_dx10_clamp 1
		.amdhsa_ieee_mode 1
		.amdhsa_fp16_overflow 0
		.amdhsa_workgroup_processor_mode 1
		.amdhsa_memory_ordered 1
		.amdhsa_forward_progress 1
		.amdhsa_shared_vgpr_count 0
		.amdhsa_exception_fp_ieee_invalid_op 0
		.amdhsa_exception_fp_denorm_src 0
		.amdhsa_exception_fp_ieee_div_zero 0
		.amdhsa_exception_fp_ieee_overflow 0
		.amdhsa_exception_fp_ieee_underflow 0
		.amdhsa_exception_fp_ieee_inexact 0
		.amdhsa_exception_int_div_zero 0
	.end_amdhsa_kernel
	.section	.text._ZN7rocprim17ROCPRIM_400000_NS6detail17trampoline_kernelINS0_14default_configENS1_22reduce_config_selectorIN6thrust23THRUST_200600_302600_NS5tupleIblNS6_9null_typeES8_S8_S8_S8_S8_S8_S8_EEEEZNS1_11reduce_implILb1ES3_NS6_12zip_iteratorINS7_INS6_11hip_rocprim26transform_input_iterator_tIbNSD_35transform_pair_of_input_iterators_tIbNS6_6detail15normal_iteratorINS6_10device_ptrIKsEEEESL_NS6_8equal_toIsEEEENSG_9not_fun_tINSD_8identityEEEEENSD_19counting_iterator_tIlEES8_S8_S8_S8_S8_S8_S8_S8_EEEEPS9_S9_NSD_9__find_if7functorIS9_EEEE10hipError_tPvRmT1_T2_T3_mT4_P12ihipStream_tbEUlT_E0_NS1_11comp_targetILNS1_3genE8ELNS1_11target_archE1030ELNS1_3gpuE2ELNS1_3repE0EEENS1_30default_config_static_selectorELNS0_4arch9wavefront6targetE0EEEvS14_,"axG",@progbits,_ZN7rocprim17ROCPRIM_400000_NS6detail17trampoline_kernelINS0_14default_configENS1_22reduce_config_selectorIN6thrust23THRUST_200600_302600_NS5tupleIblNS6_9null_typeES8_S8_S8_S8_S8_S8_S8_EEEEZNS1_11reduce_implILb1ES3_NS6_12zip_iteratorINS7_INS6_11hip_rocprim26transform_input_iterator_tIbNSD_35transform_pair_of_input_iterators_tIbNS6_6detail15normal_iteratorINS6_10device_ptrIKsEEEESL_NS6_8equal_toIsEEEENSG_9not_fun_tINSD_8identityEEEEENSD_19counting_iterator_tIlEES8_S8_S8_S8_S8_S8_S8_S8_EEEEPS9_S9_NSD_9__find_if7functorIS9_EEEE10hipError_tPvRmT1_T2_T3_mT4_P12ihipStream_tbEUlT_E0_NS1_11comp_targetILNS1_3genE8ELNS1_11target_archE1030ELNS1_3gpuE2ELNS1_3repE0EEENS1_30default_config_static_selectorELNS0_4arch9wavefront6targetE0EEEvS14_,comdat
.Lfunc_end589:
	.size	_ZN7rocprim17ROCPRIM_400000_NS6detail17trampoline_kernelINS0_14default_configENS1_22reduce_config_selectorIN6thrust23THRUST_200600_302600_NS5tupleIblNS6_9null_typeES8_S8_S8_S8_S8_S8_S8_EEEEZNS1_11reduce_implILb1ES3_NS6_12zip_iteratorINS7_INS6_11hip_rocprim26transform_input_iterator_tIbNSD_35transform_pair_of_input_iterators_tIbNS6_6detail15normal_iteratorINS6_10device_ptrIKsEEEESL_NS6_8equal_toIsEEEENSG_9not_fun_tINSD_8identityEEEEENSD_19counting_iterator_tIlEES8_S8_S8_S8_S8_S8_S8_S8_EEEEPS9_S9_NSD_9__find_if7functorIS9_EEEE10hipError_tPvRmT1_T2_T3_mT4_P12ihipStream_tbEUlT_E0_NS1_11comp_targetILNS1_3genE8ELNS1_11target_archE1030ELNS1_3gpuE2ELNS1_3repE0EEENS1_30default_config_static_selectorELNS0_4arch9wavefront6targetE0EEEvS14_, .Lfunc_end589-_ZN7rocprim17ROCPRIM_400000_NS6detail17trampoline_kernelINS0_14default_configENS1_22reduce_config_selectorIN6thrust23THRUST_200600_302600_NS5tupleIblNS6_9null_typeES8_S8_S8_S8_S8_S8_S8_EEEEZNS1_11reduce_implILb1ES3_NS6_12zip_iteratorINS7_INS6_11hip_rocprim26transform_input_iterator_tIbNSD_35transform_pair_of_input_iterators_tIbNS6_6detail15normal_iteratorINS6_10device_ptrIKsEEEESL_NS6_8equal_toIsEEEENSG_9not_fun_tINSD_8identityEEEEENSD_19counting_iterator_tIlEES8_S8_S8_S8_S8_S8_S8_S8_EEEEPS9_S9_NSD_9__find_if7functorIS9_EEEE10hipError_tPvRmT1_T2_T3_mT4_P12ihipStream_tbEUlT_E0_NS1_11comp_targetILNS1_3genE8ELNS1_11target_archE1030ELNS1_3gpuE2ELNS1_3repE0EEENS1_30default_config_static_selectorELNS0_4arch9wavefront6targetE0EEEvS14_
                                        ; -- End function
	.set _ZN7rocprim17ROCPRIM_400000_NS6detail17trampoline_kernelINS0_14default_configENS1_22reduce_config_selectorIN6thrust23THRUST_200600_302600_NS5tupleIblNS6_9null_typeES8_S8_S8_S8_S8_S8_S8_EEEEZNS1_11reduce_implILb1ES3_NS6_12zip_iteratorINS7_INS6_11hip_rocprim26transform_input_iterator_tIbNSD_35transform_pair_of_input_iterators_tIbNS6_6detail15normal_iteratorINS6_10device_ptrIKsEEEESL_NS6_8equal_toIsEEEENSG_9not_fun_tINSD_8identityEEEEENSD_19counting_iterator_tIlEES8_S8_S8_S8_S8_S8_S8_S8_EEEEPS9_S9_NSD_9__find_if7functorIS9_EEEE10hipError_tPvRmT1_T2_T3_mT4_P12ihipStream_tbEUlT_E0_NS1_11comp_targetILNS1_3genE8ELNS1_11target_archE1030ELNS1_3gpuE2ELNS1_3repE0EEENS1_30default_config_static_selectorELNS0_4arch9wavefront6targetE0EEEvS14_.num_vgpr, 13
	.set _ZN7rocprim17ROCPRIM_400000_NS6detail17trampoline_kernelINS0_14default_configENS1_22reduce_config_selectorIN6thrust23THRUST_200600_302600_NS5tupleIblNS6_9null_typeES8_S8_S8_S8_S8_S8_S8_EEEEZNS1_11reduce_implILb1ES3_NS6_12zip_iteratorINS7_INS6_11hip_rocprim26transform_input_iterator_tIbNSD_35transform_pair_of_input_iterators_tIbNS6_6detail15normal_iteratorINS6_10device_ptrIKsEEEESL_NS6_8equal_toIsEEEENSG_9not_fun_tINSD_8identityEEEEENSD_19counting_iterator_tIlEES8_S8_S8_S8_S8_S8_S8_S8_EEEEPS9_S9_NSD_9__find_if7functorIS9_EEEE10hipError_tPvRmT1_T2_T3_mT4_P12ihipStream_tbEUlT_E0_NS1_11comp_targetILNS1_3genE8ELNS1_11target_archE1030ELNS1_3gpuE2ELNS1_3repE0EEENS1_30default_config_static_selectorELNS0_4arch9wavefront6targetE0EEEvS14_.num_agpr, 0
	.set _ZN7rocprim17ROCPRIM_400000_NS6detail17trampoline_kernelINS0_14default_configENS1_22reduce_config_selectorIN6thrust23THRUST_200600_302600_NS5tupleIblNS6_9null_typeES8_S8_S8_S8_S8_S8_S8_EEEEZNS1_11reduce_implILb1ES3_NS6_12zip_iteratorINS7_INS6_11hip_rocprim26transform_input_iterator_tIbNSD_35transform_pair_of_input_iterators_tIbNS6_6detail15normal_iteratorINS6_10device_ptrIKsEEEESL_NS6_8equal_toIsEEEENSG_9not_fun_tINSD_8identityEEEEENSD_19counting_iterator_tIlEES8_S8_S8_S8_S8_S8_S8_S8_EEEEPS9_S9_NSD_9__find_if7functorIS9_EEEE10hipError_tPvRmT1_T2_T3_mT4_P12ihipStream_tbEUlT_E0_NS1_11comp_targetILNS1_3genE8ELNS1_11target_archE1030ELNS1_3gpuE2ELNS1_3repE0EEENS1_30default_config_static_selectorELNS0_4arch9wavefront6targetE0EEEvS14_.numbered_sgpr, 28
	.set _ZN7rocprim17ROCPRIM_400000_NS6detail17trampoline_kernelINS0_14default_configENS1_22reduce_config_selectorIN6thrust23THRUST_200600_302600_NS5tupleIblNS6_9null_typeES8_S8_S8_S8_S8_S8_S8_EEEEZNS1_11reduce_implILb1ES3_NS6_12zip_iteratorINS7_INS6_11hip_rocprim26transform_input_iterator_tIbNSD_35transform_pair_of_input_iterators_tIbNS6_6detail15normal_iteratorINS6_10device_ptrIKsEEEESL_NS6_8equal_toIsEEEENSG_9not_fun_tINSD_8identityEEEEENSD_19counting_iterator_tIlEES8_S8_S8_S8_S8_S8_S8_S8_EEEEPS9_S9_NSD_9__find_if7functorIS9_EEEE10hipError_tPvRmT1_T2_T3_mT4_P12ihipStream_tbEUlT_E0_NS1_11comp_targetILNS1_3genE8ELNS1_11target_archE1030ELNS1_3gpuE2ELNS1_3repE0EEENS1_30default_config_static_selectorELNS0_4arch9wavefront6targetE0EEEvS14_.num_named_barrier, 0
	.set _ZN7rocprim17ROCPRIM_400000_NS6detail17trampoline_kernelINS0_14default_configENS1_22reduce_config_selectorIN6thrust23THRUST_200600_302600_NS5tupleIblNS6_9null_typeES8_S8_S8_S8_S8_S8_S8_EEEEZNS1_11reduce_implILb1ES3_NS6_12zip_iteratorINS7_INS6_11hip_rocprim26transform_input_iterator_tIbNSD_35transform_pair_of_input_iterators_tIbNS6_6detail15normal_iteratorINS6_10device_ptrIKsEEEESL_NS6_8equal_toIsEEEENSG_9not_fun_tINSD_8identityEEEEENSD_19counting_iterator_tIlEES8_S8_S8_S8_S8_S8_S8_S8_EEEEPS9_S9_NSD_9__find_if7functorIS9_EEEE10hipError_tPvRmT1_T2_T3_mT4_P12ihipStream_tbEUlT_E0_NS1_11comp_targetILNS1_3genE8ELNS1_11target_archE1030ELNS1_3gpuE2ELNS1_3repE0EEENS1_30default_config_static_selectorELNS0_4arch9wavefront6targetE0EEEvS14_.private_seg_size, 0
	.set _ZN7rocprim17ROCPRIM_400000_NS6detail17trampoline_kernelINS0_14default_configENS1_22reduce_config_selectorIN6thrust23THRUST_200600_302600_NS5tupleIblNS6_9null_typeES8_S8_S8_S8_S8_S8_S8_EEEEZNS1_11reduce_implILb1ES3_NS6_12zip_iteratorINS7_INS6_11hip_rocprim26transform_input_iterator_tIbNSD_35transform_pair_of_input_iterators_tIbNS6_6detail15normal_iteratorINS6_10device_ptrIKsEEEESL_NS6_8equal_toIsEEEENSG_9not_fun_tINSD_8identityEEEEENSD_19counting_iterator_tIlEES8_S8_S8_S8_S8_S8_S8_S8_EEEEPS9_S9_NSD_9__find_if7functorIS9_EEEE10hipError_tPvRmT1_T2_T3_mT4_P12ihipStream_tbEUlT_E0_NS1_11comp_targetILNS1_3genE8ELNS1_11target_archE1030ELNS1_3gpuE2ELNS1_3repE0EEENS1_30default_config_static_selectorELNS0_4arch9wavefront6targetE0EEEvS14_.uses_vcc, 1
	.set _ZN7rocprim17ROCPRIM_400000_NS6detail17trampoline_kernelINS0_14default_configENS1_22reduce_config_selectorIN6thrust23THRUST_200600_302600_NS5tupleIblNS6_9null_typeES8_S8_S8_S8_S8_S8_S8_EEEEZNS1_11reduce_implILb1ES3_NS6_12zip_iteratorINS7_INS6_11hip_rocprim26transform_input_iterator_tIbNSD_35transform_pair_of_input_iterators_tIbNS6_6detail15normal_iteratorINS6_10device_ptrIKsEEEESL_NS6_8equal_toIsEEEENSG_9not_fun_tINSD_8identityEEEEENSD_19counting_iterator_tIlEES8_S8_S8_S8_S8_S8_S8_S8_EEEEPS9_S9_NSD_9__find_if7functorIS9_EEEE10hipError_tPvRmT1_T2_T3_mT4_P12ihipStream_tbEUlT_E0_NS1_11comp_targetILNS1_3genE8ELNS1_11target_archE1030ELNS1_3gpuE2ELNS1_3repE0EEENS1_30default_config_static_selectorELNS0_4arch9wavefront6targetE0EEEvS14_.uses_flat_scratch, 0
	.set _ZN7rocprim17ROCPRIM_400000_NS6detail17trampoline_kernelINS0_14default_configENS1_22reduce_config_selectorIN6thrust23THRUST_200600_302600_NS5tupleIblNS6_9null_typeES8_S8_S8_S8_S8_S8_S8_EEEEZNS1_11reduce_implILb1ES3_NS6_12zip_iteratorINS7_INS6_11hip_rocprim26transform_input_iterator_tIbNSD_35transform_pair_of_input_iterators_tIbNS6_6detail15normal_iteratorINS6_10device_ptrIKsEEEESL_NS6_8equal_toIsEEEENSG_9not_fun_tINSD_8identityEEEEENSD_19counting_iterator_tIlEES8_S8_S8_S8_S8_S8_S8_S8_EEEEPS9_S9_NSD_9__find_if7functorIS9_EEEE10hipError_tPvRmT1_T2_T3_mT4_P12ihipStream_tbEUlT_E0_NS1_11comp_targetILNS1_3genE8ELNS1_11target_archE1030ELNS1_3gpuE2ELNS1_3repE0EEENS1_30default_config_static_selectorELNS0_4arch9wavefront6targetE0EEEvS14_.has_dyn_sized_stack, 0
	.set _ZN7rocprim17ROCPRIM_400000_NS6detail17trampoline_kernelINS0_14default_configENS1_22reduce_config_selectorIN6thrust23THRUST_200600_302600_NS5tupleIblNS6_9null_typeES8_S8_S8_S8_S8_S8_S8_EEEEZNS1_11reduce_implILb1ES3_NS6_12zip_iteratorINS7_INS6_11hip_rocprim26transform_input_iterator_tIbNSD_35transform_pair_of_input_iterators_tIbNS6_6detail15normal_iteratorINS6_10device_ptrIKsEEEESL_NS6_8equal_toIsEEEENSG_9not_fun_tINSD_8identityEEEEENSD_19counting_iterator_tIlEES8_S8_S8_S8_S8_S8_S8_S8_EEEEPS9_S9_NSD_9__find_if7functorIS9_EEEE10hipError_tPvRmT1_T2_T3_mT4_P12ihipStream_tbEUlT_E0_NS1_11comp_targetILNS1_3genE8ELNS1_11target_archE1030ELNS1_3gpuE2ELNS1_3repE0EEENS1_30default_config_static_selectorELNS0_4arch9wavefront6targetE0EEEvS14_.has_recursion, 0
	.set _ZN7rocprim17ROCPRIM_400000_NS6detail17trampoline_kernelINS0_14default_configENS1_22reduce_config_selectorIN6thrust23THRUST_200600_302600_NS5tupleIblNS6_9null_typeES8_S8_S8_S8_S8_S8_S8_EEEEZNS1_11reduce_implILb1ES3_NS6_12zip_iteratorINS7_INS6_11hip_rocprim26transform_input_iterator_tIbNSD_35transform_pair_of_input_iterators_tIbNS6_6detail15normal_iteratorINS6_10device_ptrIKsEEEESL_NS6_8equal_toIsEEEENSG_9not_fun_tINSD_8identityEEEEENSD_19counting_iterator_tIlEES8_S8_S8_S8_S8_S8_S8_S8_EEEEPS9_S9_NSD_9__find_if7functorIS9_EEEE10hipError_tPvRmT1_T2_T3_mT4_P12ihipStream_tbEUlT_E0_NS1_11comp_targetILNS1_3genE8ELNS1_11target_archE1030ELNS1_3gpuE2ELNS1_3repE0EEENS1_30default_config_static_selectorELNS0_4arch9wavefront6targetE0EEEvS14_.has_indirect_call, 0
	.section	.AMDGPU.csdata,"",@progbits
; Kernel info:
; codeLenInByte = 3168
; TotalNumSgprs: 30
; NumVgprs: 13
; ScratchSize: 0
; MemoryBound: 0
; FloatMode: 240
; IeeeMode: 1
; LDSByteSize: 256 bytes/workgroup (compile time only)
; SGPRBlocks: 0
; VGPRBlocks: 1
; NumSGPRsForWavesPerEU: 30
; NumVGPRsForWavesPerEU: 13
; Occupancy: 16
; WaveLimiterHint : 0
; COMPUTE_PGM_RSRC2:SCRATCH_EN: 0
; COMPUTE_PGM_RSRC2:USER_SGPR: 6
; COMPUTE_PGM_RSRC2:TRAP_HANDLER: 0
; COMPUTE_PGM_RSRC2:TGID_X_EN: 1
; COMPUTE_PGM_RSRC2:TGID_Y_EN: 0
; COMPUTE_PGM_RSRC2:TGID_Z_EN: 0
; COMPUTE_PGM_RSRC2:TIDIG_COMP_CNT: 0
	.section	.text._ZN7rocprim17ROCPRIM_400000_NS6detail17trampoline_kernelINS0_14default_configENS1_22reduce_config_selectorIN6thrust23THRUST_200600_302600_NS5tupleIblNS6_9null_typeES8_S8_S8_S8_S8_S8_S8_EEEEZNS1_11reduce_implILb1ES3_NS6_12zip_iteratorINS7_INS6_11hip_rocprim26transform_input_iterator_tIbNSD_35transform_pair_of_input_iterators_tIbNS6_6detail15normal_iteratorINS6_10device_ptrIKsEEEESL_NS6_8equal_toIsEEEENSG_9not_fun_tINSD_8identityEEEEENSD_19counting_iterator_tIlEES8_S8_S8_S8_S8_S8_S8_S8_EEEEPS9_S9_NSD_9__find_if7functorIS9_EEEE10hipError_tPvRmT1_T2_T3_mT4_P12ihipStream_tbEUlT_E1_NS1_11comp_targetILNS1_3genE0ELNS1_11target_archE4294967295ELNS1_3gpuE0ELNS1_3repE0EEENS1_30default_config_static_selectorELNS0_4arch9wavefront6targetE0EEEvS14_,"axG",@progbits,_ZN7rocprim17ROCPRIM_400000_NS6detail17trampoline_kernelINS0_14default_configENS1_22reduce_config_selectorIN6thrust23THRUST_200600_302600_NS5tupleIblNS6_9null_typeES8_S8_S8_S8_S8_S8_S8_EEEEZNS1_11reduce_implILb1ES3_NS6_12zip_iteratorINS7_INS6_11hip_rocprim26transform_input_iterator_tIbNSD_35transform_pair_of_input_iterators_tIbNS6_6detail15normal_iteratorINS6_10device_ptrIKsEEEESL_NS6_8equal_toIsEEEENSG_9not_fun_tINSD_8identityEEEEENSD_19counting_iterator_tIlEES8_S8_S8_S8_S8_S8_S8_S8_EEEEPS9_S9_NSD_9__find_if7functorIS9_EEEE10hipError_tPvRmT1_T2_T3_mT4_P12ihipStream_tbEUlT_E1_NS1_11comp_targetILNS1_3genE0ELNS1_11target_archE4294967295ELNS1_3gpuE0ELNS1_3repE0EEENS1_30default_config_static_selectorELNS0_4arch9wavefront6targetE0EEEvS14_,comdat
	.protected	_ZN7rocprim17ROCPRIM_400000_NS6detail17trampoline_kernelINS0_14default_configENS1_22reduce_config_selectorIN6thrust23THRUST_200600_302600_NS5tupleIblNS6_9null_typeES8_S8_S8_S8_S8_S8_S8_EEEEZNS1_11reduce_implILb1ES3_NS6_12zip_iteratorINS7_INS6_11hip_rocprim26transform_input_iterator_tIbNSD_35transform_pair_of_input_iterators_tIbNS6_6detail15normal_iteratorINS6_10device_ptrIKsEEEESL_NS6_8equal_toIsEEEENSG_9not_fun_tINSD_8identityEEEEENSD_19counting_iterator_tIlEES8_S8_S8_S8_S8_S8_S8_S8_EEEEPS9_S9_NSD_9__find_if7functorIS9_EEEE10hipError_tPvRmT1_T2_T3_mT4_P12ihipStream_tbEUlT_E1_NS1_11comp_targetILNS1_3genE0ELNS1_11target_archE4294967295ELNS1_3gpuE0ELNS1_3repE0EEENS1_30default_config_static_selectorELNS0_4arch9wavefront6targetE0EEEvS14_ ; -- Begin function _ZN7rocprim17ROCPRIM_400000_NS6detail17trampoline_kernelINS0_14default_configENS1_22reduce_config_selectorIN6thrust23THRUST_200600_302600_NS5tupleIblNS6_9null_typeES8_S8_S8_S8_S8_S8_S8_EEEEZNS1_11reduce_implILb1ES3_NS6_12zip_iteratorINS7_INS6_11hip_rocprim26transform_input_iterator_tIbNSD_35transform_pair_of_input_iterators_tIbNS6_6detail15normal_iteratorINS6_10device_ptrIKsEEEESL_NS6_8equal_toIsEEEENSG_9not_fun_tINSD_8identityEEEEENSD_19counting_iterator_tIlEES8_S8_S8_S8_S8_S8_S8_S8_EEEEPS9_S9_NSD_9__find_if7functorIS9_EEEE10hipError_tPvRmT1_T2_T3_mT4_P12ihipStream_tbEUlT_E1_NS1_11comp_targetILNS1_3genE0ELNS1_11target_archE4294967295ELNS1_3gpuE0ELNS1_3repE0EEENS1_30default_config_static_selectorELNS0_4arch9wavefront6targetE0EEEvS14_
	.globl	_ZN7rocprim17ROCPRIM_400000_NS6detail17trampoline_kernelINS0_14default_configENS1_22reduce_config_selectorIN6thrust23THRUST_200600_302600_NS5tupleIblNS6_9null_typeES8_S8_S8_S8_S8_S8_S8_EEEEZNS1_11reduce_implILb1ES3_NS6_12zip_iteratorINS7_INS6_11hip_rocprim26transform_input_iterator_tIbNSD_35transform_pair_of_input_iterators_tIbNS6_6detail15normal_iteratorINS6_10device_ptrIKsEEEESL_NS6_8equal_toIsEEEENSG_9not_fun_tINSD_8identityEEEEENSD_19counting_iterator_tIlEES8_S8_S8_S8_S8_S8_S8_S8_EEEEPS9_S9_NSD_9__find_if7functorIS9_EEEE10hipError_tPvRmT1_T2_T3_mT4_P12ihipStream_tbEUlT_E1_NS1_11comp_targetILNS1_3genE0ELNS1_11target_archE4294967295ELNS1_3gpuE0ELNS1_3repE0EEENS1_30default_config_static_selectorELNS0_4arch9wavefront6targetE0EEEvS14_
	.p2align	8
	.type	_ZN7rocprim17ROCPRIM_400000_NS6detail17trampoline_kernelINS0_14default_configENS1_22reduce_config_selectorIN6thrust23THRUST_200600_302600_NS5tupleIblNS6_9null_typeES8_S8_S8_S8_S8_S8_S8_EEEEZNS1_11reduce_implILb1ES3_NS6_12zip_iteratorINS7_INS6_11hip_rocprim26transform_input_iterator_tIbNSD_35transform_pair_of_input_iterators_tIbNS6_6detail15normal_iteratorINS6_10device_ptrIKsEEEESL_NS6_8equal_toIsEEEENSG_9not_fun_tINSD_8identityEEEEENSD_19counting_iterator_tIlEES8_S8_S8_S8_S8_S8_S8_S8_EEEEPS9_S9_NSD_9__find_if7functorIS9_EEEE10hipError_tPvRmT1_T2_T3_mT4_P12ihipStream_tbEUlT_E1_NS1_11comp_targetILNS1_3genE0ELNS1_11target_archE4294967295ELNS1_3gpuE0ELNS1_3repE0EEENS1_30default_config_static_selectorELNS0_4arch9wavefront6targetE0EEEvS14_,@function
_ZN7rocprim17ROCPRIM_400000_NS6detail17trampoline_kernelINS0_14default_configENS1_22reduce_config_selectorIN6thrust23THRUST_200600_302600_NS5tupleIblNS6_9null_typeES8_S8_S8_S8_S8_S8_S8_EEEEZNS1_11reduce_implILb1ES3_NS6_12zip_iteratorINS7_INS6_11hip_rocprim26transform_input_iterator_tIbNSD_35transform_pair_of_input_iterators_tIbNS6_6detail15normal_iteratorINS6_10device_ptrIKsEEEESL_NS6_8equal_toIsEEEENSG_9not_fun_tINSD_8identityEEEEENSD_19counting_iterator_tIlEES8_S8_S8_S8_S8_S8_S8_S8_EEEEPS9_S9_NSD_9__find_if7functorIS9_EEEE10hipError_tPvRmT1_T2_T3_mT4_P12ihipStream_tbEUlT_E1_NS1_11comp_targetILNS1_3genE0ELNS1_11target_archE4294967295ELNS1_3gpuE0ELNS1_3repE0EEENS1_30default_config_static_selectorELNS0_4arch9wavefront6targetE0EEEvS14_: ; @_ZN7rocprim17ROCPRIM_400000_NS6detail17trampoline_kernelINS0_14default_configENS1_22reduce_config_selectorIN6thrust23THRUST_200600_302600_NS5tupleIblNS6_9null_typeES8_S8_S8_S8_S8_S8_S8_EEEEZNS1_11reduce_implILb1ES3_NS6_12zip_iteratorINS7_INS6_11hip_rocprim26transform_input_iterator_tIbNSD_35transform_pair_of_input_iterators_tIbNS6_6detail15normal_iteratorINS6_10device_ptrIKsEEEESL_NS6_8equal_toIsEEEENSG_9not_fun_tINSD_8identityEEEEENSD_19counting_iterator_tIlEES8_S8_S8_S8_S8_S8_S8_S8_EEEEPS9_S9_NSD_9__find_if7functorIS9_EEEE10hipError_tPvRmT1_T2_T3_mT4_P12ihipStream_tbEUlT_E1_NS1_11comp_targetILNS1_3genE0ELNS1_11target_archE4294967295ELNS1_3gpuE0ELNS1_3repE0EEENS1_30default_config_static_selectorELNS0_4arch9wavefront6targetE0EEEvS14_
; %bb.0:
	.section	.rodata,"a",@progbits
	.p2align	6, 0x0
	.amdhsa_kernel _ZN7rocprim17ROCPRIM_400000_NS6detail17trampoline_kernelINS0_14default_configENS1_22reduce_config_selectorIN6thrust23THRUST_200600_302600_NS5tupleIblNS6_9null_typeES8_S8_S8_S8_S8_S8_S8_EEEEZNS1_11reduce_implILb1ES3_NS6_12zip_iteratorINS7_INS6_11hip_rocprim26transform_input_iterator_tIbNSD_35transform_pair_of_input_iterators_tIbNS6_6detail15normal_iteratorINS6_10device_ptrIKsEEEESL_NS6_8equal_toIsEEEENSG_9not_fun_tINSD_8identityEEEEENSD_19counting_iterator_tIlEES8_S8_S8_S8_S8_S8_S8_S8_EEEEPS9_S9_NSD_9__find_if7functorIS9_EEEE10hipError_tPvRmT1_T2_T3_mT4_P12ihipStream_tbEUlT_E1_NS1_11comp_targetILNS1_3genE0ELNS1_11target_archE4294967295ELNS1_3gpuE0ELNS1_3repE0EEENS1_30default_config_static_selectorELNS0_4arch9wavefront6targetE0EEEvS14_
		.amdhsa_group_segment_fixed_size 0
		.amdhsa_private_segment_fixed_size 0
		.amdhsa_kernarg_size 88
		.amdhsa_user_sgpr_count 6
		.amdhsa_user_sgpr_private_segment_buffer 1
		.amdhsa_user_sgpr_dispatch_ptr 0
		.amdhsa_user_sgpr_queue_ptr 0
		.amdhsa_user_sgpr_kernarg_segment_ptr 1
		.amdhsa_user_sgpr_dispatch_id 0
		.amdhsa_user_sgpr_flat_scratch_init 0
		.amdhsa_user_sgpr_private_segment_size 0
		.amdhsa_wavefront_size32 1
		.amdhsa_uses_dynamic_stack 0
		.amdhsa_system_sgpr_private_segment_wavefront_offset 0
		.amdhsa_system_sgpr_workgroup_id_x 1
		.amdhsa_system_sgpr_workgroup_id_y 0
		.amdhsa_system_sgpr_workgroup_id_z 0
		.amdhsa_system_sgpr_workgroup_info 0
		.amdhsa_system_vgpr_workitem_id 0
		.amdhsa_next_free_vgpr 1
		.amdhsa_next_free_sgpr 1
		.amdhsa_reserve_vcc 0
		.amdhsa_reserve_flat_scratch 0
		.amdhsa_float_round_mode_32 0
		.amdhsa_float_round_mode_16_64 0
		.amdhsa_float_denorm_mode_32 3
		.amdhsa_float_denorm_mode_16_64 3
		.amdhsa_dx10_clamp 1
		.amdhsa_ieee_mode 1
		.amdhsa_fp16_overflow 0
		.amdhsa_workgroup_processor_mode 1
		.amdhsa_memory_ordered 1
		.amdhsa_forward_progress 1
		.amdhsa_shared_vgpr_count 0
		.amdhsa_exception_fp_ieee_invalid_op 0
		.amdhsa_exception_fp_denorm_src 0
		.amdhsa_exception_fp_ieee_div_zero 0
		.amdhsa_exception_fp_ieee_overflow 0
		.amdhsa_exception_fp_ieee_underflow 0
		.amdhsa_exception_fp_ieee_inexact 0
		.amdhsa_exception_int_div_zero 0
	.end_amdhsa_kernel
	.section	.text._ZN7rocprim17ROCPRIM_400000_NS6detail17trampoline_kernelINS0_14default_configENS1_22reduce_config_selectorIN6thrust23THRUST_200600_302600_NS5tupleIblNS6_9null_typeES8_S8_S8_S8_S8_S8_S8_EEEEZNS1_11reduce_implILb1ES3_NS6_12zip_iteratorINS7_INS6_11hip_rocprim26transform_input_iterator_tIbNSD_35transform_pair_of_input_iterators_tIbNS6_6detail15normal_iteratorINS6_10device_ptrIKsEEEESL_NS6_8equal_toIsEEEENSG_9not_fun_tINSD_8identityEEEEENSD_19counting_iterator_tIlEES8_S8_S8_S8_S8_S8_S8_S8_EEEEPS9_S9_NSD_9__find_if7functorIS9_EEEE10hipError_tPvRmT1_T2_T3_mT4_P12ihipStream_tbEUlT_E1_NS1_11comp_targetILNS1_3genE0ELNS1_11target_archE4294967295ELNS1_3gpuE0ELNS1_3repE0EEENS1_30default_config_static_selectorELNS0_4arch9wavefront6targetE0EEEvS14_,"axG",@progbits,_ZN7rocprim17ROCPRIM_400000_NS6detail17trampoline_kernelINS0_14default_configENS1_22reduce_config_selectorIN6thrust23THRUST_200600_302600_NS5tupleIblNS6_9null_typeES8_S8_S8_S8_S8_S8_S8_EEEEZNS1_11reduce_implILb1ES3_NS6_12zip_iteratorINS7_INS6_11hip_rocprim26transform_input_iterator_tIbNSD_35transform_pair_of_input_iterators_tIbNS6_6detail15normal_iteratorINS6_10device_ptrIKsEEEESL_NS6_8equal_toIsEEEENSG_9not_fun_tINSD_8identityEEEEENSD_19counting_iterator_tIlEES8_S8_S8_S8_S8_S8_S8_S8_EEEEPS9_S9_NSD_9__find_if7functorIS9_EEEE10hipError_tPvRmT1_T2_T3_mT4_P12ihipStream_tbEUlT_E1_NS1_11comp_targetILNS1_3genE0ELNS1_11target_archE4294967295ELNS1_3gpuE0ELNS1_3repE0EEENS1_30default_config_static_selectorELNS0_4arch9wavefront6targetE0EEEvS14_,comdat
.Lfunc_end590:
	.size	_ZN7rocprim17ROCPRIM_400000_NS6detail17trampoline_kernelINS0_14default_configENS1_22reduce_config_selectorIN6thrust23THRUST_200600_302600_NS5tupleIblNS6_9null_typeES8_S8_S8_S8_S8_S8_S8_EEEEZNS1_11reduce_implILb1ES3_NS6_12zip_iteratorINS7_INS6_11hip_rocprim26transform_input_iterator_tIbNSD_35transform_pair_of_input_iterators_tIbNS6_6detail15normal_iteratorINS6_10device_ptrIKsEEEESL_NS6_8equal_toIsEEEENSG_9not_fun_tINSD_8identityEEEEENSD_19counting_iterator_tIlEES8_S8_S8_S8_S8_S8_S8_S8_EEEEPS9_S9_NSD_9__find_if7functorIS9_EEEE10hipError_tPvRmT1_T2_T3_mT4_P12ihipStream_tbEUlT_E1_NS1_11comp_targetILNS1_3genE0ELNS1_11target_archE4294967295ELNS1_3gpuE0ELNS1_3repE0EEENS1_30default_config_static_selectorELNS0_4arch9wavefront6targetE0EEEvS14_, .Lfunc_end590-_ZN7rocprim17ROCPRIM_400000_NS6detail17trampoline_kernelINS0_14default_configENS1_22reduce_config_selectorIN6thrust23THRUST_200600_302600_NS5tupleIblNS6_9null_typeES8_S8_S8_S8_S8_S8_S8_EEEEZNS1_11reduce_implILb1ES3_NS6_12zip_iteratorINS7_INS6_11hip_rocprim26transform_input_iterator_tIbNSD_35transform_pair_of_input_iterators_tIbNS6_6detail15normal_iteratorINS6_10device_ptrIKsEEEESL_NS6_8equal_toIsEEEENSG_9not_fun_tINSD_8identityEEEEENSD_19counting_iterator_tIlEES8_S8_S8_S8_S8_S8_S8_S8_EEEEPS9_S9_NSD_9__find_if7functorIS9_EEEE10hipError_tPvRmT1_T2_T3_mT4_P12ihipStream_tbEUlT_E1_NS1_11comp_targetILNS1_3genE0ELNS1_11target_archE4294967295ELNS1_3gpuE0ELNS1_3repE0EEENS1_30default_config_static_selectorELNS0_4arch9wavefront6targetE0EEEvS14_
                                        ; -- End function
	.set _ZN7rocprim17ROCPRIM_400000_NS6detail17trampoline_kernelINS0_14default_configENS1_22reduce_config_selectorIN6thrust23THRUST_200600_302600_NS5tupleIblNS6_9null_typeES8_S8_S8_S8_S8_S8_S8_EEEEZNS1_11reduce_implILb1ES3_NS6_12zip_iteratorINS7_INS6_11hip_rocprim26transform_input_iterator_tIbNSD_35transform_pair_of_input_iterators_tIbNS6_6detail15normal_iteratorINS6_10device_ptrIKsEEEESL_NS6_8equal_toIsEEEENSG_9not_fun_tINSD_8identityEEEEENSD_19counting_iterator_tIlEES8_S8_S8_S8_S8_S8_S8_S8_EEEEPS9_S9_NSD_9__find_if7functorIS9_EEEE10hipError_tPvRmT1_T2_T3_mT4_P12ihipStream_tbEUlT_E1_NS1_11comp_targetILNS1_3genE0ELNS1_11target_archE4294967295ELNS1_3gpuE0ELNS1_3repE0EEENS1_30default_config_static_selectorELNS0_4arch9wavefront6targetE0EEEvS14_.num_vgpr, 0
	.set _ZN7rocprim17ROCPRIM_400000_NS6detail17trampoline_kernelINS0_14default_configENS1_22reduce_config_selectorIN6thrust23THRUST_200600_302600_NS5tupleIblNS6_9null_typeES8_S8_S8_S8_S8_S8_S8_EEEEZNS1_11reduce_implILb1ES3_NS6_12zip_iteratorINS7_INS6_11hip_rocprim26transform_input_iterator_tIbNSD_35transform_pair_of_input_iterators_tIbNS6_6detail15normal_iteratorINS6_10device_ptrIKsEEEESL_NS6_8equal_toIsEEEENSG_9not_fun_tINSD_8identityEEEEENSD_19counting_iterator_tIlEES8_S8_S8_S8_S8_S8_S8_S8_EEEEPS9_S9_NSD_9__find_if7functorIS9_EEEE10hipError_tPvRmT1_T2_T3_mT4_P12ihipStream_tbEUlT_E1_NS1_11comp_targetILNS1_3genE0ELNS1_11target_archE4294967295ELNS1_3gpuE0ELNS1_3repE0EEENS1_30default_config_static_selectorELNS0_4arch9wavefront6targetE0EEEvS14_.num_agpr, 0
	.set _ZN7rocprim17ROCPRIM_400000_NS6detail17trampoline_kernelINS0_14default_configENS1_22reduce_config_selectorIN6thrust23THRUST_200600_302600_NS5tupleIblNS6_9null_typeES8_S8_S8_S8_S8_S8_S8_EEEEZNS1_11reduce_implILb1ES3_NS6_12zip_iteratorINS7_INS6_11hip_rocprim26transform_input_iterator_tIbNSD_35transform_pair_of_input_iterators_tIbNS6_6detail15normal_iteratorINS6_10device_ptrIKsEEEESL_NS6_8equal_toIsEEEENSG_9not_fun_tINSD_8identityEEEEENSD_19counting_iterator_tIlEES8_S8_S8_S8_S8_S8_S8_S8_EEEEPS9_S9_NSD_9__find_if7functorIS9_EEEE10hipError_tPvRmT1_T2_T3_mT4_P12ihipStream_tbEUlT_E1_NS1_11comp_targetILNS1_3genE0ELNS1_11target_archE4294967295ELNS1_3gpuE0ELNS1_3repE0EEENS1_30default_config_static_selectorELNS0_4arch9wavefront6targetE0EEEvS14_.numbered_sgpr, 0
	.set _ZN7rocprim17ROCPRIM_400000_NS6detail17trampoline_kernelINS0_14default_configENS1_22reduce_config_selectorIN6thrust23THRUST_200600_302600_NS5tupleIblNS6_9null_typeES8_S8_S8_S8_S8_S8_S8_EEEEZNS1_11reduce_implILb1ES3_NS6_12zip_iteratorINS7_INS6_11hip_rocprim26transform_input_iterator_tIbNSD_35transform_pair_of_input_iterators_tIbNS6_6detail15normal_iteratorINS6_10device_ptrIKsEEEESL_NS6_8equal_toIsEEEENSG_9not_fun_tINSD_8identityEEEEENSD_19counting_iterator_tIlEES8_S8_S8_S8_S8_S8_S8_S8_EEEEPS9_S9_NSD_9__find_if7functorIS9_EEEE10hipError_tPvRmT1_T2_T3_mT4_P12ihipStream_tbEUlT_E1_NS1_11comp_targetILNS1_3genE0ELNS1_11target_archE4294967295ELNS1_3gpuE0ELNS1_3repE0EEENS1_30default_config_static_selectorELNS0_4arch9wavefront6targetE0EEEvS14_.num_named_barrier, 0
	.set _ZN7rocprim17ROCPRIM_400000_NS6detail17trampoline_kernelINS0_14default_configENS1_22reduce_config_selectorIN6thrust23THRUST_200600_302600_NS5tupleIblNS6_9null_typeES8_S8_S8_S8_S8_S8_S8_EEEEZNS1_11reduce_implILb1ES3_NS6_12zip_iteratorINS7_INS6_11hip_rocprim26transform_input_iterator_tIbNSD_35transform_pair_of_input_iterators_tIbNS6_6detail15normal_iteratorINS6_10device_ptrIKsEEEESL_NS6_8equal_toIsEEEENSG_9not_fun_tINSD_8identityEEEEENSD_19counting_iterator_tIlEES8_S8_S8_S8_S8_S8_S8_S8_EEEEPS9_S9_NSD_9__find_if7functorIS9_EEEE10hipError_tPvRmT1_T2_T3_mT4_P12ihipStream_tbEUlT_E1_NS1_11comp_targetILNS1_3genE0ELNS1_11target_archE4294967295ELNS1_3gpuE0ELNS1_3repE0EEENS1_30default_config_static_selectorELNS0_4arch9wavefront6targetE0EEEvS14_.private_seg_size, 0
	.set _ZN7rocprim17ROCPRIM_400000_NS6detail17trampoline_kernelINS0_14default_configENS1_22reduce_config_selectorIN6thrust23THRUST_200600_302600_NS5tupleIblNS6_9null_typeES8_S8_S8_S8_S8_S8_S8_EEEEZNS1_11reduce_implILb1ES3_NS6_12zip_iteratorINS7_INS6_11hip_rocprim26transform_input_iterator_tIbNSD_35transform_pair_of_input_iterators_tIbNS6_6detail15normal_iteratorINS6_10device_ptrIKsEEEESL_NS6_8equal_toIsEEEENSG_9not_fun_tINSD_8identityEEEEENSD_19counting_iterator_tIlEES8_S8_S8_S8_S8_S8_S8_S8_EEEEPS9_S9_NSD_9__find_if7functorIS9_EEEE10hipError_tPvRmT1_T2_T3_mT4_P12ihipStream_tbEUlT_E1_NS1_11comp_targetILNS1_3genE0ELNS1_11target_archE4294967295ELNS1_3gpuE0ELNS1_3repE0EEENS1_30default_config_static_selectorELNS0_4arch9wavefront6targetE0EEEvS14_.uses_vcc, 0
	.set _ZN7rocprim17ROCPRIM_400000_NS6detail17trampoline_kernelINS0_14default_configENS1_22reduce_config_selectorIN6thrust23THRUST_200600_302600_NS5tupleIblNS6_9null_typeES8_S8_S8_S8_S8_S8_S8_EEEEZNS1_11reduce_implILb1ES3_NS6_12zip_iteratorINS7_INS6_11hip_rocprim26transform_input_iterator_tIbNSD_35transform_pair_of_input_iterators_tIbNS6_6detail15normal_iteratorINS6_10device_ptrIKsEEEESL_NS6_8equal_toIsEEEENSG_9not_fun_tINSD_8identityEEEEENSD_19counting_iterator_tIlEES8_S8_S8_S8_S8_S8_S8_S8_EEEEPS9_S9_NSD_9__find_if7functorIS9_EEEE10hipError_tPvRmT1_T2_T3_mT4_P12ihipStream_tbEUlT_E1_NS1_11comp_targetILNS1_3genE0ELNS1_11target_archE4294967295ELNS1_3gpuE0ELNS1_3repE0EEENS1_30default_config_static_selectorELNS0_4arch9wavefront6targetE0EEEvS14_.uses_flat_scratch, 0
	.set _ZN7rocprim17ROCPRIM_400000_NS6detail17trampoline_kernelINS0_14default_configENS1_22reduce_config_selectorIN6thrust23THRUST_200600_302600_NS5tupleIblNS6_9null_typeES8_S8_S8_S8_S8_S8_S8_EEEEZNS1_11reduce_implILb1ES3_NS6_12zip_iteratorINS7_INS6_11hip_rocprim26transform_input_iterator_tIbNSD_35transform_pair_of_input_iterators_tIbNS6_6detail15normal_iteratorINS6_10device_ptrIKsEEEESL_NS6_8equal_toIsEEEENSG_9not_fun_tINSD_8identityEEEEENSD_19counting_iterator_tIlEES8_S8_S8_S8_S8_S8_S8_S8_EEEEPS9_S9_NSD_9__find_if7functorIS9_EEEE10hipError_tPvRmT1_T2_T3_mT4_P12ihipStream_tbEUlT_E1_NS1_11comp_targetILNS1_3genE0ELNS1_11target_archE4294967295ELNS1_3gpuE0ELNS1_3repE0EEENS1_30default_config_static_selectorELNS0_4arch9wavefront6targetE0EEEvS14_.has_dyn_sized_stack, 0
	.set _ZN7rocprim17ROCPRIM_400000_NS6detail17trampoline_kernelINS0_14default_configENS1_22reduce_config_selectorIN6thrust23THRUST_200600_302600_NS5tupleIblNS6_9null_typeES8_S8_S8_S8_S8_S8_S8_EEEEZNS1_11reduce_implILb1ES3_NS6_12zip_iteratorINS7_INS6_11hip_rocprim26transform_input_iterator_tIbNSD_35transform_pair_of_input_iterators_tIbNS6_6detail15normal_iteratorINS6_10device_ptrIKsEEEESL_NS6_8equal_toIsEEEENSG_9not_fun_tINSD_8identityEEEEENSD_19counting_iterator_tIlEES8_S8_S8_S8_S8_S8_S8_S8_EEEEPS9_S9_NSD_9__find_if7functorIS9_EEEE10hipError_tPvRmT1_T2_T3_mT4_P12ihipStream_tbEUlT_E1_NS1_11comp_targetILNS1_3genE0ELNS1_11target_archE4294967295ELNS1_3gpuE0ELNS1_3repE0EEENS1_30default_config_static_selectorELNS0_4arch9wavefront6targetE0EEEvS14_.has_recursion, 0
	.set _ZN7rocprim17ROCPRIM_400000_NS6detail17trampoline_kernelINS0_14default_configENS1_22reduce_config_selectorIN6thrust23THRUST_200600_302600_NS5tupleIblNS6_9null_typeES8_S8_S8_S8_S8_S8_S8_EEEEZNS1_11reduce_implILb1ES3_NS6_12zip_iteratorINS7_INS6_11hip_rocprim26transform_input_iterator_tIbNSD_35transform_pair_of_input_iterators_tIbNS6_6detail15normal_iteratorINS6_10device_ptrIKsEEEESL_NS6_8equal_toIsEEEENSG_9not_fun_tINSD_8identityEEEEENSD_19counting_iterator_tIlEES8_S8_S8_S8_S8_S8_S8_S8_EEEEPS9_S9_NSD_9__find_if7functorIS9_EEEE10hipError_tPvRmT1_T2_T3_mT4_P12ihipStream_tbEUlT_E1_NS1_11comp_targetILNS1_3genE0ELNS1_11target_archE4294967295ELNS1_3gpuE0ELNS1_3repE0EEENS1_30default_config_static_selectorELNS0_4arch9wavefront6targetE0EEEvS14_.has_indirect_call, 0
	.section	.AMDGPU.csdata,"",@progbits
; Kernel info:
; codeLenInByte = 0
; TotalNumSgprs: 0
; NumVgprs: 0
; ScratchSize: 0
; MemoryBound: 0
; FloatMode: 240
; IeeeMode: 1
; LDSByteSize: 0 bytes/workgroup (compile time only)
; SGPRBlocks: 0
; VGPRBlocks: 0
; NumSGPRsForWavesPerEU: 1
; NumVGPRsForWavesPerEU: 1
; Occupancy: 16
; WaveLimiterHint : 0
; COMPUTE_PGM_RSRC2:SCRATCH_EN: 0
; COMPUTE_PGM_RSRC2:USER_SGPR: 6
; COMPUTE_PGM_RSRC2:TRAP_HANDLER: 0
; COMPUTE_PGM_RSRC2:TGID_X_EN: 1
; COMPUTE_PGM_RSRC2:TGID_Y_EN: 0
; COMPUTE_PGM_RSRC2:TGID_Z_EN: 0
; COMPUTE_PGM_RSRC2:TIDIG_COMP_CNT: 0
	.section	.text._ZN7rocprim17ROCPRIM_400000_NS6detail17trampoline_kernelINS0_14default_configENS1_22reduce_config_selectorIN6thrust23THRUST_200600_302600_NS5tupleIblNS6_9null_typeES8_S8_S8_S8_S8_S8_S8_EEEEZNS1_11reduce_implILb1ES3_NS6_12zip_iteratorINS7_INS6_11hip_rocprim26transform_input_iterator_tIbNSD_35transform_pair_of_input_iterators_tIbNS6_6detail15normal_iteratorINS6_10device_ptrIKsEEEESL_NS6_8equal_toIsEEEENSG_9not_fun_tINSD_8identityEEEEENSD_19counting_iterator_tIlEES8_S8_S8_S8_S8_S8_S8_S8_EEEEPS9_S9_NSD_9__find_if7functorIS9_EEEE10hipError_tPvRmT1_T2_T3_mT4_P12ihipStream_tbEUlT_E1_NS1_11comp_targetILNS1_3genE5ELNS1_11target_archE942ELNS1_3gpuE9ELNS1_3repE0EEENS1_30default_config_static_selectorELNS0_4arch9wavefront6targetE0EEEvS14_,"axG",@progbits,_ZN7rocprim17ROCPRIM_400000_NS6detail17trampoline_kernelINS0_14default_configENS1_22reduce_config_selectorIN6thrust23THRUST_200600_302600_NS5tupleIblNS6_9null_typeES8_S8_S8_S8_S8_S8_S8_EEEEZNS1_11reduce_implILb1ES3_NS6_12zip_iteratorINS7_INS6_11hip_rocprim26transform_input_iterator_tIbNSD_35transform_pair_of_input_iterators_tIbNS6_6detail15normal_iteratorINS6_10device_ptrIKsEEEESL_NS6_8equal_toIsEEEENSG_9not_fun_tINSD_8identityEEEEENSD_19counting_iterator_tIlEES8_S8_S8_S8_S8_S8_S8_S8_EEEEPS9_S9_NSD_9__find_if7functorIS9_EEEE10hipError_tPvRmT1_T2_T3_mT4_P12ihipStream_tbEUlT_E1_NS1_11comp_targetILNS1_3genE5ELNS1_11target_archE942ELNS1_3gpuE9ELNS1_3repE0EEENS1_30default_config_static_selectorELNS0_4arch9wavefront6targetE0EEEvS14_,comdat
	.protected	_ZN7rocprim17ROCPRIM_400000_NS6detail17trampoline_kernelINS0_14default_configENS1_22reduce_config_selectorIN6thrust23THRUST_200600_302600_NS5tupleIblNS6_9null_typeES8_S8_S8_S8_S8_S8_S8_EEEEZNS1_11reduce_implILb1ES3_NS6_12zip_iteratorINS7_INS6_11hip_rocprim26transform_input_iterator_tIbNSD_35transform_pair_of_input_iterators_tIbNS6_6detail15normal_iteratorINS6_10device_ptrIKsEEEESL_NS6_8equal_toIsEEEENSG_9not_fun_tINSD_8identityEEEEENSD_19counting_iterator_tIlEES8_S8_S8_S8_S8_S8_S8_S8_EEEEPS9_S9_NSD_9__find_if7functorIS9_EEEE10hipError_tPvRmT1_T2_T3_mT4_P12ihipStream_tbEUlT_E1_NS1_11comp_targetILNS1_3genE5ELNS1_11target_archE942ELNS1_3gpuE9ELNS1_3repE0EEENS1_30default_config_static_selectorELNS0_4arch9wavefront6targetE0EEEvS14_ ; -- Begin function _ZN7rocprim17ROCPRIM_400000_NS6detail17trampoline_kernelINS0_14default_configENS1_22reduce_config_selectorIN6thrust23THRUST_200600_302600_NS5tupleIblNS6_9null_typeES8_S8_S8_S8_S8_S8_S8_EEEEZNS1_11reduce_implILb1ES3_NS6_12zip_iteratorINS7_INS6_11hip_rocprim26transform_input_iterator_tIbNSD_35transform_pair_of_input_iterators_tIbNS6_6detail15normal_iteratorINS6_10device_ptrIKsEEEESL_NS6_8equal_toIsEEEENSG_9not_fun_tINSD_8identityEEEEENSD_19counting_iterator_tIlEES8_S8_S8_S8_S8_S8_S8_S8_EEEEPS9_S9_NSD_9__find_if7functorIS9_EEEE10hipError_tPvRmT1_T2_T3_mT4_P12ihipStream_tbEUlT_E1_NS1_11comp_targetILNS1_3genE5ELNS1_11target_archE942ELNS1_3gpuE9ELNS1_3repE0EEENS1_30default_config_static_selectorELNS0_4arch9wavefront6targetE0EEEvS14_
	.globl	_ZN7rocprim17ROCPRIM_400000_NS6detail17trampoline_kernelINS0_14default_configENS1_22reduce_config_selectorIN6thrust23THRUST_200600_302600_NS5tupleIblNS6_9null_typeES8_S8_S8_S8_S8_S8_S8_EEEEZNS1_11reduce_implILb1ES3_NS6_12zip_iteratorINS7_INS6_11hip_rocprim26transform_input_iterator_tIbNSD_35transform_pair_of_input_iterators_tIbNS6_6detail15normal_iteratorINS6_10device_ptrIKsEEEESL_NS6_8equal_toIsEEEENSG_9not_fun_tINSD_8identityEEEEENSD_19counting_iterator_tIlEES8_S8_S8_S8_S8_S8_S8_S8_EEEEPS9_S9_NSD_9__find_if7functorIS9_EEEE10hipError_tPvRmT1_T2_T3_mT4_P12ihipStream_tbEUlT_E1_NS1_11comp_targetILNS1_3genE5ELNS1_11target_archE942ELNS1_3gpuE9ELNS1_3repE0EEENS1_30default_config_static_selectorELNS0_4arch9wavefront6targetE0EEEvS14_
	.p2align	8
	.type	_ZN7rocprim17ROCPRIM_400000_NS6detail17trampoline_kernelINS0_14default_configENS1_22reduce_config_selectorIN6thrust23THRUST_200600_302600_NS5tupleIblNS6_9null_typeES8_S8_S8_S8_S8_S8_S8_EEEEZNS1_11reduce_implILb1ES3_NS6_12zip_iteratorINS7_INS6_11hip_rocprim26transform_input_iterator_tIbNSD_35transform_pair_of_input_iterators_tIbNS6_6detail15normal_iteratorINS6_10device_ptrIKsEEEESL_NS6_8equal_toIsEEEENSG_9not_fun_tINSD_8identityEEEEENSD_19counting_iterator_tIlEES8_S8_S8_S8_S8_S8_S8_S8_EEEEPS9_S9_NSD_9__find_if7functorIS9_EEEE10hipError_tPvRmT1_T2_T3_mT4_P12ihipStream_tbEUlT_E1_NS1_11comp_targetILNS1_3genE5ELNS1_11target_archE942ELNS1_3gpuE9ELNS1_3repE0EEENS1_30default_config_static_selectorELNS0_4arch9wavefront6targetE0EEEvS14_,@function
_ZN7rocprim17ROCPRIM_400000_NS6detail17trampoline_kernelINS0_14default_configENS1_22reduce_config_selectorIN6thrust23THRUST_200600_302600_NS5tupleIblNS6_9null_typeES8_S8_S8_S8_S8_S8_S8_EEEEZNS1_11reduce_implILb1ES3_NS6_12zip_iteratorINS7_INS6_11hip_rocprim26transform_input_iterator_tIbNSD_35transform_pair_of_input_iterators_tIbNS6_6detail15normal_iteratorINS6_10device_ptrIKsEEEESL_NS6_8equal_toIsEEEENSG_9not_fun_tINSD_8identityEEEEENSD_19counting_iterator_tIlEES8_S8_S8_S8_S8_S8_S8_S8_EEEEPS9_S9_NSD_9__find_if7functorIS9_EEEE10hipError_tPvRmT1_T2_T3_mT4_P12ihipStream_tbEUlT_E1_NS1_11comp_targetILNS1_3genE5ELNS1_11target_archE942ELNS1_3gpuE9ELNS1_3repE0EEENS1_30default_config_static_selectorELNS0_4arch9wavefront6targetE0EEEvS14_: ; @_ZN7rocprim17ROCPRIM_400000_NS6detail17trampoline_kernelINS0_14default_configENS1_22reduce_config_selectorIN6thrust23THRUST_200600_302600_NS5tupleIblNS6_9null_typeES8_S8_S8_S8_S8_S8_S8_EEEEZNS1_11reduce_implILb1ES3_NS6_12zip_iteratorINS7_INS6_11hip_rocprim26transform_input_iterator_tIbNSD_35transform_pair_of_input_iterators_tIbNS6_6detail15normal_iteratorINS6_10device_ptrIKsEEEESL_NS6_8equal_toIsEEEENSG_9not_fun_tINSD_8identityEEEEENSD_19counting_iterator_tIlEES8_S8_S8_S8_S8_S8_S8_S8_EEEEPS9_S9_NSD_9__find_if7functorIS9_EEEE10hipError_tPvRmT1_T2_T3_mT4_P12ihipStream_tbEUlT_E1_NS1_11comp_targetILNS1_3genE5ELNS1_11target_archE942ELNS1_3gpuE9ELNS1_3repE0EEENS1_30default_config_static_selectorELNS0_4arch9wavefront6targetE0EEEvS14_
; %bb.0:
	.section	.rodata,"a",@progbits
	.p2align	6, 0x0
	.amdhsa_kernel _ZN7rocprim17ROCPRIM_400000_NS6detail17trampoline_kernelINS0_14default_configENS1_22reduce_config_selectorIN6thrust23THRUST_200600_302600_NS5tupleIblNS6_9null_typeES8_S8_S8_S8_S8_S8_S8_EEEEZNS1_11reduce_implILb1ES3_NS6_12zip_iteratorINS7_INS6_11hip_rocprim26transform_input_iterator_tIbNSD_35transform_pair_of_input_iterators_tIbNS6_6detail15normal_iteratorINS6_10device_ptrIKsEEEESL_NS6_8equal_toIsEEEENSG_9not_fun_tINSD_8identityEEEEENSD_19counting_iterator_tIlEES8_S8_S8_S8_S8_S8_S8_S8_EEEEPS9_S9_NSD_9__find_if7functorIS9_EEEE10hipError_tPvRmT1_T2_T3_mT4_P12ihipStream_tbEUlT_E1_NS1_11comp_targetILNS1_3genE5ELNS1_11target_archE942ELNS1_3gpuE9ELNS1_3repE0EEENS1_30default_config_static_selectorELNS0_4arch9wavefront6targetE0EEEvS14_
		.amdhsa_group_segment_fixed_size 0
		.amdhsa_private_segment_fixed_size 0
		.amdhsa_kernarg_size 88
		.amdhsa_user_sgpr_count 6
		.amdhsa_user_sgpr_private_segment_buffer 1
		.amdhsa_user_sgpr_dispatch_ptr 0
		.amdhsa_user_sgpr_queue_ptr 0
		.amdhsa_user_sgpr_kernarg_segment_ptr 1
		.amdhsa_user_sgpr_dispatch_id 0
		.amdhsa_user_sgpr_flat_scratch_init 0
		.amdhsa_user_sgpr_private_segment_size 0
		.amdhsa_wavefront_size32 1
		.amdhsa_uses_dynamic_stack 0
		.amdhsa_system_sgpr_private_segment_wavefront_offset 0
		.amdhsa_system_sgpr_workgroup_id_x 1
		.amdhsa_system_sgpr_workgroup_id_y 0
		.amdhsa_system_sgpr_workgroup_id_z 0
		.amdhsa_system_sgpr_workgroup_info 0
		.amdhsa_system_vgpr_workitem_id 0
		.amdhsa_next_free_vgpr 1
		.amdhsa_next_free_sgpr 1
		.amdhsa_reserve_vcc 0
		.amdhsa_reserve_flat_scratch 0
		.amdhsa_float_round_mode_32 0
		.amdhsa_float_round_mode_16_64 0
		.amdhsa_float_denorm_mode_32 3
		.amdhsa_float_denorm_mode_16_64 3
		.amdhsa_dx10_clamp 1
		.amdhsa_ieee_mode 1
		.amdhsa_fp16_overflow 0
		.amdhsa_workgroup_processor_mode 1
		.amdhsa_memory_ordered 1
		.amdhsa_forward_progress 1
		.amdhsa_shared_vgpr_count 0
		.amdhsa_exception_fp_ieee_invalid_op 0
		.amdhsa_exception_fp_denorm_src 0
		.amdhsa_exception_fp_ieee_div_zero 0
		.amdhsa_exception_fp_ieee_overflow 0
		.amdhsa_exception_fp_ieee_underflow 0
		.amdhsa_exception_fp_ieee_inexact 0
		.amdhsa_exception_int_div_zero 0
	.end_amdhsa_kernel
	.section	.text._ZN7rocprim17ROCPRIM_400000_NS6detail17trampoline_kernelINS0_14default_configENS1_22reduce_config_selectorIN6thrust23THRUST_200600_302600_NS5tupleIblNS6_9null_typeES8_S8_S8_S8_S8_S8_S8_EEEEZNS1_11reduce_implILb1ES3_NS6_12zip_iteratorINS7_INS6_11hip_rocprim26transform_input_iterator_tIbNSD_35transform_pair_of_input_iterators_tIbNS6_6detail15normal_iteratorINS6_10device_ptrIKsEEEESL_NS6_8equal_toIsEEEENSG_9not_fun_tINSD_8identityEEEEENSD_19counting_iterator_tIlEES8_S8_S8_S8_S8_S8_S8_S8_EEEEPS9_S9_NSD_9__find_if7functorIS9_EEEE10hipError_tPvRmT1_T2_T3_mT4_P12ihipStream_tbEUlT_E1_NS1_11comp_targetILNS1_3genE5ELNS1_11target_archE942ELNS1_3gpuE9ELNS1_3repE0EEENS1_30default_config_static_selectorELNS0_4arch9wavefront6targetE0EEEvS14_,"axG",@progbits,_ZN7rocprim17ROCPRIM_400000_NS6detail17trampoline_kernelINS0_14default_configENS1_22reduce_config_selectorIN6thrust23THRUST_200600_302600_NS5tupleIblNS6_9null_typeES8_S8_S8_S8_S8_S8_S8_EEEEZNS1_11reduce_implILb1ES3_NS6_12zip_iteratorINS7_INS6_11hip_rocprim26transform_input_iterator_tIbNSD_35transform_pair_of_input_iterators_tIbNS6_6detail15normal_iteratorINS6_10device_ptrIKsEEEESL_NS6_8equal_toIsEEEENSG_9not_fun_tINSD_8identityEEEEENSD_19counting_iterator_tIlEES8_S8_S8_S8_S8_S8_S8_S8_EEEEPS9_S9_NSD_9__find_if7functorIS9_EEEE10hipError_tPvRmT1_T2_T3_mT4_P12ihipStream_tbEUlT_E1_NS1_11comp_targetILNS1_3genE5ELNS1_11target_archE942ELNS1_3gpuE9ELNS1_3repE0EEENS1_30default_config_static_selectorELNS0_4arch9wavefront6targetE0EEEvS14_,comdat
.Lfunc_end591:
	.size	_ZN7rocprim17ROCPRIM_400000_NS6detail17trampoline_kernelINS0_14default_configENS1_22reduce_config_selectorIN6thrust23THRUST_200600_302600_NS5tupleIblNS6_9null_typeES8_S8_S8_S8_S8_S8_S8_EEEEZNS1_11reduce_implILb1ES3_NS6_12zip_iteratorINS7_INS6_11hip_rocprim26transform_input_iterator_tIbNSD_35transform_pair_of_input_iterators_tIbNS6_6detail15normal_iteratorINS6_10device_ptrIKsEEEESL_NS6_8equal_toIsEEEENSG_9not_fun_tINSD_8identityEEEEENSD_19counting_iterator_tIlEES8_S8_S8_S8_S8_S8_S8_S8_EEEEPS9_S9_NSD_9__find_if7functorIS9_EEEE10hipError_tPvRmT1_T2_T3_mT4_P12ihipStream_tbEUlT_E1_NS1_11comp_targetILNS1_3genE5ELNS1_11target_archE942ELNS1_3gpuE9ELNS1_3repE0EEENS1_30default_config_static_selectorELNS0_4arch9wavefront6targetE0EEEvS14_, .Lfunc_end591-_ZN7rocprim17ROCPRIM_400000_NS6detail17trampoline_kernelINS0_14default_configENS1_22reduce_config_selectorIN6thrust23THRUST_200600_302600_NS5tupleIblNS6_9null_typeES8_S8_S8_S8_S8_S8_S8_EEEEZNS1_11reduce_implILb1ES3_NS6_12zip_iteratorINS7_INS6_11hip_rocprim26transform_input_iterator_tIbNSD_35transform_pair_of_input_iterators_tIbNS6_6detail15normal_iteratorINS6_10device_ptrIKsEEEESL_NS6_8equal_toIsEEEENSG_9not_fun_tINSD_8identityEEEEENSD_19counting_iterator_tIlEES8_S8_S8_S8_S8_S8_S8_S8_EEEEPS9_S9_NSD_9__find_if7functorIS9_EEEE10hipError_tPvRmT1_T2_T3_mT4_P12ihipStream_tbEUlT_E1_NS1_11comp_targetILNS1_3genE5ELNS1_11target_archE942ELNS1_3gpuE9ELNS1_3repE0EEENS1_30default_config_static_selectorELNS0_4arch9wavefront6targetE0EEEvS14_
                                        ; -- End function
	.set _ZN7rocprim17ROCPRIM_400000_NS6detail17trampoline_kernelINS0_14default_configENS1_22reduce_config_selectorIN6thrust23THRUST_200600_302600_NS5tupleIblNS6_9null_typeES8_S8_S8_S8_S8_S8_S8_EEEEZNS1_11reduce_implILb1ES3_NS6_12zip_iteratorINS7_INS6_11hip_rocprim26transform_input_iterator_tIbNSD_35transform_pair_of_input_iterators_tIbNS6_6detail15normal_iteratorINS6_10device_ptrIKsEEEESL_NS6_8equal_toIsEEEENSG_9not_fun_tINSD_8identityEEEEENSD_19counting_iterator_tIlEES8_S8_S8_S8_S8_S8_S8_S8_EEEEPS9_S9_NSD_9__find_if7functorIS9_EEEE10hipError_tPvRmT1_T2_T3_mT4_P12ihipStream_tbEUlT_E1_NS1_11comp_targetILNS1_3genE5ELNS1_11target_archE942ELNS1_3gpuE9ELNS1_3repE0EEENS1_30default_config_static_selectorELNS0_4arch9wavefront6targetE0EEEvS14_.num_vgpr, 0
	.set _ZN7rocprim17ROCPRIM_400000_NS6detail17trampoline_kernelINS0_14default_configENS1_22reduce_config_selectorIN6thrust23THRUST_200600_302600_NS5tupleIblNS6_9null_typeES8_S8_S8_S8_S8_S8_S8_EEEEZNS1_11reduce_implILb1ES3_NS6_12zip_iteratorINS7_INS6_11hip_rocprim26transform_input_iterator_tIbNSD_35transform_pair_of_input_iterators_tIbNS6_6detail15normal_iteratorINS6_10device_ptrIKsEEEESL_NS6_8equal_toIsEEEENSG_9not_fun_tINSD_8identityEEEEENSD_19counting_iterator_tIlEES8_S8_S8_S8_S8_S8_S8_S8_EEEEPS9_S9_NSD_9__find_if7functorIS9_EEEE10hipError_tPvRmT1_T2_T3_mT4_P12ihipStream_tbEUlT_E1_NS1_11comp_targetILNS1_3genE5ELNS1_11target_archE942ELNS1_3gpuE9ELNS1_3repE0EEENS1_30default_config_static_selectorELNS0_4arch9wavefront6targetE0EEEvS14_.num_agpr, 0
	.set _ZN7rocprim17ROCPRIM_400000_NS6detail17trampoline_kernelINS0_14default_configENS1_22reduce_config_selectorIN6thrust23THRUST_200600_302600_NS5tupleIblNS6_9null_typeES8_S8_S8_S8_S8_S8_S8_EEEEZNS1_11reduce_implILb1ES3_NS6_12zip_iteratorINS7_INS6_11hip_rocprim26transform_input_iterator_tIbNSD_35transform_pair_of_input_iterators_tIbNS6_6detail15normal_iteratorINS6_10device_ptrIKsEEEESL_NS6_8equal_toIsEEEENSG_9not_fun_tINSD_8identityEEEEENSD_19counting_iterator_tIlEES8_S8_S8_S8_S8_S8_S8_S8_EEEEPS9_S9_NSD_9__find_if7functorIS9_EEEE10hipError_tPvRmT1_T2_T3_mT4_P12ihipStream_tbEUlT_E1_NS1_11comp_targetILNS1_3genE5ELNS1_11target_archE942ELNS1_3gpuE9ELNS1_3repE0EEENS1_30default_config_static_selectorELNS0_4arch9wavefront6targetE0EEEvS14_.numbered_sgpr, 0
	.set _ZN7rocprim17ROCPRIM_400000_NS6detail17trampoline_kernelINS0_14default_configENS1_22reduce_config_selectorIN6thrust23THRUST_200600_302600_NS5tupleIblNS6_9null_typeES8_S8_S8_S8_S8_S8_S8_EEEEZNS1_11reduce_implILb1ES3_NS6_12zip_iteratorINS7_INS6_11hip_rocprim26transform_input_iterator_tIbNSD_35transform_pair_of_input_iterators_tIbNS6_6detail15normal_iteratorINS6_10device_ptrIKsEEEESL_NS6_8equal_toIsEEEENSG_9not_fun_tINSD_8identityEEEEENSD_19counting_iterator_tIlEES8_S8_S8_S8_S8_S8_S8_S8_EEEEPS9_S9_NSD_9__find_if7functorIS9_EEEE10hipError_tPvRmT1_T2_T3_mT4_P12ihipStream_tbEUlT_E1_NS1_11comp_targetILNS1_3genE5ELNS1_11target_archE942ELNS1_3gpuE9ELNS1_3repE0EEENS1_30default_config_static_selectorELNS0_4arch9wavefront6targetE0EEEvS14_.num_named_barrier, 0
	.set _ZN7rocprim17ROCPRIM_400000_NS6detail17trampoline_kernelINS0_14default_configENS1_22reduce_config_selectorIN6thrust23THRUST_200600_302600_NS5tupleIblNS6_9null_typeES8_S8_S8_S8_S8_S8_S8_EEEEZNS1_11reduce_implILb1ES3_NS6_12zip_iteratorINS7_INS6_11hip_rocprim26transform_input_iterator_tIbNSD_35transform_pair_of_input_iterators_tIbNS6_6detail15normal_iteratorINS6_10device_ptrIKsEEEESL_NS6_8equal_toIsEEEENSG_9not_fun_tINSD_8identityEEEEENSD_19counting_iterator_tIlEES8_S8_S8_S8_S8_S8_S8_S8_EEEEPS9_S9_NSD_9__find_if7functorIS9_EEEE10hipError_tPvRmT1_T2_T3_mT4_P12ihipStream_tbEUlT_E1_NS1_11comp_targetILNS1_3genE5ELNS1_11target_archE942ELNS1_3gpuE9ELNS1_3repE0EEENS1_30default_config_static_selectorELNS0_4arch9wavefront6targetE0EEEvS14_.private_seg_size, 0
	.set _ZN7rocprim17ROCPRIM_400000_NS6detail17trampoline_kernelINS0_14default_configENS1_22reduce_config_selectorIN6thrust23THRUST_200600_302600_NS5tupleIblNS6_9null_typeES8_S8_S8_S8_S8_S8_S8_EEEEZNS1_11reduce_implILb1ES3_NS6_12zip_iteratorINS7_INS6_11hip_rocprim26transform_input_iterator_tIbNSD_35transform_pair_of_input_iterators_tIbNS6_6detail15normal_iteratorINS6_10device_ptrIKsEEEESL_NS6_8equal_toIsEEEENSG_9not_fun_tINSD_8identityEEEEENSD_19counting_iterator_tIlEES8_S8_S8_S8_S8_S8_S8_S8_EEEEPS9_S9_NSD_9__find_if7functorIS9_EEEE10hipError_tPvRmT1_T2_T3_mT4_P12ihipStream_tbEUlT_E1_NS1_11comp_targetILNS1_3genE5ELNS1_11target_archE942ELNS1_3gpuE9ELNS1_3repE0EEENS1_30default_config_static_selectorELNS0_4arch9wavefront6targetE0EEEvS14_.uses_vcc, 0
	.set _ZN7rocprim17ROCPRIM_400000_NS6detail17trampoline_kernelINS0_14default_configENS1_22reduce_config_selectorIN6thrust23THRUST_200600_302600_NS5tupleIblNS6_9null_typeES8_S8_S8_S8_S8_S8_S8_EEEEZNS1_11reduce_implILb1ES3_NS6_12zip_iteratorINS7_INS6_11hip_rocprim26transform_input_iterator_tIbNSD_35transform_pair_of_input_iterators_tIbNS6_6detail15normal_iteratorINS6_10device_ptrIKsEEEESL_NS6_8equal_toIsEEEENSG_9not_fun_tINSD_8identityEEEEENSD_19counting_iterator_tIlEES8_S8_S8_S8_S8_S8_S8_S8_EEEEPS9_S9_NSD_9__find_if7functorIS9_EEEE10hipError_tPvRmT1_T2_T3_mT4_P12ihipStream_tbEUlT_E1_NS1_11comp_targetILNS1_3genE5ELNS1_11target_archE942ELNS1_3gpuE9ELNS1_3repE0EEENS1_30default_config_static_selectorELNS0_4arch9wavefront6targetE0EEEvS14_.uses_flat_scratch, 0
	.set _ZN7rocprim17ROCPRIM_400000_NS6detail17trampoline_kernelINS0_14default_configENS1_22reduce_config_selectorIN6thrust23THRUST_200600_302600_NS5tupleIblNS6_9null_typeES8_S8_S8_S8_S8_S8_S8_EEEEZNS1_11reduce_implILb1ES3_NS6_12zip_iteratorINS7_INS6_11hip_rocprim26transform_input_iterator_tIbNSD_35transform_pair_of_input_iterators_tIbNS6_6detail15normal_iteratorINS6_10device_ptrIKsEEEESL_NS6_8equal_toIsEEEENSG_9not_fun_tINSD_8identityEEEEENSD_19counting_iterator_tIlEES8_S8_S8_S8_S8_S8_S8_S8_EEEEPS9_S9_NSD_9__find_if7functorIS9_EEEE10hipError_tPvRmT1_T2_T3_mT4_P12ihipStream_tbEUlT_E1_NS1_11comp_targetILNS1_3genE5ELNS1_11target_archE942ELNS1_3gpuE9ELNS1_3repE0EEENS1_30default_config_static_selectorELNS0_4arch9wavefront6targetE0EEEvS14_.has_dyn_sized_stack, 0
	.set _ZN7rocprim17ROCPRIM_400000_NS6detail17trampoline_kernelINS0_14default_configENS1_22reduce_config_selectorIN6thrust23THRUST_200600_302600_NS5tupleIblNS6_9null_typeES8_S8_S8_S8_S8_S8_S8_EEEEZNS1_11reduce_implILb1ES3_NS6_12zip_iteratorINS7_INS6_11hip_rocprim26transform_input_iterator_tIbNSD_35transform_pair_of_input_iterators_tIbNS6_6detail15normal_iteratorINS6_10device_ptrIKsEEEESL_NS6_8equal_toIsEEEENSG_9not_fun_tINSD_8identityEEEEENSD_19counting_iterator_tIlEES8_S8_S8_S8_S8_S8_S8_S8_EEEEPS9_S9_NSD_9__find_if7functorIS9_EEEE10hipError_tPvRmT1_T2_T3_mT4_P12ihipStream_tbEUlT_E1_NS1_11comp_targetILNS1_3genE5ELNS1_11target_archE942ELNS1_3gpuE9ELNS1_3repE0EEENS1_30default_config_static_selectorELNS0_4arch9wavefront6targetE0EEEvS14_.has_recursion, 0
	.set _ZN7rocprim17ROCPRIM_400000_NS6detail17trampoline_kernelINS0_14default_configENS1_22reduce_config_selectorIN6thrust23THRUST_200600_302600_NS5tupleIblNS6_9null_typeES8_S8_S8_S8_S8_S8_S8_EEEEZNS1_11reduce_implILb1ES3_NS6_12zip_iteratorINS7_INS6_11hip_rocprim26transform_input_iterator_tIbNSD_35transform_pair_of_input_iterators_tIbNS6_6detail15normal_iteratorINS6_10device_ptrIKsEEEESL_NS6_8equal_toIsEEEENSG_9not_fun_tINSD_8identityEEEEENSD_19counting_iterator_tIlEES8_S8_S8_S8_S8_S8_S8_S8_EEEEPS9_S9_NSD_9__find_if7functorIS9_EEEE10hipError_tPvRmT1_T2_T3_mT4_P12ihipStream_tbEUlT_E1_NS1_11comp_targetILNS1_3genE5ELNS1_11target_archE942ELNS1_3gpuE9ELNS1_3repE0EEENS1_30default_config_static_selectorELNS0_4arch9wavefront6targetE0EEEvS14_.has_indirect_call, 0
	.section	.AMDGPU.csdata,"",@progbits
; Kernel info:
; codeLenInByte = 0
; TotalNumSgprs: 0
; NumVgprs: 0
; ScratchSize: 0
; MemoryBound: 0
; FloatMode: 240
; IeeeMode: 1
; LDSByteSize: 0 bytes/workgroup (compile time only)
; SGPRBlocks: 0
; VGPRBlocks: 0
; NumSGPRsForWavesPerEU: 1
; NumVGPRsForWavesPerEU: 1
; Occupancy: 16
; WaveLimiterHint : 0
; COMPUTE_PGM_RSRC2:SCRATCH_EN: 0
; COMPUTE_PGM_RSRC2:USER_SGPR: 6
; COMPUTE_PGM_RSRC2:TRAP_HANDLER: 0
; COMPUTE_PGM_RSRC2:TGID_X_EN: 1
; COMPUTE_PGM_RSRC2:TGID_Y_EN: 0
; COMPUTE_PGM_RSRC2:TGID_Z_EN: 0
; COMPUTE_PGM_RSRC2:TIDIG_COMP_CNT: 0
	.section	.text._ZN7rocprim17ROCPRIM_400000_NS6detail17trampoline_kernelINS0_14default_configENS1_22reduce_config_selectorIN6thrust23THRUST_200600_302600_NS5tupleIblNS6_9null_typeES8_S8_S8_S8_S8_S8_S8_EEEEZNS1_11reduce_implILb1ES3_NS6_12zip_iteratorINS7_INS6_11hip_rocprim26transform_input_iterator_tIbNSD_35transform_pair_of_input_iterators_tIbNS6_6detail15normal_iteratorINS6_10device_ptrIKsEEEESL_NS6_8equal_toIsEEEENSG_9not_fun_tINSD_8identityEEEEENSD_19counting_iterator_tIlEES8_S8_S8_S8_S8_S8_S8_S8_EEEEPS9_S9_NSD_9__find_if7functorIS9_EEEE10hipError_tPvRmT1_T2_T3_mT4_P12ihipStream_tbEUlT_E1_NS1_11comp_targetILNS1_3genE4ELNS1_11target_archE910ELNS1_3gpuE8ELNS1_3repE0EEENS1_30default_config_static_selectorELNS0_4arch9wavefront6targetE0EEEvS14_,"axG",@progbits,_ZN7rocprim17ROCPRIM_400000_NS6detail17trampoline_kernelINS0_14default_configENS1_22reduce_config_selectorIN6thrust23THRUST_200600_302600_NS5tupleIblNS6_9null_typeES8_S8_S8_S8_S8_S8_S8_EEEEZNS1_11reduce_implILb1ES3_NS6_12zip_iteratorINS7_INS6_11hip_rocprim26transform_input_iterator_tIbNSD_35transform_pair_of_input_iterators_tIbNS6_6detail15normal_iteratorINS6_10device_ptrIKsEEEESL_NS6_8equal_toIsEEEENSG_9not_fun_tINSD_8identityEEEEENSD_19counting_iterator_tIlEES8_S8_S8_S8_S8_S8_S8_S8_EEEEPS9_S9_NSD_9__find_if7functorIS9_EEEE10hipError_tPvRmT1_T2_T3_mT4_P12ihipStream_tbEUlT_E1_NS1_11comp_targetILNS1_3genE4ELNS1_11target_archE910ELNS1_3gpuE8ELNS1_3repE0EEENS1_30default_config_static_selectorELNS0_4arch9wavefront6targetE0EEEvS14_,comdat
	.protected	_ZN7rocprim17ROCPRIM_400000_NS6detail17trampoline_kernelINS0_14default_configENS1_22reduce_config_selectorIN6thrust23THRUST_200600_302600_NS5tupleIblNS6_9null_typeES8_S8_S8_S8_S8_S8_S8_EEEEZNS1_11reduce_implILb1ES3_NS6_12zip_iteratorINS7_INS6_11hip_rocprim26transform_input_iterator_tIbNSD_35transform_pair_of_input_iterators_tIbNS6_6detail15normal_iteratorINS6_10device_ptrIKsEEEESL_NS6_8equal_toIsEEEENSG_9not_fun_tINSD_8identityEEEEENSD_19counting_iterator_tIlEES8_S8_S8_S8_S8_S8_S8_S8_EEEEPS9_S9_NSD_9__find_if7functorIS9_EEEE10hipError_tPvRmT1_T2_T3_mT4_P12ihipStream_tbEUlT_E1_NS1_11comp_targetILNS1_3genE4ELNS1_11target_archE910ELNS1_3gpuE8ELNS1_3repE0EEENS1_30default_config_static_selectorELNS0_4arch9wavefront6targetE0EEEvS14_ ; -- Begin function _ZN7rocprim17ROCPRIM_400000_NS6detail17trampoline_kernelINS0_14default_configENS1_22reduce_config_selectorIN6thrust23THRUST_200600_302600_NS5tupleIblNS6_9null_typeES8_S8_S8_S8_S8_S8_S8_EEEEZNS1_11reduce_implILb1ES3_NS6_12zip_iteratorINS7_INS6_11hip_rocprim26transform_input_iterator_tIbNSD_35transform_pair_of_input_iterators_tIbNS6_6detail15normal_iteratorINS6_10device_ptrIKsEEEESL_NS6_8equal_toIsEEEENSG_9not_fun_tINSD_8identityEEEEENSD_19counting_iterator_tIlEES8_S8_S8_S8_S8_S8_S8_S8_EEEEPS9_S9_NSD_9__find_if7functorIS9_EEEE10hipError_tPvRmT1_T2_T3_mT4_P12ihipStream_tbEUlT_E1_NS1_11comp_targetILNS1_3genE4ELNS1_11target_archE910ELNS1_3gpuE8ELNS1_3repE0EEENS1_30default_config_static_selectorELNS0_4arch9wavefront6targetE0EEEvS14_
	.globl	_ZN7rocprim17ROCPRIM_400000_NS6detail17trampoline_kernelINS0_14default_configENS1_22reduce_config_selectorIN6thrust23THRUST_200600_302600_NS5tupleIblNS6_9null_typeES8_S8_S8_S8_S8_S8_S8_EEEEZNS1_11reduce_implILb1ES3_NS6_12zip_iteratorINS7_INS6_11hip_rocprim26transform_input_iterator_tIbNSD_35transform_pair_of_input_iterators_tIbNS6_6detail15normal_iteratorINS6_10device_ptrIKsEEEESL_NS6_8equal_toIsEEEENSG_9not_fun_tINSD_8identityEEEEENSD_19counting_iterator_tIlEES8_S8_S8_S8_S8_S8_S8_S8_EEEEPS9_S9_NSD_9__find_if7functorIS9_EEEE10hipError_tPvRmT1_T2_T3_mT4_P12ihipStream_tbEUlT_E1_NS1_11comp_targetILNS1_3genE4ELNS1_11target_archE910ELNS1_3gpuE8ELNS1_3repE0EEENS1_30default_config_static_selectorELNS0_4arch9wavefront6targetE0EEEvS14_
	.p2align	8
	.type	_ZN7rocprim17ROCPRIM_400000_NS6detail17trampoline_kernelINS0_14default_configENS1_22reduce_config_selectorIN6thrust23THRUST_200600_302600_NS5tupleIblNS6_9null_typeES8_S8_S8_S8_S8_S8_S8_EEEEZNS1_11reduce_implILb1ES3_NS6_12zip_iteratorINS7_INS6_11hip_rocprim26transform_input_iterator_tIbNSD_35transform_pair_of_input_iterators_tIbNS6_6detail15normal_iteratorINS6_10device_ptrIKsEEEESL_NS6_8equal_toIsEEEENSG_9not_fun_tINSD_8identityEEEEENSD_19counting_iterator_tIlEES8_S8_S8_S8_S8_S8_S8_S8_EEEEPS9_S9_NSD_9__find_if7functorIS9_EEEE10hipError_tPvRmT1_T2_T3_mT4_P12ihipStream_tbEUlT_E1_NS1_11comp_targetILNS1_3genE4ELNS1_11target_archE910ELNS1_3gpuE8ELNS1_3repE0EEENS1_30default_config_static_selectorELNS0_4arch9wavefront6targetE0EEEvS14_,@function
_ZN7rocprim17ROCPRIM_400000_NS6detail17trampoline_kernelINS0_14default_configENS1_22reduce_config_selectorIN6thrust23THRUST_200600_302600_NS5tupleIblNS6_9null_typeES8_S8_S8_S8_S8_S8_S8_EEEEZNS1_11reduce_implILb1ES3_NS6_12zip_iteratorINS7_INS6_11hip_rocprim26transform_input_iterator_tIbNSD_35transform_pair_of_input_iterators_tIbNS6_6detail15normal_iteratorINS6_10device_ptrIKsEEEESL_NS6_8equal_toIsEEEENSG_9not_fun_tINSD_8identityEEEEENSD_19counting_iterator_tIlEES8_S8_S8_S8_S8_S8_S8_S8_EEEEPS9_S9_NSD_9__find_if7functorIS9_EEEE10hipError_tPvRmT1_T2_T3_mT4_P12ihipStream_tbEUlT_E1_NS1_11comp_targetILNS1_3genE4ELNS1_11target_archE910ELNS1_3gpuE8ELNS1_3repE0EEENS1_30default_config_static_selectorELNS0_4arch9wavefront6targetE0EEEvS14_: ; @_ZN7rocprim17ROCPRIM_400000_NS6detail17trampoline_kernelINS0_14default_configENS1_22reduce_config_selectorIN6thrust23THRUST_200600_302600_NS5tupleIblNS6_9null_typeES8_S8_S8_S8_S8_S8_S8_EEEEZNS1_11reduce_implILb1ES3_NS6_12zip_iteratorINS7_INS6_11hip_rocprim26transform_input_iterator_tIbNSD_35transform_pair_of_input_iterators_tIbNS6_6detail15normal_iteratorINS6_10device_ptrIKsEEEESL_NS6_8equal_toIsEEEENSG_9not_fun_tINSD_8identityEEEEENSD_19counting_iterator_tIlEES8_S8_S8_S8_S8_S8_S8_S8_EEEEPS9_S9_NSD_9__find_if7functorIS9_EEEE10hipError_tPvRmT1_T2_T3_mT4_P12ihipStream_tbEUlT_E1_NS1_11comp_targetILNS1_3genE4ELNS1_11target_archE910ELNS1_3gpuE8ELNS1_3repE0EEENS1_30default_config_static_selectorELNS0_4arch9wavefront6targetE0EEEvS14_
; %bb.0:
	.section	.rodata,"a",@progbits
	.p2align	6, 0x0
	.amdhsa_kernel _ZN7rocprim17ROCPRIM_400000_NS6detail17trampoline_kernelINS0_14default_configENS1_22reduce_config_selectorIN6thrust23THRUST_200600_302600_NS5tupleIblNS6_9null_typeES8_S8_S8_S8_S8_S8_S8_EEEEZNS1_11reduce_implILb1ES3_NS6_12zip_iteratorINS7_INS6_11hip_rocprim26transform_input_iterator_tIbNSD_35transform_pair_of_input_iterators_tIbNS6_6detail15normal_iteratorINS6_10device_ptrIKsEEEESL_NS6_8equal_toIsEEEENSG_9not_fun_tINSD_8identityEEEEENSD_19counting_iterator_tIlEES8_S8_S8_S8_S8_S8_S8_S8_EEEEPS9_S9_NSD_9__find_if7functorIS9_EEEE10hipError_tPvRmT1_T2_T3_mT4_P12ihipStream_tbEUlT_E1_NS1_11comp_targetILNS1_3genE4ELNS1_11target_archE910ELNS1_3gpuE8ELNS1_3repE0EEENS1_30default_config_static_selectorELNS0_4arch9wavefront6targetE0EEEvS14_
		.amdhsa_group_segment_fixed_size 0
		.amdhsa_private_segment_fixed_size 0
		.amdhsa_kernarg_size 88
		.amdhsa_user_sgpr_count 6
		.amdhsa_user_sgpr_private_segment_buffer 1
		.amdhsa_user_sgpr_dispatch_ptr 0
		.amdhsa_user_sgpr_queue_ptr 0
		.amdhsa_user_sgpr_kernarg_segment_ptr 1
		.amdhsa_user_sgpr_dispatch_id 0
		.amdhsa_user_sgpr_flat_scratch_init 0
		.amdhsa_user_sgpr_private_segment_size 0
		.amdhsa_wavefront_size32 1
		.amdhsa_uses_dynamic_stack 0
		.amdhsa_system_sgpr_private_segment_wavefront_offset 0
		.amdhsa_system_sgpr_workgroup_id_x 1
		.amdhsa_system_sgpr_workgroup_id_y 0
		.amdhsa_system_sgpr_workgroup_id_z 0
		.amdhsa_system_sgpr_workgroup_info 0
		.amdhsa_system_vgpr_workitem_id 0
		.amdhsa_next_free_vgpr 1
		.amdhsa_next_free_sgpr 1
		.amdhsa_reserve_vcc 0
		.amdhsa_reserve_flat_scratch 0
		.amdhsa_float_round_mode_32 0
		.amdhsa_float_round_mode_16_64 0
		.amdhsa_float_denorm_mode_32 3
		.amdhsa_float_denorm_mode_16_64 3
		.amdhsa_dx10_clamp 1
		.amdhsa_ieee_mode 1
		.amdhsa_fp16_overflow 0
		.amdhsa_workgroup_processor_mode 1
		.amdhsa_memory_ordered 1
		.amdhsa_forward_progress 1
		.amdhsa_shared_vgpr_count 0
		.amdhsa_exception_fp_ieee_invalid_op 0
		.amdhsa_exception_fp_denorm_src 0
		.amdhsa_exception_fp_ieee_div_zero 0
		.amdhsa_exception_fp_ieee_overflow 0
		.amdhsa_exception_fp_ieee_underflow 0
		.amdhsa_exception_fp_ieee_inexact 0
		.amdhsa_exception_int_div_zero 0
	.end_amdhsa_kernel
	.section	.text._ZN7rocprim17ROCPRIM_400000_NS6detail17trampoline_kernelINS0_14default_configENS1_22reduce_config_selectorIN6thrust23THRUST_200600_302600_NS5tupleIblNS6_9null_typeES8_S8_S8_S8_S8_S8_S8_EEEEZNS1_11reduce_implILb1ES3_NS6_12zip_iteratorINS7_INS6_11hip_rocprim26transform_input_iterator_tIbNSD_35transform_pair_of_input_iterators_tIbNS6_6detail15normal_iteratorINS6_10device_ptrIKsEEEESL_NS6_8equal_toIsEEEENSG_9not_fun_tINSD_8identityEEEEENSD_19counting_iterator_tIlEES8_S8_S8_S8_S8_S8_S8_S8_EEEEPS9_S9_NSD_9__find_if7functorIS9_EEEE10hipError_tPvRmT1_T2_T3_mT4_P12ihipStream_tbEUlT_E1_NS1_11comp_targetILNS1_3genE4ELNS1_11target_archE910ELNS1_3gpuE8ELNS1_3repE0EEENS1_30default_config_static_selectorELNS0_4arch9wavefront6targetE0EEEvS14_,"axG",@progbits,_ZN7rocprim17ROCPRIM_400000_NS6detail17trampoline_kernelINS0_14default_configENS1_22reduce_config_selectorIN6thrust23THRUST_200600_302600_NS5tupleIblNS6_9null_typeES8_S8_S8_S8_S8_S8_S8_EEEEZNS1_11reduce_implILb1ES3_NS6_12zip_iteratorINS7_INS6_11hip_rocprim26transform_input_iterator_tIbNSD_35transform_pair_of_input_iterators_tIbNS6_6detail15normal_iteratorINS6_10device_ptrIKsEEEESL_NS6_8equal_toIsEEEENSG_9not_fun_tINSD_8identityEEEEENSD_19counting_iterator_tIlEES8_S8_S8_S8_S8_S8_S8_S8_EEEEPS9_S9_NSD_9__find_if7functorIS9_EEEE10hipError_tPvRmT1_T2_T3_mT4_P12ihipStream_tbEUlT_E1_NS1_11comp_targetILNS1_3genE4ELNS1_11target_archE910ELNS1_3gpuE8ELNS1_3repE0EEENS1_30default_config_static_selectorELNS0_4arch9wavefront6targetE0EEEvS14_,comdat
.Lfunc_end592:
	.size	_ZN7rocprim17ROCPRIM_400000_NS6detail17trampoline_kernelINS0_14default_configENS1_22reduce_config_selectorIN6thrust23THRUST_200600_302600_NS5tupleIblNS6_9null_typeES8_S8_S8_S8_S8_S8_S8_EEEEZNS1_11reduce_implILb1ES3_NS6_12zip_iteratorINS7_INS6_11hip_rocprim26transform_input_iterator_tIbNSD_35transform_pair_of_input_iterators_tIbNS6_6detail15normal_iteratorINS6_10device_ptrIKsEEEESL_NS6_8equal_toIsEEEENSG_9not_fun_tINSD_8identityEEEEENSD_19counting_iterator_tIlEES8_S8_S8_S8_S8_S8_S8_S8_EEEEPS9_S9_NSD_9__find_if7functorIS9_EEEE10hipError_tPvRmT1_T2_T3_mT4_P12ihipStream_tbEUlT_E1_NS1_11comp_targetILNS1_3genE4ELNS1_11target_archE910ELNS1_3gpuE8ELNS1_3repE0EEENS1_30default_config_static_selectorELNS0_4arch9wavefront6targetE0EEEvS14_, .Lfunc_end592-_ZN7rocprim17ROCPRIM_400000_NS6detail17trampoline_kernelINS0_14default_configENS1_22reduce_config_selectorIN6thrust23THRUST_200600_302600_NS5tupleIblNS6_9null_typeES8_S8_S8_S8_S8_S8_S8_EEEEZNS1_11reduce_implILb1ES3_NS6_12zip_iteratorINS7_INS6_11hip_rocprim26transform_input_iterator_tIbNSD_35transform_pair_of_input_iterators_tIbNS6_6detail15normal_iteratorINS6_10device_ptrIKsEEEESL_NS6_8equal_toIsEEEENSG_9not_fun_tINSD_8identityEEEEENSD_19counting_iterator_tIlEES8_S8_S8_S8_S8_S8_S8_S8_EEEEPS9_S9_NSD_9__find_if7functorIS9_EEEE10hipError_tPvRmT1_T2_T3_mT4_P12ihipStream_tbEUlT_E1_NS1_11comp_targetILNS1_3genE4ELNS1_11target_archE910ELNS1_3gpuE8ELNS1_3repE0EEENS1_30default_config_static_selectorELNS0_4arch9wavefront6targetE0EEEvS14_
                                        ; -- End function
	.set _ZN7rocprim17ROCPRIM_400000_NS6detail17trampoline_kernelINS0_14default_configENS1_22reduce_config_selectorIN6thrust23THRUST_200600_302600_NS5tupleIblNS6_9null_typeES8_S8_S8_S8_S8_S8_S8_EEEEZNS1_11reduce_implILb1ES3_NS6_12zip_iteratorINS7_INS6_11hip_rocprim26transform_input_iterator_tIbNSD_35transform_pair_of_input_iterators_tIbNS6_6detail15normal_iteratorINS6_10device_ptrIKsEEEESL_NS6_8equal_toIsEEEENSG_9not_fun_tINSD_8identityEEEEENSD_19counting_iterator_tIlEES8_S8_S8_S8_S8_S8_S8_S8_EEEEPS9_S9_NSD_9__find_if7functorIS9_EEEE10hipError_tPvRmT1_T2_T3_mT4_P12ihipStream_tbEUlT_E1_NS1_11comp_targetILNS1_3genE4ELNS1_11target_archE910ELNS1_3gpuE8ELNS1_3repE0EEENS1_30default_config_static_selectorELNS0_4arch9wavefront6targetE0EEEvS14_.num_vgpr, 0
	.set _ZN7rocprim17ROCPRIM_400000_NS6detail17trampoline_kernelINS0_14default_configENS1_22reduce_config_selectorIN6thrust23THRUST_200600_302600_NS5tupleIblNS6_9null_typeES8_S8_S8_S8_S8_S8_S8_EEEEZNS1_11reduce_implILb1ES3_NS6_12zip_iteratorINS7_INS6_11hip_rocprim26transform_input_iterator_tIbNSD_35transform_pair_of_input_iterators_tIbNS6_6detail15normal_iteratorINS6_10device_ptrIKsEEEESL_NS6_8equal_toIsEEEENSG_9not_fun_tINSD_8identityEEEEENSD_19counting_iterator_tIlEES8_S8_S8_S8_S8_S8_S8_S8_EEEEPS9_S9_NSD_9__find_if7functorIS9_EEEE10hipError_tPvRmT1_T2_T3_mT4_P12ihipStream_tbEUlT_E1_NS1_11comp_targetILNS1_3genE4ELNS1_11target_archE910ELNS1_3gpuE8ELNS1_3repE0EEENS1_30default_config_static_selectorELNS0_4arch9wavefront6targetE0EEEvS14_.num_agpr, 0
	.set _ZN7rocprim17ROCPRIM_400000_NS6detail17trampoline_kernelINS0_14default_configENS1_22reduce_config_selectorIN6thrust23THRUST_200600_302600_NS5tupleIblNS6_9null_typeES8_S8_S8_S8_S8_S8_S8_EEEEZNS1_11reduce_implILb1ES3_NS6_12zip_iteratorINS7_INS6_11hip_rocprim26transform_input_iterator_tIbNSD_35transform_pair_of_input_iterators_tIbNS6_6detail15normal_iteratorINS6_10device_ptrIKsEEEESL_NS6_8equal_toIsEEEENSG_9not_fun_tINSD_8identityEEEEENSD_19counting_iterator_tIlEES8_S8_S8_S8_S8_S8_S8_S8_EEEEPS9_S9_NSD_9__find_if7functorIS9_EEEE10hipError_tPvRmT1_T2_T3_mT4_P12ihipStream_tbEUlT_E1_NS1_11comp_targetILNS1_3genE4ELNS1_11target_archE910ELNS1_3gpuE8ELNS1_3repE0EEENS1_30default_config_static_selectorELNS0_4arch9wavefront6targetE0EEEvS14_.numbered_sgpr, 0
	.set _ZN7rocprim17ROCPRIM_400000_NS6detail17trampoline_kernelINS0_14default_configENS1_22reduce_config_selectorIN6thrust23THRUST_200600_302600_NS5tupleIblNS6_9null_typeES8_S8_S8_S8_S8_S8_S8_EEEEZNS1_11reduce_implILb1ES3_NS6_12zip_iteratorINS7_INS6_11hip_rocprim26transform_input_iterator_tIbNSD_35transform_pair_of_input_iterators_tIbNS6_6detail15normal_iteratorINS6_10device_ptrIKsEEEESL_NS6_8equal_toIsEEEENSG_9not_fun_tINSD_8identityEEEEENSD_19counting_iterator_tIlEES8_S8_S8_S8_S8_S8_S8_S8_EEEEPS9_S9_NSD_9__find_if7functorIS9_EEEE10hipError_tPvRmT1_T2_T3_mT4_P12ihipStream_tbEUlT_E1_NS1_11comp_targetILNS1_3genE4ELNS1_11target_archE910ELNS1_3gpuE8ELNS1_3repE0EEENS1_30default_config_static_selectorELNS0_4arch9wavefront6targetE0EEEvS14_.num_named_barrier, 0
	.set _ZN7rocprim17ROCPRIM_400000_NS6detail17trampoline_kernelINS0_14default_configENS1_22reduce_config_selectorIN6thrust23THRUST_200600_302600_NS5tupleIblNS6_9null_typeES8_S8_S8_S8_S8_S8_S8_EEEEZNS1_11reduce_implILb1ES3_NS6_12zip_iteratorINS7_INS6_11hip_rocprim26transform_input_iterator_tIbNSD_35transform_pair_of_input_iterators_tIbNS6_6detail15normal_iteratorINS6_10device_ptrIKsEEEESL_NS6_8equal_toIsEEEENSG_9not_fun_tINSD_8identityEEEEENSD_19counting_iterator_tIlEES8_S8_S8_S8_S8_S8_S8_S8_EEEEPS9_S9_NSD_9__find_if7functorIS9_EEEE10hipError_tPvRmT1_T2_T3_mT4_P12ihipStream_tbEUlT_E1_NS1_11comp_targetILNS1_3genE4ELNS1_11target_archE910ELNS1_3gpuE8ELNS1_3repE0EEENS1_30default_config_static_selectorELNS0_4arch9wavefront6targetE0EEEvS14_.private_seg_size, 0
	.set _ZN7rocprim17ROCPRIM_400000_NS6detail17trampoline_kernelINS0_14default_configENS1_22reduce_config_selectorIN6thrust23THRUST_200600_302600_NS5tupleIblNS6_9null_typeES8_S8_S8_S8_S8_S8_S8_EEEEZNS1_11reduce_implILb1ES3_NS6_12zip_iteratorINS7_INS6_11hip_rocprim26transform_input_iterator_tIbNSD_35transform_pair_of_input_iterators_tIbNS6_6detail15normal_iteratorINS6_10device_ptrIKsEEEESL_NS6_8equal_toIsEEEENSG_9not_fun_tINSD_8identityEEEEENSD_19counting_iterator_tIlEES8_S8_S8_S8_S8_S8_S8_S8_EEEEPS9_S9_NSD_9__find_if7functorIS9_EEEE10hipError_tPvRmT1_T2_T3_mT4_P12ihipStream_tbEUlT_E1_NS1_11comp_targetILNS1_3genE4ELNS1_11target_archE910ELNS1_3gpuE8ELNS1_3repE0EEENS1_30default_config_static_selectorELNS0_4arch9wavefront6targetE0EEEvS14_.uses_vcc, 0
	.set _ZN7rocprim17ROCPRIM_400000_NS6detail17trampoline_kernelINS0_14default_configENS1_22reduce_config_selectorIN6thrust23THRUST_200600_302600_NS5tupleIblNS6_9null_typeES8_S8_S8_S8_S8_S8_S8_EEEEZNS1_11reduce_implILb1ES3_NS6_12zip_iteratorINS7_INS6_11hip_rocprim26transform_input_iterator_tIbNSD_35transform_pair_of_input_iterators_tIbNS6_6detail15normal_iteratorINS6_10device_ptrIKsEEEESL_NS6_8equal_toIsEEEENSG_9not_fun_tINSD_8identityEEEEENSD_19counting_iterator_tIlEES8_S8_S8_S8_S8_S8_S8_S8_EEEEPS9_S9_NSD_9__find_if7functorIS9_EEEE10hipError_tPvRmT1_T2_T3_mT4_P12ihipStream_tbEUlT_E1_NS1_11comp_targetILNS1_3genE4ELNS1_11target_archE910ELNS1_3gpuE8ELNS1_3repE0EEENS1_30default_config_static_selectorELNS0_4arch9wavefront6targetE0EEEvS14_.uses_flat_scratch, 0
	.set _ZN7rocprim17ROCPRIM_400000_NS6detail17trampoline_kernelINS0_14default_configENS1_22reduce_config_selectorIN6thrust23THRUST_200600_302600_NS5tupleIblNS6_9null_typeES8_S8_S8_S8_S8_S8_S8_EEEEZNS1_11reduce_implILb1ES3_NS6_12zip_iteratorINS7_INS6_11hip_rocprim26transform_input_iterator_tIbNSD_35transform_pair_of_input_iterators_tIbNS6_6detail15normal_iteratorINS6_10device_ptrIKsEEEESL_NS6_8equal_toIsEEEENSG_9not_fun_tINSD_8identityEEEEENSD_19counting_iterator_tIlEES8_S8_S8_S8_S8_S8_S8_S8_EEEEPS9_S9_NSD_9__find_if7functorIS9_EEEE10hipError_tPvRmT1_T2_T3_mT4_P12ihipStream_tbEUlT_E1_NS1_11comp_targetILNS1_3genE4ELNS1_11target_archE910ELNS1_3gpuE8ELNS1_3repE0EEENS1_30default_config_static_selectorELNS0_4arch9wavefront6targetE0EEEvS14_.has_dyn_sized_stack, 0
	.set _ZN7rocprim17ROCPRIM_400000_NS6detail17trampoline_kernelINS0_14default_configENS1_22reduce_config_selectorIN6thrust23THRUST_200600_302600_NS5tupleIblNS6_9null_typeES8_S8_S8_S8_S8_S8_S8_EEEEZNS1_11reduce_implILb1ES3_NS6_12zip_iteratorINS7_INS6_11hip_rocprim26transform_input_iterator_tIbNSD_35transform_pair_of_input_iterators_tIbNS6_6detail15normal_iteratorINS6_10device_ptrIKsEEEESL_NS6_8equal_toIsEEEENSG_9not_fun_tINSD_8identityEEEEENSD_19counting_iterator_tIlEES8_S8_S8_S8_S8_S8_S8_S8_EEEEPS9_S9_NSD_9__find_if7functorIS9_EEEE10hipError_tPvRmT1_T2_T3_mT4_P12ihipStream_tbEUlT_E1_NS1_11comp_targetILNS1_3genE4ELNS1_11target_archE910ELNS1_3gpuE8ELNS1_3repE0EEENS1_30default_config_static_selectorELNS0_4arch9wavefront6targetE0EEEvS14_.has_recursion, 0
	.set _ZN7rocprim17ROCPRIM_400000_NS6detail17trampoline_kernelINS0_14default_configENS1_22reduce_config_selectorIN6thrust23THRUST_200600_302600_NS5tupleIblNS6_9null_typeES8_S8_S8_S8_S8_S8_S8_EEEEZNS1_11reduce_implILb1ES3_NS6_12zip_iteratorINS7_INS6_11hip_rocprim26transform_input_iterator_tIbNSD_35transform_pair_of_input_iterators_tIbNS6_6detail15normal_iteratorINS6_10device_ptrIKsEEEESL_NS6_8equal_toIsEEEENSG_9not_fun_tINSD_8identityEEEEENSD_19counting_iterator_tIlEES8_S8_S8_S8_S8_S8_S8_S8_EEEEPS9_S9_NSD_9__find_if7functorIS9_EEEE10hipError_tPvRmT1_T2_T3_mT4_P12ihipStream_tbEUlT_E1_NS1_11comp_targetILNS1_3genE4ELNS1_11target_archE910ELNS1_3gpuE8ELNS1_3repE0EEENS1_30default_config_static_selectorELNS0_4arch9wavefront6targetE0EEEvS14_.has_indirect_call, 0
	.section	.AMDGPU.csdata,"",@progbits
; Kernel info:
; codeLenInByte = 0
; TotalNumSgprs: 0
; NumVgprs: 0
; ScratchSize: 0
; MemoryBound: 0
; FloatMode: 240
; IeeeMode: 1
; LDSByteSize: 0 bytes/workgroup (compile time only)
; SGPRBlocks: 0
; VGPRBlocks: 0
; NumSGPRsForWavesPerEU: 1
; NumVGPRsForWavesPerEU: 1
; Occupancy: 16
; WaveLimiterHint : 0
; COMPUTE_PGM_RSRC2:SCRATCH_EN: 0
; COMPUTE_PGM_RSRC2:USER_SGPR: 6
; COMPUTE_PGM_RSRC2:TRAP_HANDLER: 0
; COMPUTE_PGM_RSRC2:TGID_X_EN: 1
; COMPUTE_PGM_RSRC2:TGID_Y_EN: 0
; COMPUTE_PGM_RSRC2:TGID_Z_EN: 0
; COMPUTE_PGM_RSRC2:TIDIG_COMP_CNT: 0
	.section	.text._ZN7rocprim17ROCPRIM_400000_NS6detail17trampoline_kernelINS0_14default_configENS1_22reduce_config_selectorIN6thrust23THRUST_200600_302600_NS5tupleIblNS6_9null_typeES8_S8_S8_S8_S8_S8_S8_EEEEZNS1_11reduce_implILb1ES3_NS6_12zip_iteratorINS7_INS6_11hip_rocprim26transform_input_iterator_tIbNSD_35transform_pair_of_input_iterators_tIbNS6_6detail15normal_iteratorINS6_10device_ptrIKsEEEESL_NS6_8equal_toIsEEEENSG_9not_fun_tINSD_8identityEEEEENSD_19counting_iterator_tIlEES8_S8_S8_S8_S8_S8_S8_S8_EEEEPS9_S9_NSD_9__find_if7functorIS9_EEEE10hipError_tPvRmT1_T2_T3_mT4_P12ihipStream_tbEUlT_E1_NS1_11comp_targetILNS1_3genE3ELNS1_11target_archE908ELNS1_3gpuE7ELNS1_3repE0EEENS1_30default_config_static_selectorELNS0_4arch9wavefront6targetE0EEEvS14_,"axG",@progbits,_ZN7rocprim17ROCPRIM_400000_NS6detail17trampoline_kernelINS0_14default_configENS1_22reduce_config_selectorIN6thrust23THRUST_200600_302600_NS5tupleIblNS6_9null_typeES8_S8_S8_S8_S8_S8_S8_EEEEZNS1_11reduce_implILb1ES3_NS6_12zip_iteratorINS7_INS6_11hip_rocprim26transform_input_iterator_tIbNSD_35transform_pair_of_input_iterators_tIbNS6_6detail15normal_iteratorINS6_10device_ptrIKsEEEESL_NS6_8equal_toIsEEEENSG_9not_fun_tINSD_8identityEEEEENSD_19counting_iterator_tIlEES8_S8_S8_S8_S8_S8_S8_S8_EEEEPS9_S9_NSD_9__find_if7functorIS9_EEEE10hipError_tPvRmT1_T2_T3_mT4_P12ihipStream_tbEUlT_E1_NS1_11comp_targetILNS1_3genE3ELNS1_11target_archE908ELNS1_3gpuE7ELNS1_3repE0EEENS1_30default_config_static_selectorELNS0_4arch9wavefront6targetE0EEEvS14_,comdat
	.protected	_ZN7rocprim17ROCPRIM_400000_NS6detail17trampoline_kernelINS0_14default_configENS1_22reduce_config_selectorIN6thrust23THRUST_200600_302600_NS5tupleIblNS6_9null_typeES8_S8_S8_S8_S8_S8_S8_EEEEZNS1_11reduce_implILb1ES3_NS6_12zip_iteratorINS7_INS6_11hip_rocprim26transform_input_iterator_tIbNSD_35transform_pair_of_input_iterators_tIbNS6_6detail15normal_iteratorINS6_10device_ptrIKsEEEESL_NS6_8equal_toIsEEEENSG_9not_fun_tINSD_8identityEEEEENSD_19counting_iterator_tIlEES8_S8_S8_S8_S8_S8_S8_S8_EEEEPS9_S9_NSD_9__find_if7functorIS9_EEEE10hipError_tPvRmT1_T2_T3_mT4_P12ihipStream_tbEUlT_E1_NS1_11comp_targetILNS1_3genE3ELNS1_11target_archE908ELNS1_3gpuE7ELNS1_3repE0EEENS1_30default_config_static_selectorELNS0_4arch9wavefront6targetE0EEEvS14_ ; -- Begin function _ZN7rocprim17ROCPRIM_400000_NS6detail17trampoline_kernelINS0_14default_configENS1_22reduce_config_selectorIN6thrust23THRUST_200600_302600_NS5tupleIblNS6_9null_typeES8_S8_S8_S8_S8_S8_S8_EEEEZNS1_11reduce_implILb1ES3_NS6_12zip_iteratorINS7_INS6_11hip_rocprim26transform_input_iterator_tIbNSD_35transform_pair_of_input_iterators_tIbNS6_6detail15normal_iteratorINS6_10device_ptrIKsEEEESL_NS6_8equal_toIsEEEENSG_9not_fun_tINSD_8identityEEEEENSD_19counting_iterator_tIlEES8_S8_S8_S8_S8_S8_S8_S8_EEEEPS9_S9_NSD_9__find_if7functorIS9_EEEE10hipError_tPvRmT1_T2_T3_mT4_P12ihipStream_tbEUlT_E1_NS1_11comp_targetILNS1_3genE3ELNS1_11target_archE908ELNS1_3gpuE7ELNS1_3repE0EEENS1_30default_config_static_selectorELNS0_4arch9wavefront6targetE0EEEvS14_
	.globl	_ZN7rocprim17ROCPRIM_400000_NS6detail17trampoline_kernelINS0_14default_configENS1_22reduce_config_selectorIN6thrust23THRUST_200600_302600_NS5tupleIblNS6_9null_typeES8_S8_S8_S8_S8_S8_S8_EEEEZNS1_11reduce_implILb1ES3_NS6_12zip_iteratorINS7_INS6_11hip_rocprim26transform_input_iterator_tIbNSD_35transform_pair_of_input_iterators_tIbNS6_6detail15normal_iteratorINS6_10device_ptrIKsEEEESL_NS6_8equal_toIsEEEENSG_9not_fun_tINSD_8identityEEEEENSD_19counting_iterator_tIlEES8_S8_S8_S8_S8_S8_S8_S8_EEEEPS9_S9_NSD_9__find_if7functorIS9_EEEE10hipError_tPvRmT1_T2_T3_mT4_P12ihipStream_tbEUlT_E1_NS1_11comp_targetILNS1_3genE3ELNS1_11target_archE908ELNS1_3gpuE7ELNS1_3repE0EEENS1_30default_config_static_selectorELNS0_4arch9wavefront6targetE0EEEvS14_
	.p2align	8
	.type	_ZN7rocprim17ROCPRIM_400000_NS6detail17trampoline_kernelINS0_14default_configENS1_22reduce_config_selectorIN6thrust23THRUST_200600_302600_NS5tupleIblNS6_9null_typeES8_S8_S8_S8_S8_S8_S8_EEEEZNS1_11reduce_implILb1ES3_NS6_12zip_iteratorINS7_INS6_11hip_rocprim26transform_input_iterator_tIbNSD_35transform_pair_of_input_iterators_tIbNS6_6detail15normal_iteratorINS6_10device_ptrIKsEEEESL_NS6_8equal_toIsEEEENSG_9not_fun_tINSD_8identityEEEEENSD_19counting_iterator_tIlEES8_S8_S8_S8_S8_S8_S8_S8_EEEEPS9_S9_NSD_9__find_if7functorIS9_EEEE10hipError_tPvRmT1_T2_T3_mT4_P12ihipStream_tbEUlT_E1_NS1_11comp_targetILNS1_3genE3ELNS1_11target_archE908ELNS1_3gpuE7ELNS1_3repE0EEENS1_30default_config_static_selectorELNS0_4arch9wavefront6targetE0EEEvS14_,@function
_ZN7rocprim17ROCPRIM_400000_NS6detail17trampoline_kernelINS0_14default_configENS1_22reduce_config_selectorIN6thrust23THRUST_200600_302600_NS5tupleIblNS6_9null_typeES8_S8_S8_S8_S8_S8_S8_EEEEZNS1_11reduce_implILb1ES3_NS6_12zip_iteratorINS7_INS6_11hip_rocprim26transform_input_iterator_tIbNSD_35transform_pair_of_input_iterators_tIbNS6_6detail15normal_iteratorINS6_10device_ptrIKsEEEESL_NS6_8equal_toIsEEEENSG_9not_fun_tINSD_8identityEEEEENSD_19counting_iterator_tIlEES8_S8_S8_S8_S8_S8_S8_S8_EEEEPS9_S9_NSD_9__find_if7functorIS9_EEEE10hipError_tPvRmT1_T2_T3_mT4_P12ihipStream_tbEUlT_E1_NS1_11comp_targetILNS1_3genE3ELNS1_11target_archE908ELNS1_3gpuE7ELNS1_3repE0EEENS1_30default_config_static_selectorELNS0_4arch9wavefront6targetE0EEEvS14_: ; @_ZN7rocprim17ROCPRIM_400000_NS6detail17trampoline_kernelINS0_14default_configENS1_22reduce_config_selectorIN6thrust23THRUST_200600_302600_NS5tupleIblNS6_9null_typeES8_S8_S8_S8_S8_S8_S8_EEEEZNS1_11reduce_implILb1ES3_NS6_12zip_iteratorINS7_INS6_11hip_rocprim26transform_input_iterator_tIbNSD_35transform_pair_of_input_iterators_tIbNS6_6detail15normal_iteratorINS6_10device_ptrIKsEEEESL_NS6_8equal_toIsEEEENSG_9not_fun_tINSD_8identityEEEEENSD_19counting_iterator_tIlEES8_S8_S8_S8_S8_S8_S8_S8_EEEEPS9_S9_NSD_9__find_if7functorIS9_EEEE10hipError_tPvRmT1_T2_T3_mT4_P12ihipStream_tbEUlT_E1_NS1_11comp_targetILNS1_3genE3ELNS1_11target_archE908ELNS1_3gpuE7ELNS1_3repE0EEENS1_30default_config_static_selectorELNS0_4arch9wavefront6targetE0EEEvS14_
; %bb.0:
	.section	.rodata,"a",@progbits
	.p2align	6, 0x0
	.amdhsa_kernel _ZN7rocprim17ROCPRIM_400000_NS6detail17trampoline_kernelINS0_14default_configENS1_22reduce_config_selectorIN6thrust23THRUST_200600_302600_NS5tupleIblNS6_9null_typeES8_S8_S8_S8_S8_S8_S8_EEEEZNS1_11reduce_implILb1ES3_NS6_12zip_iteratorINS7_INS6_11hip_rocprim26transform_input_iterator_tIbNSD_35transform_pair_of_input_iterators_tIbNS6_6detail15normal_iteratorINS6_10device_ptrIKsEEEESL_NS6_8equal_toIsEEEENSG_9not_fun_tINSD_8identityEEEEENSD_19counting_iterator_tIlEES8_S8_S8_S8_S8_S8_S8_S8_EEEEPS9_S9_NSD_9__find_if7functorIS9_EEEE10hipError_tPvRmT1_T2_T3_mT4_P12ihipStream_tbEUlT_E1_NS1_11comp_targetILNS1_3genE3ELNS1_11target_archE908ELNS1_3gpuE7ELNS1_3repE0EEENS1_30default_config_static_selectorELNS0_4arch9wavefront6targetE0EEEvS14_
		.amdhsa_group_segment_fixed_size 0
		.amdhsa_private_segment_fixed_size 0
		.amdhsa_kernarg_size 88
		.amdhsa_user_sgpr_count 6
		.amdhsa_user_sgpr_private_segment_buffer 1
		.amdhsa_user_sgpr_dispatch_ptr 0
		.amdhsa_user_sgpr_queue_ptr 0
		.amdhsa_user_sgpr_kernarg_segment_ptr 1
		.amdhsa_user_sgpr_dispatch_id 0
		.amdhsa_user_sgpr_flat_scratch_init 0
		.amdhsa_user_sgpr_private_segment_size 0
		.amdhsa_wavefront_size32 1
		.amdhsa_uses_dynamic_stack 0
		.amdhsa_system_sgpr_private_segment_wavefront_offset 0
		.amdhsa_system_sgpr_workgroup_id_x 1
		.amdhsa_system_sgpr_workgroup_id_y 0
		.amdhsa_system_sgpr_workgroup_id_z 0
		.amdhsa_system_sgpr_workgroup_info 0
		.amdhsa_system_vgpr_workitem_id 0
		.amdhsa_next_free_vgpr 1
		.amdhsa_next_free_sgpr 1
		.amdhsa_reserve_vcc 0
		.amdhsa_reserve_flat_scratch 0
		.amdhsa_float_round_mode_32 0
		.amdhsa_float_round_mode_16_64 0
		.amdhsa_float_denorm_mode_32 3
		.amdhsa_float_denorm_mode_16_64 3
		.amdhsa_dx10_clamp 1
		.amdhsa_ieee_mode 1
		.amdhsa_fp16_overflow 0
		.amdhsa_workgroup_processor_mode 1
		.amdhsa_memory_ordered 1
		.amdhsa_forward_progress 1
		.amdhsa_shared_vgpr_count 0
		.amdhsa_exception_fp_ieee_invalid_op 0
		.amdhsa_exception_fp_denorm_src 0
		.amdhsa_exception_fp_ieee_div_zero 0
		.amdhsa_exception_fp_ieee_overflow 0
		.amdhsa_exception_fp_ieee_underflow 0
		.amdhsa_exception_fp_ieee_inexact 0
		.amdhsa_exception_int_div_zero 0
	.end_amdhsa_kernel
	.section	.text._ZN7rocprim17ROCPRIM_400000_NS6detail17trampoline_kernelINS0_14default_configENS1_22reduce_config_selectorIN6thrust23THRUST_200600_302600_NS5tupleIblNS6_9null_typeES8_S8_S8_S8_S8_S8_S8_EEEEZNS1_11reduce_implILb1ES3_NS6_12zip_iteratorINS7_INS6_11hip_rocprim26transform_input_iterator_tIbNSD_35transform_pair_of_input_iterators_tIbNS6_6detail15normal_iteratorINS6_10device_ptrIKsEEEESL_NS6_8equal_toIsEEEENSG_9not_fun_tINSD_8identityEEEEENSD_19counting_iterator_tIlEES8_S8_S8_S8_S8_S8_S8_S8_EEEEPS9_S9_NSD_9__find_if7functorIS9_EEEE10hipError_tPvRmT1_T2_T3_mT4_P12ihipStream_tbEUlT_E1_NS1_11comp_targetILNS1_3genE3ELNS1_11target_archE908ELNS1_3gpuE7ELNS1_3repE0EEENS1_30default_config_static_selectorELNS0_4arch9wavefront6targetE0EEEvS14_,"axG",@progbits,_ZN7rocprim17ROCPRIM_400000_NS6detail17trampoline_kernelINS0_14default_configENS1_22reduce_config_selectorIN6thrust23THRUST_200600_302600_NS5tupleIblNS6_9null_typeES8_S8_S8_S8_S8_S8_S8_EEEEZNS1_11reduce_implILb1ES3_NS6_12zip_iteratorINS7_INS6_11hip_rocprim26transform_input_iterator_tIbNSD_35transform_pair_of_input_iterators_tIbNS6_6detail15normal_iteratorINS6_10device_ptrIKsEEEESL_NS6_8equal_toIsEEEENSG_9not_fun_tINSD_8identityEEEEENSD_19counting_iterator_tIlEES8_S8_S8_S8_S8_S8_S8_S8_EEEEPS9_S9_NSD_9__find_if7functorIS9_EEEE10hipError_tPvRmT1_T2_T3_mT4_P12ihipStream_tbEUlT_E1_NS1_11comp_targetILNS1_3genE3ELNS1_11target_archE908ELNS1_3gpuE7ELNS1_3repE0EEENS1_30default_config_static_selectorELNS0_4arch9wavefront6targetE0EEEvS14_,comdat
.Lfunc_end593:
	.size	_ZN7rocprim17ROCPRIM_400000_NS6detail17trampoline_kernelINS0_14default_configENS1_22reduce_config_selectorIN6thrust23THRUST_200600_302600_NS5tupleIblNS6_9null_typeES8_S8_S8_S8_S8_S8_S8_EEEEZNS1_11reduce_implILb1ES3_NS6_12zip_iteratorINS7_INS6_11hip_rocprim26transform_input_iterator_tIbNSD_35transform_pair_of_input_iterators_tIbNS6_6detail15normal_iteratorINS6_10device_ptrIKsEEEESL_NS6_8equal_toIsEEEENSG_9not_fun_tINSD_8identityEEEEENSD_19counting_iterator_tIlEES8_S8_S8_S8_S8_S8_S8_S8_EEEEPS9_S9_NSD_9__find_if7functorIS9_EEEE10hipError_tPvRmT1_T2_T3_mT4_P12ihipStream_tbEUlT_E1_NS1_11comp_targetILNS1_3genE3ELNS1_11target_archE908ELNS1_3gpuE7ELNS1_3repE0EEENS1_30default_config_static_selectorELNS0_4arch9wavefront6targetE0EEEvS14_, .Lfunc_end593-_ZN7rocprim17ROCPRIM_400000_NS6detail17trampoline_kernelINS0_14default_configENS1_22reduce_config_selectorIN6thrust23THRUST_200600_302600_NS5tupleIblNS6_9null_typeES8_S8_S8_S8_S8_S8_S8_EEEEZNS1_11reduce_implILb1ES3_NS6_12zip_iteratorINS7_INS6_11hip_rocprim26transform_input_iterator_tIbNSD_35transform_pair_of_input_iterators_tIbNS6_6detail15normal_iteratorINS6_10device_ptrIKsEEEESL_NS6_8equal_toIsEEEENSG_9not_fun_tINSD_8identityEEEEENSD_19counting_iterator_tIlEES8_S8_S8_S8_S8_S8_S8_S8_EEEEPS9_S9_NSD_9__find_if7functorIS9_EEEE10hipError_tPvRmT1_T2_T3_mT4_P12ihipStream_tbEUlT_E1_NS1_11comp_targetILNS1_3genE3ELNS1_11target_archE908ELNS1_3gpuE7ELNS1_3repE0EEENS1_30default_config_static_selectorELNS0_4arch9wavefront6targetE0EEEvS14_
                                        ; -- End function
	.set _ZN7rocprim17ROCPRIM_400000_NS6detail17trampoline_kernelINS0_14default_configENS1_22reduce_config_selectorIN6thrust23THRUST_200600_302600_NS5tupleIblNS6_9null_typeES8_S8_S8_S8_S8_S8_S8_EEEEZNS1_11reduce_implILb1ES3_NS6_12zip_iteratorINS7_INS6_11hip_rocprim26transform_input_iterator_tIbNSD_35transform_pair_of_input_iterators_tIbNS6_6detail15normal_iteratorINS6_10device_ptrIKsEEEESL_NS6_8equal_toIsEEEENSG_9not_fun_tINSD_8identityEEEEENSD_19counting_iterator_tIlEES8_S8_S8_S8_S8_S8_S8_S8_EEEEPS9_S9_NSD_9__find_if7functorIS9_EEEE10hipError_tPvRmT1_T2_T3_mT4_P12ihipStream_tbEUlT_E1_NS1_11comp_targetILNS1_3genE3ELNS1_11target_archE908ELNS1_3gpuE7ELNS1_3repE0EEENS1_30default_config_static_selectorELNS0_4arch9wavefront6targetE0EEEvS14_.num_vgpr, 0
	.set _ZN7rocprim17ROCPRIM_400000_NS6detail17trampoline_kernelINS0_14default_configENS1_22reduce_config_selectorIN6thrust23THRUST_200600_302600_NS5tupleIblNS6_9null_typeES8_S8_S8_S8_S8_S8_S8_EEEEZNS1_11reduce_implILb1ES3_NS6_12zip_iteratorINS7_INS6_11hip_rocprim26transform_input_iterator_tIbNSD_35transform_pair_of_input_iterators_tIbNS6_6detail15normal_iteratorINS6_10device_ptrIKsEEEESL_NS6_8equal_toIsEEEENSG_9not_fun_tINSD_8identityEEEEENSD_19counting_iterator_tIlEES8_S8_S8_S8_S8_S8_S8_S8_EEEEPS9_S9_NSD_9__find_if7functorIS9_EEEE10hipError_tPvRmT1_T2_T3_mT4_P12ihipStream_tbEUlT_E1_NS1_11comp_targetILNS1_3genE3ELNS1_11target_archE908ELNS1_3gpuE7ELNS1_3repE0EEENS1_30default_config_static_selectorELNS0_4arch9wavefront6targetE0EEEvS14_.num_agpr, 0
	.set _ZN7rocprim17ROCPRIM_400000_NS6detail17trampoline_kernelINS0_14default_configENS1_22reduce_config_selectorIN6thrust23THRUST_200600_302600_NS5tupleIblNS6_9null_typeES8_S8_S8_S8_S8_S8_S8_EEEEZNS1_11reduce_implILb1ES3_NS6_12zip_iteratorINS7_INS6_11hip_rocprim26transform_input_iterator_tIbNSD_35transform_pair_of_input_iterators_tIbNS6_6detail15normal_iteratorINS6_10device_ptrIKsEEEESL_NS6_8equal_toIsEEEENSG_9not_fun_tINSD_8identityEEEEENSD_19counting_iterator_tIlEES8_S8_S8_S8_S8_S8_S8_S8_EEEEPS9_S9_NSD_9__find_if7functorIS9_EEEE10hipError_tPvRmT1_T2_T3_mT4_P12ihipStream_tbEUlT_E1_NS1_11comp_targetILNS1_3genE3ELNS1_11target_archE908ELNS1_3gpuE7ELNS1_3repE0EEENS1_30default_config_static_selectorELNS0_4arch9wavefront6targetE0EEEvS14_.numbered_sgpr, 0
	.set _ZN7rocprim17ROCPRIM_400000_NS6detail17trampoline_kernelINS0_14default_configENS1_22reduce_config_selectorIN6thrust23THRUST_200600_302600_NS5tupleIblNS6_9null_typeES8_S8_S8_S8_S8_S8_S8_EEEEZNS1_11reduce_implILb1ES3_NS6_12zip_iteratorINS7_INS6_11hip_rocprim26transform_input_iterator_tIbNSD_35transform_pair_of_input_iterators_tIbNS6_6detail15normal_iteratorINS6_10device_ptrIKsEEEESL_NS6_8equal_toIsEEEENSG_9not_fun_tINSD_8identityEEEEENSD_19counting_iterator_tIlEES8_S8_S8_S8_S8_S8_S8_S8_EEEEPS9_S9_NSD_9__find_if7functorIS9_EEEE10hipError_tPvRmT1_T2_T3_mT4_P12ihipStream_tbEUlT_E1_NS1_11comp_targetILNS1_3genE3ELNS1_11target_archE908ELNS1_3gpuE7ELNS1_3repE0EEENS1_30default_config_static_selectorELNS0_4arch9wavefront6targetE0EEEvS14_.num_named_barrier, 0
	.set _ZN7rocprim17ROCPRIM_400000_NS6detail17trampoline_kernelINS0_14default_configENS1_22reduce_config_selectorIN6thrust23THRUST_200600_302600_NS5tupleIblNS6_9null_typeES8_S8_S8_S8_S8_S8_S8_EEEEZNS1_11reduce_implILb1ES3_NS6_12zip_iteratorINS7_INS6_11hip_rocprim26transform_input_iterator_tIbNSD_35transform_pair_of_input_iterators_tIbNS6_6detail15normal_iteratorINS6_10device_ptrIKsEEEESL_NS6_8equal_toIsEEEENSG_9not_fun_tINSD_8identityEEEEENSD_19counting_iterator_tIlEES8_S8_S8_S8_S8_S8_S8_S8_EEEEPS9_S9_NSD_9__find_if7functorIS9_EEEE10hipError_tPvRmT1_T2_T3_mT4_P12ihipStream_tbEUlT_E1_NS1_11comp_targetILNS1_3genE3ELNS1_11target_archE908ELNS1_3gpuE7ELNS1_3repE0EEENS1_30default_config_static_selectorELNS0_4arch9wavefront6targetE0EEEvS14_.private_seg_size, 0
	.set _ZN7rocprim17ROCPRIM_400000_NS6detail17trampoline_kernelINS0_14default_configENS1_22reduce_config_selectorIN6thrust23THRUST_200600_302600_NS5tupleIblNS6_9null_typeES8_S8_S8_S8_S8_S8_S8_EEEEZNS1_11reduce_implILb1ES3_NS6_12zip_iteratorINS7_INS6_11hip_rocprim26transform_input_iterator_tIbNSD_35transform_pair_of_input_iterators_tIbNS6_6detail15normal_iteratorINS6_10device_ptrIKsEEEESL_NS6_8equal_toIsEEEENSG_9not_fun_tINSD_8identityEEEEENSD_19counting_iterator_tIlEES8_S8_S8_S8_S8_S8_S8_S8_EEEEPS9_S9_NSD_9__find_if7functorIS9_EEEE10hipError_tPvRmT1_T2_T3_mT4_P12ihipStream_tbEUlT_E1_NS1_11comp_targetILNS1_3genE3ELNS1_11target_archE908ELNS1_3gpuE7ELNS1_3repE0EEENS1_30default_config_static_selectorELNS0_4arch9wavefront6targetE0EEEvS14_.uses_vcc, 0
	.set _ZN7rocprim17ROCPRIM_400000_NS6detail17trampoline_kernelINS0_14default_configENS1_22reduce_config_selectorIN6thrust23THRUST_200600_302600_NS5tupleIblNS6_9null_typeES8_S8_S8_S8_S8_S8_S8_EEEEZNS1_11reduce_implILb1ES3_NS6_12zip_iteratorINS7_INS6_11hip_rocprim26transform_input_iterator_tIbNSD_35transform_pair_of_input_iterators_tIbNS6_6detail15normal_iteratorINS6_10device_ptrIKsEEEESL_NS6_8equal_toIsEEEENSG_9not_fun_tINSD_8identityEEEEENSD_19counting_iterator_tIlEES8_S8_S8_S8_S8_S8_S8_S8_EEEEPS9_S9_NSD_9__find_if7functorIS9_EEEE10hipError_tPvRmT1_T2_T3_mT4_P12ihipStream_tbEUlT_E1_NS1_11comp_targetILNS1_3genE3ELNS1_11target_archE908ELNS1_3gpuE7ELNS1_3repE0EEENS1_30default_config_static_selectorELNS0_4arch9wavefront6targetE0EEEvS14_.uses_flat_scratch, 0
	.set _ZN7rocprim17ROCPRIM_400000_NS6detail17trampoline_kernelINS0_14default_configENS1_22reduce_config_selectorIN6thrust23THRUST_200600_302600_NS5tupleIblNS6_9null_typeES8_S8_S8_S8_S8_S8_S8_EEEEZNS1_11reduce_implILb1ES3_NS6_12zip_iteratorINS7_INS6_11hip_rocprim26transform_input_iterator_tIbNSD_35transform_pair_of_input_iterators_tIbNS6_6detail15normal_iteratorINS6_10device_ptrIKsEEEESL_NS6_8equal_toIsEEEENSG_9not_fun_tINSD_8identityEEEEENSD_19counting_iterator_tIlEES8_S8_S8_S8_S8_S8_S8_S8_EEEEPS9_S9_NSD_9__find_if7functorIS9_EEEE10hipError_tPvRmT1_T2_T3_mT4_P12ihipStream_tbEUlT_E1_NS1_11comp_targetILNS1_3genE3ELNS1_11target_archE908ELNS1_3gpuE7ELNS1_3repE0EEENS1_30default_config_static_selectorELNS0_4arch9wavefront6targetE0EEEvS14_.has_dyn_sized_stack, 0
	.set _ZN7rocprim17ROCPRIM_400000_NS6detail17trampoline_kernelINS0_14default_configENS1_22reduce_config_selectorIN6thrust23THRUST_200600_302600_NS5tupleIblNS6_9null_typeES8_S8_S8_S8_S8_S8_S8_EEEEZNS1_11reduce_implILb1ES3_NS6_12zip_iteratorINS7_INS6_11hip_rocprim26transform_input_iterator_tIbNSD_35transform_pair_of_input_iterators_tIbNS6_6detail15normal_iteratorINS6_10device_ptrIKsEEEESL_NS6_8equal_toIsEEEENSG_9not_fun_tINSD_8identityEEEEENSD_19counting_iterator_tIlEES8_S8_S8_S8_S8_S8_S8_S8_EEEEPS9_S9_NSD_9__find_if7functorIS9_EEEE10hipError_tPvRmT1_T2_T3_mT4_P12ihipStream_tbEUlT_E1_NS1_11comp_targetILNS1_3genE3ELNS1_11target_archE908ELNS1_3gpuE7ELNS1_3repE0EEENS1_30default_config_static_selectorELNS0_4arch9wavefront6targetE0EEEvS14_.has_recursion, 0
	.set _ZN7rocprim17ROCPRIM_400000_NS6detail17trampoline_kernelINS0_14default_configENS1_22reduce_config_selectorIN6thrust23THRUST_200600_302600_NS5tupleIblNS6_9null_typeES8_S8_S8_S8_S8_S8_S8_EEEEZNS1_11reduce_implILb1ES3_NS6_12zip_iteratorINS7_INS6_11hip_rocprim26transform_input_iterator_tIbNSD_35transform_pair_of_input_iterators_tIbNS6_6detail15normal_iteratorINS6_10device_ptrIKsEEEESL_NS6_8equal_toIsEEEENSG_9not_fun_tINSD_8identityEEEEENSD_19counting_iterator_tIlEES8_S8_S8_S8_S8_S8_S8_S8_EEEEPS9_S9_NSD_9__find_if7functorIS9_EEEE10hipError_tPvRmT1_T2_T3_mT4_P12ihipStream_tbEUlT_E1_NS1_11comp_targetILNS1_3genE3ELNS1_11target_archE908ELNS1_3gpuE7ELNS1_3repE0EEENS1_30default_config_static_selectorELNS0_4arch9wavefront6targetE0EEEvS14_.has_indirect_call, 0
	.section	.AMDGPU.csdata,"",@progbits
; Kernel info:
; codeLenInByte = 0
; TotalNumSgprs: 0
; NumVgprs: 0
; ScratchSize: 0
; MemoryBound: 0
; FloatMode: 240
; IeeeMode: 1
; LDSByteSize: 0 bytes/workgroup (compile time only)
; SGPRBlocks: 0
; VGPRBlocks: 0
; NumSGPRsForWavesPerEU: 1
; NumVGPRsForWavesPerEU: 1
; Occupancy: 16
; WaveLimiterHint : 0
; COMPUTE_PGM_RSRC2:SCRATCH_EN: 0
; COMPUTE_PGM_RSRC2:USER_SGPR: 6
; COMPUTE_PGM_RSRC2:TRAP_HANDLER: 0
; COMPUTE_PGM_RSRC2:TGID_X_EN: 1
; COMPUTE_PGM_RSRC2:TGID_Y_EN: 0
; COMPUTE_PGM_RSRC2:TGID_Z_EN: 0
; COMPUTE_PGM_RSRC2:TIDIG_COMP_CNT: 0
	.section	.text._ZN7rocprim17ROCPRIM_400000_NS6detail17trampoline_kernelINS0_14default_configENS1_22reduce_config_selectorIN6thrust23THRUST_200600_302600_NS5tupleIblNS6_9null_typeES8_S8_S8_S8_S8_S8_S8_EEEEZNS1_11reduce_implILb1ES3_NS6_12zip_iteratorINS7_INS6_11hip_rocprim26transform_input_iterator_tIbNSD_35transform_pair_of_input_iterators_tIbNS6_6detail15normal_iteratorINS6_10device_ptrIKsEEEESL_NS6_8equal_toIsEEEENSG_9not_fun_tINSD_8identityEEEEENSD_19counting_iterator_tIlEES8_S8_S8_S8_S8_S8_S8_S8_EEEEPS9_S9_NSD_9__find_if7functorIS9_EEEE10hipError_tPvRmT1_T2_T3_mT4_P12ihipStream_tbEUlT_E1_NS1_11comp_targetILNS1_3genE2ELNS1_11target_archE906ELNS1_3gpuE6ELNS1_3repE0EEENS1_30default_config_static_selectorELNS0_4arch9wavefront6targetE0EEEvS14_,"axG",@progbits,_ZN7rocprim17ROCPRIM_400000_NS6detail17trampoline_kernelINS0_14default_configENS1_22reduce_config_selectorIN6thrust23THRUST_200600_302600_NS5tupleIblNS6_9null_typeES8_S8_S8_S8_S8_S8_S8_EEEEZNS1_11reduce_implILb1ES3_NS6_12zip_iteratorINS7_INS6_11hip_rocprim26transform_input_iterator_tIbNSD_35transform_pair_of_input_iterators_tIbNS6_6detail15normal_iteratorINS6_10device_ptrIKsEEEESL_NS6_8equal_toIsEEEENSG_9not_fun_tINSD_8identityEEEEENSD_19counting_iterator_tIlEES8_S8_S8_S8_S8_S8_S8_S8_EEEEPS9_S9_NSD_9__find_if7functorIS9_EEEE10hipError_tPvRmT1_T2_T3_mT4_P12ihipStream_tbEUlT_E1_NS1_11comp_targetILNS1_3genE2ELNS1_11target_archE906ELNS1_3gpuE6ELNS1_3repE0EEENS1_30default_config_static_selectorELNS0_4arch9wavefront6targetE0EEEvS14_,comdat
	.protected	_ZN7rocprim17ROCPRIM_400000_NS6detail17trampoline_kernelINS0_14default_configENS1_22reduce_config_selectorIN6thrust23THRUST_200600_302600_NS5tupleIblNS6_9null_typeES8_S8_S8_S8_S8_S8_S8_EEEEZNS1_11reduce_implILb1ES3_NS6_12zip_iteratorINS7_INS6_11hip_rocprim26transform_input_iterator_tIbNSD_35transform_pair_of_input_iterators_tIbNS6_6detail15normal_iteratorINS6_10device_ptrIKsEEEESL_NS6_8equal_toIsEEEENSG_9not_fun_tINSD_8identityEEEEENSD_19counting_iterator_tIlEES8_S8_S8_S8_S8_S8_S8_S8_EEEEPS9_S9_NSD_9__find_if7functorIS9_EEEE10hipError_tPvRmT1_T2_T3_mT4_P12ihipStream_tbEUlT_E1_NS1_11comp_targetILNS1_3genE2ELNS1_11target_archE906ELNS1_3gpuE6ELNS1_3repE0EEENS1_30default_config_static_selectorELNS0_4arch9wavefront6targetE0EEEvS14_ ; -- Begin function _ZN7rocprim17ROCPRIM_400000_NS6detail17trampoline_kernelINS0_14default_configENS1_22reduce_config_selectorIN6thrust23THRUST_200600_302600_NS5tupleIblNS6_9null_typeES8_S8_S8_S8_S8_S8_S8_EEEEZNS1_11reduce_implILb1ES3_NS6_12zip_iteratorINS7_INS6_11hip_rocprim26transform_input_iterator_tIbNSD_35transform_pair_of_input_iterators_tIbNS6_6detail15normal_iteratorINS6_10device_ptrIKsEEEESL_NS6_8equal_toIsEEEENSG_9not_fun_tINSD_8identityEEEEENSD_19counting_iterator_tIlEES8_S8_S8_S8_S8_S8_S8_S8_EEEEPS9_S9_NSD_9__find_if7functorIS9_EEEE10hipError_tPvRmT1_T2_T3_mT4_P12ihipStream_tbEUlT_E1_NS1_11comp_targetILNS1_3genE2ELNS1_11target_archE906ELNS1_3gpuE6ELNS1_3repE0EEENS1_30default_config_static_selectorELNS0_4arch9wavefront6targetE0EEEvS14_
	.globl	_ZN7rocprim17ROCPRIM_400000_NS6detail17trampoline_kernelINS0_14default_configENS1_22reduce_config_selectorIN6thrust23THRUST_200600_302600_NS5tupleIblNS6_9null_typeES8_S8_S8_S8_S8_S8_S8_EEEEZNS1_11reduce_implILb1ES3_NS6_12zip_iteratorINS7_INS6_11hip_rocprim26transform_input_iterator_tIbNSD_35transform_pair_of_input_iterators_tIbNS6_6detail15normal_iteratorINS6_10device_ptrIKsEEEESL_NS6_8equal_toIsEEEENSG_9not_fun_tINSD_8identityEEEEENSD_19counting_iterator_tIlEES8_S8_S8_S8_S8_S8_S8_S8_EEEEPS9_S9_NSD_9__find_if7functorIS9_EEEE10hipError_tPvRmT1_T2_T3_mT4_P12ihipStream_tbEUlT_E1_NS1_11comp_targetILNS1_3genE2ELNS1_11target_archE906ELNS1_3gpuE6ELNS1_3repE0EEENS1_30default_config_static_selectorELNS0_4arch9wavefront6targetE0EEEvS14_
	.p2align	8
	.type	_ZN7rocprim17ROCPRIM_400000_NS6detail17trampoline_kernelINS0_14default_configENS1_22reduce_config_selectorIN6thrust23THRUST_200600_302600_NS5tupleIblNS6_9null_typeES8_S8_S8_S8_S8_S8_S8_EEEEZNS1_11reduce_implILb1ES3_NS6_12zip_iteratorINS7_INS6_11hip_rocprim26transform_input_iterator_tIbNSD_35transform_pair_of_input_iterators_tIbNS6_6detail15normal_iteratorINS6_10device_ptrIKsEEEESL_NS6_8equal_toIsEEEENSG_9not_fun_tINSD_8identityEEEEENSD_19counting_iterator_tIlEES8_S8_S8_S8_S8_S8_S8_S8_EEEEPS9_S9_NSD_9__find_if7functorIS9_EEEE10hipError_tPvRmT1_T2_T3_mT4_P12ihipStream_tbEUlT_E1_NS1_11comp_targetILNS1_3genE2ELNS1_11target_archE906ELNS1_3gpuE6ELNS1_3repE0EEENS1_30default_config_static_selectorELNS0_4arch9wavefront6targetE0EEEvS14_,@function
_ZN7rocprim17ROCPRIM_400000_NS6detail17trampoline_kernelINS0_14default_configENS1_22reduce_config_selectorIN6thrust23THRUST_200600_302600_NS5tupleIblNS6_9null_typeES8_S8_S8_S8_S8_S8_S8_EEEEZNS1_11reduce_implILb1ES3_NS6_12zip_iteratorINS7_INS6_11hip_rocprim26transform_input_iterator_tIbNSD_35transform_pair_of_input_iterators_tIbNS6_6detail15normal_iteratorINS6_10device_ptrIKsEEEESL_NS6_8equal_toIsEEEENSG_9not_fun_tINSD_8identityEEEEENSD_19counting_iterator_tIlEES8_S8_S8_S8_S8_S8_S8_S8_EEEEPS9_S9_NSD_9__find_if7functorIS9_EEEE10hipError_tPvRmT1_T2_T3_mT4_P12ihipStream_tbEUlT_E1_NS1_11comp_targetILNS1_3genE2ELNS1_11target_archE906ELNS1_3gpuE6ELNS1_3repE0EEENS1_30default_config_static_selectorELNS0_4arch9wavefront6targetE0EEEvS14_: ; @_ZN7rocprim17ROCPRIM_400000_NS6detail17trampoline_kernelINS0_14default_configENS1_22reduce_config_selectorIN6thrust23THRUST_200600_302600_NS5tupleIblNS6_9null_typeES8_S8_S8_S8_S8_S8_S8_EEEEZNS1_11reduce_implILb1ES3_NS6_12zip_iteratorINS7_INS6_11hip_rocprim26transform_input_iterator_tIbNSD_35transform_pair_of_input_iterators_tIbNS6_6detail15normal_iteratorINS6_10device_ptrIKsEEEESL_NS6_8equal_toIsEEEENSG_9not_fun_tINSD_8identityEEEEENSD_19counting_iterator_tIlEES8_S8_S8_S8_S8_S8_S8_S8_EEEEPS9_S9_NSD_9__find_if7functorIS9_EEEE10hipError_tPvRmT1_T2_T3_mT4_P12ihipStream_tbEUlT_E1_NS1_11comp_targetILNS1_3genE2ELNS1_11target_archE906ELNS1_3gpuE6ELNS1_3repE0EEENS1_30default_config_static_selectorELNS0_4arch9wavefront6targetE0EEEvS14_
; %bb.0:
	.section	.rodata,"a",@progbits
	.p2align	6, 0x0
	.amdhsa_kernel _ZN7rocprim17ROCPRIM_400000_NS6detail17trampoline_kernelINS0_14default_configENS1_22reduce_config_selectorIN6thrust23THRUST_200600_302600_NS5tupleIblNS6_9null_typeES8_S8_S8_S8_S8_S8_S8_EEEEZNS1_11reduce_implILb1ES3_NS6_12zip_iteratorINS7_INS6_11hip_rocprim26transform_input_iterator_tIbNSD_35transform_pair_of_input_iterators_tIbNS6_6detail15normal_iteratorINS6_10device_ptrIKsEEEESL_NS6_8equal_toIsEEEENSG_9not_fun_tINSD_8identityEEEEENSD_19counting_iterator_tIlEES8_S8_S8_S8_S8_S8_S8_S8_EEEEPS9_S9_NSD_9__find_if7functorIS9_EEEE10hipError_tPvRmT1_T2_T3_mT4_P12ihipStream_tbEUlT_E1_NS1_11comp_targetILNS1_3genE2ELNS1_11target_archE906ELNS1_3gpuE6ELNS1_3repE0EEENS1_30default_config_static_selectorELNS0_4arch9wavefront6targetE0EEEvS14_
		.amdhsa_group_segment_fixed_size 0
		.amdhsa_private_segment_fixed_size 0
		.amdhsa_kernarg_size 88
		.amdhsa_user_sgpr_count 6
		.amdhsa_user_sgpr_private_segment_buffer 1
		.amdhsa_user_sgpr_dispatch_ptr 0
		.amdhsa_user_sgpr_queue_ptr 0
		.amdhsa_user_sgpr_kernarg_segment_ptr 1
		.amdhsa_user_sgpr_dispatch_id 0
		.amdhsa_user_sgpr_flat_scratch_init 0
		.amdhsa_user_sgpr_private_segment_size 0
		.amdhsa_wavefront_size32 1
		.amdhsa_uses_dynamic_stack 0
		.amdhsa_system_sgpr_private_segment_wavefront_offset 0
		.amdhsa_system_sgpr_workgroup_id_x 1
		.amdhsa_system_sgpr_workgroup_id_y 0
		.amdhsa_system_sgpr_workgroup_id_z 0
		.amdhsa_system_sgpr_workgroup_info 0
		.amdhsa_system_vgpr_workitem_id 0
		.amdhsa_next_free_vgpr 1
		.amdhsa_next_free_sgpr 1
		.amdhsa_reserve_vcc 0
		.amdhsa_reserve_flat_scratch 0
		.amdhsa_float_round_mode_32 0
		.amdhsa_float_round_mode_16_64 0
		.amdhsa_float_denorm_mode_32 3
		.amdhsa_float_denorm_mode_16_64 3
		.amdhsa_dx10_clamp 1
		.amdhsa_ieee_mode 1
		.amdhsa_fp16_overflow 0
		.amdhsa_workgroup_processor_mode 1
		.amdhsa_memory_ordered 1
		.amdhsa_forward_progress 1
		.amdhsa_shared_vgpr_count 0
		.amdhsa_exception_fp_ieee_invalid_op 0
		.amdhsa_exception_fp_denorm_src 0
		.amdhsa_exception_fp_ieee_div_zero 0
		.amdhsa_exception_fp_ieee_overflow 0
		.amdhsa_exception_fp_ieee_underflow 0
		.amdhsa_exception_fp_ieee_inexact 0
		.amdhsa_exception_int_div_zero 0
	.end_amdhsa_kernel
	.section	.text._ZN7rocprim17ROCPRIM_400000_NS6detail17trampoline_kernelINS0_14default_configENS1_22reduce_config_selectorIN6thrust23THRUST_200600_302600_NS5tupleIblNS6_9null_typeES8_S8_S8_S8_S8_S8_S8_EEEEZNS1_11reduce_implILb1ES3_NS6_12zip_iteratorINS7_INS6_11hip_rocprim26transform_input_iterator_tIbNSD_35transform_pair_of_input_iterators_tIbNS6_6detail15normal_iteratorINS6_10device_ptrIKsEEEESL_NS6_8equal_toIsEEEENSG_9not_fun_tINSD_8identityEEEEENSD_19counting_iterator_tIlEES8_S8_S8_S8_S8_S8_S8_S8_EEEEPS9_S9_NSD_9__find_if7functorIS9_EEEE10hipError_tPvRmT1_T2_T3_mT4_P12ihipStream_tbEUlT_E1_NS1_11comp_targetILNS1_3genE2ELNS1_11target_archE906ELNS1_3gpuE6ELNS1_3repE0EEENS1_30default_config_static_selectorELNS0_4arch9wavefront6targetE0EEEvS14_,"axG",@progbits,_ZN7rocprim17ROCPRIM_400000_NS6detail17trampoline_kernelINS0_14default_configENS1_22reduce_config_selectorIN6thrust23THRUST_200600_302600_NS5tupleIblNS6_9null_typeES8_S8_S8_S8_S8_S8_S8_EEEEZNS1_11reduce_implILb1ES3_NS6_12zip_iteratorINS7_INS6_11hip_rocprim26transform_input_iterator_tIbNSD_35transform_pair_of_input_iterators_tIbNS6_6detail15normal_iteratorINS6_10device_ptrIKsEEEESL_NS6_8equal_toIsEEEENSG_9not_fun_tINSD_8identityEEEEENSD_19counting_iterator_tIlEES8_S8_S8_S8_S8_S8_S8_S8_EEEEPS9_S9_NSD_9__find_if7functorIS9_EEEE10hipError_tPvRmT1_T2_T3_mT4_P12ihipStream_tbEUlT_E1_NS1_11comp_targetILNS1_3genE2ELNS1_11target_archE906ELNS1_3gpuE6ELNS1_3repE0EEENS1_30default_config_static_selectorELNS0_4arch9wavefront6targetE0EEEvS14_,comdat
.Lfunc_end594:
	.size	_ZN7rocprim17ROCPRIM_400000_NS6detail17trampoline_kernelINS0_14default_configENS1_22reduce_config_selectorIN6thrust23THRUST_200600_302600_NS5tupleIblNS6_9null_typeES8_S8_S8_S8_S8_S8_S8_EEEEZNS1_11reduce_implILb1ES3_NS6_12zip_iteratorINS7_INS6_11hip_rocprim26transform_input_iterator_tIbNSD_35transform_pair_of_input_iterators_tIbNS6_6detail15normal_iteratorINS6_10device_ptrIKsEEEESL_NS6_8equal_toIsEEEENSG_9not_fun_tINSD_8identityEEEEENSD_19counting_iterator_tIlEES8_S8_S8_S8_S8_S8_S8_S8_EEEEPS9_S9_NSD_9__find_if7functorIS9_EEEE10hipError_tPvRmT1_T2_T3_mT4_P12ihipStream_tbEUlT_E1_NS1_11comp_targetILNS1_3genE2ELNS1_11target_archE906ELNS1_3gpuE6ELNS1_3repE0EEENS1_30default_config_static_selectorELNS0_4arch9wavefront6targetE0EEEvS14_, .Lfunc_end594-_ZN7rocprim17ROCPRIM_400000_NS6detail17trampoline_kernelINS0_14default_configENS1_22reduce_config_selectorIN6thrust23THRUST_200600_302600_NS5tupleIblNS6_9null_typeES8_S8_S8_S8_S8_S8_S8_EEEEZNS1_11reduce_implILb1ES3_NS6_12zip_iteratorINS7_INS6_11hip_rocprim26transform_input_iterator_tIbNSD_35transform_pair_of_input_iterators_tIbNS6_6detail15normal_iteratorINS6_10device_ptrIKsEEEESL_NS6_8equal_toIsEEEENSG_9not_fun_tINSD_8identityEEEEENSD_19counting_iterator_tIlEES8_S8_S8_S8_S8_S8_S8_S8_EEEEPS9_S9_NSD_9__find_if7functorIS9_EEEE10hipError_tPvRmT1_T2_T3_mT4_P12ihipStream_tbEUlT_E1_NS1_11comp_targetILNS1_3genE2ELNS1_11target_archE906ELNS1_3gpuE6ELNS1_3repE0EEENS1_30default_config_static_selectorELNS0_4arch9wavefront6targetE0EEEvS14_
                                        ; -- End function
	.set _ZN7rocprim17ROCPRIM_400000_NS6detail17trampoline_kernelINS0_14default_configENS1_22reduce_config_selectorIN6thrust23THRUST_200600_302600_NS5tupleIblNS6_9null_typeES8_S8_S8_S8_S8_S8_S8_EEEEZNS1_11reduce_implILb1ES3_NS6_12zip_iteratorINS7_INS6_11hip_rocprim26transform_input_iterator_tIbNSD_35transform_pair_of_input_iterators_tIbNS6_6detail15normal_iteratorINS6_10device_ptrIKsEEEESL_NS6_8equal_toIsEEEENSG_9not_fun_tINSD_8identityEEEEENSD_19counting_iterator_tIlEES8_S8_S8_S8_S8_S8_S8_S8_EEEEPS9_S9_NSD_9__find_if7functorIS9_EEEE10hipError_tPvRmT1_T2_T3_mT4_P12ihipStream_tbEUlT_E1_NS1_11comp_targetILNS1_3genE2ELNS1_11target_archE906ELNS1_3gpuE6ELNS1_3repE0EEENS1_30default_config_static_selectorELNS0_4arch9wavefront6targetE0EEEvS14_.num_vgpr, 0
	.set _ZN7rocprim17ROCPRIM_400000_NS6detail17trampoline_kernelINS0_14default_configENS1_22reduce_config_selectorIN6thrust23THRUST_200600_302600_NS5tupleIblNS6_9null_typeES8_S8_S8_S8_S8_S8_S8_EEEEZNS1_11reduce_implILb1ES3_NS6_12zip_iteratorINS7_INS6_11hip_rocprim26transform_input_iterator_tIbNSD_35transform_pair_of_input_iterators_tIbNS6_6detail15normal_iteratorINS6_10device_ptrIKsEEEESL_NS6_8equal_toIsEEEENSG_9not_fun_tINSD_8identityEEEEENSD_19counting_iterator_tIlEES8_S8_S8_S8_S8_S8_S8_S8_EEEEPS9_S9_NSD_9__find_if7functorIS9_EEEE10hipError_tPvRmT1_T2_T3_mT4_P12ihipStream_tbEUlT_E1_NS1_11comp_targetILNS1_3genE2ELNS1_11target_archE906ELNS1_3gpuE6ELNS1_3repE0EEENS1_30default_config_static_selectorELNS0_4arch9wavefront6targetE0EEEvS14_.num_agpr, 0
	.set _ZN7rocprim17ROCPRIM_400000_NS6detail17trampoline_kernelINS0_14default_configENS1_22reduce_config_selectorIN6thrust23THRUST_200600_302600_NS5tupleIblNS6_9null_typeES8_S8_S8_S8_S8_S8_S8_EEEEZNS1_11reduce_implILb1ES3_NS6_12zip_iteratorINS7_INS6_11hip_rocprim26transform_input_iterator_tIbNSD_35transform_pair_of_input_iterators_tIbNS6_6detail15normal_iteratorINS6_10device_ptrIKsEEEESL_NS6_8equal_toIsEEEENSG_9not_fun_tINSD_8identityEEEEENSD_19counting_iterator_tIlEES8_S8_S8_S8_S8_S8_S8_S8_EEEEPS9_S9_NSD_9__find_if7functorIS9_EEEE10hipError_tPvRmT1_T2_T3_mT4_P12ihipStream_tbEUlT_E1_NS1_11comp_targetILNS1_3genE2ELNS1_11target_archE906ELNS1_3gpuE6ELNS1_3repE0EEENS1_30default_config_static_selectorELNS0_4arch9wavefront6targetE0EEEvS14_.numbered_sgpr, 0
	.set _ZN7rocprim17ROCPRIM_400000_NS6detail17trampoline_kernelINS0_14default_configENS1_22reduce_config_selectorIN6thrust23THRUST_200600_302600_NS5tupleIblNS6_9null_typeES8_S8_S8_S8_S8_S8_S8_EEEEZNS1_11reduce_implILb1ES3_NS6_12zip_iteratorINS7_INS6_11hip_rocprim26transform_input_iterator_tIbNSD_35transform_pair_of_input_iterators_tIbNS6_6detail15normal_iteratorINS6_10device_ptrIKsEEEESL_NS6_8equal_toIsEEEENSG_9not_fun_tINSD_8identityEEEEENSD_19counting_iterator_tIlEES8_S8_S8_S8_S8_S8_S8_S8_EEEEPS9_S9_NSD_9__find_if7functorIS9_EEEE10hipError_tPvRmT1_T2_T3_mT4_P12ihipStream_tbEUlT_E1_NS1_11comp_targetILNS1_3genE2ELNS1_11target_archE906ELNS1_3gpuE6ELNS1_3repE0EEENS1_30default_config_static_selectorELNS0_4arch9wavefront6targetE0EEEvS14_.num_named_barrier, 0
	.set _ZN7rocprim17ROCPRIM_400000_NS6detail17trampoline_kernelINS0_14default_configENS1_22reduce_config_selectorIN6thrust23THRUST_200600_302600_NS5tupleIblNS6_9null_typeES8_S8_S8_S8_S8_S8_S8_EEEEZNS1_11reduce_implILb1ES3_NS6_12zip_iteratorINS7_INS6_11hip_rocprim26transform_input_iterator_tIbNSD_35transform_pair_of_input_iterators_tIbNS6_6detail15normal_iteratorINS6_10device_ptrIKsEEEESL_NS6_8equal_toIsEEEENSG_9not_fun_tINSD_8identityEEEEENSD_19counting_iterator_tIlEES8_S8_S8_S8_S8_S8_S8_S8_EEEEPS9_S9_NSD_9__find_if7functorIS9_EEEE10hipError_tPvRmT1_T2_T3_mT4_P12ihipStream_tbEUlT_E1_NS1_11comp_targetILNS1_3genE2ELNS1_11target_archE906ELNS1_3gpuE6ELNS1_3repE0EEENS1_30default_config_static_selectorELNS0_4arch9wavefront6targetE0EEEvS14_.private_seg_size, 0
	.set _ZN7rocprim17ROCPRIM_400000_NS6detail17trampoline_kernelINS0_14default_configENS1_22reduce_config_selectorIN6thrust23THRUST_200600_302600_NS5tupleIblNS6_9null_typeES8_S8_S8_S8_S8_S8_S8_EEEEZNS1_11reduce_implILb1ES3_NS6_12zip_iteratorINS7_INS6_11hip_rocprim26transform_input_iterator_tIbNSD_35transform_pair_of_input_iterators_tIbNS6_6detail15normal_iteratorINS6_10device_ptrIKsEEEESL_NS6_8equal_toIsEEEENSG_9not_fun_tINSD_8identityEEEEENSD_19counting_iterator_tIlEES8_S8_S8_S8_S8_S8_S8_S8_EEEEPS9_S9_NSD_9__find_if7functorIS9_EEEE10hipError_tPvRmT1_T2_T3_mT4_P12ihipStream_tbEUlT_E1_NS1_11comp_targetILNS1_3genE2ELNS1_11target_archE906ELNS1_3gpuE6ELNS1_3repE0EEENS1_30default_config_static_selectorELNS0_4arch9wavefront6targetE0EEEvS14_.uses_vcc, 0
	.set _ZN7rocprim17ROCPRIM_400000_NS6detail17trampoline_kernelINS0_14default_configENS1_22reduce_config_selectorIN6thrust23THRUST_200600_302600_NS5tupleIblNS6_9null_typeES8_S8_S8_S8_S8_S8_S8_EEEEZNS1_11reduce_implILb1ES3_NS6_12zip_iteratorINS7_INS6_11hip_rocprim26transform_input_iterator_tIbNSD_35transform_pair_of_input_iterators_tIbNS6_6detail15normal_iteratorINS6_10device_ptrIKsEEEESL_NS6_8equal_toIsEEEENSG_9not_fun_tINSD_8identityEEEEENSD_19counting_iterator_tIlEES8_S8_S8_S8_S8_S8_S8_S8_EEEEPS9_S9_NSD_9__find_if7functorIS9_EEEE10hipError_tPvRmT1_T2_T3_mT4_P12ihipStream_tbEUlT_E1_NS1_11comp_targetILNS1_3genE2ELNS1_11target_archE906ELNS1_3gpuE6ELNS1_3repE0EEENS1_30default_config_static_selectorELNS0_4arch9wavefront6targetE0EEEvS14_.uses_flat_scratch, 0
	.set _ZN7rocprim17ROCPRIM_400000_NS6detail17trampoline_kernelINS0_14default_configENS1_22reduce_config_selectorIN6thrust23THRUST_200600_302600_NS5tupleIblNS6_9null_typeES8_S8_S8_S8_S8_S8_S8_EEEEZNS1_11reduce_implILb1ES3_NS6_12zip_iteratorINS7_INS6_11hip_rocprim26transform_input_iterator_tIbNSD_35transform_pair_of_input_iterators_tIbNS6_6detail15normal_iteratorINS6_10device_ptrIKsEEEESL_NS6_8equal_toIsEEEENSG_9not_fun_tINSD_8identityEEEEENSD_19counting_iterator_tIlEES8_S8_S8_S8_S8_S8_S8_S8_EEEEPS9_S9_NSD_9__find_if7functorIS9_EEEE10hipError_tPvRmT1_T2_T3_mT4_P12ihipStream_tbEUlT_E1_NS1_11comp_targetILNS1_3genE2ELNS1_11target_archE906ELNS1_3gpuE6ELNS1_3repE0EEENS1_30default_config_static_selectorELNS0_4arch9wavefront6targetE0EEEvS14_.has_dyn_sized_stack, 0
	.set _ZN7rocprim17ROCPRIM_400000_NS6detail17trampoline_kernelINS0_14default_configENS1_22reduce_config_selectorIN6thrust23THRUST_200600_302600_NS5tupleIblNS6_9null_typeES8_S8_S8_S8_S8_S8_S8_EEEEZNS1_11reduce_implILb1ES3_NS6_12zip_iteratorINS7_INS6_11hip_rocprim26transform_input_iterator_tIbNSD_35transform_pair_of_input_iterators_tIbNS6_6detail15normal_iteratorINS6_10device_ptrIKsEEEESL_NS6_8equal_toIsEEEENSG_9not_fun_tINSD_8identityEEEEENSD_19counting_iterator_tIlEES8_S8_S8_S8_S8_S8_S8_S8_EEEEPS9_S9_NSD_9__find_if7functorIS9_EEEE10hipError_tPvRmT1_T2_T3_mT4_P12ihipStream_tbEUlT_E1_NS1_11comp_targetILNS1_3genE2ELNS1_11target_archE906ELNS1_3gpuE6ELNS1_3repE0EEENS1_30default_config_static_selectorELNS0_4arch9wavefront6targetE0EEEvS14_.has_recursion, 0
	.set _ZN7rocprim17ROCPRIM_400000_NS6detail17trampoline_kernelINS0_14default_configENS1_22reduce_config_selectorIN6thrust23THRUST_200600_302600_NS5tupleIblNS6_9null_typeES8_S8_S8_S8_S8_S8_S8_EEEEZNS1_11reduce_implILb1ES3_NS6_12zip_iteratorINS7_INS6_11hip_rocprim26transform_input_iterator_tIbNSD_35transform_pair_of_input_iterators_tIbNS6_6detail15normal_iteratorINS6_10device_ptrIKsEEEESL_NS6_8equal_toIsEEEENSG_9not_fun_tINSD_8identityEEEEENSD_19counting_iterator_tIlEES8_S8_S8_S8_S8_S8_S8_S8_EEEEPS9_S9_NSD_9__find_if7functorIS9_EEEE10hipError_tPvRmT1_T2_T3_mT4_P12ihipStream_tbEUlT_E1_NS1_11comp_targetILNS1_3genE2ELNS1_11target_archE906ELNS1_3gpuE6ELNS1_3repE0EEENS1_30default_config_static_selectorELNS0_4arch9wavefront6targetE0EEEvS14_.has_indirect_call, 0
	.section	.AMDGPU.csdata,"",@progbits
; Kernel info:
; codeLenInByte = 0
; TotalNumSgprs: 0
; NumVgprs: 0
; ScratchSize: 0
; MemoryBound: 0
; FloatMode: 240
; IeeeMode: 1
; LDSByteSize: 0 bytes/workgroup (compile time only)
; SGPRBlocks: 0
; VGPRBlocks: 0
; NumSGPRsForWavesPerEU: 1
; NumVGPRsForWavesPerEU: 1
; Occupancy: 16
; WaveLimiterHint : 0
; COMPUTE_PGM_RSRC2:SCRATCH_EN: 0
; COMPUTE_PGM_RSRC2:USER_SGPR: 6
; COMPUTE_PGM_RSRC2:TRAP_HANDLER: 0
; COMPUTE_PGM_RSRC2:TGID_X_EN: 1
; COMPUTE_PGM_RSRC2:TGID_Y_EN: 0
; COMPUTE_PGM_RSRC2:TGID_Z_EN: 0
; COMPUTE_PGM_RSRC2:TIDIG_COMP_CNT: 0
	.section	.text._ZN7rocprim17ROCPRIM_400000_NS6detail17trampoline_kernelINS0_14default_configENS1_22reduce_config_selectorIN6thrust23THRUST_200600_302600_NS5tupleIblNS6_9null_typeES8_S8_S8_S8_S8_S8_S8_EEEEZNS1_11reduce_implILb1ES3_NS6_12zip_iteratorINS7_INS6_11hip_rocprim26transform_input_iterator_tIbNSD_35transform_pair_of_input_iterators_tIbNS6_6detail15normal_iteratorINS6_10device_ptrIKsEEEESL_NS6_8equal_toIsEEEENSG_9not_fun_tINSD_8identityEEEEENSD_19counting_iterator_tIlEES8_S8_S8_S8_S8_S8_S8_S8_EEEEPS9_S9_NSD_9__find_if7functorIS9_EEEE10hipError_tPvRmT1_T2_T3_mT4_P12ihipStream_tbEUlT_E1_NS1_11comp_targetILNS1_3genE10ELNS1_11target_archE1201ELNS1_3gpuE5ELNS1_3repE0EEENS1_30default_config_static_selectorELNS0_4arch9wavefront6targetE0EEEvS14_,"axG",@progbits,_ZN7rocprim17ROCPRIM_400000_NS6detail17trampoline_kernelINS0_14default_configENS1_22reduce_config_selectorIN6thrust23THRUST_200600_302600_NS5tupleIblNS6_9null_typeES8_S8_S8_S8_S8_S8_S8_EEEEZNS1_11reduce_implILb1ES3_NS6_12zip_iteratorINS7_INS6_11hip_rocprim26transform_input_iterator_tIbNSD_35transform_pair_of_input_iterators_tIbNS6_6detail15normal_iteratorINS6_10device_ptrIKsEEEESL_NS6_8equal_toIsEEEENSG_9not_fun_tINSD_8identityEEEEENSD_19counting_iterator_tIlEES8_S8_S8_S8_S8_S8_S8_S8_EEEEPS9_S9_NSD_9__find_if7functorIS9_EEEE10hipError_tPvRmT1_T2_T3_mT4_P12ihipStream_tbEUlT_E1_NS1_11comp_targetILNS1_3genE10ELNS1_11target_archE1201ELNS1_3gpuE5ELNS1_3repE0EEENS1_30default_config_static_selectorELNS0_4arch9wavefront6targetE0EEEvS14_,comdat
	.protected	_ZN7rocprim17ROCPRIM_400000_NS6detail17trampoline_kernelINS0_14default_configENS1_22reduce_config_selectorIN6thrust23THRUST_200600_302600_NS5tupleIblNS6_9null_typeES8_S8_S8_S8_S8_S8_S8_EEEEZNS1_11reduce_implILb1ES3_NS6_12zip_iteratorINS7_INS6_11hip_rocprim26transform_input_iterator_tIbNSD_35transform_pair_of_input_iterators_tIbNS6_6detail15normal_iteratorINS6_10device_ptrIKsEEEESL_NS6_8equal_toIsEEEENSG_9not_fun_tINSD_8identityEEEEENSD_19counting_iterator_tIlEES8_S8_S8_S8_S8_S8_S8_S8_EEEEPS9_S9_NSD_9__find_if7functorIS9_EEEE10hipError_tPvRmT1_T2_T3_mT4_P12ihipStream_tbEUlT_E1_NS1_11comp_targetILNS1_3genE10ELNS1_11target_archE1201ELNS1_3gpuE5ELNS1_3repE0EEENS1_30default_config_static_selectorELNS0_4arch9wavefront6targetE0EEEvS14_ ; -- Begin function _ZN7rocprim17ROCPRIM_400000_NS6detail17trampoline_kernelINS0_14default_configENS1_22reduce_config_selectorIN6thrust23THRUST_200600_302600_NS5tupleIblNS6_9null_typeES8_S8_S8_S8_S8_S8_S8_EEEEZNS1_11reduce_implILb1ES3_NS6_12zip_iteratorINS7_INS6_11hip_rocprim26transform_input_iterator_tIbNSD_35transform_pair_of_input_iterators_tIbNS6_6detail15normal_iteratorINS6_10device_ptrIKsEEEESL_NS6_8equal_toIsEEEENSG_9not_fun_tINSD_8identityEEEEENSD_19counting_iterator_tIlEES8_S8_S8_S8_S8_S8_S8_S8_EEEEPS9_S9_NSD_9__find_if7functorIS9_EEEE10hipError_tPvRmT1_T2_T3_mT4_P12ihipStream_tbEUlT_E1_NS1_11comp_targetILNS1_3genE10ELNS1_11target_archE1201ELNS1_3gpuE5ELNS1_3repE0EEENS1_30default_config_static_selectorELNS0_4arch9wavefront6targetE0EEEvS14_
	.globl	_ZN7rocprim17ROCPRIM_400000_NS6detail17trampoline_kernelINS0_14default_configENS1_22reduce_config_selectorIN6thrust23THRUST_200600_302600_NS5tupleIblNS6_9null_typeES8_S8_S8_S8_S8_S8_S8_EEEEZNS1_11reduce_implILb1ES3_NS6_12zip_iteratorINS7_INS6_11hip_rocprim26transform_input_iterator_tIbNSD_35transform_pair_of_input_iterators_tIbNS6_6detail15normal_iteratorINS6_10device_ptrIKsEEEESL_NS6_8equal_toIsEEEENSG_9not_fun_tINSD_8identityEEEEENSD_19counting_iterator_tIlEES8_S8_S8_S8_S8_S8_S8_S8_EEEEPS9_S9_NSD_9__find_if7functorIS9_EEEE10hipError_tPvRmT1_T2_T3_mT4_P12ihipStream_tbEUlT_E1_NS1_11comp_targetILNS1_3genE10ELNS1_11target_archE1201ELNS1_3gpuE5ELNS1_3repE0EEENS1_30default_config_static_selectorELNS0_4arch9wavefront6targetE0EEEvS14_
	.p2align	8
	.type	_ZN7rocprim17ROCPRIM_400000_NS6detail17trampoline_kernelINS0_14default_configENS1_22reduce_config_selectorIN6thrust23THRUST_200600_302600_NS5tupleIblNS6_9null_typeES8_S8_S8_S8_S8_S8_S8_EEEEZNS1_11reduce_implILb1ES3_NS6_12zip_iteratorINS7_INS6_11hip_rocprim26transform_input_iterator_tIbNSD_35transform_pair_of_input_iterators_tIbNS6_6detail15normal_iteratorINS6_10device_ptrIKsEEEESL_NS6_8equal_toIsEEEENSG_9not_fun_tINSD_8identityEEEEENSD_19counting_iterator_tIlEES8_S8_S8_S8_S8_S8_S8_S8_EEEEPS9_S9_NSD_9__find_if7functorIS9_EEEE10hipError_tPvRmT1_T2_T3_mT4_P12ihipStream_tbEUlT_E1_NS1_11comp_targetILNS1_3genE10ELNS1_11target_archE1201ELNS1_3gpuE5ELNS1_3repE0EEENS1_30default_config_static_selectorELNS0_4arch9wavefront6targetE0EEEvS14_,@function
_ZN7rocprim17ROCPRIM_400000_NS6detail17trampoline_kernelINS0_14default_configENS1_22reduce_config_selectorIN6thrust23THRUST_200600_302600_NS5tupleIblNS6_9null_typeES8_S8_S8_S8_S8_S8_S8_EEEEZNS1_11reduce_implILb1ES3_NS6_12zip_iteratorINS7_INS6_11hip_rocprim26transform_input_iterator_tIbNSD_35transform_pair_of_input_iterators_tIbNS6_6detail15normal_iteratorINS6_10device_ptrIKsEEEESL_NS6_8equal_toIsEEEENSG_9not_fun_tINSD_8identityEEEEENSD_19counting_iterator_tIlEES8_S8_S8_S8_S8_S8_S8_S8_EEEEPS9_S9_NSD_9__find_if7functorIS9_EEEE10hipError_tPvRmT1_T2_T3_mT4_P12ihipStream_tbEUlT_E1_NS1_11comp_targetILNS1_3genE10ELNS1_11target_archE1201ELNS1_3gpuE5ELNS1_3repE0EEENS1_30default_config_static_selectorELNS0_4arch9wavefront6targetE0EEEvS14_: ; @_ZN7rocprim17ROCPRIM_400000_NS6detail17trampoline_kernelINS0_14default_configENS1_22reduce_config_selectorIN6thrust23THRUST_200600_302600_NS5tupleIblNS6_9null_typeES8_S8_S8_S8_S8_S8_S8_EEEEZNS1_11reduce_implILb1ES3_NS6_12zip_iteratorINS7_INS6_11hip_rocprim26transform_input_iterator_tIbNSD_35transform_pair_of_input_iterators_tIbNS6_6detail15normal_iteratorINS6_10device_ptrIKsEEEESL_NS6_8equal_toIsEEEENSG_9not_fun_tINSD_8identityEEEEENSD_19counting_iterator_tIlEES8_S8_S8_S8_S8_S8_S8_S8_EEEEPS9_S9_NSD_9__find_if7functorIS9_EEEE10hipError_tPvRmT1_T2_T3_mT4_P12ihipStream_tbEUlT_E1_NS1_11comp_targetILNS1_3genE10ELNS1_11target_archE1201ELNS1_3gpuE5ELNS1_3repE0EEENS1_30default_config_static_selectorELNS0_4arch9wavefront6targetE0EEEvS14_
; %bb.0:
	.section	.rodata,"a",@progbits
	.p2align	6, 0x0
	.amdhsa_kernel _ZN7rocprim17ROCPRIM_400000_NS6detail17trampoline_kernelINS0_14default_configENS1_22reduce_config_selectorIN6thrust23THRUST_200600_302600_NS5tupleIblNS6_9null_typeES8_S8_S8_S8_S8_S8_S8_EEEEZNS1_11reduce_implILb1ES3_NS6_12zip_iteratorINS7_INS6_11hip_rocprim26transform_input_iterator_tIbNSD_35transform_pair_of_input_iterators_tIbNS6_6detail15normal_iteratorINS6_10device_ptrIKsEEEESL_NS6_8equal_toIsEEEENSG_9not_fun_tINSD_8identityEEEEENSD_19counting_iterator_tIlEES8_S8_S8_S8_S8_S8_S8_S8_EEEEPS9_S9_NSD_9__find_if7functorIS9_EEEE10hipError_tPvRmT1_T2_T3_mT4_P12ihipStream_tbEUlT_E1_NS1_11comp_targetILNS1_3genE10ELNS1_11target_archE1201ELNS1_3gpuE5ELNS1_3repE0EEENS1_30default_config_static_selectorELNS0_4arch9wavefront6targetE0EEEvS14_
		.amdhsa_group_segment_fixed_size 0
		.amdhsa_private_segment_fixed_size 0
		.amdhsa_kernarg_size 88
		.amdhsa_user_sgpr_count 6
		.amdhsa_user_sgpr_private_segment_buffer 1
		.amdhsa_user_sgpr_dispatch_ptr 0
		.amdhsa_user_sgpr_queue_ptr 0
		.amdhsa_user_sgpr_kernarg_segment_ptr 1
		.amdhsa_user_sgpr_dispatch_id 0
		.amdhsa_user_sgpr_flat_scratch_init 0
		.amdhsa_user_sgpr_private_segment_size 0
		.amdhsa_wavefront_size32 1
		.amdhsa_uses_dynamic_stack 0
		.amdhsa_system_sgpr_private_segment_wavefront_offset 0
		.amdhsa_system_sgpr_workgroup_id_x 1
		.amdhsa_system_sgpr_workgroup_id_y 0
		.amdhsa_system_sgpr_workgroup_id_z 0
		.amdhsa_system_sgpr_workgroup_info 0
		.amdhsa_system_vgpr_workitem_id 0
		.amdhsa_next_free_vgpr 1
		.amdhsa_next_free_sgpr 1
		.amdhsa_reserve_vcc 0
		.amdhsa_reserve_flat_scratch 0
		.amdhsa_float_round_mode_32 0
		.amdhsa_float_round_mode_16_64 0
		.amdhsa_float_denorm_mode_32 3
		.amdhsa_float_denorm_mode_16_64 3
		.amdhsa_dx10_clamp 1
		.amdhsa_ieee_mode 1
		.amdhsa_fp16_overflow 0
		.amdhsa_workgroup_processor_mode 1
		.amdhsa_memory_ordered 1
		.amdhsa_forward_progress 1
		.amdhsa_shared_vgpr_count 0
		.amdhsa_exception_fp_ieee_invalid_op 0
		.amdhsa_exception_fp_denorm_src 0
		.amdhsa_exception_fp_ieee_div_zero 0
		.amdhsa_exception_fp_ieee_overflow 0
		.amdhsa_exception_fp_ieee_underflow 0
		.amdhsa_exception_fp_ieee_inexact 0
		.amdhsa_exception_int_div_zero 0
	.end_amdhsa_kernel
	.section	.text._ZN7rocprim17ROCPRIM_400000_NS6detail17trampoline_kernelINS0_14default_configENS1_22reduce_config_selectorIN6thrust23THRUST_200600_302600_NS5tupleIblNS6_9null_typeES8_S8_S8_S8_S8_S8_S8_EEEEZNS1_11reduce_implILb1ES3_NS6_12zip_iteratorINS7_INS6_11hip_rocprim26transform_input_iterator_tIbNSD_35transform_pair_of_input_iterators_tIbNS6_6detail15normal_iteratorINS6_10device_ptrIKsEEEESL_NS6_8equal_toIsEEEENSG_9not_fun_tINSD_8identityEEEEENSD_19counting_iterator_tIlEES8_S8_S8_S8_S8_S8_S8_S8_EEEEPS9_S9_NSD_9__find_if7functorIS9_EEEE10hipError_tPvRmT1_T2_T3_mT4_P12ihipStream_tbEUlT_E1_NS1_11comp_targetILNS1_3genE10ELNS1_11target_archE1201ELNS1_3gpuE5ELNS1_3repE0EEENS1_30default_config_static_selectorELNS0_4arch9wavefront6targetE0EEEvS14_,"axG",@progbits,_ZN7rocprim17ROCPRIM_400000_NS6detail17trampoline_kernelINS0_14default_configENS1_22reduce_config_selectorIN6thrust23THRUST_200600_302600_NS5tupleIblNS6_9null_typeES8_S8_S8_S8_S8_S8_S8_EEEEZNS1_11reduce_implILb1ES3_NS6_12zip_iteratorINS7_INS6_11hip_rocprim26transform_input_iterator_tIbNSD_35transform_pair_of_input_iterators_tIbNS6_6detail15normal_iteratorINS6_10device_ptrIKsEEEESL_NS6_8equal_toIsEEEENSG_9not_fun_tINSD_8identityEEEEENSD_19counting_iterator_tIlEES8_S8_S8_S8_S8_S8_S8_S8_EEEEPS9_S9_NSD_9__find_if7functorIS9_EEEE10hipError_tPvRmT1_T2_T3_mT4_P12ihipStream_tbEUlT_E1_NS1_11comp_targetILNS1_3genE10ELNS1_11target_archE1201ELNS1_3gpuE5ELNS1_3repE0EEENS1_30default_config_static_selectorELNS0_4arch9wavefront6targetE0EEEvS14_,comdat
.Lfunc_end595:
	.size	_ZN7rocprim17ROCPRIM_400000_NS6detail17trampoline_kernelINS0_14default_configENS1_22reduce_config_selectorIN6thrust23THRUST_200600_302600_NS5tupleIblNS6_9null_typeES8_S8_S8_S8_S8_S8_S8_EEEEZNS1_11reduce_implILb1ES3_NS6_12zip_iteratorINS7_INS6_11hip_rocprim26transform_input_iterator_tIbNSD_35transform_pair_of_input_iterators_tIbNS6_6detail15normal_iteratorINS6_10device_ptrIKsEEEESL_NS6_8equal_toIsEEEENSG_9not_fun_tINSD_8identityEEEEENSD_19counting_iterator_tIlEES8_S8_S8_S8_S8_S8_S8_S8_EEEEPS9_S9_NSD_9__find_if7functorIS9_EEEE10hipError_tPvRmT1_T2_T3_mT4_P12ihipStream_tbEUlT_E1_NS1_11comp_targetILNS1_3genE10ELNS1_11target_archE1201ELNS1_3gpuE5ELNS1_3repE0EEENS1_30default_config_static_selectorELNS0_4arch9wavefront6targetE0EEEvS14_, .Lfunc_end595-_ZN7rocprim17ROCPRIM_400000_NS6detail17trampoline_kernelINS0_14default_configENS1_22reduce_config_selectorIN6thrust23THRUST_200600_302600_NS5tupleIblNS6_9null_typeES8_S8_S8_S8_S8_S8_S8_EEEEZNS1_11reduce_implILb1ES3_NS6_12zip_iteratorINS7_INS6_11hip_rocprim26transform_input_iterator_tIbNSD_35transform_pair_of_input_iterators_tIbNS6_6detail15normal_iteratorINS6_10device_ptrIKsEEEESL_NS6_8equal_toIsEEEENSG_9not_fun_tINSD_8identityEEEEENSD_19counting_iterator_tIlEES8_S8_S8_S8_S8_S8_S8_S8_EEEEPS9_S9_NSD_9__find_if7functorIS9_EEEE10hipError_tPvRmT1_T2_T3_mT4_P12ihipStream_tbEUlT_E1_NS1_11comp_targetILNS1_3genE10ELNS1_11target_archE1201ELNS1_3gpuE5ELNS1_3repE0EEENS1_30default_config_static_selectorELNS0_4arch9wavefront6targetE0EEEvS14_
                                        ; -- End function
	.set _ZN7rocprim17ROCPRIM_400000_NS6detail17trampoline_kernelINS0_14default_configENS1_22reduce_config_selectorIN6thrust23THRUST_200600_302600_NS5tupleIblNS6_9null_typeES8_S8_S8_S8_S8_S8_S8_EEEEZNS1_11reduce_implILb1ES3_NS6_12zip_iteratorINS7_INS6_11hip_rocprim26transform_input_iterator_tIbNSD_35transform_pair_of_input_iterators_tIbNS6_6detail15normal_iteratorINS6_10device_ptrIKsEEEESL_NS6_8equal_toIsEEEENSG_9not_fun_tINSD_8identityEEEEENSD_19counting_iterator_tIlEES8_S8_S8_S8_S8_S8_S8_S8_EEEEPS9_S9_NSD_9__find_if7functorIS9_EEEE10hipError_tPvRmT1_T2_T3_mT4_P12ihipStream_tbEUlT_E1_NS1_11comp_targetILNS1_3genE10ELNS1_11target_archE1201ELNS1_3gpuE5ELNS1_3repE0EEENS1_30default_config_static_selectorELNS0_4arch9wavefront6targetE0EEEvS14_.num_vgpr, 0
	.set _ZN7rocprim17ROCPRIM_400000_NS6detail17trampoline_kernelINS0_14default_configENS1_22reduce_config_selectorIN6thrust23THRUST_200600_302600_NS5tupleIblNS6_9null_typeES8_S8_S8_S8_S8_S8_S8_EEEEZNS1_11reduce_implILb1ES3_NS6_12zip_iteratorINS7_INS6_11hip_rocprim26transform_input_iterator_tIbNSD_35transform_pair_of_input_iterators_tIbNS6_6detail15normal_iteratorINS6_10device_ptrIKsEEEESL_NS6_8equal_toIsEEEENSG_9not_fun_tINSD_8identityEEEEENSD_19counting_iterator_tIlEES8_S8_S8_S8_S8_S8_S8_S8_EEEEPS9_S9_NSD_9__find_if7functorIS9_EEEE10hipError_tPvRmT1_T2_T3_mT4_P12ihipStream_tbEUlT_E1_NS1_11comp_targetILNS1_3genE10ELNS1_11target_archE1201ELNS1_3gpuE5ELNS1_3repE0EEENS1_30default_config_static_selectorELNS0_4arch9wavefront6targetE0EEEvS14_.num_agpr, 0
	.set _ZN7rocprim17ROCPRIM_400000_NS6detail17trampoline_kernelINS0_14default_configENS1_22reduce_config_selectorIN6thrust23THRUST_200600_302600_NS5tupleIblNS6_9null_typeES8_S8_S8_S8_S8_S8_S8_EEEEZNS1_11reduce_implILb1ES3_NS6_12zip_iteratorINS7_INS6_11hip_rocprim26transform_input_iterator_tIbNSD_35transform_pair_of_input_iterators_tIbNS6_6detail15normal_iteratorINS6_10device_ptrIKsEEEESL_NS6_8equal_toIsEEEENSG_9not_fun_tINSD_8identityEEEEENSD_19counting_iterator_tIlEES8_S8_S8_S8_S8_S8_S8_S8_EEEEPS9_S9_NSD_9__find_if7functorIS9_EEEE10hipError_tPvRmT1_T2_T3_mT4_P12ihipStream_tbEUlT_E1_NS1_11comp_targetILNS1_3genE10ELNS1_11target_archE1201ELNS1_3gpuE5ELNS1_3repE0EEENS1_30default_config_static_selectorELNS0_4arch9wavefront6targetE0EEEvS14_.numbered_sgpr, 0
	.set _ZN7rocprim17ROCPRIM_400000_NS6detail17trampoline_kernelINS0_14default_configENS1_22reduce_config_selectorIN6thrust23THRUST_200600_302600_NS5tupleIblNS6_9null_typeES8_S8_S8_S8_S8_S8_S8_EEEEZNS1_11reduce_implILb1ES3_NS6_12zip_iteratorINS7_INS6_11hip_rocprim26transform_input_iterator_tIbNSD_35transform_pair_of_input_iterators_tIbNS6_6detail15normal_iteratorINS6_10device_ptrIKsEEEESL_NS6_8equal_toIsEEEENSG_9not_fun_tINSD_8identityEEEEENSD_19counting_iterator_tIlEES8_S8_S8_S8_S8_S8_S8_S8_EEEEPS9_S9_NSD_9__find_if7functorIS9_EEEE10hipError_tPvRmT1_T2_T3_mT4_P12ihipStream_tbEUlT_E1_NS1_11comp_targetILNS1_3genE10ELNS1_11target_archE1201ELNS1_3gpuE5ELNS1_3repE0EEENS1_30default_config_static_selectorELNS0_4arch9wavefront6targetE0EEEvS14_.num_named_barrier, 0
	.set _ZN7rocprim17ROCPRIM_400000_NS6detail17trampoline_kernelINS0_14default_configENS1_22reduce_config_selectorIN6thrust23THRUST_200600_302600_NS5tupleIblNS6_9null_typeES8_S8_S8_S8_S8_S8_S8_EEEEZNS1_11reduce_implILb1ES3_NS6_12zip_iteratorINS7_INS6_11hip_rocprim26transform_input_iterator_tIbNSD_35transform_pair_of_input_iterators_tIbNS6_6detail15normal_iteratorINS6_10device_ptrIKsEEEESL_NS6_8equal_toIsEEEENSG_9not_fun_tINSD_8identityEEEEENSD_19counting_iterator_tIlEES8_S8_S8_S8_S8_S8_S8_S8_EEEEPS9_S9_NSD_9__find_if7functorIS9_EEEE10hipError_tPvRmT1_T2_T3_mT4_P12ihipStream_tbEUlT_E1_NS1_11comp_targetILNS1_3genE10ELNS1_11target_archE1201ELNS1_3gpuE5ELNS1_3repE0EEENS1_30default_config_static_selectorELNS0_4arch9wavefront6targetE0EEEvS14_.private_seg_size, 0
	.set _ZN7rocprim17ROCPRIM_400000_NS6detail17trampoline_kernelINS0_14default_configENS1_22reduce_config_selectorIN6thrust23THRUST_200600_302600_NS5tupleIblNS6_9null_typeES8_S8_S8_S8_S8_S8_S8_EEEEZNS1_11reduce_implILb1ES3_NS6_12zip_iteratorINS7_INS6_11hip_rocprim26transform_input_iterator_tIbNSD_35transform_pair_of_input_iterators_tIbNS6_6detail15normal_iteratorINS6_10device_ptrIKsEEEESL_NS6_8equal_toIsEEEENSG_9not_fun_tINSD_8identityEEEEENSD_19counting_iterator_tIlEES8_S8_S8_S8_S8_S8_S8_S8_EEEEPS9_S9_NSD_9__find_if7functorIS9_EEEE10hipError_tPvRmT1_T2_T3_mT4_P12ihipStream_tbEUlT_E1_NS1_11comp_targetILNS1_3genE10ELNS1_11target_archE1201ELNS1_3gpuE5ELNS1_3repE0EEENS1_30default_config_static_selectorELNS0_4arch9wavefront6targetE0EEEvS14_.uses_vcc, 0
	.set _ZN7rocprim17ROCPRIM_400000_NS6detail17trampoline_kernelINS0_14default_configENS1_22reduce_config_selectorIN6thrust23THRUST_200600_302600_NS5tupleIblNS6_9null_typeES8_S8_S8_S8_S8_S8_S8_EEEEZNS1_11reduce_implILb1ES3_NS6_12zip_iteratorINS7_INS6_11hip_rocprim26transform_input_iterator_tIbNSD_35transform_pair_of_input_iterators_tIbNS6_6detail15normal_iteratorINS6_10device_ptrIKsEEEESL_NS6_8equal_toIsEEEENSG_9not_fun_tINSD_8identityEEEEENSD_19counting_iterator_tIlEES8_S8_S8_S8_S8_S8_S8_S8_EEEEPS9_S9_NSD_9__find_if7functorIS9_EEEE10hipError_tPvRmT1_T2_T3_mT4_P12ihipStream_tbEUlT_E1_NS1_11comp_targetILNS1_3genE10ELNS1_11target_archE1201ELNS1_3gpuE5ELNS1_3repE0EEENS1_30default_config_static_selectorELNS0_4arch9wavefront6targetE0EEEvS14_.uses_flat_scratch, 0
	.set _ZN7rocprim17ROCPRIM_400000_NS6detail17trampoline_kernelINS0_14default_configENS1_22reduce_config_selectorIN6thrust23THRUST_200600_302600_NS5tupleIblNS6_9null_typeES8_S8_S8_S8_S8_S8_S8_EEEEZNS1_11reduce_implILb1ES3_NS6_12zip_iteratorINS7_INS6_11hip_rocprim26transform_input_iterator_tIbNSD_35transform_pair_of_input_iterators_tIbNS6_6detail15normal_iteratorINS6_10device_ptrIKsEEEESL_NS6_8equal_toIsEEEENSG_9not_fun_tINSD_8identityEEEEENSD_19counting_iterator_tIlEES8_S8_S8_S8_S8_S8_S8_S8_EEEEPS9_S9_NSD_9__find_if7functorIS9_EEEE10hipError_tPvRmT1_T2_T3_mT4_P12ihipStream_tbEUlT_E1_NS1_11comp_targetILNS1_3genE10ELNS1_11target_archE1201ELNS1_3gpuE5ELNS1_3repE0EEENS1_30default_config_static_selectorELNS0_4arch9wavefront6targetE0EEEvS14_.has_dyn_sized_stack, 0
	.set _ZN7rocprim17ROCPRIM_400000_NS6detail17trampoline_kernelINS0_14default_configENS1_22reduce_config_selectorIN6thrust23THRUST_200600_302600_NS5tupleIblNS6_9null_typeES8_S8_S8_S8_S8_S8_S8_EEEEZNS1_11reduce_implILb1ES3_NS6_12zip_iteratorINS7_INS6_11hip_rocprim26transform_input_iterator_tIbNSD_35transform_pair_of_input_iterators_tIbNS6_6detail15normal_iteratorINS6_10device_ptrIKsEEEESL_NS6_8equal_toIsEEEENSG_9not_fun_tINSD_8identityEEEEENSD_19counting_iterator_tIlEES8_S8_S8_S8_S8_S8_S8_S8_EEEEPS9_S9_NSD_9__find_if7functorIS9_EEEE10hipError_tPvRmT1_T2_T3_mT4_P12ihipStream_tbEUlT_E1_NS1_11comp_targetILNS1_3genE10ELNS1_11target_archE1201ELNS1_3gpuE5ELNS1_3repE0EEENS1_30default_config_static_selectorELNS0_4arch9wavefront6targetE0EEEvS14_.has_recursion, 0
	.set _ZN7rocprim17ROCPRIM_400000_NS6detail17trampoline_kernelINS0_14default_configENS1_22reduce_config_selectorIN6thrust23THRUST_200600_302600_NS5tupleIblNS6_9null_typeES8_S8_S8_S8_S8_S8_S8_EEEEZNS1_11reduce_implILb1ES3_NS6_12zip_iteratorINS7_INS6_11hip_rocprim26transform_input_iterator_tIbNSD_35transform_pair_of_input_iterators_tIbNS6_6detail15normal_iteratorINS6_10device_ptrIKsEEEESL_NS6_8equal_toIsEEEENSG_9not_fun_tINSD_8identityEEEEENSD_19counting_iterator_tIlEES8_S8_S8_S8_S8_S8_S8_S8_EEEEPS9_S9_NSD_9__find_if7functorIS9_EEEE10hipError_tPvRmT1_T2_T3_mT4_P12ihipStream_tbEUlT_E1_NS1_11comp_targetILNS1_3genE10ELNS1_11target_archE1201ELNS1_3gpuE5ELNS1_3repE0EEENS1_30default_config_static_selectorELNS0_4arch9wavefront6targetE0EEEvS14_.has_indirect_call, 0
	.section	.AMDGPU.csdata,"",@progbits
; Kernel info:
; codeLenInByte = 0
; TotalNumSgprs: 0
; NumVgprs: 0
; ScratchSize: 0
; MemoryBound: 0
; FloatMode: 240
; IeeeMode: 1
; LDSByteSize: 0 bytes/workgroup (compile time only)
; SGPRBlocks: 0
; VGPRBlocks: 0
; NumSGPRsForWavesPerEU: 1
; NumVGPRsForWavesPerEU: 1
; Occupancy: 16
; WaveLimiterHint : 0
; COMPUTE_PGM_RSRC2:SCRATCH_EN: 0
; COMPUTE_PGM_RSRC2:USER_SGPR: 6
; COMPUTE_PGM_RSRC2:TRAP_HANDLER: 0
; COMPUTE_PGM_RSRC2:TGID_X_EN: 1
; COMPUTE_PGM_RSRC2:TGID_Y_EN: 0
; COMPUTE_PGM_RSRC2:TGID_Z_EN: 0
; COMPUTE_PGM_RSRC2:TIDIG_COMP_CNT: 0
	.section	.text._ZN7rocprim17ROCPRIM_400000_NS6detail17trampoline_kernelINS0_14default_configENS1_22reduce_config_selectorIN6thrust23THRUST_200600_302600_NS5tupleIblNS6_9null_typeES8_S8_S8_S8_S8_S8_S8_EEEEZNS1_11reduce_implILb1ES3_NS6_12zip_iteratorINS7_INS6_11hip_rocprim26transform_input_iterator_tIbNSD_35transform_pair_of_input_iterators_tIbNS6_6detail15normal_iteratorINS6_10device_ptrIKsEEEESL_NS6_8equal_toIsEEEENSG_9not_fun_tINSD_8identityEEEEENSD_19counting_iterator_tIlEES8_S8_S8_S8_S8_S8_S8_S8_EEEEPS9_S9_NSD_9__find_if7functorIS9_EEEE10hipError_tPvRmT1_T2_T3_mT4_P12ihipStream_tbEUlT_E1_NS1_11comp_targetILNS1_3genE10ELNS1_11target_archE1200ELNS1_3gpuE4ELNS1_3repE0EEENS1_30default_config_static_selectorELNS0_4arch9wavefront6targetE0EEEvS14_,"axG",@progbits,_ZN7rocprim17ROCPRIM_400000_NS6detail17trampoline_kernelINS0_14default_configENS1_22reduce_config_selectorIN6thrust23THRUST_200600_302600_NS5tupleIblNS6_9null_typeES8_S8_S8_S8_S8_S8_S8_EEEEZNS1_11reduce_implILb1ES3_NS6_12zip_iteratorINS7_INS6_11hip_rocprim26transform_input_iterator_tIbNSD_35transform_pair_of_input_iterators_tIbNS6_6detail15normal_iteratorINS6_10device_ptrIKsEEEESL_NS6_8equal_toIsEEEENSG_9not_fun_tINSD_8identityEEEEENSD_19counting_iterator_tIlEES8_S8_S8_S8_S8_S8_S8_S8_EEEEPS9_S9_NSD_9__find_if7functorIS9_EEEE10hipError_tPvRmT1_T2_T3_mT4_P12ihipStream_tbEUlT_E1_NS1_11comp_targetILNS1_3genE10ELNS1_11target_archE1200ELNS1_3gpuE4ELNS1_3repE0EEENS1_30default_config_static_selectorELNS0_4arch9wavefront6targetE0EEEvS14_,comdat
	.protected	_ZN7rocprim17ROCPRIM_400000_NS6detail17trampoline_kernelINS0_14default_configENS1_22reduce_config_selectorIN6thrust23THRUST_200600_302600_NS5tupleIblNS6_9null_typeES8_S8_S8_S8_S8_S8_S8_EEEEZNS1_11reduce_implILb1ES3_NS6_12zip_iteratorINS7_INS6_11hip_rocprim26transform_input_iterator_tIbNSD_35transform_pair_of_input_iterators_tIbNS6_6detail15normal_iteratorINS6_10device_ptrIKsEEEESL_NS6_8equal_toIsEEEENSG_9not_fun_tINSD_8identityEEEEENSD_19counting_iterator_tIlEES8_S8_S8_S8_S8_S8_S8_S8_EEEEPS9_S9_NSD_9__find_if7functorIS9_EEEE10hipError_tPvRmT1_T2_T3_mT4_P12ihipStream_tbEUlT_E1_NS1_11comp_targetILNS1_3genE10ELNS1_11target_archE1200ELNS1_3gpuE4ELNS1_3repE0EEENS1_30default_config_static_selectorELNS0_4arch9wavefront6targetE0EEEvS14_ ; -- Begin function _ZN7rocprim17ROCPRIM_400000_NS6detail17trampoline_kernelINS0_14default_configENS1_22reduce_config_selectorIN6thrust23THRUST_200600_302600_NS5tupleIblNS6_9null_typeES8_S8_S8_S8_S8_S8_S8_EEEEZNS1_11reduce_implILb1ES3_NS6_12zip_iteratorINS7_INS6_11hip_rocprim26transform_input_iterator_tIbNSD_35transform_pair_of_input_iterators_tIbNS6_6detail15normal_iteratorINS6_10device_ptrIKsEEEESL_NS6_8equal_toIsEEEENSG_9not_fun_tINSD_8identityEEEEENSD_19counting_iterator_tIlEES8_S8_S8_S8_S8_S8_S8_S8_EEEEPS9_S9_NSD_9__find_if7functorIS9_EEEE10hipError_tPvRmT1_T2_T3_mT4_P12ihipStream_tbEUlT_E1_NS1_11comp_targetILNS1_3genE10ELNS1_11target_archE1200ELNS1_3gpuE4ELNS1_3repE0EEENS1_30default_config_static_selectorELNS0_4arch9wavefront6targetE0EEEvS14_
	.globl	_ZN7rocprim17ROCPRIM_400000_NS6detail17trampoline_kernelINS0_14default_configENS1_22reduce_config_selectorIN6thrust23THRUST_200600_302600_NS5tupleIblNS6_9null_typeES8_S8_S8_S8_S8_S8_S8_EEEEZNS1_11reduce_implILb1ES3_NS6_12zip_iteratorINS7_INS6_11hip_rocprim26transform_input_iterator_tIbNSD_35transform_pair_of_input_iterators_tIbNS6_6detail15normal_iteratorINS6_10device_ptrIKsEEEESL_NS6_8equal_toIsEEEENSG_9not_fun_tINSD_8identityEEEEENSD_19counting_iterator_tIlEES8_S8_S8_S8_S8_S8_S8_S8_EEEEPS9_S9_NSD_9__find_if7functorIS9_EEEE10hipError_tPvRmT1_T2_T3_mT4_P12ihipStream_tbEUlT_E1_NS1_11comp_targetILNS1_3genE10ELNS1_11target_archE1200ELNS1_3gpuE4ELNS1_3repE0EEENS1_30default_config_static_selectorELNS0_4arch9wavefront6targetE0EEEvS14_
	.p2align	8
	.type	_ZN7rocprim17ROCPRIM_400000_NS6detail17trampoline_kernelINS0_14default_configENS1_22reduce_config_selectorIN6thrust23THRUST_200600_302600_NS5tupleIblNS6_9null_typeES8_S8_S8_S8_S8_S8_S8_EEEEZNS1_11reduce_implILb1ES3_NS6_12zip_iteratorINS7_INS6_11hip_rocprim26transform_input_iterator_tIbNSD_35transform_pair_of_input_iterators_tIbNS6_6detail15normal_iteratorINS6_10device_ptrIKsEEEESL_NS6_8equal_toIsEEEENSG_9not_fun_tINSD_8identityEEEEENSD_19counting_iterator_tIlEES8_S8_S8_S8_S8_S8_S8_S8_EEEEPS9_S9_NSD_9__find_if7functorIS9_EEEE10hipError_tPvRmT1_T2_T3_mT4_P12ihipStream_tbEUlT_E1_NS1_11comp_targetILNS1_3genE10ELNS1_11target_archE1200ELNS1_3gpuE4ELNS1_3repE0EEENS1_30default_config_static_selectorELNS0_4arch9wavefront6targetE0EEEvS14_,@function
_ZN7rocprim17ROCPRIM_400000_NS6detail17trampoline_kernelINS0_14default_configENS1_22reduce_config_selectorIN6thrust23THRUST_200600_302600_NS5tupleIblNS6_9null_typeES8_S8_S8_S8_S8_S8_S8_EEEEZNS1_11reduce_implILb1ES3_NS6_12zip_iteratorINS7_INS6_11hip_rocprim26transform_input_iterator_tIbNSD_35transform_pair_of_input_iterators_tIbNS6_6detail15normal_iteratorINS6_10device_ptrIKsEEEESL_NS6_8equal_toIsEEEENSG_9not_fun_tINSD_8identityEEEEENSD_19counting_iterator_tIlEES8_S8_S8_S8_S8_S8_S8_S8_EEEEPS9_S9_NSD_9__find_if7functorIS9_EEEE10hipError_tPvRmT1_T2_T3_mT4_P12ihipStream_tbEUlT_E1_NS1_11comp_targetILNS1_3genE10ELNS1_11target_archE1200ELNS1_3gpuE4ELNS1_3repE0EEENS1_30default_config_static_selectorELNS0_4arch9wavefront6targetE0EEEvS14_: ; @_ZN7rocprim17ROCPRIM_400000_NS6detail17trampoline_kernelINS0_14default_configENS1_22reduce_config_selectorIN6thrust23THRUST_200600_302600_NS5tupleIblNS6_9null_typeES8_S8_S8_S8_S8_S8_S8_EEEEZNS1_11reduce_implILb1ES3_NS6_12zip_iteratorINS7_INS6_11hip_rocprim26transform_input_iterator_tIbNSD_35transform_pair_of_input_iterators_tIbNS6_6detail15normal_iteratorINS6_10device_ptrIKsEEEESL_NS6_8equal_toIsEEEENSG_9not_fun_tINSD_8identityEEEEENSD_19counting_iterator_tIlEES8_S8_S8_S8_S8_S8_S8_S8_EEEEPS9_S9_NSD_9__find_if7functorIS9_EEEE10hipError_tPvRmT1_T2_T3_mT4_P12ihipStream_tbEUlT_E1_NS1_11comp_targetILNS1_3genE10ELNS1_11target_archE1200ELNS1_3gpuE4ELNS1_3repE0EEENS1_30default_config_static_selectorELNS0_4arch9wavefront6targetE0EEEvS14_
; %bb.0:
	.section	.rodata,"a",@progbits
	.p2align	6, 0x0
	.amdhsa_kernel _ZN7rocprim17ROCPRIM_400000_NS6detail17trampoline_kernelINS0_14default_configENS1_22reduce_config_selectorIN6thrust23THRUST_200600_302600_NS5tupleIblNS6_9null_typeES8_S8_S8_S8_S8_S8_S8_EEEEZNS1_11reduce_implILb1ES3_NS6_12zip_iteratorINS7_INS6_11hip_rocprim26transform_input_iterator_tIbNSD_35transform_pair_of_input_iterators_tIbNS6_6detail15normal_iteratorINS6_10device_ptrIKsEEEESL_NS6_8equal_toIsEEEENSG_9not_fun_tINSD_8identityEEEEENSD_19counting_iterator_tIlEES8_S8_S8_S8_S8_S8_S8_S8_EEEEPS9_S9_NSD_9__find_if7functorIS9_EEEE10hipError_tPvRmT1_T2_T3_mT4_P12ihipStream_tbEUlT_E1_NS1_11comp_targetILNS1_3genE10ELNS1_11target_archE1200ELNS1_3gpuE4ELNS1_3repE0EEENS1_30default_config_static_selectorELNS0_4arch9wavefront6targetE0EEEvS14_
		.amdhsa_group_segment_fixed_size 0
		.amdhsa_private_segment_fixed_size 0
		.amdhsa_kernarg_size 88
		.amdhsa_user_sgpr_count 6
		.amdhsa_user_sgpr_private_segment_buffer 1
		.amdhsa_user_sgpr_dispatch_ptr 0
		.amdhsa_user_sgpr_queue_ptr 0
		.amdhsa_user_sgpr_kernarg_segment_ptr 1
		.amdhsa_user_sgpr_dispatch_id 0
		.amdhsa_user_sgpr_flat_scratch_init 0
		.amdhsa_user_sgpr_private_segment_size 0
		.amdhsa_wavefront_size32 1
		.amdhsa_uses_dynamic_stack 0
		.amdhsa_system_sgpr_private_segment_wavefront_offset 0
		.amdhsa_system_sgpr_workgroup_id_x 1
		.amdhsa_system_sgpr_workgroup_id_y 0
		.amdhsa_system_sgpr_workgroup_id_z 0
		.amdhsa_system_sgpr_workgroup_info 0
		.amdhsa_system_vgpr_workitem_id 0
		.amdhsa_next_free_vgpr 1
		.amdhsa_next_free_sgpr 1
		.amdhsa_reserve_vcc 0
		.amdhsa_reserve_flat_scratch 0
		.amdhsa_float_round_mode_32 0
		.amdhsa_float_round_mode_16_64 0
		.amdhsa_float_denorm_mode_32 3
		.amdhsa_float_denorm_mode_16_64 3
		.amdhsa_dx10_clamp 1
		.amdhsa_ieee_mode 1
		.amdhsa_fp16_overflow 0
		.amdhsa_workgroup_processor_mode 1
		.amdhsa_memory_ordered 1
		.amdhsa_forward_progress 1
		.amdhsa_shared_vgpr_count 0
		.amdhsa_exception_fp_ieee_invalid_op 0
		.amdhsa_exception_fp_denorm_src 0
		.amdhsa_exception_fp_ieee_div_zero 0
		.amdhsa_exception_fp_ieee_overflow 0
		.amdhsa_exception_fp_ieee_underflow 0
		.amdhsa_exception_fp_ieee_inexact 0
		.amdhsa_exception_int_div_zero 0
	.end_amdhsa_kernel
	.section	.text._ZN7rocprim17ROCPRIM_400000_NS6detail17trampoline_kernelINS0_14default_configENS1_22reduce_config_selectorIN6thrust23THRUST_200600_302600_NS5tupleIblNS6_9null_typeES8_S8_S8_S8_S8_S8_S8_EEEEZNS1_11reduce_implILb1ES3_NS6_12zip_iteratorINS7_INS6_11hip_rocprim26transform_input_iterator_tIbNSD_35transform_pair_of_input_iterators_tIbNS6_6detail15normal_iteratorINS6_10device_ptrIKsEEEESL_NS6_8equal_toIsEEEENSG_9not_fun_tINSD_8identityEEEEENSD_19counting_iterator_tIlEES8_S8_S8_S8_S8_S8_S8_S8_EEEEPS9_S9_NSD_9__find_if7functorIS9_EEEE10hipError_tPvRmT1_T2_T3_mT4_P12ihipStream_tbEUlT_E1_NS1_11comp_targetILNS1_3genE10ELNS1_11target_archE1200ELNS1_3gpuE4ELNS1_3repE0EEENS1_30default_config_static_selectorELNS0_4arch9wavefront6targetE0EEEvS14_,"axG",@progbits,_ZN7rocprim17ROCPRIM_400000_NS6detail17trampoline_kernelINS0_14default_configENS1_22reduce_config_selectorIN6thrust23THRUST_200600_302600_NS5tupleIblNS6_9null_typeES8_S8_S8_S8_S8_S8_S8_EEEEZNS1_11reduce_implILb1ES3_NS6_12zip_iteratorINS7_INS6_11hip_rocprim26transform_input_iterator_tIbNSD_35transform_pair_of_input_iterators_tIbNS6_6detail15normal_iteratorINS6_10device_ptrIKsEEEESL_NS6_8equal_toIsEEEENSG_9not_fun_tINSD_8identityEEEEENSD_19counting_iterator_tIlEES8_S8_S8_S8_S8_S8_S8_S8_EEEEPS9_S9_NSD_9__find_if7functorIS9_EEEE10hipError_tPvRmT1_T2_T3_mT4_P12ihipStream_tbEUlT_E1_NS1_11comp_targetILNS1_3genE10ELNS1_11target_archE1200ELNS1_3gpuE4ELNS1_3repE0EEENS1_30default_config_static_selectorELNS0_4arch9wavefront6targetE0EEEvS14_,comdat
.Lfunc_end596:
	.size	_ZN7rocprim17ROCPRIM_400000_NS6detail17trampoline_kernelINS0_14default_configENS1_22reduce_config_selectorIN6thrust23THRUST_200600_302600_NS5tupleIblNS6_9null_typeES8_S8_S8_S8_S8_S8_S8_EEEEZNS1_11reduce_implILb1ES3_NS6_12zip_iteratorINS7_INS6_11hip_rocprim26transform_input_iterator_tIbNSD_35transform_pair_of_input_iterators_tIbNS6_6detail15normal_iteratorINS6_10device_ptrIKsEEEESL_NS6_8equal_toIsEEEENSG_9not_fun_tINSD_8identityEEEEENSD_19counting_iterator_tIlEES8_S8_S8_S8_S8_S8_S8_S8_EEEEPS9_S9_NSD_9__find_if7functorIS9_EEEE10hipError_tPvRmT1_T2_T3_mT4_P12ihipStream_tbEUlT_E1_NS1_11comp_targetILNS1_3genE10ELNS1_11target_archE1200ELNS1_3gpuE4ELNS1_3repE0EEENS1_30default_config_static_selectorELNS0_4arch9wavefront6targetE0EEEvS14_, .Lfunc_end596-_ZN7rocprim17ROCPRIM_400000_NS6detail17trampoline_kernelINS0_14default_configENS1_22reduce_config_selectorIN6thrust23THRUST_200600_302600_NS5tupleIblNS6_9null_typeES8_S8_S8_S8_S8_S8_S8_EEEEZNS1_11reduce_implILb1ES3_NS6_12zip_iteratorINS7_INS6_11hip_rocprim26transform_input_iterator_tIbNSD_35transform_pair_of_input_iterators_tIbNS6_6detail15normal_iteratorINS6_10device_ptrIKsEEEESL_NS6_8equal_toIsEEEENSG_9not_fun_tINSD_8identityEEEEENSD_19counting_iterator_tIlEES8_S8_S8_S8_S8_S8_S8_S8_EEEEPS9_S9_NSD_9__find_if7functorIS9_EEEE10hipError_tPvRmT1_T2_T3_mT4_P12ihipStream_tbEUlT_E1_NS1_11comp_targetILNS1_3genE10ELNS1_11target_archE1200ELNS1_3gpuE4ELNS1_3repE0EEENS1_30default_config_static_selectorELNS0_4arch9wavefront6targetE0EEEvS14_
                                        ; -- End function
	.set _ZN7rocprim17ROCPRIM_400000_NS6detail17trampoline_kernelINS0_14default_configENS1_22reduce_config_selectorIN6thrust23THRUST_200600_302600_NS5tupleIblNS6_9null_typeES8_S8_S8_S8_S8_S8_S8_EEEEZNS1_11reduce_implILb1ES3_NS6_12zip_iteratorINS7_INS6_11hip_rocprim26transform_input_iterator_tIbNSD_35transform_pair_of_input_iterators_tIbNS6_6detail15normal_iteratorINS6_10device_ptrIKsEEEESL_NS6_8equal_toIsEEEENSG_9not_fun_tINSD_8identityEEEEENSD_19counting_iterator_tIlEES8_S8_S8_S8_S8_S8_S8_S8_EEEEPS9_S9_NSD_9__find_if7functorIS9_EEEE10hipError_tPvRmT1_T2_T3_mT4_P12ihipStream_tbEUlT_E1_NS1_11comp_targetILNS1_3genE10ELNS1_11target_archE1200ELNS1_3gpuE4ELNS1_3repE0EEENS1_30default_config_static_selectorELNS0_4arch9wavefront6targetE0EEEvS14_.num_vgpr, 0
	.set _ZN7rocprim17ROCPRIM_400000_NS6detail17trampoline_kernelINS0_14default_configENS1_22reduce_config_selectorIN6thrust23THRUST_200600_302600_NS5tupleIblNS6_9null_typeES8_S8_S8_S8_S8_S8_S8_EEEEZNS1_11reduce_implILb1ES3_NS6_12zip_iteratorINS7_INS6_11hip_rocprim26transform_input_iterator_tIbNSD_35transform_pair_of_input_iterators_tIbNS6_6detail15normal_iteratorINS6_10device_ptrIKsEEEESL_NS6_8equal_toIsEEEENSG_9not_fun_tINSD_8identityEEEEENSD_19counting_iterator_tIlEES8_S8_S8_S8_S8_S8_S8_S8_EEEEPS9_S9_NSD_9__find_if7functorIS9_EEEE10hipError_tPvRmT1_T2_T3_mT4_P12ihipStream_tbEUlT_E1_NS1_11comp_targetILNS1_3genE10ELNS1_11target_archE1200ELNS1_3gpuE4ELNS1_3repE0EEENS1_30default_config_static_selectorELNS0_4arch9wavefront6targetE0EEEvS14_.num_agpr, 0
	.set _ZN7rocprim17ROCPRIM_400000_NS6detail17trampoline_kernelINS0_14default_configENS1_22reduce_config_selectorIN6thrust23THRUST_200600_302600_NS5tupleIblNS6_9null_typeES8_S8_S8_S8_S8_S8_S8_EEEEZNS1_11reduce_implILb1ES3_NS6_12zip_iteratorINS7_INS6_11hip_rocprim26transform_input_iterator_tIbNSD_35transform_pair_of_input_iterators_tIbNS6_6detail15normal_iteratorINS6_10device_ptrIKsEEEESL_NS6_8equal_toIsEEEENSG_9not_fun_tINSD_8identityEEEEENSD_19counting_iterator_tIlEES8_S8_S8_S8_S8_S8_S8_S8_EEEEPS9_S9_NSD_9__find_if7functorIS9_EEEE10hipError_tPvRmT1_T2_T3_mT4_P12ihipStream_tbEUlT_E1_NS1_11comp_targetILNS1_3genE10ELNS1_11target_archE1200ELNS1_3gpuE4ELNS1_3repE0EEENS1_30default_config_static_selectorELNS0_4arch9wavefront6targetE0EEEvS14_.numbered_sgpr, 0
	.set _ZN7rocprim17ROCPRIM_400000_NS6detail17trampoline_kernelINS0_14default_configENS1_22reduce_config_selectorIN6thrust23THRUST_200600_302600_NS5tupleIblNS6_9null_typeES8_S8_S8_S8_S8_S8_S8_EEEEZNS1_11reduce_implILb1ES3_NS6_12zip_iteratorINS7_INS6_11hip_rocprim26transform_input_iterator_tIbNSD_35transform_pair_of_input_iterators_tIbNS6_6detail15normal_iteratorINS6_10device_ptrIKsEEEESL_NS6_8equal_toIsEEEENSG_9not_fun_tINSD_8identityEEEEENSD_19counting_iterator_tIlEES8_S8_S8_S8_S8_S8_S8_S8_EEEEPS9_S9_NSD_9__find_if7functorIS9_EEEE10hipError_tPvRmT1_T2_T3_mT4_P12ihipStream_tbEUlT_E1_NS1_11comp_targetILNS1_3genE10ELNS1_11target_archE1200ELNS1_3gpuE4ELNS1_3repE0EEENS1_30default_config_static_selectorELNS0_4arch9wavefront6targetE0EEEvS14_.num_named_barrier, 0
	.set _ZN7rocprim17ROCPRIM_400000_NS6detail17trampoline_kernelINS0_14default_configENS1_22reduce_config_selectorIN6thrust23THRUST_200600_302600_NS5tupleIblNS6_9null_typeES8_S8_S8_S8_S8_S8_S8_EEEEZNS1_11reduce_implILb1ES3_NS6_12zip_iteratorINS7_INS6_11hip_rocprim26transform_input_iterator_tIbNSD_35transform_pair_of_input_iterators_tIbNS6_6detail15normal_iteratorINS6_10device_ptrIKsEEEESL_NS6_8equal_toIsEEEENSG_9not_fun_tINSD_8identityEEEEENSD_19counting_iterator_tIlEES8_S8_S8_S8_S8_S8_S8_S8_EEEEPS9_S9_NSD_9__find_if7functorIS9_EEEE10hipError_tPvRmT1_T2_T3_mT4_P12ihipStream_tbEUlT_E1_NS1_11comp_targetILNS1_3genE10ELNS1_11target_archE1200ELNS1_3gpuE4ELNS1_3repE0EEENS1_30default_config_static_selectorELNS0_4arch9wavefront6targetE0EEEvS14_.private_seg_size, 0
	.set _ZN7rocprim17ROCPRIM_400000_NS6detail17trampoline_kernelINS0_14default_configENS1_22reduce_config_selectorIN6thrust23THRUST_200600_302600_NS5tupleIblNS6_9null_typeES8_S8_S8_S8_S8_S8_S8_EEEEZNS1_11reduce_implILb1ES3_NS6_12zip_iteratorINS7_INS6_11hip_rocprim26transform_input_iterator_tIbNSD_35transform_pair_of_input_iterators_tIbNS6_6detail15normal_iteratorINS6_10device_ptrIKsEEEESL_NS6_8equal_toIsEEEENSG_9not_fun_tINSD_8identityEEEEENSD_19counting_iterator_tIlEES8_S8_S8_S8_S8_S8_S8_S8_EEEEPS9_S9_NSD_9__find_if7functorIS9_EEEE10hipError_tPvRmT1_T2_T3_mT4_P12ihipStream_tbEUlT_E1_NS1_11comp_targetILNS1_3genE10ELNS1_11target_archE1200ELNS1_3gpuE4ELNS1_3repE0EEENS1_30default_config_static_selectorELNS0_4arch9wavefront6targetE0EEEvS14_.uses_vcc, 0
	.set _ZN7rocprim17ROCPRIM_400000_NS6detail17trampoline_kernelINS0_14default_configENS1_22reduce_config_selectorIN6thrust23THRUST_200600_302600_NS5tupleIblNS6_9null_typeES8_S8_S8_S8_S8_S8_S8_EEEEZNS1_11reduce_implILb1ES3_NS6_12zip_iteratorINS7_INS6_11hip_rocprim26transform_input_iterator_tIbNSD_35transform_pair_of_input_iterators_tIbNS6_6detail15normal_iteratorINS6_10device_ptrIKsEEEESL_NS6_8equal_toIsEEEENSG_9not_fun_tINSD_8identityEEEEENSD_19counting_iterator_tIlEES8_S8_S8_S8_S8_S8_S8_S8_EEEEPS9_S9_NSD_9__find_if7functorIS9_EEEE10hipError_tPvRmT1_T2_T3_mT4_P12ihipStream_tbEUlT_E1_NS1_11comp_targetILNS1_3genE10ELNS1_11target_archE1200ELNS1_3gpuE4ELNS1_3repE0EEENS1_30default_config_static_selectorELNS0_4arch9wavefront6targetE0EEEvS14_.uses_flat_scratch, 0
	.set _ZN7rocprim17ROCPRIM_400000_NS6detail17trampoline_kernelINS0_14default_configENS1_22reduce_config_selectorIN6thrust23THRUST_200600_302600_NS5tupleIblNS6_9null_typeES8_S8_S8_S8_S8_S8_S8_EEEEZNS1_11reduce_implILb1ES3_NS6_12zip_iteratorINS7_INS6_11hip_rocprim26transform_input_iterator_tIbNSD_35transform_pair_of_input_iterators_tIbNS6_6detail15normal_iteratorINS6_10device_ptrIKsEEEESL_NS6_8equal_toIsEEEENSG_9not_fun_tINSD_8identityEEEEENSD_19counting_iterator_tIlEES8_S8_S8_S8_S8_S8_S8_S8_EEEEPS9_S9_NSD_9__find_if7functorIS9_EEEE10hipError_tPvRmT1_T2_T3_mT4_P12ihipStream_tbEUlT_E1_NS1_11comp_targetILNS1_3genE10ELNS1_11target_archE1200ELNS1_3gpuE4ELNS1_3repE0EEENS1_30default_config_static_selectorELNS0_4arch9wavefront6targetE0EEEvS14_.has_dyn_sized_stack, 0
	.set _ZN7rocprim17ROCPRIM_400000_NS6detail17trampoline_kernelINS0_14default_configENS1_22reduce_config_selectorIN6thrust23THRUST_200600_302600_NS5tupleIblNS6_9null_typeES8_S8_S8_S8_S8_S8_S8_EEEEZNS1_11reduce_implILb1ES3_NS6_12zip_iteratorINS7_INS6_11hip_rocprim26transform_input_iterator_tIbNSD_35transform_pair_of_input_iterators_tIbNS6_6detail15normal_iteratorINS6_10device_ptrIKsEEEESL_NS6_8equal_toIsEEEENSG_9not_fun_tINSD_8identityEEEEENSD_19counting_iterator_tIlEES8_S8_S8_S8_S8_S8_S8_S8_EEEEPS9_S9_NSD_9__find_if7functorIS9_EEEE10hipError_tPvRmT1_T2_T3_mT4_P12ihipStream_tbEUlT_E1_NS1_11comp_targetILNS1_3genE10ELNS1_11target_archE1200ELNS1_3gpuE4ELNS1_3repE0EEENS1_30default_config_static_selectorELNS0_4arch9wavefront6targetE0EEEvS14_.has_recursion, 0
	.set _ZN7rocprim17ROCPRIM_400000_NS6detail17trampoline_kernelINS0_14default_configENS1_22reduce_config_selectorIN6thrust23THRUST_200600_302600_NS5tupleIblNS6_9null_typeES8_S8_S8_S8_S8_S8_S8_EEEEZNS1_11reduce_implILb1ES3_NS6_12zip_iteratorINS7_INS6_11hip_rocprim26transform_input_iterator_tIbNSD_35transform_pair_of_input_iterators_tIbNS6_6detail15normal_iteratorINS6_10device_ptrIKsEEEESL_NS6_8equal_toIsEEEENSG_9not_fun_tINSD_8identityEEEEENSD_19counting_iterator_tIlEES8_S8_S8_S8_S8_S8_S8_S8_EEEEPS9_S9_NSD_9__find_if7functorIS9_EEEE10hipError_tPvRmT1_T2_T3_mT4_P12ihipStream_tbEUlT_E1_NS1_11comp_targetILNS1_3genE10ELNS1_11target_archE1200ELNS1_3gpuE4ELNS1_3repE0EEENS1_30default_config_static_selectorELNS0_4arch9wavefront6targetE0EEEvS14_.has_indirect_call, 0
	.section	.AMDGPU.csdata,"",@progbits
; Kernel info:
; codeLenInByte = 0
; TotalNumSgprs: 0
; NumVgprs: 0
; ScratchSize: 0
; MemoryBound: 0
; FloatMode: 240
; IeeeMode: 1
; LDSByteSize: 0 bytes/workgroup (compile time only)
; SGPRBlocks: 0
; VGPRBlocks: 0
; NumSGPRsForWavesPerEU: 1
; NumVGPRsForWavesPerEU: 1
; Occupancy: 16
; WaveLimiterHint : 0
; COMPUTE_PGM_RSRC2:SCRATCH_EN: 0
; COMPUTE_PGM_RSRC2:USER_SGPR: 6
; COMPUTE_PGM_RSRC2:TRAP_HANDLER: 0
; COMPUTE_PGM_RSRC2:TGID_X_EN: 1
; COMPUTE_PGM_RSRC2:TGID_Y_EN: 0
; COMPUTE_PGM_RSRC2:TGID_Z_EN: 0
; COMPUTE_PGM_RSRC2:TIDIG_COMP_CNT: 0
	.section	.text._ZN7rocprim17ROCPRIM_400000_NS6detail17trampoline_kernelINS0_14default_configENS1_22reduce_config_selectorIN6thrust23THRUST_200600_302600_NS5tupleIblNS6_9null_typeES8_S8_S8_S8_S8_S8_S8_EEEEZNS1_11reduce_implILb1ES3_NS6_12zip_iteratorINS7_INS6_11hip_rocprim26transform_input_iterator_tIbNSD_35transform_pair_of_input_iterators_tIbNS6_6detail15normal_iteratorINS6_10device_ptrIKsEEEESL_NS6_8equal_toIsEEEENSG_9not_fun_tINSD_8identityEEEEENSD_19counting_iterator_tIlEES8_S8_S8_S8_S8_S8_S8_S8_EEEEPS9_S9_NSD_9__find_if7functorIS9_EEEE10hipError_tPvRmT1_T2_T3_mT4_P12ihipStream_tbEUlT_E1_NS1_11comp_targetILNS1_3genE9ELNS1_11target_archE1100ELNS1_3gpuE3ELNS1_3repE0EEENS1_30default_config_static_selectorELNS0_4arch9wavefront6targetE0EEEvS14_,"axG",@progbits,_ZN7rocprim17ROCPRIM_400000_NS6detail17trampoline_kernelINS0_14default_configENS1_22reduce_config_selectorIN6thrust23THRUST_200600_302600_NS5tupleIblNS6_9null_typeES8_S8_S8_S8_S8_S8_S8_EEEEZNS1_11reduce_implILb1ES3_NS6_12zip_iteratorINS7_INS6_11hip_rocprim26transform_input_iterator_tIbNSD_35transform_pair_of_input_iterators_tIbNS6_6detail15normal_iteratorINS6_10device_ptrIKsEEEESL_NS6_8equal_toIsEEEENSG_9not_fun_tINSD_8identityEEEEENSD_19counting_iterator_tIlEES8_S8_S8_S8_S8_S8_S8_S8_EEEEPS9_S9_NSD_9__find_if7functorIS9_EEEE10hipError_tPvRmT1_T2_T3_mT4_P12ihipStream_tbEUlT_E1_NS1_11comp_targetILNS1_3genE9ELNS1_11target_archE1100ELNS1_3gpuE3ELNS1_3repE0EEENS1_30default_config_static_selectorELNS0_4arch9wavefront6targetE0EEEvS14_,comdat
	.protected	_ZN7rocprim17ROCPRIM_400000_NS6detail17trampoline_kernelINS0_14default_configENS1_22reduce_config_selectorIN6thrust23THRUST_200600_302600_NS5tupleIblNS6_9null_typeES8_S8_S8_S8_S8_S8_S8_EEEEZNS1_11reduce_implILb1ES3_NS6_12zip_iteratorINS7_INS6_11hip_rocprim26transform_input_iterator_tIbNSD_35transform_pair_of_input_iterators_tIbNS6_6detail15normal_iteratorINS6_10device_ptrIKsEEEESL_NS6_8equal_toIsEEEENSG_9not_fun_tINSD_8identityEEEEENSD_19counting_iterator_tIlEES8_S8_S8_S8_S8_S8_S8_S8_EEEEPS9_S9_NSD_9__find_if7functorIS9_EEEE10hipError_tPvRmT1_T2_T3_mT4_P12ihipStream_tbEUlT_E1_NS1_11comp_targetILNS1_3genE9ELNS1_11target_archE1100ELNS1_3gpuE3ELNS1_3repE0EEENS1_30default_config_static_selectorELNS0_4arch9wavefront6targetE0EEEvS14_ ; -- Begin function _ZN7rocprim17ROCPRIM_400000_NS6detail17trampoline_kernelINS0_14default_configENS1_22reduce_config_selectorIN6thrust23THRUST_200600_302600_NS5tupleIblNS6_9null_typeES8_S8_S8_S8_S8_S8_S8_EEEEZNS1_11reduce_implILb1ES3_NS6_12zip_iteratorINS7_INS6_11hip_rocprim26transform_input_iterator_tIbNSD_35transform_pair_of_input_iterators_tIbNS6_6detail15normal_iteratorINS6_10device_ptrIKsEEEESL_NS6_8equal_toIsEEEENSG_9not_fun_tINSD_8identityEEEEENSD_19counting_iterator_tIlEES8_S8_S8_S8_S8_S8_S8_S8_EEEEPS9_S9_NSD_9__find_if7functorIS9_EEEE10hipError_tPvRmT1_T2_T3_mT4_P12ihipStream_tbEUlT_E1_NS1_11comp_targetILNS1_3genE9ELNS1_11target_archE1100ELNS1_3gpuE3ELNS1_3repE0EEENS1_30default_config_static_selectorELNS0_4arch9wavefront6targetE0EEEvS14_
	.globl	_ZN7rocprim17ROCPRIM_400000_NS6detail17trampoline_kernelINS0_14default_configENS1_22reduce_config_selectorIN6thrust23THRUST_200600_302600_NS5tupleIblNS6_9null_typeES8_S8_S8_S8_S8_S8_S8_EEEEZNS1_11reduce_implILb1ES3_NS6_12zip_iteratorINS7_INS6_11hip_rocprim26transform_input_iterator_tIbNSD_35transform_pair_of_input_iterators_tIbNS6_6detail15normal_iteratorINS6_10device_ptrIKsEEEESL_NS6_8equal_toIsEEEENSG_9not_fun_tINSD_8identityEEEEENSD_19counting_iterator_tIlEES8_S8_S8_S8_S8_S8_S8_S8_EEEEPS9_S9_NSD_9__find_if7functorIS9_EEEE10hipError_tPvRmT1_T2_T3_mT4_P12ihipStream_tbEUlT_E1_NS1_11comp_targetILNS1_3genE9ELNS1_11target_archE1100ELNS1_3gpuE3ELNS1_3repE0EEENS1_30default_config_static_selectorELNS0_4arch9wavefront6targetE0EEEvS14_
	.p2align	8
	.type	_ZN7rocprim17ROCPRIM_400000_NS6detail17trampoline_kernelINS0_14default_configENS1_22reduce_config_selectorIN6thrust23THRUST_200600_302600_NS5tupleIblNS6_9null_typeES8_S8_S8_S8_S8_S8_S8_EEEEZNS1_11reduce_implILb1ES3_NS6_12zip_iteratorINS7_INS6_11hip_rocprim26transform_input_iterator_tIbNSD_35transform_pair_of_input_iterators_tIbNS6_6detail15normal_iteratorINS6_10device_ptrIKsEEEESL_NS6_8equal_toIsEEEENSG_9not_fun_tINSD_8identityEEEEENSD_19counting_iterator_tIlEES8_S8_S8_S8_S8_S8_S8_S8_EEEEPS9_S9_NSD_9__find_if7functorIS9_EEEE10hipError_tPvRmT1_T2_T3_mT4_P12ihipStream_tbEUlT_E1_NS1_11comp_targetILNS1_3genE9ELNS1_11target_archE1100ELNS1_3gpuE3ELNS1_3repE0EEENS1_30default_config_static_selectorELNS0_4arch9wavefront6targetE0EEEvS14_,@function
_ZN7rocprim17ROCPRIM_400000_NS6detail17trampoline_kernelINS0_14default_configENS1_22reduce_config_selectorIN6thrust23THRUST_200600_302600_NS5tupleIblNS6_9null_typeES8_S8_S8_S8_S8_S8_S8_EEEEZNS1_11reduce_implILb1ES3_NS6_12zip_iteratorINS7_INS6_11hip_rocprim26transform_input_iterator_tIbNSD_35transform_pair_of_input_iterators_tIbNS6_6detail15normal_iteratorINS6_10device_ptrIKsEEEESL_NS6_8equal_toIsEEEENSG_9not_fun_tINSD_8identityEEEEENSD_19counting_iterator_tIlEES8_S8_S8_S8_S8_S8_S8_S8_EEEEPS9_S9_NSD_9__find_if7functorIS9_EEEE10hipError_tPvRmT1_T2_T3_mT4_P12ihipStream_tbEUlT_E1_NS1_11comp_targetILNS1_3genE9ELNS1_11target_archE1100ELNS1_3gpuE3ELNS1_3repE0EEENS1_30default_config_static_selectorELNS0_4arch9wavefront6targetE0EEEvS14_: ; @_ZN7rocprim17ROCPRIM_400000_NS6detail17trampoline_kernelINS0_14default_configENS1_22reduce_config_selectorIN6thrust23THRUST_200600_302600_NS5tupleIblNS6_9null_typeES8_S8_S8_S8_S8_S8_S8_EEEEZNS1_11reduce_implILb1ES3_NS6_12zip_iteratorINS7_INS6_11hip_rocprim26transform_input_iterator_tIbNSD_35transform_pair_of_input_iterators_tIbNS6_6detail15normal_iteratorINS6_10device_ptrIKsEEEESL_NS6_8equal_toIsEEEENSG_9not_fun_tINSD_8identityEEEEENSD_19counting_iterator_tIlEES8_S8_S8_S8_S8_S8_S8_S8_EEEEPS9_S9_NSD_9__find_if7functorIS9_EEEE10hipError_tPvRmT1_T2_T3_mT4_P12ihipStream_tbEUlT_E1_NS1_11comp_targetILNS1_3genE9ELNS1_11target_archE1100ELNS1_3gpuE3ELNS1_3repE0EEENS1_30default_config_static_selectorELNS0_4arch9wavefront6targetE0EEEvS14_
; %bb.0:
	.section	.rodata,"a",@progbits
	.p2align	6, 0x0
	.amdhsa_kernel _ZN7rocprim17ROCPRIM_400000_NS6detail17trampoline_kernelINS0_14default_configENS1_22reduce_config_selectorIN6thrust23THRUST_200600_302600_NS5tupleIblNS6_9null_typeES8_S8_S8_S8_S8_S8_S8_EEEEZNS1_11reduce_implILb1ES3_NS6_12zip_iteratorINS7_INS6_11hip_rocprim26transform_input_iterator_tIbNSD_35transform_pair_of_input_iterators_tIbNS6_6detail15normal_iteratorINS6_10device_ptrIKsEEEESL_NS6_8equal_toIsEEEENSG_9not_fun_tINSD_8identityEEEEENSD_19counting_iterator_tIlEES8_S8_S8_S8_S8_S8_S8_S8_EEEEPS9_S9_NSD_9__find_if7functorIS9_EEEE10hipError_tPvRmT1_T2_T3_mT4_P12ihipStream_tbEUlT_E1_NS1_11comp_targetILNS1_3genE9ELNS1_11target_archE1100ELNS1_3gpuE3ELNS1_3repE0EEENS1_30default_config_static_selectorELNS0_4arch9wavefront6targetE0EEEvS14_
		.amdhsa_group_segment_fixed_size 0
		.amdhsa_private_segment_fixed_size 0
		.amdhsa_kernarg_size 88
		.amdhsa_user_sgpr_count 6
		.amdhsa_user_sgpr_private_segment_buffer 1
		.amdhsa_user_sgpr_dispatch_ptr 0
		.amdhsa_user_sgpr_queue_ptr 0
		.amdhsa_user_sgpr_kernarg_segment_ptr 1
		.amdhsa_user_sgpr_dispatch_id 0
		.amdhsa_user_sgpr_flat_scratch_init 0
		.amdhsa_user_sgpr_private_segment_size 0
		.amdhsa_wavefront_size32 1
		.amdhsa_uses_dynamic_stack 0
		.amdhsa_system_sgpr_private_segment_wavefront_offset 0
		.amdhsa_system_sgpr_workgroup_id_x 1
		.amdhsa_system_sgpr_workgroup_id_y 0
		.amdhsa_system_sgpr_workgroup_id_z 0
		.amdhsa_system_sgpr_workgroup_info 0
		.amdhsa_system_vgpr_workitem_id 0
		.amdhsa_next_free_vgpr 1
		.amdhsa_next_free_sgpr 1
		.amdhsa_reserve_vcc 0
		.amdhsa_reserve_flat_scratch 0
		.amdhsa_float_round_mode_32 0
		.amdhsa_float_round_mode_16_64 0
		.amdhsa_float_denorm_mode_32 3
		.amdhsa_float_denorm_mode_16_64 3
		.amdhsa_dx10_clamp 1
		.amdhsa_ieee_mode 1
		.amdhsa_fp16_overflow 0
		.amdhsa_workgroup_processor_mode 1
		.amdhsa_memory_ordered 1
		.amdhsa_forward_progress 1
		.amdhsa_shared_vgpr_count 0
		.amdhsa_exception_fp_ieee_invalid_op 0
		.amdhsa_exception_fp_denorm_src 0
		.amdhsa_exception_fp_ieee_div_zero 0
		.amdhsa_exception_fp_ieee_overflow 0
		.amdhsa_exception_fp_ieee_underflow 0
		.amdhsa_exception_fp_ieee_inexact 0
		.amdhsa_exception_int_div_zero 0
	.end_amdhsa_kernel
	.section	.text._ZN7rocprim17ROCPRIM_400000_NS6detail17trampoline_kernelINS0_14default_configENS1_22reduce_config_selectorIN6thrust23THRUST_200600_302600_NS5tupleIblNS6_9null_typeES8_S8_S8_S8_S8_S8_S8_EEEEZNS1_11reduce_implILb1ES3_NS6_12zip_iteratorINS7_INS6_11hip_rocprim26transform_input_iterator_tIbNSD_35transform_pair_of_input_iterators_tIbNS6_6detail15normal_iteratorINS6_10device_ptrIKsEEEESL_NS6_8equal_toIsEEEENSG_9not_fun_tINSD_8identityEEEEENSD_19counting_iterator_tIlEES8_S8_S8_S8_S8_S8_S8_S8_EEEEPS9_S9_NSD_9__find_if7functorIS9_EEEE10hipError_tPvRmT1_T2_T3_mT4_P12ihipStream_tbEUlT_E1_NS1_11comp_targetILNS1_3genE9ELNS1_11target_archE1100ELNS1_3gpuE3ELNS1_3repE0EEENS1_30default_config_static_selectorELNS0_4arch9wavefront6targetE0EEEvS14_,"axG",@progbits,_ZN7rocprim17ROCPRIM_400000_NS6detail17trampoline_kernelINS0_14default_configENS1_22reduce_config_selectorIN6thrust23THRUST_200600_302600_NS5tupleIblNS6_9null_typeES8_S8_S8_S8_S8_S8_S8_EEEEZNS1_11reduce_implILb1ES3_NS6_12zip_iteratorINS7_INS6_11hip_rocprim26transform_input_iterator_tIbNSD_35transform_pair_of_input_iterators_tIbNS6_6detail15normal_iteratorINS6_10device_ptrIKsEEEESL_NS6_8equal_toIsEEEENSG_9not_fun_tINSD_8identityEEEEENSD_19counting_iterator_tIlEES8_S8_S8_S8_S8_S8_S8_S8_EEEEPS9_S9_NSD_9__find_if7functorIS9_EEEE10hipError_tPvRmT1_T2_T3_mT4_P12ihipStream_tbEUlT_E1_NS1_11comp_targetILNS1_3genE9ELNS1_11target_archE1100ELNS1_3gpuE3ELNS1_3repE0EEENS1_30default_config_static_selectorELNS0_4arch9wavefront6targetE0EEEvS14_,comdat
.Lfunc_end597:
	.size	_ZN7rocprim17ROCPRIM_400000_NS6detail17trampoline_kernelINS0_14default_configENS1_22reduce_config_selectorIN6thrust23THRUST_200600_302600_NS5tupleIblNS6_9null_typeES8_S8_S8_S8_S8_S8_S8_EEEEZNS1_11reduce_implILb1ES3_NS6_12zip_iteratorINS7_INS6_11hip_rocprim26transform_input_iterator_tIbNSD_35transform_pair_of_input_iterators_tIbNS6_6detail15normal_iteratorINS6_10device_ptrIKsEEEESL_NS6_8equal_toIsEEEENSG_9not_fun_tINSD_8identityEEEEENSD_19counting_iterator_tIlEES8_S8_S8_S8_S8_S8_S8_S8_EEEEPS9_S9_NSD_9__find_if7functorIS9_EEEE10hipError_tPvRmT1_T2_T3_mT4_P12ihipStream_tbEUlT_E1_NS1_11comp_targetILNS1_3genE9ELNS1_11target_archE1100ELNS1_3gpuE3ELNS1_3repE0EEENS1_30default_config_static_selectorELNS0_4arch9wavefront6targetE0EEEvS14_, .Lfunc_end597-_ZN7rocprim17ROCPRIM_400000_NS6detail17trampoline_kernelINS0_14default_configENS1_22reduce_config_selectorIN6thrust23THRUST_200600_302600_NS5tupleIblNS6_9null_typeES8_S8_S8_S8_S8_S8_S8_EEEEZNS1_11reduce_implILb1ES3_NS6_12zip_iteratorINS7_INS6_11hip_rocprim26transform_input_iterator_tIbNSD_35transform_pair_of_input_iterators_tIbNS6_6detail15normal_iteratorINS6_10device_ptrIKsEEEESL_NS6_8equal_toIsEEEENSG_9not_fun_tINSD_8identityEEEEENSD_19counting_iterator_tIlEES8_S8_S8_S8_S8_S8_S8_S8_EEEEPS9_S9_NSD_9__find_if7functorIS9_EEEE10hipError_tPvRmT1_T2_T3_mT4_P12ihipStream_tbEUlT_E1_NS1_11comp_targetILNS1_3genE9ELNS1_11target_archE1100ELNS1_3gpuE3ELNS1_3repE0EEENS1_30default_config_static_selectorELNS0_4arch9wavefront6targetE0EEEvS14_
                                        ; -- End function
	.set _ZN7rocprim17ROCPRIM_400000_NS6detail17trampoline_kernelINS0_14default_configENS1_22reduce_config_selectorIN6thrust23THRUST_200600_302600_NS5tupleIblNS6_9null_typeES8_S8_S8_S8_S8_S8_S8_EEEEZNS1_11reduce_implILb1ES3_NS6_12zip_iteratorINS7_INS6_11hip_rocprim26transform_input_iterator_tIbNSD_35transform_pair_of_input_iterators_tIbNS6_6detail15normal_iteratorINS6_10device_ptrIKsEEEESL_NS6_8equal_toIsEEEENSG_9not_fun_tINSD_8identityEEEEENSD_19counting_iterator_tIlEES8_S8_S8_S8_S8_S8_S8_S8_EEEEPS9_S9_NSD_9__find_if7functorIS9_EEEE10hipError_tPvRmT1_T2_T3_mT4_P12ihipStream_tbEUlT_E1_NS1_11comp_targetILNS1_3genE9ELNS1_11target_archE1100ELNS1_3gpuE3ELNS1_3repE0EEENS1_30default_config_static_selectorELNS0_4arch9wavefront6targetE0EEEvS14_.num_vgpr, 0
	.set _ZN7rocprim17ROCPRIM_400000_NS6detail17trampoline_kernelINS0_14default_configENS1_22reduce_config_selectorIN6thrust23THRUST_200600_302600_NS5tupleIblNS6_9null_typeES8_S8_S8_S8_S8_S8_S8_EEEEZNS1_11reduce_implILb1ES3_NS6_12zip_iteratorINS7_INS6_11hip_rocprim26transform_input_iterator_tIbNSD_35transform_pair_of_input_iterators_tIbNS6_6detail15normal_iteratorINS6_10device_ptrIKsEEEESL_NS6_8equal_toIsEEEENSG_9not_fun_tINSD_8identityEEEEENSD_19counting_iterator_tIlEES8_S8_S8_S8_S8_S8_S8_S8_EEEEPS9_S9_NSD_9__find_if7functorIS9_EEEE10hipError_tPvRmT1_T2_T3_mT4_P12ihipStream_tbEUlT_E1_NS1_11comp_targetILNS1_3genE9ELNS1_11target_archE1100ELNS1_3gpuE3ELNS1_3repE0EEENS1_30default_config_static_selectorELNS0_4arch9wavefront6targetE0EEEvS14_.num_agpr, 0
	.set _ZN7rocprim17ROCPRIM_400000_NS6detail17trampoline_kernelINS0_14default_configENS1_22reduce_config_selectorIN6thrust23THRUST_200600_302600_NS5tupleIblNS6_9null_typeES8_S8_S8_S8_S8_S8_S8_EEEEZNS1_11reduce_implILb1ES3_NS6_12zip_iteratorINS7_INS6_11hip_rocprim26transform_input_iterator_tIbNSD_35transform_pair_of_input_iterators_tIbNS6_6detail15normal_iteratorINS6_10device_ptrIKsEEEESL_NS6_8equal_toIsEEEENSG_9not_fun_tINSD_8identityEEEEENSD_19counting_iterator_tIlEES8_S8_S8_S8_S8_S8_S8_S8_EEEEPS9_S9_NSD_9__find_if7functorIS9_EEEE10hipError_tPvRmT1_T2_T3_mT4_P12ihipStream_tbEUlT_E1_NS1_11comp_targetILNS1_3genE9ELNS1_11target_archE1100ELNS1_3gpuE3ELNS1_3repE0EEENS1_30default_config_static_selectorELNS0_4arch9wavefront6targetE0EEEvS14_.numbered_sgpr, 0
	.set _ZN7rocprim17ROCPRIM_400000_NS6detail17trampoline_kernelINS0_14default_configENS1_22reduce_config_selectorIN6thrust23THRUST_200600_302600_NS5tupleIblNS6_9null_typeES8_S8_S8_S8_S8_S8_S8_EEEEZNS1_11reduce_implILb1ES3_NS6_12zip_iteratorINS7_INS6_11hip_rocprim26transform_input_iterator_tIbNSD_35transform_pair_of_input_iterators_tIbNS6_6detail15normal_iteratorINS6_10device_ptrIKsEEEESL_NS6_8equal_toIsEEEENSG_9not_fun_tINSD_8identityEEEEENSD_19counting_iterator_tIlEES8_S8_S8_S8_S8_S8_S8_S8_EEEEPS9_S9_NSD_9__find_if7functorIS9_EEEE10hipError_tPvRmT1_T2_T3_mT4_P12ihipStream_tbEUlT_E1_NS1_11comp_targetILNS1_3genE9ELNS1_11target_archE1100ELNS1_3gpuE3ELNS1_3repE0EEENS1_30default_config_static_selectorELNS0_4arch9wavefront6targetE0EEEvS14_.num_named_barrier, 0
	.set _ZN7rocprim17ROCPRIM_400000_NS6detail17trampoline_kernelINS0_14default_configENS1_22reduce_config_selectorIN6thrust23THRUST_200600_302600_NS5tupleIblNS6_9null_typeES8_S8_S8_S8_S8_S8_S8_EEEEZNS1_11reduce_implILb1ES3_NS6_12zip_iteratorINS7_INS6_11hip_rocprim26transform_input_iterator_tIbNSD_35transform_pair_of_input_iterators_tIbNS6_6detail15normal_iteratorINS6_10device_ptrIKsEEEESL_NS6_8equal_toIsEEEENSG_9not_fun_tINSD_8identityEEEEENSD_19counting_iterator_tIlEES8_S8_S8_S8_S8_S8_S8_S8_EEEEPS9_S9_NSD_9__find_if7functorIS9_EEEE10hipError_tPvRmT1_T2_T3_mT4_P12ihipStream_tbEUlT_E1_NS1_11comp_targetILNS1_3genE9ELNS1_11target_archE1100ELNS1_3gpuE3ELNS1_3repE0EEENS1_30default_config_static_selectorELNS0_4arch9wavefront6targetE0EEEvS14_.private_seg_size, 0
	.set _ZN7rocprim17ROCPRIM_400000_NS6detail17trampoline_kernelINS0_14default_configENS1_22reduce_config_selectorIN6thrust23THRUST_200600_302600_NS5tupleIblNS6_9null_typeES8_S8_S8_S8_S8_S8_S8_EEEEZNS1_11reduce_implILb1ES3_NS6_12zip_iteratorINS7_INS6_11hip_rocprim26transform_input_iterator_tIbNSD_35transform_pair_of_input_iterators_tIbNS6_6detail15normal_iteratorINS6_10device_ptrIKsEEEESL_NS6_8equal_toIsEEEENSG_9not_fun_tINSD_8identityEEEEENSD_19counting_iterator_tIlEES8_S8_S8_S8_S8_S8_S8_S8_EEEEPS9_S9_NSD_9__find_if7functorIS9_EEEE10hipError_tPvRmT1_T2_T3_mT4_P12ihipStream_tbEUlT_E1_NS1_11comp_targetILNS1_3genE9ELNS1_11target_archE1100ELNS1_3gpuE3ELNS1_3repE0EEENS1_30default_config_static_selectorELNS0_4arch9wavefront6targetE0EEEvS14_.uses_vcc, 0
	.set _ZN7rocprim17ROCPRIM_400000_NS6detail17trampoline_kernelINS0_14default_configENS1_22reduce_config_selectorIN6thrust23THRUST_200600_302600_NS5tupleIblNS6_9null_typeES8_S8_S8_S8_S8_S8_S8_EEEEZNS1_11reduce_implILb1ES3_NS6_12zip_iteratorINS7_INS6_11hip_rocprim26transform_input_iterator_tIbNSD_35transform_pair_of_input_iterators_tIbNS6_6detail15normal_iteratorINS6_10device_ptrIKsEEEESL_NS6_8equal_toIsEEEENSG_9not_fun_tINSD_8identityEEEEENSD_19counting_iterator_tIlEES8_S8_S8_S8_S8_S8_S8_S8_EEEEPS9_S9_NSD_9__find_if7functorIS9_EEEE10hipError_tPvRmT1_T2_T3_mT4_P12ihipStream_tbEUlT_E1_NS1_11comp_targetILNS1_3genE9ELNS1_11target_archE1100ELNS1_3gpuE3ELNS1_3repE0EEENS1_30default_config_static_selectorELNS0_4arch9wavefront6targetE0EEEvS14_.uses_flat_scratch, 0
	.set _ZN7rocprim17ROCPRIM_400000_NS6detail17trampoline_kernelINS0_14default_configENS1_22reduce_config_selectorIN6thrust23THRUST_200600_302600_NS5tupleIblNS6_9null_typeES8_S8_S8_S8_S8_S8_S8_EEEEZNS1_11reduce_implILb1ES3_NS6_12zip_iteratorINS7_INS6_11hip_rocprim26transform_input_iterator_tIbNSD_35transform_pair_of_input_iterators_tIbNS6_6detail15normal_iteratorINS6_10device_ptrIKsEEEESL_NS6_8equal_toIsEEEENSG_9not_fun_tINSD_8identityEEEEENSD_19counting_iterator_tIlEES8_S8_S8_S8_S8_S8_S8_S8_EEEEPS9_S9_NSD_9__find_if7functorIS9_EEEE10hipError_tPvRmT1_T2_T3_mT4_P12ihipStream_tbEUlT_E1_NS1_11comp_targetILNS1_3genE9ELNS1_11target_archE1100ELNS1_3gpuE3ELNS1_3repE0EEENS1_30default_config_static_selectorELNS0_4arch9wavefront6targetE0EEEvS14_.has_dyn_sized_stack, 0
	.set _ZN7rocprim17ROCPRIM_400000_NS6detail17trampoline_kernelINS0_14default_configENS1_22reduce_config_selectorIN6thrust23THRUST_200600_302600_NS5tupleIblNS6_9null_typeES8_S8_S8_S8_S8_S8_S8_EEEEZNS1_11reduce_implILb1ES3_NS6_12zip_iteratorINS7_INS6_11hip_rocprim26transform_input_iterator_tIbNSD_35transform_pair_of_input_iterators_tIbNS6_6detail15normal_iteratorINS6_10device_ptrIKsEEEESL_NS6_8equal_toIsEEEENSG_9not_fun_tINSD_8identityEEEEENSD_19counting_iterator_tIlEES8_S8_S8_S8_S8_S8_S8_S8_EEEEPS9_S9_NSD_9__find_if7functorIS9_EEEE10hipError_tPvRmT1_T2_T3_mT4_P12ihipStream_tbEUlT_E1_NS1_11comp_targetILNS1_3genE9ELNS1_11target_archE1100ELNS1_3gpuE3ELNS1_3repE0EEENS1_30default_config_static_selectorELNS0_4arch9wavefront6targetE0EEEvS14_.has_recursion, 0
	.set _ZN7rocprim17ROCPRIM_400000_NS6detail17trampoline_kernelINS0_14default_configENS1_22reduce_config_selectorIN6thrust23THRUST_200600_302600_NS5tupleIblNS6_9null_typeES8_S8_S8_S8_S8_S8_S8_EEEEZNS1_11reduce_implILb1ES3_NS6_12zip_iteratorINS7_INS6_11hip_rocprim26transform_input_iterator_tIbNSD_35transform_pair_of_input_iterators_tIbNS6_6detail15normal_iteratorINS6_10device_ptrIKsEEEESL_NS6_8equal_toIsEEEENSG_9not_fun_tINSD_8identityEEEEENSD_19counting_iterator_tIlEES8_S8_S8_S8_S8_S8_S8_S8_EEEEPS9_S9_NSD_9__find_if7functorIS9_EEEE10hipError_tPvRmT1_T2_T3_mT4_P12ihipStream_tbEUlT_E1_NS1_11comp_targetILNS1_3genE9ELNS1_11target_archE1100ELNS1_3gpuE3ELNS1_3repE0EEENS1_30default_config_static_selectorELNS0_4arch9wavefront6targetE0EEEvS14_.has_indirect_call, 0
	.section	.AMDGPU.csdata,"",@progbits
; Kernel info:
; codeLenInByte = 0
; TotalNumSgprs: 0
; NumVgprs: 0
; ScratchSize: 0
; MemoryBound: 0
; FloatMode: 240
; IeeeMode: 1
; LDSByteSize: 0 bytes/workgroup (compile time only)
; SGPRBlocks: 0
; VGPRBlocks: 0
; NumSGPRsForWavesPerEU: 1
; NumVGPRsForWavesPerEU: 1
; Occupancy: 16
; WaveLimiterHint : 0
; COMPUTE_PGM_RSRC2:SCRATCH_EN: 0
; COMPUTE_PGM_RSRC2:USER_SGPR: 6
; COMPUTE_PGM_RSRC2:TRAP_HANDLER: 0
; COMPUTE_PGM_RSRC2:TGID_X_EN: 1
; COMPUTE_PGM_RSRC2:TGID_Y_EN: 0
; COMPUTE_PGM_RSRC2:TGID_Z_EN: 0
; COMPUTE_PGM_RSRC2:TIDIG_COMP_CNT: 0
	.section	.text._ZN7rocprim17ROCPRIM_400000_NS6detail17trampoline_kernelINS0_14default_configENS1_22reduce_config_selectorIN6thrust23THRUST_200600_302600_NS5tupleIblNS6_9null_typeES8_S8_S8_S8_S8_S8_S8_EEEEZNS1_11reduce_implILb1ES3_NS6_12zip_iteratorINS7_INS6_11hip_rocprim26transform_input_iterator_tIbNSD_35transform_pair_of_input_iterators_tIbNS6_6detail15normal_iteratorINS6_10device_ptrIKsEEEESL_NS6_8equal_toIsEEEENSG_9not_fun_tINSD_8identityEEEEENSD_19counting_iterator_tIlEES8_S8_S8_S8_S8_S8_S8_S8_EEEEPS9_S9_NSD_9__find_if7functorIS9_EEEE10hipError_tPvRmT1_T2_T3_mT4_P12ihipStream_tbEUlT_E1_NS1_11comp_targetILNS1_3genE8ELNS1_11target_archE1030ELNS1_3gpuE2ELNS1_3repE0EEENS1_30default_config_static_selectorELNS0_4arch9wavefront6targetE0EEEvS14_,"axG",@progbits,_ZN7rocprim17ROCPRIM_400000_NS6detail17trampoline_kernelINS0_14default_configENS1_22reduce_config_selectorIN6thrust23THRUST_200600_302600_NS5tupleIblNS6_9null_typeES8_S8_S8_S8_S8_S8_S8_EEEEZNS1_11reduce_implILb1ES3_NS6_12zip_iteratorINS7_INS6_11hip_rocprim26transform_input_iterator_tIbNSD_35transform_pair_of_input_iterators_tIbNS6_6detail15normal_iteratorINS6_10device_ptrIKsEEEESL_NS6_8equal_toIsEEEENSG_9not_fun_tINSD_8identityEEEEENSD_19counting_iterator_tIlEES8_S8_S8_S8_S8_S8_S8_S8_EEEEPS9_S9_NSD_9__find_if7functorIS9_EEEE10hipError_tPvRmT1_T2_T3_mT4_P12ihipStream_tbEUlT_E1_NS1_11comp_targetILNS1_3genE8ELNS1_11target_archE1030ELNS1_3gpuE2ELNS1_3repE0EEENS1_30default_config_static_selectorELNS0_4arch9wavefront6targetE0EEEvS14_,comdat
	.protected	_ZN7rocprim17ROCPRIM_400000_NS6detail17trampoline_kernelINS0_14default_configENS1_22reduce_config_selectorIN6thrust23THRUST_200600_302600_NS5tupleIblNS6_9null_typeES8_S8_S8_S8_S8_S8_S8_EEEEZNS1_11reduce_implILb1ES3_NS6_12zip_iteratorINS7_INS6_11hip_rocprim26transform_input_iterator_tIbNSD_35transform_pair_of_input_iterators_tIbNS6_6detail15normal_iteratorINS6_10device_ptrIKsEEEESL_NS6_8equal_toIsEEEENSG_9not_fun_tINSD_8identityEEEEENSD_19counting_iterator_tIlEES8_S8_S8_S8_S8_S8_S8_S8_EEEEPS9_S9_NSD_9__find_if7functorIS9_EEEE10hipError_tPvRmT1_T2_T3_mT4_P12ihipStream_tbEUlT_E1_NS1_11comp_targetILNS1_3genE8ELNS1_11target_archE1030ELNS1_3gpuE2ELNS1_3repE0EEENS1_30default_config_static_selectorELNS0_4arch9wavefront6targetE0EEEvS14_ ; -- Begin function _ZN7rocprim17ROCPRIM_400000_NS6detail17trampoline_kernelINS0_14default_configENS1_22reduce_config_selectorIN6thrust23THRUST_200600_302600_NS5tupleIblNS6_9null_typeES8_S8_S8_S8_S8_S8_S8_EEEEZNS1_11reduce_implILb1ES3_NS6_12zip_iteratorINS7_INS6_11hip_rocprim26transform_input_iterator_tIbNSD_35transform_pair_of_input_iterators_tIbNS6_6detail15normal_iteratorINS6_10device_ptrIKsEEEESL_NS6_8equal_toIsEEEENSG_9not_fun_tINSD_8identityEEEEENSD_19counting_iterator_tIlEES8_S8_S8_S8_S8_S8_S8_S8_EEEEPS9_S9_NSD_9__find_if7functorIS9_EEEE10hipError_tPvRmT1_T2_T3_mT4_P12ihipStream_tbEUlT_E1_NS1_11comp_targetILNS1_3genE8ELNS1_11target_archE1030ELNS1_3gpuE2ELNS1_3repE0EEENS1_30default_config_static_selectorELNS0_4arch9wavefront6targetE0EEEvS14_
	.globl	_ZN7rocprim17ROCPRIM_400000_NS6detail17trampoline_kernelINS0_14default_configENS1_22reduce_config_selectorIN6thrust23THRUST_200600_302600_NS5tupleIblNS6_9null_typeES8_S8_S8_S8_S8_S8_S8_EEEEZNS1_11reduce_implILb1ES3_NS6_12zip_iteratorINS7_INS6_11hip_rocprim26transform_input_iterator_tIbNSD_35transform_pair_of_input_iterators_tIbNS6_6detail15normal_iteratorINS6_10device_ptrIKsEEEESL_NS6_8equal_toIsEEEENSG_9not_fun_tINSD_8identityEEEEENSD_19counting_iterator_tIlEES8_S8_S8_S8_S8_S8_S8_S8_EEEEPS9_S9_NSD_9__find_if7functorIS9_EEEE10hipError_tPvRmT1_T2_T3_mT4_P12ihipStream_tbEUlT_E1_NS1_11comp_targetILNS1_3genE8ELNS1_11target_archE1030ELNS1_3gpuE2ELNS1_3repE0EEENS1_30default_config_static_selectorELNS0_4arch9wavefront6targetE0EEEvS14_
	.p2align	8
	.type	_ZN7rocprim17ROCPRIM_400000_NS6detail17trampoline_kernelINS0_14default_configENS1_22reduce_config_selectorIN6thrust23THRUST_200600_302600_NS5tupleIblNS6_9null_typeES8_S8_S8_S8_S8_S8_S8_EEEEZNS1_11reduce_implILb1ES3_NS6_12zip_iteratorINS7_INS6_11hip_rocprim26transform_input_iterator_tIbNSD_35transform_pair_of_input_iterators_tIbNS6_6detail15normal_iteratorINS6_10device_ptrIKsEEEESL_NS6_8equal_toIsEEEENSG_9not_fun_tINSD_8identityEEEEENSD_19counting_iterator_tIlEES8_S8_S8_S8_S8_S8_S8_S8_EEEEPS9_S9_NSD_9__find_if7functorIS9_EEEE10hipError_tPvRmT1_T2_T3_mT4_P12ihipStream_tbEUlT_E1_NS1_11comp_targetILNS1_3genE8ELNS1_11target_archE1030ELNS1_3gpuE2ELNS1_3repE0EEENS1_30default_config_static_selectorELNS0_4arch9wavefront6targetE0EEEvS14_,@function
_ZN7rocprim17ROCPRIM_400000_NS6detail17trampoline_kernelINS0_14default_configENS1_22reduce_config_selectorIN6thrust23THRUST_200600_302600_NS5tupleIblNS6_9null_typeES8_S8_S8_S8_S8_S8_S8_EEEEZNS1_11reduce_implILb1ES3_NS6_12zip_iteratorINS7_INS6_11hip_rocprim26transform_input_iterator_tIbNSD_35transform_pair_of_input_iterators_tIbNS6_6detail15normal_iteratorINS6_10device_ptrIKsEEEESL_NS6_8equal_toIsEEEENSG_9not_fun_tINSD_8identityEEEEENSD_19counting_iterator_tIlEES8_S8_S8_S8_S8_S8_S8_S8_EEEEPS9_S9_NSD_9__find_if7functorIS9_EEEE10hipError_tPvRmT1_T2_T3_mT4_P12ihipStream_tbEUlT_E1_NS1_11comp_targetILNS1_3genE8ELNS1_11target_archE1030ELNS1_3gpuE2ELNS1_3repE0EEENS1_30default_config_static_selectorELNS0_4arch9wavefront6targetE0EEEvS14_: ; @_ZN7rocprim17ROCPRIM_400000_NS6detail17trampoline_kernelINS0_14default_configENS1_22reduce_config_selectorIN6thrust23THRUST_200600_302600_NS5tupleIblNS6_9null_typeES8_S8_S8_S8_S8_S8_S8_EEEEZNS1_11reduce_implILb1ES3_NS6_12zip_iteratorINS7_INS6_11hip_rocprim26transform_input_iterator_tIbNSD_35transform_pair_of_input_iterators_tIbNS6_6detail15normal_iteratorINS6_10device_ptrIKsEEEESL_NS6_8equal_toIsEEEENSG_9not_fun_tINSD_8identityEEEEENSD_19counting_iterator_tIlEES8_S8_S8_S8_S8_S8_S8_S8_EEEEPS9_S9_NSD_9__find_if7functorIS9_EEEE10hipError_tPvRmT1_T2_T3_mT4_P12ihipStream_tbEUlT_E1_NS1_11comp_targetILNS1_3genE8ELNS1_11target_archE1030ELNS1_3gpuE2ELNS1_3repE0EEENS1_30default_config_static_selectorELNS0_4arch9wavefront6targetE0EEEvS14_
; %bb.0:
	s_clause 0x4
	s_load_dword s25, s[4:5], 0x4
	s_load_dwordx4 s[16:19], s[4:5], 0x8
	s_load_dwordx4 s[12:15], s[4:5], 0x28
	s_load_dword s24, s[4:5], 0x40
	s_load_dwordx2 s[20:21], s[4:5], 0x48
	s_waitcnt lgkmcnt(0)
	s_cmp_lt_i32 s25, 4
	s_cbranch_scc1 .LBB598_21
; %bb.1:
	s_cmp_gt_i32 s25, 7
	s_cbranch_scc0 .LBB598_22
; %bb.2:
	s_cmp_eq_u32 s25, 8
	s_mov_b32 s26, 0
	s_cbranch_scc0 .LBB598_23
; %bb.3:
	s_mov_b32 s7, 0
	s_lshl_b32 s8, s6, 11
	s_mov_b32 s9, s7
	s_lshr_b64 s[2:3], s[14:15], 11
	s_lshl_b64 s[0:1], s[8:9], 1
	s_add_u32 s10, s16, s0
	s_addc_u32 s11, s17, s1
	s_add_u32 s22, s18, s0
	s_addc_u32 s23, s19, s1
	;; [unrolled: 2-line block ×3, first 2 shown]
	s_cmp_lg_u64 s[2:3], s[6:7]
	s_cbranch_scc0 .LBB598_44
; %bb.4:
	v_lshlrev_b32_e32 v1, 1, v0
	s_clause 0x7
	global_load_ushort v6, v1, s[10:11]
	global_load_ushort v7, v1, s[22:23]
	global_load_ushort v8, v1, s[10:11] offset:512
	global_load_ushort v9, v1, s[22:23] offset:512
	;; [unrolled: 1-line block ×6, first 2 shown]
	v_add_co_u32 v3, s0, s10, v1
	v_add_co_ci_u32_e64 v4, null, s11, 0, s0
	v_add_co_u32 v2, s0, s22, v1
	v_add_co_ci_u32_e64 v5, null, s23, 0, s0
	v_add_co_u32 v1, vcc_lo, 0x800, v2
	v_add_co_ci_u32_e64 v2, null, 0, v5, vcc_lo
	v_add_co_u32 v3, vcc_lo, 0x800, v3
	v_add_co_ci_u32_e64 v4, null, 0, v4, vcc_lo
	global_load_ushort v5, v[1:2], off
	s_clause 0x1
	global_load_ushort v14, v[3:4], off
	global_load_ushort v15, v[3:4], off offset:512
	s_clause 0x1
	global_load_ushort v16, v[1:2], off offset:512
	global_load_ushort v17, v[1:2], off offset:1024
	s_clause 0x1
	global_load_ushort v18, v[3:4], off offset:1024
	global_load_ushort v3, v[3:4], off offset:1536
	global_load_ushort v1, v[1:2], off offset:1536
	v_mov_b32_e32 v2, 0x100
	v_mov_b32_e32 v4, 0x300
	s_waitcnt vmcnt(14)
	v_cmp_ne_u16_e64 s0, v6, v7
	v_mov_b32_e32 v6, 0x500
	s_waitcnt vmcnt(12)
	v_cmp_ne_u16_e32 vcc_lo, v8, v9
	s_waitcnt vmcnt(10)
	v_cmp_ne_u16_e64 s1, v10, v11
	s_waitcnt vmcnt(8)
	v_cmp_ne_u16_e64 s2, v13, v12
	v_cndmask_b32_e32 v2, 0x200, v2, vcc_lo
	v_cndmask_b32_e64 v4, 0x400, v4, s2
	v_cndmask_b32_e64 v2, v2, 0, s0
	s_or_b32 s0, s0, vcc_lo
	s_or_b32 s0, s0, s1
	s_or_b32 s2, s0, s2
	v_cndmask_b32_e64 v2, v4, v2, s0
	s_waitcnt vmcnt(6)
	v_cmp_ne_u16_e32 vcc_lo, v14, v5
	s_waitcnt vmcnt(4)
	v_cmp_ne_u16_e64 s1, v15, v16
	s_waitcnt vmcnt(2)
	v_cmp_ne_u16_e64 s0, v18, v17
	s_or_b32 vcc_lo, s2, vcc_lo
	v_cndmask_b32_e64 v4, 0x600, v6, s1
	s_or_b32 s1, vcc_lo, s1
	v_cndmask_b32_e32 v2, v4, v2, vcc_lo
	s_or_b32 vcc_lo, s1, s0
	v_add_co_u32 v4, s0, s28, v0
	v_add_co_ci_u32_e64 v5, null, s29, 0, s0
	v_cndmask_b32_e32 v2, 0x700, v2, vcc_lo
	s_waitcnt vmcnt(0)
	v_cmp_ne_u16_e64 s0, v3, v1
	v_add_co_u32 v1, s1, v4, v2
	v_add_co_ci_u32_e64 v2, null, 0, v5, s1
	s_or_b32 s0, vcc_lo, s0
	v_mov_b32_dpp v3, v1 quad_perm:[1,0,3,2] row_mask:0xf bank_mask:0xf
	v_cndmask_b32_e64 v5, 0, 1, s0
	v_mov_b32_dpp v4, v2 quad_perm:[1,0,3,2] row_mask:0xf bank_mask:0xf
	v_mov_b32_dpp v6, v5 quad_perm:[1,0,3,2] row_mask:0xf bank_mask:0xf
	v_cmp_lt_i64_e32 vcc_lo, v[1:2], v[3:4]
	v_and_b32_e32 v6, 1, v6
	s_and_b32 vcc_lo, s0, vcc_lo
	v_cndmask_b32_e32 v3, v3, v1, vcc_lo
	v_cndmask_b32_e32 v4, v4, v2, vcc_lo
	v_cmp_eq_u32_e32 vcc_lo, 1, v6
	v_cndmask_b32_e32 v2, v2, v4, vcc_lo
	v_cndmask_b32_e32 v1, v1, v3, vcc_lo
	v_cndmask_b32_e64 v5, v5, 1, vcc_lo
	v_mov_b32_dpp v4, v2 quad_perm:[2,3,0,1] row_mask:0xf bank_mask:0xf
	v_mov_b32_dpp v3, v1 quad_perm:[2,3,0,1] row_mask:0xf bank_mask:0xf
	v_and_b32_e32 v7, 1, v5
	v_mov_b32_dpp v6, v5 quad_perm:[2,3,0,1] row_mask:0xf bank_mask:0xf
	v_cmp_lt_i64_e32 vcc_lo, v[1:2], v[3:4]
	v_cmp_eq_u32_e64 s0, 1, v7
	v_and_b32_e32 v6, 1, v6
	s_and_b32 vcc_lo, s0, vcc_lo
	v_cmp_eq_u32_e64 s1, 1, v6
	v_cndmask_b32_e32 v3, v3, v1, vcc_lo
	v_cndmask_b32_e32 v4, v4, v2, vcc_lo
	v_cndmask_b32_e64 v5, v5, 1, s1
	v_cndmask_b32_e64 v1, v1, v3, s1
	;; [unrolled: 1-line block ×3, first 2 shown]
	v_and_b32_e32 v7, 1, v5
	v_mov_b32_dpp v3, v1 row_ror:4 row_mask:0xf bank_mask:0xf
	v_mov_b32_dpp v4, v2 row_ror:4 row_mask:0xf bank_mask:0xf
	;; [unrolled: 1-line block ×3, first 2 shown]
	v_cmp_eq_u32_e64 s0, 1, v7
	v_cmp_lt_i64_e32 vcc_lo, v[1:2], v[3:4]
	v_and_b32_e32 v6, 1, v6
	s_and_b32 vcc_lo, s0, vcc_lo
	v_cmp_eq_u32_e64 s1, 1, v6
	v_cndmask_b32_e32 v3, v3, v1, vcc_lo
	v_cndmask_b32_e32 v4, v4, v2, vcc_lo
	v_cndmask_b32_e64 v5, v5, 1, s1
	v_cndmask_b32_e64 v1, v1, v3, s1
	;; [unrolled: 1-line block ×3, first 2 shown]
	v_and_b32_e32 v7, 1, v5
	v_mov_b32_dpp v3, v1 row_ror:8 row_mask:0xf bank_mask:0xf
	v_mov_b32_dpp v4, v2 row_ror:8 row_mask:0xf bank_mask:0xf
	v_mov_b32_dpp v6, v5 row_ror:8 row_mask:0xf bank_mask:0xf
	v_cmp_eq_u32_e64 s0, 1, v7
	v_cmp_lt_i64_e32 vcc_lo, v[1:2], v[3:4]
	v_and_b32_e32 v6, 1, v6
	s_and_b32 vcc_lo, s0, vcc_lo
	v_cmp_eq_u32_e64 s1, 1, v6
	v_cndmask_b32_e32 v3, v3, v1, vcc_lo
	v_cndmask_b32_e32 v4, v4, v2, vcc_lo
	v_cndmask_b32_e64 v5, v5, 1, s1
	v_cndmask_b32_e64 v1, v1, v3, s1
	;; [unrolled: 1-line block ×3, first 2 shown]
	ds_swizzle_b32 v6, v5 offset:swizzle(BROADCAST,32,15)
	ds_swizzle_b32 v3, v1 offset:swizzle(BROADCAST,32,15)
	;; [unrolled: 1-line block ×3, first 2 shown]
	v_and_b32_e32 v7, 1, v5
	v_cmp_eq_u32_e64 s0, 1, v7
	v_mbcnt_lo_u32_b32 v7, -1, 0
	s_waitcnt lgkmcnt(2)
	v_and_b32_e32 v6, 1, v6
	s_waitcnt lgkmcnt(0)
	v_cmp_lt_i64_e32 vcc_lo, v[1:2], v[3:4]
	v_cmp_eq_u32_e64 s1, 1, v6
	v_mov_b32_e32 v6, 0
	s_and_b32 vcc_lo, s0, vcc_lo
	s_mov_b32 s0, exec_lo
	v_cndmask_b32_e32 v3, v3, v1, vcc_lo
	v_cndmask_b32_e32 v4, v4, v2, vcc_lo
	v_cndmask_b32_e64 v5, v5, 1, s1
	v_cndmask_b32_e64 v1, v1, v3, s1
	;; [unrolled: 1-line block ×3, first 2 shown]
	ds_bpermute_b32 v17, v6, v5 offset:124
	ds_bpermute_b32 v1, v6, v1 offset:124
	;; [unrolled: 1-line block ×3, first 2 shown]
	v_cmpx_eq_u32_e32 0, v7
	s_cbranch_execz .LBB598_6
; %bb.5:
	v_lshrrev_b32_e32 v3, 1, v0
	v_and_b32_e32 v3, 0x70, v3
	s_waitcnt lgkmcnt(2)
	ds_write_b8 v3, v17 offset:384
	s_waitcnt lgkmcnt(1)
	ds_write_b64 v3, v[1:2] offset:392
.LBB598_6:
	s_or_b32 exec_lo, exec_lo, s0
	s_mov_b32 s0, exec_lo
	s_waitcnt lgkmcnt(0)
	s_barrier
	buffer_gl0_inv
	v_cmpx_gt_u32_e32 32, v0
	s_cbranch_execz .LBB598_20
; %bb.7:
	v_and_b32_e32 v8, 7, v7
	v_lshlrev_b32_e32 v1, 4, v8
	v_cmp_ne_u32_e32 vcc_lo, 7, v8
	ds_read_u8 v10, v1 offset:384
	ds_read_b64 v[3:4], v1 offset:392
	v_add_co_ci_u32_e64 v2, null, 0, v7, vcc_lo
	v_lshlrev_b32_e32 v2, 2, v2
	s_waitcnt lgkmcnt(1)
	v_and_b32_e32 v1, 0xff, v10
	s_waitcnt lgkmcnt(0)
	ds_bpermute_b32 v5, v2, v3
	ds_bpermute_b32 v6, v2, v4
	;; [unrolled: 1-line block ×3, first 2 shown]
	s_waitcnt lgkmcnt(0)
	v_and_b32_e32 v1, v10, v11
	v_and_b32_e32 v1, 1, v1
	v_cmp_eq_u32_e32 vcc_lo, 1, v1
                                        ; implicit-def: $vgpr1_vgpr2
	s_and_saveexec_b32 s1, vcc_lo
	s_xor_b32 s1, exec_lo, s1
; %bb.8:
	v_cmp_lt_i64_e32 vcc_lo, v[5:6], v[3:4]
                                        ; implicit-def: $vgpr10
                                        ; implicit-def: $vgpr11
	v_cndmask_b32_e32 v2, v4, v6, vcc_lo
	v_cndmask_b32_e32 v1, v3, v5, vcc_lo
                                        ; implicit-def: $vgpr5_vgpr6
                                        ; implicit-def: $vgpr3_vgpr4
; %bb.9:
	s_or_saveexec_b32 s1, s1
	v_mov_b32_e32 v9, 1
	s_xor_b32 exec_lo, exec_lo, s1
; %bb.10:
	v_and_b32_e32 v1, 1, v10
	v_and_b32_e32 v9, 0xff, v11
	v_cmp_eq_u32_e32 vcc_lo, 1, v1
	v_cndmask_b32_e32 v2, v6, v4, vcc_lo
	v_cndmask_b32_e32 v1, v5, v3, vcc_lo
	v_cndmask_b32_e64 v9, v9, 1, vcc_lo
; %bb.11:
	s_or_b32 exec_lo, exec_lo, s1
	v_cmp_gt_u32_e32 vcc_lo, 6, v8
	v_cndmask_b32_e64 v3, 0, 2, vcc_lo
	v_add_lshl_u32 v3, v3, v7, 2
	ds_bpermute_b32 v8, v3, v9
	ds_bpermute_b32 v5, v3, v1
	;; [unrolled: 1-line block ×3, first 2 shown]
	s_waitcnt lgkmcnt(2)
	v_and_b32_e32 v3, v9, v8
	v_and_b32_e32 v3, 1, v3
	v_cmp_eq_u32_e32 vcc_lo, 1, v3
                                        ; implicit-def: $vgpr3_vgpr4
	s_and_saveexec_b32 s1, vcc_lo
	s_xor_b32 s1, exec_lo, s1
	s_cbranch_execz .LBB598_13
; %bb.12:
	s_waitcnt lgkmcnt(0)
	v_cmp_lt_i64_e32 vcc_lo, v[5:6], v[1:2]
                                        ; implicit-def: $vgpr9
                                        ; implicit-def: $vgpr8
	v_cndmask_b32_e32 v4, v2, v6, vcc_lo
	v_cndmask_b32_e32 v3, v1, v5, vcc_lo
                                        ; implicit-def: $vgpr5_vgpr6
                                        ; implicit-def: $vgpr1_vgpr2
.LBB598_13:
	s_or_saveexec_b32 s1, s1
	v_lshlrev_b32_e32 v10, 2, v7
	v_mov_b32_e32 v7, 1
	s_xor_b32 exec_lo, exec_lo, s1
	s_cbranch_execz .LBB598_15
; %bb.14:
	v_and_b32_e32 v3, 1, v9
	v_and_b32_e32 v7, 0xff, v8
	v_cmp_eq_u32_e32 vcc_lo, 1, v3
	s_waitcnt lgkmcnt(0)
	v_cndmask_b32_e32 v4, v6, v2, vcc_lo
	v_cndmask_b32_e32 v3, v5, v1, vcc_lo
	v_cndmask_b32_e64 v7, v7, 1, vcc_lo
.LBB598_15:
	s_or_b32 exec_lo, exec_lo, s1
	v_or_b32_e32 v1, 16, v10
	ds_bpermute_b32 v8, v1, v7
	s_waitcnt lgkmcnt(2)
	ds_bpermute_b32 v5, v1, v3
	s_waitcnt lgkmcnt(2)
	;; [unrolled: 2-line block ×3, first 2 shown]
	v_and_b32_e32 v1, v7, v8
	v_and_b32_e32 v1, 1, v1
	v_cmp_eq_u32_e32 vcc_lo, 1, v1
                                        ; implicit-def: $vgpr1_vgpr2
	s_and_saveexec_b32 s1, vcc_lo
	s_xor_b32 s1, exec_lo, s1
	s_cbranch_execz .LBB598_17
; %bb.16:
	s_waitcnt lgkmcnt(0)
	v_cmp_lt_i64_e32 vcc_lo, v[5:6], v[3:4]
                                        ; implicit-def: $vgpr7
                                        ; implicit-def: $vgpr8
	v_cndmask_b32_e32 v2, v4, v6, vcc_lo
	v_cndmask_b32_e32 v1, v3, v5, vcc_lo
                                        ; implicit-def: $vgpr5_vgpr6
                                        ; implicit-def: $vgpr3_vgpr4
.LBB598_17:
	s_or_saveexec_b32 s1, s1
	v_mov_b32_e32 v17, 1
	s_xor_b32 exec_lo, exec_lo, s1
	s_cbranch_execz .LBB598_19
; %bb.18:
	v_and_b32_e32 v1, 1, v7
	v_cmp_eq_u32_e32 vcc_lo, 1, v1
	s_waitcnt lgkmcnt(0)
	v_cndmask_b32_e32 v2, v6, v4, vcc_lo
	v_cndmask_b32_e32 v1, v5, v3, vcc_lo
	v_cndmask_b32_e64 v17, v8, 1, vcc_lo
.LBB598_19:
	s_or_b32 exec_lo, exec_lo, s1
.LBB598_20:
	s_or_b32 exec_lo, exec_lo, s0
	s_branch .LBB598_167
.LBB598_21:
	s_mov_b32 s22, 0
                                        ; implicit-def: $vgpr3_vgpr4
                                        ; implicit-def: $vgpr5
                                        ; implicit-def: $vgpr1_vgpr2
	s_cbranch_execnz .LBB598_247
	s_branch .LBB598_356
.LBB598_22:
	s_mov_b32 s26, -1
.LBB598_23:
	s_mov_b32 s22, 0
                                        ; implicit-def: $vgpr3_vgpr4
                                        ; implicit-def: $vgpr5
                                        ; implicit-def: $vgpr1_vgpr2
	s_and_b32 vcc_lo, exec_lo, s26
	s_cbranch_vccz .LBB598_172
.LBB598_24:
	s_cmp_eq_u32 s25, 4
	s_cbranch_scc0 .LBB598_43
; %bb.25:
	s_mov_b32 s7, 0
	s_lshl_b32 s10, s6, 10
	s_mov_b32 s11, s7
	s_lshr_b64 s[26:27], s[14:15], 10
	s_lshl_b64 s[0:1], s[10:11], 1
	s_add_u32 s2, s16, s0
	s_addc_u32 s3, s17, s1
	s_add_u32 s8, s18, s0
	s_addc_u32 s9, s19, s1
	s_add_u32 s11, s12, s10
	s_addc_u32 s23, s13, 0
	s_cmp_lg_u64 s[26:27], s[6:7]
	s_cbranch_scc0 .LBB598_67
; %bb.26:
	v_lshlrev_b32_e32 v1, 1, v0
	v_mov_b32_e32 v9, 0x100
	global_load_ushort v2, v1, s[2:3] offset:512
	s_waitcnt lgkmcnt(1)
	global_load_ushort v3, v1, s[8:9] offset:512
	s_waitcnt lgkmcnt(0)
	s_clause 0x5
	global_load_ushort v4, v1, s[2:3]
	global_load_ushort v5, v1, s[8:9]
	global_load_ushort v6, v1, s[2:3] offset:1024
	global_load_ushort v7, v1, s[8:9] offset:1024
	;; [unrolled: 1-line block ×4, first 2 shown]
	s_waitcnt vmcnt(6)
	v_cmp_ne_u16_e32 vcc_lo, v2, v3
	s_waitcnt vmcnt(4)
	v_cmp_ne_u16_e64 s0, v4, v5
	s_waitcnt vmcnt(2)
	v_cmp_ne_u16_e64 s1, v6, v7
	v_cndmask_b32_e32 v2, 0x200, v9, vcc_lo
	v_cndmask_b32_e64 v2, v2, 0, s0
	s_or_b32 s0, s0, vcc_lo
	s_or_b32 vcc_lo, s0, s1
	v_add_co_u32 v3, s0, s11, v0
	v_cndmask_b32_e32 v2, 0x300, v2, vcc_lo
	v_add_co_ci_u32_e64 v4, null, s23, 0, s0
	s_waitcnt vmcnt(0)
	v_cmp_ne_u16_e64 s0, v1, v8
	v_add_co_u32 v1, s1, v3, v2
	v_add_co_ci_u32_e64 v2, null, 0, v4, s1
	s_or_b32 s0, vcc_lo, s0
	v_mov_b32_dpp v3, v1 quad_perm:[1,0,3,2] row_mask:0xf bank_mask:0xf
	v_cndmask_b32_e64 v5, 0, 1, s0
	v_mov_b32_dpp v4, v2 quad_perm:[1,0,3,2] row_mask:0xf bank_mask:0xf
	v_mov_b32_dpp v6, v5 quad_perm:[1,0,3,2] row_mask:0xf bank_mask:0xf
	v_cmp_lt_i64_e32 vcc_lo, v[1:2], v[3:4]
	v_and_b32_e32 v6, 1, v6
	s_and_b32 vcc_lo, s0, vcc_lo
	v_cndmask_b32_e32 v3, v3, v1, vcc_lo
	v_cndmask_b32_e32 v4, v4, v2, vcc_lo
	v_cmp_eq_u32_e32 vcc_lo, 1, v6
	v_cndmask_b32_e32 v2, v2, v4, vcc_lo
	v_cndmask_b32_e32 v1, v1, v3, vcc_lo
	v_cndmask_b32_e64 v5, v5, 1, vcc_lo
	v_mov_b32_dpp v4, v2 quad_perm:[2,3,0,1] row_mask:0xf bank_mask:0xf
	v_mov_b32_dpp v3, v1 quad_perm:[2,3,0,1] row_mask:0xf bank_mask:0xf
	v_and_b32_e32 v7, 1, v5
	v_mov_b32_dpp v6, v5 quad_perm:[2,3,0,1] row_mask:0xf bank_mask:0xf
	v_cmp_lt_i64_e32 vcc_lo, v[1:2], v[3:4]
	v_cmp_eq_u32_e64 s0, 1, v7
	v_and_b32_e32 v6, 1, v6
	s_and_b32 vcc_lo, s0, vcc_lo
	v_cmp_eq_u32_e64 s1, 1, v6
	v_cndmask_b32_e32 v3, v3, v1, vcc_lo
	v_cndmask_b32_e32 v4, v4, v2, vcc_lo
	v_cndmask_b32_e64 v5, v5, 1, s1
	v_cndmask_b32_e64 v1, v1, v3, s1
	;; [unrolled: 1-line block ×3, first 2 shown]
	v_and_b32_e32 v7, 1, v5
	v_mov_b32_dpp v3, v1 row_ror:4 row_mask:0xf bank_mask:0xf
	v_mov_b32_dpp v4, v2 row_ror:4 row_mask:0xf bank_mask:0xf
	v_mov_b32_dpp v6, v5 row_ror:4 row_mask:0xf bank_mask:0xf
	v_cmp_eq_u32_e64 s0, 1, v7
	v_cmp_lt_i64_e32 vcc_lo, v[1:2], v[3:4]
	v_and_b32_e32 v6, 1, v6
	s_and_b32 vcc_lo, s0, vcc_lo
	v_cmp_eq_u32_e64 s1, 1, v6
	v_cndmask_b32_e32 v3, v3, v1, vcc_lo
	v_cndmask_b32_e32 v4, v4, v2, vcc_lo
	v_cndmask_b32_e64 v5, v5, 1, s1
	v_cndmask_b32_e64 v1, v1, v3, s1
	;; [unrolled: 1-line block ×3, first 2 shown]
	v_and_b32_e32 v7, 1, v5
	v_mov_b32_dpp v3, v1 row_ror:8 row_mask:0xf bank_mask:0xf
	v_mov_b32_dpp v4, v2 row_ror:8 row_mask:0xf bank_mask:0xf
	;; [unrolled: 1-line block ×3, first 2 shown]
	v_cmp_eq_u32_e64 s0, 1, v7
	v_cmp_lt_i64_e32 vcc_lo, v[1:2], v[3:4]
	v_and_b32_e32 v6, 1, v6
	s_and_b32 vcc_lo, s0, vcc_lo
	v_cmp_eq_u32_e64 s1, 1, v6
	v_cndmask_b32_e32 v3, v3, v1, vcc_lo
	v_cndmask_b32_e32 v4, v4, v2, vcc_lo
	v_cndmask_b32_e64 v5, v5, 1, s1
	v_cndmask_b32_e64 v1, v1, v3, s1
	;; [unrolled: 1-line block ×3, first 2 shown]
	ds_swizzle_b32 v6, v5 offset:swizzle(BROADCAST,32,15)
	ds_swizzle_b32 v3, v1 offset:swizzle(BROADCAST,32,15)
	;; [unrolled: 1-line block ×3, first 2 shown]
	v_and_b32_e32 v7, 1, v5
	v_cmp_eq_u32_e64 s0, 1, v7
	v_mbcnt_lo_u32_b32 v7, -1, 0
	s_waitcnt lgkmcnt(2)
	v_and_b32_e32 v6, 1, v6
	s_waitcnt lgkmcnt(0)
	v_cmp_lt_i64_e32 vcc_lo, v[1:2], v[3:4]
	v_cmp_eq_u32_e64 s1, 1, v6
	v_mov_b32_e32 v6, 0
	s_and_b32 vcc_lo, s0, vcc_lo
	s_mov_b32 s0, exec_lo
	v_cndmask_b32_e32 v3, v3, v1, vcc_lo
	v_cndmask_b32_e32 v4, v4, v2, vcc_lo
	v_cndmask_b32_e64 v5, v5, 1, s1
	v_cndmask_b32_e64 v1, v1, v3, s1
	;; [unrolled: 1-line block ×3, first 2 shown]
	ds_bpermute_b32 v9, v6, v5 offset:124
	ds_bpermute_b32 v1, v6, v1 offset:124
	ds_bpermute_b32 v2, v6, v2 offset:124
	v_cmpx_eq_u32_e32 0, v7
	s_cbranch_execz .LBB598_28
; %bb.27:
	v_lshrrev_b32_e32 v3, 1, v0
	v_and_b32_e32 v3, 0x70, v3
	s_waitcnt lgkmcnt(2)
	ds_write_b8 v3, v9 offset:256
	s_waitcnt lgkmcnt(1)
	ds_write_b64 v3, v[1:2] offset:264
.LBB598_28:
	s_or_b32 exec_lo, exec_lo, s0
	s_mov_b32 s0, exec_lo
	s_waitcnt lgkmcnt(0)
	s_barrier
	buffer_gl0_inv
	v_cmpx_gt_u32_e32 32, v0
	s_cbranch_execz .LBB598_42
; %bb.29:
	v_and_b32_e32 v8, 7, v7
	v_lshlrev_b32_e32 v1, 4, v8
	v_cmp_ne_u32_e32 vcc_lo, 7, v8
	ds_read_u8 v10, v1 offset:256
	ds_read_b64 v[3:4], v1 offset:264
	v_add_co_ci_u32_e64 v2, null, 0, v7, vcc_lo
	v_lshlrev_b32_e32 v2, 2, v2
	s_waitcnt lgkmcnt(1)
	v_and_b32_e32 v1, 0xff, v10
	s_waitcnt lgkmcnt(0)
	ds_bpermute_b32 v5, v2, v3
	ds_bpermute_b32 v6, v2, v4
	ds_bpermute_b32 v11, v2, v1
	s_waitcnt lgkmcnt(0)
	v_and_b32_e32 v1, v10, v11
	v_and_b32_e32 v1, 1, v1
	v_cmp_eq_u32_e32 vcc_lo, 1, v1
                                        ; implicit-def: $vgpr1_vgpr2
	s_and_saveexec_b32 s1, vcc_lo
	s_xor_b32 s1, exec_lo, s1
; %bb.30:
	v_cmp_lt_i64_e32 vcc_lo, v[5:6], v[3:4]
                                        ; implicit-def: $vgpr10
                                        ; implicit-def: $vgpr11
	v_cndmask_b32_e32 v2, v4, v6, vcc_lo
	v_cndmask_b32_e32 v1, v3, v5, vcc_lo
                                        ; implicit-def: $vgpr5_vgpr6
                                        ; implicit-def: $vgpr3_vgpr4
; %bb.31:
	s_or_saveexec_b32 s1, s1
	v_mov_b32_e32 v9, 1
	s_xor_b32 exec_lo, exec_lo, s1
; %bb.32:
	v_and_b32_e32 v1, 1, v10
	v_and_b32_e32 v9, 0xff, v11
	v_cmp_eq_u32_e32 vcc_lo, 1, v1
	v_cndmask_b32_e32 v2, v6, v4, vcc_lo
	v_cndmask_b32_e32 v1, v5, v3, vcc_lo
	v_cndmask_b32_e64 v9, v9, 1, vcc_lo
; %bb.33:
	s_or_b32 exec_lo, exec_lo, s1
	v_cmp_gt_u32_e32 vcc_lo, 6, v8
	v_cndmask_b32_e64 v3, 0, 2, vcc_lo
	v_add_lshl_u32 v3, v3, v7, 2
	ds_bpermute_b32 v8, v3, v9
	ds_bpermute_b32 v5, v3, v1
	;; [unrolled: 1-line block ×3, first 2 shown]
	s_waitcnt lgkmcnt(2)
	v_and_b32_e32 v3, v9, v8
	v_and_b32_e32 v3, 1, v3
	v_cmp_eq_u32_e32 vcc_lo, 1, v3
                                        ; implicit-def: $vgpr3_vgpr4
	s_and_saveexec_b32 s1, vcc_lo
	s_xor_b32 s1, exec_lo, s1
	s_cbranch_execz .LBB598_35
; %bb.34:
	s_waitcnt lgkmcnt(0)
	v_cmp_lt_i64_e32 vcc_lo, v[5:6], v[1:2]
                                        ; implicit-def: $vgpr9
                                        ; implicit-def: $vgpr8
	v_cndmask_b32_e32 v4, v2, v6, vcc_lo
	v_cndmask_b32_e32 v3, v1, v5, vcc_lo
                                        ; implicit-def: $vgpr5_vgpr6
                                        ; implicit-def: $vgpr1_vgpr2
.LBB598_35:
	s_or_saveexec_b32 s1, s1
	v_lshlrev_b32_e32 v10, 2, v7
	v_mov_b32_e32 v7, 1
	s_xor_b32 exec_lo, exec_lo, s1
	s_cbranch_execz .LBB598_37
; %bb.36:
	v_and_b32_e32 v3, 1, v9
	v_and_b32_e32 v7, 0xff, v8
	v_cmp_eq_u32_e32 vcc_lo, 1, v3
	s_waitcnt lgkmcnt(0)
	v_cndmask_b32_e32 v4, v6, v2, vcc_lo
	v_cndmask_b32_e32 v3, v5, v1, vcc_lo
	v_cndmask_b32_e64 v7, v7, 1, vcc_lo
.LBB598_37:
	s_or_b32 exec_lo, exec_lo, s1
	v_or_b32_e32 v1, 16, v10
	ds_bpermute_b32 v8, v1, v7
	s_waitcnt lgkmcnt(2)
	ds_bpermute_b32 v5, v1, v3
	s_waitcnt lgkmcnt(2)
	;; [unrolled: 2-line block ×3, first 2 shown]
	v_and_b32_e32 v1, v7, v8
	v_and_b32_e32 v1, 1, v1
	v_cmp_eq_u32_e32 vcc_lo, 1, v1
                                        ; implicit-def: $vgpr1_vgpr2
	s_and_saveexec_b32 s1, vcc_lo
	s_xor_b32 s1, exec_lo, s1
	s_cbranch_execz .LBB598_39
; %bb.38:
	s_waitcnt lgkmcnt(0)
	v_cmp_lt_i64_e32 vcc_lo, v[5:6], v[3:4]
                                        ; implicit-def: $vgpr7
                                        ; implicit-def: $vgpr8
	v_cndmask_b32_e32 v2, v4, v6, vcc_lo
	v_cndmask_b32_e32 v1, v3, v5, vcc_lo
                                        ; implicit-def: $vgpr5_vgpr6
                                        ; implicit-def: $vgpr3_vgpr4
.LBB598_39:
	s_or_saveexec_b32 s1, s1
	v_mov_b32_e32 v9, 1
	s_xor_b32 exec_lo, exec_lo, s1
	s_cbranch_execz .LBB598_41
; %bb.40:
	v_and_b32_e32 v1, 1, v7
	v_cmp_eq_u32_e32 vcc_lo, 1, v1
	s_waitcnt lgkmcnt(0)
	v_cndmask_b32_e32 v2, v6, v4, vcc_lo
	v_cndmask_b32_e32 v1, v5, v3, vcc_lo
	v_cndmask_b32_e64 v9, v8, 1, vcc_lo
.LBB598_41:
	s_or_b32 exec_lo, exec_lo, s1
.LBB598_42:
	s_or_b32 exec_lo, exec_lo, s0
	s_branch .LBB598_242
.LBB598_43:
                                        ; implicit-def: $vgpr3_vgpr4
                                        ; implicit-def: $vgpr5
                                        ; implicit-def: $vgpr1_vgpr2
	s_branch .LBB598_356
.LBB598_44:
                                        ; implicit-def: $vgpr1_vgpr2
                                        ; implicit-def: $vgpr17
	s_cbranch_execz .LBB598_167
; %bb.45:
	v_mov_b32_e32 v15, 0
	v_mov_b32_e32 v1, 0
	v_mov_b32_e32 v24, 0
	v_mov_b32_e32 v16, 0
	v_mov_b32_e32 v2, 0
	v_mov_b32_e32 v17, 0
	s_sub_i32 s27, s14, s8
	s_mov_b32 s0, exec_lo
	v_cmpx_gt_u32_e64 s27, v0
	s_cbranch_execz .LBB598_47
; %bb.46:
	v_lshlrev_b32_e32 v1, 1, v0
	s_clause 0x1
	global_load_ushort v3, v1, s[10:11]
	global_load_ushort v4, v1, s[22:23]
	v_add_co_u32 v1, s1, s28, v0
	v_add_co_ci_u32_e64 v2, null, s29, 0, s1
	s_waitcnt vmcnt(0)
	v_cmp_ne_u16_e32 vcc_lo, v3, v4
	v_cndmask_b32_e64 v17, 0, 1, vcc_lo
.LBB598_47:
	s_or_b32 exec_lo, exec_lo, s0
	v_or_b32_e32 v3, 0x100, v0
	v_cmp_gt_u32_e64 s9, s27, v3
	s_and_saveexec_b32 s0, s9
	s_cbranch_execz .LBB598_49
; %bb.48:
	v_lshlrev_b32_e32 v4, 1, v0
	v_add_co_u32 v15, s1, s28, v3
	v_add_co_ci_u32_e64 v16, null, s29, 0, s1
	s_waitcnt lgkmcnt(1)
	s_clause 0x1
	global_load_ushort v5, v4, s[10:11] offset:512
	global_load_ushort v4, v4, s[22:23] offset:512
	s_waitcnt vmcnt(0)
	v_cmp_ne_u16_e32 vcc_lo, v5, v4
	v_cndmask_b32_e64 v24, 0, 1, vcc_lo
.LBB598_49:
	s_or_b32 exec_lo, exec_lo, s0
	v_or_b32_e32 v3, 0x200, v0
	v_mov_b32_e32 v11, 0
	v_mov_b32_e32 v13, 0
	;; [unrolled: 1-line block ×5, first 2 shown]
	v_cmp_gt_u32_e64 s8, s27, v3
	v_mov_b32_e32 v23, 0
	s_and_saveexec_b32 s0, s8
	s_cbranch_execz .LBB598_51
; %bb.50:
	v_lshlrev_b32_e32 v4, 1, v0
	v_add_co_u32 v13, s1, s28, v3
	v_add_co_ci_u32_e64 v14, null, s29, 0, s1
	s_waitcnt lgkmcnt(1)
	s_clause 0x1
	global_load_ushort v5, v4, s[10:11] offset:1024
	global_load_ushort v4, v4, s[22:23] offset:1024
	s_waitcnt vmcnt(0)
	v_cmp_ne_u16_e32 vcc_lo, v5, v4
	v_cndmask_b32_e64 v23, 0, 1, vcc_lo
.LBB598_51:
	s_or_b32 exec_lo, exec_lo, s0
	v_or_b32_e32 v3, 0x300, v0
	v_cmp_gt_u32_e64 s3, s27, v3
	s_and_saveexec_b32 s0, s3
	s_cbranch_execz .LBB598_53
; %bb.52:
	v_lshlrev_b32_e32 v4, 1, v0
	v_add_co_u32 v11, s1, s28, v3
	v_add_co_ci_u32_e64 v12, null, s29, 0, s1
	s_waitcnt lgkmcnt(1)
	s_clause 0x1
	global_load_ushort v5, v4, s[10:11] offset:1536
	global_load_ushort v4, v4, s[22:23] offset:1536
	s_waitcnt vmcnt(0)
	v_cmp_ne_u16_e32 vcc_lo, v5, v4
	v_cndmask_b32_e64 v22, 0, 1, vcc_lo
.LBB598_53:
	s_or_b32 exec_lo, exec_lo, s0
	v_or_b32_e32 v3, 0x400, v0
	v_mov_b32_e32 v7, 0
	v_mov_b32_e32 v9, 0
	;; [unrolled: 1-line block ×5, first 2 shown]
	v_cmp_gt_u32_e64 s2, s27, v3
	v_mov_b32_e32 v21, 0
	s_and_saveexec_b32 s0, s2
	s_cbranch_execz .LBB598_55
; %bb.54:
	v_lshlrev_b32_e32 v4, 1, v3
	v_add_co_u32 v9, s1, s28, v3
	v_add_co_ci_u32_e64 v10, null, s29, 0, s1
	s_waitcnt lgkmcnt(1)
	s_clause 0x1
	global_load_ushort v5, v4, s[10:11]
	global_load_ushort v4, v4, s[22:23]
	s_waitcnt vmcnt(0)
	v_cmp_ne_u16_e32 vcc_lo, v5, v4
	v_cndmask_b32_e64 v21, 0, 1, vcc_lo
.LBB598_55:
	s_or_b32 exec_lo, exec_lo, s0
	v_or_b32_e32 v3, 0x500, v0
	v_cmp_gt_u32_e64 s1, s27, v3
	s_and_saveexec_b32 s0, s1
	s_cbranch_execz .LBB598_57
; %bb.56:
	v_lshlrev_b32_e32 v4, 1, v3
	v_add_co_u32 v7, s30, s28, v3
	v_add_co_ci_u32_e64 v8, null, s29, 0, s30
	s_waitcnt lgkmcnt(1)
	s_clause 0x1
	global_load_ushort v5, v4, s[10:11]
	global_load_ushort v4, v4, s[22:23]
	s_waitcnt vmcnt(0)
	v_cmp_ne_u16_e32 vcc_lo, v5, v4
	v_cndmask_b32_e64 v20, 0, 1, vcc_lo
.LBB598_57:
	s_or_b32 exec_lo, exec_lo, s0
	v_or_b32_e32 v25, 0x600, v0
	v_mov_b32_e32 v3, 0
	s_waitcnt lgkmcnt(0)
	v_mov_b32_e32 v5, 0
	v_mov_b32_e32 v4, 0
	;; [unrolled: 1-line block ×4, first 2 shown]
	v_cmp_gt_u32_e64 s0, s27, v25
	v_mov_b32_e32 v19, 0
	s_and_saveexec_b32 s30, s0
	s_cbranch_execz .LBB598_59
; %bb.58:
	v_lshlrev_b32_e32 v5, 1, v25
	s_clause 0x1
	global_load_ushort v19, v5, s[10:11]
	global_load_ushort v26, v5, s[22:23]
	v_add_co_u32 v5, s31, s28, v25
	v_add_co_ci_u32_e64 v6, null, s29, 0, s31
	s_waitcnt vmcnt(0)
	v_cmp_ne_u16_e32 vcc_lo, v19, v26
	v_cndmask_b32_e64 v19, 0, 1, vcc_lo
.LBB598_59:
	s_or_b32 exec_lo, exec_lo, s30
	v_or_b32_e32 v25, 0x700, v0
	v_cmp_gt_u32_e32 vcc_lo, s27, v25
	s_and_saveexec_b32 s30, vcc_lo
	s_cbranch_execnz .LBB598_78
; %bb.60:
	s_or_b32 exec_lo, exec_lo, s30
	s_and_saveexec_b32 s11, s9
	s_cbranch_execnz .LBB598_79
.LBB598_61:
	s_or_b32 exec_lo, exec_lo, s11
	s_and_saveexec_b32 s10, s8
	s_cbranch_execnz .LBB598_84
.LBB598_62:
	s_or_b32 exec_lo, exec_lo, s10
	s_and_saveexec_b32 s9, s3
	s_cbranch_execnz .LBB598_89
.LBB598_63:
	s_or_b32 exec_lo, exec_lo, s9
	s_and_saveexec_b32 s8, s2
	s_cbranch_execnz .LBB598_94
.LBB598_64:
	s_or_b32 exec_lo, exec_lo, s8
	s_and_saveexec_b32 s3, s1
	s_cbranch_execnz .LBB598_99
.LBB598_65:
	s_or_b32 exec_lo, exec_lo, s3
	s_and_saveexec_b32 s2, s0
	s_cbranch_execnz .LBB598_104
.LBB598_66:
	s_or_b32 exec_lo, exec_lo, s2
	s_and_saveexec_b32 s1, vcc_lo
	s_cbranch_execnz .LBB598_109
	s_branch .LBB598_114
.LBB598_67:
                                        ; implicit-def: $vgpr1_vgpr2
                                        ; implicit-def: $vgpr9
	s_cbranch_execz .LBB598_242
; %bb.68:
	v_mov_b32_e32 v7, 0
	v_mov_b32_e32 v1, 0
	;; [unrolled: 1-line block ×6, first 2 shown]
	s_sub_i32 s10, s14, s10
	s_mov_b32 s0, exec_lo
	v_cmpx_gt_u32_e64 s10, v0
	s_cbranch_execz .LBB598_70
; %bb.69:
	v_lshlrev_b32_e32 v1, 1, v0
	s_waitcnt lgkmcnt(1)
	global_load_ushort v3, v1, s[2:3]
	s_waitcnt lgkmcnt(0)
	global_load_ushort v4, v1, s[8:9]
	v_add_co_u32 v1, s1, s11, v0
	v_add_co_ci_u32_e64 v2, null, s23, 0, s1
	s_waitcnt vmcnt(0)
	v_cmp_ne_u16_e32 vcc_lo, v3, v4
	v_cndmask_b32_e64 v9, 0, 1, vcc_lo
.LBB598_70:
	s_or_b32 exec_lo, exec_lo, s0
	s_waitcnt lgkmcnt(1)
	v_or_b32_e32 v3, 0x100, v0
	v_cmp_gt_u32_e64 s1, s10, v3
	s_and_saveexec_b32 s0, s1
	s_cbranch_execz .LBB598_72
; %bb.71:
	s_waitcnt lgkmcnt(0)
	v_lshlrev_b32_e32 v4, 1, v0
	v_add_co_u32 v7, s26, s11, v3
	v_add_co_ci_u32_e64 v8, null, s23, 0, s26
	s_clause 0x1
	global_load_ushort v5, v4, s[2:3] offset:512
	global_load_ushort v4, v4, s[8:9] offset:512
	s_waitcnt vmcnt(0)
	v_cmp_ne_u16_e32 vcc_lo, v5, v4
	v_cndmask_b32_e64 v12, 0, 1, vcc_lo
.LBB598_72:
	s_or_b32 exec_lo, exec_lo, s0
	v_or_b32_e32 v13, 0x200, v0
	s_waitcnt lgkmcnt(0)
	v_mov_b32_e32 v3, 0
	v_mov_b32_e32 v5, 0
	v_mov_b32_e32 v10, 0
	v_mov_b32_e32 v4, 0
	v_mov_b32_e32 v6, 0
	v_cmp_gt_u32_e64 s0, s10, v13
	v_mov_b32_e32 v11, 0
	s_and_saveexec_b32 s26, s0
	s_cbranch_execz .LBB598_74
; %bb.73:
	v_lshlrev_b32_e32 v5, 1, v0
	s_clause 0x1
	global_load_ushort v11, v5, s[2:3] offset:1024
	global_load_ushort v14, v5, s[8:9] offset:1024
	v_add_co_u32 v5, s27, s11, v13
	v_add_co_ci_u32_e64 v6, null, s23, 0, s27
	s_waitcnt vmcnt(0)
	v_cmp_ne_u16_e32 vcc_lo, v11, v14
	v_cndmask_b32_e64 v11, 0, 1, vcc_lo
.LBB598_74:
	s_or_b32 exec_lo, exec_lo, s26
	v_or_b32_e32 v13, 0x300, v0
	v_cmp_gt_u32_e32 vcc_lo, s10, v13
	s_and_saveexec_b32 s26, vcc_lo
	s_cbranch_execnz .LBB598_173
; %bb.75:
	s_or_b32 exec_lo, exec_lo, s26
	s_and_saveexec_b32 s3, s1
	s_cbranch_execnz .LBB598_174
.LBB598_76:
	s_or_b32 exec_lo, exec_lo, s3
	s_and_saveexec_b32 s2, s0
	s_cbranch_execnz .LBB598_179
.LBB598_77:
	s_or_b32 exec_lo, exec_lo, s2
	s_and_saveexec_b32 s1, vcc_lo
	s_cbranch_execnz .LBB598_184
	s_branch .LBB598_189
.LBB598_78:
	v_lshlrev_b32_e32 v3, 1, v25
	s_clause 0x1
	global_load_ushort v18, v3, s[10:11]
	global_load_ushort v26, v3, s[22:23]
	v_add_co_u32 v3, s10, s28, v25
	v_add_co_ci_u32_e64 v4, null, s29, 0, s10
	s_waitcnt vmcnt(0)
	v_cmp_ne_u16_e64 s10, v18, v26
	v_cndmask_b32_e64 v18, 0, 1, s10
	s_or_b32 exec_lo, exec_lo, s30
	s_and_saveexec_b32 s11, s9
	s_cbranch_execz .LBB598_61
.LBB598_79:
	v_and_b32_e32 v17, 1, v17
	v_and_b32_e32 v25, 1, v24
	v_cmp_eq_u32_e64 s9, 1, v17
	v_cmp_eq_u32_e64 s10, 1, v25
                                        ; implicit-def: $vgpr17
	s_and_b32 s10, s9, s10
	s_xor_b32 s10, s10, -1
	s_and_saveexec_b32 s22, s10
	s_xor_b32 s10, exec_lo, s22
; %bb.80:
	v_and_b32_e32 v17, 0xffff, v24
	v_cndmask_b32_e64 v2, v16, v2, s9
	v_cndmask_b32_e64 v1, v15, v1, s9
                                        ; implicit-def: $vgpr15_vgpr16
	v_cndmask_b32_e64 v17, v17, 1, s9
; %bb.81:
	s_andn2_saveexec_b32 s10, s10
; %bb.82:
	v_cmp_lt_i64_e64 s9, v[15:16], v[1:2]
	v_mov_b32_e32 v17, 1
	v_cndmask_b32_e64 v2, v2, v16, s9
	v_cndmask_b32_e64 v1, v1, v15, s9
; %bb.83:
	s_or_b32 exec_lo, exec_lo, s10
	s_or_b32 exec_lo, exec_lo, s11
	s_and_saveexec_b32 s10, s8
	s_cbranch_execz .LBB598_62
.LBB598_84:
	v_and_b32_e32 v15, 1, v17
	v_and_b32_e32 v16, 1, v23
                                        ; implicit-def: $vgpr17
	v_cmp_eq_u32_e64 s8, 1, v15
	v_cmp_eq_u32_e64 s9, 1, v16
	s_and_b32 s9, s8, s9
	s_xor_b32 s9, s9, -1
	s_and_saveexec_b32 s11, s9
	s_xor_b32 s9, exec_lo, s11
; %bb.85:
	v_and_b32_e32 v15, 0xffff, v23
	v_cndmask_b32_e64 v2, v14, v2, s8
	v_cndmask_b32_e64 v1, v13, v1, s8
                                        ; implicit-def: $vgpr13_vgpr14
	v_cndmask_b32_e64 v17, v15, 1, s8
; %bb.86:
	s_andn2_saveexec_b32 s9, s9
; %bb.87:
	v_cmp_lt_i64_e64 s8, v[13:14], v[1:2]
	v_mov_b32_e32 v17, 1
	v_cndmask_b32_e64 v2, v2, v14, s8
	v_cndmask_b32_e64 v1, v1, v13, s8
; %bb.88:
	s_or_b32 exec_lo, exec_lo, s9
	s_or_b32 exec_lo, exec_lo, s10
	s_and_saveexec_b32 s9, s3
	s_cbranch_execz .LBB598_63
.LBB598_89:
	v_and_b32_e32 v13, 1, v17
	v_and_b32_e32 v14, 1, v22
                                        ; implicit-def: $vgpr17
	v_cmp_eq_u32_e64 s3, 1, v13
	v_cmp_eq_u32_e64 s8, 1, v14
	s_and_b32 s8, s3, s8
	s_xor_b32 s8, s8, -1
	s_and_saveexec_b32 s10, s8
	s_xor_b32 s8, exec_lo, s10
; %bb.90:
	v_and_b32_e32 v13, 0xffff, v22
	v_cndmask_b32_e64 v2, v12, v2, s3
	v_cndmask_b32_e64 v1, v11, v1, s3
                                        ; implicit-def: $vgpr11_vgpr12
	v_cndmask_b32_e64 v17, v13, 1, s3
; %bb.91:
	s_andn2_saveexec_b32 s8, s8
; %bb.92:
	v_cmp_lt_i64_e64 s3, v[11:12], v[1:2]
	v_mov_b32_e32 v17, 1
	v_cndmask_b32_e64 v2, v2, v12, s3
	v_cndmask_b32_e64 v1, v1, v11, s3
; %bb.93:
	s_or_b32 exec_lo, exec_lo, s8
	s_or_b32 exec_lo, exec_lo, s9
	s_and_saveexec_b32 s8, s2
	s_cbranch_execz .LBB598_64
.LBB598_94:
	v_and_b32_e32 v11, 1, v17
	v_and_b32_e32 v12, 1, v21
                                        ; implicit-def: $vgpr17
	v_cmp_eq_u32_e64 s2, 1, v11
	v_cmp_eq_u32_e64 s3, 1, v12
	s_and_b32 s3, s2, s3
	s_xor_b32 s3, s3, -1
	s_and_saveexec_b32 s9, s3
	s_xor_b32 s3, exec_lo, s9
; %bb.95:
	v_and_b32_e32 v11, 0xffff, v21
	v_cndmask_b32_e64 v2, v10, v2, s2
	v_cndmask_b32_e64 v1, v9, v1, s2
                                        ; implicit-def: $vgpr9_vgpr10
	v_cndmask_b32_e64 v17, v11, 1, s2
; %bb.96:
	s_andn2_saveexec_b32 s3, s3
; %bb.97:
	v_cmp_lt_i64_e64 s2, v[9:10], v[1:2]
	v_mov_b32_e32 v17, 1
	v_cndmask_b32_e64 v2, v2, v10, s2
	v_cndmask_b32_e64 v1, v1, v9, s2
; %bb.98:
	s_or_b32 exec_lo, exec_lo, s3
	s_or_b32 exec_lo, exec_lo, s8
	s_and_saveexec_b32 s3, s1
	s_cbranch_execz .LBB598_65
.LBB598_99:
	v_and_b32_e32 v9, 1, v17
	v_and_b32_e32 v10, 1, v20
                                        ; implicit-def: $vgpr17
	v_cmp_eq_u32_e64 s1, 1, v9
	v_cmp_eq_u32_e64 s2, 1, v10
	s_and_b32 s2, s1, s2
	s_xor_b32 s2, s2, -1
	s_and_saveexec_b32 s8, s2
	s_xor_b32 s2, exec_lo, s8
; %bb.100:
	v_and_b32_e32 v9, 0xffff, v20
	v_cndmask_b32_e64 v2, v8, v2, s1
	v_cndmask_b32_e64 v1, v7, v1, s1
                                        ; implicit-def: $vgpr7_vgpr8
	v_cndmask_b32_e64 v17, v9, 1, s1
; %bb.101:
	s_andn2_saveexec_b32 s2, s2
; %bb.102:
	v_cmp_lt_i64_e64 s1, v[7:8], v[1:2]
	v_mov_b32_e32 v17, 1
	v_cndmask_b32_e64 v2, v2, v8, s1
	v_cndmask_b32_e64 v1, v1, v7, s1
; %bb.103:
	s_or_b32 exec_lo, exec_lo, s2
	s_or_b32 exec_lo, exec_lo, s3
	s_and_saveexec_b32 s2, s0
	s_cbranch_execz .LBB598_66
.LBB598_104:
	v_and_b32_e32 v7, 1, v17
	v_and_b32_e32 v8, 1, v19
                                        ; implicit-def: $vgpr17
	v_cmp_eq_u32_e64 s0, 1, v7
	v_cmp_eq_u32_e64 s1, 1, v8
	s_and_b32 s1, s0, s1
	s_xor_b32 s1, s1, -1
	s_and_saveexec_b32 s3, s1
	s_xor_b32 s1, exec_lo, s3
; %bb.105:
	v_and_b32_e32 v7, 0xffff, v19
	v_cndmask_b32_e64 v2, v6, v2, s0
	v_cndmask_b32_e64 v1, v5, v1, s0
                                        ; implicit-def: $vgpr5_vgpr6
	v_cndmask_b32_e64 v17, v7, 1, s0
; %bb.106:
	s_andn2_saveexec_b32 s1, s1
; %bb.107:
	v_cmp_lt_i64_e64 s0, v[5:6], v[1:2]
	v_mov_b32_e32 v17, 1
	v_cndmask_b32_e64 v2, v2, v6, s0
	v_cndmask_b32_e64 v1, v1, v5, s0
; %bb.108:
	s_or_b32 exec_lo, exec_lo, s1
	s_or_b32 exec_lo, exec_lo, s2
	s_and_saveexec_b32 s1, vcc_lo
	s_cbranch_execz .LBB598_114
.LBB598_109:
	v_and_b32_e32 v5, 1, v17
	v_and_b32_e32 v6, 1, v18
                                        ; implicit-def: $vgpr17
	v_cmp_eq_u32_e32 vcc_lo, 1, v5
	v_cmp_eq_u32_e64 s0, 1, v6
	s_and_b32 s0, vcc_lo, s0
	s_xor_b32 s0, s0, -1
	s_and_saveexec_b32 s2, s0
	s_xor_b32 s0, exec_lo, s2
; %bb.110:
	v_and_b32_e32 v5, 0xffff, v18
	v_cndmask_b32_e32 v2, v4, v2, vcc_lo
	v_cndmask_b32_e32 v1, v3, v1, vcc_lo
                                        ; implicit-def: $vgpr3_vgpr4
	v_cndmask_b32_e64 v17, v5, 1, vcc_lo
; %bb.111:
	s_andn2_saveexec_b32 s0, s0
; %bb.112:
	v_cmp_lt_i64_e32 vcc_lo, v[3:4], v[1:2]
	v_mov_b32_e32 v17, 1
	v_cndmask_b32_e32 v2, v2, v4, vcc_lo
	v_cndmask_b32_e32 v1, v1, v3, vcc_lo
; %bb.113:
	s_or_b32 exec_lo, exec_lo, s0
.LBB598_114:
	s_or_b32 exec_lo, exec_lo, s1
	v_mbcnt_lo_u32_b32 v5, -1, 0
	v_and_b32_e32 v6, 0xe0, v0
	s_min_u32 s0, s27, 0x100
	s_mov_b32 s1, exec_lo
	v_cmp_ne_u32_e32 vcc_lo, 31, v5
	v_sub_nc_u32_e64 v6, s0, v6 clamp
	v_add_nc_u32_e32 v8, 1, v5
	v_add_co_ci_u32_e64 v3, null, 0, v5, vcc_lo
	v_lshlrev_b32_e32 v4, 2, v3
	ds_bpermute_b32 v7, v4, v17
	ds_bpermute_b32 v3, v4, v1
	ds_bpermute_b32 v4, v4, v2
	v_cmpx_lt_u32_e64 v8, v6
	s_xor_b32 s1, exec_lo, s1
	s_cbranch_execz .LBB598_120
; %bb.115:
	s_waitcnt lgkmcnt(2)
	v_and_b32_e32 v8, v7, v17
	s_mov_b32 s2, exec_lo
	v_cmpx_ne_u32_e32 0, v8
	s_xor_b32 s2, exec_lo, s2
	s_cbranch_execz .LBB598_117
; %bb.116:
	s_waitcnt lgkmcnt(0)
	v_cmp_lt_i64_e32 vcc_lo, v[3:4], v[1:2]
                                        ; implicit-def: $vgpr17
                                        ; implicit-def: $vgpr7
	v_cndmask_b32_e32 v2, v2, v4, vcc_lo
	v_cndmask_b32_e32 v1, v1, v3, vcc_lo
                                        ; implicit-def: $vgpr3_vgpr4
.LBB598_117:
	s_or_saveexec_b32 s2, s2
	v_mov_b32_e32 v8, 1
	s_xor_b32 exec_lo, exec_lo, s2
	s_cbranch_execz .LBB598_119
; %bb.118:
	v_and_b32_e32 v8, 1, v17
	v_and_b32_e32 v7, 0xff, v7
	v_cmp_eq_u32_e32 vcc_lo, 1, v8
	s_waitcnt lgkmcnt(0)
	v_cndmask_b32_e32 v2, v4, v2, vcc_lo
	v_cndmask_b32_e32 v1, v3, v1, vcc_lo
	v_cndmask_b32_e64 v8, v7, 1, vcc_lo
.LBB598_119:
	s_or_b32 exec_lo, exec_lo, s2
	v_mov_b32_e32 v17, v8
.LBB598_120:
	s_or_b32 exec_lo, exec_lo, s1
	v_cmp_gt_u32_e32 vcc_lo, 30, v5
	v_add_nc_u32_e32 v8, 2, v5
	s_mov_b32 s1, exec_lo
	s_waitcnt lgkmcnt(1)
	v_cndmask_b32_e64 v3, 0, 2, vcc_lo
	s_waitcnt lgkmcnt(0)
	v_add_lshl_u32 v4, v3, v5, 2
	ds_bpermute_b32 v7, v4, v17
	ds_bpermute_b32 v3, v4, v1
	ds_bpermute_b32 v4, v4, v2
	v_cmpx_lt_u32_e64 v8, v6
	s_cbranch_execz .LBB598_126
; %bb.121:
	s_waitcnt lgkmcnt(2)
	v_and_b32_e32 v8, v17, v7
	s_mov_b32 s2, exec_lo
	v_and_b32_e32 v8, 1, v8
	v_cmpx_eq_u32_e32 1, v8
	s_xor_b32 s2, exec_lo, s2
	s_cbranch_execz .LBB598_123
; %bb.122:
	s_waitcnt lgkmcnt(0)
	v_cmp_lt_i64_e32 vcc_lo, v[3:4], v[1:2]
                                        ; implicit-def: $vgpr17
                                        ; implicit-def: $vgpr7
	v_cndmask_b32_e32 v2, v2, v4, vcc_lo
	v_cndmask_b32_e32 v1, v1, v3, vcc_lo
                                        ; implicit-def: $vgpr3_vgpr4
.LBB598_123:
	s_or_saveexec_b32 s2, s2
	v_mov_b32_e32 v8, 1
	s_xor_b32 exec_lo, exec_lo, s2
	s_cbranch_execz .LBB598_125
; %bb.124:
	v_and_b32_e32 v8, 1, v17
	v_and_b32_e32 v7, 0xff, v7
	v_cmp_eq_u32_e32 vcc_lo, 1, v8
	s_waitcnt lgkmcnt(0)
	v_cndmask_b32_e32 v2, v4, v2, vcc_lo
	v_cndmask_b32_e32 v1, v3, v1, vcc_lo
	v_cndmask_b32_e64 v8, v7, 1, vcc_lo
.LBB598_125:
	s_or_b32 exec_lo, exec_lo, s2
	v_mov_b32_e32 v17, v8
.LBB598_126:
	s_or_b32 exec_lo, exec_lo, s1
	v_cmp_gt_u32_e32 vcc_lo, 28, v5
	v_add_nc_u32_e32 v8, 4, v5
	s_mov_b32 s1, exec_lo
	s_waitcnt lgkmcnt(1)
	v_cndmask_b32_e64 v3, 0, 4, vcc_lo
	s_waitcnt lgkmcnt(0)
	v_add_lshl_u32 v4, v3, v5, 2
	ds_bpermute_b32 v7, v4, v17
	ds_bpermute_b32 v3, v4, v1
	ds_bpermute_b32 v4, v4, v2
	v_cmpx_lt_u32_e64 v8, v6
	s_cbranch_execz .LBB598_132
; %bb.127:
	s_waitcnt lgkmcnt(2)
	v_and_b32_e32 v8, v17, v7
	s_mov_b32 s2, exec_lo
	v_and_b32_e32 v8, 1, v8
	v_cmpx_eq_u32_e32 1, v8
	s_xor_b32 s2, exec_lo, s2
	s_cbranch_execz .LBB598_129
; %bb.128:
	s_waitcnt lgkmcnt(0)
	v_cmp_lt_i64_e32 vcc_lo, v[3:4], v[1:2]
                                        ; implicit-def: $vgpr17
                                        ; implicit-def: $vgpr7
	v_cndmask_b32_e32 v2, v2, v4, vcc_lo
	v_cndmask_b32_e32 v1, v1, v3, vcc_lo
                                        ; implicit-def: $vgpr3_vgpr4
.LBB598_129:
	s_or_saveexec_b32 s2, s2
	v_mov_b32_e32 v8, 1
	s_xor_b32 exec_lo, exec_lo, s2
	s_cbranch_execz .LBB598_131
; %bb.130:
	v_and_b32_e32 v8, 1, v17
	v_and_b32_e32 v7, 0xff, v7
	v_cmp_eq_u32_e32 vcc_lo, 1, v8
	s_waitcnt lgkmcnt(0)
	v_cndmask_b32_e32 v2, v4, v2, vcc_lo
	v_cndmask_b32_e32 v1, v3, v1, vcc_lo
	v_cndmask_b32_e64 v8, v7, 1, vcc_lo
.LBB598_131:
	s_or_b32 exec_lo, exec_lo, s2
	v_mov_b32_e32 v17, v8
.LBB598_132:
	;; [unrolled: 46-line block ×3, first 2 shown]
	s_or_b32 exec_lo, exec_lo, s1
	s_waitcnt lgkmcnt(2)
	v_lshlrev_b32_e32 v7, 2, v5
	v_add_nc_u32_e32 v9, 16, v5
	s_waitcnt lgkmcnt(0)
	v_or_b32_e32 v4, 64, v7
	v_cmp_lt_u32_e32 vcc_lo, v9, v6
	v_mov_b32_e32 v6, v17
	ds_bpermute_b32 v8, v4, v17
	ds_bpermute_b32 v3, v4, v1
	;; [unrolled: 1-line block ×3, first 2 shown]
	s_and_saveexec_b32 s1, vcc_lo
	s_cbranch_execz .LBB598_144
; %bb.139:
	s_waitcnt lgkmcnt(2)
	v_and_b32_e32 v6, v17, v8
	s_mov_b32 s2, exec_lo
	v_and_b32_e32 v6, 1, v6
	v_cmpx_eq_u32_e32 1, v6
	s_xor_b32 s2, exec_lo, s2
	s_cbranch_execz .LBB598_141
; %bb.140:
	s_waitcnt lgkmcnt(0)
	v_cmp_lt_i64_e32 vcc_lo, v[3:4], v[1:2]
                                        ; implicit-def: $vgpr17
                                        ; implicit-def: $vgpr8
	v_cndmask_b32_e32 v2, v2, v4, vcc_lo
	v_cndmask_b32_e32 v1, v1, v3, vcc_lo
                                        ; implicit-def: $vgpr3_vgpr4
.LBB598_141:
	s_or_saveexec_b32 s2, s2
	v_mov_b32_e32 v6, 1
	s_xor_b32 exec_lo, exec_lo, s2
	s_cbranch_execz .LBB598_143
; %bb.142:
	v_and_b32_e32 v6, 1, v17
	v_cmp_eq_u32_e32 vcc_lo, 1, v6
	v_cndmask_b32_e64 v6, v8, 1, vcc_lo
	s_waitcnt lgkmcnt(0)
	v_cndmask_b32_e32 v2, v4, v2, vcc_lo
	v_cndmask_b32_e32 v1, v3, v1, vcc_lo
.LBB598_143:
	s_or_b32 exec_lo, exec_lo, s2
	v_and_b32_e32 v17, 0xff, v6
.LBB598_144:
	s_or_b32 exec_lo, exec_lo, s1
	s_mov_b32 s1, exec_lo
	v_cmpx_eq_u32_e32 0, v5
	s_cbranch_execz .LBB598_146
; %bb.145:
	s_waitcnt lgkmcnt(1)
	v_lshrrev_b32_e32 v3, 1, v0
	v_and_b32_e32 v3, 0x70, v3
	ds_write_b8 v3, v6 offset:512
	ds_write_b64 v3, v[1:2] offset:520
.LBB598_146:
	s_or_b32 exec_lo, exec_lo, s1
	s_mov_b32 s1, exec_lo
	s_waitcnt lgkmcnt(0)
	s_barrier
	buffer_gl0_inv
	v_cmpx_gt_u32_e32 8, v0
	s_cbranch_execz .LBB598_166
; %bb.147:
	v_lshlrev_b32_e32 v1, 4, v5
	v_and_b32_e32 v6, 7, v5
	s_add_i32 s0, s0, 31
	s_mov_b32 s2, exec_lo
	s_lshr_b32 s0, s0, 5
	ds_read_u8 v8, v1 offset:512
	ds_read_b64 v[1:2], v1 offset:520
	v_cmp_ne_u32_e32 vcc_lo, 7, v6
	v_add_nc_u32_e32 v10, 1, v6
	v_add_co_ci_u32_e64 v3, null, 0, v5, vcc_lo
	v_lshlrev_b32_e32 v4, 2, v3
	s_waitcnt lgkmcnt(1)
	v_and_b32_e32 v17, 0xff, v8
	s_waitcnt lgkmcnt(0)
	ds_bpermute_b32 v3, v4, v1
	ds_bpermute_b32 v9, v4, v17
	;; [unrolled: 1-line block ×3, first 2 shown]
	v_cmpx_gt_u32_e64 s0, v10
	s_cbranch_execz .LBB598_153
; %bb.148:
	s_waitcnt lgkmcnt(1)
	v_and_b32_e32 v10, v17, v9
	s_mov_b32 s3, exec_lo
	v_and_b32_e32 v10, 1, v10
	v_cmpx_eq_u32_e32 1, v10
	s_xor_b32 s3, exec_lo, s3
	s_cbranch_execz .LBB598_150
; %bb.149:
	s_waitcnt lgkmcnt(0)
	v_cmp_lt_i64_e32 vcc_lo, v[3:4], v[1:2]
                                        ; implicit-def: $vgpr8
                                        ; implicit-def: $vgpr9
	v_cndmask_b32_e32 v2, v2, v4, vcc_lo
	v_cndmask_b32_e32 v1, v1, v3, vcc_lo
                                        ; implicit-def: $vgpr3_vgpr4
.LBB598_150:
	s_or_saveexec_b32 s3, s3
	v_mov_b32_e32 v17, 1
	s_xor_b32 exec_lo, exec_lo, s3
	s_cbranch_execz .LBB598_152
; %bb.151:
	v_and_b32_e32 v8, 1, v8
	v_cmp_eq_u32_e32 vcc_lo, 1, v8
	v_and_b32_e32 v8, 0xff, v9
	s_waitcnt lgkmcnt(0)
	v_cndmask_b32_e32 v2, v4, v2, vcc_lo
	v_cndmask_b32_e32 v1, v3, v1, vcc_lo
	v_cndmask_b32_e64 v17, v8, 1, vcc_lo
.LBB598_152:
	s_or_b32 exec_lo, exec_lo, s3
.LBB598_153:
	s_or_b32 exec_lo, exec_lo, s2
	v_cmp_gt_u32_e32 vcc_lo, 6, v6
	v_add_nc_u32_e32 v8, 2, v6
	s_mov_b32 s2, exec_lo
	s_waitcnt lgkmcnt(2)
	v_cndmask_b32_e64 v3, 0, 2, vcc_lo
	s_waitcnt lgkmcnt(0)
	v_add_lshl_u32 v4, v3, v5, 2
	ds_bpermute_b32 v5, v4, v17
	ds_bpermute_b32 v3, v4, v1
	;; [unrolled: 1-line block ×3, first 2 shown]
	v_cmpx_gt_u32_e64 s0, v8
	s_cbranch_execz .LBB598_159
; %bb.154:
	s_waitcnt lgkmcnt(2)
	v_and_b32_e32 v8, v17, v5
	s_mov_b32 s3, exec_lo
	v_and_b32_e32 v8, 1, v8
	v_cmpx_eq_u32_e32 1, v8
	s_xor_b32 s3, exec_lo, s3
	s_cbranch_execz .LBB598_156
; %bb.155:
	s_waitcnt lgkmcnt(0)
	v_cmp_lt_i64_e32 vcc_lo, v[3:4], v[1:2]
                                        ; implicit-def: $vgpr17
                                        ; implicit-def: $vgpr5
	v_cndmask_b32_e32 v2, v2, v4, vcc_lo
	v_cndmask_b32_e32 v1, v1, v3, vcc_lo
                                        ; implicit-def: $vgpr3_vgpr4
.LBB598_156:
	s_or_saveexec_b32 s3, s3
	v_mov_b32_e32 v8, 1
	s_xor_b32 exec_lo, exec_lo, s3
	s_cbranch_execz .LBB598_158
; %bb.157:
	v_and_b32_e32 v8, 1, v17
	v_and_b32_e32 v5, 0xff, v5
	v_cmp_eq_u32_e32 vcc_lo, 1, v8
	s_waitcnt lgkmcnt(0)
	v_cndmask_b32_e32 v2, v4, v2, vcc_lo
	v_cndmask_b32_e32 v1, v3, v1, vcc_lo
	v_cndmask_b32_e64 v8, v5, 1, vcc_lo
.LBB598_158:
	s_or_b32 exec_lo, exec_lo, s3
	v_mov_b32_e32 v17, v8
.LBB598_159:
	s_or_b32 exec_lo, exec_lo, s2
	s_waitcnt lgkmcnt(0)
	v_or_b32_e32 v4, 16, v7
	v_add_nc_u32_e32 v6, 4, v6
	ds_bpermute_b32 v5, v4, v17
	ds_bpermute_b32 v3, v4, v1
	;; [unrolled: 1-line block ×3, first 2 shown]
	v_cmp_gt_u32_e32 vcc_lo, s0, v6
	s_and_saveexec_b32 s0, vcc_lo
	s_cbranch_execz .LBB598_165
; %bb.160:
	s_waitcnt lgkmcnt(2)
	v_and_b32_e32 v6, v17, v5
	s_mov_b32 s2, exec_lo
	v_and_b32_e32 v6, 1, v6
	v_cmpx_eq_u32_e32 1, v6
	s_xor_b32 s2, exec_lo, s2
	s_cbranch_execz .LBB598_162
; %bb.161:
	s_waitcnt lgkmcnt(0)
	v_cmp_lt_i64_e32 vcc_lo, v[3:4], v[1:2]
                                        ; implicit-def: $vgpr17
                                        ; implicit-def: $vgpr5
	v_cndmask_b32_e32 v2, v2, v4, vcc_lo
	v_cndmask_b32_e32 v1, v1, v3, vcc_lo
                                        ; implicit-def: $vgpr3_vgpr4
.LBB598_162:
	s_or_saveexec_b32 s2, s2
	v_mov_b32_e32 v6, 1
	s_xor_b32 exec_lo, exec_lo, s2
	s_cbranch_execz .LBB598_164
; %bb.163:
	v_and_b32_e32 v6, 1, v17
	v_cmp_eq_u32_e32 vcc_lo, 1, v6
	s_waitcnt lgkmcnt(0)
	v_cndmask_b32_e32 v2, v4, v2, vcc_lo
	v_cndmask_b32_e32 v1, v3, v1, vcc_lo
	v_cndmask_b32_e64 v6, v5, 1, vcc_lo
.LBB598_164:
	s_or_b32 exec_lo, exec_lo, s2
	v_mov_b32_e32 v17, v6
.LBB598_165:
	s_or_b32 exec_lo, exec_lo, s0
.LBB598_166:
	s_or_b32 exec_lo, exec_lo, s1
.LBB598_167:
	s_mov_b32 s22, 0
                                        ; implicit-def: $vgpr3_vgpr4
                                        ; implicit-def: $vgpr5
	s_mov_b32 s0, exec_lo
	v_cmpx_eq_u32_e32 0, v0
	s_xor_b32 s2, exec_lo, s0
	s_cbranch_execz .LBB598_171
; %bb.168:
	s_waitcnt lgkmcnt(0)
	v_mov_b32_e32 v3, s20
	v_mov_b32_e32 v4, s21
	;; [unrolled: 1-line block ×3, first 2 shown]
	s_cmp_eq_u64 s[14:15], 0
	s_cbranch_scc1 .LBB598_170
; %bb.169:
	v_and_b32_e32 v3, 1, v17
	v_cmp_gt_i64_e32 vcc_lo, s[20:21], v[1:2]
	s_bitcmp1_b32 s24, 0
	s_cselect_b32 s1, -1, 0
	v_cmp_eq_u32_e64 s0, 1, v3
	v_cndmask_b32_e64 v5, v17, 1, s1
	s_and_b32 vcc_lo, s0, vcc_lo
	v_cndmask_b32_e32 v3, s20, v1, vcc_lo
	v_cndmask_b32_e32 v4, s21, v2, vcc_lo
	v_cndmask_b32_e64 v3, v1, v3, s1
	v_cndmask_b32_e64 v4, v2, v4, s1
.LBB598_170:
	s_mov_b32 s22, exec_lo
.LBB598_171:
	s_or_b32 exec_lo, exec_lo, s2
	v_mov_b32_e32 v1, s6
	v_mov_b32_e32 v2, s7
	s_and_b32 vcc_lo, exec_lo, s26
	s_cbranch_vccnz .LBB598_24
.LBB598_172:
	s_branch .LBB598_356
.LBB598_173:
	v_lshlrev_b32_e32 v3, 1, v0
	s_clause 0x1
	global_load_ushort v10, v3, s[2:3] offset:1536
	global_load_ushort v14, v3, s[8:9] offset:1536
	v_add_co_u32 v3, s2, s11, v13
	v_add_co_ci_u32_e64 v4, null, s23, 0, s2
	s_waitcnt vmcnt(0)
	v_cmp_ne_u16_e64 s2, v10, v14
	v_cndmask_b32_e64 v10, 0, 1, s2
	s_or_b32 exec_lo, exec_lo, s26
	s_and_saveexec_b32 s3, s1
	s_cbranch_execz .LBB598_76
.LBB598_174:
	v_and_b32_e32 v9, 1, v9
	v_and_b32_e32 v13, 1, v12
	v_cmp_eq_u32_e64 s1, 1, v9
	v_cmp_eq_u32_e64 s2, 1, v13
                                        ; implicit-def: $vgpr9
	s_and_b32 s2, s1, s2
	s_xor_b32 s2, s2, -1
	s_and_saveexec_b32 s8, s2
	s_xor_b32 s2, exec_lo, s8
; %bb.175:
	v_and_b32_e32 v9, 0xffff, v12
	v_cndmask_b32_e64 v2, v8, v2, s1
	v_cndmask_b32_e64 v1, v7, v1, s1
                                        ; implicit-def: $vgpr7_vgpr8
	v_cndmask_b32_e64 v9, v9, 1, s1
; %bb.176:
	s_andn2_saveexec_b32 s2, s2
; %bb.177:
	v_cmp_lt_i64_e64 s1, v[7:8], v[1:2]
	v_mov_b32_e32 v9, 1
	v_cndmask_b32_e64 v2, v2, v8, s1
	v_cndmask_b32_e64 v1, v1, v7, s1
; %bb.178:
	s_or_b32 exec_lo, exec_lo, s2
	s_or_b32 exec_lo, exec_lo, s3
	s_and_saveexec_b32 s2, s0
	s_cbranch_execz .LBB598_77
.LBB598_179:
	v_and_b32_e32 v7, 1, v9
	v_and_b32_e32 v8, 1, v11
                                        ; implicit-def: $vgpr9
	v_cmp_eq_u32_e64 s0, 1, v7
	v_cmp_eq_u32_e64 s1, 1, v8
	s_and_b32 s1, s0, s1
	s_xor_b32 s1, s1, -1
	s_and_saveexec_b32 s3, s1
	s_xor_b32 s1, exec_lo, s3
; %bb.180:
	v_and_b32_e32 v7, 0xffff, v11
	v_cndmask_b32_e64 v2, v6, v2, s0
	v_cndmask_b32_e64 v1, v5, v1, s0
                                        ; implicit-def: $vgpr5_vgpr6
	v_cndmask_b32_e64 v9, v7, 1, s0
; %bb.181:
	s_andn2_saveexec_b32 s1, s1
; %bb.182:
	v_cmp_lt_i64_e64 s0, v[5:6], v[1:2]
	v_mov_b32_e32 v9, 1
	v_cndmask_b32_e64 v2, v2, v6, s0
	v_cndmask_b32_e64 v1, v1, v5, s0
; %bb.183:
	s_or_b32 exec_lo, exec_lo, s1
	s_or_b32 exec_lo, exec_lo, s2
	s_and_saveexec_b32 s1, vcc_lo
	s_cbranch_execz .LBB598_189
.LBB598_184:
	v_and_b32_e32 v5, 1, v9
	v_and_b32_e32 v6, 1, v10
                                        ; implicit-def: $vgpr9
	v_cmp_eq_u32_e32 vcc_lo, 1, v5
	v_cmp_eq_u32_e64 s0, 1, v6
	s_and_b32 s0, vcc_lo, s0
	s_xor_b32 s0, s0, -1
	s_and_saveexec_b32 s2, s0
	s_xor_b32 s0, exec_lo, s2
; %bb.185:
	v_and_b32_e32 v5, 0xffff, v10
	v_cndmask_b32_e32 v2, v4, v2, vcc_lo
	v_cndmask_b32_e32 v1, v3, v1, vcc_lo
                                        ; implicit-def: $vgpr3_vgpr4
	v_cndmask_b32_e64 v9, v5, 1, vcc_lo
; %bb.186:
	s_andn2_saveexec_b32 s0, s0
; %bb.187:
	v_cmp_lt_i64_e32 vcc_lo, v[3:4], v[1:2]
	v_mov_b32_e32 v9, 1
	v_cndmask_b32_e32 v2, v2, v4, vcc_lo
	v_cndmask_b32_e32 v1, v1, v3, vcc_lo
; %bb.188:
	s_or_b32 exec_lo, exec_lo, s0
.LBB598_189:
	s_or_b32 exec_lo, exec_lo, s1
	v_mbcnt_lo_u32_b32 v5, -1, 0
	v_and_b32_e32 v6, 0xe0, v0
	s_min_u32 s0, s10, 0x100
	s_mov_b32 s1, exec_lo
	v_cmp_ne_u32_e32 vcc_lo, 31, v5
	v_sub_nc_u32_e64 v6, s0, v6 clamp
	v_add_nc_u32_e32 v8, 1, v5
	v_add_co_ci_u32_e64 v3, null, 0, v5, vcc_lo
	v_lshlrev_b32_e32 v4, 2, v3
	ds_bpermute_b32 v7, v4, v9
	ds_bpermute_b32 v3, v4, v1
	;; [unrolled: 1-line block ×3, first 2 shown]
	v_cmpx_lt_u32_e64 v8, v6
	s_xor_b32 s1, exec_lo, s1
	s_cbranch_execz .LBB598_195
; %bb.190:
	s_waitcnt lgkmcnt(2)
	v_and_b32_e32 v8, v7, v9
	s_mov_b32 s2, exec_lo
	v_cmpx_ne_u32_e32 0, v8
	s_xor_b32 s2, exec_lo, s2
	s_cbranch_execz .LBB598_192
; %bb.191:
	s_waitcnt lgkmcnt(0)
	v_cmp_lt_i64_e32 vcc_lo, v[3:4], v[1:2]
                                        ; implicit-def: $vgpr9
                                        ; implicit-def: $vgpr7
	v_cndmask_b32_e32 v2, v2, v4, vcc_lo
	v_cndmask_b32_e32 v1, v1, v3, vcc_lo
                                        ; implicit-def: $vgpr3_vgpr4
.LBB598_192:
	s_or_saveexec_b32 s2, s2
	v_mov_b32_e32 v8, 1
	s_xor_b32 exec_lo, exec_lo, s2
	s_cbranch_execz .LBB598_194
; %bb.193:
	v_and_b32_e32 v8, 1, v9
	v_and_b32_e32 v7, 0xff, v7
	v_cmp_eq_u32_e32 vcc_lo, 1, v8
	s_waitcnt lgkmcnt(0)
	v_cndmask_b32_e32 v2, v4, v2, vcc_lo
	v_cndmask_b32_e32 v1, v3, v1, vcc_lo
	v_cndmask_b32_e64 v8, v7, 1, vcc_lo
.LBB598_194:
	s_or_b32 exec_lo, exec_lo, s2
	v_mov_b32_e32 v9, v8
.LBB598_195:
	s_or_b32 exec_lo, exec_lo, s1
	v_cmp_gt_u32_e32 vcc_lo, 30, v5
	v_add_nc_u32_e32 v8, 2, v5
	s_mov_b32 s1, exec_lo
	s_waitcnt lgkmcnt(1)
	v_cndmask_b32_e64 v3, 0, 2, vcc_lo
	s_waitcnt lgkmcnt(0)
	v_add_lshl_u32 v4, v3, v5, 2
	ds_bpermute_b32 v7, v4, v9
	ds_bpermute_b32 v3, v4, v1
	ds_bpermute_b32 v4, v4, v2
	v_cmpx_lt_u32_e64 v8, v6
	s_cbranch_execz .LBB598_201
; %bb.196:
	s_waitcnt lgkmcnt(2)
	v_and_b32_e32 v8, v9, v7
	s_mov_b32 s2, exec_lo
	v_and_b32_e32 v8, 1, v8
	v_cmpx_eq_u32_e32 1, v8
	s_xor_b32 s2, exec_lo, s2
	s_cbranch_execz .LBB598_198
; %bb.197:
	s_waitcnt lgkmcnt(0)
	v_cmp_lt_i64_e32 vcc_lo, v[3:4], v[1:2]
                                        ; implicit-def: $vgpr9
                                        ; implicit-def: $vgpr7
	v_cndmask_b32_e32 v2, v2, v4, vcc_lo
	v_cndmask_b32_e32 v1, v1, v3, vcc_lo
                                        ; implicit-def: $vgpr3_vgpr4
.LBB598_198:
	s_or_saveexec_b32 s2, s2
	v_mov_b32_e32 v8, 1
	s_xor_b32 exec_lo, exec_lo, s2
	s_cbranch_execz .LBB598_200
; %bb.199:
	v_and_b32_e32 v8, 1, v9
	v_and_b32_e32 v7, 0xff, v7
	v_cmp_eq_u32_e32 vcc_lo, 1, v8
	s_waitcnt lgkmcnt(0)
	v_cndmask_b32_e32 v2, v4, v2, vcc_lo
	v_cndmask_b32_e32 v1, v3, v1, vcc_lo
	v_cndmask_b32_e64 v8, v7, 1, vcc_lo
.LBB598_200:
	s_or_b32 exec_lo, exec_lo, s2
	v_mov_b32_e32 v9, v8
.LBB598_201:
	s_or_b32 exec_lo, exec_lo, s1
	v_cmp_gt_u32_e32 vcc_lo, 28, v5
	v_add_nc_u32_e32 v8, 4, v5
	s_mov_b32 s1, exec_lo
	s_waitcnt lgkmcnt(1)
	v_cndmask_b32_e64 v3, 0, 4, vcc_lo
	s_waitcnt lgkmcnt(0)
	v_add_lshl_u32 v4, v3, v5, 2
	ds_bpermute_b32 v7, v4, v9
	ds_bpermute_b32 v3, v4, v1
	ds_bpermute_b32 v4, v4, v2
	v_cmpx_lt_u32_e64 v8, v6
	s_cbranch_execz .LBB598_207
; %bb.202:
	s_waitcnt lgkmcnt(2)
	v_and_b32_e32 v8, v9, v7
	s_mov_b32 s2, exec_lo
	v_and_b32_e32 v8, 1, v8
	v_cmpx_eq_u32_e32 1, v8
	s_xor_b32 s2, exec_lo, s2
	s_cbranch_execz .LBB598_204
; %bb.203:
	s_waitcnt lgkmcnt(0)
	v_cmp_lt_i64_e32 vcc_lo, v[3:4], v[1:2]
                                        ; implicit-def: $vgpr9
                                        ; implicit-def: $vgpr7
	v_cndmask_b32_e32 v2, v2, v4, vcc_lo
	v_cndmask_b32_e32 v1, v1, v3, vcc_lo
                                        ; implicit-def: $vgpr3_vgpr4
.LBB598_204:
	s_or_saveexec_b32 s2, s2
	v_mov_b32_e32 v8, 1
	s_xor_b32 exec_lo, exec_lo, s2
	s_cbranch_execz .LBB598_206
; %bb.205:
	v_and_b32_e32 v8, 1, v9
	v_and_b32_e32 v7, 0xff, v7
	v_cmp_eq_u32_e32 vcc_lo, 1, v8
	s_waitcnt lgkmcnt(0)
	v_cndmask_b32_e32 v2, v4, v2, vcc_lo
	v_cndmask_b32_e32 v1, v3, v1, vcc_lo
	v_cndmask_b32_e64 v8, v7, 1, vcc_lo
.LBB598_206:
	s_or_b32 exec_lo, exec_lo, s2
	v_mov_b32_e32 v9, v8
.LBB598_207:
	;; [unrolled: 46-line block ×3, first 2 shown]
	s_or_b32 exec_lo, exec_lo, s1
	s_waitcnt lgkmcnt(2)
	v_lshlrev_b32_e32 v7, 2, v5
	v_add_nc_u32_e32 v10, 16, v5
	s_waitcnt lgkmcnt(0)
	v_or_b32_e32 v4, 64, v7
	v_cmp_lt_u32_e32 vcc_lo, v10, v6
	v_mov_b32_e32 v6, v9
	ds_bpermute_b32 v8, v4, v9
	ds_bpermute_b32 v3, v4, v1
	ds_bpermute_b32 v4, v4, v2
	s_and_saveexec_b32 s1, vcc_lo
	s_cbranch_execz .LBB598_219
; %bb.214:
	s_waitcnt lgkmcnt(2)
	v_and_b32_e32 v6, v9, v8
	s_mov_b32 s2, exec_lo
	v_and_b32_e32 v6, 1, v6
	v_cmpx_eq_u32_e32 1, v6
	s_xor_b32 s2, exec_lo, s2
	s_cbranch_execz .LBB598_216
; %bb.215:
	s_waitcnt lgkmcnt(0)
	v_cmp_lt_i64_e32 vcc_lo, v[3:4], v[1:2]
                                        ; implicit-def: $vgpr9
                                        ; implicit-def: $vgpr8
	v_cndmask_b32_e32 v2, v2, v4, vcc_lo
	v_cndmask_b32_e32 v1, v1, v3, vcc_lo
                                        ; implicit-def: $vgpr3_vgpr4
.LBB598_216:
	s_or_saveexec_b32 s2, s2
	v_mov_b32_e32 v6, 1
	s_xor_b32 exec_lo, exec_lo, s2
	s_cbranch_execz .LBB598_218
; %bb.217:
	v_and_b32_e32 v6, 1, v9
	v_cmp_eq_u32_e32 vcc_lo, 1, v6
	v_cndmask_b32_e64 v6, v8, 1, vcc_lo
	s_waitcnt lgkmcnt(0)
	v_cndmask_b32_e32 v2, v4, v2, vcc_lo
	v_cndmask_b32_e32 v1, v3, v1, vcc_lo
.LBB598_218:
	s_or_b32 exec_lo, exec_lo, s2
	v_and_b32_e32 v9, 0xff, v6
.LBB598_219:
	s_or_b32 exec_lo, exec_lo, s1
	s_mov_b32 s1, exec_lo
	v_cmpx_eq_u32_e32 0, v5
	s_cbranch_execz .LBB598_221
; %bb.220:
	s_waitcnt lgkmcnt(1)
	v_lshrrev_b32_e32 v3, 1, v0
	v_and_b32_e32 v3, 0x70, v3
	ds_write_b8 v3, v6 offset:512
	ds_write_b64 v3, v[1:2] offset:520
.LBB598_221:
	s_or_b32 exec_lo, exec_lo, s1
	s_mov_b32 s1, exec_lo
	s_waitcnt lgkmcnt(0)
	s_barrier
	buffer_gl0_inv
	v_cmpx_gt_u32_e32 8, v0
	s_cbranch_execz .LBB598_241
; %bb.222:
	v_lshlrev_b32_e32 v1, 4, v5
	v_and_b32_e32 v6, 7, v5
	s_add_i32 s0, s0, 31
	s_mov_b32 s2, exec_lo
	s_lshr_b32 s0, s0, 5
	ds_read_u8 v8, v1 offset:512
	ds_read_b64 v[1:2], v1 offset:520
	v_cmp_ne_u32_e32 vcc_lo, 7, v6
	v_add_nc_u32_e32 v11, 1, v6
	v_add_co_ci_u32_e64 v3, null, 0, v5, vcc_lo
	v_lshlrev_b32_e32 v4, 2, v3
	s_waitcnt lgkmcnt(1)
	v_and_b32_e32 v9, 0xff, v8
	s_waitcnt lgkmcnt(0)
	ds_bpermute_b32 v3, v4, v1
	ds_bpermute_b32 v10, v4, v9
	;; [unrolled: 1-line block ×3, first 2 shown]
	v_cmpx_gt_u32_e64 s0, v11
	s_cbranch_execz .LBB598_228
; %bb.223:
	s_waitcnt lgkmcnt(1)
	v_and_b32_e32 v9, v9, v10
	s_mov_b32 s3, exec_lo
	v_and_b32_e32 v9, 1, v9
	v_cmpx_eq_u32_e32 1, v9
	s_xor_b32 s3, exec_lo, s3
	s_cbranch_execz .LBB598_225
; %bb.224:
	s_waitcnt lgkmcnt(0)
	v_cmp_lt_i64_e32 vcc_lo, v[3:4], v[1:2]
                                        ; implicit-def: $vgpr8
                                        ; implicit-def: $vgpr10
	v_cndmask_b32_e32 v2, v2, v4, vcc_lo
	v_cndmask_b32_e32 v1, v1, v3, vcc_lo
                                        ; implicit-def: $vgpr3_vgpr4
.LBB598_225:
	s_or_saveexec_b32 s3, s3
	v_mov_b32_e32 v9, 1
	s_xor_b32 exec_lo, exec_lo, s3
	s_cbranch_execz .LBB598_227
; %bb.226:
	v_and_b32_e32 v8, 1, v8
	v_cmp_eq_u32_e32 vcc_lo, 1, v8
	v_and_b32_e32 v8, 0xff, v10
	s_waitcnt lgkmcnt(0)
	v_cndmask_b32_e32 v2, v4, v2, vcc_lo
	v_cndmask_b32_e32 v1, v3, v1, vcc_lo
	v_cndmask_b32_e64 v9, v8, 1, vcc_lo
.LBB598_227:
	s_or_b32 exec_lo, exec_lo, s3
.LBB598_228:
	s_or_b32 exec_lo, exec_lo, s2
	v_cmp_gt_u32_e32 vcc_lo, 6, v6
	v_add_nc_u32_e32 v8, 2, v6
	s_mov_b32 s2, exec_lo
	s_waitcnt lgkmcnt(2)
	v_cndmask_b32_e64 v3, 0, 2, vcc_lo
	s_waitcnt lgkmcnt(0)
	v_add_lshl_u32 v4, v3, v5, 2
	ds_bpermute_b32 v5, v4, v9
	ds_bpermute_b32 v3, v4, v1
	;; [unrolled: 1-line block ×3, first 2 shown]
	v_cmpx_gt_u32_e64 s0, v8
	s_cbranch_execz .LBB598_234
; %bb.229:
	s_waitcnt lgkmcnt(2)
	v_and_b32_e32 v8, v9, v5
	s_mov_b32 s3, exec_lo
	v_and_b32_e32 v8, 1, v8
	v_cmpx_eq_u32_e32 1, v8
	s_xor_b32 s3, exec_lo, s3
	s_cbranch_execz .LBB598_231
; %bb.230:
	s_waitcnt lgkmcnt(0)
	v_cmp_lt_i64_e32 vcc_lo, v[3:4], v[1:2]
                                        ; implicit-def: $vgpr9
                                        ; implicit-def: $vgpr5
	v_cndmask_b32_e32 v2, v2, v4, vcc_lo
	v_cndmask_b32_e32 v1, v1, v3, vcc_lo
                                        ; implicit-def: $vgpr3_vgpr4
.LBB598_231:
	s_or_saveexec_b32 s3, s3
	v_mov_b32_e32 v8, 1
	s_xor_b32 exec_lo, exec_lo, s3
	s_cbranch_execz .LBB598_233
; %bb.232:
	v_and_b32_e32 v8, 1, v9
	v_and_b32_e32 v5, 0xff, v5
	v_cmp_eq_u32_e32 vcc_lo, 1, v8
	s_waitcnt lgkmcnt(0)
	v_cndmask_b32_e32 v2, v4, v2, vcc_lo
	v_cndmask_b32_e32 v1, v3, v1, vcc_lo
	v_cndmask_b32_e64 v8, v5, 1, vcc_lo
.LBB598_233:
	s_or_b32 exec_lo, exec_lo, s3
	v_mov_b32_e32 v9, v8
.LBB598_234:
	s_or_b32 exec_lo, exec_lo, s2
	s_waitcnt lgkmcnt(0)
	v_or_b32_e32 v4, 16, v7
	v_add_nc_u32_e32 v6, 4, v6
	ds_bpermute_b32 v5, v4, v9
	ds_bpermute_b32 v3, v4, v1
	;; [unrolled: 1-line block ×3, first 2 shown]
	v_cmp_gt_u32_e32 vcc_lo, s0, v6
	s_and_saveexec_b32 s0, vcc_lo
	s_cbranch_execz .LBB598_240
; %bb.235:
	s_waitcnt lgkmcnt(2)
	v_and_b32_e32 v6, v9, v5
	s_mov_b32 s2, exec_lo
	v_and_b32_e32 v6, 1, v6
	v_cmpx_eq_u32_e32 1, v6
	s_xor_b32 s2, exec_lo, s2
	s_cbranch_execz .LBB598_237
; %bb.236:
	s_waitcnt lgkmcnt(0)
	v_cmp_lt_i64_e32 vcc_lo, v[3:4], v[1:2]
                                        ; implicit-def: $vgpr9
                                        ; implicit-def: $vgpr5
	v_cndmask_b32_e32 v2, v2, v4, vcc_lo
	v_cndmask_b32_e32 v1, v1, v3, vcc_lo
                                        ; implicit-def: $vgpr3_vgpr4
.LBB598_237:
	s_or_saveexec_b32 s2, s2
	v_mov_b32_e32 v6, 1
	s_xor_b32 exec_lo, exec_lo, s2
	s_cbranch_execz .LBB598_239
; %bb.238:
	v_and_b32_e32 v6, 1, v9
	v_cmp_eq_u32_e32 vcc_lo, 1, v6
	s_waitcnt lgkmcnt(0)
	v_cndmask_b32_e32 v2, v4, v2, vcc_lo
	v_cndmask_b32_e32 v1, v3, v1, vcc_lo
	v_cndmask_b32_e64 v6, v5, 1, vcc_lo
.LBB598_239:
	s_or_b32 exec_lo, exec_lo, s2
	v_mov_b32_e32 v9, v6
.LBB598_240:
	s_or_b32 exec_lo, exec_lo, s0
.LBB598_241:
	s_or_b32 exec_lo, exec_lo, s1
.LBB598_242:
                                        ; implicit-def: $vgpr3_vgpr4
                                        ; implicit-def: $vgpr5
	s_mov_b32 s0, exec_lo
	v_cmpx_eq_u32_e32 0, v0
	s_xor_b32 s2, exec_lo, s0
	s_cbranch_execz .LBB598_246
; %bb.243:
	s_waitcnt lgkmcnt(0)
	v_mov_b32_e32 v3, s20
	v_mov_b32_e32 v4, s21
	;; [unrolled: 1-line block ×3, first 2 shown]
	s_cmp_eq_u64 s[14:15], 0
	s_cbranch_scc1 .LBB598_245
; %bb.244:
	v_and_b32_e32 v3, 1, v9
	v_cmp_gt_i64_e32 vcc_lo, s[20:21], v[1:2]
	s_bitcmp1_b32 s24, 0
	s_cselect_b32 s1, -1, 0
	v_cmp_eq_u32_e64 s0, 1, v3
	v_cndmask_b32_e64 v5, v9, 1, s1
	s_and_b32 vcc_lo, s0, vcc_lo
	v_cndmask_b32_e32 v3, s20, v1, vcc_lo
	v_cndmask_b32_e32 v4, s21, v2, vcc_lo
	v_cndmask_b32_e64 v3, v1, v3, s1
	v_cndmask_b32_e64 v4, v2, v4, s1
.LBB598_245:
	s_or_b32 s22, s22, exec_lo
.LBB598_246:
	s_or_b32 exec_lo, exec_lo, s2
	v_mov_b32_e32 v1, s6
	v_mov_b32_e32 v2, s7
	s_branch .LBB598_356
.LBB598_247:
	s_cmp_gt_i32 s25, 1
	s_cbranch_scc0 .LBB598_267
; %bb.248:
	s_cmp_eq_u32 s25, 2
	s_cbranch_scc0 .LBB598_268
; %bb.249:
	s_mov_b32 s7, 0
	s_lshl_b32 s10, s6, 9
	s_mov_b32 s11, s7
	s_lshr_b64 s[26:27], s[14:15], 9
	s_lshl_b64 s[0:1], s[10:11], 1
	s_add_u32 s2, s16, s0
	s_addc_u32 s3, s17, s1
	s_add_u32 s8, s18, s0
	s_addc_u32 s9, s19, s1
	;; [unrolled: 2-line block ×3, first 2 shown]
	s_cmp_lg_u64 s[26:27], s[6:7]
	s_cbranch_scc0 .LBB598_269
; %bb.250:
	v_lshlrev_b32_e32 v1, 1, v0
	s_waitcnt lgkmcnt(1)
	v_add_co_u32 v5, s0, s11, v0
	s_waitcnt lgkmcnt(0)
	v_add_co_ci_u32_e64 v6, null, s23, 0, s0
	s_clause 0x3
	global_load_ushort v2, v1, s[2:3]
	global_load_ushort v3, v1, s[8:9]
	global_load_ushort v4, v1, s[8:9] offset:512
	global_load_ushort v1, v1, s[2:3] offset:512
	v_add_co_u32 v7, vcc_lo, 0x100, v5
	v_add_co_ci_u32_e64 v8, null, 0, v6, vcc_lo
	s_waitcnt vmcnt(2)
	v_cmp_ne_u16_e32 vcc_lo, v2, v3
	s_waitcnt vmcnt(0)
	v_cmp_ne_u16_e64 s0, v1, v4
	v_cndmask_b32_e32 v2, v8, v6, vcc_lo
	v_cndmask_b32_e32 v1, v7, v5, vcc_lo
	s_or_b32 s0, vcc_lo, s0
	v_mbcnt_lo_u32_b32 v8, -1, 0
	v_cndmask_b32_e64 v5, 0, 1, s0
	v_mov_b32_dpp v4, v2 quad_perm:[1,0,3,2] row_mask:0xf bank_mask:0xf
	v_mov_b32_dpp v3, v1 quad_perm:[1,0,3,2] row_mask:0xf bank_mask:0xf
	;; [unrolled: 1-line block ×3, first 2 shown]
	v_cmp_lt_i64_e32 vcc_lo, v[1:2], v[3:4]
	v_and_b32_e32 v6, 1, v6
	s_and_b32 vcc_lo, s0, vcc_lo
	v_cndmask_b32_e32 v3, v3, v1, vcc_lo
	v_cndmask_b32_e32 v4, v4, v2, vcc_lo
	v_cmp_eq_u32_e32 vcc_lo, 1, v6
	v_cndmask_b32_e32 v2, v2, v4, vcc_lo
	v_cndmask_b32_e32 v1, v1, v3, vcc_lo
	v_cndmask_b32_e64 v5, v5, 1, vcc_lo
	v_mov_b32_dpp v4, v2 quad_perm:[2,3,0,1] row_mask:0xf bank_mask:0xf
	v_mov_b32_dpp v3, v1 quad_perm:[2,3,0,1] row_mask:0xf bank_mask:0xf
	v_and_b32_e32 v7, 1, v5
	v_mov_b32_dpp v6, v5 quad_perm:[2,3,0,1] row_mask:0xf bank_mask:0xf
	v_cmp_lt_i64_e32 vcc_lo, v[1:2], v[3:4]
	v_cmp_eq_u32_e64 s0, 1, v7
	v_and_b32_e32 v6, 1, v6
	s_and_b32 vcc_lo, s0, vcc_lo
	v_cmp_eq_u32_e64 s1, 1, v6
	v_cndmask_b32_e32 v3, v3, v1, vcc_lo
	v_cndmask_b32_e32 v4, v4, v2, vcc_lo
	v_cndmask_b32_e64 v5, v5, 1, s1
	v_cndmask_b32_e64 v1, v1, v3, s1
	;; [unrolled: 1-line block ×3, first 2 shown]
	v_and_b32_e32 v7, 1, v5
	v_mov_b32_dpp v3, v1 row_ror:4 row_mask:0xf bank_mask:0xf
	v_mov_b32_dpp v4, v2 row_ror:4 row_mask:0xf bank_mask:0xf
	;; [unrolled: 1-line block ×3, first 2 shown]
	v_cmp_eq_u32_e64 s0, 1, v7
	v_cmp_lt_i64_e32 vcc_lo, v[1:2], v[3:4]
	v_and_b32_e32 v6, 1, v6
	s_and_b32 vcc_lo, s0, vcc_lo
	v_cmp_eq_u32_e64 s1, 1, v6
	v_cndmask_b32_e32 v3, v3, v1, vcc_lo
	v_cndmask_b32_e32 v4, v4, v2, vcc_lo
	v_cndmask_b32_e64 v5, v5, 1, s1
	v_cndmask_b32_e64 v1, v1, v3, s1
	;; [unrolled: 1-line block ×3, first 2 shown]
	v_and_b32_e32 v7, 1, v5
	v_mov_b32_dpp v3, v1 row_ror:8 row_mask:0xf bank_mask:0xf
	v_mov_b32_dpp v4, v2 row_ror:8 row_mask:0xf bank_mask:0xf
	;; [unrolled: 1-line block ×3, first 2 shown]
	v_cmp_eq_u32_e64 s0, 1, v7
	v_cmp_lt_i64_e32 vcc_lo, v[1:2], v[3:4]
	v_and_b32_e32 v6, 1, v6
	s_and_b32 vcc_lo, s0, vcc_lo
	v_cmp_eq_u32_e64 s1, 1, v6
	v_cndmask_b32_e32 v3, v3, v1, vcc_lo
	v_cndmask_b32_e32 v4, v4, v2, vcc_lo
	v_cndmask_b32_e64 v5, v5, 1, s1
	v_cndmask_b32_e64 v1, v1, v3, s1
	;; [unrolled: 1-line block ×3, first 2 shown]
	ds_swizzle_b32 v6, v5 offset:swizzle(BROADCAST,32,15)
	ds_swizzle_b32 v3, v1 offset:swizzle(BROADCAST,32,15)
	;; [unrolled: 1-line block ×3, first 2 shown]
	v_and_b32_e32 v7, 1, v5
	v_cmp_eq_u32_e64 s0, 1, v7
	s_waitcnt lgkmcnt(2)
	v_and_b32_e32 v6, 1, v6
	s_waitcnt lgkmcnt(0)
	v_cmp_lt_i64_e32 vcc_lo, v[1:2], v[3:4]
	v_cmp_eq_u32_e64 s1, 1, v6
	v_mov_b32_e32 v6, 0
	s_and_b32 vcc_lo, s0, vcc_lo
	s_mov_b32 s0, exec_lo
	v_cndmask_b32_e32 v3, v3, v1, vcc_lo
	v_cndmask_b32_e32 v4, v4, v2, vcc_lo
	v_cndmask_b32_e64 v5, v5, 1, s1
	v_cndmask_b32_e64 v1, v1, v3, s1
	;; [unrolled: 1-line block ×3, first 2 shown]
	ds_bpermute_b32 v7, v6, v5 offset:124
	ds_bpermute_b32 v1, v6, v1 offset:124
	;; [unrolled: 1-line block ×3, first 2 shown]
	v_cmpx_eq_u32_e32 0, v8
	s_cbranch_execz .LBB598_252
; %bb.251:
	v_lshrrev_b32_e32 v3, 1, v0
	v_and_b32_e32 v3, 0x70, v3
	s_waitcnt lgkmcnt(2)
	ds_write_b8 v3, v7 offset:128
	s_waitcnt lgkmcnt(1)
	ds_write_b64 v3, v[1:2] offset:136
.LBB598_252:
	s_or_b32 exec_lo, exec_lo, s0
	s_mov_b32 s0, exec_lo
	s_waitcnt lgkmcnt(0)
	s_barrier
	buffer_gl0_inv
	v_cmpx_gt_u32_e32 32, v0
	s_cbranch_execz .LBB598_266
; %bb.253:
	v_and_b32_e32 v7, 7, v8
	v_lshlrev_b32_e32 v1, 4, v7
	v_cmp_ne_u32_e32 vcc_lo, 7, v7
	ds_read_u8 v10, v1 offset:128
	ds_read_b64 v[3:4], v1 offset:136
	v_add_co_ci_u32_e64 v2, null, 0, v8, vcc_lo
	v_lshlrev_b32_e32 v2, 2, v2
	s_waitcnt lgkmcnt(1)
	v_and_b32_e32 v1, 0xff, v10
	s_waitcnt lgkmcnt(0)
	ds_bpermute_b32 v5, v2, v3
	ds_bpermute_b32 v6, v2, v4
	;; [unrolled: 1-line block ×3, first 2 shown]
	s_waitcnt lgkmcnt(0)
	v_and_b32_e32 v1, v10, v11
	v_and_b32_e32 v1, 1, v1
	v_cmp_eq_u32_e32 vcc_lo, 1, v1
                                        ; implicit-def: $vgpr1_vgpr2
	s_and_saveexec_b32 s1, vcc_lo
	s_xor_b32 s1, exec_lo, s1
; %bb.254:
	v_cmp_lt_i64_e32 vcc_lo, v[5:6], v[3:4]
                                        ; implicit-def: $vgpr10
                                        ; implicit-def: $vgpr11
	v_cndmask_b32_e32 v2, v4, v6, vcc_lo
	v_cndmask_b32_e32 v1, v3, v5, vcc_lo
                                        ; implicit-def: $vgpr5_vgpr6
                                        ; implicit-def: $vgpr3_vgpr4
; %bb.255:
	s_or_saveexec_b32 s1, s1
	v_mov_b32_e32 v9, 1
	s_xor_b32 exec_lo, exec_lo, s1
; %bb.256:
	v_and_b32_e32 v1, 1, v10
	v_and_b32_e32 v9, 0xff, v11
	v_cmp_eq_u32_e32 vcc_lo, 1, v1
	v_cndmask_b32_e32 v2, v6, v4, vcc_lo
	v_cndmask_b32_e32 v1, v5, v3, vcc_lo
	v_cndmask_b32_e64 v9, v9, 1, vcc_lo
; %bb.257:
	s_or_b32 exec_lo, exec_lo, s1
	v_cmp_gt_u32_e32 vcc_lo, 6, v7
	v_cndmask_b32_e64 v3, 0, 2, vcc_lo
	v_add_lshl_u32 v3, v3, v8, 2
	ds_bpermute_b32 v7, v3, v9
	ds_bpermute_b32 v5, v3, v1
	;; [unrolled: 1-line block ×3, first 2 shown]
	s_waitcnt lgkmcnt(2)
	v_and_b32_e32 v3, v9, v7
	v_and_b32_e32 v3, 1, v3
	v_cmp_eq_u32_e32 vcc_lo, 1, v3
                                        ; implicit-def: $vgpr3_vgpr4
	s_and_saveexec_b32 s1, vcc_lo
	s_xor_b32 s1, exec_lo, s1
	s_cbranch_execz .LBB598_259
; %bb.258:
	s_waitcnt lgkmcnt(0)
	v_cmp_lt_i64_e32 vcc_lo, v[5:6], v[1:2]
                                        ; implicit-def: $vgpr9
                                        ; implicit-def: $vgpr7
	v_cndmask_b32_e32 v4, v2, v6, vcc_lo
	v_cndmask_b32_e32 v3, v1, v5, vcc_lo
                                        ; implicit-def: $vgpr5_vgpr6
                                        ; implicit-def: $vgpr1_vgpr2
.LBB598_259:
	s_or_saveexec_b32 s1, s1
	v_lshlrev_b32_e32 v10, 2, v8
	v_mov_b32_e32 v8, 1
	s_xor_b32 exec_lo, exec_lo, s1
	s_cbranch_execz .LBB598_261
; %bb.260:
	v_and_b32_e32 v3, 1, v9
	v_and_b32_e32 v7, 0xff, v7
	v_cmp_eq_u32_e32 vcc_lo, 1, v3
	s_waitcnt lgkmcnt(0)
	v_cndmask_b32_e32 v4, v6, v2, vcc_lo
	v_cndmask_b32_e32 v3, v5, v1, vcc_lo
	v_cndmask_b32_e64 v8, v7, 1, vcc_lo
.LBB598_261:
	s_or_b32 exec_lo, exec_lo, s1
	v_or_b32_e32 v1, 16, v10
	ds_bpermute_b32 v9, v1, v8
	s_waitcnt lgkmcnt(2)
	ds_bpermute_b32 v5, v1, v3
	s_waitcnt lgkmcnt(2)
	;; [unrolled: 2-line block ×3, first 2 shown]
	v_and_b32_e32 v1, v8, v9
	v_and_b32_e32 v1, 1, v1
	v_cmp_eq_u32_e32 vcc_lo, 1, v1
                                        ; implicit-def: $vgpr1_vgpr2
	s_and_saveexec_b32 s1, vcc_lo
	s_xor_b32 s1, exec_lo, s1
	s_cbranch_execz .LBB598_263
; %bb.262:
	s_waitcnt lgkmcnt(0)
	v_cmp_lt_i64_e32 vcc_lo, v[5:6], v[3:4]
                                        ; implicit-def: $vgpr8
                                        ; implicit-def: $vgpr9
	v_cndmask_b32_e32 v2, v4, v6, vcc_lo
	v_cndmask_b32_e32 v1, v3, v5, vcc_lo
                                        ; implicit-def: $vgpr5_vgpr6
                                        ; implicit-def: $vgpr3_vgpr4
.LBB598_263:
	s_or_saveexec_b32 s1, s1
	v_mov_b32_e32 v7, 1
	s_xor_b32 exec_lo, exec_lo, s1
	s_cbranch_execz .LBB598_265
; %bb.264:
	v_and_b32_e32 v1, 1, v8
	v_cmp_eq_u32_e32 vcc_lo, 1, v1
	s_waitcnt lgkmcnt(0)
	v_cndmask_b32_e32 v2, v6, v4, vcc_lo
	v_cndmask_b32_e32 v1, v5, v3, vcc_lo
	v_cndmask_b32_e64 v7, v9, 1, vcc_lo
.LBB598_265:
	s_or_b32 exec_lo, exec_lo, s1
.LBB598_266:
	s_or_b32 exec_lo, exec_lo, s0
	s_branch .LBB598_327
.LBB598_267:
                                        ; implicit-def: $vgpr3_vgpr4
                                        ; implicit-def: $vgpr5
                                        ; implicit-def: $vgpr1_vgpr2
	s_cbranch_execnz .LBB598_332
	s_branch .LBB598_356
.LBB598_268:
                                        ; implicit-def: $vgpr3_vgpr4
                                        ; implicit-def: $vgpr5
                                        ; implicit-def: $vgpr1_vgpr2
	s_branch .LBB598_356
.LBB598_269:
                                        ; implicit-def: $vgpr1_vgpr2
                                        ; implicit-def: $vgpr7
	s_cbranch_execz .LBB598_327
; %bb.270:
	s_waitcnt lgkmcnt(0)
	v_mov_b32_e32 v3, 0
	v_mov_b32_e32 v1, 0
	;; [unrolled: 1-line block ×6, first 2 shown]
	s_sub_i32 s10, s14, s10
	s_mov_b32 s0, exec_lo
	v_cmpx_gt_u32_e64 s10, v0
	s_cbranch_execz .LBB598_272
; %bb.271:
	v_lshlrev_b32_e32 v1, 1, v0
	s_clause 0x1
	global_load_ushort v6, v1, s[2:3]
	global_load_ushort v7, v1, s[8:9]
	v_add_co_u32 v1, s1, s11, v0
	v_add_co_ci_u32_e64 v2, null, s23, 0, s1
	s_waitcnt vmcnt(0)
	v_cmp_ne_u16_e32 vcc_lo, v6, v7
	v_cndmask_b32_e64 v6, 0, 1, vcc_lo
.LBB598_272:
	s_or_b32 exec_lo, exec_lo, s0
	v_or_b32_e32 v7, 0x100, v0
	v_cmp_gt_u32_e32 vcc_lo, s10, v7
	s_and_saveexec_b32 s1, vcc_lo
	s_cbranch_execz .LBB598_274
; %bb.273:
	v_lshlrev_b32_e32 v3, 1, v0
	s_clause 0x1
	global_load_ushort v5, v3, s[2:3] offset:512
	global_load_ushort v8, v3, s[8:9] offset:512
	v_add_co_u32 v3, s0, s11, v7
	v_add_co_ci_u32_e64 v4, null, s23, 0, s0
	s_waitcnt vmcnt(0)
	v_cmp_ne_u16_e64 s0, v5, v8
	v_cndmask_b32_e64 v5, 0, 1, s0
.LBB598_274:
	s_or_b32 exec_lo, exec_lo, s1
	v_and_b32_e32 v7, 1, v5
	v_cmp_lt_i64_e64 s0, v[3:4], v[1:2]
	v_and_b32_e32 v8, 0xffff, v5
	v_mbcnt_lo_u32_b32 v5, -1, 0
	v_cmp_eq_u32_e64 s1, 1, v7
	v_and_b32_e32 v7, 0xffff, v6
	v_and_b32_e32 v6, 1, v6
	s_and_b32 s0, s1, s0
	v_cmp_ne_u32_e64 s1, 31, v5
	v_cndmask_b32_e64 v9, v2, v4, s0
	v_cndmask_b32_e64 v10, v1, v3, s0
	v_cmp_eq_u32_e64 s0, 1, v6
	v_cndmask_b32_e64 v6, v8, 1, s0
	v_add_co_ci_u32_e64 v8, null, 0, v5, s1
	v_cndmask_b32_e64 v3, v3, v10, s0
	v_cndmask_b32_e64 v4, v4, v9, s0
	v_cndmask_b32_e32 v7, v7, v6, vcc_lo
	v_lshlrev_b32_e32 v6, 2, v8
	s_min_u32 s0, s10, 0x100
	v_cndmask_b32_e32 v1, v1, v3, vcc_lo
	v_cndmask_b32_e32 v2, v2, v4, vcc_lo
	v_add_nc_u32_e32 v9, 1, v5
	ds_bpermute_b32 v8, v6, v7
	s_mov_b32 s1, exec_lo
	ds_bpermute_b32 v3, v6, v1
	ds_bpermute_b32 v4, v6, v2
	v_and_b32_e32 v6, 0xe0, v0
	v_sub_nc_u32_e64 v6, s0, v6 clamp
	v_cmpx_lt_u32_e64 v9, v6
	s_cbranch_execz .LBB598_280
; %bb.275:
	s_waitcnt lgkmcnt(2)
	v_and_b32_e32 v9, v7, v8
	s_mov_b32 s2, exec_lo
	v_cmpx_ne_u32_e32 0, v9
	s_xor_b32 s2, exec_lo, s2
	s_cbranch_execz .LBB598_277
; %bb.276:
	s_waitcnt lgkmcnt(0)
	v_cmp_lt_i64_e32 vcc_lo, v[3:4], v[1:2]
                                        ; implicit-def: $vgpr7
                                        ; implicit-def: $vgpr8
	v_cndmask_b32_e32 v2, v2, v4, vcc_lo
	v_cndmask_b32_e32 v1, v1, v3, vcc_lo
                                        ; implicit-def: $vgpr3_vgpr4
.LBB598_277:
	s_or_saveexec_b32 s2, s2
	v_mov_b32_e32 v9, 1
	s_xor_b32 exec_lo, exec_lo, s2
	s_cbranch_execz .LBB598_279
; %bb.278:
	v_and_b32_e32 v7, 1, v7
	v_cmp_eq_u32_e32 vcc_lo, 1, v7
	v_and_b32_e32 v7, 0xff, v8
	s_waitcnt lgkmcnt(0)
	v_cndmask_b32_e32 v2, v4, v2, vcc_lo
	v_cndmask_b32_e32 v1, v3, v1, vcc_lo
	v_cndmask_b32_e64 v9, v7, 1, vcc_lo
.LBB598_279:
	s_or_b32 exec_lo, exec_lo, s2
	v_mov_b32_e32 v7, v9
.LBB598_280:
	s_or_b32 exec_lo, exec_lo, s1
	v_cmp_gt_u32_e32 vcc_lo, 30, v5
	v_add_nc_u32_e32 v9, 2, v5
	s_mov_b32 s1, exec_lo
	s_waitcnt lgkmcnt(1)
	v_cndmask_b32_e64 v3, 0, 2, vcc_lo
	s_waitcnt lgkmcnt(0)
	v_add_lshl_u32 v4, v3, v5, 2
	ds_bpermute_b32 v8, v4, v7
	ds_bpermute_b32 v3, v4, v1
	ds_bpermute_b32 v4, v4, v2
	v_cmpx_lt_u32_e64 v9, v6
	s_cbranch_execz .LBB598_286
; %bb.281:
	s_waitcnt lgkmcnt(2)
	v_and_b32_e32 v9, v7, v8
	s_mov_b32 s2, exec_lo
	v_and_b32_e32 v9, 1, v9
	v_cmpx_eq_u32_e32 1, v9
	s_xor_b32 s2, exec_lo, s2
	s_cbranch_execz .LBB598_283
; %bb.282:
	s_waitcnt lgkmcnt(0)
	v_cmp_lt_i64_e32 vcc_lo, v[3:4], v[1:2]
                                        ; implicit-def: $vgpr7
                                        ; implicit-def: $vgpr8
	v_cndmask_b32_e32 v2, v2, v4, vcc_lo
	v_cndmask_b32_e32 v1, v1, v3, vcc_lo
                                        ; implicit-def: $vgpr3_vgpr4
.LBB598_283:
	s_or_saveexec_b32 s2, s2
	v_mov_b32_e32 v9, 1
	s_xor_b32 exec_lo, exec_lo, s2
	s_cbranch_execz .LBB598_285
; %bb.284:
	v_and_b32_e32 v7, 1, v7
	v_cmp_eq_u32_e32 vcc_lo, 1, v7
	v_and_b32_e32 v7, 0xff, v8
	s_waitcnt lgkmcnt(0)
	v_cndmask_b32_e32 v2, v4, v2, vcc_lo
	v_cndmask_b32_e32 v1, v3, v1, vcc_lo
	v_cndmask_b32_e64 v9, v7, 1, vcc_lo
.LBB598_285:
	s_or_b32 exec_lo, exec_lo, s2
	v_mov_b32_e32 v7, v9
.LBB598_286:
	s_or_b32 exec_lo, exec_lo, s1
	v_cmp_gt_u32_e32 vcc_lo, 28, v5
	v_add_nc_u32_e32 v9, 4, v5
	s_mov_b32 s1, exec_lo
	s_waitcnt lgkmcnt(1)
	v_cndmask_b32_e64 v3, 0, 4, vcc_lo
	s_waitcnt lgkmcnt(0)
	v_add_lshl_u32 v4, v3, v5, 2
	ds_bpermute_b32 v8, v4, v7
	ds_bpermute_b32 v3, v4, v1
	ds_bpermute_b32 v4, v4, v2
	v_cmpx_lt_u32_e64 v9, v6
	s_cbranch_execz .LBB598_292
; %bb.287:
	s_waitcnt lgkmcnt(2)
	v_and_b32_e32 v9, v7, v8
	s_mov_b32 s2, exec_lo
	v_and_b32_e32 v9, 1, v9
	v_cmpx_eq_u32_e32 1, v9
	s_xor_b32 s2, exec_lo, s2
	s_cbranch_execz .LBB598_289
; %bb.288:
	s_waitcnt lgkmcnt(0)
	v_cmp_lt_i64_e32 vcc_lo, v[3:4], v[1:2]
                                        ; implicit-def: $vgpr7
                                        ; implicit-def: $vgpr8
	v_cndmask_b32_e32 v2, v2, v4, vcc_lo
	v_cndmask_b32_e32 v1, v1, v3, vcc_lo
                                        ; implicit-def: $vgpr3_vgpr4
.LBB598_289:
	s_or_saveexec_b32 s2, s2
	v_mov_b32_e32 v9, 1
	s_xor_b32 exec_lo, exec_lo, s2
	s_cbranch_execz .LBB598_291
; %bb.290:
	v_and_b32_e32 v7, 1, v7
	v_cmp_eq_u32_e32 vcc_lo, 1, v7
	v_and_b32_e32 v7, 0xff, v8
	s_waitcnt lgkmcnt(0)
	v_cndmask_b32_e32 v2, v4, v2, vcc_lo
	v_cndmask_b32_e32 v1, v3, v1, vcc_lo
	v_cndmask_b32_e64 v9, v7, 1, vcc_lo
.LBB598_291:
	s_or_b32 exec_lo, exec_lo, s2
	v_mov_b32_e32 v7, v9
.LBB598_292:
	;; [unrolled: 46-line block ×3, first 2 shown]
	s_or_b32 exec_lo, exec_lo, s1
	s_waitcnt lgkmcnt(2)
	v_lshlrev_b32_e32 v8, 2, v5
	v_add_nc_u32_e32 v10, 16, v5
	s_waitcnt lgkmcnt(0)
	v_or_b32_e32 v4, 64, v8
	v_cmp_lt_u32_e32 vcc_lo, v10, v6
	v_mov_b32_e32 v6, v7
	ds_bpermute_b32 v9, v4, v7
	ds_bpermute_b32 v3, v4, v1
	;; [unrolled: 1-line block ×3, first 2 shown]
	s_and_saveexec_b32 s1, vcc_lo
	s_cbranch_execz .LBB598_304
; %bb.299:
	s_waitcnt lgkmcnt(2)
	v_and_b32_e32 v6, v7, v9
	s_mov_b32 s2, exec_lo
	v_and_b32_e32 v6, 1, v6
	v_cmpx_eq_u32_e32 1, v6
	s_xor_b32 s2, exec_lo, s2
	s_cbranch_execz .LBB598_301
; %bb.300:
	s_waitcnt lgkmcnt(0)
	v_cmp_lt_i64_e32 vcc_lo, v[3:4], v[1:2]
                                        ; implicit-def: $vgpr7
                                        ; implicit-def: $vgpr9
	v_cndmask_b32_e32 v2, v2, v4, vcc_lo
	v_cndmask_b32_e32 v1, v1, v3, vcc_lo
                                        ; implicit-def: $vgpr3_vgpr4
.LBB598_301:
	s_or_saveexec_b32 s2, s2
	v_mov_b32_e32 v6, 1
	s_xor_b32 exec_lo, exec_lo, s2
	s_cbranch_execz .LBB598_303
; %bb.302:
	v_and_b32_e32 v6, 1, v7
	v_cmp_eq_u32_e32 vcc_lo, 1, v6
	v_cndmask_b32_e64 v6, v9, 1, vcc_lo
	s_waitcnt lgkmcnt(0)
	v_cndmask_b32_e32 v2, v4, v2, vcc_lo
	v_cndmask_b32_e32 v1, v3, v1, vcc_lo
.LBB598_303:
	s_or_b32 exec_lo, exec_lo, s2
	v_and_b32_e32 v7, 0xff, v6
.LBB598_304:
	s_or_b32 exec_lo, exec_lo, s1
	s_mov_b32 s1, exec_lo
	v_cmpx_eq_u32_e32 0, v5
	s_cbranch_execz .LBB598_306
; %bb.305:
	s_waitcnt lgkmcnt(1)
	v_lshrrev_b32_e32 v3, 1, v0
	v_and_b32_e32 v3, 0x70, v3
	ds_write_b8 v3, v6 offset:512
	ds_write_b64 v3, v[1:2] offset:520
.LBB598_306:
	s_or_b32 exec_lo, exec_lo, s1
	s_mov_b32 s1, exec_lo
	s_waitcnt lgkmcnt(0)
	s_barrier
	buffer_gl0_inv
	v_cmpx_gt_u32_e32 8, v0
	s_cbranch_execz .LBB598_326
; %bb.307:
	v_lshlrev_b32_e32 v1, 4, v5
	v_and_b32_e32 v6, 7, v5
	s_add_i32 s0, s0, 31
	s_mov_b32 s2, exec_lo
	s_lshr_b32 s0, s0, 5
	ds_read_u8 v9, v1 offset:512
	ds_read_b64 v[1:2], v1 offset:520
	v_cmp_ne_u32_e32 vcc_lo, 7, v6
	v_add_nc_u32_e32 v11, 1, v6
	v_add_co_ci_u32_e64 v3, null, 0, v5, vcc_lo
	v_lshlrev_b32_e32 v4, 2, v3
	s_waitcnt lgkmcnt(1)
	v_and_b32_e32 v7, 0xff, v9
	s_waitcnt lgkmcnt(0)
	ds_bpermute_b32 v3, v4, v1
	ds_bpermute_b32 v10, v4, v7
	;; [unrolled: 1-line block ×3, first 2 shown]
	v_cmpx_gt_u32_e64 s0, v11
	s_cbranch_execz .LBB598_313
; %bb.308:
	s_waitcnt lgkmcnt(1)
	v_and_b32_e32 v7, v7, v10
	s_mov_b32 s3, exec_lo
	v_and_b32_e32 v7, 1, v7
	v_cmpx_eq_u32_e32 1, v7
	s_xor_b32 s3, exec_lo, s3
	s_cbranch_execz .LBB598_310
; %bb.309:
	s_waitcnt lgkmcnt(0)
	v_cmp_lt_i64_e32 vcc_lo, v[3:4], v[1:2]
                                        ; implicit-def: $vgpr9
                                        ; implicit-def: $vgpr10
	v_cndmask_b32_e32 v2, v2, v4, vcc_lo
	v_cndmask_b32_e32 v1, v1, v3, vcc_lo
                                        ; implicit-def: $vgpr3_vgpr4
.LBB598_310:
	s_or_saveexec_b32 s3, s3
	v_mov_b32_e32 v7, 1
	s_xor_b32 exec_lo, exec_lo, s3
	s_cbranch_execz .LBB598_312
; %bb.311:
	v_and_b32_e32 v7, 1, v9
	v_cmp_eq_u32_e32 vcc_lo, 1, v7
	v_and_b32_e32 v7, 0xff, v10
	s_waitcnt lgkmcnt(0)
	v_cndmask_b32_e32 v2, v4, v2, vcc_lo
	v_cndmask_b32_e32 v1, v3, v1, vcc_lo
	v_cndmask_b32_e64 v7, v7, 1, vcc_lo
.LBB598_312:
	s_or_b32 exec_lo, exec_lo, s3
.LBB598_313:
	s_or_b32 exec_lo, exec_lo, s2
	v_cmp_gt_u32_e32 vcc_lo, 6, v6
	v_add_nc_u32_e32 v9, 2, v6
	s_mov_b32 s2, exec_lo
	s_waitcnt lgkmcnt(2)
	v_cndmask_b32_e64 v3, 0, 2, vcc_lo
	s_waitcnt lgkmcnt(0)
	v_add_lshl_u32 v4, v3, v5, 2
	ds_bpermute_b32 v5, v4, v7
	ds_bpermute_b32 v3, v4, v1
	;; [unrolled: 1-line block ×3, first 2 shown]
	v_cmpx_gt_u32_e64 s0, v9
	s_cbranch_execz .LBB598_319
; %bb.314:
	s_waitcnt lgkmcnt(2)
	v_and_b32_e32 v9, v7, v5
	s_mov_b32 s3, exec_lo
	v_and_b32_e32 v9, 1, v9
	v_cmpx_eq_u32_e32 1, v9
	s_xor_b32 s3, exec_lo, s3
	s_cbranch_execz .LBB598_316
; %bb.315:
	s_waitcnt lgkmcnt(0)
	v_cmp_lt_i64_e32 vcc_lo, v[3:4], v[1:2]
                                        ; implicit-def: $vgpr7
                                        ; implicit-def: $vgpr5
	v_cndmask_b32_e32 v2, v2, v4, vcc_lo
	v_cndmask_b32_e32 v1, v1, v3, vcc_lo
                                        ; implicit-def: $vgpr3_vgpr4
.LBB598_316:
	s_or_saveexec_b32 s3, s3
	v_mov_b32_e32 v9, 1
	s_xor_b32 exec_lo, exec_lo, s3
	s_cbranch_execz .LBB598_318
; %bb.317:
	v_and_b32_e32 v7, 1, v7
	v_and_b32_e32 v5, 0xff, v5
	v_cmp_eq_u32_e32 vcc_lo, 1, v7
	s_waitcnt lgkmcnt(0)
	v_cndmask_b32_e32 v2, v4, v2, vcc_lo
	v_cndmask_b32_e32 v1, v3, v1, vcc_lo
	v_cndmask_b32_e64 v9, v5, 1, vcc_lo
.LBB598_318:
	s_or_b32 exec_lo, exec_lo, s3
	v_mov_b32_e32 v7, v9
.LBB598_319:
	s_or_b32 exec_lo, exec_lo, s2
	s_waitcnt lgkmcnt(0)
	v_or_b32_e32 v4, 16, v8
	v_add_nc_u32_e32 v6, 4, v6
	ds_bpermute_b32 v5, v4, v7
	ds_bpermute_b32 v3, v4, v1
	;; [unrolled: 1-line block ×3, first 2 shown]
	v_cmp_gt_u32_e32 vcc_lo, s0, v6
	s_and_saveexec_b32 s0, vcc_lo
	s_cbranch_execz .LBB598_325
; %bb.320:
	s_waitcnt lgkmcnt(2)
	v_and_b32_e32 v6, v7, v5
	s_mov_b32 s2, exec_lo
	v_and_b32_e32 v6, 1, v6
	v_cmpx_eq_u32_e32 1, v6
	s_xor_b32 s2, exec_lo, s2
	s_cbranch_execz .LBB598_322
; %bb.321:
	s_waitcnt lgkmcnt(0)
	v_cmp_lt_i64_e32 vcc_lo, v[3:4], v[1:2]
                                        ; implicit-def: $vgpr7
                                        ; implicit-def: $vgpr5
	v_cndmask_b32_e32 v2, v2, v4, vcc_lo
	v_cndmask_b32_e32 v1, v1, v3, vcc_lo
                                        ; implicit-def: $vgpr3_vgpr4
.LBB598_322:
	s_or_saveexec_b32 s2, s2
	v_mov_b32_e32 v6, 1
	s_xor_b32 exec_lo, exec_lo, s2
	s_cbranch_execz .LBB598_324
; %bb.323:
	v_and_b32_e32 v6, 1, v7
	v_cmp_eq_u32_e32 vcc_lo, 1, v6
	s_waitcnt lgkmcnt(0)
	v_cndmask_b32_e32 v2, v4, v2, vcc_lo
	v_cndmask_b32_e32 v1, v3, v1, vcc_lo
	v_cndmask_b32_e64 v6, v5, 1, vcc_lo
.LBB598_324:
	s_or_b32 exec_lo, exec_lo, s2
	v_mov_b32_e32 v7, v6
.LBB598_325:
	s_or_b32 exec_lo, exec_lo, s0
.LBB598_326:
	s_or_b32 exec_lo, exec_lo, s1
.LBB598_327:
                                        ; implicit-def: $vgpr3_vgpr4
                                        ; implicit-def: $vgpr5
	s_mov_b32 s0, exec_lo
	v_cmpx_eq_u32_e32 0, v0
	s_xor_b32 s2, exec_lo, s0
	s_cbranch_execz .LBB598_331
; %bb.328:
	s_waitcnt lgkmcnt(0)
	v_mov_b32_e32 v3, s20
	v_mov_b32_e32 v4, s21
	v_mov_b32_e32 v5, s24
	s_cmp_eq_u64 s[14:15], 0
	s_cbranch_scc1 .LBB598_330
; %bb.329:
	v_and_b32_e32 v3, 1, v7
	v_cmp_gt_i64_e32 vcc_lo, s[20:21], v[1:2]
	s_bitcmp1_b32 s24, 0
	s_cselect_b32 s1, -1, 0
	v_cmp_eq_u32_e64 s0, 1, v3
	v_cndmask_b32_e64 v5, v7, 1, s1
	s_and_b32 vcc_lo, s0, vcc_lo
	v_cndmask_b32_e32 v3, s20, v1, vcc_lo
	v_cndmask_b32_e32 v4, s21, v2, vcc_lo
	v_cndmask_b32_e64 v3, v1, v3, s1
	v_cndmask_b32_e64 v4, v2, v4, s1
.LBB598_330:
	s_or_b32 s22, s22, exec_lo
.LBB598_331:
	s_or_b32 exec_lo, exec_lo, s2
	v_mov_b32_e32 v1, s6
	v_mov_b32_e32 v2, s7
	s_branch .LBB598_356
.LBB598_332:
	s_cmp_eq_u32 s25, 1
	s_cbranch_scc0 .LBB598_355
; %bb.333:
	s_mov_b32 s3, 0
	s_lshr_b64 s[0:1], s[14:15], 8
	s_mov_b32 s7, s3
	s_lshl_b32 s2, s6, 8
	s_cmp_lg_u64 s[0:1], s[6:7]
	s_cbranch_scc0 .LBB598_359
; %bb.334:
	s_lshl_b64 s[0:1], s[2:3], 1
	v_lshlrev_b32_e32 v1, 1, v0
	s_add_u32 s8, s16, s0
	s_addc_u32 s9, s17, s1
	s_add_u32 s0, s18, s0
	s_addc_u32 s1, s19, s1
	s_waitcnt lgkmcnt(0)
	s_clause 0x1
	global_load_ushort v4, v1, s[8:9]
	global_load_ushort v5, v1, s[0:1]
	s_add_u32 s0, s12, s2
	s_addc_u32 s1, s13, 0
	v_add_co_u32 v1, s0, s0, v0
	v_add_co_ci_u32_e64 v2, null, s1, 0, s0
                                        ; implicit-def: $vgpr7
	v_mov_b32_dpp v3, v1 quad_perm:[1,0,3,2] row_mask:0xf bank_mask:0xf
	s_waitcnt vmcnt(0)
	v_cmp_ne_u16_e32 vcc_lo, v4, v5
	v_mov_b32_dpp v4, v2 quad_perm:[1,0,3,2] row_mask:0xf bank_mask:0xf
	v_cndmask_b32_e64 v5, 0, 1, vcc_lo
	v_cmp_lt_i64_e64 s0, v[1:2], v[3:4]
	v_mov_b32_dpp v5, v5 quad_perm:[1,0,3,2] row_mask:0xf bank_mask:0xf
	s_and_b32 s0, vcc_lo, s0
	v_cndmask_b32_e64 v3, v3, v1, s0
	v_and_b32_e32 v5, 1, v5
	v_cndmask_b32_e64 v4, v4, v2, s0
	v_cmp_eq_u32_e64 s0, 1, v5
	s_or_b32 s1, s0, vcc_lo
	v_cndmask_b32_e64 v4, v2, v4, s0
	v_cndmask_b32_e64 v2, 0, 1, s1
	;; [unrolled: 1-line block ×3, first 2 shown]
	v_mov_b32_dpp v6, v4 quad_perm:[2,3,0,1] row_mask:0xf bank_mask:0xf
	v_mov_b32_dpp v2, v2 quad_perm:[2,3,0,1] row_mask:0xf bank_mask:0xf
	;; [unrolled: 1-line block ×3, first 2 shown]
	v_and_b32_e32 v2, 1, v2
	v_cmp_eq_u32_e32 vcc_lo, 1, v2
                                        ; implicit-def: $vgpr1_vgpr2
	s_and_b32 s0, vcc_lo, s1
	s_xor_b32 s0, s0, -1
	s_and_saveexec_b32 s8, s0
	s_xor_b32 s0, exec_lo, s8
; %bb.335:
	s_or_b32 s1, vcc_lo, s1
	v_cndmask_b32_e32 v2, v4, v6, vcc_lo
	v_cndmask_b32_e32 v1, v3, v5, vcc_lo
	v_cndmask_b32_e64 v7, 0, 1, s1
                                        ; implicit-def: $vgpr3_vgpr4
                                        ; implicit-def: $vgpr5_vgpr6
; %bb.336:
	s_andn2_saveexec_b32 s0, s0
; %bb.337:
	v_cmp_lt_i64_e32 vcc_lo, v[3:4], v[5:6]
	v_mov_b32_e32 v7, 1
	v_cndmask_b32_e32 v2, v6, v4, vcc_lo
	v_cndmask_b32_e32 v1, v5, v3, vcc_lo
; %bb.338:
	s_or_b32 exec_lo, exec_lo, s0
	v_mov_b32_dpp v3, v1 row_ror:4 row_mask:0xf bank_mask:0xf
	v_mov_b32_dpp v4, v2 row_ror:4 row_mask:0xf bank_mask:0xf
	v_and_b32_e32 v6, 1, v7
	v_mov_b32_dpp v5, v7 row_ror:4 row_mask:0xf bank_mask:0xf
	v_mbcnt_lo_u32_b32 v8, -1, 0
	v_cmp_lt_i64_e32 vcc_lo, v[1:2], v[3:4]
	v_cmp_eq_u32_e64 s0, 1, v6
	v_and_b32_e32 v5, 1, v5
	s_and_b32 vcc_lo, s0, vcc_lo
	v_cmp_eq_u32_e64 s1, 1, v5
	v_cndmask_b32_e32 v3, v3, v1, vcc_lo
	v_cndmask_b32_e32 v4, v4, v2, vcc_lo
	v_cndmask_b32_e64 v5, v7, 1, s1
	v_cndmask_b32_e64 v1, v1, v3, s1
	;; [unrolled: 1-line block ×3, first 2 shown]
	v_and_b32_e32 v7, 1, v5
	v_mov_b32_dpp v3, v1 row_ror:8 row_mask:0xf bank_mask:0xf
	v_mov_b32_dpp v4, v2 row_ror:8 row_mask:0xf bank_mask:0xf
	v_mov_b32_dpp v6, v5 row_ror:8 row_mask:0xf bank_mask:0xf
	v_cmp_eq_u32_e64 s0, 1, v7
	v_cmp_lt_i64_e32 vcc_lo, v[1:2], v[3:4]
	v_and_b32_e32 v6, 1, v6
	v_cmp_eq_u32_e64 s1, 1, v6
	s_and_b32 vcc_lo, s0, vcc_lo
	v_cndmask_b32_e32 v3, v3, v1, vcc_lo
	v_cndmask_b32_e32 v4, v4, v2, vcc_lo
	v_cndmask_b32_e64 v5, v5, 1, s1
	v_cndmask_b32_e64 v1, v1, v3, s1
	;; [unrolled: 1-line block ×3, first 2 shown]
	ds_swizzle_b32 v6, v5 offset:swizzle(BROADCAST,32,15)
	v_and_b32_e32 v7, 1, v5
	ds_swizzle_b32 v3, v1 offset:swizzle(BROADCAST,32,15)
	ds_swizzle_b32 v4, v2 offset:swizzle(BROADCAST,32,15)
	v_cmp_eq_u32_e64 s0, 1, v7
	s_waitcnt lgkmcnt(2)
	v_and_b32_e32 v6, 1, v6
	s_waitcnt lgkmcnt(0)
	v_cmp_lt_i64_e32 vcc_lo, v[1:2], v[3:4]
	v_cmp_eq_u32_e64 s1, 1, v6
	v_mov_b32_e32 v6, 0
	s_and_b32 vcc_lo, s0, vcc_lo
	v_cndmask_b32_e64 v5, v5, 1, s1
	v_cndmask_b32_e32 v3, v3, v1, vcc_lo
	v_cndmask_b32_e32 v4, v4, v2, vcc_lo
	s_mov_b32 s0, exec_lo
	ds_bpermute_b32 v7, v6, v5 offset:124
	v_cndmask_b32_e64 v1, v1, v3, s1
	v_cndmask_b32_e64 v2, v2, v4, s1
	ds_bpermute_b32 v1, v6, v1 offset:124
	ds_bpermute_b32 v2, v6, v2 offset:124
	v_cmpx_eq_u32_e32 0, v8
	s_cbranch_execz .LBB598_340
; %bb.339:
	v_lshrrev_b32_e32 v3, 1, v0
	v_and_b32_e32 v3, 0x70, v3
	s_waitcnt lgkmcnt(2)
	ds_write_b8 v3, v7
	s_waitcnt lgkmcnt(1)
	ds_write_b64 v3, v[1:2] offset:8
.LBB598_340:
	s_or_b32 exec_lo, exec_lo, s0
	s_mov_b32 s0, exec_lo
	s_waitcnt lgkmcnt(0)
	s_barrier
	buffer_gl0_inv
	v_cmpx_gt_u32_e32 32, v0
	s_cbranch_execz .LBB598_354
; %bb.341:
	v_and_b32_e32 v7, 7, v8
	v_lshlrev_b32_e32 v1, 4, v7
	v_cmp_ne_u32_e32 vcc_lo, 7, v7
	ds_read_u8 v10, v1
	ds_read_b64 v[3:4], v1 offset:8
	v_add_co_ci_u32_e64 v2, null, 0, v8, vcc_lo
	v_lshlrev_b32_e32 v2, 2, v2
	s_waitcnt lgkmcnt(1)
	v_and_b32_e32 v1, 0xff, v10
	s_waitcnt lgkmcnt(0)
	ds_bpermute_b32 v5, v2, v3
	ds_bpermute_b32 v6, v2, v4
	;; [unrolled: 1-line block ×3, first 2 shown]
	s_waitcnt lgkmcnt(0)
	v_and_b32_e32 v1, v10, v11
	v_and_b32_e32 v1, 1, v1
	v_cmp_eq_u32_e32 vcc_lo, 1, v1
                                        ; implicit-def: $vgpr1_vgpr2
	s_and_saveexec_b32 s1, vcc_lo
	s_xor_b32 s1, exec_lo, s1
; %bb.342:
	v_cmp_lt_i64_e32 vcc_lo, v[5:6], v[3:4]
                                        ; implicit-def: $vgpr10
                                        ; implicit-def: $vgpr11
	v_cndmask_b32_e32 v2, v4, v6, vcc_lo
	v_cndmask_b32_e32 v1, v3, v5, vcc_lo
                                        ; implicit-def: $vgpr5_vgpr6
                                        ; implicit-def: $vgpr3_vgpr4
; %bb.343:
	s_or_saveexec_b32 s1, s1
	v_mov_b32_e32 v9, 1
	s_xor_b32 exec_lo, exec_lo, s1
; %bb.344:
	v_and_b32_e32 v1, 1, v10
	v_and_b32_e32 v9, 0xff, v11
	v_cmp_eq_u32_e32 vcc_lo, 1, v1
	v_cndmask_b32_e32 v2, v6, v4, vcc_lo
	v_cndmask_b32_e32 v1, v5, v3, vcc_lo
	v_cndmask_b32_e64 v9, v9, 1, vcc_lo
; %bb.345:
	s_or_b32 exec_lo, exec_lo, s1
	v_cmp_gt_u32_e32 vcc_lo, 6, v7
	v_cndmask_b32_e64 v3, 0, 2, vcc_lo
	v_add_lshl_u32 v3, v3, v8, 2
	ds_bpermute_b32 v7, v3, v9
	ds_bpermute_b32 v5, v3, v1
	;; [unrolled: 1-line block ×3, first 2 shown]
	s_waitcnt lgkmcnt(2)
	v_and_b32_e32 v3, v9, v7
	v_and_b32_e32 v3, 1, v3
	v_cmp_eq_u32_e32 vcc_lo, 1, v3
                                        ; implicit-def: $vgpr3_vgpr4
	s_and_saveexec_b32 s1, vcc_lo
	s_xor_b32 s1, exec_lo, s1
	s_cbranch_execz .LBB598_347
; %bb.346:
	s_waitcnt lgkmcnt(0)
	v_cmp_lt_i64_e32 vcc_lo, v[5:6], v[1:2]
                                        ; implicit-def: $vgpr9
                                        ; implicit-def: $vgpr7
	v_cndmask_b32_e32 v4, v2, v6, vcc_lo
	v_cndmask_b32_e32 v3, v1, v5, vcc_lo
                                        ; implicit-def: $vgpr5_vgpr6
                                        ; implicit-def: $vgpr1_vgpr2
.LBB598_347:
	s_or_saveexec_b32 s1, s1
	v_lshlrev_b32_e32 v10, 2, v8
	v_mov_b32_e32 v8, 1
	s_xor_b32 exec_lo, exec_lo, s1
	s_cbranch_execz .LBB598_349
; %bb.348:
	v_and_b32_e32 v3, 1, v9
	v_and_b32_e32 v7, 0xff, v7
	v_cmp_eq_u32_e32 vcc_lo, 1, v3
	s_waitcnt lgkmcnt(0)
	v_cndmask_b32_e32 v4, v6, v2, vcc_lo
	v_cndmask_b32_e32 v3, v5, v1, vcc_lo
	v_cndmask_b32_e64 v8, v7, 1, vcc_lo
.LBB598_349:
	s_or_b32 exec_lo, exec_lo, s1
	v_or_b32_e32 v1, 16, v10
	ds_bpermute_b32 v9, v1, v8
	s_waitcnt lgkmcnt(2)
	ds_bpermute_b32 v5, v1, v3
	s_waitcnt lgkmcnt(2)
	;; [unrolled: 2-line block ×3, first 2 shown]
	v_and_b32_e32 v1, v8, v9
	v_and_b32_e32 v1, 1, v1
	v_cmp_eq_u32_e32 vcc_lo, 1, v1
                                        ; implicit-def: $vgpr1_vgpr2
	s_and_saveexec_b32 s1, vcc_lo
	s_xor_b32 s1, exec_lo, s1
	s_cbranch_execz .LBB598_351
; %bb.350:
	s_waitcnt lgkmcnt(0)
	v_cmp_lt_i64_e32 vcc_lo, v[5:6], v[3:4]
                                        ; implicit-def: $vgpr8
                                        ; implicit-def: $vgpr9
	v_cndmask_b32_e32 v2, v4, v6, vcc_lo
	v_cndmask_b32_e32 v1, v3, v5, vcc_lo
                                        ; implicit-def: $vgpr5_vgpr6
                                        ; implicit-def: $vgpr3_vgpr4
.LBB598_351:
	s_or_saveexec_b32 s1, s1
	v_mov_b32_e32 v7, 1
	s_xor_b32 exec_lo, exec_lo, s1
	s_cbranch_execz .LBB598_353
; %bb.352:
	v_and_b32_e32 v1, 1, v8
	v_cmp_eq_u32_e32 vcc_lo, 1, v1
	s_waitcnt lgkmcnt(0)
	v_cndmask_b32_e32 v2, v6, v4, vcc_lo
	v_cndmask_b32_e32 v1, v5, v3, vcc_lo
	v_cndmask_b32_e64 v7, v9, 1, vcc_lo
.LBB598_353:
	s_or_b32 exec_lo, exec_lo, s1
.LBB598_354:
	s_or_b32 exec_lo, exec_lo, s0
	s_branch .LBB598_415
.LBB598_355:
                                        ; implicit-def: $vgpr3_vgpr4
                                        ; implicit-def: $vgpr5
                                        ; implicit-def: $vgpr1_vgpr2
.LBB598_356:
	s_and_saveexec_b32 s0, s22
	s_cbranch_execz .LBB598_358
.LBB598_357:
	s_load_dwordx2 s[0:1], s[4:5], 0x38
	v_lshlrev_b64 v[0:1], 4, v[1:2]
	s_waitcnt lgkmcnt(0)
	v_add_co_u32 v0, vcc_lo, s0, v0
	v_add_co_ci_u32_e64 v1, null, s1, v1, vcc_lo
	global_store_byte v[0:1], v5, off
	global_store_dwordx2 v[0:1], v[3:4], off offset:8
.LBB598_358:
	s_endpgm
.LBB598_359:
                                        ; implicit-def: $vgpr1_vgpr2
                                        ; implicit-def: $vgpr7
	s_cbranch_execz .LBB598_415
; %bb.360:
	v_mov_b32_e32 v1, 0
	v_mov_b32_e32 v2, 0
	;; [unrolled: 1-line block ×3, first 2 shown]
	s_sub_i32 s0, s14, s2
	s_mov_b32 s1, exec_lo
	v_cmpx_gt_u32_e64 s0, v0
	s_cbranch_execz .LBB598_362
; %bb.361:
	s_lshl_b64 s[8:9], s[2:3], 1
	v_lshlrev_b32_e32 v1, 1, v0
	s_add_u32 s10, s18, s8
	s_addc_u32 s11, s19, s9
	s_add_u32 s8, s16, s8
	s_addc_u32 s9, s17, s9
	s_add_u32 s2, s12, s2
	s_waitcnt lgkmcnt(1)
	global_load_ushort v3, v1, s[8:9]
	s_waitcnt lgkmcnt(0)
	global_load_ushort v4, v1, s[10:11]
	s_addc_u32 s3, s13, 0
	v_add_co_u32 v1, s2, s2, v0
	v_add_co_ci_u32_e64 v2, null, s3, 0, s2
	s_waitcnt vmcnt(0)
	v_cmp_ne_u16_e32 vcc_lo, v3, v4
	v_cndmask_b32_e64 v8, 0, 1, vcc_lo
.LBB598_362:
	s_or_b32 exec_lo, exec_lo, s1
	s_waitcnt lgkmcnt(1)
	v_mbcnt_lo_u32_b32 v5, -1, 0
	v_and_b32_e32 v7, 0xffff, v8
	s_waitcnt lgkmcnt(0)
	v_and_b32_e32 v6, 0xe0, v0
	s_min_u32 s0, s0, 0x100
	s_mov_b32 s1, exec_lo
	v_cmp_ne_u32_e32 vcc_lo, 31, v5
	v_add_nc_u32_e32 v10, 1, v5
	v_sub_nc_u32_e64 v6, s0, v6 clamp
	v_add_co_ci_u32_e64 v3, null, 0, v5, vcc_lo
	v_lshlrev_b32_e32 v4, 2, v3
	ds_bpermute_b32 v9, v4, v7
	ds_bpermute_b32 v3, v4, v1
	;; [unrolled: 1-line block ×3, first 2 shown]
	v_cmpx_lt_u32_e64 v10, v6
	s_cbranch_execz .LBB598_368
; %bb.363:
	s_waitcnt lgkmcnt(2)
	v_and_b32_e32 v7, v9, v7
	s_mov_b32 s2, exec_lo
	v_and_b32_e32 v7, 1, v7
	v_cmpx_eq_u32_e32 1, v7
	s_xor_b32 s2, exec_lo, s2
	s_cbranch_execz .LBB598_365
; %bb.364:
	s_waitcnt lgkmcnt(0)
	v_cmp_lt_i64_e32 vcc_lo, v[3:4], v[1:2]
                                        ; implicit-def: $vgpr8
                                        ; implicit-def: $vgpr9
	v_cndmask_b32_e32 v2, v2, v4, vcc_lo
	v_cndmask_b32_e32 v1, v1, v3, vcc_lo
                                        ; implicit-def: $vgpr3_vgpr4
.LBB598_365:
	s_or_saveexec_b32 s2, s2
	v_mov_b32_e32 v7, 1
	s_xor_b32 exec_lo, exec_lo, s2
	s_cbranch_execz .LBB598_367
; %bb.366:
	v_and_b32_e32 v7, 1, v8
	v_cmp_eq_u32_e32 vcc_lo, 1, v7
	v_and_b32_e32 v7, 0xff, v9
	s_waitcnt lgkmcnt(0)
	v_cndmask_b32_e32 v2, v4, v2, vcc_lo
	v_cndmask_b32_e32 v1, v3, v1, vcc_lo
	v_cndmask_b32_e64 v7, v7, 1, vcc_lo
.LBB598_367:
	s_or_b32 exec_lo, exec_lo, s2
.LBB598_368:
	s_or_b32 exec_lo, exec_lo, s1
	v_cmp_gt_u32_e32 vcc_lo, 30, v5
	s_waitcnt lgkmcnt(2)
	v_add_nc_u32_e32 v9, 2, v5
	s_mov_b32 s1, exec_lo
	s_waitcnt lgkmcnt(1)
	v_cndmask_b32_e64 v3, 0, 2, vcc_lo
	s_waitcnt lgkmcnt(0)
	v_add_lshl_u32 v4, v3, v5, 2
	ds_bpermute_b32 v8, v4, v7
	ds_bpermute_b32 v3, v4, v1
	;; [unrolled: 1-line block ×3, first 2 shown]
	v_cmpx_lt_u32_e64 v9, v6
	s_cbranch_execz .LBB598_374
; %bb.369:
	s_waitcnt lgkmcnt(2)
	v_and_b32_e32 v9, v7, v8
	s_mov_b32 s2, exec_lo
	v_and_b32_e32 v9, 1, v9
	v_cmpx_eq_u32_e32 1, v9
	s_xor_b32 s2, exec_lo, s2
	s_cbranch_execz .LBB598_371
; %bb.370:
	s_waitcnt lgkmcnt(0)
	v_cmp_lt_i64_e32 vcc_lo, v[3:4], v[1:2]
                                        ; implicit-def: $vgpr7
                                        ; implicit-def: $vgpr8
	v_cndmask_b32_e32 v2, v2, v4, vcc_lo
	v_cndmask_b32_e32 v1, v1, v3, vcc_lo
                                        ; implicit-def: $vgpr3_vgpr4
.LBB598_371:
	s_or_saveexec_b32 s2, s2
	v_mov_b32_e32 v9, 1
	s_xor_b32 exec_lo, exec_lo, s2
	s_cbranch_execz .LBB598_373
; %bb.372:
	v_and_b32_e32 v7, 1, v7
	v_cmp_eq_u32_e32 vcc_lo, 1, v7
	v_and_b32_e32 v7, 0xff, v8
	s_waitcnt lgkmcnt(0)
	v_cndmask_b32_e32 v2, v4, v2, vcc_lo
	v_cndmask_b32_e32 v1, v3, v1, vcc_lo
	v_cndmask_b32_e64 v9, v7, 1, vcc_lo
.LBB598_373:
	s_or_b32 exec_lo, exec_lo, s2
	v_mov_b32_e32 v7, v9
.LBB598_374:
	s_or_b32 exec_lo, exec_lo, s1
	v_cmp_gt_u32_e32 vcc_lo, 28, v5
	v_add_nc_u32_e32 v9, 4, v5
	s_mov_b32 s1, exec_lo
	s_waitcnt lgkmcnt(1)
	v_cndmask_b32_e64 v3, 0, 4, vcc_lo
	s_waitcnt lgkmcnt(0)
	v_add_lshl_u32 v4, v3, v5, 2
	ds_bpermute_b32 v8, v4, v7
	ds_bpermute_b32 v3, v4, v1
	;; [unrolled: 1-line block ×3, first 2 shown]
	v_cmpx_lt_u32_e64 v9, v6
	s_cbranch_execz .LBB598_380
; %bb.375:
	s_waitcnt lgkmcnt(2)
	v_and_b32_e32 v9, v7, v8
	s_mov_b32 s2, exec_lo
	v_and_b32_e32 v9, 1, v9
	v_cmpx_eq_u32_e32 1, v9
	s_xor_b32 s2, exec_lo, s2
	s_cbranch_execz .LBB598_377
; %bb.376:
	s_waitcnt lgkmcnt(0)
	v_cmp_lt_i64_e32 vcc_lo, v[3:4], v[1:2]
                                        ; implicit-def: $vgpr7
                                        ; implicit-def: $vgpr8
	v_cndmask_b32_e32 v2, v2, v4, vcc_lo
	v_cndmask_b32_e32 v1, v1, v3, vcc_lo
                                        ; implicit-def: $vgpr3_vgpr4
.LBB598_377:
	s_or_saveexec_b32 s2, s2
	v_mov_b32_e32 v9, 1
	s_xor_b32 exec_lo, exec_lo, s2
	s_cbranch_execz .LBB598_379
; %bb.378:
	v_and_b32_e32 v7, 1, v7
	v_cmp_eq_u32_e32 vcc_lo, 1, v7
	v_and_b32_e32 v7, 0xff, v8
	s_waitcnt lgkmcnt(0)
	v_cndmask_b32_e32 v2, v4, v2, vcc_lo
	v_cndmask_b32_e32 v1, v3, v1, vcc_lo
	v_cndmask_b32_e64 v9, v7, 1, vcc_lo
.LBB598_379:
	s_or_b32 exec_lo, exec_lo, s2
	v_mov_b32_e32 v7, v9
.LBB598_380:
	s_or_b32 exec_lo, exec_lo, s1
	v_cmp_gt_u32_e32 vcc_lo, 24, v5
	v_add_nc_u32_e32 v9, 8, v5
	s_mov_b32 s1, exec_lo
	s_waitcnt lgkmcnt(1)
	v_cndmask_b32_e64 v3, 0, 8, vcc_lo
	s_waitcnt lgkmcnt(0)
	v_add_lshl_u32 v4, v3, v5, 2
	ds_bpermute_b32 v8, v4, v7
	ds_bpermute_b32 v3, v4, v1
	ds_bpermute_b32 v4, v4, v2
	v_cmpx_lt_u32_e64 v9, v6
	s_cbranch_execz .LBB598_386
; %bb.381:
	s_waitcnt lgkmcnt(2)
	v_and_b32_e32 v9, v7, v8
	s_mov_b32 s2, exec_lo
	v_and_b32_e32 v9, 1, v9
	v_cmpx_eq_u32_e32 1, v9
	s_xor_b32 s2, exec_lo, s2
	s_cbranch_execz .LBB598_383
; %bb.382:
	s_waitcnt lgkmcnt(0)
	v_cmp_lt_i64_e32 vcc_lo, v[3:4], v[1:2]
                                        ; implicit-def: $vgpr7
                                        ; implicit-def: $vgpr8
	v_cndmask_b32_e32 v2, v2, v4, vcc_lo
	v_cndmask_b32_e32 v1, v1, v3, vcc_lo
                                        ; implicit-def: $vgpr3_vgpr4
.LBB598_383:
	s_or_saveexec_b32 s2, s2
	v_mov_b32_e32 v9, 1
	s_xor_b32 exec_lo, exec_lo, s2
	s_cbranch_execz .LBB598_385
; %bb.384:
	v_and_b32_e32 v7, 1, v7
	v_cmp_eq_u32_e32 vcc_lo, 1, v7
	v_and_b32_e32 v7, 0xff, v8
	s_waitcnt lgkmcnt(0)
	v_cndmask_b32_e32 v2, v4, v2, vcc_lo
	v_cndmask_b32_e32 v1, v3, v1, vcc_lo
	v_cndmask_b32_e64 v9, v7, 1, vcc_lo
.LBB598_385:
	s_or_b32 exec_lo, exec_lo, s2
	v_mov_b32_e32 v7, v9
.LBB598_386:
	s_or_b32 exec_lo, exec_lo, s1
	s_waitcnt lgkmcnt(2)
	v_lshlrev_b32_e32 v8, 2, v5
	v_add_nc_u32_e32 v10, 16, v5
	s_waitcnt lgkmcnt(0)
	v_or_b32_e32 v4, 64, v8
	v_cmp_lt_u32_e32 vcc_lo, v10, v6
	v_mov_b32_e32 v6, v7
	ds_bpermute_b32 v9, v4, v7
	ds_bpermute_b32 v3, v4, v1
	;; [unrolled: 1-line block ×3, first 2 shown]
	s_and_saveexec_b32 s1, vcc_lo
	s_cbranch_execz .LBB598_392
; %bb.387:
	s_waitcnt lgkmcnt(2)
	v_and_b32_e32 v6, v7, v9
	s_mov_b32 s2, exec_lo
	v_and_b32_e32 v6, 1, v6
	v_cmpx_eq_u32_e32 1, v6
	s_xor_b32 s2, exec_lo, s2
	s_cbranch_execz .LBB598_389
; %bb.388:
	s_waitcnt lgkmcnt(0)
	v_cmp_lt_i64_e32 vcc_lo, v[3:4], v[1:2]
                                        ; implicit-def: $vgpr7
                                        ; implicit-def: $vgpr9
	v_cndmask_b32_e32 v2, v2, v4, vcc_lo
	v_cndmask_b32_e32 v1, v1, v3, vcc_lo
                                        ; implicit-def: $vgpr3_vgpr4
.LBB598_389:
	s_or_saveexec_b32 s2, s2
	v_mov_b32_e32 v6, 1
	s_xor_b32 exec_lo, exec_lo, s2
	s_cbranch_execz .LBB598_391
; %bb.390:
	v_and_b32_e32 v6, 1, v7
	v_cmp_eq_u32_e32 vcc_lo, 1, v6
	v_cndmask_b32_e64 v6, v9, 1, vcc_lo
	s_waitcnt lgkmcnt(0)
	v_cndmask_b32_e32 v2, v4, v2, vcc_lo
	v_cndmask_b32_e32 v1, v3, v1, vcc_lo
.LBB598_391:
	s_or_b32 exec_lo, exec_lo, s2
	v_and_b32_e32 v7, 0xff, v6
.LBB598_392:
	s_or_b32 exec_lo, exec_lo, s1
	s_mov_b32 s1, exec_lo
	v_cmpx_eq_u32_e32 0, v5
	s_cbranch_execz .LBB598_394
; %bb.393:
	s_waitcnt lgkmcnt(1)
	v_lshrrev_b32_e32 v3, 1, v0
	v_and_b32_e32 v3, 0x70, v3
	ds_write_b8 v3, v6 offset:512
	ds_write_b64 v3, v[1:2] offset:520
.LBB598_394:
	s_or_b32 exec_lo, exec_lo, s1
	s_mov_b32 s1, exec_lo
	s_waitcnt lgkmcnt(0)
	s_barrier
	buffer_gl0_inv
	v_cmpx_gt_u32_e32 8, v0
	s_cbranch_execz .LBB598_414
; %bb.395:
	v_lshlrev_b32_e32 v1, 4, v5
	v_and_b32_e32 v6, 7, v5
	s_add_i32 s0, s0, 31
	s_mov_b32 s2, exec_lo
	s_lshr_b32 s0, s0, 5
	ds_read_u8 v9, v1 offset:512
	ds_read_b64 v[1:2], v1 offset:520
	v_cmp_ne_u32_e32 vcc_lo, 7, v6
	v_add_nc_u32_e32 v11, 1, v6
	v_add_co_ci_u32_e64 v3, null, 0, v5, vcc_lo
	v_lshlrev_b32_e32 v4, 2, v3
	s_waitcnt lgkmcnt(1)
	v_and_b32_e32 v7, 0xff, v9
	s_waitcnt lgkmcnt(0)
	ds_bpermute_b32 v3, v4, v1
	ds_bpermute_b32 v10, v4, v7
	;; [unrolled: 1-line block ×3, first 2 shown]
	v_cmpx_gt_u32_e64 s0, v11
	s_cbranch_execz .LBB598_401
; %bb.396:
	s_waitcnt lgkmcnt(1)
	v_and_b32_e32 v7, v7, v10
	s_mov_b32 s3, exec_lo
	v_and_b32_e32 v7, 1, v7
	v_cmpx_eq_u32_e32 1, v7
	s_xor_b32 s3, exec_lo, s3
	s_cbranch_execz .LBB598_398
; %bb.397:
	s_waitcnt lgkmcnt(0)
	v_cmp_lt_i64_e32 vcc_lo, v[3:4], v[1:2]
                                        ; implicit-def: $vgpr9
                                        ; implicit-def: $vgpr10
	v_cndmask_b32_e32 v2, v2, v4, vcc_lo
	v_cndmask_b32_e32 v1, v1, v3, vcc_lo
                                        ; implicit-def: $vgpr3_vgpr4
.LBB598_398:
	s_or_saveexec_b32 s3, s3
	v_mov_b32_e32 v7, 1
	s_xor_b32 exec_lo, exec_lo, s3
	s_cbranch_execz .LBB598_400
; %bb.399:
	v_and_b32_e32 v7, 1, v9
	v_cmp_eq_u32_e32 vcc_lo, 1, v7
	v_and_b32_e32 v7, 0xff, v10
	s_waitcnt lgkmcnt(0)
	v_cndmask_b32_e32 v2, v4, v2, vcc_lo
	v_cndmask_b32_e32 v1, v3, v1, vcc_lo
	v_cndmask_b32_e64 v7, v7, 1, vcc_lo
.LBB598_400:
	s_or_b32 exec_lo, exec_lo, s3
.LBB598_401:
	s_or_b32 exec_lo, exec_lo, s2
	v_cmp_gt_u32_e32 vcc_lo, 6, v6
	v_add_nc_u32_e32 v9, 2, v6
	s_mov_b32 s2, exec_lo
	s_waitcnt lgkmcnt(2)
	v_cndmask_b32_e64 v3, 0, 2, vcc_lo
	s_waitcnt lgkmcnt(0)
	v_add_lshl_u32 v4, v3, v5, 2
	ds_bpermute_b32 v5, v4, v7
	ds_bpermute_b32 v3, v4, v1
	;; [unrolled: 1-line block ×3, first 2 shown]
	v_cmpx_gt_u32_e64 s0, v9
	s_cbranch_execz .LBB598_407
; %bb.402:
	s_waitcnt lgkmcnt(2)
	v_and_b32_e32 v9, v7, v5
	s_mov_b32 s3, exec_lo
	v_and_b32_e32 v9, 1, v9
	v_cmpx_eq_u32_e32 1, v9
	s_xor_b32 s3, exec_lo, s3
	s_cbranch_execz .LBB598_404
; %bb.403:
	s_waitcnt lgkmcnt(0)
	v_cmp_lt_i64_e32 vcc_lo, v[3:4], v[1:2]
                                        ; implicit-def: $vgpr7
                                        ; implicit-def: $vgpr5
	v_cndmask_b32_e32 v2, v2, v4, vcc_lo
	v_cndmask_b32_e32 v1, v1, v3, vcc_lo
                                        ; implicit-def: $vgpr3_vgpr4
.LBB598_404:
	s_or_saveexec_b32 s3, s3
	v_mov_b32_e32 v9, 1
	s_xor_b32 exec_lo, exec_lo, s3
	s_cbranch_execz .LBB598_406
; %bb.405:
	v_and_b32_e32 v7, 1, v7
	v_and_b32_e32 v5, 0xff, v5
	v_cmp_eq_u32_e32 vcc_lo, 1, v7
	s_waitcnt lgkmcnt(0)
	v_cndmask_b32_e32 v2, v4, v2, vcc_lo
	v_cndmask_b32_e32 v1, v3, v1, vcc_lo
	v_cndmask_b32_e64 v9, v5, 1, vcc_lo
.LBB598_406:
	s_or_b32 exec_lo, exec_lo, s3
	v_mov_b32_e32 v7, v9
.LBB598_407:
	s_or_b32 exec_lo, exec_lo, s2
	s_waitcnt lgkmcnt(0)
	v_or_b32_e32 v4, 16, v8
	v_add_nc_u32_e32 v6, 4, v6
	ds_bpermute_b32 v5, v4, v7
	ds_bpermute_b32 v3, v4, v1
	;; [unrolled: 1-line block ×3, first 2 shown]
	v_cmp_gt_u32_e32 vcc_lo, s0, v6
	s_and_saveexec_b32 s0, vcc_lo
	s_cbranch_execz .LBB598_413
; %bb.408:
	s_waitcnt lgkmcnt(2)
	v_and_b32_e32 v6, v7, v5
	s_mov_b32 s2, exec_lo
	v_and_b32_e32 v6, 1, v6
	v_cmpx_eq_u32_e32 1, v6
	s_xor_b32 s2, exec_lo, s2
	s_cbranch_execz .LBB598_410
; %bb.409:
	s_waitcnt lgkmcnt(0)
	v_cmp_lt_i64_e32 vcc_lo, v[3:4], v[1:2]
                                        ; implicit-def: $vgpr7
                                        ; implicit-def: $vgpr5
	v_cndmask_b32_e32 v2, v2, v4, vcc_lo
	v_cndmask_b32_e32 v1, v1, v3, vcc_lo
                                        ; implicit-def: $vgpr3_vgpr4
.LBB598_410:
	s_or_saveexec_b32 s2, s2
	v_mov_b32_e32 v6, 1
	s_xor_b32 exec_lo, exec_lo, s2
	s_cbranch_execz .LBB598_412
; %bb.411:
	v_and_b32_e32 v6, 1, v7
	v_cmp_eq_u32_e32 vcc_lo, 1, v6
	s_waitcnt lgkmcnt(0)
	v_cndmask_b32_e32 v2, v4, v2, vcc_lo
	v_cndmask_b32_e32 v1, v3, v1, vcc_lo
	v_cndmask_b32_e64 v6, v5, 1, vcc_lo
.LBB598_412:
	s_or_b32 exec_lo, exec_lo, s2
	v_mov_b32_e32 v7, v6
.LBB598_413:
	s_or_b32 exec_lo, exec_lo, s0
.LBB598_414:
	s_or_b32 exec_lo, exec_lo, s1
.LBB598_415:
	s_mov_b32 s2, exec_lo
                                        ; implicit-def: $vgpr3_vgpr4
                                        ; implicit-def: $vgpr5
	v_cmpx_eq_u32_e32 0, v0
	s_cbranch_execz .LBB598_419
; %bb.416:
	s_waitcnt lgkmcnt(0)
	v_mov_b32_e32 v3, s20
	v_mov_b32_e32 v4, s21
	;; [unrolled: 1-line block ×3, first 2 shown]
	s_cmp_eq_u64 s[14:15], 0
	s_cbranch_scc1 .LBB598_418
; %bb.417:
	v_and_b32_e32 v0, 1, v7
	v_cmp_gt_i64_e32 vcc_lo, s[20:21], v[1:2]
	s_bitcmp1_b32 s24, 0
	s_cselect_b32 s1, -1, 0
	v_cmp_eq_u32_e64 s0, 1, v0
	v_cndmask_b32_e64 v5, v7, 1, s1
	s_and_b32 vcc_lo, s0, vcc_lo
	v_cndmask_b32_e32 v0, s20, v1, vcc_lo
	v_cndmask_b32_e32 v3, s21, v2, vcc_lo
	v_cndmask_b32_e64 v4, v2, v3, s1
	v_cndmask_b32_e64 v3, v1, v0, s1
.LBB598_418:
	s_or_b32 s22, s22, exec_lo
.LBB598_419:
	s_or_b32 exec_lo, exec_lo, s2
	v_mov_b32_e32 v1, s6
	v_mov_b32_e32 v2, s7
	s_and_saveexec_b32 s0, s22
	s_cbranch_execnz .LBB598_357
	s_branch .LBB598_358
	.section	.rodata,"a",@progbits
	.p2align	6, 0x0
	.amdhsa_kernel _ZN7rocprim17ROCPRIM_400000_NS6detail17trampoline_kernelINS0_14default_configENS1_22reduce_config_selectorIN6thrust23THRUST_200600_302600_NS5tupleIblNS6_9null_typeES8_S8_S8_S8_S8_S8_S8_EEEEZNS1_11reduce_implILb1ES3_NS6_12zip_iteratorINS7_INS6_11hip_rocprim26transform_input_iterator_tIbNSD_35transform_pair_of_input_iterators_tIbNS6_6detail15normal_iteratorINS6_10device_ptrIKsEEEESL_NS6_8equal_toIsEEEENSG_9not_fun_tINSD_8identityEEEEENSD_19counting_iterator_tIlEES8_S8_S8_S8_S8_S8_S8_S8_EEEEPS9_S9_NSD_9__find_if7functorIS9_EEEE10hipError_tPvRmT1_T2_T3_mT4_P12ihipStream_tbEUlT_E1_NS1_11comp_targetILNS1_3genE8ELNS1_11target_archE1030ELNS1_3gpuE2ELNS1_3repE0EEENS1_30default_config_static_selectorELNS0_4arch9wavefront6targetE0EEEvS14_
		.amdhsa_group_segment_fixed_size 640
		.amdhsa_private_segment_fixed_size 0
		.amdhsa_kernarg_size 88
		.amdhsa_user_sgpr_count 6
		.amdhsa_user_sgpr_private_segment_buffer 1
		.amdhsa_user_sgpr_dispatch_ptr 0
		.amdhsa_user_sgpr_queue_ptr 0
		.amdhsa_user_sgpr_kernarg_segment_ptr 1
		.amdhsa_user_sgpr_dispatch_id 0
		.amdhsa_user_sgpr_flat_scratch_init 0
		.amdhsa_user_sgpr_private_segment_size 0
		.amdhsa_wavefront_size32 1
		.amdhsa_uses_dynamic_stack 0
		.amdhsa_system_sgpr_private_segment_wavefront_offset 0
		.amdhsa_system_sgpr_workgroup_id_x 1
		.amdhsa_system_sgpr_workgroup_id_y 0
		.amdhsa_system_sgpr_workgroup_id_z 0
		.amdhsa_system_sgpr_workgroup_info 0
		.amdhsa_system_vgpr_workitem_id 0
		.amdhsa_next_free_vgpr 27
		.amdhsa_next_free_sgpr 32
		.amdhsa_reserve_vcc 1
		.amdhsa_reserve_flat_scratch 0
		.amdhsa_float_round_mode_32 0
		.amdhsa_float_round_mode_16_64 0
		.amdhsa_float_denorm_mode_32 3
		.amdhsa_float_denorm_mode_16_64 3
		.amdhsa_dx10_clamp 1
		.amdhsa_ieee_mode 1
		.amdhsa_fp16_overflow 0
		.amdhsa_workgroup_processor_mode 1
		.amdhsa_memory_ordered 1
		.amdhsa_forward_progress 1
		.amdhsa_shared_vgpr_count 0
		.amdhsa_exception_fp_ieee_invalid_op 0
		.amdhsa_exception_fp_denorm_src 0
		.amdhsa_exception_fp_ieee_div_zero 0
		.amdhsa_exception_fp_ieee_overflow 0
		.amdhsa_exception_fp_ieee_underflow 0
		.amdhsa_exception_fp_ieee_inexact 0
		.amdhsa_exception_int_div_zero 0
	.end_amdhsa_kernel
	.section	.text._ZN7rocprim17ROCPRIM_400000_NS6detail17trampoline_kernelINS0_14default_configENS1_22reduce_config_selectorIN6thrust23THRUST_200600_302600_NS5tupleIblNS6_9null_typeES8_S8_S8_S8_S8_S8_S8_EEEEZNS1_11reduce_implILb1ES3_NS6_12zip_iteratorINS7_INS6_11hip_rocprim26transform_input_iterator_tIbNSD_35transform_pair_of_input_iterators_tIbNS6_6detail15normal_iteratorINS6_10device_ptrIKsEEEESL_NS6_8equal_toIsEEEENSG_9not_fun_tINSD_8identityEEEEENSD_19counting_iterator_tIlEES8_S8_S8_S8_S8_S8_S8_S8_EEEEPS9_S9_NSD_9__find_if7functorIS9_EEEE10hipError_tPvRmT1_T2_T3_mT4_P12ihipStream_tbEUlT_E1_NS1_11comp_targetILNS1_3genE8ELNS1_11target_archE1030ELNS1_3gpuE2ELNS1_3repE0EEENS1_30default_config_static_selectorELNS0_4arch9wavefront6targetE0EEEvS14_,"axG",@progbits,_ZN7rocprim17ROCPRIM_400000_NS6detail17trampoline_kernelINS0_14default_configENS1_22reduce_config_selectorIN6thrust23THRUST_200600_302600_NS5tupleIblNS6_9null_typeES8_S8_S8_S8_S8_S8_S8_EEEEZNS1_11reduce_implILb1ES3_NS6_12zip_iteratorINS7_INS6_11hip_rocprim26transform_input_iterator_tIbNSD_35transform_pair_of_input_iterators_tIbNS6_6detail15normal_iteratorINS6_10device_ptrIKsEEEESL_NS6_8equal_toIsEEEENSG_9not_fun_tINSD_8identityEEEEENSD_19counting_iterator_tIlEES8_S8_S8_S8_S8_S8_S8_S8_EEEEPS9_S9_NSD_9__find_if7functorIS9_EEEE10hipError_tPvRmT1_T2_T3_mT4_P12ihipStream_tbEUlT_E1_NS1_11comp_targetILNS1_3genE8ELNS1_11target_archE1030ELNS1_3gpuE2ELNS1_3repE0EEENS1_30default_config_static_selectorELNS0_4arch9wavefront6targetE0EEEvS14_,comdat
.Lfunc_end598:
	.size	_ZN7rocprim17ROCPRIM_400000_NS6detail17trampoline_kernelINS0_14default_configENS1_22reduce_config_selectorIN6thrust23THRUST_200600_302600_NS5tupleIblNS6_9null_typeES8_S8_S8_S8_S8_S8_S8_EEEEZNS1_11reduce_implILb1ES3_NS6_12zip_iteratorINS7_INS6_11hip_rocprim26transform_input_iterator_tIbNSD_35transform_pair_of_input_iterators_tIbNS6_6detail15normal_iteratorINS6_10device_ptrIKsEEEESL_NS6_8equal_toIsEEEENSG_9not_fun_tINSD_8identityEEEEENSD_19counting_iterator_tIlEES8_S8_S8_S8_S8_S8_S8_S8_EEEEPS9_S9_NSD_9__find_if7functorIS9_EEEE10hipError_tPvRmT1_T2_T3_mT4_P12ihipStream_tbEUlT_E1_NS1_11comp_targetILNS1_3genE8ELNS1_11target_archE1030ELNS1_3gpuE2ELNS1_3repE0EEENS1_30default_config_static_selectorELNS0_4arch9wavefront6targetE0EEEvS14_, .Lfunc_end598-_ZN7rocprim17ROCPRIM_400000_NS6detail17trampoline_kernelINS0_14default_configENS1_22reduce_config_selectorIN6thrust23THRUST_200600_302600_NS5tupleIblNS6_9null_typeES8_S8_S8_S8_S8_S8_S8_EEEEZNS1_11reduce_implILb1ES3_NS6_12zip_iteratorINS7_INS6_11hip_rocprim26transform_input_iterator_tIbNSD_35transform_pair_of_input_iterators_tIbNS6_6detail15normal_iteratorINS6_10device_ptrIKsEEEESL_NS6_8equal_toIsEEEENSG_9not_fun_tINSD_8identityEEEEENSD_19counting_iterator_tIlEES8_S8_S8_S8_S8_S8_S8_S8_EEEEPS9_S9_NSD_9__find_if7functorIS9_EEEE10hipError_tPvRmT1_T2_T3_mT4_P12ihipStream_tbEUlT_E1_NS1_11comp_targetILNS1_3genE8ELNS1_11target_archE1030ELNS1_3gpuE2ELNS1_3repE0EEENS1_30default_config_static_selectorELNS0_4arch9wavefront6targetE0EEEvS14_
                                        ; -- End function
	.set _ZN7rocprim17ROCPRIM_400000_NS6detail17trampoline_kernelINS0_14default_configENS1_22reduce_config_selectorIN6thrust23THRUST_200600_302600_NS5tupleIblNS6_9null_typeES8_S8_S8_S8_S8_S8_S8_EEEEZNS1_11reduce_implILb1ES3_NS6_12zip_iteratorINS7_INS6_11hip_rocprim26transform_input_iterator_tIbNSD_35transform_pair_of_input_iterators_tIbNS6_6detail15normal_iteratorINS6_10device_ptrIKsEEEESL_NS6_8equal_toIsEEEENSG_9not_fun_tINSD_8identityEEEEENSD_19counting_iterator_tIlEES8_S8_S8_S8_S8_S8_S8_S8_EEEEPS9_S9_NSD_9__find_if7functorIS9_EEEE10hipError_tPvRmT1_T2_T3_mT4_P12ihipStream_tbEUlT_E1_NS1_11comp_targetILNS1_3genE8ELNS1_11target_archE1030ELNS1_3gpuE2ELNS1_3repE0EEENS1_30default_config_static_selectorELNS0_4arch9wavefront6targetE0EEEvS14_.num_vgpr, 27
	.set _ZN7rocprim17ROCPRIM_400000_NS6detail17trampoline_kernelINS0_14default_configENS1_22reduce_config_selectorIN6thrust23THRUST_200600_302600_NS5tupleIblNS6_9null_typeES8_S8_S8_S8_S8_S8_S8_EEEEZNS1_11reduce_implILb1ES3_NS6_12zip_iteratorINS7_INS6_11hip_rocprim26transform_input_iterator_tIbNSD_35transform_pair_of_input_iterators_tIbNS6_6detail15normal_iteratorINS6_10device_ptrIKsEEEESL_NS6_8equal_toIsEEEENSG_9not_fun_tINSD_8identityEEEEENSD_19counting_iterator_tIlEES8_S8_S8_S8_S8_S8_S8_S8_EEEEPS9_S9_NSD_9__find_if7functorIS9_EEEE10hipError_tPvRmT1_T2_T3_mT4_P12ihipStream_tbEUlT_E1_NS1_11comp_targetILNS1_3genE8ELNS1_11target_archE1030ELNS1_3gpuE2ELNS1_3repE0EEENS1_30default_config_static_selectorELNS0_4arch9wavefront6targetE0EEEvS14_.num_agpr, 0
	.set _ZN7rocprim17ROCPRIM_400000_NS6detail17trampoline_kernelINS0_14default_configENS1_22reduce_config_selectorIN6thrust23THRUST_200600_302600_NS5tupleIblNS6_9null_typeES8_S8_S8_S8_S8_S8_S8_EEEEZNS1_11reduce_implILb1ES3_NS6_12zip_iteratorINS7_INS6_11hip_rocprim26transform_input_iterator_tIbNSD_35transform_pair_of_input_iterators_tIbNS6_6detail15normal_iteratorINS6_10device_ptrIKsEEEESL_NS6_8equal_toIsEEEENSG_9not_fun_tINSD_8identityEEEEENSD_19counting_iterator_tIlEES8_S8_S8_S8_S8_S8_S8_S8_EEEEPS9_S9_NSD_9__find_if7functorIS9_EEEE10hipError_tPvRmT1_T2_T3_mT4_P12ihipStream_tbEUlT_E1_NS1_11comp_targetILNS1_3genE8ELNS1_11target_archE1030ELNS1_3gpuE2ELNS1_3repE0EEENS1_30default_config_static_selectorELNS0_4arch9wavefront6targetE0EEEvS14_.numbered_sgpr, 32
	.set _ZN7rocprim17ROCPRIM_400000_NS6detail17trampoline_kernelINS0_14default_configENS1_22reduce_config_selectorIN6thrust23THRUST_200600_302600_NS5tupleIblNS6_9null_typeES8_S8_S8_S8_S8_S8_S8_EEEEZNS1_11reduce_implILb1ES3_NS6_12zip_iteratorINS7_INS6_11hip_rocprim26transform_input_iterator_tIbNSD_35transform_pair_of_input_iterators_tIbNS6_6detail15normal_iteratorINS6_10device_ptrIKsEEEESL_NS6_8equal_toIsEEEENSG_9not_fun_tINSD_8identityEEEEENSD_19counting_iterator_tIlEES8_S8_S8_S8_S8_S8_S8_S8_EEEEPS9_S9_NSD_9__find_if7functorIS9_EEEE10hipError_tPvRmT1_T2_T3_mT4_P12ihipStream_tbEUlT_E1_NS1_11comp_targetILNS1_3genE8ELNS1_11target_archE1030ELNS1_3gpuE2ELNS1_3repE0EEENS1_30default_config_static_selectorELNS0_4arch9wavefront6targetE0EEEvS14_.num_named_barrier, 0
	.set _ZN7rocprim17ROCPRIM_400000_NS6detail17trampoline_kernelINS0_14default_configENS1_22reduce_config_selectorIN6thrust23THRUST_200600_302600_NS5tupleIblNS6_9null_typeES8_S8_S8_S8_S8_S8_S8_EEEEZNS1_11reduce_implILb1ES3_NS6_12zip_iteratorINS7_INS6_11hip_rocprim26transform_input_iterator_tIbNSD_35transform_pair_of_input_iterators_tIbNS6_6detail15normal_iteratorINS6_10device_ptrIKsEEEESL_NS6_8equal_toIsEEEENSG_9not_fun_tINSD_8identityEEEEENSD_19counting_iterator_tIlEES8_S8_S8_S8_S8_S8_S8_S8_EEEEPS9_S9_NSD_9__find_if7functorIS9_EEEE10hipError_tPvRmT1_T2_T3_mT4_P12ihipStream_tbEUlT_E1_NS1_11comp_targetILNS1_3genE8ELNS1_11target_archE1030ELNS1_3gpuE2ELNS1_3repE0EEENS1_30default_config_static_selectorELNS0_4arch9wavefront6targetE0EEEvS14_.private_seg_size, 0
	.set _ZN7rocprim17ROCPRIM_400000_NS6detail17trampoline_kernelINS0_14default_configENS1_22reduce_config_selectorIN6thrust23THRUST_200600_302600_NS5tupleIblNS6_9null_typeES8_S8_S8_S8_S8_S8_S8_EEEEZNS1_11reduce_implILb1ES3_NS6_12zip_iteratorINS7_INS6_11hip_rocprim26transform_input_iterator_tIbNSD_35transform_pair_of_input_iterators_tIbNS6_6detail15normal_iteratorINS6_10device_ptrIKsEEEESL_NS6_8equal_toIsEEEENSG_9not_fun_tINSD_8identityEEEEENSD_19counting_iterator_tIlEES8_S8_S8_S8_S8_S8_S8_S8_EEEEPS9_S9_NSD_9__find_if7functorIS9_EEEE10hipError_tPvRmT1_T2_T3_mT4_P12ihipStream_tbEUlT_E1_NS1_11comp_targetILNS1_3genE8ELNS1_11target_archE1030ELNS1_3gpuE2ELNS1_3repE0EEENS1_30default_config_static_selectorELNS0_4arch9wavefront6targetE0EEEvS14_.uses_vcc, 1
	.set _ZN7rocprim17ROCPRIM_400000_NS6detail17trampoline_kernelINS0_14default_configENS1_22reduce_config_selectorIN6thrust23THRUST_200600_302600_NS5tupleIblNS6_9null_typeES8_S8_S8_S8_S8_S8_S8_EEEEZNS1_11reduce_implILb1ES3_NS6_12zip_iteratorINS7_INS6_11hip_rocprim26transform_input_iterator_tIbNSD_35transform_pair_of_input_iterators_tIbNS6_6detail15normal_iteratorINS6_10device_ptrIKsEEEESL_NS6_8equal_toIsEEEENSG_9not_fun_tINSD_8identityEEEEENSD_19counting_iterator_tIlEES8_S8_S8_S8_S8_S8_S8_S8_EEEEPS9_S9_NSD_9__find_if7functorIS9_EEEE10hipError_tPvRmT1_T2_T3_mT4_P12ihipStream_tbEUlT_E1_NS1_11comp_targetILNS1_3genE8ELNS1_11target_archE1030ELNS1_3gpuE2ELNS1_3repE0EEENS1_30default_config_static_selectorELNS0_4arch9wavefront6targetE0EEEvS14_.uses_flat_scratch, 0
	.set _ZN7rocprim17ROCPRIM_400000_NS6detail17trampoline_kernelINS0_14default_configENS1_22reduce_config_selectorIN6thrust23THRUST_200600_302600_NS5tupleIblNS6_9null_typeES8_S8_S8_S8_S8_S8_S8_EEEEZNS1_11reduce_implILb1ES3_NS6_12zip_iteratorINS7_INS6_11hip_rocprim26transform_input_iterator_tIbNSD_35transform_pair_of_input_iterators_tIbNS6_6detail15normal_iteratorINS6_10device_ptrIKsEEEESL_NS6_8equal_toIsEEEENSG_9not_fun_tINSD_8identityEEEEENSD_19counting_iterator_tIlEES8_S8_S8_S8_S8_S8_S8_S8_EEEEPS9_S9_NSD_9__find_if7functorIS9_EEEE10hipError_tPvRmT1_T2_T3_mT4_P12ihipStream_tbEUlT_E1_NS1_11comp_targetILNS1_3genE8ELNS1_11target_archE1030ELNS1_3gpuE2ELNS1_3repE0EEENS1_30default_config_static_selectorELNS0_4arch9wavefront6targetE0EEEvS14_.has_dyn_sized_stack, 0
	.set _ZN7rocprim17ROCPRIM_400000_NS6detail17trampoline_kernelINS0_14default_configENS1_22reduce_config_selectorIN6thrust23THRUST_200600_302600_NS5tupleIblNS6_9null_typeES8_S8_S8_S8_S8_S8_S8_EEEEZNS1_11reduce_implILb1ES3_NS6_12zip_iteratorINS7_INS6_11hip_rocprim26transform_input_iterator_tIbNSD_35transform_pair_of_input_iterators_tIbNS6_6detail15normal_iteratorINS6_10device_ptrIKsEEEESL_NS6_8equal_toIsEEEENSG_9not_fun_tINSD_8identityEEEEENSD_19counting_iterator_tIlEES8_S8_S8_S8_S8_S8_S8_S8_EEEEPS9_S9_NSD_9__find_if7functorIS9_EEEE10hipError_tPvRmT1_T2_T3_mT4_P12ihipStream_tbEUlT_E1_NS1_11comp_targetILNS1_3genE8ELNS1_11target_archE1030ELNS1_3gpuE2ELNS1_3repE0EEENS1_30default_config_static_selectorELNS0_4arch9wavefront6targetE0EEEvS14_.has_recursion, 0
	.set _ZN7rocprim17ROCPRIM_400000_NS6detail17trampoline_kernelINS0_14default_configENS1_22reduce_config_selectorIN6thrust23THRUST_200600_302600_NS5tupleIblNS6_9null_typeES8_S8_S8_S8_S8_S8_S8_EEEEZNS1_11reduce_implILb1ES3_NS6_12zip_iteratorINS7_INS6_11hip_rocprim26transform_input_iterator_tIbNSD_35transform_pair_of_input_iterators_tIbNS6_6detail15normal_iteratorINS6_10device_ptrIKsEEEESL_NS6_8equal_toIsEEEENSG_9not_fun_tINSD_8identityEEEEENSD_19counting_iterator_tIlEES8_S8_S8_S8_S8_S8_S8_S8_EEEEPS9_S9_NSD_9__find_if7functorIS9_EEEE10hipError_tPvRmT1_T2_T3_mT4_P12ihipStream_tbEUlT_E1_NS1_11comp_targetILNS1_3genE8ELNS1_11target_archE1030ELNS1_3gpuE2ELNS1_3repE0EEENS1_30default_config_static_selectorELNS0_4arch9wavefront6targetE0EEEvS14_.has_indirect_call, 0
	.section	.AMDGPU.csdata,"",@progbits
; Kernel info:
; codeLenInByte = 14768
; TotalNumSgprs: 34
; NumVgprs: 27
; ScratchSize: 0
; MemoryBound: 0
; FloatMode: 240
; IeeeMode: 1
; LDSByteSize: 640 bytes/workgroup (compile time only)
; SGPRBlocks: 0
; VGPRBlocks: 3
; NumSGPRsForWavesPerEU: 34
; NumVGPRsForWavesPerEU: 27
; Occupancy: 16
; WaveLimiterHint : 0
; COMPUTE_PGM_RSRC2:SCRATCH_EN: 0
; COMPUTE_PGM_RSRC2:USER_SGPR: 6
; COMPUTE_PGM_RSRC2:TRAP_HANDLER: 0
; COMPUTE_PGM_RSRC2:TGID_X_EN: 1
; COMPUTE_PGM_RSRC2:TGID_Y_EN: 0
; COMPUTE_PGM_RSRC2:TGID_Z_EN: 0
; COMPUTE_PGM_RSRC2:TIDIG_COMP_CNT: 0
	.section	.text._ZN7rocprim17ROCPRIM_400000_NS6detail44device_merge_sort_compile_time_verifier_archINS1_11comp_targetILNS1_3genE0ELNS1_11target_archE4294967295ELNS1_3gpuE0ELNS1_3repE0EEES8_NS0_14default_configES9_NS1_37merge_sort_block_sort_config_selectorImNS0_10empty_typeEEENS1_38merge_sort_block_merge_config_selectorImSB_EEEEvv,"axG",@progbits,_ZN7rocprim17ROCPRIM_400000_NS6detail44device_merge_sort_compile_time_verifier_archINS1_11comp_targetILNS1_3genE0ELNS1_11target_archE4294967295ELNS1_3gpuE0ELNS1_3repE0EEES8_NS0_14default_configES9_NS1_37merge_sort_block_sort_config_selectorImNS0_10empty_typeEEENS1_38merge_sort_block_merge_config_selectorImSB_EEEEvv,comdat
	.protected	_ZN7rocprim17ROCPRIM_400000_NS6detail44device_merge_sort_compile_time_verifier_archINS1_11comp_targetILNS1_3genE0ELNS1_11target_archE4294967295ELNS1_3gpuE0ELNS1_3repE0EEES8_NS0_14default_configES9_NS1_37merge_sort_block_sort_config_selectorImNS0_10empty_typeEEENS1_38merge_sort_block_merge_config_selectorImSB_EEEEvv ; -- Begin function _ZN7rocprim17ROCPRIM_400000_NS6detail44device_merge_sort_compile_time_verifier_archINS1_11comp_targetILNS1_3genE0ELNS1_11target_archE4294967295ELNS1_3gpuE0ELNS1_3repE0EEES8_NS0_14default_configES9_NS1_37merge_sort_block_sort_config_selectorImNS0_10empty_typeEEENS1_38merge_sort_block_merge_config_selectorImSB_EEEEvv
	.globl	_ZN7rocprim17ROCPRIM_400000_NS6detail44device_merge_sort_compile_time_verifier_archINS1_11comp_targetILNS1_3genE0ELNS1_11target_archE4294967295ELNS1_3gpuE0ELNS1_3repE0EEES8_NS0_14default_configES9_NS1_37merge_sort_block_sort_config_selectorImNS0_10empty_typeEEENS1_38merge_sort_block_merge_config_selectorImSB_EEEEvv
	.p2align	8
	.type	_ZN7rocprim17ROCPRIM_400000_NS6detail44device_merge_sort_compile_time_verifier_archINS1_11comp_targetILNS1_3genE0ELNS1_11target_archE4294967295ELNS1_3gpuE0ELNS1_3repE0EEES8_NS0_14default_configES9_NS1_37merge_sort_block_sort_config_selectorImNS0_10empty_typeEEENS1_38merge_sort_block_merge_config_selectorImSB_EEEEvv,@function
_ZN7rocprim17ROCPRIM_400000_NS6detail44device_merge_sort_compile_time_verifier_archINS1_11comp_targetILNS1_3genE0ELNS1_11target_archE4294967295ELNS1_3gpuE0ELNS1_3repE0EEES8_NS0_14default_configES9_NS1_37merge_sort_block_sort_config_selectorImNS0_10empty_typeEEENS1_38merge_sort_block_merge_config_selectorImSB_EEEEvv: ; @_ZN7rocprim17ROCPRIM_400000_NS6detail44device_merge_sort_compile_time_verifier_archINS1_11comp_targetILNS1_3genE0ELNS1_11target_archE4294967295ELNS1_3gpuE0ELNS1_3repE0EEES8_NS0_14default_configES9_NS1_37merge_sort_block_sort_config_selectorImNS0_10empty_typeEEENS1_38merge_sort_block_merge_config_selectorImSB_EEEEvv
; %bb.0:
	s_endpgm
	.section	.rodata,"a",@progbits
	.p2align	6, 0x0
	.amdhsa_kernel _ZN7rocprim17ROCPRIM_400000_NS6detail44device_merge_sort_compile_time_verifier_archINS1_11comp_targetILNS1_3genE0ELNS1_11target_archE4294967295ELNS1_3gpuE0ELNS1_3repE0EEES8_NS0_14default_configES9_NS1_37merge_sort_block_sort_config_selectorImNS0_10empty_typeEEENS1_38merge_sort_block_merge_config_selectorImSB_EEEEvv
		.amdhsa_group_segment_fixed_size 0
		.amdhsa_private_segment_fixed_size 0
		.amdhsa_kernarg_size 0
		.amdhsa_user_sgpr_count 4
		.amdhsa_user_sgpr_private_segment_buffer 1
		.amdhsa_user_sgpr_dispatch_ptr 0
		.amdhsa_user_sgpr_queue_ptr 0
		.amdhsa_user_sgpr_kernarg_segment_ptr 0
		.amdhsa_user_sgpr_dispatch_id 0
		.amdhsa_user_sgpr_flat_scratch_init 0
		.amdhsa_user_sgpr_private_segment_size 0
		.amdhsa_wavefront_size32 1
		.amdhsa_uses_dynamic_stack 0
		.amdhsa_system_sgpr_private_segment_wavefront_offset 0
		.amdhsa_system_sgpr_workgroup_id_x 1
		.amdhsa_system_sgpr_workgroup_id_y 0
		.amdhsa_system_sgpr_workgroup_id_z 0
		.amdhsa_system_sgpr_workgroup_info 0
		.amdhsa_system_vgpr_workitem_id 0
		.amdhsa_next_free_vgpr 1
		.amdhsa_next_free_sgpr 1
		.amdhsa_reserve_vcc 0
		.amdhsa_reserve_flat_scratch 0
		.amdhsa_float_round_mode_32 0
		.amdhsa_float_round_mode_16_64 0
		.amdhsa_float_denorm_mode_32 3
		.amdhsa_float_denorm_mode_16_64 3
		.amdhsa_dx10_clamp 1
		.amdhsa_ieee_mode 1
		.amdhsa_fp16_overflow 0
		.amdhsa_workgroup_processor_mode 1
		.amdhsa_memory_ordered 1
		.amdhsa_forward_progress 1
		.amdhsa_shared_vgpr_count 0
		.amdhsa_exception_fp_ieee_invalid_op 0
		.amdhsa_exception_fp_denorm_src 0
		.amdhsa_exception_fp_ieee_div_zero 0
		.amdhsa_exception_fp_ieee_overflow 0
		.amdhsa_exception_fp_ieee_underflow 0
		.amdhsa_exception_fp_ieee_inexact 0
		.amdhsa_exception_int_div_zero 0
	.end_amdhsa_kernel
	.section	.text._ZN7rocprim17ROCPRIM_400000_NS6detail44device_merge_sort_compile_time_verifier_archINS1_11comp_targetILNS1_3genE0ELNS1_11target_archE4294967295ELNS1_3gpuE0ELNS1_3repE0EEES8_NS0_14default_configES9_NS1_37merge_sort_block_sort_config_selectorImNS0_10empty_typeEEENS1_38merge_sort_block_merge_config_selectorImSB_EEEEvv,"axG",@progbits,_ZN7rocprim17ROCPRIM_400000_NS6detail44device_merge_sort_compile_time_verifier_archINS1_11comp_targetILNS1_3genE0ELNS1_11target_archE4294967295ELNS1_3gpuE0ELNS1_3repE0EEES8_NS0_14default_configES9_NS1_37merge_sort_block_sort_config_selectorImNS0_10empty_typeEEENS1_38merge_sort_block_merge_config_selectorImSB_EEEEvv,comdat
.Lfunc_end599:
	.size	_ZN7rocprim17ROCPRIM_400000_NS6detail44device_merge_sort_compile_time_verifier_archINS1_11comp_targetILNS1_3genE0ELNS1_11target_archE4294967295ELNS1_3gpuE0ELNS1_3repE0EEES8_NS0_14default_configES9_NS1_37merge_sort_block_sort_config_selectorImNS0_10empty_typeEEENS1_38merge_sort_block_merge_config_selectorImSB_EEEEvv, .Lfunc_end599-_ZN7rocprim17ROCPRIM_400000_NS6detail44device_merge_sort_compile_time_verifier_archINS1_11comp_targetILNS1_3genE0ELNS1_11target_archE4294967295ELNS1_3gpuE0ELNS1_3repE0EEES8_NS0_14default_configES9_NS1_37merge_sort_block_sort_config_selectorImNS0_10empty_typeEEENS1_38merge_sort_block_merge_config_selectorImSB_EEEEvv
                                        ; -- End function
	.set _ZN7rocprim17ROCPRIM_400000_NS6detail44device_merge_sort_compile_time_verifier_archINS1_11comp_targetILNS1_3genE0ELNS1_11target_archE4294967295ELNS1_3gpuE0ELNS1_3repE0EEES8_NS0_14default_configES9_NS1_37merge_sort_block_sort_config_selectorImNS0_10empty_typeEEENS1_38merge_sort_block_merge_config_selectorImSB_EEEEvv.num_vgpr, 0
	.set _ZN7rocprim17ROCPRIM_400000_NS6detail44device_merge_sort_compile_time_verifier_archINS1_11comp_targetILNS1_3genE0ELNS1_11target_archE4294967295ELNS1_3gpuE0ELNS1_3repE0EEES8_NS0_14default_configES9_NS1_37merge_sort_block_sort_config_selectorImNS0_10empty_typeEEENS1_38merge_sort_block_merge_config_selectorImSB_EEEEvv.num_agpr, 0
	.set _ZN7rocprim17ROCPRIM_400000_NS6detail44device_merge_sort_compile_time_verifier_archINS1_11comp_targetILNS1_3genE0ELNS1_11target_archE4294967295ELNS1_3gpuE0ELNS1_3repE0EEES8_NS0_14default_configES9_NS1_37merge_sort_block_sort_config_selectorImNS0_10empty_typeEEENS1_38merge_sort_block_merge_config_selectorImSB_EEEEvv.numbered_sgpr, 0
	.set _ZN7rocprim17ROCPRIM_400000_NS6detail44device_merge_sort_compile_time_verifier_archINS1_11comp_targetILNS1_3genE0ELNS1_11target_archE4294967295ELNS1_3gpuE0ELNS1_3repE0EEES8_NS0_14default_configES9_NS1_37merge_sort_block_sort_config_selectorImNS0_10empty_typeEEENS1_38merge_sort_block_merge_config_selectorImSB_EEEEvv.num_named_barrier, 0
	.set _ZN7rocprim17ROCPRIM_400000_NS6detail44device_merge_sort_compile_time_verifier_archINS1_11comp_targetILNS1_3genE0ELNS1_11target_archE4294967295ELNS1_3gpuE0ELNS1_3repE0EEES8_NS0_14default_configES9_NS1_37merge_sort_block_sort_config_selectorImNS0_10empty_typeEEENS1_38merge_sort_block_merge_config_selectorImSB_EEEEvv.private_seg_size, 0
	.set _ZN7rocprim17ROCPRIM_400000_NS6detail44device_merge_sort_compile_time_verifier_archINS1_11comp_targetILNS1_3genE0ELNS1_11target_archE4294967295ELNS1_3gpuE0ELNS1_3repE0EEES8_NS0_14default_configES9_NS1_37merge_sort_block_sort_config_selectorImNS0_10empty_typeEEENS1_38merge_sort_block_merge_config_selectorImSB_EEEEvv.uses_vcc, 0
	.set _ZN7rocprim17ROCPRIM_400000_NS6detail44device_merge_sort_compile_time_verifier_archINS1_11comp_targetILNS1_3genE0ELNS1_11target_archE4294967295ELNS1_3gpuE0ELNS1_3repE0EEES8_NS0_14default_configES9_NS1_37merge_sort_block_sort_config_selectorImNS0_10empty_typeEEENS1_38merge_sort_block_merge_config_selectorImSB_EEEEvv.uses_flat_scratch, 0
	.set _ZN7rocprim17ROCPRIM_400000_NS6detail44device_merge_sort_compile_time_verifier_archINS1_11comp_targetILNS1_3genE0ELNS1_11target_archE4294967295ELNS1_3gpuE0ELNS1_3repE0EEES8_NS0_14default_configES9_NS1_37merge_sort_block_sort_config_selectorImNS0_10empty_typeEEENS1_38merge_sort_block_merge_config_selectorImSB_EEEEvv.has_dyn_sized_stack, 0
	.set _ZN7rocprim17ROCPRIM_400000_NS6detail44device_merge_sort_compile_time_verifier_archINS1_11comp_targetILNS1_3genE0ELNS1_11target_archE4294967295ELNS1_3gpuE0ELNS1_3repE0EEES8_NS0_14default_configES9_NS1_37merge_sort_block_sort_config_selectorImNS0_10empty_typeEEENS1_38merge_sort_block_merge_config_selectorImSB_EEEEvv.has_recursion, 0
	.set _ZN7rocprim17ROCPRIM_400000_NS6detail44device_merge_sort_compile_time_verifier_archINS1_11comp_targetILNS1_3genE0ELNS1_11target_archE4294967295ELNS1_3gpuE0ELNS1_3repE0EEES8_NS0_14default_configES9_NS1_37merge_sort_block_sort_config_selectorImNS0_10empty_typeEEENS1_38merge_sort_block_merge_config_selectorImSB_EEEEvv.has_indirect_call, 0
	.section	.AMDGPU.csdata,"",@progbits
; Kernel info:
; codeLenInByte = 4
; TotalNumSgprs: 0
; NumVgprs: 0
; ScratchSize: 0
; MemoryBound: 0
; FloatMode: 240
; IeeeMode: 1
; LDSByteSize: 0 bytes/workgroup (compile time only)
; SGPRBlocks: 0
; VGPRBlocks: 0
; NumSGPRsForWavesPerEU: 1
; NumVGPRsForWavesPerEU: 1
; Occupancy: 16
; WaveLimiterHint : 0
; COMPUTE_PGM_RSRC2:SCRATCH_EN: 0
; COMPUTE_PGM_RSRC2:USER_SGPR: 4
; COMPUTE_PGM_RSRC2:TRAP_HANDLER: 0
; COMPUTE_PGM_RSRC2:TGID_X_EN: 1
; COMPUTE_PGM_RSRC2:TGID_Y_EN: 0
; COMPUTE_PGM_RSRC2:TGID_Z_EN: 0
; COMPUTE_PGM_RSRC2:TIDIG_COMP_CNT: 0
	.section	.text._ZN7rocprim17ROCPRIM_400000_NS6detail44device_merge_sort_compile_time_verifier_archINS1_11comp_targetILNS1_3genE5ELNS1_11target_archE942ELNS1_3gpuE9ELNS1_3repE0EEES8_NS0_14default_configES9_NS1_37merge_sort_block_sort_config_selectorImNS0_10empty_typeEEENS1_38merge_sort_block_merge_config_selectorImSB_EEEEvv,"axG",@progbits,_ZN7rocprim17ROCPRIM_400000_NS6detail44device_merge_sort_compile_time_verifier_archINS1_11comp_targetILNS1_3genE5ELNS1_11target_archE942ELNS1_3gpuE9ELNS1_3repE0EEES8_NS0_14default_configES9_NS1_37merge_sort_block_sort_config_selectorImNS0_10empty_typeEEENS1_38merge_sort_block_merge_config_selectorImSB_EEEEvv,comdat
	.protected	_ZN7rocprim17ROCPRIM_400000_NS6detail44device_merge_sort_compile_time_verifier_archINS1_11comp_targetILNS1_3genE5ELNS1_11target_archE942ELNS1_3gpuE9ELNS1_3repE0EEES8_NS0_14default_configES9_NS1_37merge_sort_block_sort_config_selectorImNS0_10empty_typeEEENS1_38merge_sort_block_merge_config_selectorImSB_EEEEvv ; -- Begin function _ZN7rocprim17ROCPRIM_400000_NS6detail44device_merge_sort_compile_time_verifier_archINS1_11comp_targetILNS1_3genE5ELNS1_11target_archE942ELNS1_3gpuE9ELNS1_3repE0EEES8_NS0_14default_configES9_NS1_37merge_sort_block_sort_config_selectorImNS0_10empty_typeEEENS1_38merge_sort_block_merge_config_selectorImSB_EEEEvv
	.globl	_ZN7rocprim17ROCPRIM_400000_NS6detail44device_merge_sort_compile_time_verifier_archINS1_11comp_targetILNS1_3genE5ELNS1_11target_archE942ELNS1_3gpuE9ELNS1_3repE0EEES8_NS0_14default_configES9_NS1_37merge_sort_block_sort_config_selectorImNS0_10empty_typeEEENS1_38merge_sort_block_merge_config_selectorImSB_EEEEvv
	.p2align	8
	.type	_ZN7rocprim17ROCPRIM_400000_NS6detail44device_merge_sort_compile_time_verifier_archINS1_11comp_targetILNS1_3genE5ELNS1_11target_archE942ELNS1_3gpuE9ELNS1_3repE0EEES8_NS0_14default_configES9_NS1_37merge_sort_block_sort_config_selectorImNS0_10empty_typeEEENS1_38merge_sort_block_merge_config_selectorImSB_EEEEvv,@function
_ZN7rocprim17ROCPRIM_400000_NS6detail44device_merge_sort_compile_time_verifier_archINS1_11comp_targetILNS1_3genE5ELNS1_11target_archE942ELNS1_3gpuE9ELNS1_3repE0EEES8_NS0_14default_configES9_NS1_37merge_sort_block_sort_config_selectorImNS0_10empty_typeEEENS1_38merge_sort_block_merge_config_selectorImSB_EEEEvv: ; @_ZN7rocprim17ROCPRIM_400000_NS6detail44device_merge_sort_compile_time_verifier_archINS1_11comp_targetILNS1_3genE5ELNS1_11target_archE942ELNS1_3gpuE9ELNS1_3repE0EEES8_NS0_14default_configES9_NS1_37merge_sort_block_sort_config_selectorImNS0_10empty_typeEEENS1_38merge_sort_block_merge_config_selectorImSB_EEEEvv
; %bb.0:
	s_endpgm
	.section	.rodata,"a",@progbits
	.p2align	6, 0x0
	.amdhsa_kernel _ZN7rocprim17ROCPRIM_400000_NS6detail44device_merge_sort_compile_time_verifier_archINS1_11comp_targetILNS1_3genE5ELNS1_11target_archE942ELNS1_3gpuE9ELNS1_3repE0EEES8_NS0_14default_configES9_NS1_37merge_sort_block_sort_config_selectorImNS0_10empty_typeEEENS1_38merge_sort_block_merge_config_selectorImSB_EEEEvv
		.amdhsa_group_segment_fixed_size 0
		.amdhsa_private_segment_fixed_size 0
		.amdhsa_kernarg_size 0
		.amdhsa_user_sgpr_count 4
		.amdhsa_user_sgpr_private_segment_buffer 1
		.amdhsa_user_sgpr_dispatch_ptr 0
		.amdhsa_user_sgpr_queue_ptr 0
		.amdhsa_user_sgpr_kernarg_segment_ptr 0
		.amdhsa_user_sgpr_dispatch_id 0
		.amdhsa_user_sgpr_flat_scratch_init 0
		.amdhsa_user_sgpr_private_segment_size 0
		.amdhsa_wavefront_size32 1
		.amdhsa_uses_dynamic_stack 0
		.amdhsa_system_sgpr_private_segment_wavefront_offset 0
		.amdhsa_system_sgpr_workgroup_id_x 1
		.amdhsa_system_sgpr_workgroup_id_y 0
		.amdhsa_system_sgpr_workgroup_id_z 0
		.amdhsa_system_sgpr_workgroup_info 0
		.amdhsa_system_vgpr_workitem_id 0
		.amdhsa_next_free_vgpr 1
		.amdhsa_next_free_sgpr 1
		.amdhsa_reserve_vcc 0
		.amdhsa_reserve_flat_scratch 0
		.amdhsa_float_round_mode_32 0
		.amdhsa_float_round_mode_16_64 0
		.amdhsa_float_denorm_mode_32 3
		.amdhsa_float_denorm_mode_16_64 3
		.amdhsa_dx10_clamp 1
		.amdhsa_ieee_mode 1
		.amdhsa_fp16_overflow 0
		.amdhsa_workgroup_processor_mode 1
		.amdhsa_memory_ordered 1
		.amdhsa_forward_progress 1
		.amdhsa_shared_vgpr_count 0
		.amdhsa_exception_fp_ieee_invalid_op 0
		.amdhsa_exception_fp_denorm_src 0
		.amdhsa_exception_fp_ieee_div_zero 0
		.amdhsa_exception_fp_ieee_overflow 0
		.amdhsa_exception_fp_ieee_underflow 0
		.amdhsa_exception_fp_ieee_inexact 0
		.amdhsa_exception_int_div_zero 0
	.end_amdhsa_kernel
	.section	.text._ZN7rocprim17ROCPRIM_400000_NS6detail44device_merge_sort_compile_time_verifier_archINS1_11comp_targetILNS1_3genE5ELNS1_11target_archE942ELNS1_3gpuE9ELNS1_3repE0EEES8_NS0_14default_configES9_NS1_37merge_sort_block_sort_config_selectorImNS0_10empty_typeEEENS1_38merge_sort_block_merge_config_selectorImSB_EEEEvv,"axG",@progbits,_ZN7rocprim17ROCPRIM_400000_NS6detail44device_merge_sort_compile_time_verifier_archINS1_11comp_targetILNS1_3genE5ELNS1_11target_archE942ELNS1_3gpuE9ELNS1_3repE0EEES8_NS0_14default_configES9_NS1_37merge_sort_block_sort_config_selectorImNS0_10empty_typeEEENS1_38merge_sort_block_merge_config_selectorImSB_EEEEvv,comdat
.Lfunc_end600:
	.size	_ZN7rocprim17ROCPRIM_400000_NS6detail44device_merge_sort_compile_time_verifier_archINS1_11comp_targetILNS1_3genE5ELNS1_11target_archE942ELNS1_3gpuE9ELNS1_3repE0EEES8_NS0_14default_configES9_NS1_37merge_sort_block_sort_config_selectorImNS0_10empty_typeEEENS1_38merge_sort_block_merge_config_selectorImSB_EEEEvv, .Lfunc_end600-_ZN7rocprim17ROCPRIM_400000_NS6detail44device_merge_sort_compile_time_verifier_archINS1_11comp_targetILNS1_3genE5ELNS1_11target_archE942ELNS1_3gpuE9ELNS1_3repE0EEES8_NS0_14default_configES9_NS1_37merge_sort_block_sort_config_selectorImNS0_10empty_typeEEENS1_38merge_sort_block_merge_config_selectorImSB_EEEEvv
                                        ; -- End function
	.set _ZN7rocprim17ROCPRIM_400000_NS6detail44device_merge_sort_compile_time_verifier_archINS1_11comp_targetILNS1_3genE5ELNS1_11target_archE942ELNS1_3gpuE9ELNS1_3repE0EEES8_NS0_14default_configES9_NS1_37merge_sort_block_sort_config_selectorImNS0_10empty_typeEEENS1_38merge_sort_block_merge_config_selectorImSB_EEEEvv.num_vgpr, 0
	.set _ZN7rocprim17ROCPRIM_400000_NS6detail44device_merge_sort_compile_time_verifier_archINS1_11comp_targetILNS1_3genE5ELNS1_11target_archE942ELNS1_3gpuE9ELNS1_3repE0EEES8_NS0_14default_configES9_NS1_37merge_sort_block_sort_config_selectorImNS0_10empty_typeEEENS1_38merge_sort_block_merge_config_selectorImSB_EEEEvv.num_agpr, 0
	.set _ZN7rocprim17ROCPRIM_400000_NS6detail44device_merge_sort_compile_time_verifier_archINS1_11comp_targetILNS1_3genE5ELNS1_11target_archE942ELNS1_3gpuE9ELNS1_3repE0EEES8_NS0_14default_configES9_NS1_37merge_sort_block_sort_config_selectorImNS0_10empty_typeEEENS1_38merge_sort_block_merge_config_selectorImSB_EEEEvv.numbered_sgpr, 0
	.set _ZN7rocprim17ROCPRIM_400000_NS6detail44device_merge_sort_compile_time_verifier_archINS1_11comp_targetILNS1_3genE5ELNS1_11target_archE942ELNS1_3gpuE9ELNS1_3repE0EEES8_NS0_14default_configES9_NS1_37merge_sort_block_sort_config_selectorImNS0_10empty_typeEEENS1_38merge_sort_block_merge_config_selectorImSB_EEEEvv.num_named_barrier, 0
	.set _ZN7rocprim17ROCPRIM_400000_NS6detail44device_merge_sort_compile_time_verifier_archINS1_11comp_targetILNS1_3genE5ELNS1_11target_archE942ELNS1_3gpuE9ELNS1_3repE0EEES8_NS0_14default_configES9_NS1_37merge_sort_block_sort_config_selectorImNS0_10empty_typeEEENS1_38merge_sort_block_merge_config_selectorImSB_EEEEvv.private_seg_size, 0
	.set _ZN7rocprim17ROCPRIM_400000_NS6detail44device_merge_sort_compile_time_verifier_archINS1_11comp_targetILNS1_3genE5ELNS1_11target_archE942ELNS1_3gpuE9ELNS1_3repE0EEES8_NS0_14default_configES9_NS1_37merge_sort_block_sort_config_selectorImNS0_10empty_typeEEENS1_38merge_sort_block_merge_config_selectorImSB_EEEEvv.uses_vcc, 0
	.set _ZN7rocprim17ROCPRIM_400000_NS6detail44device_merge_sort_compile_time_verifier_archINS1_11comp_targetILNS1_3genE5ELNS1_11target_archE942ELNS1_3gpuE9ELNS1_3repE0EEES8_NS0_14default_configES9_NS1_37merge_sort_block_sort_config_selectorImNS0_10empty_typeEEENS1_38merge_sort_block_merge_config_selectorImSB_EEEEvv.uses_flat_scratch, 0
	.set _ZN7rocprim17ROCPRIM_400000_NS6detail44device_merge_sort_compile_time_verifier_archINS1_11comp_targetILNS1_3genE5ELNS1_11target_archE942ELNS1_3gpuE9ELNS1_3repE0EEES8_NS0_14default_configES9_NS1_37merge_sort_block_sort_config_selectorImNS0_10empty_typeEEENS1_38merge_sort_block_merge_config_selectorImSB_EEEEvv.has_dyn_sized_stack, 0
	.set _ZN7rocprim17ROCPRIM_400000_NS6detail44device_merge_sort_compile_time_verifier_archINS1_11comp_targetILNS1_3genE5ELNS1_11target_archE942ELNS1_3gpuE9ELNS1_3repE0EEES8_NS0_14default_configES9_NS1_37merge_sort_block_sort_config_selectorImNS0_10empty_typeEEENS1_38merge_sort_block_merge_config_selectorImSB_EEEEvv.has_recursion, 0
	.set _ZN7rocprim17ROCPRIM_400000_NS6detail44device_merge_sort_compile_time_verifier_archINS1_11comp_targetILNS1_3genE5ELNS1_11target_archE942ELNS1_3gpuE9ELNS1_3repE0EEES8_NS0_14default_configES9_NS1_37merge_sort_block_sort_config_selectorImNS0_10empty_typeEEENS1_38merge_sort_block_merge_config_selectorImSB_EEEEvv.has_indirect_call, 0
	.section	.AMDGPU.csdata,"",@progbits
; Kernel info:
; codeLenInByte = 4
; TotalNumSgprs: 0
; NumVgprs: 0
; ScratchSize: 0
; MemoryBound: 0
; FloatMode: 240
; IeeeMode: 1
; LDSByteSize: 0 bytes/workgroup (compile time only)
; SGPRBlocks: 0
; VGPRBlocks: 0
; NumSGPRsForWavesPerEU: 1
; NumVGPRsForWavesPerEU: 1
; Occupancy: 16
; WaveLimiterHint : 0
; COMPUTE_PGM_RSRC2:SCRATCH_EN: 0
; COMPUTE_PGM_RSRC2:USER_SGPR: 4
; COMPUTE_PGM_RSRC2:TRAP_HANDLER: 0
; COMPUTE_PGM_RSRC2:TGID_X_EN: 1
; COMPUTE_PGM_RSRC2:TGID_Y_EN: 0
; COMPUTE_PGM_RSRC2:TGID_Z_EN: 0
; COMPUTE_PGM_RSRC2:TIDIG_COMP_CNT: 0
	.section	.text._ZN7rocprim17ROCPRIM_400000_NS6detail44device_merge_sort_compile_time_verifier_archINS1_11comp_targetILNS1_3genE4ELNS1_11target_archE910ELNS1_3gpuE8ELNS1_3repE0EEES8_NS0_14default_configES9_NS1_37merge_sort_block_sort_config_selectorImNS0_10empty_typeEEENS1_38merge_sort_block_merge_config_selectorImSB_EEEEvv,"axG",@progbits,_ZN7rocprim17ROCPRIM_400000_NS6detail44device_merge_sort_compile_time_verifier_archINS1_11comp_targetILNS1_3genE4ELNS1_11target_archE910ELNS1_3gpuE8ELNS1_3repE0EEES8_NS0_14default_configES9_NS1_37merge_sort_block_sort_config_selectorImNS0_10empty_typeEEENS1_38merge_sort_block_merge_config_selectorImSB_EEEEvv,comdat
	.protected	_ZN7rocprim17ROCPRIM_400000_NS6detail44device_merge_sort_compile_time_verifier_archINS1_11comp_targetILNS1_3genE4ELNS1_11target_archE910ELNS1_3gpuE8ELNS1_3repE0EEES8_NS0_14default_configES9_NS1_37merge_sort_block_sort_config_selectorImNS0_10empty_typeEEENS1_38merge_sort_block_merge_config_selectorImSB_EEEEvv ; -- Begin function _ZN7rocprim17ROCPRIM_400000_NS6detail44device_merge_sort_compile_time_verifier_archINS1_11comp_targetILNS1_3genE4ELNS1_11target_archE910ELNS1_3gpuE8ELNS1_3repE0EEES8_NS0_14default_configES9_NS1_37merge_sort_block_sort_config_selectorImNS0_10empty_typeEEENS1_38merge_sort_block_merge_config_selectorImSB_EEEEvv
	.globl	_ZN7rocprim17ROCPRIM_400000_NS6detail44device_merge_sort_compile_time_verifier_archINS1_11comp_targetILNS1_3genE4ELNS1_11target_archE910ELNS1_3gpuE8ELNS1_3repE0EEES8_NS0_14default_configES9_NS1_37merge_sort_block_sort_config_selectorImNS0_10empty_typeEEENS1_38merge_sort_block_merge_config_selectorImSB_EEEEvv
	.p2align	8
	.type	_ZN7rocprim17ROCPRIM_400000_NS6detail44device_merge_sort_compile_time_verifier_archINS1_11comp_targetILNS1_3genE4ELNS1_11target_archE910ELNS1_3gpuE8ELNS1_3repE0EEES8_NS0_14default_configES9_NS1_37merge_sort_block_sort_config_selectorImNS0_10empty_typeEEENS1_38merge_sort_block_merge_config_selectorImSB_EEEEvv,@function
_ZN7rocprim17ROCPRIM_400000_NS6detail44device_merge_sort_compile_time_verifier_archINS1_11comp_targetILNS1_3genE4ELNS1_11target_archE910ELNS1_3gpuE8ELNS1_3repE0EEES8_NS0_14default_configES9_NS1_37merge_sort_block_sort_config_selectorImNS0_10empty_typeEEENS1_38merge_sort_block_merge_config_selectorImSB_EEEEvv: ; @_ZN7rocprim17ROCPRIM_400000_NS6detail44device_merge_sort_compile_time_verifier_archINS1_11comp_targetILNS1_3genE4ELNS1_11target_archE910ELNS1_3gpuE8ELNS1_3repE0EEES8_NS0_14default_configES9_NS1_37merge_sort_block_sort_config_selectorImNS0_10empty_typeEEENS1_38merge_sort_block_merge_config_selectorImSB_EEEEvv
; %bb.0:
	s_endpgm
	.section	.rodata,"a",@progbits
	.p2align	6, 0x0
	.amdhsa_kernel _ZN7rocprim17ROCPRIM_400000_NS6detail44device_merge_sort_compile_time_verifier_archINS1_11comp_targetILNS1_3genE4ELNS1_11target_archE910ELNS1_3gpuE8ELNS1_3repE0EEES8_NS0_14default_configES9_NS1_37merge_sort_block_sort_config_selectorImNS0_10empty_typeEEENS1_38merge_sort_block_merge_config_selectorImSB_EEEEvv
		.amdhsa_group_segment_fixed_size 0
		.amdhsa_private_segment_fixed_size 0
		.amdhsa_kernarg_size 0
		.amdhsa_user_sgpr_count 4
		.amdhsa_user_sgpr_private_segment_buffer 1
		.amdhsa_user_sgpr_dispatch_ptr 0
		.amdhsa_user_sgpr_queue_ptr 0
		.amdhsa_user_sgpr_kernarg_segment_ptr 0
		.amdhsa_user_sgpr_dispatch_id 0
		.amdhsa_user_sgpr_flat_scratch_init 0
		.amdhsa_user_sgpr_private_segment_size 0
		.amdhsa_wavefront_size32 1
		.amdhsa_uses_dynamic_stack 0
		.amdhsa_system_sgpr_private_segment_wavefront_offset 0
		.amdhsa_system_sgpr_workgroup_id_x 1
		.amdhsa_system_sgpr_workgroup_id_y 0
		.amdhsa_system_sgpr_workgroup_id_z 0
		.amdhsa_system_sgpr_workgroup_info 0
		.amdhsa_system_vgpr_workitem_id 0
		.amdhsa_next_free_vgpr 1
		.amdhsa_next_free_sgpr 1
		.amdhsa_reserve_vcc 0
		.amdhsa_reserve_flat_scratch 0
		.amdhsa_float_round_mode_32 0
		.amdhsa_float_round_mode_16_64 0
		.amdhsa_float_denorm_mode_32 3
		.amdhsa_float_denorm_mode_16_64 3
		.amdhsa_dx10_clamp 1
		.amdhsa_ieee_mode 1
		.amdhsa_fp16_overflow 0
		.amdhsa_workgroup_processor_mode 1
		.amdhsa_memory_ordered 1
		.amdhsa_forward_progress 1
		.amdhsa_shared_vgpr_count 0
		.amdhsa_exception_fp_ieee_invalid_op 0
		.amdhsa_exception_fp_denorm_src 0
		.amdhsa_exception_fp_ieee_div_zero 0
		.amdhsa_exception_fp_ieee_overflow 0
		.amdhsa_exception_fp_ieee_underflow 0
		.amdhsa_exception_fp_ieee_inexact 0
		.amdhsa_exception_int_div_zero 0
	.end_amdhsa_kernel
	.section	.text._ZN7rocprim17ROCPRIM_400000_NS6detail44device_merge_sort_compile_time_verifier_archINS1_11comp_targetILNS1_3genE4ELNS1_11target_archE910ELNS1_3gpuE8ELNS1_3repE0EEES8_NS0_14default_configES9_NS1_37merge_sort_block_sort_config_selectorImNS0_10empty_typeEEENS1_38merge_sort_block_merge_config_selectorImSB_EEEEvv,"axG",@progbits,_ZN7rocprim17ROCPRIM_400000_NS6detail44device_merge_sort_compile_time_verifier_archINS1_11comp_targetILNS1_3genE4ELNS1_11target_archE910ELNS1_3gpuE8ELNS1_3repE0EEES8_NS0_14default_configES9_NS1_37merge_sort_block_sort_config_selectorImNS0_10empty_typeEEENS1_38merge_sort_block_merge_config_selectorImSB_EEEEvv,comdat
.Lfunc_end601:
	.size	_ZN7rocprim17ROCPRIM_400000_NS6detail44device_merge_sort_compile_time_verifier_archINS1_11comp_targetILNS1_3genE4ELNS1_11target_archE910ELNS1_3gpuE8ELNS1_3repE0EEES8_NS0_14default_configES9_NS1_37merge_sort_block_sort_config_selectorImNS0_10empty_typeEEENS1_38merge_sort_block_merge_config_selectorImSB_EEEEvv, .Lfunc_end601-_ZN7rocprim17ROCPRIM_400000_NS6detail44device_merge_sort_compile_time_verifier_archINS1_11comp_targetILNS1_3genE4ELNS1_11target_archE910ELNS1_3gpuE8ELNS1_3repE0EEES8_NS0_14default_configES9_NS1_37merge_sort_block_sort_config_selectorImNS0_10empty_typeEEENS1_38merge_sort_block_merge_config_selectorImSB_EEEEvv
                                        ; -- End function
	.set _ZN7rocprim17ROCPRIM_400000_NS6detail44device_merge_sort_compile_time_verifier_archINS1_11comp_targetILNS1_3genE4ELNS1_11target_archE910ELNS1_3gpuE8ELNS1_3repE0EEES8_NS0_14default_configES9_NS1_37merge_sort_block_sort_config_selectorImNS0_10empty_typeEEENS1_38merge_sort_block_merge_config_selectorImSB_EEEEvv.num_vgpr, 0
	.set _ZN7rocprim17ROCPRIM_400000_NS6detail44device_merge_sort_compile_time_verifier_archINS1_11comp_targetILNS1_3genE4ELNS1_11target_archE910ELNS1_3gpuE8ELNS1_3repE0EEES8_NS0_14default_configES9_NS1_37merge_sort_block_sort_config_selectorImNS0_10empty_typeEEENS1_38merge_sort_block_merge_config_selectorImSB_EEEEvv.num_agpr, 0
	.set _ZN7rocprim17ROCPRIM_400000_NS6detail44device_merge_sort_compile_time_verifier_archINS1_11comp_targetILNS1_3genE4ELNS1_11target_archE910ELNS1_3gpuE8ELNS1_3repE0EEES8_NS0_14default_configES9_NS1_37merge_sort_block_sort_config_selectorImNS0_10empty_typeEEENS1_38merge_sort_block_merge_config_selectorImSB_EEEEvv.numbered_sgpr, 0
	.set _ZN7rocprim17ROCPRIM_400000_NS6detail44device_merge_sort_compile_time_verifier_archINS1_11comp_targetILNS1_3genE4ELNS1_11target_archE910ELNS1_3gpuE8ELNS1_3repE0EEES8_NS0_14default_configES9_NS1_37merge_sort_block_sort_config_selectorImNS0_10empty_typeEEENS1_38merge_sort_block_merge_config_selectorImSB_EEEEvv.num_named_barrier, 0
	.set _ZN7rocprim17ROCPRIM_400000_NS6detail44device_merge_sort_compile_time_verifier_archINS1_11comp_targetILNS1_3genE4ELNS1_11target_archE910ELNS1_3gpuE8ELNS1_3repE0EEES8_NS0_14default_configES9_NS1_37merge_sort_block_sort_config_selectorImNS0_10empty_typeEEENS1_38merge_sort_block_merge_config_selectorImSB_EEEEvv.private_seg_size, 0
	.set _ZN7rocprim17ROCPRIM_400000_NS6detail44device_merge_sort_compile_time_verifier_archINS1_11comp_targetILNS1_3genE4ELNS1_11target_archE910ELNS1_3gpuE8ELNS1_3repE0EEES8_NS0_14default_configES9_NS1_37merge_sort_block_sort_config_selectorImNS0_10empty_typeEEENS1_38merge_sort_block_merge_config_selectorImSB_EEEEvv.uses_vcc, 0
	.set _ZN7rocprim17ROCPRIM_400000_NS6detail44device_merge_sort_compile_time_verifier_archINS1_11comp_targetILNS1_3genE4ELNS1_11target_archE910ELNS1_3gpuE8ELNS1_3repE0EEES8_NS0_14default_configES9_NS1_37merge_sort_block_sort_config_selectorImNS0_10empty_typeEEENS1_38merge_sort_block_merge_config_selectorImSB_EEEEvv.uses_flat_scratch, 0
	.set _ZN7rocprim17ROCPRIM_400000_NS6detail44device_merge_sort_compile_time_verifier_archINS1_11comp_targetILNS1_3genE4ELNS1_11target_archE910ELNS1_3gpuE8ELNS1_3repE0EEES8_NS0_14default_configES9_NS1_37merge_sort_block_sort_config_selectorImNS0_10empty_typeEEENS1_38merge_sort_block_merge_config_selectorImSB_EEEEvv.has_dyn_sized_stack, 0
	.set _ZN7rocprim17ROCPRIM_400000_NS6detail44device_merge_sort_compile_time_verifier_archINS1_11comp_targetILNS1_3genE4ELNS1_11target_archE910ELNS1_3gpuE8ELNS1_3repE0EEES8_NS0_14default_configES9_NS1_37merge_sort_block_sort_config_selectorImNS0_10empty_typeEEENS1_38merge_sort_block_merge_config_selectorImSB_EEEEvv.has_recursion, 0
	.set _ZN7rocprim17ROCPRIM_400000_NS6detail44device_merge_sort_compile_time_verifier_archINS1_11comp_targetILNS1_3genE4ELNS1_11target_archE910ELNS1_3gpuE8ELNS1_3repE0EEES8_NS0_14default_configES9_NS1_37merge_sort_block_sort_config_selectorImNS0_10empty_typeEEENS1_38merge_sort_block_merge_config_selectorImSB_EEEEvv.has_indirect_call, 0
	.section	.AMDGPU.csdata,"",@progbits
; Kernel info:
; codeLenInByte = 4
; TotalNumSgprs: 0
; NumVgprs: 0
; ScratchSize: 0
; MemoryBound: 0
; FloatMode: 240
; IeeeMode: 1
; LDSByteSize: 0 bytes/workgroup (compile time only)
; SGPRBlocks: 0
; VGPRBlocks: 0
; NumSGPRsForWavesPerEU: 1
; NumVGPRsForWavesPerEU: 1
; Occupancy: 16
; WaveLimiterHint : 0
; COMPUTE_PGM_RSRC2:SCRATCH_EN: 0
; COMPUTE_PGM_RSRC2:USER_SGPR: 4
; COMPUTE_PGM_RSRC2:TRAP_HANDLER: 0
; COMPUTE_PGM_RSRC2:TGID_X_EN: 1
; COMPUTE_PGM_RSRC2:TGID_Y_EN: 0
; COMPUTE_PGM_RSRC2:TGID_Z_EN: 0
; COMPUTE_PGM_RSRC2:TIDIG_COMP_CNT: 0
	.section	.text._ZN7rocprim17ROCPRIM_400000_NS6detail44device_merge_sort_compile_time_verifier_archINS1_11comp_targetILNS1_3genE3ELNS1_11target_archE908ELNS1_3gpuE7ELNS1_3repE0EEES8_NS0_14default_configES9_NS1_37merge_sort_block_sort_config_selectorImNS0_10empty_typeEEENS1_38merge_sort_block_merge_config_selectorImSB_EEEEvv,"axG",@progbits,_ZN7rocprim17ROCPRIM_400000_NS6detail44device_merge_sort_compile_time_verifier_archINS1_11comp_targetILNS1_3genE3ELNS1_11target_archE908ELNS1_3gpuE7ELNS1_3repE0EEES8_NS0_14default_configES9_NS1_37merge_sort_block_sort_config_selectorImNS0_10empty_typeEEENS1_38merge_sort_block_merge_config_selectorImSB_EEEEvv,comdat
	.protected	_ZN7rocprim17ROCPRIM_400000_NS6detail44device_merge_sort_compile_time_verifier_archINS1_11comp_targetILNS1_3genE3ELNS1_11target_archE908ELNS1_3gpuE7ELNS1_3repE0EEES8_NS0_14default_configES9_NS1_37merge_sort_block_sort_config_selectorImNS0_10empty_typeEEENS1_38merge_sort_block_merge_config_selectorImSB_EEEEvv ; -- Begin function _ZN7rocprim17ROCPRIM_400000_NS6detail44device_merge_sort_compile_time_verifier_archINS1_11comp_targetILNS1_3genE3ELNS1_11target_archE908ELNS1_3gpuE7ELNS1_3repE0EEES8_NS0_14default_configES9_NS1_37merge_sort_block_sort_config_selectorImNS0_10empty_typeEEENS1_38merge_sort_block_merge_config_selectorImSB_EEEEvv
	.globl	_ZN7rocprim17ROCPRIM_400000_NS6detail44device_merge_sort_compile_time_verifier_archINS1_11comp_targetILNS1_3genE3ELNS1_11target_archE908ELNS1_3gpuE7ELNS1_3repE0EEES8_NS0_14default_configES9_NS1_37merge_sort_block_sort_config_selectorImNS0_10empty_typeEEENS1_38merge_sort_block_merge_config_selectorImSB_EEEEvv
	.p2align	8
	.type	_ZN7rocprim17ROCPRIM_400000_NS6detail44device_merge_sort_compile_time_verifier_archINS1_11comp_targetILNS1_3genE3ELNS1_11target_archE908ELNS1_3gpuE7ELNS1_3repE0EEES8_NS0_14default_configES9_NS1_37merge_sort_block_sort_config_selectorImNS0_10empty_typeEEENS1_38merge_sort_block_merge_config_selectorImSB_EEEEvv,@function
_ZN7rocprim17ROCPRIM_400000_NS6detail44device_merge_sort_compile_time_verifier_archINS1_11comp_targetILNS1_3genE3ELNS1_11target_archE908ELNS1_3gpuE7ELNS1_3repE0EEES8_NS0_14default_configES9_NS1_37merge_sort_block_sort_config_selectorImNS0_10empty_typeEEENS1_38merge_sort_block_merge_config_selectorImSB_EEEEvv: ; @_ZN7rocprim17ROCPRIM_400000_NS6detail44device_merge_sort_compile_time_verifier_archINS1_11comp_targetILNS1_3genE3ELNS1_11target_archE908ELNS1_3gpuE7ELNS1_3repE0EEES8_NS0_14default_configES9_NS1_37merge_sort_block_sort_config_selectorImNS0_10empty_typeEEENS1_38merge_sort_block_merge_config_selectorImSB_EEEEvv
; %bb.0:
	s_endpgm
	.section	.rodata,"a",@progbits
	.p2align	6, 0x0
	.amdhsa_kernel _ZN7rocprim17ROCPRIM_400000_NS6detail44device_merge_sort_compile_time_verifier_archINS1_11comp_targetILNS1_3genE3ELNS1_11target_archE908ELNS1_3gpuE7ELNS1_3repE0EEES8_NS0_14default_configES9_NS1_37merge_sort_block_sort_config_selectorImNS0_10empty_typeEEENS1_38merge_sort_block_merge_config_selectorImSB_EEEEvv
		.amdhsa_group_segment_fixed_size 0
		.amdhsa_private_segment_fixed_size 0
		.amdhsa_kernarg_size 0
		.amdhsa_user_sgpr_count 4
		.amdhsa_user_sgpr_private_segment_buffer 1
		.amdhsa_user_sgpr_dispatch_ptr 0
		.amdhsa_user_sgpr_queue_ptr 0
		.amdhsa_user_sgpr_kernarg_segment_ptr 0
		.amdhsa_user_sgpr_dispatch_id 0
		.amdhsa_user_sgpr_flat_scratch_init 0
		.amdhsa_user_sgpr_private_segment_size 0
		.amdhsa_wavefront_size32 1
		.amdhsa_uses_dynamic_stack 0
		.amdhsa_system_sgpr_private_segment_wavefront_offset 0
		.amdhsa_system_sgpr_workgroup_id_x 1
		.amdhsa_system_sgpr_workgroup_id_y 0
		.amdhsa_system_sgpr_workgroup_id_z 0
		.amdhsa_system_sgpr_workgroup_info 0
		.amdhsa_system_vgpr_workitem_id 0
		.amdhsa_next_free_vgpr 1
		.amdhsa_next_free_sgpr 1
		.amdhsa_reserve_vcc 0
		.amdhsa_reserve_flat_scratch 0
		.amdhsa_float_round_mode_32 0
		.amdhsa_float_round_mode_16_64 0
		.amdhsa_float_denorm_mode_32 3
		.amdhsa_float_denorm_mode_16_64 3
		.amdhsa_dx10_clamp 1
		.amdhsa_ieee_mode 1
		.amdhsa_fp16_overflow 0
		.amdhsa_workgroup_processor_mode 1
		.amdhsa_memory_ordered 1
		.amdhsa_forward_progress 1
		.amdhsa_shared_vgpr_count 0
		.amdhsa_exception_fp_ieee_invalid_op 0
		.amdhsa_exception_fp_denorm_src 0
		.amdhsa_exception_fp_ieee_div_zero 0
		.amdhsa_exception_fp_ieee_overflow 0
		.amdhsa_exception_fp_ieee_underflow 0
		.amdhsa_exception_fp_ieee_inexact 0
		.amdhsa_exception_int_div_zero 0
	.end_amdhsa_kernel
	.section	.text._ZN7rocprim17ROCPRIM_400000_NS6detail44device_merge_sort_compile_time_verifier_archINS1_11comp_targetILNS1_3genE3ELNS1_11target_archE908ELNS1_3gpuE7ELNS1_3repE0EEES8_NS0_14default_configES9_NS1_37merge_sort_block_sort_config_selectorImNS0_10empty_typeEEENS1_38merge_sort_block_merge_config_selectorImSB_EEEEvv,"axG",@progbits,_ZN7rocprim17ROCPRIM_400000_NS6detail44device_merge_sort_compile_time_verifier_archINS1_11comp_targetILNS1_3genE3ELNS1_11target_archE908ELNS1_3gpuE7ELNS1_3repE0EEES8_NS0_14default_configES9_NS1_37merge_sort_block_sort_config_selectorImNS0_10empty_typeEEENS1_38merge_sort_block_merge_config_selectorImSB_EEEEvv,comdat
.Lfunc_end602:
	.size	_ZN7rocprim17ROCPRIM_400000_NS6detail44device_merge_sort_compile_time_verifier_archINS1_11comp_targetILNS1_3genE3ELNS1_11target_archE908ELNS1_3gpuE7ELNS1_3repE0EEES8_NS0_14default_configES9_NS1_37merge_sort_block_sort_config_selectorImNS0_10empty_typeEEENS1_38merge_sort_block_merge_config_selectorImSB_EEEEvv, .Lfunc_end602-_ZN7rocprim17ROCPRIM_400000_NS6detail44device_merge_sort_compile_time_verifier_archINS1_11comp_targetILNS1_3genE3ELNS1_11target_archE908ELNS1_3gpuE7ELNS1_3repE0EEES8_NS0_14default_configES9_NS1_37merge_sort_block_sort_config_selectorImNS0_10empty_typeEEENS1_38merge_sort_block_merge_config_selectorImSB_EEEEvv
                                        ; -- End function
	.set _ZN7rocprim17ROCPRIM_400000_NS6detail44device_merge_sort_compile_time_verifier_archINS1_11comp_targetILNS1_3genE3ELNS1_11target_archE908ELNS1_3gpuE7ELNS1_3repE0EEES8_NS0_14default_configES9_NS1_37merge_sort_block_sort_config_selectorImNS0_10empty_typeEEENS1_38merge_sort_block_merge_config_selectorImSB_EEEEvv.num_vgpr, 0
	.set _ZN7rocprim17ROCPRIM_400000_NS6detail44device_merge_sort_compile_time_verifier_archINS1_11comp_targetILNS1_3genE3ELNS1_11target_archE908ELNS1_3gpuE7ELNS1_3repE0EEES8_NS0_14default_configES9_NS1_37merge_sort_block_sort_config_selectorImNS0_10empty_typeEEENS1_38merge_sort_block_merge_config_selectorImSB_EEEEvv.num_agpr, 0
	.set _ZN7rocprim17ROCPRIM_400000_NS6detail44device_merge_sort_compile_time_verifier_archINS1_11comp_targetILNS1_3genE3ELNS1_11target_archE908ELNS1_3gpuE7ELNS1_3repE0EEES8_NS0_14default_configES9_NS1_37merge_sort_block_sort_config_selectorImNS0_10empty_typeEEENS1_38merge_sort_block_merge_config_selectorImSB_EEEEvv.numbered_sgpr, 0
	.set _ZN7rocprim17ROCPRIM_400000_NS6detail44device_merge_sort_compile_time_verifier_archINS1_11comp_targetILNS1_3genE3ELNS1_11target_archE908ELNS1_3gpuE7ELNS1_3repE0EEES8_NS0_14default_configES9_NS1_37merge_sort_block_sort_config_selectorImNS0_10empty_typeEEENS1_38merge_sort_block_merge_config_selectorImSB_EEEEvv.num_named_barrier, 0
	.set _ZN7rocprim17ROCPRIM_400000_NS6detail44device_merge_sort_compile_time_verifier_archINS1_11comp_targetILNS1_3genE3ELNS1_11target_archE908ELNS1_3gpuE7ELNS1_3repE0EEES8_NS0_14default_configES9_NS1_37merge_sort_block_sort_config_selectorImNS0_10empty_typeEEENS1_38merge_sort_block_merge_config_selectorImSB_EEEEvv.private_seg_size, 0
	.set _ZN7rocprim17ROCPRIM_400000_NS6detail44device_merge_sort_compile_time_verifier_archINS1_11comp_targetILNS1_3genE3ELNS1_11target_archE908ELNS1_3gpuE7ELNS1_3repE0EEES8_NS0_14default_configES9_NS1_37merge_sort_block_sort_config_selectorImNS0_10empty_typeEEENS1_38merge_sort_block_merge_config_selectorImSB_EEEEvv.uses_vcc, 0
	.set _ZN7rocprim17ROCPRIM_400000_NS6detail44device_merge_sort_compile_time_verifier_archINS1_11comp_targetILNS1_3genE3ELNS1_11target_archE908ELNS1_3gpuE7ELNS1_3repE0EEES8_NS0_14default_configES9_NS1_37merge_sort_block_sort_config_selectorImNS0_10empty_typeEEENS1_38merge_sort_block_merge_config_selectorImSB_EEEEvv.uses_flat_scratch, 0
	.set _ZN7rocprim17ROCPRIM_400000_NS6detail44device_merge_sort_compile_time_verifier_archINS1_11comp_targetILNS1_3genE3ELNS1_11target_archE908ELNS1_3gpuE7ELNS1_3repE0EEES8_NS0_14default_configES9_NS1_37merge_sort_block_sort_config_selectorImNS0_10empty_typeEEENS1_38merge_sort_block_merge_config_selectorImSB_EEEEvv.has_dyn_sized_stack, 0
	.set _ZN7rocprim17ROCPRIM_400000_NS6detail44device_merge_sort_compile_time_verifier_archINS1_11comp_targetILNS1_3genE3ELNS1_11target_archE908ELNS1_3gpuE7ELNS1_3repE0EEES8_NS0_14default_configES9_NS1_37merge_sort_block_sort_config_selectorImNS0_10empty_typeEEENS1_38merge_sort_block_merge_config_selectorImSB_EEEEvv.has_recursion, 0
	.set _ZN7rocprim17ROCPRIM_400000_NS6detail44device_merge_sort_compile_time_verifier_archINS1_11comp_targetILNS1_3genE3ELNS1_11target_archE908ELNS1_3gpuE7ELNS1_3repE0EEES8_NS0_14default_configES9_NS1_37merge_sort_block_sort_config_selectorImNS0_10empty_typeEEENS1_38merge_sort_block_merge_config_selectorImSB_EEEEvv.has_indirect_call, 0
	.section	.AMDGPU.csdata,"",@progbits
; Kernel info:
; codeLenInByte = 4
; TotalNumSgprs: 0
; NumVgprs: 0
; ScratchSize: 0
; MemoryBound: 0
; FloatMode: 240
; IeeeMode: 1
; LDSByteSize: 0 bytes/workgroup (compile time only)
; SGPRBlocks: 0
; VGPRBlocks: 0
; NumSGPRsForWavesPerEU: 1
; NumVGPRsForWavesPerEU: 1
; Occupancy: 16
; WaveLimiterHint : 0
; COMPUTE_PGM_RSRC2:SCRATCH_EN: 0
; COMPUTE_PGM_RSRC2:USER_SGPR: 4
; COMPUTE_PGM_RSRC2:TRAP_HANDLER: 0
; COMPUTE_PGM_RSRC2:TGID_X_EN: 1
; COMPUTE_PGM_RSRC2:TGID_Y_EN: 0
; COMPUTE_PGM_RSRC2:TGID_Z_EN: 0
; COMPUTE_PGM_RSRC2:TIDIG_COMP_CNT: 0
	.section	.text._ZN7rocprim17ROCPRIM_400000_NS6detail44device_merge_sort_compile_time_verifier_archINS1_11comp_targetILNS1_3genE2ELNS1_11target_archE906ELNS1_3gpuE6ELNS1_3repE0EEES8_NS0_14default_configES9_NS1_37merge_sort_block_sort_config_selectorImNS0_10empty_typeEEENS1_38merge_sort_block_merge_config_selectorImSB_EEEEvv,"axG",@progbits,_ZN7rocprim17ROCPRIM_400000_NS6detail44device_merge_sort_compile_time_verifier_archINS1_11comp_targetILNS1_3genE2ELNS1_11target_archE906ELNS1_3gpuE6ELNS1_3repE0EEES8_NS0_14default_configES9_NS1_37merge_sort_block_sort_config_selectorImNS0_10empty_typeEEENS1_38merge_sort_block_merge_config_selectorImSB_EEEEvv,comdat
	.protected	_ZN7rocprim17ROCPRIM_400000_NS6detail44device_merge_sort_compile_time_verifier_archINS1_11comp_targetILNS1_3genE2ELNS1_11target_archE906ELNS1_3gpuE6ELNS1_3repE0EEES8_NS0_14default_configES9_NS1_37merge_sort_block_sort_config_selectorImNS0_10empty_typeEEENS1_38merge_sort_block_merge_config_selectorImSB_EEEEvv ; -- Begin function _ZN7rocprim17ROCPRIM_400000_NS6detail44device_merge_sort_compile_time_verifier_archINS1_11comp_targetILNS1_3genE2ELNS1_11target_archE906ELNS1_3gpuE6ELNS1_3repE0EEES8_NS0_14default_configES9_NS1_37merge_sort_block_sort_config_selectorImNS0_10empty_typeEEENS1_38merge_sort_block_merge_config_selectorImSB_EEEEvv
	.globl	_ZN7rocprim17ROCPRIM_400000_NS6detail44device_merge_sort_compile_time_verifier_archINS1_11comp_targetILNS1_3genE2ELNS1_11target_archE906ELNS1_3gpuE6ELNS1_3repE0EEES8_NS0_14default_configES9_NS1_37merge_sort_block_sort_config_selectorImNS0_10empty_typeEEENS1_38merge_sort_block_merge_config_selectorImSB_EEEEvv
	.p2align	8
	.type	_ZN7rocprim17ROCPRIM_400000_NS6detail44device_merge_sort_compile_time_verifier_archINS1_11comp_targetILNS1_3genE2ELNS1_11target_archE906ELNS1_3gpuE6ELNS1_3repE0EEES8_NS0_14default_configES9_NS1_37merge_sort_block_sort_config_selectorImNS0_10empty_typeEEENS1_38merge_sort_block_merge_config_selectorImSB_EEEEvv,@function
_ZN7rocprim17ROCPRIM_400000_NS6detail44device_merge_sort_compile_time_verifier_archINS1_11comp_targetILNS1_3genE2ELNS1_11target_archE906ELNS1_3gpuE6ELNS1_3repE0EEES8_NS0_14default_configES9_NS1_37merge_sort_block_sort_config_selectorImNS0_10empty_typeEEENS1_38merge_sort_block_merge_config_selectorImSB_EEEEvv: ; @_ZN7rocprim17ROCPRIM_400000_NS6detail44device_merge_sort_compile_time_verifier_archINS1_11comp_targetILNS1_3genE2ELNS1_11target_archE906ELNS1_3gpuE6ELNS1_3repE0EEES8_NS0_14default_configES9_NS1_37merge_sort_block_sort_config_selectorImNS0_10empty_typeEEENS1_38merge_sort_block_merge_config_selectorImSB_EEEEvv
; %bb.0:
	s_endpgm
	.section	.rodata,"a",@progbits
	.p2align	6, 0x0
	.amdhsa_kernel _ZN7rocprim17ROCPRIM_400000_NS6detail44device_merge_sort_compile_time_verifier_archINS1_11comp_targetILNS1_3genE2ELNS1_11target_archE906ELNS1_3gpuE6ELNS1_3repE0EEES8_NS0_14default_configES9_NS1_37merge_sort_block_sort_config_selectorImNS0_10empty_typeEEENS1_38merge_sort_block_merge_config_selectorImSB_EEEEvv
		.amdhsa_group_segment_fixed_size 0
		.amdhsa_private_segment_fixed_size 0
		.amdhsa_kernarg_size 0
		.amdhsa_user_sgpr_count 4
		.amdhsa_user_sgpr_private_segment_buffer 1
		.amdhsa_user_sgpr_dispatch_ptr 0
		.amdhsa_user_sgpr_queue_ptr 0
		.amdhsa_user_sgpr_kernarg_segment_ptr 0
		.amdhsa_user_sgpr_dispatch_id 0
		.amdhsa_user_sgpr_flat_scratch_init 0
		.amdhsa_user_sgpr_private_segment_size 0
		.amdhsa_wavefront_size32 1
		.amdhsa_uses_dynamic_stack 0
		.amdhsa_system_sgpr_private_segment_wavefront_offset 0
		.amdhsa_system_sgpr_workgroup_id_x 1
		.amdhsa_system_sgpr_workgroup_id_y 0
		.amdhsa_system_sgpr_workgroup_id_z 0
		.amdhsa_system_sgpr_workgroup_info 0
		.amdhsa_system_vgpr_workitem_id 0
		.amdhsa_next_free_vgpr 1
		.amdhsa_next_free_sgpr 1
		.amdhsa_reserve_vcc 0
		.amdhsa_reserve_flat_scratch 0
		.amdhsa_float_round_mode_32 0
		.amdhsa_float_round_mode_16_64 0
		.amdhsa_float_denorm_mode_32 3
		.amdhsa_float_denorm_mode_16_64 3
		.amdhsa_dx10_clamp 1
		.amdhsa_ieee_mode 1
		.amdhsa_fp16_overflow 0
		.amdhsa_workgroup_processor_mode 1
		.amdhsa_memory_ordered 1
		.amdhsa_forward_progress 1
		.amdhsa_shared_vgpr_count 0
		.amdhsa_exception_fp_ieee_invalid_op 0
		.amdhsa_exception_fp_denorm_src 0
		.amdhsa_exception_fp_ieee_div_zero 0
		.amdhsa_exception_fp_ieee_overflow 0
		.amdhsa_exception_fp_ieee_underflow 0
		.amdhsa_exception_fp_ieee_inexact 0
		.amdhsa_exception_int_div_zero 0
	.end_amdhsa_kernel
	.section	.text._ZN7rocprim17ROCPRIM_400000_NS6detail44device_merge_sort_compile_time_verifier_archINS1_11comp_targetILNS1_3genE2ELNS1_11target_archE906ELNS1_3gpuE6ELNS1_3repE0EEES8_NS0_14default_configES9_NS1_37merge_sort_block_sort_config_selectorImNS0_10empty_typeEEENS1_38merge_sort_block_merge_config_selectorImSB_EEEEvv,"axG",@progbits,_ZN7rocprim17ROCPRIM_400000_NS6detail44device_merge_sort_compile_time_verifier_archINS1_11comp_targetILNS1_3genE2ELNS1_11target_archE906ELNS1_3gpuE6ELNS1_3repE0EEES8_NS0_14default_configES9_NS1_37merge_sort_block_sort_config_selectorImNS0_10empty_typeEEENS1_38merge_sort_block_merge_config_selectorImSB_EEEEvv,comdat
.Lfunc_end603:
	.size	_ZN7rocprim17ROCPRIM_400000_NS6detail44device_merge_sort_compile_time_verifier_archINS1_11comp_targetILNS1_3genE2ELNS1_11target_archE906ELNS1_3gpuE6ELNS1_3repE0EEES8_NS0_14default_configES9_NS1_37merge_sort_block_sort_config_selectorImNS0_10empty_typeEEENS1_38merge_sort_block_merge_config_selectorImSB_EEEEvv, .Lfunc_end603-_ZN7rocprim17ROCPRIM_400000_NS6detail44device_merge_sort_compile_time_verifier_archINS1_11comp_targetILNS1_3genE2ELNS1_11target_archE906ELNS1_3gpuE6ELNS1_3repE0EEES8_NS0_14default_configES9_NS1_37merge_sort_block_sort_config_selectorImNS0_10empty_typeEEENS1_38merge_sort_block_merge_config_selectorImSB_EEEEvv
                                        ; -- End function
	.set _ZN7rocprim17ROCPRIM_400000_NS6detail44device_merge_sort_compile_time_verifier_archINS1_11comp_targetILNS1_3genE2ELNS1_11target_archE906ELNS1_3gpuE6ELNS1_3repE0EEES8_NS0_14default_configES9_NS1_37merge_sort_block_sort_config_selectorImNS0_10empty_typeEEENS1_38merge_sort_block_merge_config_selectorImSB_EEEEvv.num_vgpr, 0
	.set _ZN7rocprim17ROCPRIM_400000_NS6detail44device_merge_sort_compile_time_verifier_archINS1_11comp_targetILNS1_3genE2ELNS1_11target_archE906ELNS1_3gpuE6ELNS1_3repE0EEES8_NS0_14default_configES9_NS1_37merge_sort_block_sort_config_selectorImNS0_10empty_typeEEENS1_38merge_sort_block_merge_config_selectorImSB_EEEEvv.num_agpr, 0
	.set _ZN7rocprim17ROCPRIM_400000_NS6detail44device_merge_sort_compile_time_verifier_archINS1_11comp_targetILNS1_3genE2ELNS1_11target_archE906ELNS1_3gpuE6ELNS1_3repE0EEES8_NS0_14default_configES9_NS1_37merge_sort_block_sort_config_selectorImNS0_10empty_typeEEENS1_38merge_sort_block_merge_config_selectorImSB_EEEEvv.numbered_sgpr, 0
	.set _ZN7rocprim17ROCPRIM_400000_NS6detail44device_merge_sort_compile_time_verifier_archINS1_11comp_targetILNS1_3genE2ELNS1_11target_archE906ELNS1_3gpuE6ELNS1_3repE0EEES8_NS0_14default_configES9_NS1_37merge_sort_block_sort_config_selectorImNS0_10empty_typeEEENS1_38merge_sort_block_merge_config_selectorImSB_EEEEvv.num_named_barrier, 0
	.set _ZN7rocprim17ROCPRIM_400000_NS6detail44device_merge_sort_compile_time_verifier_archINS1_11comp_targetILNS1_3genE2ELNS1_11target_archE906ELNS1_3gpuE6ELNS1_3repE0EEES8_NS0_14default_configES9_NS1_37merge_sort_block_sort_config_selectorImNS0_10empty_typeEEENS1_38merge_sort_block_merge_config_selectorImSB_EEEEvv.private_seg_size, 0
	.set _ZN7rocprim17ROCPRIM_400000_NS6detail44device_merge_sort_compile_time_verifier_archINS1_11comp_targetILNS1_3genE2ELNS1_11target_archE906ELNS1_3gpuE6ELNS1_3repE0EEES8_NS0_14default_configES9_NS1_37merge_sort_block_sort_config_selectorImNS0_10empty_typeEEENS1_38merge_sort_block_merge_config_selectorImSB_EEEEvv.uses_vcc, 0
	.set _ZN7rocprim17ROCPRIM_400000_NS6detail44device_merge_sort_compile_time_verifier_archINS1_11comp_targetILNS1_3genE2ELNS1_11target_archE906ELNS1_3gpuE6ELNS1_3repE0EEES8_NS0_14default_configES9_NS1_37merge_sort_block_sort_config_selectorImNS0_10empty_typeEEENS1_38merge_sort_block_merge_config_selectorImSB_EEEEvv.uses_flat_scratch, 0
	.set _ZN7rocprim17ROCPRIM_400000_NS6detail44device_merge_sort_compile_time_verifier_archINS1_11comp_targetILNS1_3genE2ELNS1_11target_archE906ELNS1_3gpuE6ELNS1_3repE0EEES8_NS0_14default_configES9_NS1_37merge_sort_block_sort_config_selectorImNS0_10empty_typeEEENS1_38merge_sort_block_merge_config_selectorImSB_EEEEvv.has_dyn_sized_stack, 0
	.set _ZN7rocprim17ROCPRIM_400000_NS6detail44device_merge_sort_compile_time_verifier_archINS1_11comp_targetILNS1_3genE2ELNS1_11target_archE906ELNS1_3gpuE6ELNS1_3repE0EEES8_NS0_14default_configES9_NS1_37merge_sort_block_sort_config_selectorImNS0_10empty_typeEEENS1_38merge_sort_block_merge_config_selectorImSB_EEEEvv.has_recursion, 0
	.set _ZN7rocprim17ROCPRIM_400000_NS6detail44device_merge_sort_compile_time_verifier_archINS1_11comp_targetILNS1_3genE2ELNS1_11target_archE906ELNS1_3gpuE6ELNS1_3repE0EEES8_NS0_14default_configES9_NS1_37merge_sort_block_sort_config_selectorImNS0_10empty_typeEEENS1_38merge_sort_block_merge_config_selectorImSB_EEEEvv.has_indirect_call, 0
	.section	.AMDGPU.csdata,"",@progbits
; Kernel info:
; codeLenInByte = 4
; TotalNumSgprs: 0
; NumVgprs: 0
; ScratchSize: 0
; MemoryBound: 0
; FloatMode: 240
; IeeeMode: 1
; LDSByteSize: 0 bytes/workgroup (compile time only)
; SGPRBlocks: 0
; VGPRBlocks: 0
; NumSGPRsForWavesPerEU: 1
; NumVGPRsForWavesPerEU: 1
; Occupancy: 16
; WaveLimiterHint : 0
; COMPUTE_PGM_RSRC2:SCRATCH_EN: 0
; COMPUTE_PGM_RSRC2:USER_SGPR: 4
; COMPUTE_PGM_RSRC2:TRAP_HANDLER: 0
; COMPUTE_PGM_RSRC2:TGID_X_EN: 1
; COMPUTE_PGM_RSRC2:TGID_Y_EN: 0
; COMPUTE_PGM_RSRC2:TGID_Z_EN: 0
; COMPUTE_PGM_RSRC2:TIDIG_COMP_CNT: 0
	.section	.text._ZN7rocprim17ROCPRIM_400000_NS6detail44device_merge_sort_compile_time_verifier_archINS1_11comp_targetILNS1_3genE10ELNS1_11target_archE1201ELNS1_3gpuE5ELNS1_3repE0EEES8_NS0_14default_configES9_NS1_37merge_sort_block_sort_config_selectorImNS0_10empty_typeEEENS1_38merge_sort_block_merge_config_selectorImSB_EEEEvv,"axG",@progbits,_ZN7rocprim17ROCPRIM_400000_NS6detail44device_merge_sort_compile_time_verifier_archINS1_11comp_targetILNS1_3genE10ELNS1_11target_archE1201ELNS1_3gpuE5ELNS1_3repE0EEES8_NS0_14default_configES9_NS1_37merge_sort_block_sort_config_selectorImNS0_10empty_typeEEENS1_38merge_sort_block_merge_config_selectorImSB_EEEEvv,comdat
	.protected	_ZN7rocprim17ROCPRIM_400000_NS6detail44device_merge_sort_compile_time_verifier_archINS1_11comp_targetILNS1_3genE10ELNS1_11target_archE1201ELNS1_3gpuE5ELNS1_3repE0EEES8_NS0_14default_configES9_NS1_37merge_sort_block_sort_config_selectorImNS0_10empty_typeEEENS1_38merge_sort_block_merge_config_selectorImSB_EEEEvv ; -- Begin function _ZN7rocprim17ROCPRIM_400000_NS6detail44device_merge_sort_compile_time_verifier_archINS1_11comp_targetILNS1_3genE10ELNS1_11target_archE1201ELNS1_3gpuE5ELNS1_3repE0EEES8_NS0_14default_configES9_NS1_37merge_sort_block_sort_config_selectorImNS0_10empty_typeEEENS1_38merge_sort_block_merge_config_selectorImSB_EEEEvv
	.globl	_ZN7rocprim17ROCPRIM_400000_NS6detail44device_merge_sort_compile_time_verifier_archINS1_11comp_targetILNS1_3genE10ELNS1_11target_archE1201ELNS1_3gpuE5ELNS1_3repE0EEES8_NS0_14default_configES9_NS1_37merge_sort_block_sort_config_selectorImNS0_10empty_typeEEENS1_38merge_sort_block_merge_config_selectorImSB_EEEEvv
	.p2align	8
	.type	_ZN7rocprim17ROCPRIM_400000_NS6detail44device_merge_sort_compile_time_verifier_archINS1_11comp_targetILNS1_3genE10ELNS1_11target_archE1201ELNS1_3gpuE5ELNS1_3repE0EEES8_NS0_14default_configES9_NS1_37merge_sort_block_sort_config_selectorImNS0_10empty_typeEEENS1_38merge_sort_block_merge_config_selectorImSB_EEEEvv,@function
_ZN7rocprim17ROCPRIM_400000_NS6detail44device_merge_sort_compile_time_verifier_archINS1_11comp_targetILNS1_3genE10ELNS1_11target_archE1201ELNS1_3gpuE5ELNS1_3repE0EEES8_NS0_14default_configES9_NS1_37merge_sort_block_sort_config_selectorImNS0_10empty_typeEEENS1_38merge_sort_block_merge_config_selectorImSB_EEEEvv: ; @_ZN7rocprim17ROCPRIM_400000_NS6detail44device_merge_sort_compile_time_verifier_archINS1_11comp_targetILNS1_3genE10ELNS1_11target_archE1201ELNS1_3gpuE5ELNS1_3repE0EEES8_NS0_14default_configES9_NS1_37merge_sort_block_sort_config_selectorImNS0_10empty_typeEEENS1_38merge_sort_block_merge_config_selectorImSB_EEEEvv
; %bb.0:
	s_endpgm
	.section	.rodata,"a",@progbits
	.p2align	6, 0x0
	.amdhsa_kernel _ZN7rocprim17ROCPRIM_400000_NS6detail44device_merge_sort_compile_time_verifier_archINS1_11comp_targetILNS1_3genE10ELNS1_11target_archE1201ELNS1_3gpuE5ELNS1_3repE0EEES8_NS0_14default_configES9_NS1_37merge_sort_block_sort_config_selectorImNS0_10empty_typeEEENS1_38merge_sort_block_merge_config_selectorImSB_EEEEvv
		.amdhsa_group_segment_fixed_size 0
		.amdhsa_private_segment_fixed_size 0
		.amdhsa_kernarg_size 0
		.amdhsa_user_sgpr_count 4
		.amdhsa_user_sgpr_private_segment_buffer 1
		.amdhsa_user_sgpr_dispatch_ptr 0
		.amdhsa_user_sgpr_queue_ptr 0
		.amdhsa_user_sgpr_kernarg_segment_ptr 0
		.amdhsa_user_sgpr_dispatch_id 0
		.amdhsa_user_sgpr_flat_scratch_init 0
		.amdhsa_user_sgpr_private_segment_size 0
		.amdhsa_wavefront_size32 1
		.amdhsa_uses_dynamic_stack 0
		.amdhsa_system_sgpr_private_segment_wavefront_offset 0
		.amdhsa_system_sgpr_workgroup_id_x 1
		.amdhsa_system_sgpr_workgroup_id_y 0
		.amdhsa_system_sgpr_workgroup_id_z 0
		.amdhsa_system_sgpr_workgroup_info 0
		.amdhsa_system_vgpr_workitem_id 0
		.amdhsa_next_free_vgpr 1
		.amdhsa_next_free_sgpr 1
		.amdhsa_reserve_vcc 0
		.amdhsa_reserve_flat_scratch 0
		.amdhsa_float_round_mode_32 0
		.amdhsa_float_round_mode_16_64 0
		.amdhsa_float_denorm_mode_32 3
		.amdhsa_float_denorm_mode_16_64 3
		.amdhsa_dx10_clamp 1
		.amdhsa_ieee_mode 1
		.amdhsa_fp16_overflow 0
		.amdhsa_workgroup_processor_mode 1
		.amdhsa_memory_ordered 1
		.amdhsa_forward_progress 1
		.amdhsa_shared_vgpr_count 0
		.amdhsa_exception_fp_ieee_invalid_op 0
		.amdhsa_exception_fp_denorm_src 0
		.amdhsa_exception_fp_ieee_div_zero 0
		.amdhsa_exception_fp_ieee_overflow 0
		.amdhsa_exception_fp_ieee_underflow 0
		.amdhsa_exception_fp_ieee_inexact 0
		.amdhsa_exception_int_div_zero 0
	.end_amdhsa_kernel
	.section	.text._ZN7rocprim17ROCPRIM_400000_NS6detail44device_merge_sort_compile_time_verifier_archINS1_11comp_targetILNS1_3genE10ELNS1_11target_archE1201ELNS1_3gpuE5ELNS1_3repE0EEES8_NS0_14default_configES9_NS1_37merge_sort_block_sort_config_selectorImNS0_10empty_typeEEENS1_38merge_sort_block_merge_config_selectorImSB_EEEEvv,"axG",@progbits,_ZN7rocprim17ROCPRIM_400000_NS6detail44device_merge_sort_compile_time_verifier_archINS1_11comp_targetILNS1_3genE10ELNS1_11target_archE1201ELNS1_3gpuE5ELNS1_3repE0EEES8_NS0_14default_configES9_NS1_37merge_sort_block_sort_config_selectorImNS0_10empty_typeEEENS1_38merge_sort_block_merge_config_selectorImSB_EEEEvv,comdat
.Lfunc_end604:
	.size	_ZN7rocprim17ROCPRIM_400000_NS6detail44device_merge_sort_compile_time_verifier_archINS1_11comp_targetILNS1_3genE10ELNS1_11target_archE1201ELNS1_3gpuE5ELNS1_3repE0EEES8_NS0_14default_configES9_NS1_37merge_sort_block_sort_config_selectorImNS0_10empty_typeEEENS1_38merge_sort_block_merge_config_selectorImSB_EEEEvv, .Lfunc_end604-_ZN7rocprim17ROCPRIM_400000_NS6detail44device_merge_sort_compile_time_verifier_archINS1_11comp_targetILNS1_3genE10ELNS1_11target_archE1201ELNS1_3gpuE5ELNS1_3repE0EEES8_NS0_14default_configES9_NS1_37merge_sort_block_sort_config_selectorImNS0_10empty_typeEEENS1_38merge_sort_block_merge_config_selectorImSB_EEEEvv
                                        ; -- End function
	.set _ZN7rocprim17ROCPRIM_400000_NS6detail44device_merge_sort_compile_time_verifier_archINS1_11comp_targetILNS1_3genE10ELNS1_11target_archE1201ELNS1_3gpuE5ELNS1_3repE0EEES8_NS0_14default_configES9_NS1_37merge_sort_block_sort_config_selectorImNS0_10empty_typeEEENS1_38merge_sort_block_merge_config_selectorImSB_EEEEvv.num_vgpr, 0
	.set _ZN7rocprim17ROCPRIM_400000_NS6detail44device_merge_sort_compile_time_verifier_archINS1_11comp_targetILNS1_3genE10ELNS1_11target_archE1201ELNS1_3gpuE5ELNS1_3repE0EEES8_NS0_14default_configES9_NS1_37merge_sort_block_sort_config_selectorImNS0_10empty_typeEEENS1_38merge_sort_block_merge_config_selectorImSB_EEEEvv.num_agpr, 0
	.set _ZN7rocprim17ROCPRIM_400000_NS6detail44device_merge_sort_compile_time_verifier_archINS1_11comp_targetILNS1_3genE10ELNS1_11target_archE1201ELNS1_3gpuE5ELNS1_3repE0EEES8_NS0_14default_configES9_NS1_37merge_sort_block_sort_config_selectorImNS0_10empty_typeEEENS1_38merge_sort_block_merge_config_selectorImSB_EEEEvv.numbered_sgpr, 0
	.set _ZN7rocprim17ROCPRIM_400000_NS6detail44device_merge_sort_compile_time_verifier_archINS1_11comp_targetILNS1_3genE10ELNS1_11target_archE1201ELNS1_3gpuE5ELNS1_3repE0EEES8_NS0_14default_configES9_NS1_37merge_sort_block_sort_config_selectorImNS0_10empty_typeEEENS1_38merge_sort_block_merge_config_selectorImSB_EEEEvv.num_named_barrier, 0
	.set _ZN7rocprim17ROCPRIM_400000_NS6detail44device_merge_sort_compile_time_verifier_archINS1_11comp_targetILNS1_3genE10ELNS1_11target_archE1201ELNS1_3gpuE5ELNS1_3repE0EEES8_NS0_14default_configES9_NS1_37merge_sort_block_sort_config_selectorImNS0_10empty_typeEEENS1_38merge_sort_block_merge_config_selectorImSB_EEEEvv.private_seg_size, 0
	.set _ZN7rocprim17ROCPRIM_400000_NS6detail44device_merge_sort_compile_time_verifier_archINS1_11comp_targetILNS1_3genE10ELNS1_11target_archE1201ELNS1_3gpuE5ELNS1_3repE0EEES8_NS0_14default_configES9_NS1_37merge_sort_block_sort_config_selectorImNS0_10empty_typeEEENS1_38merge_sort_block_merge_config_selectorImSB_EEEEvv.uses_vcc, 0
	.set _ZN7rocprim17ROCPRIM_400000_NS6detail44device_merge_sort_compile_time_verifier_archINS1_11comp_targetILNS1_3genE10ELNS1_11target_archE1201ELNS1_3gpuE5ELNS1_3repE0EEES8_NS0_14default_configES9_NS1_37merge_sort_block_sort_config_selectorImNS0_10empty_typeEEENS1_38merge_sort_block_merge_config_selectorImSB_EEEEvv.uses_flat_scratch, 0
	.set _ZN7rocprim17ROCPRIM_400000_NS6detail44device_merge_sort_compile_time_verifier_archINS1_11comp_targetILNS1_3genE10ELNS1_11target_archE1201ELNS1_3gpuE5ELNS1_3repE0EEES8_NS0_14default_configES9_NS1_37merge_sort_block_sort_config_selectorImNS0_10empty_typeEEENS1_38merge_sort_block_merge_config_selectorImSB_EEEEvv.has_dyn_sized_stack, 0
	.set _ZN7rocprim17ROCPRIM_400000_NS6detail44device_merge_sort_compile_time_verifier_archINS1_11comp_targetILNS1_3genE10ELNS1_11target_archE1201ELNS1_3gpuE5ELNS1_3repE0EEES8_NS0_14default_configES9_NS1_37merge_sort_block_sort_config_selectorImNS0_10empty_typeEEENS1_38merge_sort_block_merge_config_selectorImSB_EEEEvv.has_recursion, 0
	.set _ZN7rocprim17ROCPRIM_400000_NS6detail44device_merge_sort_compile_time_verifier_archINS1_11comp_targetILNS1_3genE10ELNS1_11target_archE1201ELNS1_3gpuE5ELNS1_3repE0EEES8_NS0_14default_configES9_NS1_37merge_sort_block_sort_config_selectorImNS0_10empty_typeEEENS1_38merge_sort_block_merge_config_selectorImSB_EEEEvv.has_indirect_call, 0
	.section	.AMDGPU.csdata,"",@progbits
; Kernel info:
; codeLenInByte = 4
; TotalNumSgprs: 0
; NumVgprs: 0
; ScratchSize: 0
; MemoryBound: 0
; FloatMode: 240
; IeeeMode: 1
; LDSByteSize: 0 bytes/workgroup (compile time only)
; SGPRBlocks: 0
; VGPRBlocks: 0
; NumSGPRsForWavesPerEU: 1
; NumVGPRsForWavesPerEU: 1
; Occupancy: 16
; WaveLimiterHint : 0
; COMPUTE_PGM_RSRC2:SCRATCH_EN: 0
; COMPUTE_PGM_RSRC2:USER_SGPR: 4
; COMPUTE_PGM_RSRC2:TRAP_HANDLER: 0
; COMPUTE_PGM_RSRC2:TGID_X_EN: 1
; COMPUTE_PGM_RSRC2:TGID_Y_EN: 0
; COMPUTE_PGM_RSRC2:TGID_Z_EN: 0
; COMPUTE_PGM_RSRC2:TIDIG_COMP_CNT: 0
	.section	.text._ZN7rocprim17ROCPRIM_400000_NS6detail44device_merge_sort_compile_time_verifier_archINS1_11comp_targetILNS1_3genE10ELNS1_11target_archE1200ELNS1_3gpuE4ELNS1_3repE0EEENS3_ILS4_10ELS5_1201ELS6_5ELS7_0EEENS0_14default_configESA_NS1_37merge_sort_block_sort_config_selectorImNS0_10empty_typeEEENS1_38merge_sort_block_merge_config_selectorImSC_EEEEvv,"axG",@progbits,_ZN7rocprim17ROCPRIM_400000_NS6detail44device_merge_sort_compile_time_verifier_archINS1_11comp_targetILNS1_3genE10ELNS1_11target_archE1200ELNS1_3gpuE4ELNS1_3repE0EEENS3_ILS4_10ELS5_1201ELS6_5ELS7_0EEENS0_14default_configESA_NS1_37merge_sort_block_sort_config_selectorImNS0_10empty_typeEEENS1_38merge_sort_block_merge_config_selectorImSC_EEEEvv,comdat
	.protected	_ZN7rocprim17ROCPRIM_400000_NS6detail44device_merge_sort_compile_time_verifier_archINS1_11comp_targetILNS1_3genE10ELNS1_11target_archE1200ELNS1_3gpuE4ELNS1_3repE0EEENS3_ILS4_10ELS5_1201ELS6_5ELS7_0EEENS0_14default_configESA_NS1_37merge_sort_block_sort_config_selectorImNS0_10empty_typeEEENS1_38merge_sort_block_merge_config_selectorImSC_EEEEvv ; -- Begin function _ZN7rocprim17ROCPRIM_400000_NS6detail44device_merge_sort_compile_time_verifier_archINS1_11comp_targetILNS1_3genE10ELNS1_11target_archE1200ELNS1_3gpuE4ELNS1_3repE0EEENS3_ILS4_10ELS5_1201ELS6_5ELS7_0EEENS0_14default_configESA_NS1_37merge_sort_block_sort_config_selectorImNS0_10empty_typeEEENS1_38merge_sort_block_merge_config_selectorImSC_EEEEvv
	.globl	_ZN7rocprim17ROCPRIM_400000_NS6detail44device_merge_sort_compile_time_verifier_archINS1_11comp_targetILNS1_3genE10ELNS1_11target_archE1200ELNS1_3gpuE4ELNS1_3repE0EEENS3_ILS4_10ELS5_1201ELS6_5ELS7_0EEENS0_14default_configESA_NS1_37merge_sort_block_sort_config_selectorImNS0_10empty_typeEEENS1_38merge_sort_block_merge_config_selectorImSC_EEEEvv
	.p2align	8
	.type	_ZN7rocprim17ROCPRIM_400000_NS6detail44device_merge_sort_compile_time_verifier_archINS1_11comp_targetILNS1_3genE10ELNS1_11target_archE1200ELNS1_3gpuE4ELNS1_3repE0EEENS3_ILS4_10ELS5_1201ELS6_5ELS7_0EEENS0_14default_configESA_NS1_37merge_sort_block_sort_config_selectorImNS0_10empty_typeEEENS1_38merge_sort_block_merge_config_selectorImSC_EEEEvv,@function
_ZN7rocprim17ROCPRIM_400000_NS6detail44device_merge_sort_compile_time_verifier_archINS1_11comp_targetILNS1_3genE10ELNS1_11target_archE1200ELNS1_3gpuE4ELNS1_3repE0EEENS3_ILS4_10ELS5_1201ELS6_5ELS7_0EEENS0_14default_configESA_NS1_37merge_sort_block_sort_config_selectorImNS0_10empty_typeEEENS1_38merge_sort_block_merge_config_selectorImSC_EEEEvv: ; @_ZN7rocprim17ROCPRIM_400000_NS6detail44device_merge_sort_compile_time_verifier_archINS1_11comp_targetILNS1_3genE10ELNS1_11target_archE1200ELNS1_3gpuE4ELNS1_3repE0EEENS3_ILS4_10ELS5_1201ELS6_5ELS7_0EEENS0_14default_configESA_NS1_37merge_sort_block_sort_config_selectorImNS0_10empty_typeEEENS1_38merge_sort_block_merge_config_selectorImSC_EEEEvv
; %bb.0:
	s_endpgm
	.section	.rodata,"a",@progbits
	.p2align	6, 0x0
	.amdhsa_kernel _ZN7rocprim17ROCPRIM_400000_NS6detail44device_merge_sort_compile_time_verifier_archINS1_11comp_targetILNS1_3genE10ELNS1_11target_archE1200ELNS1_3gpuE4ELNS1_3repE0EEENS3_ILS4_10ELS5_1201ELS6_5ELS7_0EEENS0_14default_configESA_NS1_37merge_sort_block_sort_config_selectorImNS0_10empty_typeEEENS1_38merge_sort_block_merge_config_selectorImSC_EEEEvv
		.amdhsa_group_segment_fixed_size 0
		.amdhsa_private_segment_fixed_size 0
		.amdhsa_kernarg_size 0
		.amdhsa_user_sgpr_count 4
		.amdhsa_user_sgpr_private_segment_buffer 1
		.amdhsa_user_sgpr_dispatch_ptr 0
		.amdhsa_user_sgpr_queue_ptr 0
		.amdhsa_user_sgpr_kernarg_segment_ptr 0
		.amdhsa_user_sgpr_dispatch_id 0
		.amdhsa_user_sgpr_flat_scratch_init 0
		.amdhsa_user_sgpr_private_segment_size 0
		.amdhsa_wavefront_size32 1
		.amdhsa_uses_dynamic_stack 0
		.amdhsa_system_sgpr_private_segment_wavefront_offset 0
		.amdhsa_system_sgpr_workgroup_id_x 1
		.amdhsa_system_sgpr_workgroup_id_y 0
		.amdhsa_system_sgpr_workgroup_id_z 0
		.amdhsa_system_sgpr_workgroup_info 0
		.amdhsa_system_vgpr_workitem_id 0
		.amdhsa_next_free_vgpr 1
		.amdhsa_next_free_sgpr 1
		.amdhsa_reserve_vcc 0
		.amdhsa_reserve_flat_scratch 0
		.amdhsa_float_round_mode_32 0
		.amdhsa_float_round_mode_16_64 0
		.amdhsa_float_denorm_mode_32 3
		.amdhsa_float_denorm_mode_16_64 3
		.amdhsa_dx10_clamp 1
		.amdhsa_ieee_mode 1
		.amdhsa_fp16_overflow 0
		.amdhsa_workgroup_processor_mode 1
		.amdhsa_memory_ordered 1
		.amdhsa_forward_progress 1
		.amdhsa_shared_vgpr_count 0
		.amdhsa_exception_fp_ieee_invalid_op 0
		.amdhsa_exception_fp_denorm_src 0
		.amdhsa_exception_fp_ieee_div_zero 0
		.amdhsa_exception_fp_ieee_overflow 0
		.amdhsa_exception_fp_ieee_underflow 0
		.amdhsa_exception_fp_ieee_inexact 0
		.amdhsa_exception_int_div_zero 0
	.end_amdhsa_kernel
	.section	.text._ZN7rocprim17ROCPRIM_400000_NS6detail44device_merge_sort_compile_time_verifier_archINS1_11comp_targetILNS1_3genE10ELNS1_11target_archE1200ELNS1_3gpuE4ELNS1_3repE0EEENS3_ILS4_10ELS5_1201ELS6_5ELS7_0EEENS0_14default_configESA_NS1_37merge_sort_block_sort_config_selectorImNS0_10empty_typeEEENS1_38merge_sort_block_merge_config_selectorImSC_EEEEvv,"axG",@progbits,_ZN7rocprim17ROCPRIM_400000_NS6detail44device_merge_sort_compile_time_verifier_archINS1_11comp_targetILNS1_3genE10ELNS1_11target_archE1200ELNS1_3gpuE4ELNS1_3repE0EEENS3_ILS4_10ELS5_1201ELS6_5ELS7_0EEENS0_14default_configESA_NS1_37merge_sort_block_sort_config_selectorImNS0_10empty_typeEEENS1_38merge_sort_block_merge_config_selectorImSC_EEEEvv,comdat
.Lfunc_end605:
	.size	_ZN7rocprim17ROCPRIM_400000_NS6detail44device_merge_sort_compile_time_verifier_archINS1_11comp_targetILNS1_3genE10ELNS1_11target_archE1200ELNS1_3gpuE4ELNS1_3repE0EEENS3_ILS4_10ELS5_1201ELS6_5ELS7_0EEENS0_14default_configESA_NS1_37merge_sort_block_sort_config_selectorImNS0_10empty_typeEEENS1_38merge_sort_block_merge_config_selectorImSC_EEEEvv, .Lfunc_end605-_ZN7rocprim17ROCPRIM_400000_NS6detail44device_merge_sort_compile_time_verifier_archINS1_11comp_targetILNS1_3genE10ELNS1_11target_archE1200ELNS1_3gpuE4ELNS1_3repE0EEENS3_ILS4_10ELS5_1201ELS6_5ELS7_0EEENS0_14default_configESA_NS1_37merge_sort_block_sort_config_selectorImNS0_10empty_typeEEENS1_38merge_sort_block_merge_config_selectorImSC_EEEEvv
                                        ; -- End function
	.set _ZN7rocprim17ROCPRIM_400000_NS6detail44device_merge_sort_compile_time_verifier_archINS1_11comp_targetILNS1_3genE10ELNS1_11target_archE1200ELNS1_3gpuE4ELNS1_3repE0EEENS3_ILS4_10ELS5_1201ELS6_5ELS7_0EEENS0_14default_configESA_NS1_37merge_sort_block_sort_config_selectorImNS0_10empty_typeEEENS1_38merge_sort_block_merge_config_selectorImSC_EEEEvv.num_vgpr, 0
	.set _ZN7rocprim17ROCPRIM_400000_NS6detail44device_merge_sort_compile_time_verifier_archINS1_11comp_targetILNS1_3genE10ELNS1_11target_archE1200ELNS1_3gpuE4ELNS1_3repE0EEENS3_ILS4_10ELS5_1201ELS6_5ELS7_0EEENS0_14default_configESA_NS1_37merge_sort_block_sort_config_selectorImNS0_10empty_typeEEENS1_38merge_sort_block_merge_config_selectorImSC_EEEEvv.num_agpr, 0
	.set _ZN7rocprim17ROCPRIM_400000_NS6detail44device_merge_sort_compile_time_verifier_archINS1_11comp_targetILNS1_3genE10ELNS1_11target_archE1200ELNS1_3gpuE4ELNS1_3repE0EEENS3_ILS4_10ELS5_1201ELS6_5ELS7_0EEENS0_14default_configESA_NS1_37merge_sort_block_sort_config_selectorImNS0_10empty_typeEEENS1_38merge_sort_block_merge_config_selectorImSC_EEEEvv.numbered_sgpr, 0
	.set _ZN7rocprim17ROCPRIM_400000_NS6detail44device_merge_sort_compile_time_verifier_archINS1_11comp_targetILNS1_3genE10ELNS1_11target_archE1200ELNS1_3gpuE4ELNS1_3repE0EEENS3_ILS4_10ELS5_1201ELS6_5ELS7_0EEENS0_14default_configESA_NS1_37merge_sort_block_sort_config_selectorImNS0_10empty_typeEEENS1_38merge_sort_block_merge_config_selectorImSC_EEEEvv.num_named_barrier, 0
	.set _ZN7rocprim17ROCPRIM_400000_NS6detail44device_merge_sort_compile_time_verifier_archINS1_11comp_targetILNS1_3genE10ELNS1_11target_archE1200ELNS1_3gpuE4ELNS1_3repE0EEENS3_ILS4_10ELS5_1201ELS6_5ELS7_0EEENS0_14default_configESA_NS1_37merge_sort_block_sort_config_selectorImNS0_10empty_typeEEENS1_38merge_sort_block_merge_config_selectorImSC_EEEEvv.private_seg_size, 0
	.set _ZN7rocprim17ROCPRIM_400000_NS6detail44device_merge_sort_compile_time_verifier_archINS1_11comp_targetILNS1_3genE10ELNS1_11target_archE1200ELNS1_3gpuE4ELNS1_3repE0EEENS3_ILS4_10ELS5_1201ELS6_5ELS7_0EEENS0_14default_configESA_NS1_37merge_sort_block_sort_config_selectorImNS0_10empty_typeEEENS1_38merge_sort_block_merge_config_selectorImSC_EEEEvv.uses_vcc, 0
	.set _ZN7rocprim17ROCPRIM_400000_NS6detail44device_merge_sort_compile_time_verifier_archINS1_11comp_targetILNS1_3genE10ELNS1_11target_archE1200ELNS1_3gpuE4ELNS1_3repE0EEENS3_ILS4_10ELS5_1201ELS6_5ELS7_0EEENS0_14default_configESA_NS1_37merge_sort_block_sort_config_selectorImNS0_10empty_typeEEENS1_38merge_sort_block_merge_config_selectorImSC_EEEEvv.uses_flat_scratch, 0
	.set _ZN7rocprim17ROCPRIM_400000_NS6detail44device_merge_sort_compile_time_verifier_archINS1_11comp_targetILNS1_3genE10ELNS1_11target_archE1200ELNS1_3gpuE4ELNS1_3repE0EEENS3_ILS4_10ELS5_1201ELS6_5ELS7_0EEENS0_14default_configESA_NS1_37merge_sort_block_sort_config_selectorImNS0_10empty_typeEEENS1_38merge_sort_block_merge_config_selectorImSC_EEEEvv.has_dyn_sized_stack, 0
	.set _ZN7rocprim17ROCPRIM_400000_NS6detail44device_merge_sort_compile_time_verifier_archINS1_11comp_targetILNS1_3genE10ELNS1_11target_archE1200ELNS1_3gpuE4ELNS1_3repE0EEENS3_ILS4_10ELS5_1201ELS6_5ELS7_0EEENS0_14default_configESA_NS1_37merge_sort_block_sort_config_selectorImNS0_10empty_typeEEENS1_38merge_sort_block_merge_config_selectorImSC_EEEEvv.has_recursion, 0
	.set _ZN7rocprim17ROCPRIM_400000_NS6detail44device_merge_sort_compile_time_verifier_archINS1_11comp_targetILNS1_3genE10ELNS1_11target_archE1200ELNS1_3gpuE4ELNS1_3repE0EEENS3_ILS4_10ELS5_1201ELS6_5ELS7_0EEENS0_14default_configESA_NS1_37merge_sort_block_sort_config_selectorImNS0_10empty_typeEEENS1_38merge_sort_block_merge_config_selectorImSC_EEEEvv.has_indirect_call, 0
	.section	.AMDGPU.csdata,"",@progbits
; Kernel info:
; codeLenInByte = 4
; TotalNumSgprs: 0
; NumVgprs: 0
; ScratchSize: 0
; MemoryBound: 0
; FloatMode: 240
; IeeeMode: 1
; LDSByteSize: 0 bytes/workgroup (compile time only)
; SGPRBlocks: 0
; VGPRBlocks: 0
; NumSGPRsForWavesPerEU: 1
; NumVGPRsForWavesPerEU: 1
; Occupancy: 16
; WaveLimiterHint : 0
; COMPUTE_PGM_RSRC2:SCRATCH_EN: 0
; COMPUTE_PGM_RSRC2:USER_SGPR: 4
; COMPUTE_PGM_RSRC2:TRAP_HANDLER: 0
; COMPUTE_PGM_RSRC2:TGID_X_EN: 1
; COMPUTE_PGM_RSRC2:TGID_Y_EN: 0
; COMPUTE_PGM_RSRC2:TGID_Z_EN: 0
; COMPUTE_PGM_RSRC2:TIDIG_COMP_CNT: 0
	.section	.text._ZN7rocprim17ROCPRIM_400000_NS6detail44device_merge_sort_compile_time_verifier_archINS1_11comp_targetILNS1_3genE9ELNS1_11target_archE1100ELNS1_3gpuE3ELNS1_3repE0EEES8_NS0_14default_configES9_NS1_37merge_sort_block_sort_config_selectorImNS0_10empty_typeEEENS1_38merge_sort_block_merge_config_selectorImSB_EEEEvv,"axG",@progbits,_ZN7rocprim17ROCPRIM_400000_NS6detail44device_merge_sort_compile_time_verifier_archINS1_11comp_targetILNS1_3genE9ELNS1_11target_archE1100ELNS1_3gpuE3ELNS1_3repE0EEES8_NS0_14default_configES9_NS1_37merge_sort_block_sort_config_selectorImNS0_10empty_typeEEENS1_38merge_sort_block_merge_config_selectorImSB_EEEEvv,comdat
	.protected	_ZN7rocprim17ROCPRIM_400000_NS6detail44device_merge_sort_compile_time_verifier_archINS1_11comp_targetILNS1_3genE9ELNS1_11target_archE1100ELNS1_3gpuE3ELNS1_3repE0EEES8_NS0_14default_configES9_NS1_37merge_sort_block_sort_config_selectorImNS0_10empty_typeEEENS1_38merge_sort_block_merge_config_selectorImSB_EEEEvv ; -- Begin function _ZN7rocprim17ROCPRIM_400000_NS6detail44device_merge_sort_compile_time_verifier_archINS1_11comp_targetILNS1_3genE9ELNS1_11target_archE1100ELNS1_3gpuE3ELNS1_3repE0EEES8_NS0_14default_configES9_NS1_37merge_sort_block_sort_config_selectorImNS0_10empty_typeEEENS1_38merge_sort_block_merge_config_selectorImSB_EEEEvv
	.globl	_ZN7rocprim17ROCPRIM_400000_NS6detail44device_merge_sort_compile_time_verifier_archINS1_11comp_targetILNS1_3genE9ELNS1_11target_archE1100ELNS1_3gpuE3ELNS1_3repE0EEES8_NS0_14default_configES9_NS1_37merge_sort_block_sort_config_selectorImNS0_10empty_typeEEENS1_38merge_sort_block_merge_config_selectorImSB_EEEEvv
	.p2align	8
	.type	_ZN7rocprim17ROCPRIM_400000_NS6detail44device_merge_sort_compile_time_verifier_archINS1_11comp_targetILNS1_3genE9ELNS1_11target_archE1100ELNS1_3gpuE3ELNS1_3repE0EEES8_NS0_14default_configES9_NS1_37merge_sort_block_sort_config_selectorImNS0_10empty_typeEEENS1_38merge_sort_block_merge_config_selectorImSB_EEEEvv,@function
_ZN7rocprim17ROCPRIM_400000_NS6detail44device_merge_sort_compile_time_verifier_archINS1_11comp_targetILNS1_3genE9ELNS1_11target_archE1100ELNS1_3gpuE3ELNS1_3repE0EEES8_NS0_14default_configES9_NS1_37merge_sort_block_sort_config_selectorImNS0_10empty_typeEEENS1_38merge_sort_block_merge_config_selectorImSB_EEEEvv: ; @_ZN7rocprim17ROCPRIM_400000_NS6detail44device_merge_sort_compile_time_verifier_archINS1_11comp_targetILNS1_3genE9ELNS1_11target_archE1100ELNS1_3gpuE3ELNS1_3repE0EEES8_NS0_14default_configES9_NS1_37merge_sort_block_sort_config_selectorImNS0_10empty_typeEEENS1_38merge_sort_block_merge_config_selectorImSB_EEEEvv
; %bb.0:
	s_endpgm
	.section	.rodata,"a",@progbits
	.p2align	6, 0x0
	.amdhsa_kernel _ZN7rocprim17ROCPRIM_400000_NS6detail44device_merge_sort_compile_time_verifier_archINS1_11comp_targetILNS1_3genE9ELNS1_11target_archE1100ELNS1_3gpuE3ELNS1_3repE0EEES8_NS0_14default_configES9_NS1_37merge_sort_block_sort_config_selectorImNS0_10empty_typeEEENS1_38merge_sort_block_merge_config_selectorImSB_EEEEvv
		.amdhsa_group_segment_fixed_size 0
		.amdhsa_private_segment_fixed_size 0
		.amdhsa_kernarg_size 0
		.amdhsa_user_sgpr_count 4
		.amdhsa_user_sgpr_private_segment_buffer 1
		.amdhsa_user_sgpr_dispatch_ptr 0
		.amdhsa_user_sgpr_queue_ptr 0
		.amdhsa_user_sgpr_kernarg_segment_ptr 0
		.amdhsa_user_sgpr_dispatch_id 0
		.amdhsa_user_sgpr_flat_scratch_init 0
		.amdhsa_user_sgpr_private_segment_size 0
		.amdhsa_wavefront_size32 1
		.amdhsa_uses_dynamic_stack 0
		.amdhsa_system_sgpr_private_segment_wavefront_offset 0
		.amdhsa_system_sgpr_workgroup_id_x 1
		.amdhsa_system_sgpr_workgroup_id_y 0
		.amdhsa_system_sgpr_workgroup_id_z 0
		.amdhsa_system_sgpr_workgroup_info 0
		.amdhsa_system_vgpr_workitem_id 0
		.amdhsa_next_free_vgpr 1
		.amdhsa_next_free_sgpr 1
		.amdhsa_reserve_vcc 0
		.amdhsa_reserve_flat_scratch 0
		.amdhsa_float_round_mode_32 0
		.amdhsa_float_round_mode_16_64 0
		.amdhsa_float_denorm_mode_32 3
		.amdhsa_float_denorm_mode_16_64 3
		.amdhsa_dx10_clamp 1
		.amdhsa_ieee_mode 1
		.amdhsa_fp16_overflow 0
		.amdhsa_workgroup_processor_mode 1
		.amdhsa_memory_ordered 1
		.amdhsa_forward_progress 1
		.amdhsa_shared_vgpr_count 0
		.amdhsa_exception_fp_ieee_invalid_op 0
		.amdhsa_exception_fp_denorm_src 0
		.amdhsa_exception_fp_ieee_div_zero 0
		.amdhsa_exception_fp_ieee_overflow 0
		.amdhsa_exception_fp_ieee_underflow 0
		.amdhsa_exception_fp_ieee_inexact 0
		.amdhsa_exception_int_div_zero 0
	.end_amdhsa_kernel
	.section	.text._ZN7rocprim17ROCPRIM_400000_NS6detail44device_merge_sort_compile_time_verifier_archINS1_11comp_targetILNS1_3genE9ELNS1_11target_archE1100ELNS1_3gpuE3ELNS1_3repE0EEES8_NS0_14default_configES9_NS1_37merge_sort_block_sort_config_selectorImNS0_10empty_typeEEENS1_38merge_sort_block_merge_config_selectorImSB_EEEEvv,"axG",@progbits,_ZN7rocprim17ROCPRIM_400000_NS6detail44device_merge_sort_compile_time_verifier_archINS1_11comp_targetILNS1_3genE9ELNS1_11target_archE1100ELNS1_3gpuE3ELNS1_3repE0EEES8_NS0_14default_configES9_NS1_37merge_sort_block_sort_config_selectorImNS0_10empty_typeEEENS1_38merge_sort_block_merge_config_selectorImSB_EEEEvv,comdat
.Lfunc_end606:
	.size	_ZN7rocprim17ROCPRIM_400000_NS6detail44device_merge_sort_compile_time_verifier_archINS1_11comp_targetILNS1_3genE9ELNS1_11target_archE1100ELNS1_3gpuE3ELNS1_3repE0EEES8_NS0_14default_configES9_NS1_37merge_sort_block_sort_config_selectorImNS0_10empty_typeEEENS1_38merge_sort_block_merge_config_selectorImSB_EEEEvv, .Lfunc_end606-_ZN7rocprim17ROCPRIM_400000_NS6detail44device_merge_sort_compile_time_verifier_archINS1_11comp_targetILNS1_3genE9ELNS1_11target_archE1100ELNS1_3gpuE3ELNS1_3repE0EEES8_NS0_14default_configES9_NS1_37merge_sort_block_sort_config_selectorImNS0_10empty_typeEEENS1_38merge_sort_block_merge_config_selectorImSB_EEEEvv
                                        ; -- End function
	.set _ZN7rocprim17ROCPRIM_400000_NS6detail44device_merge_sort_compile_time_verifier_archINS1_11comp_targetILNS1_3genE9ELNS1_11target_archE1100ELNS1_3gpuE3ELNS1_3repE0EEES8_NS0_14default_configES9_NS1_37merge_sort_block_sort_config_selectorImNS0_10empty_typeEEENS1_38merge_sort_block_merge_config_selectorImSB_EEEEvv.num_vgpr, 0
	.set _ZN7rocprim17ROCPRIM_400000_NS6detail44device_merge_sort_compile_time_verifier_archINS1_11comp_targetILNS1_3genE9ELNS1_11target_archE1100ELNS1_3gpuE3ELNS1_3repE0EEES8_NS0_14default_configES9_NS1_37merge_sort_block_sort_config_selectorImNS0_10empty_typeEEENS1_38merge_sort_block_merge_config_selectorImSB_EEEEvv.num_agpr, 0
	.set _ZN7rocprim17ROCPRIM_400000_NS6detail44device_merge_sort_compile_time_verifier_archINS1_11comp_targetILNS1_3genE9ELNS1_11target_archE1100ELNS1_3gpuE3ELNS1_3repE0EEES8_NS0_14default_configES9_NS1_37merge_sort_block_sort_config_selectorImNS0_10empty_typeEEENS1_38merge_sort_block_merge_config_selectorImSB_EEEEvv.numbered_sgpr, 0
	.set _ZN7rocprim17ROCPRIM_400000_NS6detail44device_merge_sort_compile_time_verifier_archINS1_11comp_targetILNS1_3genE9ELNS1_11target_archE1100ELNS1_3gpuE3ELNS1_3repE0EEES8_NS0_14default_configES9_NS1_37merge_sort_block_sort_config_selectorImNS0_10empty_typeEEENS1_38merge_sort_block_merge_config_selectorImSB_EEEEvv.num_named_barrier, 0
	.set _ZN7rocprim17ROCPRIM_400000_NS6detail44device_merge_sort_compile_time_verifier_archINS1_11comp_targetILNS1_3genE9ELNS1_11target_archE1100ELNS1_3gpuE3ELNS1_3repE0EEES8_NS0_14default_configES9_NS1_37merge_sort_block_sort_config_selectorImNS0_10empty_typeEEENS1_38merge_sort_block_merge_config_selectorImSB_EEEEvv.private_seg_size, 0
	.set _ZN7rocprim17ROCPRIM_400000_NS6detail44device_merge_sort_compile_time_verifier_archINS1_11comp_targetILNS1_3genE9ELNS1_11target_archE1100ELNS1_3gpuE3ELNS1_3repE0EEES8_NS0_14default_configES9_NS1_37merge_sort_block_sort_config_selectorImNS0_10empty_typeEEENS1_38merge_sort_block_merge_config_selectorImSB_EEEEvv.uses_vcc, 0
	.set _ZN7rocprim17ROCPRIM_400000_NS6detail44device_merge_sort_compile_time_verifier_archINS1_11comp_targetILNS1_3genE9ELNS1_11target_archE1100ELNS1_3gpuE3ELNS1_3repE0EEES8_NS0_14default_configES9_NS1_37merge_sort_block_sort_config_selectorImNS0_10empty_typeEEENS1_38merge_sort_block_merge_config_selectorImSB_EEEEvv.uses_flat_scratch, 0
	.set _ZN7rocprim17ROCPRIM_400000_NS6detail44device_merge_sort_compile_time_verifier_archINS1_11comp_targetILNS1_3genE9ELNS1_11target_archE1100ELNS1_3gpuE3ELNS1_3repE0EEES8_NS0_14default_configES9_NS1_37merge_sort_block_sort_config_selectorImNS0_10empty_typeEEENS1_38merge_sort_block_merge_config_selectorImSB_EEEEvv.has_dyn_sized_stack, 0
	.set _ZN7rocprim17ROCPRIM_400000_NS6detail44device_merge_sort_compile_time_verifier_archINS1_11comp_targetILNS1_3genE9ELNS1_11target_archE1100ELNS1_3gpuE3ELNS1_3repE0EEES8_NS0_14default_configES9_NS1_37merge_sort_block_sort_config_selectorImNS0_10empty_typeEEENS1_38merge_sort_block_merge_config_selectorImSB_EEEEvv.has_recursion, 0
	.set _ZN7rocprim17ROCPRIM_400000_NS6detail44device_merge_sort_compile_time_verifier_archINS1_11comp_targetILNS1_3genE9ELNS1_11target_archE1100ELNS1_3gpuE3ELNS1_3repE0EEES8_NS0_14default_configES9_NS1_37merge_sort_block_sort_config_selectorImNS0_10empty_typeEEENS1_38merge_sort_block_merge_config_selectorImSB_EEEEvv.has_indirect_call, 0
	.section	.AMDGPU.csdata,"",@progbits
; Kernel info:
; codeLenInByte = 4
; TotalNumSgprs: 0
; NumVgprs: 0
; ScratchSize: 0
; MemoryBound: 0
; FloatMode: 240
; IeeeMode: 1
; LDSByteSize: 0 bytes/workgroup (compile time only)
; SGPRBlocks: 0
; VGPRBlocks: 0
; NumSGPRsForWavesPerEU: 1
; NumVGPRsForWavesPerEU: 1
; Occupancy: 16
; WaveLimiterHint : 0
; COMPUTE_PGM_RSRC2:SCRATCH_EN: 0
; COMPUTE_PGM_RSRC2:USER_SGPR: 4
; COMPUTE_PGM_RSRC2:TRAP_HANDLER: 0
; COMPUTE_PGM_RSRC2:TGID_X_EN: 1
; COMPUTE_PGM_RSRC2:TGID_Y_EN: 0
; COMPUTE_PGM_RSRC2:TGID_Z_EN: 0
; COMPUTE_PGM_RSRC2:TIDIG_COMP_CNT: 0
	.section	.text._ZN7rocprim17ROCPRIM_400000_NS6detail44device_merge_sort_compile_time_verifier_archINS1_11comp_targetILNS1_3genE8ELNS1_11target_archE1030ELNS1_3gpuE2ELNS1_3repE0EEES8_NS0_14default_configES9_NS1_37merge_sort_block_sort_config_selectorImNS0_10empty_typeEEENS1_38merge_sort_block_merge_config_selectorImSB_EEEEvv,"axG",@progbits,_ZN7rocprim17ROCPRIM_400000_NS6detail44device_merge_sort_compile_time_verifier_archINS1_11comp_targetILNS1_3genE8ELNS1_11target_archE1030ELNS1_3gpuE2ELNS1_3repE0EEES8_NS0_14default_configES9_NS1_37merge_sort_block_sort_config_selectorImNS0_10empty_typeEEENS1_38merge_sort_block_merge_config_selectorImSB_EEEEvv,comdat
	.protected	_ZN7rocprim17ROCPRIM_400000_NS6detail44device_merge_sort_compile_time_verifier_archINS1_11comp_targetILNS1_3genE8ELNS1_11target_archE1030ELNS1_3gpuE2ELNS1_3repE0EEES8_NS0_14default_configES9_NS1_37merge_sort_block_sort_config_selectorImNS0_10empty_typeEEENS1_38merge_sort_block_merge_config_selectorImSB_EEEEvv ; -- Begin function _ZN7rocprim17ROCPRIM_400000_NS6detail44device_merge_sort_compile_time_verifier_archINS1_11comp_targetILNS1_3genE8ELNS1_11target_archE1030ELNS1_3gpuE2ELNS1_3repE0EEES8_NS0_14default_configES9_NS1_37merge_sort_block_sort_config_selectorImNS0_10empty_typeEEENS1_38merge_sort_block_merge_config_selectorImSB_EEEEvv
	.globl	_ZN7rocprim17ROCPRIM_400000_NS6detail44device_merge_sort_compile_time_verifier_archINS1_11comp_targetILNS1_3genE8ELNS1_11target_archE1030ELNS1_3gpuE2ELNS1_3repE0EEES8_NS0_14default_configES9_NS1_37merge_sort_block_sort_config_selectorImNS0_10empty_typeEEENS1_38merge_sort_block_merge_config_selectorImSB_EEEEvv
	.p2align	8
	.type	_ZN7rocprim17ROCPRIM_400000_NS6detail44device_merge_sort_compile_time_verifier_archINS1_11comp_targetILNS1_3genE8ELNS1_11target_archE1030ELNS1_3gpuE2ELNS1_3repE0EEES8_NS0_14default_configES9_NS1_37merge_sort_block_sort_config_selectorImNS0_10empty_typeEEENS1_38merge_sort_block_merge_config_selectorImSB_EEEEvv,@function
_ZN7rocprim17ROCPRIM_400000_NS6detail44device_merge_sort_compile_time_verifier_archINS1_11comp_targetILNS1_3genE8ELNS1_11target_archE1030ELNS1_3gpuE2ELNS1_3repE0EEES8_NS0_14default_configES9_NS1_37merge_sort_block_sort_config_selectorImNS0_10empty_typeEEENS1_38merge_sort_block_merge_config_selectorImSB_EEEEvv: ; @_ZN7rocprim17ROCPRIM_400000_NS6detail44device_merge_sort_compile_time_verifier_archINS1_11comp_targetILNS1_3genE8ELNS1_11target_archE1030ELNS1_3gpuE2ELNS1_3repE0EEES8_NS0_14default_configES9_NS1_37merge_sort_block_sort_config_selectorImNS0_10empty_typeEEENS1_38merge_sort_block_merge_config_selectorImSB_EEEEvv
; %bb.0:
	s_endpgm
	.section	.rodata,"a",@progbits
	.p2align	6, 0x0
	.amdhsa_kernel _ZN7rocprim17ROCPRIM_400000_NS6detail44device_merge_sort_compile_time_verifier_archINS1_11comp_targetILNS1_3genE8ELNS1_11target_archE1030ELNS1_3gpuE2ELNS1_3repE0EEES8_NS0_14default_configES9_NS1_37merge_sort_block_sort_config_selectorImNS0_10empty_typeEEENS1_38merge_sort_block_merge_config_selectorImSB_EEEEvv
		.amdhsa_group_segment_fixed_size 0
		.amdhsa_private_segment_fixed_size 0
		.amdhsa_kernarg_size 0
		.amdhsa_user_sgpr_count 4
		.amdhsa_user_sgpr_private_segment_buffer 1
		.amdhsa_user_sgpr_dispatch_ptr 0
		.amdhsa_user_sgpr_queue_ptr 0
		.amdhsa_user_sgpr_kernarg_segment_ptr 0
		.amdhsa_user_sgpr_dispatch_id 0
		.amdhsa_user_sgpr_flat_scratch_init 0
		.amdhsa_user_sgpr_private_segment_size 0
		.amdhsa_wavefront_size32 1
		.amdhsa_uses_dynamic_stack 0
		.amdhsa_system_sgpr_private_segment_wavefront_offset 0
		.amdhsa_system_sgpr_workgroup_id_x 1
		.amdhsa_system_sgpr_workgroup_id_y 0
		.amdhsa_system_sgpr_workgroup_id_z 0
		.amdhsa_system_sgpr_workgroup_info 0
		.amdhsa_system_vgpr_workitem_id 0
		.amdhsa_next_free_vgpr 1
		.amdhsa_next_free_sgpr 1
		.amdhsa_reserve_vcc 0
		.amdhsa_reserve_flat_scratch 0
		.amdhsa_float_round_mode_32 0
		.amdhsa_float_round_mode_16_64 0
		.amdhsa_float_denorm_mode_32 3
		.amdhsa_float_denorm_mode_16_64 3
		.amdhsa_dx10_clamp 1
		.amdhsa_ieee_mode 1
		.amdhsa_fp16_overflow 0
		.amdhsa_workgroup_processor_mode 1
		.amdhsa_memory_ordered 1
		.amdhsa_forward_progress 1
		.amdhsa_shared_vgpr_count 0
		.amdhsa_exception_fp_ieee_invalid_op 0
		.amdhsa_exception_fp_denorm_src 0
		.amdhsa_exception_fp_ieee_div_zero 0
		.amdhsa_exception_fp_ieee_overflow 0
		.amdhsa_exception_fp_ieee_underflow 0
		.amdhsa_exception_fp_ieee_inexact 0
		.amdhsa_exception_int_div_zero 0
	.end_amdhsa_kernel
	.section	.text._ZN7rocprim17ROCPRIM_400000_NS6detail44device_merge_sort_compile_time_verifier_archINS1_11comp_targetILNS1_3genE8ELNS1_11target_archE1030ELNS1_3gpuE2ELNS1_3repE0EEES8_NS0_14default_configES9_NS1_37merge_sort_block_sort_config_selectorImNS0_10empty_typeEEENS1_38merge_sort_block_merge_config_selectorImSB_EEEEvv,"axG",@progbits,_ZN7rocprim17ROCPRIM_400000_NS6detail44device_merge_sort_compile_time_verifier_archINS1_11comp_targetILNS1_3genE8ELNS1_11target_archE1030ELNS1_3gpuE2ELNS1_3repE0EEES8_NS0_14default_configES9_NS1_37merge_sort_block_sort_config_selectorImNS0_10empty_typeEEENS1_38merge_sort_block_merge_config_selectorImSB_EEEEvv,comdat
.Lfunc_end607:
	.size	_ZN7rocprim17ROCPRIM_400000_NS6detail44device_merge_sort_compile_time_verifier_archINS1_11comp_targetILNS1_3genE8ELNS1_11target_archE1030ELNS1_3gpuE2ELNS1_3repE0EEES8_NS0_14default_configES9_NS1_37merge_sort_block_sort_config_selectorImNS0_10empty_typeEEENS1_38merge_sort_block_merge_config_selectorImSB_EEEEvv, .Lfunc_end607-_ZN7rocprim17ROCPRIM_400000_NS6detail44device_merge_sort_compile_time_verifier_archINS1_11comp_targetILNS1_3genE8ELNS1_11target_archE1030ELNS1_3gpuE2ELNS1_3repE0EEES8_NS0_14default_configES9_NS1_37merge_sort_block_sort_config_selectorImNS0_10empty_typeEEENS1_38merge_sort_block_merge_config_selectorImSB_EEEEvv
                                        ; -- End function
	.set _ZN7rocprim17ROCPRIM_400000_NS6detail44device_merge_sort_compile_time_verifier_archINS1_11comp_targetILNS1_3genE8ELNS1_11target_archE1030ELNS1_3gpuE2ELNS1_3repE0EEES8_NS0_14default_configES9_NS1_37merge_sort_block_sort_config_selectorImNS0_10empty_typeEEENS1_38merge_sort_block_merge_config_selectorImSB_EEEEvv.num_vgpr, 0
	.set _ZN7rocprim17ROCPRIM_400000_NS6detail44device_merge_sort_compile_time_verifier_archINS1_11comp_targetILNS1_3genE8ELNS1_11target_archE1030ELNS1_3gpuE2ELNS1_3repE0EEES8_NS0_14default_configES9_NS1_37merge_sort_block_sort_config_selectorImNS0_10empty_typeEEENS1_38merge_sort_block_merge_config_selectorImSB_EEEEvv.num_agpr, 0
	.set _ZN7rocprim17ROCPRIM_400000_NS6detail44device_merge_sort_compile_time_verifier_archINS1_11comp_targetILNS1_3genE8ELNS1_11target_archE1030ELNS1_3gpuE2ELNS1_3repE0EEES8_NS0_14default_configES9_NS1_37merge_sort_block_sort_config_selectorImNS0_10empty_typeEEENS1_38merge_sort_block_merge_config_selectorImSB_EEEEvv.numbered_sgpr, 0
	.set _ZN7rocprim17ROCPRIM_400000_NS6detail44device_merge_sort_compile_time_verifier_archINS1_11comp_targetILNS1_3genE8ELNS1_11target_archE1030ELNS1_3gpuE2ELNS1_3repE0EEES8_NS0_14default_configES9_NS1_37merge_sort_block_sort_config_selectorImNS0_10empty_typeEEENS1_38merge_sort_block_merge_config_selectorImSB_EEEEvv.num_named_barrier, 0
	.set _ZN7rocprim17ROCPRIM_400000_NS6detail44device_merge_sort_compile_time_verifier_archINS1_11comp_targetILNS1_3genE8ELNS1_11target_archE1030ELNS1_3gpuE2ELNS1_3repE0EEES8_NS0_14default_configES9_NS1_37merge_sort_block_sort_config_selectorImNS0_10empty_typeEEENS1_38merge_sort_block_merge_config_selectorImSB_EEEEvv.private_seg_size, 0
	.set _ZN7rocprim17ROCPRIM_400000_NS6detail44device_merge_sort_compile_time_verifier_archINS1_11comp_targetILNS1_3genE8ELNS1_11target_archE1030ELNS1_3gpuE2ELNS1_3repE0EEES8_NS0_14default_configES9_NS1_37merge_sort_block_sort_config_selectorImNS0_10empty_typeEEENS1_38merge_sort_block_merge_config_selectorImSB_EEEEvv.uses_vcc, 0
	.set _ZN7rocprim17ROCPRIM_400000_NS6detail44device_merge_sort_compile_time_verifier_archINS1_11comp_targetILNS1_3genE8ELNS1_11target_archE1030ELNS1_3gpuE2ELNS1_3repE0EEES8_NS0_14default_configES9_NS1_37merge_sort_block_sort_config_selectorImNS0_10empty_typeEEENS1_38merge_sort_block_merge_config_selectorImSB_EEEEvv.uses_flat_scratch, 0
	.set _ZN7rocprim17ROCPRIM_400000_NS6detail44device_merge_sort_compile_time_verifier_archINS1_11comp_targetILNS1_3genE8ELNS1_11target_archE1030ELNS1_3gpuE2ELNS1_3repE0EEES8_NS0_14default_configES9_NS1_37merge_sort_block_sort_config_selectorImNS0_10empty_typeEEENS1_38merge_sort_block_merge_config_selectorImSB_EEEEvv.has_dyn_sized_stack, 0
	.set _ZN7rocprim17ROCPRIM_400000_NS6detail44device_merge_sort_compile_time_verifier_archINS1_11comp_targetILNS1_3genE8ELNS1_11target_archE1030ELNS1_3gpuE2ELNS1_3repE0EEES8_NS0_14default_configES9_NS1_37merge_sort_block_sort_config_selectorImNS0_10empty_typeEEENS1_38merge_sort_block_merge_config_selectorImSB_EEEEvv.has_recursion, 0
	.set _ZN7rocprim17ROCPRIM_400000_NS6detail44device_merge_sort_compile_time_verifier_archINS1_11comp_targetILNS1_3genE8ELNS1_11target_archE1030ELNS1_3gpuE2ELNS1_3repE0EEES8_NS0_14default_configES9_NS1_37merge_sort_block_sort_config_selectorImNS0_10empty_typeEEENS1_38merge_sort_block_merge_config_selectorImSB_EEEEvv.has_indirect_call, 0
	.section	.AMDGPU.csdata,"",@progbits
; Kernel info:
; codeLenInByte = 4
; TotalNumSgprs: 0
; NumVgprs: 0
; ScratchSize: 0
; MemoryBound: 0
; FloatMode: 240
; IeeeMode: 1
; LDSByteSize: 0 bytes/workgroup (compile time only)
; SGPRBlocks: 0
; VGPRBlocks: 0
; NumSGPRsForWavesPerEU: 1
; NumVGPRsForWavesPerEU: 1
; Occupancy: 16
; WaveLimiterHint : 0
; COMPUTE_PGM_RSRC2:SCRATCH_EN: 0
; COMPUTE_PGM_RSRC2:USER_SGPR: 4
; COMPUTE_PGM_RSRC2:TRAP_HANDLER: 0
; COMPUTE_PGM_RSRC2:TGID_X_EN: 1
; COMPUTE_PGM_RSRC2:TGID_Y_EN: 0
; COMPUTE_PGM_RSRC2:TGID_Z_EN: 0
; COMPUTE_PGM_RSRC2:TIDIG_COMP_CNT: 0
	.section	.text._ZN7rocprim17ROCPRIM_400000_NS6detail17trampoline_kernelINS0_14default_configENS1_37merge_sort_block_sort_config_selectorImNS0_10empty_typeEEEZNS1_21merge_sort_block_sortIS3_N6thrust23THRUST_200600_302600_NS6detail15normal_iteratorINS9_10device_ptrImEEEESE_PS5_SF_11less_div_10ImEEE10hipError_tT0_T1_T2_T3_mRjT4_P12ihipStream_tbNS1_7vsmem_tEEUlT_E_NS1_11comp_targetILNS1_3genE0ELNS1_11target_archE4294967295ELNS1_3gpuE0ELNS1_3repE0EEENS1_30default_config_static_selectorELNS0_4arch9wavefront6targetE0EEEvSK_,"axG",@progbits,_ZN7rocprim17ROCPRIM_400000_NS6detail17trampoline_kernelINS0_14default_configENS1_37merge_sort_block_sort_config_selectorImNS0_10empty_typeEEEZNS1_21merge_sort_block_sortIS3_N6thrust23THRUST_200600_302600_NS6detail15normal_iteratorINS9_10device_ptrImEEEESE_PS5_SF_11less_div_10ImEEE10hipError_tT0_T1_T2_T3_mRjT4_P12ihipStream_tbNS1_7vsmem_tEEUlT_E_NS1_11comp_targetILNS1_3genE0ELNS1_11target_archE4294967295ELNS1_3gpuE0ELNS1_3repE0EEENS1_30default_config_static_selectorELNS0_4arch9wavefront6targetE0EEEvSK_,comdat
	.protected	_ZN7rocprim17ROCPRIM_400000_NS6detail17trampoline_kernelINS0_14default_configENS1_37merge_sort_block_sort_config_selectorImNS0_10empty_typeEEEZNS1_21merge_sort_block_sortIS3_N6thrust23THRUST_200600_302600_NS6detail15normal_iteratorINS9_10device_ptrImEEEESE_PS5_SF_11less_div_10ImEEE10hipError_tT0_T1_T2_T3_mRjT4_P12ihipStream_tbNS1_7vsmem_tEEUlT_E_NS1_11comp_targetILNS1_3genE0ELNS1_11target_archE4294967295ELNS1_3gpuE0ELNS1_3repE0EEENS1_30default_config_static_selectorELNS0_4arch9wavefront6targetE0EEEvSK_ ; -- Begin function _ZN7rocprim17ROCPRIM_400000_NS6detail17trampoline_kernelINS0_14default_configENS1_37merge_sort_block_sort_config_selectorImNS0_10empty_typeEEEZNS1_21merge_sort_block_sortIS3_N6thrust23THRUST_200600_302600_NS6detail15normal_iteratorINS9_10device_ptrImEEEESE_PS5_SF_11less_div_10ImEEE10hipError_tT0_T1_T2_T3_mRjT4_P12ihipStream_tbNS1_7vsmem_tEEUlT_E_NS1_11comp_targetILNS1_3genE0ELNS1_11target_archE4294967295ELNS1_3gpuE0ELNS1_3repE0EEENS1_30default_config_static_selectorELNS0_4arch9wavefront6targetE0EEEvSK_
	.globl	_ZN7rocprim17ROCPRIM_400000_NS6detail17trampoline_kernelINS0_14default_configENS1_37merge_sort_block_sort_config_selectorImNS0_10empty_typeEEEZNS1_21merge_sort_block_sortIS3_N6thrust23THRUST_200600_302600_NS6detail15normal_iteratorINS9_10device_ptrImEEEESE_PS5_SF_11less_div_10ImEEE10hipError_tT0_T1_T2_T3_mRjT4_P12ihipStream_tbNS1_7vsmem_tEEUlT_E_NS1_11comp_targetILNS1_3genE0ELNS1_11target_archE4294967295ELNS1_3gpuE0ELNS1_3repE0EEENS1_30default_config_static_selectorELNS0_4arch9wavefront6targetE0EEEvSK_
	.p2align	8
	.type	_ZN7rocprim17ROCPRIM_400000_NS6detail17trampoline_kernelINS0_14default_configENS1_37merge_sort_block_sort_config_selectorImNS0_10empty_typeEEEZNS1_21merge_sort_block_sortIS3_N6thrust23THRUST_200600_302600_NS6detail15normal_iteratorINS9_10device_ptrImEEEESE_PS5_SF_11less_div_10ImEEE10hipError_tT0_T1_T2_T3_mRjT4_P12ihipStream_tbNS1_7vsmem_tEEUlT_E_NS1_11comp_targetILNS1_3genE0ELNS1_11target_archE4294967295ELNS1_3gpuE0ELNS1_3repE0EEENS1_30default_config_static_selectorELNS0_4arch9wavefront6targetE0EEEvSK_,@function
_ZN7rocprim17ROCPRIM_400000_NS6detail17trampoline_kernelINS0_14default_configENS1_37merge_sort_block_sort_config_selectorImNS0_10empty_typeEEEZNS1_21merge_sort_block_sortIS3_N6thrust23THRUST_200600_302600_NS6detail15normal_iteratorINS9_10device_ptrImEEEESE_PS5_SF_11less_div_10ImEEE10hipError_tT0_T1_T2_T3_mRjT4_P12ihipStream_tbNS1_7vsmem_tEEUlT_E_NS1_11comp_targetILNS1_3genE0ELNS1_11target_archE4294967295ELNS1_3gpuE0ELNS1_3repE0EEENS1_30default_config_static_selectorELNS0_4arch9wavefront6targetE0EEEvSK_: ; @_ZN7rocprim17ROCPRIM_400000_NS6detail17trampoline_kernelINS0_14default_configENS1_37merge_sort_block_sort_config_selectorImNS0_10empty_typeEEEZNS1_21merge_sort_block_sortIS3_N6thrust23THRUST_200600_302600_NS6detail15normal_iteratorINS9_10device_ptrImEEEESE_PS5_SF_11less_div_10ImEEE10hipError_tT0_T1_T2_T3_mRjT4_P12ihipStream_tbNS1_7vsmem_tEEUlT_E_NS1_11comp_targetILNS1_3genE0ELNS1_11target_archE4294967295ELNS1_3gpuE0ELNS1_3repE0EEENS1_30default_config_static_selectorELNS0_4arch9wavefront6targetE0EEEvSK_
; %bb.0:
	.section	.rodata,"a",@progbits
	.p2align	6, 0x0
	.amdhsa_kernel _ZN7rocprim17ROCPRIM_400000_NS6detail17trampoline_kernelINS0_14default_configENS1_37merge_sort_block_sort_config_selectorImNS0_10empty_typeEEEZNS1_21merge_sort_block_sortIS3_N6thrust23THRUST_200600_302600_NS6detail15normal_iteratorINS9_10device_ptrImEEEESE_PS5_SF_11less_div_10ImEEE10hipError_tT0_T1_T2_T3_mRjT4_P12ihipStream_tbNS1_7vsmem_tEEUlT_E_NS1_11comp_targetILNS1_3genE0ELNS1_11target_archE4294967295ELNS1_3gpuE0ELNS1_3repE0EEENS1_30default_config_static_selectorELNS0_4arch9wavefront6targetE0EEEvSK_
		.amdhsa_group_segment_fixed_size 0
		.amdhsa_private_segment_fixed_size 0
		.amdhsa_kernarg_size 64
		.amdhsa_user_sgpr_count 6
		.amdhsa_user_sgpr_private_segment_buffer 1
		.amdhsa_user_sgpr_dispatch_ptr 0
		.amdhsa_user_sgpr_queue_ptr 0
		.amdhsa_user_sgpr_kernarg_segment_ptr 1
		.amdhsa_user_sgpr_dispatch_id 0
		.amdhsa_user_sgpr_flat_scratch_init 0
		.amdhsa_user_sgpr_private_segment_size 0
		.amdhsa_wavefront_size32 1
		.amdhsa_uses_dynamic_stack 0
		.amdhsa_system_sgpr_private_segment_wavefront_offset 0
		.amdhsa_system_sgpr_workgroup_id_x 1
		.amdhsa_system_sgpr_workgroup_id_y 0
		.amdhsa_system_sgpr_workgroup_id_z 0
		.amdhsa_system_sgpr_workgroup_info 0
		.amdhsa_system_vgpr_workitem_id 0
		.amdhsa_next_free_vgpr 1
		.amdhsa_next_free_sgpr 1
		.amdhsa_reserve_vcc 0
		.amdhsa_reserve_flat_scratch 0
		.amdhsa_float_round_mode_32 0
		.amdhsa_float_round_mode_16_64 0
		.amdhsa_float_denorm_mode_32 3
		.amdhsa_float_denorm_mode_16_64 3
		.amdhsa_dx10_clamp 1
		.amdhsa_ieee_mode 1
		.amdhsa_fp16_overflow 0
		.amdhsa_workgroup_processor_mode 1
		.amdhsa_memory_ordered 1
		.amdhsa_forward_progress 1
		.amdhsa_shared_vgpr_count 0
		.amdhsa_exception_fp_ieee_invalid_op 0
		.amdhsa_exception_fp_denorm_src 0
		.amdhsa_exception_fp_ieee_div_zero 0
		.amdhsa_exception_fp_ieee_overflow 0
		.amdhsa_exception_fp_ieee_underflow 0
		.amdhsa_exception_fp_ieee_inexact 0
		.amdhsa_exception_int_div_zero 0
	.end_amdhsa_kernel
	.section	.text._ZN7rocprim17ROCPRIM_400000_NS6detail17trampoline_kernelINS0_14default_configENS1_37merge_sort_block_sort_config_selectorImNS0_10empty_typeEEEZNS1_21merge_sort_block_sortIS3_N6thrust23THRUST_200600_302600_NS6detail15normal_iteratorINS9_10device_ptrImEEEESE_PS5_SF_11less_div_10ImEEE10hipError_tT0_T1_T2_T3_mRjT4_P12ihipStream_tbNS1_7vsmem_tEEUlT_E_NS1_11comp_targetILNS1_3genE0ELNS1_11target_archE4294967295ELNS1_3gpuE0ELNS1_3repE0EEENS1_30default_config_static_selectorELNS0_4arch9wavefront6targetE0EEEvSK_,"axG",@progbits,_ZN7rocprim17ROCPRIM_400000_NS6detail17trampoline_kernelINS0_14default_configENS1_37merge_sort_block_sort_config_selectorImNS0_10empty_typeEEEZNS1_21merge_sort_block_sortIS3_N6thrust23THRUST_200600_302600_NS6detail15normal_iteratorINS9_10device_ptrImEEEESE_PS5_SF_11less_div_10ImEEE10hipError_tT0_T1_T2_T3_mRjT4_P12ihipStream_tbNS1_7vsmem_tEEUlT_E_NS1_11comp_targetILNS1_3genE0ELNS1_11target_archE4294967295ELNS1_3gpuE0ELNS1_3repE0EEENS1_30default_config_static_selectorELNS0_4arch9wavefront6targetE0EEEvSK_,comdat
.Lfunc_end608:
	.size	_ZN7rocprim17ROCPRIM_400000_NS6detail17trampoline_kernelINS0_14default_configENS1_37merge_sort_block_sort_config_selectorImNS0_10empty_typeEEEZNS1_21merge_sort_block_sortIS3_N6thrust23THRUST_200600_302600_NS6detail15normal_iteratorINS9_10device_ptrImEEEESE_PS5_SF_11less_div_10ImEEE10hipError_tT0_T1_T2_T3_mRjT4_P12ihipStream_tbNS1_7vsmem_tEEUlT_E_NS1_11comp_targetILNS1_3genE0ELNS1_11target_archE4294967295ELNS1_3gpuE0ELNS1_3repE0EEENS1_30default_config_static_selectorELNS0_4arch9wavefront6targetE0EEEvSK_, .Lfunc_end608-_ZN7rocprim17ROCPRIM_400000_NS6detail17trampoline_kernelINS0_14default_configENS1_37merge_sort_block_sort_config_selectorImNS0_10empty_typeEEEZNS1_21merge_sort_block_sortIS3_N6thrust23THRUST_200600_302600_NS6detail15normal_iteratorINS9_10device_ptrImEEEESE_PS5_SF_11less_div_10ImEEE10hipError_tT0_T1_T2_T3_mRjT4_P12ihipStream_tbNS1_7vsmem_tEEUlT_E_NS1_11comp_targetILNS1_3genE0ELNS1_11target_archE4294967295ELNS1_3gpuE0ELNS1_3repE0EEENS1_30default_config_static_selectorELNS0_4arch9wavefront6targetE0EEEvSK_
                                        ; -- End function
	.set _ZN7rocprim17ROCPRIM_400000_NS6detail17trampoline_kernelINS0_14default_configENS1_37merge_sort_block_sort_config_selectorImNS0_10empty_typeEEEZNS1_21merge_sort_block_sortIS3_N6thrust23THRUST_200600_302600_NS6detail15normal_iteratorINS9_10device_ptrImEEEESE_PS5_SF_11less_div_10ImEEE10hipError_tT0_T1_T2_T3_mRjT4_P12ihipStream_tbNS1_7vsmem_tEEUlT_E_NS1_11comp_targetILNS1_3genE0ELNS1_11target_archE4294967295ELNS1_3gpuE0ELNS1_3repE0EEENS1_30default_config_static_selectorELNS0_4arch9wavefront6targetE0EEEvSK_.num_vgpr, 0
	.set _ZN7rocprim17ROCPRIM_400000_NS6detail17trampoline_kernelINS0_14default_configENS1_37merge_sort_block_sort_config_selectorImNS0_10empty_typeEEEZNS1_21merge_sort_block_sortIS3_N6thrust23THRUST_200600_302600_NS6detail15normal_iteratorINS9_10device_ptrImEEEESE_PS5_SF_11less_div_10ImEEE10hipError_tT0_T1_T2_T3_mRjT4_P12ihipStream_tbNS1_7vsmem_tEEUlT_E_NS1_11comp_targetILNS1_3genE0ELNS1_11target_archE4294967295ELNS1_3gpuE0ELNS1_3repE0EEENS1_30default_config_static_selectorELNS0_4arch9wavefront6targetE0EEEvSK_.num_agpr, 0
	.set _ZN7rocprim17ROCPRIM_400000_NS6detail17trampoline_kernelINS0_14default_configENS1_37merge_sort_block_sort_config_selectorImNS0_10empty_typeEEEZNS1_21merge_sort_block_sortIS3_N6thrust23THRUST_200600_302600_NS6detail15normal_iteratorINS9_10device_ptrImEEEESE_PS5_SF_11less_div_10ImEEE10hipError_tT0_T1_T2_T3_mRjT4_P12ihipStream_tbNS1_7vsmem_tEEUlT_E_NS1_11comp_targetILNS1_3genE0ELNS1_11target_archE4294967295ELNS1_3gpuE0ELNS1_3repE0EEENS1_30default_config_static_selectorELNS0_4arch9wavefront6targetE0EEEvSK_.numbered_sgpr, 0
	.set _ZN7rocprim17ROCPRIM_400000_NS6detail17trampoline_kernelINS0_14default_configENS1_37merge_sort_block_sort_config_selectorImNS0_10empty_typeEEEZNS1_21merge_sort_block_sortIS3_N6thrust23THRUST_200600_302600_NS6detail15normal_iteratorINS9_10device_ptrImEEEESE_PS5_SF_11less_div_10ImEEE10hipError_tT0_T1_T2_T3_mRjT4_P12ihipStream_tbNS1_7vsmem_tEEUlT_E_NS1_11comp_targetILNS1_3genE0ELNS1_11target_archE4294967295ELNS1_3gpuE0ELNS1_3repE0EEENS1_30default_config_static_selectorELNS0_4arch9wavefront6targetE0EEEvSK_.num_named_barrier, 0
	.set _ZN7rocprim17ROCPRIM_400000_NS6detail17trampoline_kernelINS0_14default_configENS1_37merge_sort_block_sort_config_selectorImNS0_10empty_typeEEEZNS1_21merge_sort_block_sortIS3_N6thrust23THRUST_200600_302600_NS6detail15normal_iteratorINS9_10device_ptrImEEEESE_PS5_SF_11less_div_10ImEEE10hipError_tT0_T1_T2_T3_mRjT4_P12ihipStream_tbNS1_7vsmem_tEEUlT_E_NS1_11comp_targetILNS1_3genE0ELNS1_11target_archE4294967295ELNS1_3gpuE0ELNS1_3repE0EEENS1_30default_config_static_selectorELNS0_4arch9wavefront6targetE0EEEvSK_.private_seg_size, 0
	.set _ZN7rocprim17ROCPRIM_400000_NS6detail17trampoline_kernelINS0_14default_configENS1_37merge_sort_block_sort_config_selectorImNS0_10empty_typeEEEZNS1_21merge_sort_block_sortIS3_N6thrust23THRUST_200600_302600_NS6detail15normal_iteratorINS9_10device_ptrImEEEESE_PS5_SF_11less_div_10ImEEE10hipError_tT0_T1_T2_T3_mRjT4_P12ihipStream_tbNS1_7vsmem_tEEUlT_E_NS1_11comp_targetILNS1_3genE0ELNS1_11target_archE4294967295ELNS1_3gpuE0ELNS1_3repE0EEENS1_30default_config_static_selectorELNS0_4arch9wavefront6targetE0EEEvSK_.uses_vcc, 0
	.set _ZN7rocprim17ROCPRIM_400000_NS6detail17trampoline_kernelINS0_14default_configENS1_37merge_sort_block_sort_config_selectorImNS0_10empty_typeEEEZNS1_21merge_sort_block_sortIS3_N6thrust23THRUST_200600_302600_NS6detail15normal_iteratorINS9_10device_ptrImEEEESE_PS5_SF_11less_div_10ImEEE10hipError_tT0_T1_T2_T3_mRjT4_P12ihipStream_tbNS1_7vsmem_tEEUlT_E_NS1_11comp_targetILNS1_3genE0ELNS1_11target_archE4294967295ELNS1_3gpuE0ELNS1_3repE0EEENS1_30default_config_static_selectorELNS0_4arch9wavefront6targetE0EEEvSK_.uses_flat_scratch, 0
	.set _ZN7rocprim17ROCPRIM_400000_NS6detail17trampoline_kernelINS0_14default_configENS1_37merge_sort_block_sort_config_selectorImNS0_10empty_typeEEEZNS1_21merge_sort_block_sortIS3_N6thrust23THRUST_200600_302600_NS6detail15normal_iteratorINS9_10device_ptrImEEEESE_PS5_SF_11less_div_10ImEEE10hipError_tT0_T1_T2_T3_mRjT4_P12ihipStream_tbNS1_7vsmem_tEEUlT_E_NS1_11comp_targetILNS1_3genE0ELNS1_11target_archE4294967295ELNS1_3gpuE0ELNS1_3repE0EEENS1_30default_config_static_selectorELNS0_4arch9wavefront6targetE0EEEvSK_.has_dyn_sized_stack, 0
	.set _ZN7rocprim17ROCPRIM_400000_NS6detail17trampoline_kernelINS0_14default_configENS1_37merge_sort_block_sort_config_selectorImNS0_10empty_typeEEEZNS1_21merge_sort_block_sortIS3_N6thrust23THRUST_200600_302600_NS6detail15normal_iteratorINS9_10device_ptrImEEEESE_PS5_SF_11less_div_10ImEEE10hipError_tT0_T1_T2_T3_mRjT4_P12ihipStream_tbNS1_7vsmem_tEEUlT_E_NS1_11comp_targetILNS1_3genE0ELNS1_11target_archE4294967295ELNS1_3gpuE0ELNS1_3repE0EEENS1_30default_config_static_selectorELNS0_4arch9wavefront6targetE0EEEvSK_.has_recursion, 0
	.set _ZN7rocprim17ROCPRIM_400000_NS6detail17trampoline_kernelINS0_14default_configENS1_37merge_sort_block_sort_config_selectorImNS0_10empty_typeEEEZNS1_21merge_sort_block_sortIS3_N6thrust23THRUST_200600_302600_NS6detail15normal_iteratorINS9_10device_ptrImEEEESE_PS5_SF_11less_div_10ImEEE10hipError_tT0_T1_T2_T3_mRjT4_P12ihipStream_tbNS1_7vsmem_tEEUlT_E_NS1_11comp_targetILNS1_3genE0ELNS1_11target_archE4294967295ELNS1_3gpuE0ELNS1_3repE0EEENS1_30default_config_static_selectorELNS0_4arch9wavefront6targetE0EEEvSK_.has_indirect_call, 0
	.section	.AMDGPU.csdata,"",@progbits
; Kernel info:
; codeLenInByte = 0
; TotalNumSgprs: 0
; NumVgprs: 0
; ScratchSize: 0
; MemoryBound: 0
; FloatMode: 240
; IeeeMode: 1
; LDSByteSize: 0 bytes/workgroup (compile time only)
; SGPRBlocks: 0
; VGPRBlocks: 0
; NumSGPRsForWavesPerEU: 1
; NumVGPRsForWavesPerEU: 1
; Occupancy: 16
; WaveLimiterHint : 0
; COMPUTE_PGM_RSRC2:SCRATCH_EN: 0
; COMPUTE_PGM_RSRC2:USER_SGPR: 6
; COMPUTE_PGM_RSRC2:TRAP_HANDLER: 0
; COMPUTE_PGM_RSRC2:TGID_X_EN: 1
; COMPUTE_PGM_RSRC2:TGID_Y_EN: 0
; COMPUTE_PGM_RSRC2:TGID_Z_EN: 0
; COMPUTE_PGM_RSRC2:TIDIG_COMP_CNT: 0
	.section	.text._ZN7rocprim17ROCPRIM_400000_NS6detail17trampoline_kernelINS0_14default_configENS1_37merge_sort_block_sort_config_selectorImNS0_10empty_typeEEEZNS1_21merge_sort_block_sortIS3_N6thrust23THRUST_200600_302600_NS6detail15normal_iteratorINS9_10device_ptrImEEEESE_PS5_SF_11less_div_10ImEEE10hipError_tT0_T1_T2_T3_mRjT4_P12ihipStream_tbNS1_7vsmem_tEEUlT_E_NS1_11comp_targetILNS1_3genE5ELNS1_11target_archE942ELNS1_3gpuE9ELNS1_3repE0EEENS1_30default_config_static_selectorELNS0_4arch9wavefront6targetE0EEEvSK_,"axG",@progbits,_ZN7rocprim17ROCPRIM_400000_NS6detail17trampoline_kernelINS0_14default_configENS1_37merge_sort_block_sort_config_selectorImNS0_10empty_typeEEEZNS1_21merge_sort_block_sortIS3_N6thrust23THRUST_200600_302600_NS6detail15normal_iteratorINS9_10device_ptrImEEEESE_PS5_SF_11less_div_10ImEEE10hipError_tT0_T1_T2_T3_mRjT4_P12ihipStream_tbNS1_7vsmem_tEEUlT_E_NS1_11comp_targetILNS1_3genE5ELNS1_11target_archE942ELNS1_3gpuE9ELNS1_3repE0EEENS1_30default_config_static_selectorELNS0_4arch9wavefront6targetE0EEEvSK_,comdat
	.protected	_ZN7rocprim17ROCPRIM_400000_NS6detail17trampoline_kernelINS0_14default_configENS1_37merge_sort_block_sort_config_selectorImNS0_10empty_typeEEEZNS1_21merge_sort_block_sortIS3_N6thrust23THRUST_200600_302600_NS6detail15normal_iteratorINS9_10device_ptrImEEEESE_PS5_SF_11less_div_10ImEEE10hipError_tT0_T1_T2_T3_mRjT4_P12ihipStream_tbNS1_7vsmem_tEEUlT_E_NS1_11comp_targetILNS1_3genE5ELNS1_11target_archE942ELNS1_3gpuE9ELNS1_3repE0EEENS1_30default_config_static_selectorELNS0_4arch9wavefront6targetE0EEEvSK_ ; -- Begin function _ZN7rocprim17ROCPRIM_400000_NS6detail17trampoline_kernelINS0_14default_configENS1_37merge_sort_block_sort_config_selectorImNS0_10empty_typeEEEZNS1_21merge_sort_block_sortIS3_N6thrust23THRUST_200600_302600_NS6detail15normal_iteratorINS9_10device_ptrImEEEESE_PS5_SF_11less_div_10ImEEE10hipError_tT0_T1_T2_T3_mRjT4_P12ihipStream_tbNS1_7vsmem_tEEUlT_E_NS1_11comp_targetILNS1_3genE5ELNS1_11target_archE942ELNS1_3gpuE9ELNS1_3repE0EEENS1_30default_config_static_selectorELNS0_4arch9wavefront6targetE0EEEvSK_
	.globl	_ZN7rocprim17ROCPRIM_400000_NS6detail17trampoline_kernelINS0_14default_configENS1_37merge_sort_block_sort_config_selectorImNS0_10empty_typeEEEZNS1_21merge_sort_block_sortIS3_N6thrust23THRUST_200600_302600_NS6detail15normal_iteratorINS9_10device_ptrImEEEESE_PS5_SF_11less_div_10ImEEE10hipError_tT0_T1_T2_T3_mRjT4_P12ihipStream_tbNS1_7vsmem_tEEUlT_E_NS1_11comp_targetILNS1_3genE5ELNS1_11target_archE942ELNS1_3gpuE9ELNS1_3repE0EEENS1_30default_config_static_selectorELNS0_4arch9wavefront6targetE0EEEvSK_
	.p2align	8
	.type	_ZN7rocprim17ROCPRIM_400000_NS6detail17trampoline_kernelINS0_14default_configENS1_37merge_sort_block_sort_config_selectorImNS0_10empty_typeEEEZNS1_21merge_sort_block_sortIS3_N6thrust23THRUST_200600_302600_NS6detail15normal_iteratorINS9_10device_ptrImEEEESE_PS5_SF_11less_div_10ImEEE10hipError_tT0_T1_T2_T3_mRjT4_P12ihipStream_tbNS1_7vsmem_tEEUlT_E_NS1_11comp_targetILNS1_3genE5ELNS1_11target_archE942ELNS1_3gpuE9ELNS1_3repE0EEENS1_30default_config_static_selectorELNS0_4arch9wavefront6targetE0EEEvSK_,@function
_ZN7rocprim17ROCPRIM_400000_NS6detail17trampoline_kernelINS0_14default_configENS1_37merge_sort_block_sort_config_selectorImNS0_10empty_typeEEEZNS1_21merge_sort_block_sortIS3_N6thrust23THRUST_200600_302600_NS6detail15normal_iteratorINS9_10device_ptrImEEEESE_PS5_SF_11less_div_10ImEEE10hipError_tT0_T1_T2_T3_mRjT4_P12ihipStream_tbNS1_7vsmem_tEEUlT_E_NS1_11comp_targetILNS1_3genE5ELNS1_11target_archE942ELNS1_3gpuE9ELNS1_3repE0EEENS1_30default_config_static_selectorELNS0_4arch9wavefront6targetE0EEEvSK_: ; @_ZN7rocprim17ROCPRIM_400000_NS6detail17trampoline_kernelINS0_14default_configENS1_37merge_sort_block_sort_config_selectorImNS0_10empty_typeEEEZNS1_21merge_sort_block_sortIS3_N6thrust23THRUST_200600_302600_NS6detail15normal_iteratorINS9_10device_ptrImEEEESE_PS5_SF_11less_div_10ImEEE10hipError_tT0_T1_T2_T3_mRjT4_P12ihipStream_tbNS1_7vsmem_tEEUlT_E_NS1_11comp_targetILNS1_3genE5ELNS1_11target_archE942ELNS1_3gpuE9ELNS1_3repE0EEENS1_30default_config_static_selectorELNS0_4arch9wavefront6targetE0EEEvSK_
; %bb.0:
	.section	.rodata,"a",@progbits
	.p2align	6, 0x0
	.amdhsa_kernel _ZN7rocprim17ROCPRIM_400000_NS6detail17trampoline_kernelINS0_14default_configENS1_37merge_sort_block_sort_config_selectorImNS0_10empty_typeEEEZNS1_21merge_sort_block_sortIS3_N6thrust23THRUST_200600_302600_NS6detail15normal_iteratorINS9_10device_ptrImEEEESE_PS5_SF_11less_div_10ImEEE10hipError_tT0_T1_T2_T3_mRjT4_P12ihipStream_tbNS1_7vsmem_tEEUlT_E_NS1_11comp_targetILNS1_3genE5ELNS1_11target_archE942ELNS1_3gpuE9ELNS1_3repE0EEENS1_30default_config_static_selectorELNS0_4arch9wavefront6targetE0EEEvSK_
		.amdhsa_group_segment_fixed_size 0
		.amdhsa_private_segment_fixed_size 0
		.amdhsa_kernarg_size 64
		.amdhsa_user_sgpr_count 6
		.amdhsa_user_sgpr_private_segment_buffer 1
		.amdhsa_user_sgpr_dispatch_ptr 0
		.amdhsa_user_sgpr_queue_ptr 0
		.amdhsa_user_sgpr_kernarg_segment_ptr 1
		.amdhsa_user_sgpr_dispatch_id 0
		.amdhsa_user_sgpr_flat_scratch_init 0
		.amdhsa_user_sgpr_private_segment_size 0
		.amdhsa_wavefront_size32 1
		.amdhsa_uses_dynamic_stack 0
		.amdhsa_system_sgpr_private_segment_wavefront_offset 0
		.amdhsa_system_sgpr_workgroup_id_x 1
		.amdhsa_system_sgpr_workgroup_id_y 0
		.amdhsa_system_sgpr_workgroup_id_z 0
		.amdhsa_system_sgpr_workgroup_info 0
		.amdhsa_system_vgpr_workitem_id 0
		.amdhsa_next_free_vgpr 1
		.amdhsa_next_free_sgpr 1
		.amdhsa_reserve_vcc 0
		.amdhsa_reserve_flat_scratch 0
		.amdhsa_float_round_mode_32 0
		.amdhsa_float_round_mode_16_64 0
		.amdhsa_float_denorm_mode_32 3
		.amdhsa_float_denorm_mode_16_64 3
		.amdhsa_dx10_clamp 1
		.amdhsa_ieee_mode 1
		.amdhsa_fp16_overflow 0
		.amdhsa_workgroup_processor_mode 1
		.amdhsa_memory_ordered 1
		.amdhsa_forward_progress 1
		.amdhsa_shared_vgpr_count 0
		.amdhsa_exception_fp_ieee_invalid_op 0
		.amdhsa_exception_fp_denorm_src 0
		.amdhsa_exception_fp_ieee_div_zero 0
		.amdhsa_exception_fp_ieee_overflow 0
		.amdhsa_exception_fp_ieee_underflow 0
		.amdhsa_exception_fp_ieee_inexact 0
		.amdhsa_exception_int_div_zero 0
	.end_amdhsa_kernel
	.section	.text._ZN7rocprim17ROCPRIM_400000_NS6detail17trampoline_kernelINS0_14default_configENS1_37merge_sort_block_sort_config_selectorImNS0_10empty_typeEEEZNS1_21merge_sort_block_sortIS3_N6thrust23THRUST_200600_302600_NS6detail15normal_iteratorINS9_10device_ptrImEEEESE_PS5_SF_11less_div_10ImEEE10hipError_tT0_T1_T2_T3_mRjT4_P12ihipStream_tbNS1_7vsmem_tEEUlT_E_NS1_11comp_targetILNS1_3genE5ELNS1_11target_archE942ELNS1_3gpuE9ELNS1_3repE0EEENS1_30default_config_static_selectorELNS0_4arch9wavefront6targetE0EEEvSK_,"axG",@progbits,_ZN7rocprim17ROCPRIM_400000_NS6detail17trampoline_kernelINS0_14default_configENS1_37merge_sort_block_sort_config_selectorImNS0_10empty_typeEEEZNS1_21merge_sort_block_sortIS3_N6thrust23THRUST_200600_302600_NS6detail15normal_iteratorINS9_10device_ptrImEEEESE_PS5_SF_11less_div_10ImEEE10hipError_tT0_T1_T2_T3_mRjT4_P12ihipStream_tbNS1_7vsmem_tEEUlT_E_NS1_11comp_targetILNS1_3genE5ELNS1_11target_archE942ELNS1_3gpuE9ELNS1_3repE0EEENS1_30default_config_static_selectorELNS0_4arch9wavefront6targetE0EEEvSK_,comdat
.Lfunc_end609:
	.size	_ZN7rocprim17ROCPRIM_400000_NS6detail17trampoline_kernelINS0_14default_configENS1_37merge_sort_block_sort_config_selectorImNS0_10empty_typeEEEZNS1_21merge_sort_block_sortIS3_N6thrust23THRUST_200600_302600_NS6detail15normal_iteratorINS9_10device_ptrImEEEESE_PS5_SF_11less_div_10ImEEE10hipError_tT0_T1_T2_T3_mRjT4_P12ihipStream_tbNS1_7vsmem_tEEUlT_E_NS1_11comp_targetILNS1_3genE5ELNS1_11target_archE942ELNS1_3gpuE9ELNS1_3repE0EEENS1_30default_config_static_selectorELNS0_4arch9wavefront6targetE0EEEvSK_, .Lfunc_end609-_ZN7rocprim17ROCPRIM_400000_NS6detail17trampoline_kernelINS0_14default_configENS1_37merge_sort_block_sort_config_selectorImNS0_10empty_typeEEEZNS1_21merge_sort_block_sortIS3_N6thrust23THRUST_200600_302600_NS6detail15normal_iteratorINS9_10device_ptrImEEEESE_PS5_SF_11less_div_10ImEEE10hipError_tT0_T1_T2_T3_mRjT4_P12ihipStream_tbNS1_7vsmem_tEEUlT_E_NS1_11comp_targetILNS1_3genE5ELNS1_11target_archE942ELNS1_3gpuE9ELNS1_3repE0EEENS1_30default_config_static_selectorELNS0_4arch9wavefront6targetE0EEEvSK_
                                        ; -- End function
	.set _ZN7rocprim17ROCPRIM_400000_NS6detail17trampoline_kernelINS0_14default_configENS1_37merge_sort_block_sort_config_selectorImNS0_10empty_typeEEEZNS1_21merge_sort_block_sortIS3_N6thrust23THRUST_200600_302600_NS6detail15normal_iteratorINS9_10device_ptrImEEEESE_PS5_SF_11less_div_10ImEEE10hipError_tT0_T1_T2_T3_mRjT4_P12ihipStream_tbNS1_7vsmem_tEEUlT_E_NS1_11comp_targetILNS1_3genE5ELNS1_11target_archE942ELNS1_3gpuE9ELNS1_3repE0EEENS1_30default_config_static_selectorELNS0_4arch9wavefront6targetE0EEEvSK_.num_vgpr, 0
	.set _ZN7rocprim17ROCPRIM_400000_NS6detail17trampoline_kernelINS0_14default_configENS1_37merge_sort_block_sort_config_selectorImNS0_10empty_typeEEEZNS1_21merge_sort_block_sortIS3_N6thrust23THRUST_200600_302600_NS6detail15normal_iteratorINS9_10device_ptrImEEEESE_PS5_SF_11less_div_10ImEEE10hipError_tT0_T1_T2_T3_mRjT4_P12ihipStream_tbNS1_7vsmem_tEEUlT_E_NS1_11comp_targetILNS1_3genE5ELNS1_11target_archE942ELNS1_3gpuE9ELNS1_3repE0EEENS1_30default_config_static_selectorELNS0_4arch9wavefront6targetE0EEEvSK_.num_agpr, 0
	.set _ZN7rocprim17ROCPRIM_400000_NS6detail17trampoline_kernelINS0_14default_configENS1_37merge_sort_block_sort_config_selectorImNS0_10empty_typeEEEZNS1_21merge_sort_block_sortIS3_N6thrust23THRUST_200600_302600_NS6detail15normal_iteratorINS9_10device_ptrImEEEESE_PS5_SF_11less_div_10ImEEE10hipError_tT0_T1_T2_T3_mRjT4_P12ihipStream_tbNS1_7vsmem_tEEUlT_E_NS1_11comp_targetILNS1_3genE5ELNS1_11target_archE942ELNS1_3gpuE9ELNS1_3repE0EEENS1_30default_config_static_selectorELNS0_4arch9wavefront6targetE0EEEvSK_.numbered_sgpr, 0
	.set _ZN7rocprim17ROCPRIM_400000_NS6detail17trampoline_kernelINS0_14default_configENS1_37merge_sort_block_sort_config_selectorImNS0_10empty_typeEEEZNS1_21merge_sort_block_sortIS3_N6thrust23THRUST_200600_302600_NS6detail15normal_iteratorINS9_10device_ptrImEEEESE_PS5_SF_11less_div_10ImEEE10hipError_tT0_T1_T2_T3_mRjT4_P12ihipStream_tbNS1_7vsmem_tEEUlT_E_NS1_11comp_targetILNS1_3genE5ELNS1_11target_archE942ELNS1_3gpuE9ELNS1_3repE0EEENS1_30default_config_static_selectorELNS0_4arch9wavefront6targetE0EEEvSK_.num_named_barrier, 0
	.set _ZN7rocprim17ROCPRIM_400000_NS6detail17trampoline_kernelINS0_14default_configENS1_37merge_sort_block_sort_config_selectorImNS0_10empty_typeEEEZNS1_21merge_sort_block_sortIS3_N6thrust23THRUST_200600_302600_NS6detail15normal_iteratorINS9_10device_ptrImEEEESE_PS5_SF_11less_div_10ImEEE10hipError_tT0_T1_T2_T3_mRjT4_P12ihipStream_tbNS1_7vsmem_tEEUlT_E_NS1_11comp_targetILNS1_3genE5ELNS1_11target_archE942ELNS1_3gpuE9ELNS1_3repE0EEENS1_30default_config_static_selectorELNS0_4arch9wavefront6targetE0EEEvSK_.private_seg_size, 0
	.set _ZN7rocprim17ROCPRIM_400000_NS6detail17trampoline_kernelINS0_14default_configENS1_37merge_sort_block_sort_config_selectorImNS0_10empty_typeEEEZNS1_21merge_sort_block_sortIS3_N6thrust23THRUST_200600_302600_NS6detail15normal_iteratorINS9_10device_ptrImEEEESE_PS5_SF_11less_div_10ImEEE10hipError_tT0_T1_T2_T3_mRjT4_P12ihipStream_tbNS1_7vsmem_tEEUlT_E_NS1_11comp_targetILNS1_3genE5ELNS1_11target_archE942ELNS1_3gpuE9ELNS1_3repE0EEENS1_30default_config_static_selectorELNS0_4arch9wavefront6targetE0EEEvSK_.uses_vcc, 0
	.set _ZN7rocprim17ROCPRIM_400000_NS6detail17trampoline_kernelINS0_14default_configENS1_37merge_sort_block_sort_config_selectorImNS0_10empty_typeEEEZNS1_21merge_sort_block_sortIS3_N6thrust23THRUST_200600_302600_NS6detail15normal_iteratorINS9_10device_ptrImEEEESE_PS5_SF_11less_div_10ImEEE10hipError_tT0_T1_T2_T3_mRjT4_P12ihipStream_tbNS1_7vsmem_tEEUlT_E_NS1_11comp_targetILNS1_3genE5ELNS1_11target_archE942ELNS1_3gpuE9ELNS1_3repE0EEENS1_30default_config_static_selectorELNS0_4arch9wavefront6targetE0EEEvSK_.uses_flat_scratch, 0
	.set _ZN7rocprim17ROCPRIM_400000_NS6detail17trampoline_kernelINS0_14default_configENS1_37merge_sort_block_sort_config_selectorImNS0_10empty_typeEEEZNS1_21merge_sort_block_sortIS3_N6thrust23THRUST_200600_302600_NS6detail15normal_iteratorINS9_10device_ptrImEEEESE_PS5_SF_11less_div_10ImEEE10hipError_tT0_T1_T2_T3_mRjT4_P12ihipStream_tbNS1_7vsmem_tEEUlT_E_NS1_11comp_targetILNS1_3genE5ELNS1_11target_archE942ELNS1_3gpuE9ELNS1_3repE0EEENS1_30default_config_static_selectorELNS0_4arch9wavefront6targetE0EEEvSK_.has_dyn_sized_stack, 0
	.set _ZN7rocprim17ROCPRIM_400000_NS6detail17trampoline_kernelINS0_14default_configENS1_37merge_sort_block_sort_config_selectorImNS0_10empty_typeEEEZNS1_21merge_sort_block_sortIS3_N6thrust23THRUST_200600_302600_NS6detail15normal_iteratorINS9_10device_ptrImEEEESE_PS5_SF_11less_div_10ImEEE10hipError_tT0_T1_T2_T3_mRjT4_P12ihipStream_tbNS1_7vsmem_tEEUlT_E_NS1_11comp_targetILNS1_3genE5ELNS1_11target_archE942ELNS1_3gpuE9ELNS1_3repE0EEENS1_30default_config_static_selectorELNS0_4arch9wavefront6targetE0EEEvSK_.has_recursion, 0
	.set _ZN7rocprim17ROCPRIM_400000_NS6detail17trampoline_kernelINS0_14default_configENS1_37merge_sort_block_sort_config_selectorImNS0_10empty_typeEEEZNS1_21merge_sort_block_sortIS3_N6thrust23THRUST_200600_302600_NS6detail15normal_iteratorINS9_10device_ptrImEEEESE_PS5_SF_11less_div_10ImEEE10hipError_tT0_T1_T2_T3_mRjT4_P12ihipStream_tbNS1_7vsmem_tEEUlT_E_NS1_11comp_targetILNS1_3genE5ELNS1_11target_archE942ELNS1_3gpuE9ELNS1_3repE0EEENS1_30default_config_static_selectorELNS0_4arch9wavefront6targetE0EEEvSK_.has_indirect_call, 0
	.section	.AMDGPU.csdata,"",@progbits
; Kernel info:
; codeLenInByte = 0
; TotalNumSgprs: 0
; NumVgprs: 0
; ScratchSize: 0
; MemoryBound: 0
; FloatMode: 240
; IeeeMode: 1
; LDSByteSize: 0 bytes/workgroup (compile time only)
; SGPRBlocks: 0
; VGPRBlocks: 0
; NumSGPRsForWavesPerEU: 1
; NumVGPRsForWavesPerEU: 1
; Occupancy: 16
; WaveLimiterHint : 0
; COMPUTE_PGM_RSRC2:SCRATCH_EN: 0
; COMPUTE_PGM_RSRC2:USER_SGPR: 6
; COMPUTE_PGM_RSRC2:TRAP_HANDLER: 0
; COMPUTE_PGM_RSRC2:TGID_X_EN: 1
; COMPUTE_PGM_RSRC2:TGID_Y_EN: 0
; COMPUTE_PGM_RSRC2:TGID_Z_EN: 0
; COMPUTE_PGM_RSRC2:TIDIG_COMP_CNT: 0
	.section	.text._ZN7rocprim17ROCPRIM_400000_NS6detail17trampoline_kernelINS0_14default_configENS1_37merge_sort_block_sort_config_selectorImNS0_10empty_typeEEEZNS1_21merge_sort_block_sortIS3_N6thrust23THRUST_200600_302600_NS6detail15normal_iteratorINS9_10device_ptrImEEEESE_PS5_SF_11less_div_10ImEEE10hipError_tT0_T1_T2_T3_mRjT4_P12ihipStream_tbNS1_7vsmem_tEEUlT_E_NS1_11comp_targetILNS1_3genE4ELNS1_11target_archE910ELNS1_3gpuE8ELNS1_3repE0EEENS1_30default_config_static_selectorELNS0_4arch9wavefront6targetE0EEEvSK_,"axG",@progbits,_ZN7rocprim17ROCPRIM_400000_NS6detail17trampoline_kernelINS0_14default_configENS1_37merge_sort_block_sort_config_selectorImNS0_10empty_typeEEEZNS1_21merge_sort_block_sortIS3_N6thrust23THRUST_200600_302600_NS6detail15normal_iteratorINS9_10device_ptrImEEEESE_PS5_SF_11less_div_10ImEEE10hipError_tT0_T1_T2_T3_mRjT4_P12ihipStream_tbNS1_7vsmem_tEEUlT_E_NS1_11comp_targetILNS1_3genE4ELNS1_11target_archE910ELNS1_3gpuE8ELNS1_3repE0EEENS1_30default_config_static_selectorELNS0_4arch9wavefront6targetE0EEEvSK_,comdat
	.protected	_ZN7rocprim17ROCPRIM_400000_NS6detail17trampoline_kernelINS0_14default_configENS1_37merge_sort_block_sort_config_selectorImNS0_10empty_typeEEEZNS1_21merge_sort_block_sortIS3_N6thrust23THRUST_200600_302600_NS6detail15normal_iteratorINS9_10device_ptrImEEEESE_PS5_SF_11less_div_10ImEEE10hipError_tT0_T1_T2_T3_mRjT4_P12ihipStream_tbNS1_7vsmem_tEEUlT_E_NS1_11comp_targetILNS1_3genE4ELNS1_11target_archE910ELNS1_3gpuE8ELNS1_3repE0EEENS1_30default_config_static_selectorELNS0_4arch9wavefront6targetE0EEEvSK_ ; -- Begin function _ZN7rocprim17ROCPRIM_400000_NS6detail17trampoline_kernelINS0_14default_configENS1_37merge_sort_block_sort_config_selectorImNS0_10empty_typeEEEZNS1_21merge_sort_block_sortIS3_N6thrust23THRUST_200600_302600_NS6detail15normal_iteratorINS9_10device_ptrImEEEESE_PS5_SF_11less_div_10ImEEE10hipError_tT0_T1_T2_T3_mRjT4_P12ihipStream_tbNS1_7vsmem_tEEUlT_E_NS1_11comp_targetILNS1_3genE4ELNS1_11target_archE910ELNS1_3gpuE8ELNS1_3repE0EEENS1_30default_config_static_selectorELNS0_4arch9wavefront6targetE0EEEvSK_
	.globl	_ZN7rocprim17ROCPRIM_400000_NS6detail17trampoline_kernelINS0_14default_configENS1_37merge_sort_block_sort_config_selectorImNS0_10empty_typeEEEZNS1_21merge_sort_block_sortIS3_N6thrust23THRUST_200600_302600_NS6detail15normal_iteratorINS9_10device_ptrImEEEESE_PS5_SF_11less_div_10ImEEE10hipError_tT0_T1_T2_T3_mRjT4_P12ihipStream_tbNS1_7vsmem_tEEUlT_E_NS1_11comp_targetILNS1_3genE4ELNS1_11target_archE910ELNS1_3gpuE8ELNS1_3repE0EEENS1_30default_config_static_selectorELNS0_4arch9wavefront6targetE0EEEvSK_
	.p2align	8
	.type	_ZN7rocprim17ROCPRIM_400000_NS6detail17trampoline_kernelINS0_14default_configENS1_37merge_sort_block_sort_config_selectorImNS0_10empty_typeEEEZNS1_21merge_sort_block_sortIS3_N6thrust23THRUST_200600_302600_NS6detail15normal_iteratorINS9_10device_ptrImEEEESE_PS5_SF_11less_div_10ImEEE10hipError_tT0_T1_T2_T3_mRjT4_P12ihipStream_tbNS1_7vsmem_tEEUlT_E_NS1_11comp_targetILNS1_3genE4ELNS1_11target_archE910ELNS1_3gpuE8ELNS1_3repE0EEENS1_30default_config_static_selectorELNS0_4arch9wavefront6targetE0EEEvSK_,@function
_ZN7rocprim17ROCPRIM_400000_NS6detail17trampoline_kernelINS0_14default_configENS1_37merge_sort_block_sort_config_selectorImNS0_10empty_typeEEEZNS1_21merge_sort_block_sortIS3_N6thrust23THRUST_200600_302600_NS6detail15normal_iteratorINS9_10device_ptrImEEEESE_PS5_SF_11less_div_10ImEEE10hipError_tT0_T1_T2_T3_mRjT4_P12ihipStream_tbNS1_7vsmem_tEEUlT_E_NS1_11comp_targetILNS1_3genE4ELNS1_11target_archE910ELNS1_3gpuE8ELNS1_3repE0EEENS1_30default_config_static_selectorELNS0_4arch9wavefront6targetE0EEEvSK_: ; @_ZN7rocprim17ROCPRIM_400000_NS6detail17trampoline_kernelINS0_14default_configENS1_37merge_sort_block_sort_config_selectorImNS0_10empty_typeEEEZNS1_21merge_sort_block_sortIS3_N6thrust23THRUST_200600_302600_NS6detail15normal_iteratorINS9_10device_ptrImEEEESE_PS5_SF_11less_div_10ImEEE10hipError_tT0_T1_T2_T3_mRjT4_P12ihipStream_tbNS1_7vsmem_tEEUlT_E_NS1_11comp_targetILNS1_3genE4ELNS1_11target_archE910ELNS1_3gpuE8ELNS1_3repE0EEENS1_30default_config_static_selectorELNS0_4arch9wavefront6targetE0EEEvSK_
; %bb.0:
	.section	.rodata,"a",@progbits
	.p2align	6, 0x0
	.amdhsa_kernel _ZN7rocprim17ROCPRIM_400000_NS6detail17trampoline_kernelINS0_14default_configENS1_37merge_sort_block_sort_config_selectorImNS0_10empty_typeEEEZNS1_21merge_sort_block_sortIS3_N6thrust23THRUST_200600_302600_NS6detail15normal_iteratorINS9_10device_ptrImEEEESE_PS5_SF_11less_div_10ImEEE10hipError_tT0_T1_T2_T3_mRjT4_P12ihipStream_tbNS1_7vsmem_tEEUlT_E_NS1_11comp_targetILNS1_3genE4ELNS1_11target_archE910ELNS1_3gpuE8ELNS1_3repE0EEENS1_30default_config_static_selectorELNS0_4arch9wavefront6targetE0EEEvSK_
		.amdhsa_group_segment_fixed_size 0
		.amdhsa_private_segment_fixed_size 0
		.amdhsa_kernarg_size 64
		.amdhsa_user_sgpr_count 6
		.amdhsa_user_sgpr_private_segment_buffer 1
		.amdhsa_user_sgpr_dispatch_ptr 0
		.amdhsa_user_sgpr_queue_ptr 0
		.amdhsa_user_sgpr_kernarg_segment_ptr 1
		.amdhsa_user_sgpr_dispatch_id 0
		.amdhsa_user_sgpr_flat_scratch_init 0
		.amdhsa_user_sgpr_private_segment_size 0
		.amdhsa_wavefront_size32 1
		.amdhsa_uses_dynamic_stack 0
		.amdhsa_system_sgpr_private_segment_wavefront_offset 0
		.amdhsa_system_sgpr_workgroup_id_x 1
		.amdhsa_system_sgpr_workgroup_id_y 0
		.amdhsa_system_sgpr_workgroup_id_z 0
		.amdhsa_system_sgpr_workgroup_info 0
		.amdhsa_system_vgpr_workitem_id 0
		.amdhsa_next_free_vgpr 1
		.amdhsa_next_free_sgpr 1
		.amdhsa_reserve_vcc 0
		.amdhsa_reserve_flat_scratch 0
		.amdhsa_float_round_mode_32 0
		.amdhsa_float_round_mode_16_64 0
		.amdhsa_float_denorm_mode_32 3
		.amdhsa_float_denorm_mode_16_64 3
		.amdhsa_dx10_clamp 1
		.amdhsa_ieee_mode 1
		.amdhsa_fp16_overflow 0
		.amdhsa_workgroup_processor_mode 1
		.amdhsa_memory_ordered 1
		.amdhsa_forward_progress 1
		.amdhsa_shared_vgpr_count 0
		.amdhsa_exception_fp_ieee_invalid_op 0
		.amdhsa_exception_fp_denorm_src 0
		.amdhsa_exception_fp_ieee_div_zero 0
		.amdhsa_exception_fp_ieee_overflow 0
		.amdhsa_exception_fp_ieee_underflow 0
		.amdhsa_exception_fp_ieee_inexact 0
		.amdhsa_exception_int_div_zero 0
	.end_amdhsa_kernel
	.section	.text._ZN7rocprim17ROCPRIM_400000_NS6detail17trampoline_kernelINS0_14default_configENS1_37merge_sort_block_sort_config_selectorImNS0_10empty_typeEEEZNS1_21merge_sort_block_sortIS3_N6thrust23THRUST_200600_302600_NS6detail15normal_iteratorINS9_10device_ptrImEEEESE_PS5_SF_11less_div_10ImEEE10hipError_tT0_T1_T2_T3_mRjT4_P12ihipStream_tbNS1_7vsmem_tEEUlT_E_NS1_11comp_targetILNS1_3genE4ELNS1_11target_archE910ELNS1_3gpuE8ELNS1_3repE0EEENS1_30default_config_static_selectorELNS0_4arch9wavefront6targetE0EEEvSK_,"axG",@progbits,_ZN7rocprim17ROCPRIM_400000_NS6detail17trampoline_kernelINS0_14default_configENS1_37merge_sort_block_sort_config_selectorImNS0_10empty_typeEEEZNS1_21merge_sort_block_sortIS3_N6thrust23THRUST_200600_302600_NS6detail15normal_iteratorINS9_10device_ptrImEEEESE_PS5_SF_11less_div_10ImEEE10hipError_tT0_T1_T2_T3_mRjT4_P12ihipStream_tbNS1_7vsmem_tEEUlT_E_NS1_11comp_targetILNS1_3genE4ELNS1_11target_archE910ELNS1_3gpuE8ELNS1_3repE0EEENS1_30default_config_static_selectorELNS0_4arch9wavefront6targetE0EEEvSK_,comdat
.Lfunc_end610:
	.size	_ZN7rocprim17ROCPRIM_400000_NS6detail17trampoline_kernelINS0_14default_configENS1_37merge_sort_block_sort_config_selectorImNS0_10empty_typeEEEZNS1_21merge_sort_block_sortIS3_N6thrust23THRUST_200600_302600_NS6detail15normal_iteratorINS9_10device_ptrImEEEESE_PS5_SF_11less_div_10ImEEE10hipError_tT0_T1_T2_T3_mRjT4_P12ihipStream_tbNS1_7vsmem_tEEUlT_E_NS1_11comp_targetILNS1_3genE4ELNS1_11target_archE910ELNS1_3gpuE8ELNS1_3repE0EEENS1_30default_config_static_selectorELNS0_4arch9wavefront6targetE0EEEvSK_, .Lfunc_end610-_ZN7rocprim17ROCPRIM_400000_NS6detail17trampoline_kernelINS0_14default_configENS1_37merge_sort_block_sort_config_selectorImNS0_10empty_typeEEEZNS1_21merge_sort_block_sortIS3_N6thrust23THRUST_200600_302600_NS6detail15normal_iteratorINS9_10device_ptrImEEEESE_PS5_SF_11less_div_10ImEEE10hipError_tT0_T1_T2_T3_mRjT4_P12ihipStream_tbNS1_7vsmem_tEEUlT_E_NS1_11comp_targetILNS1_3genE4ELNS1_11target_archE910ELNS1_3gpuE8ELNS1_3repE0EEENS1_30default_config_static_selectorELNS0_4arch9wavefront6targetE0EEEvSK_
                                        ; -- End function
	.set _ZN7rocprim17ROCPRIM_400000_NS6detail17trampoline_kernelINS0_14default_configENS1_37merge_sort_block_sort_config_selectorImNS0_10empty_typeEEEZNS1_21merge_sort_block_sortIS3_N6thrust23THRUST_200600_302600_NS6detail15normal_iteratorINS9_10device_ptrImEEEESE_PS5_SF_11less_div_10ImEEE10hipError_tT0_T1_T2_T3_mRjT4_P12ihipStream_tbNS1_7vsmem_tEEUlT_E_NS1_11comp_targetILNS1_3genE4ELNS1_11target_archE910ELNS1_3gpuE8ELNS1_3repE0EEENS1_30default_config_static_selectorELNS0_4arch9wavefront6targetE0EEEvSK_.num_vgpr, 0
	.set _ZN7rocprim17ROCPRIM_400000_NS6detail17trampoline_kernelINS0_14default_configENS1_37merge_sort_block_sort_config_selectorImNS0_10empty_typeEEEZNS1_21merge_sort_block_sortIS3_N6thrust23THRUST_200600_302600_NS6detail15normal_iteratorINS9_10device_ptrImEEEESE_PS5_SF_11less_div_10ImEEE10hipError_tT0_T1_T2_T3_mRjT4_P12ihipStream_tbNS1_7vsmem_tEEUlT_E_NS1_11comp_targetILNS1_3genE4ELNS1_11target_archE910ELNS1_3gpuE8ELNS1_3repE0EEENS1_30default_config_static_selectorELNS0_4arch9wavefront6targetE0EEEvSK_.num_agpr, 0
	.set _ZN7rocprim17ROCPRIM_400000_NS6detail17trampoline_kernelINS0_14default_configENS1_37merge_sort_block_sort_config_selectorImNS0_10empty_typeEEEZNS1_21merge_sort_block_sortIS3_N6thrust23THRUST_200600_302600_NS6detail15normal_iteratorINS9_10device_ptrImEEEESE_PS5_SF_11less_div_10ImEEE10hipError_tT0_T1_T2_T3_mRjT4_P12ihipStream_tbNS1_7vsmem_tEEUlT_E_NS1_11comp_targetILNS1_3genE4ELNS1_11target_archE910ELNS1_3gpuE8ELNS1_3repE0EEENS1_30default_config_static_selectorELNS0_4arch9wavefront6targetE0EEEvSK_.numbered_sgpr, 0
	.set _ZN7rocprim17ROCPRIM_400000_NS6detail17trampoline_kernelINS0_14default_configENS1_37merge_sort_block_sort_config_selectorImNS0_10empty_typeEEEZNS1_21merge_sort_block_sortIS3_N6thrust23THRUST_200600_302600_NS6detail15normal_iteratorINS9_10device_ptrImEEEESE_PS5_SF_11less_div_10ImEEE10hipError_tT0_T1_T2_T3_mRjT4_P12ihipStream_tbNS1_7vsmem_tEEUlT_E_NS1_11comp_targetILNS1_3genE4ELNS1_11target_archE910ELNS1_3gpuE8ELNS1_3repE0EEENS1_30default_config_static_selectorELNS0_4arch9wavefront6targetE0EEEvSK_.num_named_barrier, 0
	.set _ZN7rocprim17ROCPRIM_400000_NS6detail17trampoline_kernelINS0_14default_configENS1_37merge_sort_block_sort_config_selectorImNS0_10empty_typeEEEZNS1_21merge_sort_block_sortIS3_N6thrust23THRUST_200600_302600_NS6detail15normal_iteratorINS9_10device_ptrImEEEESE_PS5_SF_11less_div_10ImEEE10hipError_tT0_T1_T2_T3_mRjT4_P12ihipStream_tbNS1_7vsmem_tEEUlT_E_NS1_11comp_targetILNS1_3genE4ELNS1_11target_archE910ELNS1_3gpuE8ELNS1_3repE0EEENS1_30default_config_static_selectorELNS0_4arch9wavefront6targetE0EEEvSK_.private_seg_size, 0
	.set _ZN7rocprim17ROCPRIM_400000_NS6detail17trampoline_kernelINS0_14default_configENS1_37merge_sort_block_sort_config_selectorImNS0_10empty_typeEEEZNS1_21merge_sort_block_sortIS3_N6thrust23THRUST_200600_302600_NS6detail15normal_iteratorINS9_10device_ptrImEEEESE_PS5_SF_11less_div_10ImEEE10hipError_tT0_T1_T2_T3_mRjT4_P12ihipStream_tbNS1_7vsmem_tEEUlT_E_NS1_11comp_targetILNS1_3genE4ELNS1_11target_archE910ELNS1_3gpuE8ELNS1_3repE0EEENS1_30default_config_static_selectorELNS0_4arch9wavefront6targetE0EEEvSK_.uses_vcc, 0
	.set _ZN7rocprim17ROCPRIM_400000_NS6detail17trampoline_kernelINS0_14default_configENS1_37merge_sort_block_sort_config_selectorImNS0_10empty_typeEEEZNS1_21merge_sort_block_sortIS3_N6thrust23THRUST_200600_302600_NS6detail15normal_iteratorINS9_10device_ptrImEEEESE_PS5_SF_11less_div_10ImEEE10hipError_tT0_T1_T2_T3_mRjT4_P12ihipStream_tbNS1_7vsmem_tEEUlT_E_NS1_11comp_targetILNS1_3genE4ELNS1_11target_archE910ELNS1_3gpuE8ELNS1_3repE0EEENS1_30default_config_static_selectorELNS0_4arch9wavefront6targetE0EEEvSK_.uses_flat_scratch, 0
	.set _ZN7rocprim17ROCPRIM_400000_NS6detail17trampoline_kernelINS0_14default_configENS1_37merge_sort_block_sort_config_selectorImNS0_10empty_typeEEEZNS1_21merge_sort_block_sortIS3_N6thrust23THRUST_200600_302600_NS6detail15normal_iteratorINS9_10device_ptrImEEEESE_PS5_SF_11less_div_10ImEEE10hipError_tT0_T1_T2_T3_mRjT4_P12ihipStream_tbNS1_7vsmem_tEEUlT_E_NS1_11comp_targetILNS1_3genE4ELNS1_11target_archE910ELNS1_3gpuE8ELNS1_3repE0EEENS1_30default_config_static_selectorELNS0_4arch9wavefront6targetE0EEEvSK_.has_dyn_sized_stack, 0
	.set _ZN7rocprim17ROCPRIM_400000_NS6detail17trampoline_kernelINS0_14default_configENS1_37merge_sort_block_sort_config_selectorImNS0_10empty_typeEEEZNS1_21merge_sort_block_sortIS3_N6thrust23THRUST_200600_302600_NS6detail15normal_iteratorINS9_10device_ptrImEEEESE_PS5_SF_11less_div_10ImEEE10hipError_tT0_T1_T2_T3_mRjT4_P12ihipStream_tbNS1_7vsmem_tEEUlT_E_NS1_11comp_targetILNS1_3genE4ELNS1_11target_archE910ELNS1_3gpuE8ELNS1_3repE0EEENS1_30default_config_static_selectorELNS0_4arch9wavefront6targetE0EEEvSK_.has_recursion, 0
	.set _ZN7rocprim17ROCPRIM_400000_NS6detail17trampoline_kernelINS0_14default_configENS1_37merge_sort_block_sort_config_selectorImNS0_10empty_typeEEEZNS1_21merge_sort_block_sortIS3_N6thrust23THRUST_200600_302600_NS6detail15normal_iteratorINS9_10device_ptrImEEEESE_PS5_SF_11less_div_10ImEEE10hipError_tT0_T1_T2_T3_mRjT4_P12ihipStream_tbNS1_7vsmem_tEEUlT_E_NS1_11comp_targetILNS1_3genE4ELNS1_11target_archE910ELNS1_3gpuE8ELNS1_3repE0EEENS1_30default_config_static_selectorELNS0_4arch9wavefront6targetE0EEEvSK_.has_indirect_call, 0
	.section	.AMDGPU.csdata,"",@progbits
; Kernel info:
; codeLenInByte = 0
; TotalNumSgprs: 0
; NumVgprs: 0
; ScratchSize: 0
; MemoryBound: 0
; FloatMode: 240
; IeeeMode: 1
; LDSByteSize: 0 bytes/workgroup (compile time only)
; SGPRBlocks: 0
; VGPRBlocks: 0
; NumSGPRsForWavesPerEU: 1
; NumVGPRsForWavesPerEU: 1
; Occupancy: 16
; WaveLimiterHint : 0
; COMPUTE_PGM_RSRC2:SCRATCH_EN: 0
; COMPUTE_PGM_RSRC2:USER_SGPR: 6
; COMPUTE_PGM_RSRC2:TRAP_HANDLER: 0
; COMPUTE_PGM_RSRC2:TGID_X_EN: 1
; COMPUTE_PGM_RSRC2:TGID_Y_EN: 0
; COMPUTE_PGM_RSRC2:TGID_Z_EN: 0
; COMPUTE_PGM_RSRC2:TIDIG_COMP_CNT: 0
	.section	.text._ZN7rocprim17ROCPRIM_400000_NS6detail17trampoline_kernelINS0_14default_configENS1_37merge_sort_block_sort_config_selectorImNS0_10empty_typeEEEZNS1_21merge_sort_block_sortIS3_N6thrust23THRUST_200600_302600_NS6detail15normal_iteratorINS9_10device_ptrImEEEESE_PS5_SF_11less_div_10ImEEE10hipError_tT0_T1_T2_T3_mRjT4_P12ihipStream_tbNS1_7vsmem_tEEUlT_E_NS1_11comp_targetILNS1_3genE3ELNS1_11target_archE908ELNS1_3gpuE7ELNS1_3repE0EEENS1_30default_config_static_selectorELNS0_4arch9wavefront6targetE0EEEvSK_,"axG",@progbits,_ZN7rocprim17ROCPRIM_400000_NS6detail17trampoline_kernelINS0_14default_configENS1_37merge_sort_block_sort_config_selectorImNS0_10empty_typeEEEZNS1_21merge_sort_block_sortIS3_N6thrust23THRUST_200600_302600_NS6detail15normal_iteratorINS9_10device_ptrImEEEESE_PS5_SF_11less_div_10ImEEE10hipError_tT0_T1_T2_T3_mRjT4_P12ihipStream_tbNS1_7vsmem_tEEUlT_E_NS1_11comp_targetILNS1_3genE3ELNS1_11target_archE908ELNS1_3gpuE7ELNS1_3repE0EEENS1_30default_config_static_selectorELNS0_4arch9wavefront6targetE0EEEvSK_,comdat
	.protected	_ZN7rocprim17ROCPRIM_400000_NS6detail17trampoline_kernelINS0_14default_configENS1_37merge_sort_block_sort_config_selectorImNS0_10empty_typeEEEZNS1_21merge_sort_block_sortIS3_N6thrust23THRUST_200600_302600_NS6detail15normal_iteratorINS9_10device_ptrImEEEESE_PS5_SF_11less_div_10ImEEE10hipError_tT0_T1_T2_T3_mRjT4_P12ihipStream_tbNS1_7vsmem_tEEUlT_E_NS1_11comp_targetILNS1_3genE3ELNS1_11target_archE908ELNS1_3gpuE7ELNS1_3repE0EEENS1_30default_config_static_selectorELNS0_4arch9wavefront6targetE0EEEvSK_ ; -- Begin function _ZN7rocprim17ROCPRIM_400000_NS6detail17trampoline_kernelINS0_14default_configENS1_37merge_sort_block_sort_config_selectorImNS0_10empty_typeEEEZNS1_21merge_sort_block_sortIS3_N6thrust23THRUST_200600_302600_NS6detail15normal_iteratorINS9_10device_ptrImEEEESE_PS5_SF_11less_div_10ImEEE10hipError_tT0_T1_T2_T3_mRjT4_P12ihipStream_tbNS1_7vsmem_tEEUlT_E_NS1_11comp_targetILNS1_3genE3ELNS1_11target_archE908ELNS1_3gpuE7ELNS1_3repE0EEENS1_30default_config_static_selectorELNS0_4arch9wavefront6targetE0EEEvSK_
	.globl	_ZN7rocprim17ROCPRIM_400000_NS6detail17trampoline_kernelINS0_14default_configENS1_37merge_sort_block_sort_config_selectorImNS0_10empty_typeEEEZNS1_21merge_sort_block_sortIS3_N6thrust23THRUST_200600_302600_NS6detail15normal_iteratorINS9_10device_ptrImEEEESE_PS5_SF_11less_div_10ImEEE10hipError_tT0_T1_T2_T3_mRjT4_P12ihipStream_tbNS1_7vsmem_tEEUlT_E_NS1_11comp_targetILNS1_3genE3ELNS1_11target_archE908ELNS1_3gpuE7ELNS1_3repE0EEENS1_30default_config_static_selectorELNS0_4arch9wavefront6targetE0EEEvSK_
	.p2align	8
	.type	_ZN7rocprim17ROCPRIM_400000_NS6detail17trampoline_kernelINS0_14default_configENS1_37merge_sort_block_sort_config_selectorImNS0_10empty_typeEEEZNS1_21merge_sort_block_sortIS3_N6thrust23THRUST_200600_302600_NS6detail15normal_iteratorINS9_10device_ptrImEEEESE_PS5_SF_11less_div_10ImEEE10hipError_tT0_T1_T2_T3_mRjT4_P12ihipStream_tbNS1_7vsmem_tEEUlT_E_NS1_11comp_targetILNS1_3genE3ELNS1_11target_archE908ELNS1_3gpuE7ELNS1_3repE0EEENS1_30default_config_static_selectorELNS0_4arch9wavefront6targetE0EEEvSK_,@function
_ZN7rocprim17ROCPRIM_400000_NS6detail17trampoline_kernelINS0_14default_configENS1_37merge_sort_block_sort_config_selectorImNS0_10empty_typeEEEZNS1_21merge_sort_block_sortIS3_N6thrust23THRUST_200600_302600_NS6detail15normal_iteratorINS9_10device_ptrImEEEESE_PS5_SF_11less_div_10ImEEE10hipError_tT0_T1_T2_T3_mRjT4_P12ihipStream_tbNS1_7vsmem_tEEUlT_E_NS1_11comp_targetILNS1_3genE3ELNS1_11target_archE908ELNS1_3gpuE7ELNS1_3repE0EEENS1_30default_config_static_selectorELNS0_4arch9wavefront6targetE0EEEvSK_: ; @_ZN7rocprim17ROCPRIM_400000_NS6detail17trampoline_kernelINS0_14default_configENS1_37merge_sort_block_sort_config_selectorImNS0_10empty_typeEEEZNS1_21merge_sort_block_sortIS3_N6thrust23THRUST_200600_302600_NS6detail15normal_iteratorINS9_10device_ptrImEEEESE_PS5_SF_11less_div_10ImEEE10hipError_tT0_T1_T2_T3_mRjT4_P12ihipStream_tbNS1_7vsmem_tEEUlT_E_NS1_11comp_targetILNS1_3genE3ELNS1_11target_archE908ELNS1_3gpuE7ELNS1_3repE0EEENS1_30default_config_static_selectorELNS0_4arch9wavefront6targetE0EEEvSK_
; %bb.0:
	.section	.rodata,"a",@progbits
	.p2align	6, 0x0
	.amdhsa_kernel _ZN7rocprim17ROCPRIM_400000_NS6detail17trampoline_kernelINS0_14default_configENS1_37merge_sort_block_sort_config_selectorImNS0_10empty_typeEEEZNS1_21merge_sort_block_sortIS3_N6thrust23THRUST_200600_302600_NS6detail15normal_iteratorINS9_10device_ptrImEEEESE_PS5_SF_11less_div_10ImEEE10hipError_tT0_T1_T2_T3_mRjT4_P12ihipStream_tbNS1_7vsmem_tEEUlT_E_NS1_11comp_targetILNS1_3genE3ELNS1_11target_archE908ELNS1_3gpuE7ELNS1_3repE0EEENS1_30default_config_static_selectorELNS0_4arch9wavefront6targetE0EEEvSK_
		.amdhsa_group_segment_fixed_size 0
		.amdhsa_private_segment_fixed_size 0
		.amdhsa_kernarg_size 64
		.amdhsa_user_sgpr_count 6
		.amdhsa_user_sgpr_private_segment_buffer 1
		.amdhsa_user_sgpr_dispatch_ptr 0
		.amdhsa_user_sgpr_queue_ptr 0
		.amdhsa_user_sgpr_kernarg_segment_ptr 1
		.amdhsa_user_sgpr_dispatch_id 0
		.amdhsa_user_sgpr_flat_scratch_init 0
		.amdhsa_user_sgpr_private_segment_size 0
		.amdhsa_wavefront_size32 1
		.amdhsa_uses_dynamic_stack 0
		.amdhsa_system_sgpr_private_segment_wavefront_offset 0
		.amdhsa_system_sgpr_workgroup_id_x 1
		.amdhsa_system_sgpr_workgroup_id_y 0
		.amdhsa_system_sgpr_workgroup_id_z 0
		.amdhsa_system_sgpr_workgroup_info 0
		.amdhsa_system_vgpr_workitem_id 0
		.amdhsa_next_free_vgpr 1
		.amdhsa_next_free_sgpr 1
		.amdhsa_reserve_vcc 0
		.amdhsa_reserve_flat_scratch 0
		.amdhsa_float_round_mode_32 0
		.amdhsa_float_round_mode_16_64 0
		.amdhsa_float_denorm_mode_32 3
		.amdhsa_float_denorm_mode_16_64 3
		.amdhsa_dx10_clamp 1
		.amdhsa_ieee_mode 1
		.amdhsa_fp16_overflow 0
		.amdhsa_workgroup_processor_mode 1
		.amdhsa_memory_ordered 1
		.amdhsa_forward_progress 1
		.amdhsa_shared_vgpr_count 0
		.amdhsa_exception_fp_ieee_invalid_op 0
		.amdhsa_exception_fp_denorm_src 0
		.amdhsa_exception_fp_ieee_div_zero 0
		.amdhsa_exception_fp_ieee_overflow 0
		.amdhsa_exception_fp_ieee_underflow 0
		.amdhsa_exception_fp_ieee_inexact 0
		.amdhsa_exception_int_div_zero 0
	.end_amdhsa_kernel
	.section	.text._ZN7rocprim17ROCPRIM_400000_NS6detail17trampoline_kernelINS0_14default_configENS1_37merge_sort_block_sort_config_selectorImNS0_10empty_typeEEEZNS1_21merge_sort_block_sortIS3_N6thrust23THRUST_200600_302600_NS6detail15normal_iteratorINS9_10device_ptrImEEEESE_PS5_SF_11less_div_10ImEEE10hipError_tT0_T1_T2_T3_mRjT4_P12ihipStream_tbNS1_7vsmem_tEEUlT_E_NS1_11comp_targetILNS1_3genE3ELNS1_11target_archE908ELNS1_3gpuE7ELNS1_3repE0EEENS1_30default_config_static_selectorELNS0_4arch9wavefront6targetE0EEEvSK_,"axG",@progbits,_ZN7rocprim17ROCPRIM_400000_NS6detail17trampoline_kernelINS0_14default_configENS1_37merge_sort_block_sort_config_selectorImNS0_10empty_typeEEEZNS1_21merge_sort_block_sortIS3_N6thrust23THRUST_200600_302600_NS6detail15normal_iteratorINS9_10device_ptrImEEEESE_PS5_SF_11less_div_10ImEEE10hipError_tT0_T1_T2_T3_mRjT4_P12ihipStream_tbNS1_7vsmem_tEEUlT_E_NS1_11comp_targetILNS1_3genE3ELNS1_11target_archE908ELNS1_3gpuE7ELNS1_3repE0EEENS1_30default_config_static_selectorELNS0_4arch9wavefront6targetE0EEEvSK_,comdat
.Lfunc_end611:
	.size	_ZN7rocprim17ROCPRIM_400000_NS6detail17trampoline_kernelINS0_14default_configENS1_37merge_sort_block_sort_config_selectorImNS0_10empty_typeEEEZNS1_21merge_sort_block_sortIS3_N6thrust23THRUST_200600_302600_NS6detail15normal_iteratorINS9_10device_ptrImEEEESE_PS5_SF_11less_div_10ImEEE10hipError_tT0_T1_T2_T3_mRjT4_P12ihipStream_tbNS1_7vsmem_tEEUlT_E_NS1_11comp_targetILNS1_3genE3ELNS1_11target_archE908ELNS1_3gpuE7ELNS1_3repE0EEENS1_30default_config_static_selectorELNS0_4arch9wavefront6targetE0EEEvSK_, .Lfunc_end611-_ZN7rocprim17ROCPRIM_400000_NS6detail17trampoline_kernelINS0_14default_configENS1_37merge_sort_block_sort_config_selectorImNS0_10empty_typeEEEZNS1_21merge_sort_block_sortIS3_N6thrust23THRUST_200600_302600_NS6detail15normal_iteratorINS9_10device_ptrImEEEESE_PS5_SF_11less_div_10ImEEE10hipError_tT0_T1_T2_T3_mRjT4_P12ihipStream_tbNS1_7vsmem_tEEUlT_E_NS1_11comp_targetILNS1_3genE3ELNS1_11target_archE908ELNS1_3gpuE7ELNS1_3repE0EEENS1_30default_config_static_selectorELNS0_4arch9wavefront6targetE0EEEvSK_
                                        ; -- End function
	.set _ZN7rocprim17ROCPRIM_400000_NS6detail17trampoline_kernelINS0_14default_configENS1_37merge_sort_block_sort_config_selectorImNS0_10empty_typeEEEZNS1_21merge_sort_block_sortIS3_N6thrust23THRUST_200600_302600_NS6detail15normal_iteratorINS9_10device_ptrImEEEESE_PS5_SF_11less_div_10ImEEE10hipError_tT0_T1_T2_T3_mRjT4_P12ihipStream_tbNS1_7vsmem_tEEUlT_E_NS1_11comp_targetILNS1_3genE3ELNS1_11target_archE908ELNS1_3gpuE7ELNS1_3repE0EEENS1_30default_config_static_selectorELNS0_4arch9wavefront6targetE0EEEvSK_.num_vgpr, 0
	.set _ZN7rocprim17ROCPRIM_400000_NS6detail17trampoline_kernelINS0_14default_configENS1_37merge_sort_block_sort_config_selectorImNS0_10empty_typeEEEZNS1_21merge_sort_block_sortIS3_N6thrust23THRUST_200600_302600_NS6detail15normal_iteratorINS9_10device_ptrImEEEESE_PS5_SF_11less_div_10ImEEE10hipError_tT0_T1_T2_T3_mRjT4_P12ihipStream_tbNS1_7vsmem_tEEUlT_E_NS1_11comp_targetILNS1_3genE3ELNS1_11target_archE908ELNS1_3gpuE7ELNS1_3repE0EEENS1_30default_config_static_selectorELNS0_4arch9wavefront6targetE0EEEvSK_.num_agpr, 0
	.set _ZN7rocprim17ROCPRIM_400000_NS6detail17trampoline_kernelINS0_14default_configENS1_37merge_sort_block_sort_config_selectorImNS0_10empty_typeEEEZNS1_21merge_sort_block_sortIS3_N6thrust23THRUST_200600_302600_NS6detail15normal_iteratorINS9_10device_ptrImEEEESE_PS5_SF_11less_div_10ImEEE10hipError_tT0_T1_T2_T3_mRjT4_P12ihipStream_tbNS1_7vsmem_tEEUlT_E_NS1_11comp_targetILNS1_3genE3ELNS1_11target_archE908ELNS1_3gpuE7ELNS1_3repE0EEENS1_30default_config_static_selectorELNS0_4arch9wavefront6targetE0EEEvSK_.numbered_sgpr, 0
	.set _ZN7rocprim17ROCPRIM_400000_NS6detail17trampoline_kernelINS0_14default_configENS1_37merge_sort_block_sort_config_selectorImNS0_10empty_typeEEEZNS1_21merge_sort_block_sortIS3_N6thrust23THRUST_200600_302600_NS6detail15normal_iteratorINS9_10device_ptrImEEEESE_PS5_SF_11less_div_10ImEEE10hipError_tT0_T1_T2_T3_mRjT4_P12ihipStream_tbNS1_7vsmem_tEEUlT_E_NS1_11comp_targetILNS1_3genE3ELNS1_11target_archE908ELNS1_3gpuE7ELNS1_3repE0EEENS1_30default_config_static_selectorELNS0_4arch9wavefront6targetE0EEEvSK_.num_named_barrier, 0
	.set _ZN7rocprim17ROCPRIM_400000_NS6detail17trampoline_kernelINS0_14default_configENS1_37merge_sort_block_sort_config_selectorImNS0_10empty_typeEEEZNS1_21merge_sort_block_sortIS3_N6thrust23THRUST_200600_302600_NS6detail15normal_iteratorINS9_10device_ptrImEEEESE_PS5_SF_11less_div_10ImEEE10hipError_tT0_T1_T2_T3_mRjT4_P12ihipStream_tbNS1_7vsmem_tEEUlT_E_NS1_11comp_targetILNS1_3genE3ELNS1_11target_archE908ELNS1_3gpuE7ELNS1_3repE0EEENS1_30default_config_static_selectorELNS0_4arch9wavefront6targetE0EEEvSK_.private_seg_size, 0
	.set _ZN7rocprim17ROCPRIM_400000_NS6detail17trampoline_kernelINS0_14default_configENS1_37merge_sort_block_sort_config_selectorImNS0_10empty_typeEEEZNS1_21merge_sort_block_sortIS3_N6thrust23THRUST_200600_302600_NS6detail15normal_iteratorINS9_10device_ptrImEEEESE_PS5_SF_11less_div_10ImEEE10hipError_tT0_T1_T2_T3_mRjT4_P12ihipStream_tbNS1_7vsmem_tEEUlT_E_NS1_11comp_targetILNS1_3genE3ELNS1_11target_archE908ELNS1_3gpuE7ELNS1_3repE0EEENS1_30default_config_static_selectorELNS0_4arch9wavefront6targetE0EEEvSK_.uses_vcc, 0
	.set _ZN7rocprim17ROCPRIM_400000_NS6detail17trampoline_kernelINS0_14default_configENS1_37merge_sort_block_sort_config_selectorImNS0_10empty_typeEEEZNS1_21merge_sort_block_sortIS3_N6thrust23THRUST_200600_302600_NS6detail15normal_iteratorINS9_10device_ptrImEEEESE_PS5_SF_11less_div_10ImEEE10hipError_tT0_T1_T2_T3_mRjT4_P12ihipStream_tbNS1_7vsmem_tEEUlT_E_NS1_11comp_targetILNS1_3genE3ELNS1_11target_archE908ELNS1_3gpuE7ELNS1_3repE0EEENS1_30default_config_static_selectorELNS0_4arch9wavefront6targetE0EEEvSK_.uses_flat_scratch, 0
	.set _ZN7rocprim17ROCPRIM_400000_NS6detail17trampoline_kernelINS0_14default_configENS1_37merge_sort_block_sort_config_selectorImNS0_10empty_typeEEEZNS1_21merge_sort_block_sortIS3_N6thrust23THRUST_200600_302600_NS6detail15normal_iteratorINS9_10device_ptrImEEEESE_PS5_SF_11less_div_10ImEEE10hipError_tT0_T1_T2_T3_mRjT4_P12ihipStream_tbNS1_7vsmem_tEEUlT_E_NS1_11comp_targetILNS1_3genE3ELNS1_11target_archE908ELNS1_3gpuE7ELNS1_3repE0EEENS1_30default_config_static_selectorELNS0_4arch9wavefront6targetE0EEEvSK_.has_dyn_sized_stack, 0
	.set _ZN7rocprim17ROCPRIM_400000_NS6detail17trampoline_kernelINS0_14default_configENS1_37merge_sort_block_sort_config_selectorImNS0_10empty_typeEEEZNS1_21merge_sort_block_sortIS3_N6thrust23THRUST_200600_302600_NS6detail15normal_iteratorINS9_10device_ptrImEEEESE_PS5_SF_11less_div_10ImEEE10hipError_tT0_T1_T2_T3_mRjT4_P12ihipStream_tbNS1_7vsmem_tEEUlT_E_NS1_11comp_targetILNS1_3genE3ELNS1_11target_archE908ELNS1_3gpuE7ELNS1_3repE0EEENS1_30default_config_static_selectorELNS0_4arch9wavefront6targetE0EEEvSK_.has_recursion, 0
	.set _ZN7rocprim17ROCPRIM_400000_NS6detail17trampoline_kernelINS0_14default_configENS1_37merge_sort_block_sort_config_selectorImNS0_10empty_typeEEEZNS1_21merge_sort_block_sortIS3_N6thrust23THRUST_200600_302600_NS6detail15normal_iteratorINS9_10device_ptrImEEEESE_PS5_SF_11less_div_10ImEEE10hipError_tT0_T1_T2_T3_mRjT4_P12ihipStream_tbNS1_7vsmem_tEEUlT_E_NS1_11comp_targetILNS1_3genE3ELNS1_11target_archE908ELNS1_3gpuE7ELNS1_3repE0EEENS1_30default_config_static_selectorELNS0_4arch9wavefront6targetE0EEEvSK_.has_indirect_call, 0
	.section	.AMDGPU.csdata,"",@progbits
; Kernel info:
; codeLenInByte = 0
; TotalNumSgprs: 0
; NumVgprs: 0
; ScratchSize: 0
; MemoryBound: 0
; FloatMode: 240
; IeeeMode: 1
; LDSByteSize: 0 bytes/workgroup (compile time only)
; SGPRBlocks: 0
; VGPRBlocks: 0
; NumSGPRsForWavesPerEU: 1
; NumVGPRsForWavesPerEU: 1
; Occupancy: 16
; WaveLimiterHint : 0
; COMPUTE_PGM_RSRC2:SCRATCH_EN: 0
; COMPUTE_PGM_RSRC2:USER_SGPR: 6
; COMPUTE_PGM_RSRC2:TRAP_HANDLER: 0
; COMPUTE_PGM_RSRC2:TGID_X_EN: 1
; COMPUTE_PGM_RSRC2:TGID_Y_EN: 0
; COMPUTE_PGM_RSRC2:TGID_Z_EN: 0
; COMPUTE_PGM_RSRC2:TIDIG_COMP_CNT: 0
	.section	.text._ZN7rocprim17ROCPRIM_400000_NS6detail17trampoline_kernelINS0_14default_configENS1_37merge_sort_block_sort_config_selectorImNS0_10empty_typeEEEZNS1_21merge_sort_block_sortIS3_N6thrust23THRUST_200600_302600_NS6detail15normal_iteratorINS9_10device_ptrImEEEESE_PS5_SF_11less_div_10ImEEE10hipError_tT0_T1_T2_T3_mRjT4_P12ihipStream_tbNS1_7vsmem_tEEUlT_E_NS1_11comp_targetILNS1_3genE2ELNS1_11target_archE906ELNS1_3gpuE6ELNS1_3repE0EEENS1_30default_config_static_selectorELNS0_4arch9wavefront6targetE0EEEvSK_,"axG",@progbits,_ZN7rocprim17ROCPRIM_400000_NS6detail17trampoline_kernelINS0_14default_configENS1_37merge_sort_block_sort_config_selectorImNS0_10empty_typeEEEZNS1_21merge_sort_block_sortIS3_N6thrust23THRUST_200600_302600_NS6detail15normal_iteratorINS9_10device_ptrImEEEESE_PS5_SF_11less_div_10ImEEE10hipError_tT0_T1_T2_T3_mRjT4_P12ihipStream_tbNS1_7vsmem_tEEUlT_E_NS1_11comp_targetILNS1_3genE2ELNS1_11target_archE906ELNS1_3gpuE6ELNS1_3repE0EEENS1_30default_config_static_selectorELNS0_4arch9wavefront6targetE0EEEvSK_,comdat
	.protected	_ZN7rocprim17ROCPRIM_400000_NS6detail17trampoline_kernelINS0_14default_configENS1_37merge_sort_block_sort_config_selectorImNS0_10empty_typeEEEZNS1_21merge_sort_block_sortIS3_N6thrust23THRUST_200600_302600_NS6detail15normal_iteratorINS9_10device_ptrImEEEESE_PS5_SF_11less_div_10ImEEE10hipError_tT0_T1_T2_T3_mRjT4_P12ihipStream_tbNS1_7vsmem_tEEUlT_E_NS1_11comp_targetILNS1_3genE2ELNS1_11target_archE906ELNS1_3gpuE6ELNS1_3repE0EEENS1_30default_config_static_selectorELNS0_4arch9wavefront6targetE0EEEvSK_ ; -- Begin function _ZN7rocprim17ROCPRIM_400000_NS6detail17trampoline_kernelINS0_14default_configENS1_37merge_sort_block_sort_config_selectorImNS0_10empty_typeEEEZNS1_21merge_sort_block_sortIS3_N6thrust23THRUST_200600_302600_NS6detail15normal_iteratorINS9_10device_ptrImEEEESE_PS5_SF_11less_div_10ImEEE10hipError_tT0_T1_T2_T3_mRjT4_P12ihipStream_tbNS1_7vsmem_tEEUlT_E_NS1_11comp_targetILNS1_3genE2ELNS1_11target_archE906ELNS1_3gpuE6ELNS1_3repE0EEENS1_30default_config_static_selectorELNS0_4arch9wavefront6targetE0EEEvSK_
	.globl	_ZN7rocprim17ROCPRIM_400000_NS6detail17trampoline_kernelINS0_14default_configENS1_37merge_sort_block_sort_config_selectorImNS0_10empty_typeEEEZNS1_21merge_sort_block_sortIS3_N6thrust23THRUST_200600_302600_NS6detail15normal_iteratorINS9_10device_ptrImEEEESE_PS5_SF_11less_div_10ImEEE10hipError_tT0_T1_T2_T3_mRjT4_P12ihipStream_tbNS1_7vsmem_tEEUlT_E_NS1_11comp_targetILNS1_3genE2ELNS1_11target_archE906ELNS1_3gpuE6ELNS1_3repE0EEENS1_30default_config_static_selectorELNS0_4arch9wavefront6targetE0EEEvSK_
	.p2align	8
	.type	_ZN7rocprim17ROCPRIM_400000_NS6detail17trampoline_kernelINS0_14default_configENS1_37merge_sort_block_sort_config_selectorImNS0_10empty_typeEEEZNS1_21merge_sort_block_sortIS3_N6thrust23THRUST_200600_302600_NS6detail15normal_iteratorINS9_10device_ptrImEEEESE_PS5_SF_11less_div_10ImEEE10hipError_tT0_T1_T2_T3_mRjT4_P12ihipStream_tbNS1_7vsmem_tEEUlT_E_NS1_11comp_targetILNS1_3genE2ELNS1_11target_archE906ELNS1_3gpuE6ELNS1_3repE0EEENS1_30default_config_static_selectorELNS0_4arch9wavefront6targetE0EEEvSK_,@function
_ZN7rocprim17ROCPRIM_400000_NS6detail17trampoline_kernelINS0_14default_configENS1_37merge_sort_block_sort_config_selectorImNS0_10empty_typeEEEZNS1_21merge_sort_block_sortIS3_N6thrust23THRUST_200600_302600_NS6detail15normal_iteratorINS9_10device_ptrImEEEESE_PS5_SF_11less_div_10ImEEE10hipError_tT0_T1_T2_T3_mRjT4_P12ihipStream_tbNS1_7vsmem_tEEUlT_E_NS1_11comp_targetILNS1_3genE2ELNS1_11target_archE906ELNS1_3gpuE6ELNS1_3repE0EEENS1_30default_config_static_selectorELNS0_4arch9wavefront6targetE0EEEvSK_: ; @_ZN7rocprim17ROCPRIM_400000_NS6detail17trampoline_kernelINS0_14default_configENS1_37merge_sort_block_sort_config_selectorImNS0_10empty_typeEEEZNS1_21merge_sort_block_sortIS3_N6thrust23THRUST_200600_302600_NS6detail15normal_iteratorINS9_10device_ptrImEEEESE_PS5_SF_11less_div_10ImEEE10hipError_tT0_T1_T2_T3_mRjT4_P12ihipStream_tbNS1_7vsmem_tEEUlT_E_NS1_11comp_targetILNS1_3genE2ELNS1_11target_archE906ELNS1_3gpuE6ELNS1_3repE0EEENS1_30default_config_static_selectorELNS0_4arch9wavefront6targetE0EEEvSK_
; %bb.0:
	.section	.rodata,"a",@progbits
	.p2align	6, 0x0
	.amdhsa_kernel _ZN7rocprim17ROCPRIM_400000_NS6detail17trampoline_kernelINS0_14default_configENS1_37merge_sort_block_sort_config_selectorImNS0_10empty_typeEEEZNS1_21merge_sort_block_sortIS3_N6thrust23THRUST_200600_302600_NS6detail15normal_iteratorINS9_10device_ptrImEEEESE_PS5_SF_11less_div_10ImEEE10hipError_tT0_T1_T2_T3_mRjT4_P12ihipStream_tbNS1_7vsmem_tEEUlT_E_NS1_11comp_targetILNS1_3genE2ELNS1_11target_archE906ELNS1_3gpuE6ELNS1_3repE0EEENS1_30default_config_static_selectorELNS0_4arch9wavefront6targetE0EEEvSK_
		.amdhsa_group_segment_fixed_size 0
		.amdhsa_private_segment_fixed_size 0
		.amdhsa_kernarg_size 64
		.amdhsa_user_sgpr_count 6
		.amdhsa_user_sgpr_private_segment_buffer 1
		.amdhsa_user_sgpr_dispatch_ptr 0
		.amdhsa_user_sgpr_queue_ptr 0
		.amdhsa_user_sgpr_kernarg_segment_ptr 1
		.amdhsa_user_sgpr_dispatch_id 0
		.amdhsa_user_sgpr_flat_scratch_init 0
		.amdhsa_user_sgpr_private_segment_size 0
		.amdhsa_wavefront_size32 1
		.amdhsa_uses_dynamic_stack 0
		.amdhsa_system_sgpr_private_segment_wavefront_offset 0
		.amdhsa_system_sgpr_workgroup_id_x 1
		.amdhsa_system_sgpr_workgroup_id_y 0
		.amdhsa_system_sgpr_workgroup_id_z 0
		.amdhsa_system_sgpr_workgroup_info 0
		.amdhsa_system_vgpr_workitem_id 0
		.amdhsa_next_free_vgpr 1
		.amdhsa_next_free_sgpr 1
		.amdhsa_reserve_vcc 0
		.amdhsa_reserve_flat_scratch 0
		.amdhsa_float_round_mode_32 0
		.amdhsa_float_round_mode_16_64 0
		.amdhsa_float_denorm_mode_32 3
		.amdhsa_float_denorm_mode_16_64 3
		.amdhsa_dx10_clamp 1
		.amdhsa_ieee_mode 1
		.amdhsa_fp16_overflow 0
		.amdhsa_workgroup_processor_mode 1
		.amdhsa_memory_ordered 1
		.amdhsa_forward_progress 1
		.amdhsa_shared_vgpr_count 0
		.amdhsa_exception_fp_ieee_invalid_op 0
		.amdhsa_exception_fp_denorm_src 0
		.amdhsa_exception_fp_ieee_div_zero 0
		.amdhsa_exception_fp_ieee_overflow 0
		.amdhsa_exception_fp_ieee_underflow 0
		.amdhsa_exception_fp_ieee_inexact 0
		.amdhsa_exception_int_div_zero 0
	.end_amdhsa_kernel
	.section	.text._ZN7rocprim17ROCPRIM_400000_NS6detail17trampoline_kernelINS0_14default_configENS1_37merge_sort_block_sort_config_selectorImNS0_10empty_typeEEEZNS1_21merge_sort_block_sortIS3_N6thrust23THRUST_200600_302600_NS6detail15normal_iteratorINS9_10device_ptrImEEEESE_PS5_SF_11less_div_10ImEEE10hipError_tT0_T1_T2_T3_mRjT4_P12ihipStream_tbNS1_7vsmem_tEEUlT_E_NS1_11comp_targetILNS1_3genE2ELNS1_11target_archE906ELNS1_3gpuE6ELNS1_3repE0EEENS1_30default_config_static_selectorELNS0_4arch9wavefront6targetE0EEEvSK_,"axG",@progbits,_ZN7rocprim17ROCPRIM_400000_NS6detail17trampoline_kernelINS0_14default_configENS1_37merge_sort_block_sort_config_selectorImNS0_10empty_typeEEEZNS1_21merge_sort_block_sortIS3_N6thrust23THRUST_200600_302600_NS6detail15normal_iteratorINS9_10device_ptrImEEEESE_PS5_SF_11less_div_10ImEEE10hipError_tT0_T1_T2_T3_mRjT4_P12ihipStream_tbNS1_7vsmem_tEEUlT_E_NS1_11comp_targetILNS1_3genE2ELNS1_11target_archE906ELNS1_3gpuE6ELNS1_3repE0EEENS1_30default_config_static_selectorELNS0_4arch9wavefront6targetE0EEEvSK_,comdat
.Lfunc_end612:
	.size	_ZN7rocprim17ROCPRIM_400000_NS6detail17trampoline_kernelINS0_14default_configENS1_37merge_sort_block_sort_config_selectorImNS0_10empty_typeEEEZNS1_21merge_sort_block_sortIS3_N6thrust23THRUST_200600_302600_NS6detail15normal_iteratorINS9_10device_ptrImEEEESE_PS5_SF_11less_div_10ImEEE10hipError_tT0_T1_T2_T3_mRjT4_P12ihipStream_tbNS1_7vsmem_tEEUlT_E_NS1_11comp_targetILNS1_3genE2ELNS1_11target_archE906ELNS1_3gpuE6ELNS1_3repE0EEENS1_30default_config_static_selectorELNS0_4arch9wavefront6targetE0EEEvSK_, .Lfunc_end612-_ZN7rocprim17ROCPRIM_400000_NS6detail17trampoline_kernelINS0_14default_configENS1_37merge_sort_block_sort_config_selectorImNS0_10empty_typeEEEZNS1_21merge_sort_block_sortIS3_N6thrust23THRUST_200600_302600_NS6detail15normal_iteratorINS9_10device_ptrImEEEESE_PS5_SF_11less_div_10ImEEE10hipError_tT0_T1_T2_T3_mRjT4_P12ihipStream_tbNS1_7vsmem_tEEUlT_E_NS1_11comp_targetILNS1_3genE2ELNS1_11target_archE906ELNS1_3gpuE6ELNS1_3repE0EEENS1_30default_config_static_selectorELNS0_4arch9wavefront6targetE0EEEvSK_
                                        ; -- End function
	.set _ZN7rocprim17ROCPRIM_400000_NS6detail17trampoline_kernelINS0_14default_configENS1_37merge_sort_block_sort_config_selectorImNS0_10empty_typeEEEZNS1_21merge_sort_block_sortIS3_N6thrust23THRUST_200600_302600_NS6detail15normal_iteratorINS9_10device_ptrImEEEESE_PS5_SF_11less_div_10ImEEE10hipError_tT0_T1_T2_T3_mRjT4_P12ihipStream_tbNS1_7vsmem_tEEUlT_E_NS1_11comp_targetILNS1_3genE2ELNS1_11target_archE906ELNS1_3gpuE6ELNS1_3repE0EEENS1_30default_config_static_selectorELNS0_4arch9wavefront6targetE0EEEvSK_.num_vgpr, 0
	.set _ZN7rocprim17ROCPRIM_400000_NS6detail17trampoline_kernelINS0_14default_configENS1_37merge_sort_block_sort_config_selectorImNS0_10empty_typeEEEZNS1_21merge_sort_block_sortIS3_N6thrust23THRUST_200600_302600_NS6detail15normal_iteratorINS9_10device_ptrImEEEESE_PS5_SF_11less_div_10ImEEE10hipError_tT0_T1_T2_T3_mRjT4_P12ihipStream_tbNS1_7vsmem_tEEUlT_E_NS1_11comp_targetILNS1_3genE2ELNS1_11target_archE906ELNS1_3gpuE6ELNS1_3repE0EEENS1_30default_config_static_selectorELNS0_4arch9wavefront6targetE0EEEvSK_.num_agpr, 0
	.set _ZN7rocprim17ROCPRIM_400000_NS6detail17trampoline_kernelINS0_14default_configENS1_37merge_sort_block_sort_config_selectorImNS0_10empty_typeEEEZNS1_21merge_sort_block_sortIS3_N6thrust23THRUST_200600_302600_NS6detail15normal_iteratorINS9_10device_ptrImEEEESE_PS5_SF_11less_div_10ImEEE10hipError_tT0_T1_T2_T3_mRjT4_P12ihipStream_tbNS1_7vsmem_tEEUlT_E_NS1_11comp_targetILNS1_3genE2ELNS1_11target_archE906ELNS1_3gpuE6ELNS1_3repE0EEENS1_30default_config_static_selectorELNS0_4arch9wavefront6targetE0EEEvSK_.numbered_sgpr, 0
	.set _ZN7rocprim17ROCPRIM_400000_NS6detail17trampoline_kernelINS0_14default_configENS1_37merge_sort_block_sort_config_selectorImNS0_10empty_typeEEEZNS1_21merge_sort_block_sortIS3_N6thrust23THRUST_200600_302600_NS6detail15normal_iteratorINS9_10device_ptrImEEEESE_PS5_SF_11less_div_10ImEEE10hipError_tT0_T1_T2_T3_mRjT4_P12ihipStream_tbNS1_7vsmem_tEEUlT_E_NS1_11comp_targetILNS1_3genE2ELNS1_11target_archE906ELNS1_3gpuE6ELNS1_3repE0EEENS1_30default_config_static_selectorELNS0_4arch9wavefront6targetE0EEEvSK_.num_named_barrier, 0
	.set _ZN7rocprim17ROCPRIM_400000_NS6detail17trampoline_kernelINS0_14default_configENS1_37merge_sort_block_sort_config_selectorImNS0_10empty_typeEEEZNS1_21merge_sort_block_sortIS3_N6thrust23THRUST_200600_302600_NS6detail15normal_iteratorINS9_10device_ptrImEEEESE_PS5_SF_11less_div_10ImEEE10hipError_tT0_T1_T2_T3_mRjT4_P12ihipStream_tbNS1_7vsmem_tEEUlT_E_NS1_11comp_targetILNS1_3genE2ELNS1_11target_archE906ELNS1_3gpuE6ELNS1_3repE0EEENS1_30default_config_static_selectorELNS0_4arch9wavefront6targetE0EEEvSK_.private_seg_size, 0
	.set _ZN7rocprim17ROCPRIM_400000_NS6detail17trampoline_kernelINS0_14default_configENS1_37merge_sort_block_sort_config_selectorImNS0_10empty_typeEEEZNS1_21merge_sort_block_sortIS3_N6thrust23THRUST_200600_302600_NS6detail15normal_iteratorINS9_10device_ptrImEEEESE_PS5_SF_11less_div_10ImEEE10hipError_tT0_T1_T2_T3_mRjT4_P12ihipStream_tbNS1_7vsmem_tEEUlT_E_NS1_11comp_targetILNS1_3genE2ELNS1_11target_archE906ELNS1_3gpuE6ELNS1_3repE0EEENS1_30default_config_static_selectorELNS0_4arch9wavefront6targetE0EEEvSK_.uses_vcc, 0
	.set _ZN7rocprim17ROCPRIM_400000_NS6detail17trampoline_kernelINS0_14default_configENS1_37merge_sort_block_sort_config_selectorImNS0_10empty_typeEEEZNS1_21merge_sort_block_sortIS3_N6thrust23THRUST_200600_302600_NS6detail15normal_iteratorINS9_10device_ptrImEEEESE_PS5_SF_11less_div_10ImEEE10hipError_tT0_T1_T2_T3_mRjT4_P12ihipStream_tbNS1_7vsmem_tEEUlT_E_NS1_11comp_targetILNS1_3genE2ELNS1_11target_archE906ELNS1_3gpuE6ELNS1_3repE0EEENS1_30default_config_static_selectorELNS0_4arch9wavefront6targetE0EEEvSK_.uses_flat_scratch, 0
	.set _ZN7rocprim17ROCPRIM_400000_NS6detail17trampoline_kernelINS0_14default_configENS1_37merge_sort_block_sort_config_selectorImNS0_10empty_typeEEEZNS1_21merge_sort_block_sortIS3_N6thrust23THRUST_200600_302600_NS6detail15normal_iteratorINS9_10device_ptrImEEEESE_PS5_SF_11less_div_10ImEEE10hipError_tT0_T1_T2_T3_mRjT4_P12ihipStream_tbNS1_7vsmem_tEEUlT_E_NS1_11comp_targetILNS1_3genE2ELNS1_11target_archE906ELNS1_3gpuE6ELNS1_3repE0EEENS1_30default_config_static_selectorELNS0_4arch9wavefront6targetE0EEEvSK_.has_dyn_sized_stack, 0
	.set _ZN7rocprim17ROCPRIM_400000_NS6detail17trampoline_kernelINS0_14default_configENS1_37merge_sort_block_sort_config_selectorImNS0_10empty_typeEEEZNS1_21merge_sort_block_sortIS3_N6thrust23THRUST_200600_302600_NS6detail15normal_iteratorINS9_10device_ptrImEEEESE_PS5_SF_11less_div_10ImEEE10hipError_tT0_T1_T2_T3_mRjT4_P12ihipStream_tbNS1_7vsmem_tEEUlT_E_NS1_11comp_targetILNS1_3genE2ELNS1_11target_archE906ELNS1_3gpuE6ELNS1_3repE0EEENS1_30default_config_static_selectorELNS0_4arch9wavefront6targetE0EEEvSK_.has_recursion, 0
	.set _ZN7rocprim17ROCPRIM_400000_NS6detail17trampoline_kernelINS0_14default_configENS1_37merge_sort_block_sort_config_selectorImNS0_10empty_typeEEEZNS1_21merge_sort_block_sortIS3_N6thrust23THRUST_200600_302600_NS6detail15normal_iteratorINS9_10device_ptrImEEEESE_PS5_SF_11less_div_10ImEEE10hipError_tT0_T1_T2_T3_mRjT4_P12ihipStream_tbNS1_7vsmem_tEEUlT_E_NS1_11comp_targetILNS1_3genE2ELNS1_11target_archE906ELNS1_3gpuE6ELNS1_3repE0EEENS1_30default_config_static_selectorELNS0_4arch9wavefront6targetE0EEEvSK_.has_indirect_call, 0
	.section	.AMDGPU.csdata,"",@progbits
; Kernel info:
; codeLenInByte = 0
; TotalNumSgprs: 0
; NumVgprs: 0
; ScratchSize: 0
; MemoryBound: 0
; FloatMode: 240
; IeeeMode: 1
; LDSByteSize: 0 bytes/workgroup (compile time only)
; SGPRBlocks: 0
; VGPRBlocks: 0
; NumSGPRsForWavesPerEU: 1
; NumVGPRsForWavesPerEU: 1
; Occupancy: 16
; WaveLimiterHint : 0
; COMPUTE_PGM_RSRC2:SCRATCH_EN: 0
; COMPUTE_PGM_RSRC2:USER_SGPR: 6
; COMPUTE_PGM_RSRC2:TRAP_HANDLER: 0
; COMPUTE_PGM_RSRC2:TGID_X_EN: 1
; COMPUTE_PGM_RSRC2:TGID_Y_EN: 0
; COMPUTE_PGM_RSRC2:TGID_Z_EN: 0
; COMPUTE_PGM_RSRC2:TIDIG_COMP_CNT: 0
	.section	.text._ZN7rocprim17ROCPRIM_400000_NS6detail17trampoline_kernelINS0_14default_configENS1_37merge_sort_block_sort_config_selectorImNS0_10empty_typeEEEZNS1_21merge_sort_block_sortIS3_N6thrust23THRUST_200600_302600_NS6detail15normal_iteratorINS9_10device_ptrImEEEESE_PS5_SF_11less_div_10ImEEE10hipError_tT0_T1_T2_T3_mRjT4_P12ihipStream_tbNS1_7vsmem_tEEUlT_E_NS1_11comp_targetILNS1_3genE10ELNS1_11target_archE1201ELNS1_3gpuE5ELNS1_3repE0EEENS1_30default_config_static_selectorELNS0_4arch9wavefront6targetE0EEEvSK_,"axG",@progbits,_ZN7rocprim17ROCPRIM_400000_NS6detail17trampoline_kernelINS0_14default_configENS1_37merge_sort_block_sort_config_selectorImNS0_10empty_typeEEEZNS1_21merge_sort_block_sortIS3_N6thrust23THRUST_200600_302600_NS6detail15normal_iteratorINS9_10device_ptrImEEEESE_PS5_SF_11less_div_10ImEEE10hipError_tT0_T1_T2_T3_mRjT4_P12ihipStream_tbNS1_7vsmem_tEEUlT_E_NS1_11comp_targetILNS1_3genE10ELNS1_11target_archE1201ELNS1_3gpuE5ELNS1_3repE0EEENS1_30default_config_static_selectorELNS0_4arch9wavefront6targetE0EEEvSK_,comdat
	.protected	_ZN7rocprim17ROCPRIM_400000_NS6detail17trampoline_kernelINS0_14default_configENS1_37merge_sort_block_sort_config_selectorImNS0_10empty_typeEEEZNS1_21merge_sort_block_sortIS3_N6thrust23THRUST_200600_302600_NS6detail15normal_iteratorINS9_10device_ptrImEEEESE_PS5_SF_11less_div_10ImEEE10hipError_tT0_T1_T2_T3_mRjT4_P12ihipStream_tbNS1_7vsmem_tEEUlT_E_NS1_11comp_targetILNS1_3genE10ELNS1_11target_archE1201ELNS1_3gpuE5ELNS1_3repE0EEENS1_30default_config_static_selectorELNS0_4arch9wavefront6targetE0EEEvSK_ ; -- Begin function _ZN7rocprim17ROCPRIM_400000_NS6detail17trampoline_kernelINS0_14default_configENS1_37merge_sort_block_sort_config_selectorImNS0_10empty_typeEEEZNS1_21merge_sort_block_sortIS3_N6thrust23THRUST_200600_302600_NS6detail15normal_iteratorINS9_10device_ptrImEEEESE_PS5_SF_11less_div_10ImEEE10hipError_tT0_T1_T2_T3_mRjT4_P12ihipStream_tbNS1_7vsmem_tEEUlT_E_NS1_11comp_targetILNS1_3genE10ELNS1_11target_archE1201ELNS1_3gpuE5ELNS1_3repE0EEENS1_30default_config_static_selectorELNS0_4arch9wavefront6targetE0EEEvSK_
	.globl	_ZN7rocprim17ROCPRIM_400000_NS6detail17trampoline_kernelINS0_14default_configENS1_37merge_sort_block_sort_config_selectorImNS0_10empty_typeEEEZNS1_21merge_sort_block_sortIS3_N6thrust23THRUST_200600_302600_NS6detail15normal_iteratorINS9_10device_ptrImEEEESE_PS5_SF_11less_div_10ImEEE10hipError_tT0_T1_T2_T3_mRjT4_P12ihipStream_tbNS1_7vsmem_tEEUlT_E_NS1_11comp_targetILNS1_3genE10ELNS1_11target_archE1201ELNS1_3gpuE5ELNS1_3repE0EEENS1_30default_config_static_selectorELNS0_4arch9wavefront6targetE0EEEvSK_
	.p2align	8
	.type	_ZN7rocprim17ROCPRIM_400000_NS6detail17trampoline_kernelINS0_14default_configENS1_37merge_sort_block_sort_config_selectorImNS0_10empty_typeEEEZNS1_21merge_sort_block_sortIS3_N6thrust23THRUST_200600_302600_NS6detail15normal_iteratorINS9_10device_ptrImEEEESE_PS5_SF_11less_div_10ImEEE10hipError_tT0_T1_T2_T3_mRjT4_P12ihipStream_tbNS1_7vsmem_tEEUlT_E_NS1_11comp_targetILNS1_3genE10ELNS1_11target_archE1201ELNS1_3gpuE5ELNS1_3repE0EEENS1_30default_config_static_selectorELNS0_4arch9wavefront6targetE0EEEvSK_,@function
_ZN7rocprim17ROCPRIM_400000_NS6detail17trampoline_kernelINS0_14default_configENS1_37merge_sort_block_sort_config_selectorImNS0_10empty_typeEEEZNS1_21merge_sort_block_sortIS3_N6thrust23THRUST_200600_302600_NS6detail15normal_iteratorINS9_10device_ptrImEEEESE_PS5_SF_11less_div_10ImEEE10hipError_tT0_T1_T2_T3_mRjT4_P12ihipStream_tbNS1_7vsmem_tEEUlT_E_NS1_11comp_targetILNS1_3genE10ELNS1_11target_archE1201ELNS1_3gpuE5ELNS1_3repE0EEENS1_30default_config_static_selectorELNS0_4arch9wavefront6targetE0EEEvSK_: ; @_ZN7rocprim17ROCPRIM_400000_NS6detail17trampoline_kernelINS0_14default_configENS1_37merge_sort_block_sort_config_selectorImNS0_10empty_typeEEEZNS1_21merge_sort_block_sortIS3_N6thrust23THRUST_200600_302600_NS6detail15normal_iteratorINS9_10device_ptrImEEEESE_PS5_SF_11less_div_10ImEEE10hipError_tT0_T1_T2_T3_mRjT4_P12ihipStream_tbNS1_7vsmem_tEEUlT_E_NS1_11comp_targetILNS1_3genE10ELNS1_11target_archE1201ELNS1_3gpuE5ELNS1_3repE0EEENS1_30default_config_static_selectorELNS0_4arch9wavefront6targetE0EEEvSK_
; %bb.0:
	.section	.rodata,"a",@progbits
	.p2align	6, 0x0
	.amdhsa_kernel _ZN7rocprim17ROCPRIM_400000_NS6detail17trampoline_kernelINS0_14default_configENS1_37merge_sort_block_sort_config_selectorImNS0_10empty_typeEEEZNS1_21merge_sort_block_sortIS3_N6thrust23THRUST_200600_302600_NS6detail15normal_iteratorINS9_10device_ptrImEEEESE_PS5_SF_11less_div_10ImEEE10hipError_tT0_T1_T2_T3_mRjT4_P12ihipStream_tbNS1_7vsmem_tEEUlT_E_NS1_11comp_targetILNS1_3genE10ELNS1_11target_archE1201ELNS1_3gpuE5ELNS1_3repE0EEENS1_30default_config_static_selectorELNS0_4arch9wavefront6targetE0EEEvSK_
		.amdhsa_group_segment_fixed_size 0
		.amdhsa_private_segment_fixed_size 0
		.amdhsa_kernarg_size 64
		.amdhsa_user_sgpr_count 6
		.amdhsa_user_sgpr_private_segment_buffer 1
		.amdhsa_user_sgpr_dispatch_ptr 0
		.amdhsa_user_sgpr_queue_ptr 0
		.amdhsa_user_sgpr_kernarg_segment_ptr 1
		.amdhsa_user_sgpr_dispatch_id 0
		.amdhsa_user_sgpr_flat_scratch_init 0
		.amdhsa_user_sgpr_private_segment_size 0
		.amdhsa_wavefront_size32 1
		.amdhsa_uses_dynamic_stack 0
		.amdhsa_system_sgpr_private_segment_wavefront_offset 0
		.amdhsa_system_sgpr_workgroup_id_x 1
		.amdhsa_system_sgpr_workgroup_id_y 0
		.amdhsa_system_sgpr_workgroup_id_z 0
		.amdhsa_system_sgpr_workgroup_info 0
		.amdhsa_system_vgpr_workitem_id 0
		.amdhsa_next_free_vgpr 1
		.amdhsa_next_free_sgpr 1
		.amdhsa_reserve_vcc 0
		.amdhsa_reserve_flat_scratch 0
		.amdhsa_float_round_mode_32 0
		.amdhsa_float_round_mode_16_64 0
		.amdhsa_float_denorm_mode_32 3
		.amdhsa_float_denorm_mode_16_64 3
		.amdhsa_dx10_clamp 1
		.amdhsa_ieee_mode 1
		.amdhsa_fp16_overflow 0
		.amdhsa_workgroup_processor_mode 1
		.amdhsa_memory_ordered 1
		.amdhsa_forward_progress 1
		.amdhsa_shared_vgpr_count 0
		.amdhsa_exception_fp_ieee_invalid_op 0
		.amdhsa_exception_fp_denorm_src 0
		.amdhsa_exception_fp_ieee_div_zero 0
		.amdhsa_exception_fp_ieee_overflow 0
		.amdhsa_exception_fp_ieee_underflow 0
		.amdhsa_exception_fp_ieee_inexact 0
		.amdhsa_exception_int_div_zero 0
	.end_amdhsa_kernel
	.section	.text._ZN7rocprim17ROCPRIM_400000_NS6detail17trampoline_kernelINS0_14default_configENS1_37merge_sort_block_sort_config_selectorImNS0_10empty_typeEEEZNS1_21merge_sort_block_sortIS3_N6thrust23THRUST_200600_302600_NS6detail15normal_iteratorINS9_10device_ptrImEEEESE_PS5_SF_11less_div_10ImEEE10hipError_tT0_T1_T2_T3_mRjT4_P12ihipStream_tbNS1_7vsmem_tEEUlT_E_NS1_11comp_targetILNS1_3genE10ELNS1_11target_archE1201ELNS1_3gpuE5ELNS1_3repE0EEENS1_30default_config_static_selectorELNS0_4arch9wavefront6targetE0EEEvSK_,"axG",@progbits,_ZN7rocprim17ROCPRIM_400000_NS6detail17trampoline_kernelINS0_14default_configENS1_37merge_sort_block_sort_config_selectorImNS0_10empty_typeEEEZNS1_21merge_sort_block_sortIS3_N6thrust23THRUST_200600_302600_NS6detail15normal_iteratorINS9_10device_ptrImEEEESE_PS5_SF_11less_div_10ImEEE10hipError_tT0_T1_T2_T3_mRjT4_P12ihipStream_tbNS1_7vsmem_tEEUlT_E_NS1_11comp_targetILNS1_3genE10ELNS1_11target_archE1201ELNS1_3gpuE5ELNS1_3repE0EEENS1_30default_config_static_selectorELNS0_4arch9wavefront6targetE0EEEvSK_,comdat
.Lfunc_end613:
	.size	_ZN7rocprim17ROCPRIM_400000_NS6detail17trampoline_kernelINS0_14default_configENS1_37merge_sort_block_sort_config_selectorImNS0_10empty_typeEEEZNS1_21merge_sort_block_sortIS3_N6thrust23THRUST_200600_302600_NS6detail15normal_iteratorINS9_10device_ptrImEEEESE_PS5_SF_11less_div_10ImEEE10hipError_tT0_T1_T2_T3_mRjT4_P12ihipStream_tbNS1_7vsmem_tEEUlT_E_NS1_11comp_targetILNS1_3genE10ELNS1_11target_archE1201ELNS1_3gpuE5ELNS1_3repE0EEENS1_30default_config_static_selectorELNS0_4arch9wavefront6targetE0EEEvSK_, .Lfunc_end613-_ZN7rocprim17ROCPRIM_400000_NS6detail17trampoline_kernelINS0_14default_configENS1_37merge_sort_block_sort_config_selectorImNS0_10empty_typeEEEZNS1_21merge_sort_block_sortIS3_N6thrust23THRUST_200600_302600_NS6detail15normal_iteratorINS9_10device_ptrImEEEESE_PS5_SF_11less_div_10ImEEE10hipError_tT0_T1_T2_T3_mRjT4_P12ihipStream_tbNS1_7vsmem_tEEUlT_E_NS1_11comp_targetILNS1_3genE10ELNS1_11target_archE1201ELNS1_3gpuE5ELNS1_3repE0EEENS1_30default_config_static_selectorELNS0_4arch9wavefront6targetE0EEEvSK_
                                        ; -- End function
	.set _ZN7rocprim17ROCPRIM_400000_NS6detail17trampoline_kernelINS0_14default_configENS1_37merge_sort_block_sort_config_selectorImNS0_10empty_typeEEEZNS1_21merge_sort_block_sortIS3_N6thrust23THRUST_200600_302600_NS6detail15normal_iteratorINS9_10device_ptrImEEEESE_PS5_SF_11less_div_10ImEEE10hipError_tT0_T1_T2_T3_mRjT4_P12ihipStream_tbNS1_7vsmem_tEEUlT_E_NS1_11comp_targetILNS1_3genE10ELNS1_11target_archE1201ELNS1_3gpuE5ELNS1_3repE0EEENS1_30default_config_static_selectorELNS0_4arch9wavefront6targetE0EEEvSK_.num_vgpr, 0
	.set _ZN7rocprim17ROCPRIM_400000_NS6detail17trampoline_kernelINS0_14default_configENS1_37merge_sort_block_sort_config_selectorImNS0_10empty_typeEEEZNS1_21merge_sort_block_sortIS3_N6thrust23THRUST_200600_302600_NS6detail15normal_iteratorINS9_10device_ptrImEEEESE_PS5_SF_11less_div_10ImEEE10hipError_tT0_T1_T2_T3_mRjT4_P12ihipStream_tbNS1_7vsmem_tEEUlT_E_NS1_11comp_targetILNS1_3genE10ELNS1_11target_archE1201ELNS1_3gpuE5ELNS1_3repE0EEENS1_30default_config_static_selectorELNS0_4arch9wavefront6targetE0EEEvSK_.num_agpr, 0
	.set _ZN7rocprim17ROCPRIM_400000_NS6detail17trampoline_kernelINS0_14default_configENS1_37merge_sort_block_sort_config_selectorImNS0_10empty_typeEEEZNS1_21merge_sort_block_sortIS3_N6thrust23THRUST_200600_302600_NS6detail15normal_iteratorINS9_10device_ptrImEEEESE_PS5_SF_11less_div_10ImEEE10hipError_tT0_T1_T2_T3_mRjT4_P12ihipStream_tbNS1_7vsmem_tEEUlT_E_NS1_11comp_targetILNS1_3genE10ELNS1_11target_archE1201ELNS1_3gpuE5ELNS1_3repE0EEENS1_30default_config_static_selectorELNS0_4arch9wavefront6targetE0EEEvSK_.numbered_sgpr, 0
	.set _ZN7rocprim17ROCPRIM_400000_NS6detail17trampoline_kernelINS0_14default_configENS1_37merge_sort_block_sort_config_selectorImNS0_10empty_typeEEEZNS1_21merge_sort_block_sortIS3_N6thrust23THRUST_200600_302600_NS6detail15normal_iteratorINS9_10device_ptrImEEEESE_PS5_SF_11less_div_10ImEEE10hipError_tT0_T1_T2_T3_mRjT4_P12ihipStream_tbNS1_7vsmem_tEEUlT_E_NS1_11comp_targetILNS1_3genE10ELNS1_11target_archE1201ELNS1_3gpuE5ELNS1_3repE0EEENS1_30default_config_static_selectorELNS0_4arch9wavefront6targetE0EEEvSK_.num_named_barrier, 0
	.set _ZN7rocprim17ROCPRIM_400000_NS6detail17trampoline_kernelINS0_14default_configENS1_37merge_sort_block_sort_config_selectorImNS0_10empty_typeEEEZNS1_21merge_sort_block_sortIS3_N6thrust23THRUST_200600_302600_NS6detail15normal_iteratorINS9_10device_ptrImEEEESE_PS5_SF_11less_div_10ImEEE10hipError_tT0_T1_T2_T3_mRjT4_P12ihipStream_tbNS1_7vsmem_tEEUlT_E_NS1_11comp_targetILNS1_3genE10ELNS1_11target_archE1201ELNS1_3gpuE5ELNS1_3repE0EEENS1_30default_config_static_selectorELNS0_4arch9wavefront6targetE0EEEvSK_.private_seg_size, 0
	.set _ZN7rocprim17ROCPRIM_400000_NS6detail17trampoline_kernelINS0_14default_configENS1_37merge_sort_block_sort_config_selectorImNS0_10empty_typeEEEZNS1_21merge_sort_block_sortIS3_N6thrust23THRUST_200600_302600_NS6detail15normal_iteratorINS9_10device_ptrImEEEESE_PS5_SF_11less_div_10ImEEE10hipError_tT0_T1_T2_T3_mRjT4_P12ihipStream_tbNS1_7vsmem_tEEUlT_E_NS1_11comp_targetILNS1_3genE10ELNS1_11target_archE1201ELNS1_3gpuE5ELNS1_3repE0EEENS1_30default_config_static_selectorELNS0_4arch9wavefront6targetE0EEEvSK_.uses_vcc, 0
	.set _ZN7rocprim17ROCPRIM_400000_NS6detail17trampoline_kernelINS0_14default_configENS1_37merge_sort_block_sort_config_selectorImNS0_10empty_typeEEEZNS1_21merge_sort_block_sortIS3_N6thrust23THRUST_200600_302600_NS6detail15normal_iteratorINS9_10device_ptrImEEEESE_PS5_SF_11less_div_10ImEEE10hipError_tT0_T1_T2_T3_mRjT4_P12ihipStream_tbNS1_7vsmem_tEEUlT_E_NS1_11comp_targetILNS1_3genE10ELNS1_11target_archE1201ELNS1_3gpuE5ELNS1_3repE0EEENS1_30default_config_static_selectorELNS0_4arch9wavefront6targetE0EEEvSK_.uses_flat_scratch, 0
	.set _ZN7rocprim17ROCPRIM_400000_NS6detail17trampoline_kernelINS0_14default_configENS1_37merge_sort_block_sort_config_selectorImNS0_10empty_typeEEEZNS1_21merge_sort_block_sortIS3_N6thrust23THRUST_200600_302600_NS6detail15normal_iteratorINS9_10device_ptrImEEEESE_PS5_SF_11less_div_10ImEEE10hipError_tT0_T1_T2_T3_mRjT4_P12ihipStream_tbNS1_7vsmem_tEEUlT_E_NS1_11comp_targetILNS1_3genE10ELNS1_11target_archE1201ELNS1_3gpuE5ELNS1_3repE0EEENS1_30default_config_static_selectorELNS0_4arch9wavefront6targetE0EEEvSK_.has_dyn_sized_stack, 0
	.set _ZN7rocprim17ROCPRIM_400000_NS6detail17trampoline_kernelINS0_14default_configENS1_37merge_sort_block_sort_config_selectorImNS0_10empty_typeEEEZNS1_21merge_sort_block_sortIS3_N6thrust23THRUST_200600_302600_NS6detail15normal_iteratorINS9_10device_ptrImEEEESE_PS5_SF_11less_div_10ImEEE10hipError_tT0_T1_T2_T3_mRjT4_P12ihipStream_tbNS1_7vsmem_tEEUlT_E_NS1_11comp_targetILNS1_3genE10ELNS1_11target_archE1201ELNS1_3gpuE5ELNS1_3repE0EEENS1_30default_config_static_selectorELNS0_4arch9wavefront6targetE0EEEvSK_.has_recursion, 0
	.set _ZN7rocprim17ROCPRIM_400000_NS6detail17trampoline_kernelINS0_14default_configENS1_37merge_sort_block_sort_config_selectorImNS0_10empty_typeEEEZNS1_21merge_sort_block_sortIS3_N6thrust23THRUST_200600_302600_NS6detail15normal_iteratorINS9_10device_ptrImEEEESE_PS5_SF_11less_div_10ImEEE10hipError_tT0_T1_T2_T3_mRjT4_P12ihipStream_tbNS1_7vsmem_tEEUlT_E_NS1_11comp_targetILNS1_3genE10ELNS1_11target_archE1201ELNS1_3gpuE5ELNS1_3repE0EEENS1_30default_config_static_selectorELNS0_4arch9wavefront6targetE0EEEvSK_.has_indirect_call, 0
	.section	.AMDGPU.csdata,"",@progbits
; Kernel info:
; codeLenInByte = 0
; TotalNumSgprs: 0
; NumVgprs: 0
; ScratchSize: 0
; MemoryBound: 0
; FloatMode: 240
; IeeeMode: 1
; LDSByteSize: 0 bytes/workgroup (compile time only)
; SGPRBlocks: 0
; VGPRBlocks: 0
; NumSGPRsForWavesPerEU: 1
; NumVGPRsForWavesPerEU: 1
; Occupancy: 16
; WaveLimiterHint : 0
; COMPUTE_PGM_RSRC2:SCRATCH_EN: 0
; COMPUTE_PGM_RSRC2:USER_SGPR: 6
; COMPUTE_PGM_RSRC2:TRAP_HANDLER: 0
; COMPUTE_PGM_RSRC2:TGID_X_EN: 1
; COMPUTE_PGM_RSRC2:TGID_Y_EN: 0
; COMPUTE_PGM_RSRC2:TGID_Z_EN: 0
; COMPUTE_PGM_RSRC2:TIDIG_COMP_CNT: 0
	.section	.text._ZN7rocprim17ROCPRIM_400000_NS6detail17trampoline_kernelINS0_14default_configENS1_37merge_sort_block_sort_config_selectorImNS0_10empty_typeEEEZNS1_21merge_sort_block_sortIS3_N6thrust23THRUST_200600_302600_NS6detail15normal_iteratorINS9_10device_ptrImEEEESE_PS5_SF_11less_div_10ImEEE10hipError_tT0_T1_T2_T3_mRjT4_P12ihipStream_tbNS1_7vsmem_tEEUlT_E_NS1_11comp_targetILNS1_3genE10ELNS1_11target_archE1200ELNS1_3gpuE4ELNS1_3repE0EEENS1_30default_config_static_selectorELNS0_4arch9wavefront6targetE0EEEvSK_,"axG",@progbits,_ZN7rocprim17ROCPRIM_400000_NS6detail17trampoline_kernelINS0_14default_configENS1_37merge_sort_block_sort_config_selectorImNS0_10empty_typeEEEZNS1_21merge_sort_block_sortIS3_N6thrust23THRUST_200600_302600_NS6detail15normal_iteratorINS9_10device_ptrImEEEESE_PS5_SF_11less_div_10ImEEE10hipError_tT0_T1_T2_T3_mRjT4_P12ihipStream_tbNS1_7vsmem_tEEUlT_E_NS1_11comp_targetILNS1_3genE10ELNS1_11target_archE1200ELNS1_3gpuE4ELNS1_3repE0EEENS1_30default_config_static_selectorELNS0_4arch9wavefront6targetE0EEEvSK_,comdat
	.protected	_ZN7rocprim17ROCPRIM_400000_NS6detail17trampoline_kernelINS0_14default_configENS1_37merge_sort_block_sort_config_selectorImNS0_10empty_typeEEEZNS1_21merge_sort_block_sortIS3_N6thrust23THRUST_200600_302600_NS6detail15normal_iteratorINS9_10device_ptrImEEEESE_PS5_SF_11less_div_10ImEEE10hipError_tT0_T1_T2_T3_mRjT4_P12ihipStream_tbNS1_7vsmem_tEEUlT_E_NS1_11comp_targetILNS1_3genE10ELNS1_11target_archE1200ELNS1_3gpuE4ELNS1_3repE0EEENS1_30default_config_static_selectorELNS0_4arch9wavefront6targetE0EEEvSK_ ; -- Begin function _ZN7rocprim17ROCPRIM_400000_NS6detail17trampoline_kernelINS0_14default_configENS1_37merge_sort_block_sort_config_selectorImNS0_10empty_typeEEEZNS1_21merge_sort_block_sortIS3_N6thrust23THRUST_200600_302600_NS6detail15normal_iteratorINS9_10device_ptrImEEEESE_PS5_SF_11less_div_10ImEEE10hipError_tT0_T1_T2_T3_mRjT4_P12ihipStream_tbNS1_7vsmem_tEEUlT_E_NS1_11comp_targetILNS1_3genE10ELNS1_11target_archE1200ELNS1_3gpuE4ELNS1_3repE0EEENS1_30default_config_static_selectorELNS0_4arch9wavefront6targetE0EEEvSK_
	.globl	_ZN7rocprim17ROCPRIM_400000_NS6detail17trampoline_kernelINS0_14default_configENS1_37merge_sort_block_sort_config_selectorImNS0_10empty_typeEEEZNS1_21merge_sort_block_sortIS3_N6thrust23THRUST_200600_302600_NS6detail15normal_iteratorINS9_10device_ptrImEEEESE_PS5_SF_11less_div_10ImEEE10hipError_tT0_T1_T2_T3_mRjT4_P12ihipStream_tbNS1_7vsmem_tEEUlT_E_NS1_11comp_targetILNS1_3genE10ELNS1_11target_archE1200ELNS1_3gpuE4ELNS1_3repE0EEENS1_30default_config_static_selectorELNS0_4arch9wavefront6targetE0EEEvSK_
	.p2align	8
	.type	_ZN7rocprim17ROCPRIM_400000_NS6detail17trampoline_kernelINS0_14default_configENS1_37merge_sort_block_sort_config_selectorImNS0_10empty_typeEEEZNS1_21merge_sort_block_sortIS3_N6thrust23THRUST_200600_302600_NS6detail15normal_iteratorINS9_10device_ptrImEEEESE_PS5_SF_11less_div_10ImEEE10hipError_tT0_T1_T2_T3_mRjT4_P12ihipStream_tbNS1_7vsmem_tEEUlT_E_NS1_11comp_targetILNS1_3genE10ELNS1_11target_archE1200ELNS1_3gpuE4ELNS1_3repE0EEENS1_30default_config_static_selectorELNS0_4arch9wavefront6targetE0EEEvSK_,@function
_ZN7rocprim17ROCPRIM_400000_NS6detail17trampoline_kernelINS0_14default_configENS1_37merge_sort_block_sort_config_selectorImNS0_10empty_typeEEEZNS1_21merge_sort_block_sortIS3_N6thrust23THRUST_200600_302600_NS6detail15normal_iteratorINS9_10device_ptrImEEEESE_PS5_SF_11less_div_10ImEEE10hipError_tT0_T1_T2_T3_mRjT4_P12ihipStream_tbNS1_7vsmem_tEEUlT_E_NS1_11comp_targetILNS1_3genE10ELNS1_11target_archE1200ELNS1_3gpuE4ELNS1_3repE0EEENS1_30default_config_static_selectorELNS0_4arch9wavefront6targetE0EEEvSK_: ; @_ZN7rocprim17ROCPRIM_400000_NS6detail17trampoline_kernelINS0_14default_configENS1_37merge_sort_block_sort_config_selectorImNS0_10empty_typeEEEZNS1_21merge_sort_block_sortIS3_N6thrust23THRUST_200600_302600_NS6detail15normal_iteratorINS9_10device_ptrImEEEESE_PS5_SF_11less_div_10ImEEE10hipError_tT0_T1_T2_T3_mRjT4_P12ihipStream_tbNS1_7vsmem_tEEUlT_E_NS1_11comp_targetILNS1_3genE10ELNS1_11target_archE1200ELNS1_3gpuE4ELNS1_3repE0EEENS1_30default_config_static_selectorELNS0_4arch9wavefront6targetE0EEEvSK_
; %bb.0:
	.section	.rodata,"a",@progbits
	.p2align	6, 0x0
	.amdhsa_kernel _ZN7rocprim17ROCPRIM_400000_NS6detail17trampoline_kernelINS0_14default_configENS1_37merge_sort_block_sort_config_selectorImNS0_10empty_typeEEEZNS1_21merge_sort_block_sortIS3_N6thrust23THRUST_200600_302600_NS6detail15normal_iteratorINS9_10device_ptrImEEEESE_PS5_SF_11less_div_10ImEEE10hipError_tT0_T1_T2_T3_mRjT4_P12ihipStream_tbNS1_7vsmem_tEEUlT_E_NS1_11comp_targetILNS1_3genE10ELNS1_11target_archE1200ELNS1_3gpuE4ELNS1_3repE0EEENS1_30default_config_static_selectorELNS0_4arch9wavefront6targetE0EEEvSK_
		.amdhsa_group_segment_fixed_size 0
		.amdhsa_private_segment_fixed_size 0
		.amdhsa_kernarg_size 64
		.amdhsa_user_sgpr_count 6
		.amdhsa_user_sgpr_private_segment_buffer 1
		.amdhsa_user_sgpr_dispatch_ptr 0
		.amdhsa_user_sgpr_queue_ptr 0
		.amdhsa_user_sgpr_kernarg_segment_ptr 1
		.amdhsa_user_sgpr_dispatch_id 0
		.amdhsa_user_sgpr_flat_scratch_init 0
		.amdhsa_user_sgpr_private_segment_size 0
		.amdhsa_wavefront_size32 1
		.amdhsa_uses_dynamic_stack 0
		.amdhsa_system_sgpr_private_segment_wavefront_offset 0
		.amdhsa_system_sgpr_workgroup_id_x 1
		.amdhsa_system_sgpr_workgroup_id_y 0
		.amdhsa_system_sgpr_workgroup_id_z 0
		.amdhsa_system_sgpr_workgroup_info 0
		.amdhsa_system_vgpr_workitem_id 0
		.amdhsa_next_free_vgpr 1
		.amdhsa_next_free_sgpr 1
		.amdhsa_reserve_vcc 0
		.amdhsa_reserve_flat_scratch 0
		.amdhsa_float_round_mode_32 0
		.amdhsa_float_round_mode_16_64 0
		.amdhsa_float_denorm_mode_32 3
		.amdhsa_float_denorm_mode_16_64 3
		.amdhsa_dx10_clamp 1
		.amdhsa_ieee_mode 1
		.amdhsa_fp16_overflow 0
		.amdhsa_workgroup_processor_mode 1
		.amdhsa_memory_ordered 1
		.amdhsa_forward_progress 1
		.amdhsa_shared_vgpr_count 0
		.amdhsa_exception_fp_ieee_invalid_op 0
		.amdhsa_exception_fp_denorm_src 0
		.amdhsa_exception_fp_ieee_div_zero 0
		.amdhsa_exception_fp_ieee_overflow 0
		.amdhsa_exception_fp_ieee_underflow 0
		.amdhsa_exception_fp_ieee_inexact 0
		.amdhsa_exception_int_div_zero 0
	.end_amdhsa_kernel
	.section	.text._ZN7rocprim17ROCPRIM_400000_NS6detail17trampoline_kernelINS0_14default_configENS1_37merge_sort_block_sort_config_selectorImNS0_10empty_typeEEEZNS1_21merge_sort_block_sortIS3_N6thrust23THRUST_200600_302600_NS6detail15normal_iteratorINS9_10device_ptrImEEEESE_PS5_SF_11less_div_10ImEEE10hipError_tT0_T1_T2_T3_mRjT4_P12ihipStream_tbNS1_7vsmem_tEEUlT_E_NS1_11comp_targetILNS1_3genE10ELNS1_11target_archE1200ELNS1_3gpuE4ELNS1_3repE0EEENS1_30default_config_static_selectorELNS0_4arch9wavefront6targetE0EEEvSK_,"axG",@progbits,_ZN7rocprim17ROCPRIM_400000_NS6detail17trampoline_kernelINS0_14default_configENS1_37merge_sort_block_sort_config_selectorImNS0_10empty_typeEEEZNS1_21merge_sort_block_sortIS3_N6thrust23THRUST_200600_302600_NS6detail15normal_iteratorINS9_10device_ptrImEEEESE_PS5_SF_11less_div_10ImEEE10hipError_tT0_T1_T2_T3_mRjT4_P12ihipStream_tbNS1_7vsmem_tEEUlT_E_NS1_11comp_targetILNS1_3genE10ELNS1_11target_archE1200ELNS1_3gpuE4ELNS1_3repE0EEENS1_30default_config_static_selectorELNS0_4arch9wavefront6targetE0EEEvSK_,comdat
.Lfunc_end614:
	.size	_ZN7rocprim17ROCPRIM_400000_NS6detail17trampoline_kernelINS0_14default_configENS1_37merge_sort_block_sort_config_selectorImNS0_10empty_typeEEEZNS1_21merge_sort_block_sortIS3_N6thrust23THRUST_200600_302600_NS6detail15normal_iteratorINS9_10device_ptrImEEEESE_PS5_SF_11less_div_10ImEEE10hipError_tT0_T1_T2_T3_mRjT4_P12ihipStream_tbNS1_7vsmem_tEEUlT_E_NS1_11comp_targetILNS1_3genE10ELNS1_11target_archE1200ELNS1_3gpuE4ELNS1_3repE0EEENS1_30default_config_static_selectorELNS0_4arch9wavefront6targetE0EEEvSK_, .Lfunc_end614-_ZN7rocprim17ROCPRIM_400000_NS6detail17trampoline_kernelINS0_14default_configENS1_37merge_sort_block_sort_config_selectorImNS0_10empty_typeEEEZNS1_21merge_sort_block_sortIS3_N6thrust23THRUST_200600_302600_NS6detail15normal_iteratorINS9_10device_ptrImEEEESE_PS5_SF_11less_div_10ImEEE10hipError_tT0_T1_T2_T3_mRjT4_P12ihipStream_tbNS1_7vsmem_tEEUlT_E_NS1_11comp_targetILNS1_3genE10ELNS1_11target_archE1200ELNS1_3gpuE4ELNS1_3repE0EEENS1_30default_config_static_selectorELNS0_4arch9wavefront6targetE0EEEvSK_
                                        ; -- End function
	.set _ZN7rocprim17ROCPRIM_400000_NS6detail17trampoline_kernelINS0_14default_configENS1_37merge_sort_block_sort_config_selectorImNS0_10empty_typeEEEZNS1_21merge_sort_block_sortIS3_N6thrust23THRUST_200600_302600_NS6detail15normal_iteratorINS9_10device_ptrImEEEESE_PS5_SF_11less_div_10ImEEE10hipError_tT0_T1_T2_T3_mRjT4_P12ihipStream_tbNS1_7vsmem_tEEUlT_E_NS1_11comp_targetILNS1_3genE10ELNS1_11target_archE1200ELNS1_3gpuE4ELNS1_3repE0EEENS1_30default_config_static_selectorELNS0_4arch9wavefront6targetE0EEEvSK_.num_vgpr, 0
	.set _ZN7rocprim17ROCPRIM_400000_NS6detail17trampoline_kernelINS0_14default_configENS1_37merge_sort_block_sort_config_selectorImNS0_10empty_typeEEEZNS1_21merge_sort_block_sortIS3_N6thrust23THRUST_200600_302600_NS6detail15normal_iteratorINS9_10device_ptrImEEEESE_PS5_SF_11less_div_10ImEEE10hipError_tT0_T1_T2_T3_mRjT4_P12ihipStream_tbNS1_7vsmem_tEEUlT_E_NS1_11comp_targetILNS1_3genE10ELNS1_11target_archE1200ELNS1_3gpuE4ELNS1_3repE0EEENS1_30default_config_static_selectorELNS0_4arch9wavefront6targetE0EEEvSK_.num_agpr, 0
	.set _ZN7rocprim17ROCPRIM_400000_NS6detail17trampoline_kernelINS0_14default_configENS1_37merge_sort_block_sort_config_selectorImNS0_10empty_typeEEEZNS1_21merge_sort_block_sortIS3_N6thrust23THRUST_200600_302600_NS6detail15normal_iteratorINS9_10device_ptrImEEEESE_PS5_SF_11less_div_10ImEEE10hipError_tT0_T1_T2_T3_mRjT4_P12ihipStream_tbNS1_7vsmem_tEEUlT_E_NS1_11comp_targetILNS1_3genE10ELNS1_11target_archE1200ELNS1_3gpuE4ELNS1_3repE0EEENS1_30default_config_static_selectorELNS0_4arch9wavefront6targetE0EEEvSK_.numbered_sgpr, 0
	.set _ZN7rocprim17ROCPRIM_400000_NS6detail17trampoline_kernelINS0_14default_configENS1_37merge_sort_block_sort_config_selectorImNS0_10empty_typeEEEZNS1_21merge_sort_block_sortIS3_N6thrust23THRUST_200600_302600_NS6detail15normal_iteratorINS9_10device_ptrImEEEESE_PS5_SF_11less_div_10ImEEE10hipError_tT0_T1_T2_T3_mRjT4_P12ihipStream_tbNS1_7vsmem_tEEUlT_E_NS1_11comp_targetILNS1_3genE10ELNS1_11target_archE1200ELNS1_3gpuE4ELNS1_3repE0EEENS1_30default_config_static_selectorELNS0_4arch9wavefront6targetE0EEEvSK_.num_named_barrier, 0
	.set _ZN7rocprim17ROCPRIM_400000_NS6detail17trampoline_kernelINS0_14default_configENS1_37merge_sort_block_sort_config_selectorImNS0_10empty_typeEEEZNS1_21merge_sort_block_sortIS3_N6thrust23THRUST_200600_302600_NS6detail15normal_iteratorINS9_10device_ptrImEEEESE_PS5_SF_11less_div_10ImEEE10hipError_tT0_T1_T2_T3_mRjT4_P12ihipStream_tbNS1_7vsmem_tEEUlT_E_NS1_11comp_targetILNS1_3genE10ELNS1_11target_archE1200ELNS1_3gpuE4ELNS1_3repE0EEENS1_30default_config_static_selectorELNS0_4arch9wavefront6targetE0EEEvSK_.private_seg_size, 0
	.set _ZN7rocprim17ROCPRIM_400000_NS6detail17trampoline_kernelINS0_14default_configENS1_37merge_sort_block_sort_config_selectorImNS0_10empty_typeEEEZNS1_21merge_sort_block_sortIS3_N6thrust23THRUST_200600_302600_NS6detail15normal_iteratorINS9_10device_ptrImEEEESE_PS5_SF_11less_div_10ImEEE10hipError_tT0_T1_T2_T3_mRjT4_P12ihipStream_tbNS1_7vsmem_tEEUlT_E_NS1_11comp_targetILNS1_3genE10ELNS1_11target_archE1200ELNS1_3gpuE4ELNS1_3repE0EEENS1_30default_config_static_selectorELNS0_4arch9wavefront6targetE0EEEvSK_.uses_vcc, 0
	.set _ZN7rocprim17ROCPRIM_400000_NS6detail17trampoline_kernelINS0_14default_configENS1_37merge_sort_block_sort_config_selectorImNS0_10empty_typeEEEZNS1_21merge_sort_block_sortIS3_N6thrust23THRUST_200600_302600_NS6detail15normal_iteratorINS9_10device_ptrImEEEESE_PS5_SF_11less_div_10ImEEE10hipError_tT0_T1_T2_T3_mRjT4_P12ihipStream_tbNS1_7vsmem_tEEUlT_E_NS1_11comp_targetILNS1_3genE10ELNS1_11target_archE1200ELNS1_3gpuE4ELNS1_3repE0EEENS1_30default_config_static_selectorELNS0_4arch9wavefront6targetE0EEEvSK_.uses_flat_scratch, 0
	.set _ZN7rocprim17ROCPRIM_400000_NS6detail17trampoline_kernelINS0_14default_configENS1_37merge_sort_block_sort_config_selectorImNS0_10empty_typeEEEZNS1_21merge_sort_block_sortIS3_N6thrust23THRUST_200600_302600_NS6detail15normal_iteratorINS9_10device_ptrImEEEESE_PS5_SF_11less_div_10ImEEE10hipError_tT0_T1_T2_T3_mRjT4_P12ihipStream_tbNS1_7vsmem_tEEUlT_E_NS1_11comp_targetILNS1_3genE10ELNS1_11target_archE1200ELNS1_3gpuE4ELNS1_3repE0EEENS1_30default_config_static_selectorELNS0_4arch9wavefront6targetE0EEEvSK_.has_dyn_sized_stack, 0
	.set _ZN7rocprim17ROCPRIM_400000_NS6detail17trampoline_kernelINS0_14default_configENS1_37merge_sort_block_sort_config_selectorImNS0_10empty_typeEEEZNS1_21merge_sort_block_sortIS3_N6thrust23THRUST_200600_302600_NS6detail15normal_iteratorINS9_10device_ptrImEEEESE_PS5_SF_11less_div_10ImEEE10hipError_tT0_T1_T2_T3_mRjT4_P12ihipStream_tbNS1_7vsmem_tEEUlT_E_NS1_11comp_targetILNS1_3genE10ELNS1_11target_archE1200ELNS1_3gpuE4ELNS1_3repE0EEENS1_30default_config_static_selectorELNS0_4arch9wavefront6targetE0EEEvSK_.has_recursion, 0
	.set _ZN7rocprim17ROCPRIM_400000_NS6detail17trampoline_kernelINS0_14default_configENS1_37merge_sort_block_sort_config_selectorImNS0_10empty_typeEEEZNS1_21merge_sort_block_sortIS3_N6thrust23THRUST_200600_302600_NS6detail15normal_iteratorINS9_10device_ptrImEEEESE_PS5_SF_11less_div_10ImEEE10hipError_tT0_T1_T2_T3_mRjT4_P12ihipStream_tbNS1_7vsmem_tEEUlT_E_NS1_11comp_targetILNS1_3genE10ELNS1_11target_archE1200ELNS1_3gpuE4ELNS1_3repE0EEENS1_30default_config_static_selectorELNS0_4arch9wavefront6targetE0EEEvSK_.has_indirect_call, 0
	.section	.AMDGPU.csdata,"",@progbits
; Kernel info:
; codeLenInByte = 0
; TotalNumSgprs: 0
; NumVgprs: 0
; ScratchSize: 0
; MemoryBound: 0
; FloatMode: 240
; IeeeMode: 1
; LDSByteSize: 0 bytes/workgroup (compile time only)
; SGPRBlocks: 0
; VGPRBlocks: 0
; NumSGPRsForWavesPerEU: 1
; NumVGPRsForWavesPerEU: 1
; Occupancy: 16
; WaveLimiterHint : 0
; COMPUTE_PGM_RSRC2:SCRATCH_EN: 0
; COMPUTE_PGM_RSRC2:USER_SGPR: 6
; COMPUTE_PGM_RSRC2:TRAP_HANDLER: 0
; COMPUTE_PGM_RSRC2:TGID_X_EN: 1
; COMPUTE_PGM_RSRC2:TGID_Y_EN: 0
; COMPUTE_PGM_RSRC2:TGID_Z_EN: 0
; COMPUTE_PGM_RSRC2:TIDIG_COMP_CNT: 0
	.section	.text._ZN7rocprim17ROCPRIM_400000_NS6detail17trampoline_kernelINS0_14default_configENS1_37merge_sort_block_sort_config_selectorImNS0_10empty_typeEEEZNS1_21merge_sort_block_sortIS3_N6thrust23THRUST_200600_302600_NS6detail15normal_iteratorINS9_10device_ptrImEEEESE_PS5_SF_11less_div_10ImEEE10hipError_tT0_T1_T2_T3_mRjT4_P12ihipStream_tbNS1_7vsmem_tEEUlT_E_NS1_11comp_targetILNS1_3genE9ELNS1_11target_archE1100ELNS1_3gpuE3ELNS1_3repE0EEENS1_30default_config_static_selectorELNS0_4arch9wavefront6targetE0EEEvSK_,"axG",@progbits,_ZN7rocprim17ROCPRIM_400000_NS6detail17trampoline_kernelINS0_14default_configENS1_37merge_sort_block_sort_config_selectorImNS0_10empty_typeEEEZNS1_21merge_sort_block_sortIS3_N6thrust23THRUST_200600_302600_NS6detail15normal_iteratorINS9_10device_ptrImEEEESE_PS5_SF_11less_div_10ImEEE10hipError_tT0_T1_T2_T3_mRjT4_P12ihipStream_tbNS1_7vsmem_tEEUlT_E_NS1_11comp_targetILNS1_3genE9ELNS1_11target_archE1100ELNS1_3gpuE3ELNS1_3repE0EEENS1_30default_config_static_selectorELNS0_4arch9wavefront6targetE0EEEvSK_,comdat
	.protected	_ZN7rocprim17ROCPRIM_400000_NS6detail17trampoline_kernelINS0_14default_configENS1_37merge_sort_block_sort_config_selectorImNS0_10empty_typeEEEZNS1_21merge_sort_block_sortIS3_N6thrust23THRUST_200600_302600_NS6detail15normal_iteratorINS9_10device_ptrImEEEESE_PS5_SF_11less_div_10ImEEE10hipError_tT0_T1_T2_T3_mRjT4_P12ihipStream_tbNS1_7vsmem_tEEUlT_E_NS1_11comp_targetILNS1_3genE9ELNS1_11target_archE1100ELNS1_3gpuE3ELNS1_3repE0EEENS1_30default_config_static_selectorELNS0_4arch9wavefront6targetE0EEEvSK_ ; -- Begin function _ZN7rocprim17ROCPRIM_400000_NS6detail17trampoline_kernelINS0_14default_configENS1_37merge_sort_block_sort_config_selectorImNS0_10empty_typeEEEZNS1_21merge_sort_block_sortIS3_N6thrust23THRUST_200600_302600_NS6detail15normal_iteratorINS9_10device_ptrImEEEESE_PS5_SF_11less_div_10ImEEE10hipError_tT0_T1_T2_T3_mRjT4_P12ihipStream_tbNS1_7vsmem_tEEUlT_E_NS1_11comp_targetILNS1_3genE9ELNS1_11target_archE1100ELNS1_3gpuE3ELNS1_3repE0EEENS1_30default_config_static_selectorELNS0_4arch9wavefront6targetE0EEEvSK_
	.globl	_ZN7rocprim17ROCPRIM_400000_NS6detail17trampoline_kernelINS0_14default_configENS1_37merge_sort_block_sort_config_selectorImNS0_10empty_typeEEEZNS1_21merge_sort_block_sortIS3_N6thrust23THRUST_200600_302600_NS6detail15normal_iteratorINS9_10device_ptrImEEEESE_PS5_SF_11less_div_10ImEEE10hipError_tT0_T1_T2_T3_mRjT4_P12ihipStream_tbNS1_7vsmem_tEEUlT_E_NS1_11comp_targetILNS1_3genE9ELNS1_11target_archE1100ELNS1_3gpuE3ELNS1_3repE0EEENS1_30default_config_static_selectorELNS0_4arch9wavefront6targetE0EEEvSK_
	.p2align	8
	.type	_ZN7rocprim17ROCPRIM_400000_NS6detail17trampoline_kernelINS0_14default_configENS1_37merge_sort_block_sort_config_selectorImNS0_10empty_typeEEEZNS1_21merge_sort_block_sortIS3_N6thrust23THRUST_200600_302600_NS6detail15normal_iteratorINS9_10device_ptrImEEEESE_PS5_SF_11less_div_10ImEEE10hipError_tT0_T1_T2_T3_mRjT4_P12ihipStream_tbNS1_7vsmem_tEEUlT_E_NS1_11comp_targetILNS1_3genE9ELNS1_11target_archE1100ELNS1_3gpuE3ELNS1_3repE0EEENS1_30default_config_static_selectorELNS0_4arch9wavefront6targetE0EEEvSK_,@function
_ZN7rocprim17ROCPRIM_400000_NS6detail17trampoline_kernelINS0_14default_configENS1_37merge_sort_block_sort_config_selectorImNS0_10empty_typeEEEZNS1_21merge_sort_block_sortIS3_N6thrust23THRUST_200600_302600_NS6detail15normal_iteratorINS9_10device_ptrImEEEESE_PS5_SF_11less_div_10ImEEE10hipError_tT0_T1_T2_T3_mRjT4_P12ihipStream_tbNS1_7vsmem_tEEUlT_E_NS1_11comp_targetILNS1_3genE9ELNS1_11target_archE1100ELNS1_3gpuE3ELNS1_3repE0EEENS1_30default_config_static_selectorELNS0_4arch9wavefront6targetE0EEEvSK_: ; @_ZN7rocprim17ROCPRIM_400000_NS6detail17trampoline_kernelINS0_14default_configENS1_37merge_sort_block_sort_config_selectorImNS0_10empty_typeEEEZNS1_21merge_sort_block_sortIS3_N6thrust23THRUST_200600_302600_NS6detail15normal_iteratorINS9_10device_ptrImEEEESE_PS5_SF_11less_div_10ImEEE10hipError_tT0_T1_T2_T3_mRjT4_P12ihipStream_tbNS1_7vsmem_tEEUlT_E_NS1_11comp_targetILNS1_3genE9ELNS1_11target_archE1100ELNS1_3gpuE3ELNS1_3repE0EEENS1_30default_config_static_selectorELNS0_4arch9wavefront6targetE0EEEvSK_
; %bb.0:
	.section	.rodata,"a",@progbits
	.p2align	6, 0x0
	.amdhsa_kernel _ZN7rocprim17ROCPRIM_400000_NS6detail17trampoline_kernelINS0_14default_configENS1_37merge_sort_block_sort_config_selectorImNS0_10empty_typeEEEZNS1_21merge_sort_block_sortIS3_N6thrust23THRUST_200600_302600_NS6detail15normal_iteratorINS9_10device_ptrImEEEESE_PS5_SF_11less_div_10ImEEE10hipError_tT0_T1_T2_T3_mRjT4_P12ihipStream_tbNS1_7vsmem_tEEUlT_E_NS1_11comp_targetILNS1_3genE9ELNS1_11target_archE1100ELNS1_3gpuE3ELNS1_3repE0EEENS1_30default_config_static_selectorELNS0_4arch9wavefront6targetE0EEEvSK_
		.amdhsa_group_segment_fixed_size 0
		.amdhsa_private_segment_fixed_size 0
		.amdhsa_kernarg_size 64
		.amdhsa_user_sgpr_count 6
		.amdhsa_user_sgpr_private_segment_buffer 1
		.amdhsa_user_sgpr_dispatch_ptr 0
		.amdhsa_user_sgpr_queue_ptr 0
		.amdhsa_user_sgpr_kernarg_segment_ptr 1
		.amdhsa_user_sgpr_dispatch_id 0
		.amdhsa_user_sgpr_flat_scratch_init 0
		.amdhsa_user_sgpr_private_segment_size 0
		.amdhsa_wavefront_size32 1
		.amdhsa_uses_dynamic_stack 0
		.amdhsa_system_sgpr_private_segment_wavefront_offset 0
		.amdhsa_system_sgpr_workgroup_id_x 1
		.amdhsa_system_sgpr_workgroup_id_y 0
		.amdhsa_system_sgpr_workgroup_id_z 0
		.amdhsa_system_sgpr_workgroup_info 0
		.amdhsa_system_vgpr_workitem_id 0
		.amdhsa_next_free_vgpr 1
		.amdhsa_next_free_sgpr 1
		.amdhsa_reserve_vcc 0
		.amdhsa_reserve_flat_scratch 0
		.amdhsa_float_round_mode_32 0
		.amdhsa_float_round_mode_16_64 0
		.amdhsa_float_denorm_mode_32 3
		.amdhsa_float_denorm_mode_16_64 3
		.amdhsa_dx10_clamp 1
		.amdhsa_ieee_mode 1
		.amdhsa_fp16_overflow 0
		.amdhsa_workgroup_processor_mode 1
		.amdhsa_memory_ordered 1
		.amdhsa_forward_progress 1
		.amdhsa_shared_vgpr_count 0
		.amdhsa_exception_fp_ieee_invalid_op 0
		.amdhsa_exception_fp_denorm_src 0
		.amdhsa_exception_fp_ieee_div_zero 0
		.amdhsa_exception_fp_ieee_overflow 0
		.amdhsa_exception_fp_ieee_underflow 0
		.amdhsa_exception_fp_ieee_inexact 0
		.amdhsa_exception_int_div_zero 0
	.end_amdhsa_kernel
	.section	.text._ZN7rocprim17ROCPRIM_400000_NS6detail17trampoline_kernelINS0_14default_configENS1_37merge_sort_block_sort_config_selectorImNS0_10empty_typeEEEZNS1_21merge_sort_block_sortIS3_N6thrust23THRUST_200600_302600_NS6detail15normal_iteratorINS9_10device_ptrImEEEESE_PS5_SF_11less_div_10ImEEE10hipError_tT0_T1_T2_T3_mRjT4_P12ihipStream_tbNS1_7vsmem_tEEUlT_E_NS1_11comp_targetILNS1_3genE9ELNS1_11target_archE1100ELNS1_3gpuE3ELNS1_3repE0EEENS1_30default_config_static_selectorELNS0_4arch9wavefront6targetE0EEEvSK_,"axG",@progbits,_ZN7rocprim17ROCPRIM_400000_NS6detail17trampoline_kernelINS0_14default_configENS1_37merge_sort_block_sort_config_selectorImNS0_10empty_typeEEEZNS1_21merge_sort_block_sortIS3_N6thrust23THRUST_200600_302600_NS6detail15normal_iteratorINS9_10device_ptrImEEEESE_PS5_SF_11less_div_10ImEEE10hipError_tT0_T1_T2_T3_mRjT4_P12ihipStream_tbNS1_7vsmem_tEEUlT_E_NS1_11comp_targetILNS1_3genE9ELNS1_11target_archE1100ELNS1_3gpuE3ELNS1_3repE0EEENS1_30default_config_static_selectorELNS0_4arch9wavefront6targetE0EEEvSK_,comdat
.Lfunc_end615:
	.size	_ZN7rocprim17ROCPRIM_400000_NS6detail17trampoline_kernelINS0_14default_configENS1_37merge_sort_block_sort_config_selectorImNS0_10empty_typeEEEZNS1_21merge_sort_block_sortIS3_N6thrust23THRUST_200600_302600_NS6detail15normal_iteratorINS9_10device_ptrImEEEESE_PS5_SF_11less_div_10ImEEE10hipError_tT0_T1_T2_T3_mRjT4_P12ihipStream_tbNS1_7vsmem_tEEUlT_E_NS1_11comp_targetILNS1_3genE9ELNS1_11target_archE1100ELNS1_3gpuE3ELNS1_3repE0EEENS1_30default_config_static_selectorELNS0_4arch9wavefront6targetE0EEEvSK_, .Lfunc_end615-_ZN7rocprim17ROCPRIM_400000_NS6detail17trampoline_kernelINS0_14default_configENS1_37merge_sort_block_sort_config_selectorImNS0_10empty_typeEEEZNS1_21merge_sort_block_sortIS3_N6thrust23THRUST_200600_302600_NS6detail15normal_iteratorINS9_10device_ptrImEEEESE_PS5_SF_11less_div_10ImEEE10hipError_tT0_T1_T2_T3_mRjT4_P12ihipStream_tbNS1_7vsmem_tEEUlT_E_NS1_11comp_targetILNS1_3genE9ELNS1_11target_archE1100ELNS1_3gpuE3ELNS1_3repE0EEENS1_30default_config_static_selectorELNS0_4arch9wavefront6targetE0EEEvSK_
                                        ; -- End function
	.set _ZN7rocprim17ROCPRIM_400000_NS6detail17trampoline_kernelINS0_14default_configENS1_37merge_sort_block_sort_config_selectorImNS0_10empty_typeEEEZNS1_21merge_sort_block_sortIS3_N6thrust23THRUST_200600_302600_NS6detail15normal_iteratorINS9_10device_ptrImEEEESE_PS5_SF_11less_div_10ImEEE10hipError_tT0_T1_T2_T3_mRjT4_P12ihipStream_tbNS1_7vsmem_tEEUlT_E_NS1_11comp_targetILNS1_3genE9ELNS1_11target_archE1100ELNS1_3gpuE3ELNS1_3repE0EEENS1_30default_config_static_selectorELNS0_4arch9wavefront6targetE0EEEvSK_.num_vgpr, 0
	.set _ZN7rocprim17ROCPRIM_400000_NS6detail17trampoline_kernelINS0_14default_configENS1_37merge_sort_block_sort_config_selectorImNS0_10empty_typeEEEZNS1_21merge_sort_block_sortIS3_N6thrust23THRUST_200600_302600_NS6detail15normal_iteratorINS9_10device_ptrImEEEESE_PS5_SF_11less_div_10ImEEE10hipError_tT0_T1_T2_T3_mRjT4_P12ihipStream_tbNS1_7vsmem_tEEUlT_E_NS1_11comp_targetILNS1_3genE9ELNS1_11target_archE1100ELNS1_3gpuE3ELNS1_3repE0EEENS1_30default_config_static_selectorELNS0_4arch9wavefront6targetE0EEEvSK_.num_agpr, 0
	.set _ZN7rocprim17ROCPRIM_400000_NS6detail17trampoline_kernelINS0_14default_configENS1_37merge_sort_block_sort_config_selectorImNS0_10empty_typeEEEZNS1_21merge_sort_block_sortIS3_N6thrust23THRUST_200600_302600_NS6detail15normal_iteratorINS9_10device_ptrImEEEESE_PS5_SF_11less_div_10ImEEE10hipError_tT0_T1_T2_T3_mRjT4_P12ihipStream_tbNS1_7vsmem_tEEUlT_E_NS1_11comp_targetILNS1_3genE9ELNS1_11target_archE1100ELNS1_3gpuE3ELNS1_3repE0EEENS1_30default_config_static_selectorELNS0_4arch9wavefront6targetE0EEEvSK_.numbered_sgpr, 0
	.set _ZN7rocprim17ROCPRIM_400000_NS6detail17trampoline_kernelINS0_14default_configENS1_37merge_sort_block_sort_config_selectorImNS0_10empty_typeEEEZNS1_21merge_sort_block_sortIS3_N6thrust23THRUST_200600_302600_NS6detail15normal_iteratorINS9_10device_ptrImEEEESE_PS5_SF_11less_div_10ImEEE10hipError_tT0_T1_T2_T3_mRjT4_P12ihipStream_tbNS1_7vsmem_tEEUlT_E_NS1_11comp_targetILNS1_3genE9ELNS1_11target_archE1100ELNS1_3gpuE3ELNS1_3repE0EEENS1_30default_config_static_selectorELNS0_4arch9wavefront6targetE0EEEvSK_.num_named_barrier, 0
	.set _ZN7rocprim17ROCPRIM_400000_NS6detail17trampoline_kernelINS0_14default_configENS1_37merge_sort_block_sort_config_selectorImNS0_10empty_typeEEEZNS1_21merge_sort_block_sortIS3_N6thrust23THRUST_200600_302600_NS6detail15normal_iteratorINS9_10device_ptrImEEEESE_PS5_SF_11less_div_10ImEEE10hipError_tT0_T1_T2_T3_mRjT4_P12ihipStream_tbNS1_7vsmem_tEEUlT_E_NS1_11comp_targetILNS1_3genE9ELNS1_11target_archE1100ELNS1_3gpuE3ELNS1_3repE0EEENS1_30default_config_static_selectorELNS0_4arch9wavefront6targetE0EEEvSK_.private_seg_size, 0
	.set _ZN7rocprim17ROCPRIM_400000_NS6detail17trampoline_kernelINS0_14default_configENS1_37merge_sort_block_sort_config_selectorImNS0_10empty_typeEEEZNS1_21merge_sort_block_sortIS3_N6thrust23THRUST_200600_302600_NS6detail15normal_iteratorINS9_10device_ptrImEEEESE_PS5_SF_11less_div_10ImEEE10hipError_tT0_T1_T2_T3_mRjT4_P12ihipStream_tbNS1_7vsmem_tEEUlT_E_NS1_11comp_targetILNS1_3genE9ELNS1_11target_archE1100ELNS1_3gpuE3ELNS1_3repE0EEENS1_30default_config_static_selectorELNS0_4arch9wavefront6targetE0EEEvSK_.uses_vcc, 0
	.set _ZN7rocprim17ROCPRIM_400000_NS6detail17trampoline_kernelINS0_14default_configENS1_37merge_sort_block_sort_config_selectorImNS0_10empty_typeEEEZNS1_21merge_sort_block_sortIS3_N6thrust23THRUST_200600_302600_NS6detail15normal_iteratorINS9_10device_ptrImEEEESE_PS5_SF_11less_div_10ImEEE10hipError_tT0_T1_T2_T3_mRjT4_P12ihipStream_tbNS1_7vsmem_tEEUlT_E_NS1_11comp_targetILNS1_3genE9ELNS1_11target_archE1100ELNS1_3gpuE3ELNS1_3repE0EEENS1_30default_config_static_selectorELNS0_4arch9wavefront6targetE0EEEvSK_.uses_flat_scratch, 0
	.set _ZN7rocprim17ROCPRIM_400000_NS6detail17trampoline_kernelINS0_14default_configENS1_37merge_sort_block_sort_config_selectorImNS0_10empty_typeEEEZNS1_21merge_sort_block_sortIS3_N6thrust23THRUST_200600_302600_NS6detail15normal_iteratorINS9_10device_ptrImEEEESE_PS5_SF_11less_div_10ImEEE10hipError_tT0_T1_T2_T3_mRjT4_P12ihipStream_tbNS1_7vsmem_tEEUlT_E_NS1_11comp_targetILNS1_3genE9ELNS1_11target_archE1100ELNS1_3gpuE3ELNS1_3repE0EEENS1_30default_config_static_selectorELNS0_4arch9wavefront6targetE0EEEvSK_.has_dyn_sized_stack, 0
	.set _ZN7rocprim17ROCPRIM_400000_NS6detail17trampoline_kernelINS0_14default_configENS1_37merge_sort_block_sort_config_selectorImNS0_10empty_typeEEEZNS1_21merge_sort_block_sortIS3_N6thrust23THRUST_200600_302600_NS6detail15normal_iteratorINS9_10device_ptrImEEEESE_PS5_SF_11less_div_10ImEEE10hipError_tT0_T1_T2_T3_mRjT4_P12ihipStream_tbNS1_7vsmem_tEEUlT_E_NS1_11comp_targetILNS1_3genE9ELNS1_11target_archE1100ELNS1_3gpuE3ELNS1_3repE0EEENS1_30default_config_static_selectorELNS0_4arch9wavefront6targetE0EEEvSK_.has_recursion, 0
	.set _ZN7rocprim17ROCPRIM_400000_NS6detail17trampoline_kernelINS0_14default_configENS1_37merge_sort_block_sort_config_selectorImNS0_10empty_typeEEEZNS1_21merge_sort_block_sortIS3_N6thrust23THRUST_200600_302600_NS6detail15normal_iteratorINS9_10device_ptrImEEEESE_PS5_SF_11less_div_10ImEEE10hipError_tT0_T1_T2_T3_mRjT4_P12ihipStream_tbNS1_7vsmem_tEEUlT_E_NS1_11comp_targetILNS1_3genE9ELNS1_11target_archE1100ELNS1_3gpuE3ELNS1_3repE0EEENS1_30default_config_static_selectorELNS0_4arch9wavefront6targetE0EEEvSK_.has_indirect_call, 0
	.section	.AMDGPU.csdata,"",@progbits
; Kernel info:
; codeLenInByte = 0
; TotalNumSgprs: 0
; NumVgprs: 0
; ScratchSize: 0
; MemoryBound: 0
; FloatMode: 240
; IeeeMode: 1
; LDSByteSize: 0 bytes/workgroup (compile time only)
; SGPRBlocks: 0
; VGPRBlocks: 0
; NumSGPRsForWavesPerEU: 1
; NumVGPRsForWavesPerEU: 1
; Occupancy: 16
; WaveLimiterHint : 0
; COMPUTE_PGM_RSRC2:SCRATCH_EN: 0
; COMPUTE_PGM_RSRC2:USER_SGPR: 6
; COMPUTE_PGM_RSRC2:TRAP_HANDLER: 0
; COMPUTE_PGM_RSRC2:TGID_X_EN: 1
; COMPUTE_PGM_RSRC2:TGID_Y_EN: 0
; COMPUTE_PGM_RSRC2:TGID_Z_EN: 0
; COMPUTE_PGM_RSRC2:TIDIG_COMP_CNT: 0
	.section	.text._ZN7rocprim17ROCPRIM_400000_NS6detail17trampoline_kernelINS0_14default_configENS1_37merge_sort_block_sort_config_selectorImNS0_10empty_typeEEEZNS1_21merge_sort_block_sortIS3_N6thrust23THRUST_200600_302600_NS6detail15normal_iteratorINS9_10device_ptrImEEEESE_PS5_SF_11less_div_10ImEEE10hipError_tT0_T1_T2_T3_mRjT4_P12ihipStream_tbNS1_7vsmem_tEEUlT_E_NS1_11comp_targetILNS1_3genE8ELNS1_11target_archE1030ELNS1_3gpuE2ELNS1_3repE0EEENS1_30default_config_static_selectorELNS0_4arch9wavefront6targetE0EEEvSK_,"axG",@progbits,_ZN7rocprim17ROCPRIM_400000_NS6detail17trampoline_kernelINS0_14default_configENS1_37merge_sort_block_sort_config_selectorImNS0_10empty_typeEEEZNS1_21merge_sort_block_sortIS3_N6thrust23THRUST_200600_302600_NS6detail15normal_iteratorINS9_10device_ptrImEEEESE_PS5_SF_11less_div_10ImEEE10hipError_tT0_T1_T2_T3_mRjT4_P12ihipStream_tbNS1_7vsmem_tEEUlT_E_NS1_11comp_targetILNS1_3genE8ELNS1_11target_archE1030ELNS1_3gpuE2ELNS1_3repE0EEENS1_30default_config_static_selectorELNS0_4arch9wavefront6targetE0EEEvSK_,comdat
	.protected	_ZN7rocprim17ROCPRIM_400000_NS6detail17trampoline_kernelINS0_14default_configENS1_37merge_sort_block_sort_config_selectorImNS0_10empty_typeEEEZNS1_21merge_sort_block_sortIS3_N6thrust23THRUST_200600_302600_NS6detail15normal_iteratorINS9_10device_ptrImEEEESE_PS5_SF_11less_div_10ImEEE10hipError_tT0_T1_T2_T3_mRjT4_P12ihipStream_tbNS1_7vsmem_tEEUlT_E_NS1_11comp_targetILNS1_3genE8ELNS1_11target_archE1030ELNS1_3gpuE2ELNS1_3repE0EEENS1_30default_config_static_selectorELNS0_4arch9wavefront6targetE0EEEvSK_ ; -- Begin function _ZN7rocprim17ROCPRIM_400000_NS6detail17trampoline_kernelINS0_14default_configENS1_37merge_sort_block_sort_config_selectorImNS0_10empty_typeEEEZNS1_21merge_sort_block_sortIS3_N6thrust23THRUST_200600_302600_NS6detail15normal_iteratorINS9_10device_ptrImEEEESE_PS5_SF_11less_div_10ImEEE10hipError_tT0_T1_T2_T3_mRjT4_P12ihipStream_tbNS1_7vsmem_tEEUlT_E_NS1_11comp_targetILNS1_3genE8ELNS1_11target_archE1030ELNS1_3gpuE2ELNS1_3repE0EEENS1_30default_config_static_selectorELNS0_4arch9wavefront6targetE0EEEvSK_
	.globl	_ZN7rocprim17ROCPRIM_400000_NS6detail17trampoline_kernelINS0_14default_configENS1_37merge_sort_block_sort_config_selectorImNS0_10empty_typeEEEZNS1_21merge_sort_block_sortIS3_N6thrust23THRUST_200600_302600_NS6detail15normal_iteratorINS9_10device_ptrImEEEESE_PS5_SF_11less_div_10ImEEE10hipError_tT0_T1_T2_T3_mRjT4_P12ihipStream_tbNS1_7vsmem_tEEUlT_E_NS1_11comp_targetILNS1_3genE8ELNS1_11target_archE1030ELNS1_3gpuE2ELNS1_3repE0EEENS1_30default_config_static_selectorELNS0_4arch9wavefront6targetE0EEEvSK_
	.p2align	8
	.type	_ZN7rocprim17ROCPRIM_400000_NS6detail17trampoline_kernelINS0_14default_configENS1_37merge_sort_block_sort_config_selectorImNS0_10empty_typeEEEZNS1_21merge_sort_block_sortIS3_N6thrust23THRUST_200600_302600_NS6detail15normal_iteratorINS9_10device_ptrImEEEESE_PS5_SF_11less_div_10ImEEE10hipError_tT0_T1_T2_T3_mRjT4_P12ihipStream_tbNS1_7vsmem_tEEUlT_E_NS1_11comp_targetILNS1_3genE8ELNS1_11target_archE1030ELNS1_3gpuE2ELNS1_3repE0EEENS1_30default_config_static_selectorELNS0_4arch9wavefront6targetE0EEEvSK_,@function
_ZN7rocprim17ROCPRIM_400000_NS6detail17trampoline_kernelINS0_14default_configENS1_37merge_sort_block_sort_config_selectorImNS0_10empty_typeEEEZNS1_21merge_sort_block_sortIS3_N6thrust23THRUST_200600_302600_NS6detail15normal_iteratorINS9_10device_ptrImEEEESE_PS5_SF_11less_div_10ImEEE10hipError_tT0_T1_T2_T3_mRjT4_P12ihipStream_tbNS1_7vsmem_tEEUlT_E_NS1_11comp_targetILNS1_3genE8ELNS1_11target_archE1030ELNS1_3gpuE2ELNS1_3repE0EEENS1_30default_config_static_selectorELNS0_4arch9wavefront6targetE0EEEvSK_: ; @_ZN7rocprim17ROCPRIM_400000_NS6detail17trampoline_kernelINS0_14default_configENS1_37merge_sort_block_sort_config_selectorImNS0_10empty_typeEEEZNS1_21merge_sort_block_sortIS3_N6thrust23THRUST_200600_302600_NS6detail15normal_iteratorINS9_10device_ptrImEEEESE_PS5_SF_11less_div_10ImEEE10hipError_tT0_T1_T2_T3_mRjT4_P12ihipStream_tbNS1_7vsmem_tEEUlT_E_NS1_11comp_targetILNS1_3genE8ELNS1_11target_archE1030ELNS1_3gpuE2ELNS1_3repE0EEENS1_30default_config_static_selectorELNS0_4arch9wavefront6targetE0EEEvSK_
; %bb.0:
	s_clause 0x1
	s_load_dwordx2 s[10:11], s[4:5], 0x40
	s_load_dword s0, s[4:5], 0x0
	s_add_u32 s2, s4, 64
	s_addc_u32 s3, s5, 0
	s_waitcnt lgkmcnt(0)
	s_mul_i32 s1, s11, s8
	s_add_i32 s1, s1, s7
	s_mul_i32 s1, s1, s10
	s_add_i32 s8, s1, s6
	s_cmp_ge_u32 s8, s0
	s_cbranch_scc1 .LBB616_345
; %bb.1:
	s_clause 0x1
	s_load_dwordx2 s[12:13], s[4:5], 0x8
	s_load_dwordx4 s[16:19], s[4:5], 0x18
	s_mov_b32 s9, 0
	v_mov_b32_e32 v3, v1
	s_lshl_b64 s[0:1], s[8:9], 13
	v_lshlrev_b32_e32 v28, 3, v0
	v_lshrrev_b32_e32 v31, 2, v0
	v_or_b32_e32 v34, 0x100, v0
	v_or_b32_e32 v33, 0x200, v0
	;; [unrolled: 1-line block ×3, first 2 shown]
	v_and_b32_e32 v30, 0xf8, v0
	v_lshlrev_b32_e32 v29, 5, v0
	s_waitcnt lgkmcnt(0)
	s_lshr_b64 s[14:15], s[12:13], 10
	s_add_u32 s4, s16, s0
	s_addc_u32 s5, s17, s1
	s_add_u32 s11, s18, s0
	s_addc_u32 s13, s19, s1
	s_cmp_lg_u64 s[14:15], s[8:9]
	s_cbranch_scc0 .LBB616_205
; %bb.2:
	v_add_co_u32 v4, s0, s4, v28
	v_add_co_ci_u32_e64 v5, null, s5, 0, s0
	v_lshrrev_b32_e32 v1, 2, v34
	v_add_co_u32 v6, vcc_lo, 0x800, v4
	v_add_co_ci_u32_e64 v7, null, 0, v5, vcc_lo
	v_add_co_u32 v8, vcc_lo, 0x1000, v4
	v_add_co_ci_u32_e64 v9, null, 0, v5, vcc_lo
	;; [unrolled: 2-line block ×3, first 2 shown]
	s_clause 0x3
	flat_load_dwordx2 v[4:5], v[4:5]
	flat_load_dwordx2 v[6:7], v[6:7]
	;; [unrolled: 1-line block ×4, first 2 shown]
	v_lshrrev_b32_e32 v12, 2, v33
	v_lshrrev_b32_e32 v13, 2, v32
	v_and_b32_e32 v14, 56, v31
	v_and_b32_e32 v1, 0x78, v1
	v_add_nc_u32_e32 v39, v30, v29
	v_and_b32_e32 v12, 0xb8, v12
	v_and_b32_e32 v13, 0xf8, v13
	v_add_nc_u32_e32 v35, v14, v28
	v_add_nc_u32_e32 v36, v1, v28
	v_mov_b32_e32 v1, 0
	v_add_nc_u32_e32 v37, v12, v28
	v_add_nc_u32_e32 v38, v13, v28
	s_waitcnt vmcnt(3) lgkmcnt(3)
	ds_write_b64 v35, v[4:5]
	s_waitcnt vmcnt(2) lgkmcnt(3)
	ds_write_b64 v36, v[6:7] offset:2048
	s_waitcnt vmcnt(1) lgkmcnt(3)
	ds_write_b64 v37, v[8:9] offset:4096
	s_waitcnt vmcnt(0) lgkmcnt(3)
	ds_write_b64 v38, v[10:11] offset:6144
	s_waitcnt lgkmcnt(0)
	s_barrier
	buffer_gl0_inv
	ds_read2_b64 v[12:15], v39 offset1:1
	ds_read2_b64 v[16:19], v39 offset0:2 offset1:3
	s_waitcnt lgkmcnt(0)
	s_barrier
	buffer_gl0_inv
	s_load_dword s0, s[2:3], 0xc
	s_waitcnt lgkmcnt(0)
	s_lshr_b32 s7, s0, 16
	s_cmp_lt_u32 s6, s10
	v_mad_u32_u24 v5, v2, s7, v3
	s_cselect_b32 s0, 12, 18
	s_mov_b32 s7, exec_lo
	s_add_u32 s0, s2, s0
	s_addc_u32 s1, s3, 0
	global_load_ushort v4, v1, s[0:1]
	s_waitcnt vmcnt(0)
	v_mul_lo_u32 v4, v5, v4
	v_add_lshl_u32 v40, v4, v0, 2
	v_mov_b32_e32 v4, v12
	v_mov_b32_e32 v5, v13
	;; [unrolled: 1-line block ×8, first 2 shown]
	v_cmpx_gt_u32_e32 0x400, v40
	s_cbranch_execz .LBB616_12
; %bb.3:
	v_mul_hi_i32 v4, 0x66666667, v14
	v_mul_hi_i32 v5, 0x66666667, v12
	;; [unrolled: 1-line block ×4, first 2 shown]
	v_mov_b32_e32 v24, v16
	v_mov_b32_e32 v25, v17
	;; [unrolled: 1-line block ×4, first 2 shown]
	v_lshrrev_b32_e32 v8, 31, v4
	v_ashrrev_i32_e32 v4, 2, v4
	v_lshrrev_b32_e32 v9, 31, v5
	v_ashrrev_i32_e32 v5, 2, v5
	;; [unrolled: 2-line block ×3, first 2 shown]
	v_add_nc_u32_e32 v4, v4, v8
	v_lshrrev_b32_e32 v8, 31, v7
	v_add_nc_u32_e32 v5, v5, v9
	v_ashrrev_i32_e32 v7, 2, v7
	v_add_nc_u32_e32 v42, v6, v10
	s_mov_b32 s0, exec_lo
	v_cmp_lt_i32_e32 vcc_lo, v4, v5
	v_add_nc_u32_e32 v41, v7, v8
	v_cndmask_b32_e32 v20, v12, v14, vcc_lo
	v_cndmask_b32_e32 v23, v15, v13, vcc_lo
	;; [unrolled: 1-line block ×4, first 2 shown]
	v_mov_b32_e32 v14, v18
	v_mov_b32_e32 v4, v20
	;; [unrolled: 1-line block ×10, first 2 shown]
	v_cmpx_lt_i32_e64 v42, v41
	s_cbranch_execz .LBB616_5
; %bb.4:
	v_mov_b32_e32 v24, v18
	v_mov_b32_e32 v25, v19
	;; [unrolled: 1-line block ×17, first 2 shown]
.LBB616_5:
	s_or_b32 exec_lo, exec_lo, s0
	v_mul_hi_i32 v12, 0x66666667, v22
	s_mov_b32 s0, exec_lo
                                        ; implicit-def: $vgpr24
	v_lshrrev_b32_e32 v13, 31, v12
	v_ashrrev_i32_e32 v12, 2, v12
	v_add_nc_u32_e32 v12, v12, v13
	v_cmpx_ge_i32_e64 v41, v12
	s_xor_b32 s0, exec_lo, s0
; %bb.6:
	v_mul_hi_i32 v13, 0x66666667, v16
                                        ; implicit-def: $vgpr41
	v_lshrrev_b32_e32 v18, 31, v13
	v_ashrrev_i32_e32 v13, 2, v13
	v_add_nc_u32_e32 v24, v13, v18
; %bb.7:
	s_or_saveexec_b32 s0, s0
	v_mov_b32_e32 v19, v17
	v_mov_b32_e32 v18, v16
	s_xor_b32 exec_lo, exec_lo, s0
	s_cbranch_execz .LBB616_9
; %bb.8:
	v_mov_b32_e32 v18, v22
	v_mov_b32_e32 v8, v22
	;; [unrolled: 1-line block ×10, first 2 shown]
.LBB616_9:
	s_or_b32 exec_lo, exec_lo, s0
	v_mul_hi_i32 v13, 0x66666667, v20
	v_mul_hi_i32 v17, 0x66666667, v14
	s_mov_b32 s14, exec_lo
	v_lshrrev_b32_e32 v16, 31, v13
	v_ashrrev_i32_e32 v13, 2, v13
	v_add_nc_u32_e32 v13, v13, v16
	v_cmp_lt_i32_e32 vcc_lo, v12, v13
	v_lshrrev_b32_e32 v12, 31, v17
	v_ashrrev_i32_e32 v13, 2, v17
	v_cndmask_b32_e32 v16, v22, v20, vcc_lo
	v_cndmask_b32_e32 v7, v7, v21, vcc_lo
	v_add_nc_u32_e32 v25, v13, v12
	v_cndmask_b32_e32 v6, v6, v20, vcc_lo
	v_cndmask_b32_e32 v5, v5, v23, vcc_lo
	v_mul_hi_i32 v17, 0x66666667, v16
	v_cndmask_b32_e32 v4, v4, v22, vcc_lo
	v_cmp_lt_i32_e64 s0, v25, v24
	v_cndmask_b32_e32 v13, v21, v23, vcc_lo
	v_cndmask_b32_e32 v12, v20, v22, vcc_lo
	v_min_i32_e32 v20, v25, v24
	v_cndmask_b32_e64 v11, v11, v19, s0
	v_lshrrev_b32_e32 v26, 31, v17
	v_ashrrev_i32_e32 v17, 2, v17
	v_cndmask_b32_e64 v10, v10, v18, s0
	v_cndmask_b32_e64 v9, v9, v15, s0
	;; [unrolled: 1-line block ×3, first 2 shown]
	v_add_nc_u32_e32 v17, v17, v26
	v_cmpx_lt_i32_e64 v20, v17
; %bb.10:
	v_cndmask_b32_e32 v9, v23, v21, vcc_lo
	v_cndmask_b32_e64 v7, v19, v15, s0
	v_cndmask_b32_e64 v6, v18, v14, s0
	v_mov_b32_e32 v8, v16
; %bb.11:
	s_or_b32 exec_lo, exec_lo, s14
.LBB616_12:
	s_or_b32 exec_lo, exec_lo, s7
	v_mbcnt_lo_u32_b32 v14, -1, 0
	v_and_b32_e32 v15, 0xffffff80, v40
	s_mov_b32 s0, 0
	s_mov_b32 s1, exec_lo
	v_lshlrev_b32_e32 v18, 2, v14
	v_sub_nc_u32_e64 v17, 0x400, v15 clamp
	v_lshlrev_b32_e32 v19, 5, v14
	v_mov_b32_e32 v14, v6
	v_or_b32_e32 v16, 4, v18
	v_and_b32_e32 v22, 4, v18
	v_and_b32_e32 v24, 0x78, v18
	v_min_u32_e32 v20, v17, v16
	v_min_u32_e32 v25, v17, v22
	v_add_nc_u32_e32 v16, 4, v20
	v_sub_nc_u32_e32 v23, v20, v24
	v_min_u32_e32 v21, v17, v16
	v_lshlrev_b32_e32 v16, 3, v15
	v_min_u32_e32 v26, v25, v23
	v_sub_nc_u32_e32 v15, v21, v20
	v_or_b32_e32 v27, v16, v19
	v_lshl_or_b32 v23, v24, 3, v16
	v_sub_nc_u32_e64 v22, v25, v15 clamp
	v_mov_b32_e32 v15, v7
	ds_write_b128 v27, v[12:15]
	ds_write_b128 v27, v[8:11] offset:16
	; wave barrier
	v_cmpx_lt_u32_e64 v22, v26
	s_cbranch_execz .LBB616_16
; %bb.13:
	v_lshlrev_b32_e32 v12, 3, v20
	v_lshlrev_b32_e32 v13, 3, v25
	v_add3_u32 v12, v16, v12, v13
	.p2align	6
.LBB616_14:                             ; =>This Inner Loop Header: Depth=1
	v_add_nc_u32_e32 v13, v26, v22
	v_lshrrev_b32_e32 v13, 1, v13
	v_not_b32_e32 v14, v13
	v_lshl_add_u32 v15, v13, 3, v23
	v_lshl_add_u32 v14, v14, 3, v12
	ds_read_b32 v15, v15
	ds_read_b32 v14, v14
	s_waitcnt lgkmcnt(1)
	v_mul_hi_i32 v15, 0x66666667, v15
	s_waitcnt lgkmcnt(0)
	v_mul_hi_i32 v14, 0x66666667, v14
	v_lshrrev_b32_e32 v27, 31, v15
	v_ashrrev_i32_e32 v15, 2, v15
	v_lshrrev_b32_e32 v40, 31, v14
	v_ashrrev_i32_e32 v14, 2, v14
	v_add_nc_u32_e32 v15, v15, v27
	v_add_nc_u32_e32 v27, 1, v13
	;; [unrolled: 1-line block ×3, first 2 shown]
	v_cmp_lt_i32_e32 vcc_lo, v14, v15
	v_cndmask_b32_e32 v26, v26, v13, vcc_lo
	v_cndmask_b32_e32 v22, v27, v22, vcc_lo
	v_cmp_ge_u32_e32 vcc_lo, v22, v26
	s_or_b32 s0, vcc_lo, s0
	s_andn2_b32 exec_lo, exec_lo, s0
	s_cbranch_execnz .LBB616_14
; %bb.15:
	s_or_b32 exec_lo, exec_lo, s0
.LBB616_16:
	s_or_b32 exec_lo, exec_lo, s1
	v_add_nc_u32_e32 v13, v20, v25
	v_add_nc_u32_e32 v12, v22, v24
	v_sub_nc_u32_e32 v13, v13, v22
	v_cmp_le_u32_e32 vcc_lo, v12, v20
	v_cmp_le_u32_e64 s0, v13, v21
	s_or_b32 s0, vcc_lo, s0
	s_and_saveexec_b32 s1, s0
	s_cbranch_execz .LBB616_36
; %bb.17:
	s_mov_b32 s7, exec_lo
	v_cmp_ge_u32_e32 vcc_lo, v12, v20
                                        ; implicit-def: $vgpr4_vgpr5
	v_cmpx_lt_u32_e64 v12, v20
; %bb.18:
	v_lshl_add_u32 v4, v22, 3, v23
	ds_read_b64 v[4:5], v4
; %bb.19:
	s_or_b32 exec_lo, exec_lo, s7
	v_cmp_ge_u32_e64 s7, v13, v21
	s_mov_b32 s14, exec_lo
                                        ; implicit-def: $vgpr6_vgpr7
	v_cmpx_lt_u32_e64 v13, v21
; %bb.20:
	v_lshl_add_u32 v6, v13, 3, v16
	ds_read_b64 v[6:7], v6
; %bb.21:
	s_or_b32 exec_lo, exec_lo, s14
	s_nor_b32 s14, vcc_lo, s7
	s_and_saveexec_b32 s0, s14
	s_cbranch_execz .LBB616_23
; %bb.22:
	s_waitcnt lgkmcnt(0)
	v_mul_hi_i32 v8, 0x66666667, v6
	v_mul_hi_i32 v9, 0x66666667, v4
	s_andn2_b32 s7, s7, exec_lo
	v_lshrrev_b32_e32 v10, 31, v8
	v_ashrrev_i32_e32 v8, 2, v8
	v_lshrrev_b32_e32 v11, 31, v9
	v_ashrrev_i32_e32 v9, 2, v9
	v_add_nc_u32_e32 v8, v8, v10
	v_add_nc_u32_e32 v9, v9, v11
	v_cmp_ge_i32_e32 vcc_lo, v8, v9
	s_and_b32 s14, vcc_lo, exec_lo
	s_or_b32 s7, s7, s14
.LBB616_23:
	s_or_b32 exec_lo, exec_lo, s0
	v_cndmask_b32_e64 v8, v13, v12, s7
	v_cndmask_b32_e64 v9, v21, v20, s7
	s_mov_b32 s0, -1
	s_mov_b32 s14, -1
	s_mov_b32 s15, exec_lo
	v_add_nc_u32_e32 v14, 1, v8
	v_add_nc_u32_e32 v8, -1, v9
	v_cndmask_b32_e64 v9, v12, v14, s7
	v_min_u32_e32 v8, v14, v8
	v_lshl_add_u32 v8, v8, 3, v16
	ds_read_b64 v[10:11], v8
	v_cndmask_b32_e64 v8, v14, v13, s7
	s_waitcnt lgkmcnt(0)
	v_cndmask_b32_e64 v12, v11, v7, s7
	v_cndmask_b32_e64 v13, v10, v6, s7
	;; [unrolled: 1-line block ×4, first 2 shown]
	v_cmpx_lt_u32_e64 v8, v21
	s_cbranch_execz .LBB616_27
; %bb.24:
	s_mov_b32 s16, 0
	s_mov_b32 s14, exec_lo
	v_cmpx_lt_u32_e64 v9, v20
	s_cbranch_execz .LBB616_26
; %bb.25:
	v_mul_hi_i32 v10, 0x66666667, v13
	v_mul_hi_i32 v11, 0x66666667, v15
	v_lshrrev_b32_e32 v22, 31, v10
	v_ashrrev_i32_e32 v10, 2, v10
	v_lshrrev_b32_e32 v23, 31, v11
	v_ashrrev_i32_e32 v11, 2, v11
	v_add_nc_u32_e32 v10, v10, v22
	v_add_nc_u32_e32 v11, v11, v23
	v_cmp_ge_i32_e32 vcc_lo, v10, v11
	s_and_b32 s16, vcc_lo, exec_lo
.LBB616_26:
	s_or_b32 exec_lo, exec_lo, s14
	s_orn2_b32 s14, s16, exec_lo
.LBB616_27:
	s_or_b32 exec_lo, exec_lo, s15
	v_cndmask_b32_e64 v10, v8, v9, s14
	v_cndmask_b32_e64 v11, v21, v20, s14
	s_mov_b32 s15, exec_lo
	v_add_nc_u32_e32 v22, 1, v10
	v_add_nc_u32_e32 v10, -1, v11
	v_cndmask_b32_e64 v26, v9, v22, s14
	v_min_u32_e32 v10, v22, v10
	v_lshl_add_u32 v10, v10, 3, v16
	ds_read_b64 v[40:41], v10
	v_cndmask_b32_e64 v10, v22, v8, s14
	s_waitcnt lgkmcnt(0)
	v_cndmask_b32_e64 v22, v41, v12, s14
	v_cndmask_b32_e64 v23, v40, v13, s14
	;; [unrolled: 1-line block ×4, first 2 shown]
	v_cmpx_lt_u32_e64 v10, v21
	s_cbranch_execz .LBB616_31
; %bb.28:
	s_mov_b32 s16, 0
	s_mov_b32 s0, exec_lo
	v_cmpx_lt_u32_e64 v26, v20
	s_cbranch_execz .LBB616_30
; %bb.29:
	v_mul_hi_i32 v8, 0x66666667, v23
	v_mul_hi_i32 v9, 0x66666667, v25
	v_lshrrev_b32_e32 v11, 31, v8
	v_ashrrev_i32_e32 v8, 2, v8
	v_lshrrev_b32_e32 v27, 31, v9
	v_ashrrev_i32_e32 v9, 2, v9
	v_add_nc_u32_e32 v8, v8, v11
	v_add_nc_u32_e32 v9, v9, v27
	v_cmp_ge_i32_e32 vcc_lo, v8, v9
	s_and_b32 s16, vcc_lo, exec_lo
.LBB616_30:
	s_or_b32 exec_lo, exec_lo, s0
	s_orn2_b32 s0, s16, exec_lo
.LBB616_31:
	s_or_b32 exec_lo, exec_lo, s15
	v_cndmask_b32_e64 v8, v10, v26, s0
	v_cndmask_b32_e64 v9, v21, v20, s0
	s_mov_b32 s15, exec_lo
	v_add_nc_u32_e32 v27, 1, v8
	v_add_nc_u32_e32 v8, -1, v9
	v_cndmask_b32_e64 v40, v27, v10, s0
	v_min_u32_e32 v8, v27, v8
	v_lshl_add_u32 v8, v8, 3, v16
	ds_read_b64 v[8:9], v8
	s_waitcnt lgkmcnt(0)
	v_cndmask_b32_e64 v11, v24, v9, s0
	v_cndmask_b32_e64 v10, v25, v8, s0
	v_cmpx_lt_u32_e64 v40, v21
	s_cbranch_execz .LBB616_35
; %bb.32:
	v_cndmask_b32_e64 v21, v26, v27, s0
	v_cndmask_b32_e64 v9, v9, v22, s0
	;; [unrolled: 1-line block ×3, first 2 shown]
	s_mov_b32 s16, exec_lo
	v_cmpx_lt_u32_e64 v21, v20
	s_cbranch_execz .LBB616_34
; %bb.33:
	v_mul_hi_i32 v20, 0x66666667, v8
	v_mul_hi_i32 v21, 0x66666667, v10
	v_lshrrev_b32_e32 v26, 31, v20
	v_ashrrev_i32_e32 v20, 2, v20
	v_lshrrev_b32_e32 v27, 31, v21
	v_ashrrev_i32_e32 v21, 2, v21
	v_add_nc_u32_e32 v20, v20, v26
	v_add_nc_u32_e32 v21, v21, v27
	v_cmp_lt_i32_e32 vcc_lo, v20, v21
	v_cndmask_b32_e32 v9, v11, v9, vcc_lo
	v_cndmask_b32_e32 v8, v10, v8, vcc_lo
.LBB616_34:
	s_or_b32 exec_lo, exec_lo, s16
	v_mov_b32_e32 v11, v9
	v_mov_b32_e32 v10, v8
.LBB616_35:
	s_or_b32 exec_lo, exec_lo, s15
	v_cndmask_b32_e64 v5, v7, v5, s7
	v_cndmask_b32_e64 v4, v6, v4, s7
	;; [unrolled: 1-line block ×6, first 2 shown]
.LBB616_36:
	s_or_b32 exec_lo, exec_lo, s1
	v_and_b32_e32 v21, 0x70, v18
	v_and_b32_e32 v13, 12, v18
	v_add_nc_u32_e32 v14, v16, v19
	s_mov_b32 s0, exec_lo
	v_or_b32_e32 v12, 8, v21
	v_min_u32_e32 v22, v17, v13
	; wave barrier
	ds_write_b128 v14, v[4:7]
	ds_write_b128 v14, v[8:11] offset:16
	v_min_u32_e32 v15, v17, v12
	; wave barrier
	v_add_nc_u32_e32 v12, 8, v15
	v_sub_nc_u32_e32 v13, v15, v21
	v_min_u32_e32 v20, v17, v12
	v_min_u32_e32 v23, v22, v13
	v_lshl_add_u32 v13, v21, 3, v16
	v_sub_nc_u32_e32 v12, v20, v15
	v_sub_nc_u32_e64 v12, v22, v12 clamp
	v_cmpx_lt_u32_e64 v12, v23
	s_cbranch_execz .LBB616_40
; %bb.37:
	v_lshlrev_b32_e32 v19, 3, v15
	v_lshlrev_b32_e32 v24, 3, v22
	s_mov_b32 s1, 0
	v_add3_u32 v19, v16, v19, v24
	.p2align	6
.LBB616_38:                             ; =>This Inner Loop Header: Depth=1
	v_add_nc_u32_e32 v24, v23, v12
	v_lshrrev_b32_e32 v24, 1, v24
	v_not_b32_e32 v25, v24
	v_lshl_add_u32 v26, v24, 3, v13
	v_lshl_add_u32 v25, v25, 3, v19
	ds_read_b32 v26, v26
	ds_read_b32 v25, v25
	s_waitcnt lgkmcnt(1)
	v_mul_hi_i32 v26, 0x66666667, v26
	s_waitcnt lgkmcnt(0)
	v_mul_hi_i32 v25, 0x66666667, v25
	v_lshrrev_b32_e32 v27, 31, v26
	v_ashrrev_i32_e32 v26, 2, v26
	v_lshrrev_b32_e32 v40, 31, v25
	v_ashrrev_i32_e32 v25, 2, v25
	v_add_nc_u32_e32 v26, v26, v27
	v_add_nc_u32_e32 v27, 1, v24
	;; [unrolled: 1-line block ×3, first 2 shown]
	v_cmp_lt_i32_e32 vcc_lo, v25, v26
	v_cndmask_b32_e32 v23, v23, v24, vcc_lo
	v_cndmask_b32_e32 v12, v27, v12, vcc_lo
	v_cmp_ge_u32_e32 vcc_lo, v12, v23
	s_or_b32 s1, vcc_lo, s1
	s_andn2_b32 exec_lo, exec_lo, s1
	s_cbranch_execnz .LBB616_38
; %bb.39:
	s_or_b32 exec_lo, exec_lo, s1
.LBB616_40:
	s_or_b32 exec_lo, exec_lo, s0
	v_add_nc_u32_e32 v22, v15, v22
	v_add_nc_u32_e32 v19, v12, v21
	v_sub_nc_u32_e32 v21, v22, v12
	v_cmp_le_u32_e32 vcc_lo, v19, v15
	v_cmp_le_u32_e64 s0, v21, v20
	s_or_b32 s0, vcc_lo, s0
	s_and_saveexec_b32 s1, s0
	s_cbranch_execz .LBB616_60
; %bb.41:
	s_mov_b32 s7, exec_lo
	v_cmp_ge_u32_e32 vcc_lo, v19, v15
                                        ; implicit-def: $vgpr4_vgpr5
	v_cmpx_lt_u32_e64 v19, v15
; %bb.42:
	v_lshl_add_u32 v4, v12, 3, v13
	ds_read_b64 v[4:5], v4
; %bb.43:
	s_or_b32 exec_lo, exec_lo, s7
	v_cmp_ge_u32_e64 s7, v21, v20
	s_mov_b32 s14, exec_lo
                                        ; implicit-def: $vgpr8_vgpr9
	v_cmpx_lt_u32_e64 v21, v20
; %bb.44:
	v_lshl_add_u32 v6, v21, 3, v16
	ds_read_b64 v[8:9], v6
; %bb.45:
	s_or_b32 exec_lo, exec_lo, s14
	s_nor_b32 s14, vcc_lo, s7
	s_and_saveexec_b32 s0, s14
	s_cbranch_execz .LBB616_47
; %bb.46:
	s_waitcnt lgkmcnt(0)
	v_mul_hi_i32 v6, 0x66666667, v8
	v_mul_hi_i32 v7, 0x66666667, v4
	s_andn2_b32 s7, s7, exec_lo
	v_lshrrev_b32_e32 v10, 31, v6
	v_ashrrev_i32_e32 v6, 2, v6
	v_lshrrev_b32_e32 v11, 31, v7
	v_ashrrev_i32_e32 v7, 2, v7
	v_add_nc_u32_e32 v6, v6, v10
	v_add_nc_u32_e32 v7, v7, v11
	v_cmp_ge_i32_e32 vcc_lo, v6, v7
	s_and_b32 s14, vcc_lo, exec_lo
	s_or_b32 s7, s7, s14
.LBB616_47:
	s_or_b32 exec_lo, exec_lo, s0
	v_cndmask_b32_e64 v6, v21, v19, s7
	v_cndmask_b32_e64 v7, v20, v15, s7
	s_mov_b32 s0, -1
	s_mov_b32 s14, -1
	s_mov_b32 s15, exec_lo
	v_add_nc_u32_e32 v6, 1, v6
	v_add_nc_u32_e32 v7, -1, v7
	v_cndmask_b32_e64 v12, v6, v21, s7
	v_min_u32_e32 v7, v6, v7
	v_cndmask_b32_e64 v13, v19, v6, s7
	v_lshl_add_u32 v7, v7, 3, v16
	ds_read_b64 v[22:23], v7
	s_waitcnt lgkmcnt(0)
	v_cndmask_b32_e64 v6, v23, v9, s7
	v_cndmask_b32_e64 v10, v22, v8, s7
	;; [unrolled: 1-line block ×4, first 2 shown]
	v_cmpx_lt_u32_e64 v12, v20
	s_cbranch_execz .LBB616_51
; %bb.48:
	s_mov_b32 s16, 0
	s_mov_b32 s14, exec_lo
	v_cmpx_lt_u32_e64 v13, v15
	s_cbranch_execz .LBB616_50
; %bb.49:
	v_mul_hi_i32 v19, 0x66666667, v10
	v_mul_hi_i32 v21, 0x66666667, v11
	v_lshrrev_b32_e32 v22, 31, v19
	v_ashrrev_i32_e32 v19, 2, v19
	v_lshrrev_b32_e32 v23, 31, v21
	v_ashrrev_i32_e32 v21, 2, v21
	v_add_nc_u32_e32 v19, v19, v22
	v_add_nc_u32_e32 v21, v21, v23
	v_cmp_ge_i32_e32 vcc_lo, v19, v21
	s_and_b32 s16, vcc_lo, exec_lo
.LBB616_50:
	s_or_b32 exec_lo, exec_lo, s14
	s_orn2_b32 s14, s16, exec_lo
.LBB616_51:
	s_or_b32 exec_lo, exec_lo, s15
	v_cndmask_b32_e64 v19, v12, v13, s14
	v_cndmask_b32_e64 v21, v20, v15, s14
	s_mov_b32 s15, exec_lo
	v_add_nc_u32_e32 v19, 1, v19
	v_add_nc_u32_e32 v21, -1, v21
	v_cndmask_b32_e64 v23, v19, v12, s14
	v_min_u32_e32 v21, v19, v21
	v_cndmask_b32_e64 v19, v13, v19, s14
	v_lshl_add_u32 v21, v21, 3, v16
	ds_read_b64 v[25:26], v21
	s_waitcnt lgkmcnt(0)
	v_cndmask_b32_e64 v21, v26, v6, s14
	v_cndmask_b32_e64 v22, v25, v10, s14
	;; [unrolled: 1-line block ×4, first 2 shown]
	v_cmpx_lt_u32_e64 v23, v20
	s_cbranch_execz .LBB616_55
; %bb.52:
	s_mov_b32 s16, 0
	s_mov_b32 s0, exec_lo
	v_cmpx_lt_u32_e64 v19, v15
	s_cbranch_execz .LBB616_54
; %bb.53:
	v_mul_hi_i32 v12, 0x66666667, v22
	v_mul_hi_i32 v13, 0x66666667, v25
	v_lshrrev_b32_e32 v26, 31, v12
	v_ashrrev_i32_e32 v12, 2, v12
	v_lshrrev_b32_e32 v27, 31, v13
	v_ashrrev_i32_e32 v13, 2, v13
	v_add_nc_u32_e32 v12, v12, v26
	v_add_nc_u32_e32 v13, v13, v27
	v_cmp_ge_i32_e32 vcc_lo, v12, v13
	s_and_b32 s16, vcc_lo, exec_lo
.LBB616_54:
	s_or_b32 exec_lo, exec_lo, s0
	s_orn2_b32 s0, s16, exec_lo
.LBB616_55:
	s_or_b32 exec_lo, exec_lo, s15
	v_cndmask_b32_e64 v12, v23, v19, s0
	v_cndmask_b32_e64 v13, v20, v15, s0
	;; [unrolled: 1-line block ×5, first 2 shown]
	v_add_nc_u32_e32 v26, 1, v12
	v_add_nc_u32_e32 v12, -1, v13
	v_cndmask_b32_e64 v4, v8, v4, s7
	v_cndmask_b32_e64 v9, v21, v24, s0
	;; [unrolled: 1-line block ×4, first 2 shown]
	v_min_u32_e32 v12, v26, v12
	s_mov_b32 s7, exec_lo
	v_lshl_add_u32 v12, v12, 3, v16
	ds_read_b64 v[12:13], v12
	s_waitcnt lgkmcnt(0)
	v_cndmask_b32_e64 v11, v24, v13, s0
	v_cndmask_b32_e64 v10, v25, v12, s0
	v_cmpx_lt_u32_e64 v23, v20
	s_cbranch_execz .LBB616_59
; %bb.56:
	v_cndmask_b32_e64 v19, v19, v26, s0
	v_cndmask_b32_e64 v13, v13, v21, s0
	;; [unrolled: 1-line block ×3, first 2 shown]
	s_mov_b32 s0, exec_lo
	v_cmpx_lt_u32_e64 v19, v15
	s_cbranch_execz .LBB616_58
; %bb.57:
	v_mul_hi_i32 v15, 0x66666667, v12
	v_mul_hi_i32 v19, 0x66666667, v10
	v_lshrrev_b32_e32 v20, 31, v15
	v_ashrrev_i32_e32 v15, 2, v15
	v_lshrrev_b32_e32 v21, 31, v19
	v_ashrrev_i32_e32 v19, 2, v19
	v_add_nc_u32_e32 v15, v15, v20
	v_add_nc_u32_e32 v19, v19, v21
	v_cmp_lt_i32_e32 vcc_lo, v15, v19
	v_cndmask_b32_e32 v13, v11, v13, vcc_lo
	v_cndmask_b32_e32 v12, v10, v12, vcc_lo
.LBB616_58:
	s_or_b32 exec_lo, exec_lo, s0
	v_mov_b32_e32 v10, v12
	v_mov_b32_e32 v11, v13
.LBB616_59:
	s_or_b32 exec_lo, exec_lo, s7
.LBB616_60:
	s_or_b32 exec_lo, exec_lo, s1
	v_and_b32_e32 v20, 0x60, v18
	v_and_b32_e32 v13, 28, v18
	s_mov_b32 s0, exec_lo
	; wave barrier
	v_or_b32_e32 v12, 16, v20
	v_min_u32_e32 v21, v17, v13
	ds_write_b128 v14, v[4:7]
	ds_write_b128 v14, v[8:11] offset:16
	; wave barrier
	v_min_u32_e32 v15, v17, v12
	v_add_nc_u32_e32 v12, 16, v15
	v_sub_nc_u32_e32 v13, v15, v20
	v_min_u32_e32 v19, v17, v12
	v_min_u32_e32 v22, v21, v13
	v_lshl_add_u32 v13, v20, 3, v16
	v_sub_nc_u32_e32 v12, v19, v15
	v_sub_nc_u32_e64 v12, v21, v12 clamp
	v_cmpx_lt_u32_e64 v12, v22
	s_cbranch_execz .LBB616_64
; %bb.61:
	v_lshlrev_b32_e32 v23, 3, v15
	v_lshlrev_b32_e32 v24, 3, v21
	s_mov_b32 s1, 0
	v_add3_u32 v23, v16, v23, v24
	.p2align	6
.LBB616_62:                             ; =>This Inner Loop Header: Depth=1
	v_add_nc_u32_e32 v24, v22, v12
	v_lshrrev_b32_e32 v24, 1, v24
	v_not_b32_e32 v25, v24
	v_lshl_add_u32 v26, v24, 3, v13
	v_lshl_add_u32 v25, v25, 3, v23
	ds_read_b32 v26, v26
	ds_read_b32 v25, v25
	s_waitcnt lgkmcnt(1)
	v_mul_hi_i32 v26, 0x66666667, v26
	s_waitcnt lgkmcnt(0)
	v_mul_hi_i32 v25, 0x66666667, v25
	v_lshrrev_b32_e32 v27, 31, v26
	v_ashrrev_i32_e32 v26, 2, v26
	v_lshrrev_b32_e32 v40, 31, v25
	v_ashrrev_i32_e32 v25, 2, v25
	v_add_nc_u32_e32 v26, v26, v27
	v_add_nc_u32_e32 v27, 1, v24
	;; [unrolled: 1-line block ×3, first 2 shown]
	v_cmp_lt_i32_e32 vcc_lo, v25, v26
	v_cndmask_b32_e32 v22, v22, v24, vcc_lo
	v_cndmask_b32_e32 v12, v27, v12, vcc_lo
	v_cmp_ge_u32_e32 vcc_lo, v12, v22
	s_or_b32 s1, vcc_lo, s1
	s_andn2_b32 exec_lo, exec_lo, s1
	s_cbranch_execnz .LBB616_62
; %bb.63:
	s_or_b32 exec_lo, exec_lo, s1
.LBB616_64:
	s_or_b32 exec_lo, exec_lo, s0
	v_add_nc_u32_e32 v21, v15, v21
	v_add_nc_u32_e32 v20, v12, v20
	v_sub_nc_u32_e32 v21, v21, v12
	v_cmp_le_u32_e32 vcc_lo, v20, v15
	v_cmp_le_u32_e64 s0, v21, v19
	s_or_b32 s0, vcc_lo, s0
	s_and_saveexec_b32 s1, s0
	s_cbranch_execz .LBB616_84
; %bb.65:
	s_mov_b32 s7, exec_lo
	v_cmp_ge_u32_e32 vcc_lo, v20, v15
                                        ; implicit-def: $vgpr4_vgpr5
	v_cmpx_lt_u32_e64 v20, v15
; %bb.66:
	v_lshl_add_u32 v4, v12, 3, v13
	ds_read_b64 v[4:5], v4
; %bb.67:
	s_or_b32 exec_lo, exec_lo, s7
	v_cmp_ge_u32_e64 s7, v21, v19
	s_mov_b32 s14, exec_lo
                                        ; implicit-def: $vgpr8_vgpr9
	v_cmpx_lt_u32_e64 v21, v19
; %bb.68:
	v_lshl_add_u32 v6, v21, 3, v16
	ds_read_b64 v[8:9], v6
; %bb.69:
	s_or_b32 exec_lo, exec_lo, s14
	s_nor_b32 s14, vcc_lo, s7
	s_and_saveexec_b32 s0, s14
	s_cbranch_execz .LBB616_71
; %bb.70:
	s_waitcnt lgkmcnt(0)
	v_mul_hi_i32 v6, 0x66666667, v8
	v_mul_hi_i32 v7, 0x66666667, v4
	s_andn2_b32 s7, s7, exec_lo
	v_lshrrev_b32_e32 v10, 31, v6
	v_ashrrev_i32_e32 v6, 2, v6
	v_lshrrev_b32_e32 v11, 31, v7
	v_ashrrev_i32_e32 v7, 2, v7
	v_add_nc_u32_e32 v6, v6, v10
	v_add_nc_u32_e32 v7, v7, v11
	v_cmp_ge_i32_e32 vcc_lo, v6, v7
	s_and_b32 s14, vcc_lo, exec_lo
	s_or_b32 s7, s7, s14
.LBB616_71:
	s_or_b32 exec_lo, exec_lo, s0
	v_cndmask_b32_e64 v6, v21, v20, s7
	v_cndmask_b32_e64 v7, v19, v15, s7
	s_mov_b32 s0, -1
	s_mov_b32 s14, -1
	s_mov_b32 s15, exec_lo
	v_add_nc_u32_e32 v6, 1, v6
	v_add_nc_u32_e32 v7, -1, v7
	v_cndmask_b32_e64 v12, v6, v21, s7
	v_min_u32_e32 v7, v6, v7
	v_cndmask_b32_e64 v13, v20, v6, s7
	v_lshl_add_u32 v7, v7, 3, v16
	ds_read_b64 v[22:23], v7
	s_waitcnt lgkmcnt(0)
	v_cndmask_b32_e64 v6, v23, v9, s7
	v_cndmask_b32_e64 v10, v22, v8, s7
	;; [unrolled: 1-line block ×4, first 2 shown]
	v_cmpx_lt_u32_e64 v12, v19
	s_cbranch_execz .LBB616_75
; %bb.72:
	s_mov_b32 s16, 0
	s_mov_b32 s14, exec_lo
	v_cmpx_lt_u32_e64 v13, v15
	s_cbranch_execz .LBB616_74
; %bb.73:
	v_mul_hi_i32 v20, 0x66666667, v10
	v_mul_hi_i32 v21, 0x66666667, v11
	v_lshrrev_b32_e32 v22, 31, v20
	v_ashrrev_i32_e32 v20, 2, v20
	v_lshrrev_b32_e32 v23, 31, v21
	v_ashrrev_i32_e32 v21, 2, v21
	v_add_nc_u32_e32 v20, v20, v22
	v_add_nc_u32_e32 v21, v21, v23
	v_cmp_ge_i32_e32 vcc_lo, v20, v21
	s_and_b32 s16, vcc_lo, exec_lo
.LBB616_74:
	s_or_b32 exec_lo, exec_lo, s14
	s_orn2_b32 s14, s16, exec_lo
.LBB616_75:
	s_or_b32 exec_lo, exec_lo, s15
	v_cndmask_b32_e64 v20, v12, v13, s14
	v_cndmask_b32_e64 v21, v19, v15, s14
	s_mov_b32 s15, exec_lo
	v_add_nc_u32_e32 v20, 1, v20
	v_add_nc_u32_e32 v21, -1, v21
	v_cndmask_b32_e64 v23, v20, v12, s14
	v_min_u32_e32 v21, v20, v21
	v_cndmask_b32_e64 v20, v13, v20, s14
	v_lshl_add_u32 v21, v21, 3, v16
	ds_read_b64 v[25:26], v21
	s_waitcnt lgkmcnt(0)
	v_cndmask_b32_e64 v21, v26, v6, s14
	v_cndmask_b32_e64 v22, v25, v10, s14
	;; [unrolled: 1-line block ×4, first 2 shown]
	v_cmpx_lt_u32_e64 v23, v19
	s_cbranch_execz .LBB616_79
; %bb.76:
	s_mov_b32 s16, 0
	s_mov_b32 s0, exec_lo
	v_cmpx_lt_u32_e64 v20, v15
	s_cbranch_execz .LBB616_78
; %bb.77:
	v_mul_hi_i32 v12, 0x66666667, v22
	v_mul_hi_i32 v13, 0x66666667, v25
	v_lshrrev_b32_e32 v26, 31, v12
	v_ashrrev_i32_e32 v12, 2, v12
	v_lshrrev_b32_e32 v27, 31, v13
	v_ashrrev_i32_e32 v13, 2, v13
	v_add_nc_u32_e32 v12, v12, v26
	v_add_nc_u32_e32 v13, v13, v27
	v_cmp_ge_i32_e32 vcc_lo, v12, v13
	s_and_b32 s16, vcc_lo, exec_lo
.LBB616_78:
	s_or_b32 exec_lo, exec_lo, s0
	s_orn2_b32 s0, s16, exec_lo
.LBB616_79:
	s_or_b32 exec_lo, exec_lo, s15
	v_cndmask_b32_e64 v12, v23, v20, s0
	v_cndmask_b32_e64 v13, v19, v15, s0
	;; [unrolled: 1-line block ×5, first 2 shown]
	v_add_nc_u32_e32 v26, 1, v12
	v_add_nc_u32_e32 v12, -1, v13
	v_cndmask_b32_e64 v4, v8, v4, s7
	v_cndmask_b32_e64 v9, v21, v24, s0
	v_cndmask_b32_e64 v8, v22, v25, s0
	v_cndmask_b32_e64 v23, v26, v23, s0
	v_min_u32_e32 v12, v26, v12
	s_mov_b32 s7, exec_lo
	v_lshl_add_u32 v12, v12, 3, v16
	ds_read_b64 v[12:13], v12
	s_waitcnt lgkmcnt(0)
	v_cndmask_b32_e64 v11, v24, v13, s0
	v_cndmask_b32_e64 v10, v25, v12, s0
	v_cmpx_lt_u32_e64 v23, v19
	s_cbranch_execz .LBB616_83
; %bb.80:
	v_cndmask_b32_e64 v19, v20, v26, s0
	v_cndmask_b32_e64 v13, v13, v21, s0
	;; [unrolled: 1-line block ×3, first 2 shown]
	s_mov_b32 s0, exec_lo
	v_cmpx_lt_u32_e64 v19, v15
	s_cbranch_execz .LBB616_82
; %bb.81:
	v_mul_hi_i32 v15, 0x66666667, v12
	v_mul_hi_i32 v19, 0x66666667, v10
	v_lshrrev_b32_e32 v20, 31, v15
	v_ashrrev_i32_e32 v15, 2, v15
	v_lshrrev_b32_e32 v21, 31, v19
	v_ashrrev_i32_e32 v19, 2, v19
	v_add_nc_u32_e32 v15, v15, v20
	v_add_nc_u32_e32 v19, v19, v21
	v_cmp_lt_i32_e32 vcc_lo, v15, v19
	v_cndmask_b32_e32 v13, v11, v13, vcc_lo
	v_cndmask_b32_e32 v12, v10, v12, vcc_lo
.LBB616_82:
	s_or_b32 exec_lo, exec_lo, s0
	v_mov_b32_e32 v10, v12
	v_mov_b32_e32 v11, v13
.LBB616_83:
	s_or_b32 exec_lo, exec_lo, s7
.LBB616_84:
	s_or_b32 exec_lo, exec_lo, s1
	v_and_b32_e32 v19, 64, v18
	v_and_b32_e32 v13, 60, v18
	s_mov_b32 s0, exec_lo
	; wave barrier
	v_or_b32_e32 v12, 32, v19
	ds_write_b128 v14, v[4:7]
	ds_write_b128 v14, v[8:11] offset:16
	; wave barrier
	v_min_u32_e32 v15, v17, v12
	v_add_nc_u32_e32 v12, 32, v15
	v_min_u32_e32 v18, v17, v12
	v_min_u32_e32 v17, v17, v13
	v_sub_nc_u32_e32 v13, v15, v19
	v_sub_nc_u32_e32 v12, v18, v15
	v_min_u32_e32 v20, v17, v13
	v_lshl_add_u32 v13, v19, 3, v16
	v_sub_nc_u32_e64 v12, v17, v12 clamp
	v_cmpx_lt_u32_e64 v12, v20
	s_cbranch_execz .LBB616_88
; %bb.85:
	v_lshlrev_b32_e32 v14, 3, v15
	v_lshlrev_b32_e32 v21, 3, v17
	s_mov_b32 s1, 0
	v_add3_u32 v14, v16, v14, v21
	.p2align	6
.LBB616_86:                             ; =>This Inner Loop Header: Depth=1
	v_add_nc_u32_e32 v21, v20, v12
	v_lshrrev_b32_e32 v21, 1, v21
	v_not_b32_e32 v22, v21
	v_lshl_add_u32 v23, v21, 3, v13
	v_lshl_add_u32 v22, v22, 3, v14
	ds_read_b32 v23, v23
	ds_read_b32 v22, v22
	s_waitcnt lgkmcnt(1)
	v_mul_hi_i32 v23, 0x66666667, v23
	s_waitcnt lgkmcnt(0)
	v_mul_hi_i32 v22, 0x66666667, v22
	v_lshrrev_b32_e32 v24, 31, v23
	v_ashrrev_i32_e32 v23, 2, v23
	v_lshrrev_b32_e32 v25, 31, v22
	v_ashrrev_i32_e32 v22, 2, v22
	v_add_nc_u32_e32 v23, v23, v24
	v_add_nc_u32_e32 v24, 1, v21
	;; [unrolled: 1-line block ×3, first 2 shown]
	v_cmp_lt_i32_e32 vcc_lo, v22, v23
	v_cndmask_b32_e32 v20, v20, v21, vcc_lo
	v_cndmask_b32_e32 v12, v24, v12, vcc_lo
	v_cmp_ge_u32_e32 vcc_lo, v12, v20
	s_or_b32 s1, vcc_lo, s1
	s_andn2_b32 exec_lo, exec_lo, s1
	s_cbranch_execnz .LBB616_86
; %bb.87:
	s_or_b32 exec_lo, exec_lo, s1
.LBB616_88:
	s_or_b32 exec_lo, exec_lo, s0
	v_add_nc_u32_e32 v17, v15, v17
	v_add_nc_u32_e32 v14, v12, v19
	v_sub_nc_u32_e32 v17, v17, v12
	v_cmp_le_u32_e32 vcc_lo, v14, v15
	v_cmp_le_u32_e64 s0, v17, v18
	s_or_b32 s0, vcc_lo, s0
	s_and_saveexec_b32 s1, s0
	s_cbranch_execz .LBB616_108
; %bb.89:
	s_mov_b32 s7, exec_lo
	v_cmp_ge_u32_e32 vcc_lo, v14, v15
                                        ; implicit-def: $vgpr4_vgpr5
	v_cmpx_lt_u32_e64 v14, v15
; %bb.90:
	v_lshl_add_u32 v4, v12, 3, v13
	ds_read_b64 v[4:5], v4
; %bb.91:
	s_or_b32 exec_lo, exec_lo, s7
	v_cmp_ge_u32_e64 s7, v17, v18
	s_mov_b32 s14, exec_lo
                                        ; implicit-def: $vgpr8_vgpr9
	v_cmpx_lt_u32_e64 v17, v18
; %bb.92:
	v_lshl_add_u32 v6, v17, 3, v16
	ds_read_b64 v[8:9], v6
; %bb.93:
	s_or_b32 exec_lo, exec_lo, s14
	s_nor_b32 s14, vcc_lo, s7
	s_and_saveexec_b32 s0, s14
	s_cbranch_execz .LBB616_95
; %bb.94:
	s_waitcnt lgkmcnt(0)
	v_mul_hi_i32 v6, 0x66666667, v8
	v_mul_hi_i32 v7, 0x66666667, v4
	s_andn2_b32 s7, s7, exec_lo
	v_lshrrev_b32_e32 v10, 31, v6
	v_ashrrev_i32_e32 v6, 2, v6
	v_lshrrev_b32_e32 v11, 31, v7
	v_ashrrev_i32_e32 v7, 2, v7
	v_add_nc_u32_e32 v6, v6, v10
	v_add_nc_u32_e32 v7, v7, v11
	v_cmp_ge_i32_e32 vcc_lo, v6, v7
	s_and_b32 s14, vcc_lo, exec_lo
	s_or_b32 s7, s7, s14
.LBB616_95:
	s_or_b32 exec_lo, exec_lo, s0
	v_cndmask_b32_e64 v6, v17, v14, s7
	v_cndmask_b32_e64 v7, v18, v15, s7
	s_mov_b32 s0, -1
	s_mov_b32 s14, -1
	s_mov_b32 s15, exec_lo
	v_add_nc_u32_e32 v6, 1, v6
	v_add_nc_u32_e32 v7, -1, v7
	v_cndmask_b32_e64 v12, v6, v17, s7
	v_min_u32_e32 v7, v6, v7
	v_cndmask_b32_e64 v13, v14, v6, s7
	v_lshl_add_u32 v7, v7, 3, v16
	ds_read_b64 v[19:20], v7
	s_waitcnt lgkmcnt(0)
	v_cndmask_b32_e64 v6, v20, v9, s7
	v_cndmask_b32_e64 v10, v19, v8, s7
	;; [unrolled: 1-line block ×4, first 2 shown]
	v_cmpx_lt_u32_e64 v12, v18
	s_cbranch_execz .LBB616_99
; %bb.96:
	s_mov_b32 s16, 0
	s_mov_b32 s14, exec_lo
	v_cmpx_lt_u32_e64 v13, v15
	s_cbranch_execz .LBB616_98
; %bb.97:
	v_mul_hi_i32 v14, 0x66666667, v10
	v_mul_hi_i32 v17, 0x66666667, v11
	v_lshrrev_b32_e32 v19, 31, v14
	v_ashrrev_i32_e32 v14, 2, v14
	v_lshrrev_b32_e32 v20, 31, v17
	v_ashrrev_i32_e32 v17, 2, v17
	v_add_nc_u32_e32 v14, v14, v19
	v_add_nc_u32_e32 v17, v17, v20
	v_cmp_ge_i32_e32 vcc_lo, v14, v17
	s_and_b32 s16, vcc_lo, exec_lo
.LBB616_98:
	s_or_b32 exec_lo, exec_lo, s14
	s_orn2_b32 s14, s16, exec_lo
.LBB616_99:
	s_or_b32 exec_lo, exec_lo, s15
	v_cndmask_b32_e64 v14, v12, v13, s14
	v_cndmask_b32_e64 v17, v18, v15, s14
	s_mov_b32 s15, exec_lo
	v_add_nc_u32_e32 v14, 1, v14
	v_add_nc_u32_e32 v17, -1, v17
	v_cndmask_b32_e64 v20, v14, v12, s14
	v_min_u32_e32 v17, v14, v17
	v_cndmask_b32_e64 v14, v13, v14, s14
	v_lshl_add_u32 v17, v17, 3, v16
	ds_read_b64 v[22:23], v17
	s_waitcnt lgkmcnt(0)
	v_cndmask_b32_e64 v17, v23, v6, s14
	v_cndmask_b32_e64 v19, v22, v10, s14
	;; [unrolled: 1-line block ×4, first 2 shown]
	v_cmpx_lt_u32_e64 v20, v18
	s_cbranch_execz .LBB616_103
; %bb.100:
	s_mov_b32 s16, 0
	s_mov_b32 s0, exec_lo
	v_cmpx_lt_u32_e64 v14, v15
	s_cbranch_execz .LBB616_102
; %bb.101:
	v_mul_hi_i32 v12, 0x66666667, v19
	v_mul_hi_i32 v13, 0x66666667, v22
	v_lshrrev_b32_e32 v23, 31, v12
	v_ashrrev_i32_e32 v12, 2, v12
	v_lshrrev_b32_e32 v24, 31, v13
	v_ashrrev_i32_e32 v13, 2, v13
	v_add_nc_u32_e32 v12, v12, v23
	v_add_nc_u32_e32 v13, v13, v24
	v_cmp_ge_i32_e32 vcc_lo, v12, v13
	s_and_b32 s16, vcc_lo, exec_lo
.LBB616_102:
	s_or_b32 exec_lo, exec_lo, s0
	s_orn2_b32 s0, s16, exec_lo
.LBB616_103:
	s_or_b32 exec_lo, exec_lo, s15
	v_cndmask_b32_e64 v12, v20, v14, s0
	v_cndmask_b32_e64 v13, v18, v15, s0
	;; [unrolled: 1-line block ×5, first 2 shown]
	v_add_nc_u32_e32 v23, 1, v12
	v_add_nc_u32_e32 v12, -1, v13
	v_cndmask_b32_e64 v4, v8, v4, s7
	v_cndmask_b32_e64 v9, v17, v21, s0
	;; [unrolled: 1-line block ×3, first 2 shown]
	s_mov_b32 s7, exec_lo
	v_min_u32_e32 v12, v23, v12
	v_lshl_add_u32 v12, v12, 3, v16
	v_cndmask_b32_e64 v16, v23, v20, s0
	ds_read_b64 v[12:13], v12
	s_waitcnt lgkmcnt(0)
	v_cndmask_b32_e64 v11, v21, v13, s0
	v_cndmask_b32_e64 v10, v22, v12, s0
	v_cmpx_lt_u32_e64 v16, v18
	s_cbranch_execz .LBB616_107
; %bb.104:
	v_cndmask_b32_e64 v14, v14, v23, s0
	v_cndmask_b32_e64 v13, v13, v17, s0
	;; [unrolled: 1-line block ×3, first 2 shown]
	s_mov_b32 s0, exec_lo
	v_cmpx_lt_u32_e64 v14, v15
	s_cbranch_execz .LBB616_106
; %bb.105:
	v_mul_hi_i32 v14, 0x66666667, v12
	v_mul_hi_i32 v15, 0x66666667, v10
	v_lshrrev_b32_e32 v16, 31, v14
	v_ashrrev_i32_e32 v14, 2, v14
	v_lshrrev_b32_e32 v17, 31, v15
	v_ashrrev_i32_e32 v15, 2, v15
	v_add_nc_u32_e32 v14, v14, v16
	v_add_nc_u32_e32 v15, v15, v17
	v_cmp_lt_i32_e32 vcc_lo, v14, v15
	v_cndmask_b32_e32 v13, v11, v13, vcc_lo
	v_cndmask_b32_e32 v12, v10, v12, vcc_lo
.LBB616_106:
	s_or_b32 exec_lo, exec_lo, s0
	v_mov_b32_e32 v10, v12
	v_mov_b32_e32 v11, v13
.LBB616_107:
	s_or_b32 exec_lo, exec_lo, s7
.LBB616_108:
	s_or_b32 exec_lo, exec_lo, s1
	v_lshlrev_b32_e32 v14, 2, v0
	s_mov_b32 s0, exec_lo
	; wave barrier
	s_waitcnt lgkmcnt(0)
	v_and_b32_e32 v17, 0x380, v14
	v_and_b32_e32 v18, 0x7c, v14
	s_barrier
	buffer_gl0_inv
	ds_write_b128 v29, v[4:7]
	v_or_b32_e32 v15, 64, v17
	v_add_nc_u32_e32 v16, 0x80, v17
	ds_write_b128 v29, v[8:11] offset:16
	s_waitcnt lgkmcnt(0)
	s_barrier
	v_sub_nc_u32_e32 v13, v15, v17
	v_sub_nc_u32_e32 v12, v16, v15
	buffer_gl0_inv
	v_min_u32_e32 v19, v18, v13
	v_sub_nc_u32_e64 v12, v18, v12 clamp
	v_lshlrev_b32_e32 v13, 3, v17
	v_cmpx_lt_u32_e64 v12, v19
	s_cbranch_execz .LBB616_112
; %bb.109:
	v_lshlrev_b32_e32 v20, 3, v18
	s_mov_b32 s1, 0
	v_lshl_add_u32 v20, v15, 3, v20
	.p2align	6
.LBB616_110:                            ; =>This Inner Loop Header: Depth=1
	v_add_nc_u32_e32 v21, v19, v12
	v_lshrrev_b32_e32 v21, 1, v21
	v_not_b32_e32 v22, v21
	v_lshl_add_u32 v23, v21, 3, v13
	v_lshl_add_u32 v22, v22, 3, v20
	ds_read_b32 v23, v23
	ds_read_b32 v22, v22
	s_waitcnt lgkmcnt(1)
	v_mul_hi_i32 v23, 0x66666667, v23
	s_waitcnt lgkmcnt(0)
	v_mul_hi_i32 v22, 0x66666667, v22
	v_lshrrev_b32_e32 v24, 31, v23
	v_ashrrev_i32_e32 v23, 2, v23
	v_lshrrev_b32_e32 v25, 31, v22
	v_ashrrev_i32_e32 v22, 2, v22
	v_add_nc_u32_e32 v23, v23, v24
	v_add_nc_u32_e32 v24, 1, v21
	;; [unrolled: 1-line block ×3, first 2 shown]
	v_cmp_lt_i32_e32 vcc_lo, v22, v23
	v_cndmask_b32_e32 v19, v19, v21, vcc_lo
	v_cndmask_b32_e32 v12, v24, v12, vcc_lo
	v_cmp_ge_u32_e32 vcc_lo, v12, v19
	s_or_b32 s1, vcc_lo, s1
	s_andn2_b32 exec_lo, exec_lo, s1
	s_cbranch_execnz .LBB616_110
; %bb.111:
	s_or_b32 exec_lo, exec_lo, s1
.LBB616_112:
	s_or_b32 exec_lo, exec_lo, s0
	v_sub_nc_u32_e32 v18, v18, v12
	v_add_nc_u32_e32 v17, v12, v17
	v_add_nc_u32_e32 v18, v18, v15
	v_cmp_le_u32_e32 vcc_lo, v17, v15
	v_cmp_le_u32_e64 s0, v18, v16
	s_or_b32 s0, vcc_lo, s0
	s_and_saveexec_b32 s1, s0
	s_cbranch_execz .LBB616_132
; %bb.113:
	s_mov_b32 s7, exec_lo
	v_cmp_ge_u32_e32 vcc_lo, v17, v15
                                        ; implicit-def: $vgpr4_vgpr5
	v_cmpx_lt_u32_e64 v17, v15
; %bb.114:
	v_lshl_add_u32 v4, v12, 3, v13
	ds_read_b64 v[4:5], v4
; %bb.115:
	s_or_b32 exec_lo, exec_lo, s7
	v_cmp_ge_u32_e64 s7, v18, v16
	s_mov_b32 s14, exec_lo
                                        ; implicit-def: $vgpr8_vgpr9
	v_cmpx_lt_u32_e64 v18, v16
; %bb.116:
	v_lshlrev_b32_e32 v6, 3, v18
	ds_read_b64 v[8:9], v6
; %bb.117:
	s_or_b32 exec_lo, exec_lo, s14
	s_nor_b32 s14, vcc_lo, s7
	s_and_saveexec_b32 s0, s14
	s_cbranch_execz .LBB616_119
; %bb.118:
	s_waitcnt lgkmcnt(0)
	v_mul_hi_i32 v6, 0x66666667, v8
	v_mul_hi_i32 v7, 0x66666667, v4
	s_andn2_b32 s7, s7, exec_lo
	v_lshrrev_b32_e32 v10, 31, v6
	v_ashrrev_i32_e32 v6, 2, v6
	v_lshrrev_b32_e32 v11, 31, v7
	v_ashrrev_i32_e32 v7, 2, v7
	v_add_nc_u32_e32 v6, v6, v10
	v_add_nc_u32_e32 v7, v7, v11
	v_cmp_ge_i32_e32 vcc_lo, v6, v7
	s_and_b32 s14, vcc_lo, exec_lo
	s_or_b32 s7, s7, s14
.LBB616_119:
	s_or_b32 exec_lo, exec_lo, s0
	v_cndmask_b32_e64 v6, v18, v17, s7
	v_cndmask_b32_e64 v7, v16, v15, s7
	s_mov_b32 s0, -1
	s_mov_b32 s14, -1
	s_mov_b32 s15, exec_lo
	v_add_nc_u32_e32 v6, 1, v6
	v_add_nc_u32_e32 v7, -1, v7
	v_cndmask_b32_e64 v12, v6, v18, s7
	v_min_u32_e32 v7, v6, v7
	v_cndmask_b32_e64 v13, v17, v6, s7
	v_lshlrev_b32_e32 v7, 3, v7
	ds_read_b64 v[19:20], v7
	s_waitcnt lgkmcnt(0)
	v_cndmask_b32_e64 v6, v20, v9, s7
	v_cndmask_b32_e64 v10, v19, v8, s7
	;; [unrolled: 1-line block ×4, first 2 shown]
	v_cmpx_lt_u32_e64 v12, v16
	s_cbranch_execz .LBB616_123
; %bb.120:
	s_mov_b32 s16, 0
	s_mov_b32 s14, exec_lo
	v_cmpx_lt_u32_e64 v13, v15
	s_cbranch_execz .LBB616_122
; %bb.121:
	v_mul_hi_i32 v17, 0x66666667, v10
	v_mul_hi_i32 v18, 0x66666667, v11
	v_lshrrev_b32_e32 v19, 31, v17
	v_ashrrev_i32_e32 v17, 2, v17
	v_lshrrev_b32_e32 v20, 31, v18
	v_ashrrev_i32_e32 v18, 2, v18
	v_add_nc_u32_e32 v17, v17, v19
	v_add_nc_u32_e32 v18, v18, v20
	v_cmp_ge_i32_e32 vcc_lo, v17, v18
	s_and_b32 s16, vcc_lo, exec_lo
.LBB616_122:
	s_or_b32 exec_lo, exec_lo, s14
	s_orn2_b32 s14, s16, exec_lo
.LBB616_123:
	s_or_b32 exec_lo, exec_lo, s15
	v_cndmask_b32_e64 v17, v12, v13, s14
	v_cndmask_b32_e64 v18, v16, v15, s14
	s_mov_b32 s15, exec_lo
	v_add_nc_u32_e32 v17, 1, v17
	v_add_nc_u32_e32 v18, -1, v18
	v_cndmask_b32_e64 v20, v17, v12, s14
	v_min_u32_e32 v18, v17, v18
	v_cndmask_b32_e64 v17, v13, v17, s14
	v_lshlrev_b32_e32 v18, 3, v18
	ds_read_b64 v[22:23], v18
	s_waitcnt lgkmcnt(0)
	v_cndmask_b32_e64 v18, v23, v6, s14
	v_cndmask_b32_e64 v19, v22, v10, s14
	;; [unrolled: 1-line block ×4, first 2 shown]
	v_cmpx_lt_u32_e64 v20, v16
	s_cbranch_execz .LBB616_127
; %bb.124:
	s_mov_b32 s16, 0
	s_mov_b32 s0, exec_lo
	v_cmpx_lt_u32_e64 v17, v15
	s_cbranch_execz .LBB616_126
; %bb.125:
	v_mul_hi_i32 v12, 0x66666667, v19
	v_mul_hi_i32 v13, 0x66666667, v22
	v_lshrrev_b32_e32 v23, 31, v12
	v_ashrrev_i32_e32 v12, 2, v12
	v_lshrrev_b32_e32 v24, 31, v13
	v_ashrrev_i32_e32 v13, 2, v13
	v_add_nc_u32_e32 v12, v12, v23
	v_add_nc_u32_e32 v13, v13, v24
	v_cmp_ge_i32_e32 vcc_lo, v12, v13
	s_and_b32 s16, vcc_lo, exec_lo
.LBB616_126:
	s_or_b32 exec_lo, exec_lo, s0
	s_orn2_b32 s0, s16, exec_lo
.LBB616_127:
	s_or_b32 exec_lo, exec_lo, s15
	v_cndmask_b32_e64 v12, v20, v17, s0
	v_cndmask_b32_e64 v13, v16, v15, s0
	;; [unrolled: 1-line block ×5, first 2 shown]
	v_add_nc_u32_e32 v23, 1, v12
	v_add_nc_u32_e32 v12, -1, v13
	v_cndmask_b32_e64 v4, v8, v4, s7
	v_cndmask_b32_e64 v9, v18, v21, s0
	;; [unrolled: 1-line block ×4, first 2 shown]
	v_min_u32_e32 v12, v23, v12
	s_mov_b32 s7, exec_lo
	v_lshlrev_b32_e32 v12, 3, v12
	ds_read_b64 v[12:13], v12
	s_waitcnt lgkmcnt(0)
	v_cndmask_b32_e64 v11, v21, v13, s0
	v_cndmask_b32_e64 v10, v22, v12, s0
	v_cmpx_lt_u32_e64 v20, v16
	s_cbranch_execz .LBB616_131
; %bb.128:
	v_cndmask_b32_e64 v16, v17, v23, s0
	v_cndmask_b32_e64 v13, v13, v18, s0
	;; [unrolled: 1-line block ×3, first 2 shown]
	s_mov_b32 s0, exec_lo
	v_cmpx_lt_u32_e64 v16, v15
	s_cbranch_execz .LBB616_130
; %bb.129:
	v_mul_hi_i32 v15, 0x66666667, v12
	v_mul_hi_i32 v16, 0x66666667, v10
	v_lshrrev_b32_e32 v17, 31, v15
	v_ashrrev_i32_e32 v15, 2, v15
	v_lshrrev_b32_e32 v18, 31, v16
	v_ashrrev_i32_e32 v16, 2, v16
	v_add_nc_u32_e32 v15, v15, v17
	v_add_nc_u32_e32 v16, v16, v18
	v_cmp_lt_i32_e32 vcc_lo, v15, v16
	v_cndmask_b32_e32 v13, v11, v13, vcc_lo
	v_cndmask_b32_e32 v12, v10, v12, vcc_lo
.LBB616_130:
	s_or_b32 exec_lo, exec_lo, s0
	v_mov_b32_e32 v10, v12
	v_mov_b32_e32 v11, v13
.LBB616_131:
	s_or_b32 exec_lo, exec_lo, s7
.LBB616_132:
	s_or_b32 exec_lo, exec_lo, s1
	v_and_b32_e32 v17, 0x300, v14
	v_and_b32_e32 v18, 0xfc, v14
	s_mov_b32 s0, exec_lo
	s_barrier
	v_or_b32_e32 v15, 0x80, v17
	v_add_nc_u32_e32 v16, 0x100, v17
	buffer_gl0_inv
	ds_write_b128 v29, v[4:7]
	ds_write_b128 v29, v[8:11] offset:16
	v_sub_nc_u32_e32 v13, v15, v17
	v_sub_nc_u32_e32 v12, v16, v15
	s_waitcnt lgkmcnt(0)
	s_barrier
	buffer_gl0_inv
	v_min_u32_e32 v19, v18, v13
	v_sub_nc_u32_e64 v12, v18, v12 clamp
	v_lshlrev_b32_e32 v13, 3, v17
	v_cmpx_lt_u32_e64 v12, v19
	s_cbranch_execz .LBB616_136
; %bb.133:
	v_lshlrev_b32_e32 v20, 3, v18
	s_mov_b32 s1, 0
	v_lshl_add_u32 v20, v15, 3, v20
	.p2align	6
.LBB616_134:                            ; =>This Inner Loop Header: Depth=1
	v_add_nc_u32_e32 v21, v19, v12
	v_lshrrev_b32_e32 v21, 1, v21
	v_not_b32_e32 v22, v21
	v_lshl_add_u32 v23, v21, 3, v13
	v_lshl_add_u32 v22, v22, 3, v20
	ds_read_b32 v23, v23
	ds_read_b32 v22, v22
	s_waitcnt lgkmcnt(1)
	v_mul_hi_i32 v23, 0x66666667, v23
	s_waitcnt lgkmcnt(0)
	v_mul_hi_i32 v22, 0x66666667, v22
	v_lshrrev_b32_e32 v24, 31, v23
	v_ashrrev_i32_e32 v23, 2, v23
	v_lshrrev_b32_e32 v25, 31, v22
	v_ashrrev_i32_e32 v22, 2, v22
	v_add_nc_u32_e32 v23, v23, v24
	v_add_nc_u32_e32 v24, 1, v21
	;; [unrolled: 1-line block ×3, first 2 shown]
	v_cmp_lt_i32_e32 vcc_lo, v22, v23
	v_cndmask_b32_e32 v19, v19, v21, vcc_lo
	v_cndmask_b32_e32 v12, v24, v12, vcc_lo
	v_cmp_ge_u32_e32 vcc_lo, v12, v19
	s_or_b32 s1, vcc_lo, s1
	s_andn2_b32 exec_lo, exec_lo, s1
	s_cbranch_execnz .LBB616_134
; %bb.135:
	s_or_b32 exec_lo, exec_lo, s1
.LBB616_136:
	s_or_b32 exec_lo, exec_lo, s0
	v_sub_nc_u32_e32 v18, v18, v12
	v_add_nc_u32_e32 v17, v12, v17
	v_add_nc_u32_e32 v18, v18, v15
	v_cmp_le_u32_e32 vcc_lo, v17, v15
	v_cmp_le_u32_e64 s0, v18, v16
	s_or_b32 s0, vcc_lo, s0
	s_and_saveexec_b32 s1, s0
	s_cbranch_execz .LBB616_156
; %bb.137:
	s_mov_b32 s7, exec_lo
	v_cmp_ge_u32_e32 vcc_lo, v17, v15
                                        ; implicit-def: $vgpr4_vgpr5
	v_cmpx_lt_u32_e64 v17, v15
; %bb.138:
	v_lshl_add_u32 v4, v12, 3, v13
	ds_read_b64 v[4:5], v4
; %bb.139:
	s_or_b32 exec_lo, exec_lo, s7
	v_cmp_ge_u32_e64 s7, v18, v16
	s_mov_b32 s14, exec_lo
                                        ; implicit-def: $vgpr8_vgpr9
	v_cmpx_lt_u32_e64 v18, v16
; %bb.140:
	v_lshlrev_b32_e32 v6, 3, v18
	ds_read_b64 v[8:9], v6
; %bb.141:
	s_or_b32 exec_lo, exec_lo, s14
	s_nor_b32 s14, vcc_lo, s7
	s_and_saveexec_b32 s0, s14
	s_cbranch_execz .LBB616_143
; %bb.142:
	s_waitcnt lgkmcnt(0)
	v_mul_hi_i32 v6, 0x66666667, v8
	v_mul_hi_i32 v7, 0x66666667, v4
	s_andn2_b32 s7, s7, exec_lo
	v_lshrrev_b32_e32 v10, 31, v6
	v_ashrrev_i32_e32 v6, 2, v6
	v_lshrrev_b32_e32 v11, 31, v7
	v_ashrrev_i32_e32 v7, 2, v7
	v_add_nc_u32_e32 v6, v6, v10
	v_add_nc_u32_e32 v7, v7, v11
	v_cmp_ge_i32_e32 vcc_lo, v6, v7
	s_and_b32 s14, vcc_lo, exec_lo
	s_or_b32 s7, s7, s14
.LBB616_143:
	s_or_b32 exec_lo, exec_lo, s0
	v_cndmask_b32_e64 v6, v18, v17, s7
	v_cndmask_b32_e64 v7, v16, v15, s7
	s_mov_b32 s0, -1
	s_mov_b32 s14, -1
	s_mov_b32 s15, exec_lo
	v_add_nc_u32_e32 v6, 1, v6
	v_add_nc_u32_e32 v7, -1, v7
	v_cndmask_b32_e64 v12, v6, v18, s7
	v_min_u32_e32 v7, v6, v7
	v_cndmask_b32_e64 v13, v17, v6, s7
	v_lshlrev_b32_e32 v7, 3, v7
	ds_read_b64 v[19:20], v7
	s_waitcnt lgkmcnt(0)
	v_cndmask_b32_e64 v6, v20, v9, s7
	v_cndmask_b32_e64 v10, v19, v8, s7
	;; [unrolled: 1-line block ×4, first 2 shown]
	v_cmpx_lt_u32_e64 v12, v16
	s_cbranch_execz .LBB616_147
; %bb.144:
	s_mov_b32 s16, 0
	s_mov_b32 s14, exec_lo
	v_cmpx_lt_u32_e64 v13, v15
	s_cbranch_execz .LBB616_146
; %bb.145:
	v_mul_hi_i32 v17, 0x66666667, v10
	v_mul_hi_i32 v18, 0x66666667, v11
	v_lshrrev_b32_e32 v19, 31, v17
	v_ashrrev_i32_e32 v17, 2, v17
	v_lshrrev_b32_e32 v20, 31, v18
	v_ashrrev_i32_e32 v18, 2, v18
	v_add_nc_u32_e32 v17, v17, v19
	v_add_nc_u32_e32 v18, v18, v20
	v_cmp_ge_i32_e32 vcc_lo, v17, v18
	s_and_b32 s16, vcc_lo, exec_lo
.LBB616_146:
	s_or_b32 exec_lo, exec_lo, s14
	s_orn2_b32 s14, s16, exec_lo
.LBB616_147:
	s_or_b32 exec_lo, exec_lo, s15
	v_cndmask_b32_e64 v17, v12, v13, s14
	v_cndmask_b32_e64 v18, v16, v15, s14
	s_mov_b32 s15, exec_lo
	v_add_nc_u32_e32 v17, 1, v17
	v_add_nc_u32_e32 v18, -1, v18
	v_cndmask_b32_e64 v20, v17, v12, s14
	v_min_u32_e32 v18, v17, v18
	v_cndmask_b32_e64 v17, v13, v17, s14
	v_lshlrev_b32_e32 v18, 3, v18
	ds_read_b64 v[22:23], v18
	s_waitcnt lgkmcnt(0)
	v_cndmask_b32_e64 v18, v23, v6, s14
	v_cndmask_b32_e64 v19, v22, v10, s14
	;; [unrolled: 1-line block ×4, first 2 shown]
	v_cmpx_lt_u32_e64 v20, v16
	s_cbranch_execz .LBB616_151
; %bb.148:
	s_mov_b32 s16, 0
	s_mov_b32 s0, exec_lo
	v_cmpx_lt_u32_e64 v17, v15
	s_cbranch_execz .LBB616_150
; %bb.149:
	v_mul_hi_i32 v12, 0x66666667, v19
	v_mul_hi_i32 v13, 0x66666667, v22
	v_lshrrev_b32_e32 v23, 31, v12
	v_ashrrev_i32_e32 v12, 2, v12
	v_lshrrev_b32_e32 v24, 31, v13
	v_ashrrev_i32_e32 v13, 2, v13
	v_add_nc_u32_e32 v12, v12, v23
	v_add_nc_u32_e32 v13, v13, v24
	v_cmp_ge_i32_e32 vcc_lo, v12, v13
	s_and_b32 s16, vcc_lo, exec_lo
.LBB616_150:
	s_or_b32 exec_lo, exec_lo, s0
	s_orn2_b32 s0, s16, exec_lo
.LBB616_151:
	s_or_b32 exec_lo, exec_lo, s15
	v_cndmask_b32_e64 v12, v20, v17, s0
	v_cndmask_b32_e64 v13, v16, v15, s0
	;; [unrolled: 1-line block ×5, first 2 shown]
	v_add_nc_u32_e32 v23, 1, v12
	v_add_nc_u32_e32 v12, -1, v13
	v_cndmask_b32_e64 v4, v8, v4, s7
	v_cndmask_b32_e64 v9, v18, v21, s0
	;; [unrolled: 1-line block ×4, first 2 shown]
	v_min_u32_e32 v12, v23, v12
	s_mov_b32 s7, exec_lo
	v_lshlrev_b32_e32 v12, 3, v12
	ds_read_b64 v[12:13], v12
	s_waitcnt lgkmcnt(0)
	v_cndmask_b32_e64 v11, v21, v13, s0
	v_cndmask_b32_e64 v10, v22, v12, s0
	v_cmpx_lt_u32_e64 v20, v16
	s_cbranch_execz .LBB616_155
; %bb.152:
	v_cndmask_b32_e64 v16, v17, v23, s0
	v_cndmask_b32_e64 v13, v13, v18, s0
	;; [unrolled: 1-line block ×3, first 2 shown]
	s_mov_b32 s0, exec_lo
	v_cmpx_lt_u32_e64 v16, v15
	s_cbranch_execz .LBB616_154
; %bb.153:
	v_mul_hi_i32 v15, 0x66666667, v12
	v_mul_hi_i32 v16, 0x66666667, v10
	v_lshrrev_b32_e32 v17, 31, v15
	v_ashrrev_i32_e32 v15, 2, v15
	v_lshrrev_b32_e32 v18, 31, v16
	v_ashrrev_i32_e32 v16, 2, v16
	v_add_nc_u32_e32 v15, v15, v17
	v_add_nc_u32_e32 v16, v16, v18
	v_cmp_lt_i32_e32 vcc_lo, v15, v16
	v_cndmask_b32_e32 v13, v11, v13, vcc_lo
	v_cndmask_b32_e32 v12, v10, v12, vcc_lo
.LBB616_154:
	s_or_b32 exec_lo, exec_lo, s0
	v_mov_b32_e32 v10, v12
	v_mov_b32_e32 v11, v13
.LBB616_155:
	s_or_b32 exec_lo, exec_lo, s7
.LBB616_156:
	s_or_b32 exec_lo, exec_lo, s1
	v_and_b32_e32 v17, 0x200, v14
	v_and_b32_e32 v18, 0x1fc, v14
	s_mov_b32 s0, exec_lo
	s_barrier
	v_or_b32_e32 v15, 0x100, v17
	v_add_nc_u32_e32 v16, 0x200, v17
	buffer_gl0_inv
	ds_write_b128 v29, v[4:7]
	ds_write_b128 v29, v[8:11] offset:16
	v_sub_nc_u32_e32 v13, v15, v17
	v_sub_nc_u32_e32 v12, v16, v15
	s_waitcnt lgkmcnt(0)
	s_barrier
	buffer_gl0_inv
	v_min_u32_e32 v19, v18, v13
	v_sub_nc_u32_e64 v12, v18, v12 clamp
	v_lshlrev_b32_e32 v13, 3, v17
	v_cmpx_lt_u32_e64 v12, v19
	s_cbranch_execz .LBB616_160
; %bb.157:
	v_lshlrev_b32_e32 v20, 3, v18
	s_mov_b32 s1, 0
	v_lshl_add_u32 v20, v15, 3, v20
	.p2align	6
.LBB616_158:                            ; =>This Inner Loop Header: Depth=1
	v_add_nc_u32_e32 v21, v19, v12
	v_lshrrev_b32_e32 v21, 1, v21
	v_not_b32_e32 v22, v21
	v_lshl_add_u32 v23, v21, 3, v13
	v_lshl_add_u32 v22, v22, 3, v20
	ds_read_b32 v23, v23
	ds_read_b32 v22, v22
	s_waitcnt lgkmcnt(1)
	v_mul_hi_i32 v23, 0x66666667, v23
	s_waitcnt lgkmcnt(0)
	v_mul_hi_i32 v22, 0x66666667, v22
	v_lshrrev_b32_e32 v24, 31, v23
	v_ashrrev_i32_e32 v23, 2, v23
	v_lshrrev_b32_e32 v25, 31, v22
	v_ashrrev_i32_e32 v22, 2, v22
	v_add_nc_u32_e32 v23, v23, v24
	v_add_nc_u32_e32 v24, 1, v21
	;; [unrolled: 1-line block ×3, first 2 shown]
	v_cmp_lt_i32_e32 vcc_lo, v22, v23
	v_cndmask_b32_e32 v19, v19, v21, vcc_lo
	v_cndmask_b32_e32 v12, v24, v12, vcc_lo
	v_cmp_ge_u32_e32 vcc_lo, v12, v19
	s_or_b32 s1, vcc_lo, s1
	s_andn2_b32 exec_lo, exec_lo, s1
	s_cbranch_execnz .LBB616_158
; %bb.159:
	s_or_b32 exec_lo, exec_lo, s1
.LBB616_160:
	s_or_b32 exec_lo, exec_lo, s0
	v_sub_nc_u32_e32 v18, v18, v12
	v_add_nc_u32_e32 v17, v12, v17
	v_add_nc_u32_e32 v18, v18, v15
	v_cmp_le_u32_e32 vcc_lo, v17, v15
	v_cmp_le_u32_e64 s0, v18, v16
	s_or_b32 s0, vcc_lo, s0
	s_and_saveexec_b32 s1, s0
	s_cbranch_execz .LBB616_180
; %bb.161:
	s_mov_b32 s7, exec_lo
	v_cmp_ge_u32_e32 vcc_lo, v17, v15
                                        ; implicit-def: $vgpr4_vgpr5
	v_cmpx_lt_u32_e64 v17, v15
; %bb.162:
	v_lshl_add_u32 v4, v12, 3, v13
	ds_read_b64 v[4:5], v4
; %bb.163:
	s_or_b32 exec_lo, exec_lo, s7
	v_cmp_ge_u32_e64 s7, v18, v16
	s_mov_b32 s14, exec_lo
                                        ; implicit-def: $vgpr8_vgpr9
	v_cmpx_lt_u32_e64 v18, v16
; %bb.164:
	v_lshlrev_b32_e32 v6, 3, v18
	ds_read_b64 v[8:9], v6
; %bb.165:
	s_or_b32 exec_lo, exec_lo, s14
	s_nor_b32 s14, vcc_lo, s7
	s_and_saveexec_b32 s0, s14
	s_cbranch_execz .LBB616_167
; %bb.166:
	s_waitcnt lgkmcnt(0)
	v_mul_hi_i32 v6, 0x66666667, v8
	v_mul_hi_i32 v7, 0x66666667, v4
	s_andn2_b32 s7, s7, exec_lo
	v_lshrrev_b32_e32 v10, 31, v6
	v_ashrrev_i32_e32 v6, 2, v6
	v_lshrrev_b32_e32 v11, 31, v7
	v_ashrrev_i32_e32 v7, 2, v7
	v_add_nc_u32_e32 v6, v6, v10
	v_add_nc_u32_e32 v7, v7, v11
	v_cmp_ge_i32_e32 vcc_lo, v6, v7
	s_and_b32 s14, vcc_lo, exec_lo
	s_or_b32 s7, s7, s14
.LBB616_167:
	s_or_b32 exec_lo, exec_lo, s0
	v_cndmask_b32_e64 v6, v18, v17, s7
	v_cndmask_b32_e64 v7, v16, v15, s7
	s_mov_b32 s0, -1
	s_mov_b32 s14, -1
	s_mov_b32 s15, exec_lo
	v_add_nc_u32_e32 v6, 1, v6
	v_add_nc_u32_e32 v7, -1, v7
	v_cndmask_b32_e64 v12, v6, v18, s7
	v_min_u32_e32 v7, v6, v7
	v_cndmask_b32_e64 v13, v17, v6, s7
	v_lshlrev_b32_e32 v7, 3, v7
	ds_read_b64 v[19:20], v7
	s_waitcnt lgkmcnt(0)
	v_cndmask_b32_e64 v6, v20, v9, s7
	v_cndmask_b32_e64 v10, v19, v8, s7
	;; [unrolled: 1-line block ×4, first 2 shown]
	v_cmpx_lt_u32_e64 v12, v16
	s_cbranch_execz .LBB616_171
; %bb.168:
	s_mov_b32 s16, 0
	s_mov_b32 s14, exec_lo
	v_cmpx_lt_u32_e64 v13, v15
	s_cbranch_execz .LBB616_170
; %bb.169:
	v_mul_hi_i32 v17, 0x66666667, v10
	v_mul_hi_i32 v18, 0x66666667, v11
	v_lshrrev_b32_e32 v19, 31, v17
	v_ashrrev_i32_e32 v17, 2, v17
	v_lshrrev_b32_e32 v20, 31, v18
	v_ashrrev_i32_e32 v18, 2, v18
	v_add_nc_u32_e32 v17, v17, v19
	v_add_nc_u32_e32 v18, v18, v20
	v_cmp_ge_i32_e32 vcc_lo, v17, v18
	s_and_b32 s16, vcc_lo, exec_lo
.LBB616_170:
	s_or_b32 exec_lo, exec_lo, s14
	s_orn2_b32 s14, s16, exec_lo
.LBB616_171:
	s_or_b32 exec_lo, exec_lo, s15
	v_cndmask_b32_e64 v17, v12, v13, s14
	v_cndmask_b32_e64 v18, v16, v15, s14
	s_mov_b32 s15, exec_lo
	v_add_nc_u32_e32 v17, 1, v17
	v_add_nc_u32_e32 v18, -1, v18
	v_cndmask_b32_e64 v20, v17, v12, s14
	v_min_u32_e32 v18, v17, v18
	v_cndmask_b32_e64 v17, v13, v17, s14
	v_lshlrev_b32_e32 v18, 3, v18
	ds_read_b64 v[22:23], v18
	s_waitcnt lgkmcnt(0)
	v_cndmask_b32_e64 v18, v23, v6, s14
	v_cndmask_b32_e64 v19, v22, v10, s14
	v_cndmask_b32_e64 v21, v7, v23, s14
	v_cndmask_b32_e64 v22, v11, v22, s14
	v_cmpx_lt_u32_e64 v20, v16
	s_cbranch_execz .LBB616_175
; %bb.172:
	s_mov_b32 s16, 0
	s_mov_b32 s0, exec_lo
	v_cmpx_lt_u32_e64 v17, v15
	s_cbranch_execz .LBB616_174
; %bb.173:
	v_mul_hi_i32 v12, 0x66666667, v19
	v_mul_hi_i32 v13, 0x66666667, v22
	v_lshrrev_b32_e32 v23, 31, v12
	v_ashrrev_i32_e32 v12, 2, v12
	v_lshrrev_b32_e32 v24, 31, v13
	v_ashrrev_i32_e32 v13, 2, v13
	v_add_nc_u32_e32 v12, v12, v23
	v_add_nc_u32_e32 v13, v13, v24
	v_cmp_ge_i32_e32 vcc_lo, v12, v13
	s_and_b32 s16, vcc_lo, exec_lo
.LBB616_174:
	s_or_b32 exec_lo, exec_lo, s0
	s_orn2_b32 s0, s16, exec_lo
.LBB616_175:
	s_or_b32 exec_lo, exec_lo, s15
	v_cndmask_b32_e64 v12, v20, v17, s0
	v_cndmask_b32_e64 v13, v16, v15, s0
	;; [unrolled: 1-line block ×5, first 2 shown]
	v_add_nc_u32_e32 v23, 1, v12
	v_add_nc_u32_e32 v12, -1, v13
	v_cndmask_b32_e64 v4, v8, v4, s7
	v_cndmask_b32_e64 v9, v18, v21, s0
	;; [unrolled: 1-line block ×4, first 2 shown]
	v_min_u32_e32 v12, v23, v12
	s_mov_b32 s7, exec_lo
	v_lshlrev_b32_e32 v12, 3, v12
	ds_read_b64 v[12:13], v12
	s_waitcnt lgkmcnt(0)
	v_cndmask_b32_e64 v11, v21, v13, s0
	v_cndmask_b32_e64 v10, v22, v12, s0
	v_cmpx_lt_u32_e64 v20, v16
	s_cbranch_execz .LBB616_179
; %bb.176:
	v_cndmask_b32_e64 v16, v17, v23, s0
	v_cndmask_b32_e64 v13, v13, v18, s0
	;; [unrolled: 1-line block ×3, first 2 shown]
	s_mov_b32 s0, exec_lo
	v_cmpx_lt_u32_e64 v16, v15
	s_cbranch_execz .LBB616_178
; %bb.177:
	v_mul_hi_i32 v15, 0x66666667, v12
	v_mul_hi_i32 v16, 0x66666667, v10
	v_lshrrev_b32_e32 v17, 31, v15
	v_ashrrev_i32_e32 v15, 2, v15
	v_lshrrev_b32_e32 v18, 31, v16
	v_ashrrev_i32_e32 v16, 2, v16
	v_add_nc_u32_e32 v15, v15, v17
	v_add_nc_u32_e32 v16, v16, v18
	v_cmp_lt_i32_e32 vcc_lo, v15, v16
	v_cndmask_b32_e32 v13, v11, v13, vcc_lo
	v_cndmask_b32_e32 v12, v10, v12, vcc_lo
.LBB616_178:
	s_or_b32 exec_lo, exec_lo, s0
	v_mov_b32_e32 v10, v12
	v_mov_b32_e32 v11, v13
.LBB616_179:
	s_or_b32 exec_lo, exec_lo, s7
.LBB616_180:
	s_or_b32 exec_lo, exec_lo, s1
	v_and_b32_e32 v13, 0x3fc, v14
	s_mov_b32 s0, exec_lo
	s_barrier
	buffer_gl0_inv
	v_subrev_nc_u32_e64 v12, 0x200, v13 clamp
	v_min_u32_e32 v14, 0x200, v13
	ds_write_b128 v29, v[4:7]
	ds_write_b128 v29, v[8:11] offset:16
	s_waitcnt lgkmcnt(0)
	s_barrier
	buffer_gl0_inv
	v_cmpx_lt_u32_e64 v12, v14
	s_cbranch_execz .LBB616_184
; %bb.181:
	v_lshlrev_b32_e32 v15, 3, v13
	s_mov_b32 s1, 0
	v_lshl_add_u32 v15, 0x200, 3, v15
	.p2align	6
.LBB616_182:                            ; =>This Inner Loop Header: Depth=1
	v_add_nc_u32_e32 v16, v14, v12
	v_lshrrev_b32_e32 v16, 1, v16
	v_not_b32_e32 v17, v16
	v_lshlrev_b32_e32 v18, 3, v16
	v_lshl_add_u32 v17, v17, 3, v15
	ds_read_b32 v18, v18
	ds_read_b32 v17, v17
	s_waitcnt lgkmcnt(1)
	v_mul_hi_i32 v18, 0x66666667, v18
	s_waitcnt lgkmcnt(0)
	v_mul_hi_i32 v17, 0x66666667, v17
	v_lshrrev_b32_e32 v19, 31, v18
	v_ashrrev_i32_e32 v18, 2, v18
	v_lshrrev_b32_e32 v20, 31, v17
	v_ashrrev_i32_e32 v17, 2, v17
	v_add_nc_u32_e32 v18, v18, v19
	v_add_nc_u32_e32 v19, 1, v16
	;; [unrolled: 1-line block ×3, first 2 shown]
	v_cmp_lt_i32_e32 vcc_lo, v17, v18
	v_cndmask_b32_e32 v14, v14, v16, vcc_lo
	v_cndmask_b32_e32 v12, v19, v12, vcc_lo
	v_cmp_ge_u32_e32 vcc_lo, v12, v14
	s_or_b32 s1, vcc_lo, s1
	s_andn2_b32 exec_lo, exec_lo, s1
	s_cbranch_execnz .LBB616_182
; %bb.183:
	s_or_b32 exec_lo, exec_lo, s1
.LBB616_184:
	s_or_b32 exec_lo, exec_lo, s0
	v_sub_nc_u32_e32 v13, v13, v12
	v_cmp_ge_u32_e32 vcc_lo, 0x200, v12
	v_add_nc_u32_e32 v13, 0x200, v13
	v_cmp_gt_u32_e64 s0, 0x401, v13
	s_or_b32 s0, vcc_lo, s0
	s_and_saveexec_b32 s1, s0
	s_cbranch_execz .LBB616_204
; %bb.185:
	s_mov_b32 s7, exec_lo
	v_cmp_le_u32_e32 vcc_lo, 0x200, v12
                                        ; implicit-def: $vgpr4_vgpr5
	v_cmpx_gt_u32_e32 0x200, v12
; %bb.186:
	v_lshlrev_b32_e32 v4, 3, v12
	ds_read_b64 v[4:5], v4
; %bb.187:
	s_or_b32 exec_lo, exec_lo, s7
	v_cmp_lt_u32_e64 s7, 0x3ff, v13
	s_mov_b32 s14, exec_lo
                                        ; implicit-def: $vgpr8_vgpr9
	v_cmpx_gt_u32_e32 0x400, v13
; %bb.188:
	v_lshlrev_b32_e32 v6, 3, v13
	ds_read_b64 v[8:9], v6
; %bb.189:
	s_or_b32 exec_lo, exec_lo, s14
	s_nor_b32 s14, vcc_lo, s7
	s_and_saveexec_b32 s0, s14
	s_cbranch_execz .LBB616_191
; %bb.190:
	s_waitcnt lgkmcnt(0)
	v_mul_hi_i32 v6, 0x66666667, v8
	v_mul_hi_i32 v7, 0x66666667, v4
	s_andn2_b32 s7, s7, exec_lo
	v_lshrrev_b32_e32 v10, 31, v6
	v_ashrrev_i32_e32 v6, 2, v6
	v_lshrrev_b32_e32 v11, 31, v7
	v_ashrrev_i32_e32 v7, 2, v7
	v_add_nc_u32_e32 v6, v6, v10
	v_add_nc_u32_e32 v7, v7, v11
	v_cmp_ge_i32_e32 vcc_lo, v6, v7
	s_and_b32 s14, vcc_lo, exec_lo
	s_or_b32 s7, s7, s14
.LBB616_191:
	s_or_b32 exec_lo, exec_lo, s0
	v_cndmask_b32_e64 v7, v13, v12, s7
	v_add_nc_u32_e64 v6, 0x200, -1
	s_mov_b32 s0, -1
	s_mov_b32 s14, -1
	s_mov_b32 s15, exec_lo
	v_add_nc_u32_e32 v7, 1, v7
	v_cndmask_b32_e64 v10, 0x3ff, v6, s7
	v_cndmask_b32_e64 v13, v7, v13, s7
	v_min_u32_e32 v10, v7, v10
	v_cndmask_b32_e64 v12, v12, v7, s7
	v_lshlrev_b32_e32 v10, 3, v10
	ds_read_b64 v[14:15], v10
	s_waitcnt lgkmcnt(0)
	v_cndmask_b32_e64 v7, v15, v9, s7
	v_cndmask_b32_e64 v10, v14, v8, s7
	;; [unrolled: 1-line block ×4, first 2 shown]
	v_cmpx_gt_u32_e32 0x400, v13
	s_cbranch_execz .LBB616_195
; %bb.192:
	s_mov_b32 s16, 0
	s_mov_b32 s14, exec_lo
	v_cmpx_gt_u32_e32 0x200, v12
	s_cbranch_execz .LBB616_194
; %bb.193:
	v_mul_hi_i32 v15, 0x66666667, v10
	v_mul_hi_i32 v16, 0x66666667, v14
	v_lshrrev_b32_e32 v17, 31, v15
	v_ashrrev_i32_e32 v15, 2, v15
	v_lshrrev_b32_e32 v18, 31, v16
	v_ashrrev_i32_e32 v16, 2, v16
	v_add_nc_u32_e32 v15, v15, v17
	v_add_nc_u32_e32 v16, v16, v18
	v_cmp_ge_i32_e32 vcc_lo, v15, v16
	s_and_b32 s16, vcc_lo, exec_lo
.LBB616_194:
	s_or_b32 exec_lo, exec_lo, s14
	s_orn2_b32 s14, s16, exec_lo
.LBB616_195:
	s_or_b32 exec_lo, exec_lo, s15
	v_cndmask_b32_e64 v15, v13, v12, s14
	v_cndmask_b32_e64 v16, 0x3ff, v6, s14
	s_mov_b32 s15, exec_lo
	v_add_nc_u32_e32 v15, 1, v15
	v_min_u32_e32 v16, v15, v16
	v_cndmask_b32_e64 v18, v15, v13, s14
	v_cndmask_b32_e64 v15, v12, v15, s14
	v_lshlrev_b32_e32 v16, 3, v16
	ds_read_b64 v[20:21], v16
	s_waitcnt lgkmcnt(0)
	v_cndmask_b32_e64 v16, v21, v7, s14
	v_cndmask_b32_e64 v17, v20, v10, s14
	;; [unrolled: 1-line block ×4, first 2 shown]
	v_cmpx_gt_u32_e32 0x400, v18
	s_cbranch_execz .LBB616_199
; %bb.196:
	s_mov_b32 s16, 0
	s_mov_b32 s0, exec_lo
	v_cmpx_gt_u32_e32 0x200, v15
	s_cbranch_execz .LBB616_198
; %bb.197:
	v_mul_hi_i32 v12, 0x66666667, v17
	v_mul_hi_i32 v13, 0x66666667, v20
	v_lshrrev_b32_e32 v21, 31, v12
	v_ashrrev_i32_e32 v12, 2, v12
	v_lshrrev_b32_e32 v22, 31, v13
	v_ashrrev_i32_e32 v13, 2, v13
	v_add_nc_u32_e32 v12, v12, v21
	v_add_nc_u32_e32 v13, v13, v22
	v_cmp_ge_i32_e32 vcc_lo, v12, v13
	s_and_b32 s16, vcc_lo, exec_lo
.LBB616_198:
	s_or_b32 exec_lo, exec_lo, s0
	s_orn2_b32 s0, s16, exec_lo
.LBB616_199:
	s_or_b32 exec_lo, exec_lo, s15
	v_cndmask_b32_e64 v12, v18, v15, s0
	v_cndmask_b32_e64 v6, 0x3ff, v6, s0
	;; [unrolled: 1-line block ×5, first 2 shown]
	v_add_nc_u32_e32 v21, 1, v12
	v_cndmask_b32_e64 v9, v16, v19, s0
	v_cndmask_b32_e64 v8, v17, v20, s0
	s_mov_b32 s7, exec_lo
	v_min_u32_e32 v6, v21, v6
	v_lshlrev_b32_e32 v6, 3, v6
	ds_read_b64 v[12:13], v6
	v_cndmask_b32_e64 v6, v10, v14, s14
	v_cndmask_b32_e64 v14, v21, v18, s0
	s_waitcnt lgkmcnt(0)
	v_cndmask_b32_e64 v11, v19, v13, s0
	v_cndmask_b32_e64 v10, v20, v12, s0
	v_cmpx_gt_u32_e32 0x400, v14
	s_cbranch_execz .LBB616_203
; %bb.200:
	v_cndmask_b32_e64 v14, v15, v21, s0
	v_cndmask_b32_e64 v13, v13, v16, s0
	;; [unrolled: 1-line block ×3, first 2 shown]
	s_mov_b32 s0, exec_lo
	v_cmpx_gt_u32_e32 0x200, v14
	s_cbranch_execz .LBB616_202
; %bb.201:
	v_mul_hi_i32 v14, 0x66666667, v12
	v_mul_hi_i32 v15, 0x66666667, v10
	v_lshrrev_b32_e32 v16, 31, v14
	v_ashrrev_i32_e32 v14, 2, v14
	v_lshrrev_b32_e32 v17, 31, v15
	v_ashrrev_i32_e32 v15, 2, v15
	v_add_nc_u32_e32 v14, v14, v16
	v_add_nc_u32_e32 v15, v15, v17
	v_cmp_lt_i32_e32 vcc_lo, v14, v15
	v_cndmask_b32_e32 v13, v11, v13, vcc_lo
	v_cndmask_b32_e32 v12, v10, v12, vcc_lo
.LBB616_202:
	s_or_b32 exec_lo, exec_lo, s0
	v_mov_b32_e32 v10, v12
	v_mov_b32_e32 v11, v13
.LBB616_203:
	s_or_b32 exec_lo, exec_lo, s7
.LBB616_204:
	s_or_b32 exec_lo, exec_lo, s1
	s_barrier
	buffer_gl0_inv
	s_barrier
	buffer_gl0_inv
	ds_write2_b64 v39, v[4:5], v[6:7] offset1:1
	ds_write2_b64 v39, v[8:9], v[10:11] offset0:2 offset1:3
	s_waitcnt lgkmcnt(0)
	s_barrier
	buffer_gl0_inv
	ds_read_b64 v[6:7], v35
	ds_read_b64 v[8:9], v36 offset:2048
	ds_read_b64 v[10:11], v37 offset:4096
	;; [unrolled: 1-line block ×3, first 2 shown]
	v_add_co_u32 v12, s0, s11, v28
	v_add_co_ci_u32_e64 v13, null, s13, 0, s0
	v_add_co_u32 v14, vcc_lo, 0x800, v12
	v_add_co_ci_u32_e64 v15, null, 0, v13, vcc_lo
	v_add_co_u32 v16, vcc_lo, 0x1000, v12
	v_add_co_ci_u32_e64 v17, null, 0, v13, vcc_lo
	s_mov_b32 s14, -1
	s_waitcnt lgkmcnt(3)
	flat_store_dwordx2 v[12:13], v[6:7]
	s_waitcnt lgkmcnt(3)
	flat_store_dwordx2 v[14:15], v[8:9]
	;; [unrolled: 2-line block ×3, first 2 shown]
	s_branch .LBB616_343
.LBB616_205:
	s_mov_b32 s14, s9
                                        ; implicit-def: $vgpr4_vgpr5
	s_cbranch_execz .LBB616_343
; %bb.206:
	s_waitcnt lgkmcnt(3)
	v_mov_b32_e32 v4, 0
	s_lshl_b64 s[0:1], s[8:9], 10
	s_sub_i32 s8, s12, s0
	v_cmp_gt_u32_e32 vcc_lo, s8, v0
	v_mov_b32_e32 v5, v4
	v_mov_b32_e32 v6, v4
	;; [unrolled: 1-line block ×7, first 2 shown]
	s_and_saveexec_b32 s0, vcc_lo
	s_cbranch_execnz .LBB616_346
; %bb.207:
	s_or_b32 exec_lo, exec_lo, s0
	v_cmp_gt_u32_e64 s0, s8, v34
	s_and_saveexec_b32 s1, s0
	s_cbranch_execnz .LBB616_347
.LBB616_208:
	s_or_b32 exec_lo, exec_lo, s1
	v_cmp_gt_u32_e64 s1, s8, v33
	s_and_saveexec_b32 s7, s1
	s_cbranch_execnz .LBB616_348
.LBB616_209:
	s_or_b32 exec_lo, exec_lo, s7
	v_cmp_gt_u32_e64 s14, s8, v32
	s_and_saveexec_b32 s7, s14
	s_cbranch_execz .LBB616_211
.LBB616_210:
	v_lshlrev_b32_e32 v1, 3, v32
	v_add_co_u32 v10, s4, s4, v1
	v_add_co_ci_u32_e64 v11, null, s5, 0, s4
	flat_load_dwordx2 v[10:11], v[10:11]
.LBB616_211:
	s_or_b32 exec_lo, exec_lo, s7
	v_lshrrev_b32_e32 v12, 2, v33
	v_lshrrev_b32_e32 v13, 2, v32
	;; [unrolled: 1-line block ×3, first 2 shown]
	v_and_b32_e32 v14, 56, v31
	v_and_b32_e32 v15, 0xf8, v12
	;; [unrolled: 1-line block ×4, first 2 shown]
	v_add_nc_u32_e32 v12, v14, v28
	v_add_nc_u32_e32 v14, v15, v28
	;; [unrolled: 1-line block ×5, first 2 shown]
	ds_write_b64 v12, v[4:5]
	s_waitcnt vmcnt(0) lgkmcnt(1)
	ds_write_b64 v13, v[6:7] offset:2048
	ds_write_b64 v14, v[8:9] offset:4096
	;; [unrolled: 1-line block ×3, first 2 shown]
	s_waitcnt lgkmcnt(0)
	s_waitcnt_vscnt null, 0x0
	s_barrier
	buffer_gl0_inv
	ds_read2_b64 v[4:7], v16 offset1:1
	ds_read2_b64 v[8:11], v16 offset0:2 offset1:3
	s_waitcnt lgkmcnt(0)
	s_barrier
	buffer_gl0_inv
	s_load_dword s4, s[2:3], 0xc
	v_mov_b32_e32 v1, 0
	s_waitcnt lgkmcnt(0)
	s_lshr_b32 s4, s4, 16
	s_cmp_lt_u32 s6, s10
	v_mad_u32_u24 v2, v2, s4, v3
	s_cselect_b32 s5, 12, 18
	s_add_u32 s2, s2, s5
	s_addc_u32 s3, s3, 0
	global_load_ushort v1, v1, s[2:3]
	s_waitcnt vmcnt(0)
	v_mul_lo_u32 v1, v2, v1
	v_add_lshl_u32 v1, v1, v0, 2
	v_sub_nc_u32_e64 v2, s8, v1 clamp
	v_cmp_lt_u32_e64 s2, 1, v2
	s_and_saveexec_b32 s4, s2
	s_cbranch_execz .LBB616_215
; %bb.212:
	v_mul_hi_i32 v3, 0x66666667, v6
	v_mul_hi_i32 v17, 0x66666667, v4
	s_mov_b32 s5, exec_lo
	v_lshrrev_b32_e32 v18, 31, v3
	v_ashrrev_i32_e32 v3, 2, v3
	v_lshrrev_b32_e32 v19, 31, v17
	v_ashrrev_i32_e32 v17, 2, v17
	v_add_nc_u32_e32 v3, v3, v18
	v_add_nc_u32_e32 v17, v17, v19
	v_cmpx_lt_i32_e64 v3, v17
	s_cbranch_execz .LBB616_214
; %bb.213:
	v_mov_b32_e32 v17, v6
	v_mov_b32_e32 v18, v7
	;; [unrolled: 1-line block ×16, first 2 shown]
.LBB616_214:
	s_or_b32 exec_lo, exec_lo, s5
.LBB616_215:
	s_or_b32 exec_lo, exec_lo, s4
	v_mul_hi_i32 v3, 0x66666667, v10
	v_mul_hi_i32 v17, 0x66666667, v8
	v_cmp_lt_u32_e64 s3, 3, v2
	v_cmp_lt_u32_e64 s5, 2, v2
	v_and_b32_e32 v1, 0xffffff80, v1
	v_lshrrev_b32_e32 v18, 31, v3
	v_ashrrev_i32_e32 v3, 2, v3
	v_lshrrev_b32_e32 v19, 31, v17
	v_ashrrev_i32_e32 v17, 2, v17
	v_add_nc_u32_e32 v3, v3, v18
	v_mul_hi_i32 v18, 0x66666667, v6
	v_add_nc_u32_e32 v17, v17, v19
	v_cmp_lt_i32_e64 s4, v3, v17
	v_lshrrev_b32_e32 v20, 31, v18
	v_ashrrev_i32_e32 v18, 2, v18
	s_and_b32 s4, s3, s4
	v_cndmask_b32_e64 v17, v8, v10, s4
	v_add_nc_u32_e32 v18, v18, v20
	v_cndmask_b32_e64 v3, v11, v9, s4
	v_cndmask_b32_e64 v2, v9, v11, s4
	;; [unrolled: 1-line block ×3, first 2 shown]
	v_mul_hi_i32 v19, 0x66666667, v17
	v_mul_hi_i32 v8, 0x66666667, v4
	;; [unrolled: 1-line block ×3, first 2 shown]
	v_lshrrev_b32_e32 v21, 31, v19
	v_ashrrev_i32_e32 v19, 2, v19
	v_lshrrev_b32_e32 v20, 31, v11
	v_ashrrev_i32_e32 v11, 2, v11
	v_add_nc_u32_e32 v19, v19, v21
	v_add_nc_u32_e32 v11, v11, v20
	v_cmp_lt_i32_e64 s6, v19, v18
	v_lshrrev_b32_e32 v18, 31, v8
	v_ashrrev_i32_e32 v8, 2, v8
	v_mbcnt_lo_u32_b32 v19, -1, 0
	s_and_b32 s4, s5, s6
	v_cndmask_b32_e64 v23, v17, v6, s4
	v_cndmask_b32_e64 v25, v6, v17, s4
	v_add_nc_u32_e32 v8, v8, v18
	v_cndmask_b32_e64 v10, v2, v7, s4
	v_sub_nc_u32_e64 v18, s8, v1 clamp
	v_mul_hi_i32 v6, 0x66666667, v23
	v_mul_hi_i32 v17, 0x66666667, v25
	v_cndmask_b32_e64 v7, v7, v2, s4
	v_lshrrev_b32_e32 v21, 31, v6
	v_ashrrev_i32_e32 v6, 2, v6
	v_lshrrev_b32_e32 v22, 31, v17
	v_ashrrev_i32_e32 v24, 2, v17
	v_lshlrev_b32_e32 v17, 2, v19
	v_lshlrev_b32_e32 v19, 5, v19
	v_add_nc_u32_e32 v6, v6, v21
	v_add_nc_u32_e32 v20, v24, v22
	v_and_b32_e32 v22, 4, v17
	v_cmp_lt_i32_e64 s6, v11, v6
	v_or_b32_e32 v11, 4, v17
	v_cmp_lt_i32_e64 s7, v20, v8
	s_and_b32 s3, s3, s6
	v_min_u32_e32 v20, v18, v11
	s_and_b32 s2, s2, s7
	v_cndmask_b32_e64 v26, v23, v9, s3
	v_cndmask_b32_e64 v27, v25, v4, s2
	v_lshlrev_b32_e32 v11, 3, v1
	v_add_nc_u32_e32 v24, 4, v20
	v_and_b32_e32 v1, 0x78, v17
	v_mul_hi_i32 v2, 0x66666667, v26
	v_mul_hi_i32 v21, 0x66666667, v27
	v_cndmask_b32_e64 v6, v3, v10, s3
	v_cndmask_b32_e64 v34, v7, v5, s2
	v_cndmask_b32_e64 v3, v10, v3, s3
	v_cndmask_b32_e64 v8, v5, v7, s2
	v_cndmask_b32_e64 v7, v4, v25, s2
	v_cndmask_b32_e64 v5, v9, v23, s3
	v_lshrrev_b32_e32 v30, 31, v2
	v_ashrrev_i32_e32 v31, 2, v2
	v_lshrrev_b32_e32 v32, 31, v21
	v_ashrrev_i32_e32 v33, 2, v21
	v_min_u32_e32 v21, v18, v24
	v_min_u32_e32 v2, v18, v22
	v_add_nc_u32_e32 v30, v31, v30
	v_sub_nc_u32_e32 v22, v20, v1
	v_add_nc_u32_e32 v31, v33, v32
	v_sub_nc_u32_e32 v33, v21, v20
	v_or_b32_e32 v32, v11, v19
	v_lshl_or_b32 v23, v1, 3, v11
	v_min_u32_e32 v24, v2, v22
	v_cmp_lt_i32_e64 s4, v30, v31
	v_sub_nc_u32_e64 v22, v2, v33 clamp
	s_mov_b32 s3, exec_lo
	s_and_b32 s2, s5, s4
	v_cndmask_b32_e64 v4, v3, v34, s2
	v_cndmask_b32_e64 v10, v34, v3, s2
	;; [unrolled: 1-line block ×4, first 2 shown]
	ds_write_b128 v32, v[7:10]
	ds_write_b128 v32, v[3:6] offset:16
	; wave barrier
	v_cmpx_lt_u32_e64 v22, v24
	s_cbranch_execz .LBB616_219
; %bb.216:
	v_lshlrev_b32_e32 v25, 3, v20
	v_lshlrev_b32_e32 v26, 3, v2
	s_mov_b32 s4, 0
	v_add3_u32 v25, v11, v25, v26
	s_inst_prefetch 0x1
	.p2align	6
.LBB616_217:                            ; =>This Inner Loop Header: Depth=1
	v_add_nc_u32_e32 v26, v24, v22
	v_lshrrev_b32_e32 v26, 1, v26
	v_not_b32_e32 v27, v26
	v_lshl_add_u32 v30, v26, 3, v23
	v_lshl_add_u32 v27, v27, 3, v25
	ds_read_b32 v30, v30
	ds_read_b32 v27, v27
	s_waitcnt lgkmcnt(1)
	v_mul_hi_i32 v30, 0x66666667, v30
	s_waitcnt lgkmcnt(0)
	v_mul_hi_i32 v27, 0x66666667, v27
	v_lshrrev_b32_e32 v31, 31, v30
	v_ashrrev_i32_e32 v30, 2, v30
	v_lshrrev_b32_e32 v32, 31, v27
	v_ashrrev_i32_e32 v27, 2, v27
	v_add_nc_u32_e32 v30, v30, v31
	v_add_nc_u32_e32 v31, 1, v26
	;; [unrolled: 1-line block ×3, first 2 shown]
	v_cmp_lt_i32_e64 s2, v27, v30
	v_cndmask_b32_e64 v24, v24, v26, s2
	v_cndmask_b32_e64 v22, v31, v22, s2
	v_cmp_ge_u32_e64 s2, v22, v24
	s_or_b32 s4, s2, s4
	s_andn2_b32 exec_lo, exec_lo, s4
	s_cbranch_execnz .LBB616_217
; %bb.218:
	s_inst_prefetch 0x2
	s_or_b32 exec_lo, exec_lo, s4
.LBB616_219:
	s_or_b32 exec_lo, exec_lo, s3
	v_add_nc_u32_e32 v2, v20, v2
	v_add_nc_u32_e32 v24, v22, v1
	v_sub_nc_u32_e32 v25, v2, v22
	v_cmp_le_u32_e64 s2, v24, v20
	v_cmp_le_u32_e64 s3, v25, v21
	s_or_b32 s2, s2, s3
	s_and_saveexec_b32 s4, s2
	s_cbranch_execz .LBB616_239
; %bb.220:
	v_cmp_ge_u32_e64 s2, v24, v20
	s_mov_b32 s5, exec_lo
                                        ; implicit-def: $vgpr1_vgpr2
	v_cmpx_lt_u32_e64 v24, v20
; %bb.221:
	v_lshl_add_u32 v1, v22, 3, v23
	ds_read_b64 v[1:2], v1
; %bb.222:
	s_or_b32 exec_lo, exec_lo, s5
	v_cmp_ge_u32_e64 s5, v25, v21
	s_mov_b32 s6, exec_lo
                                        ; implicit-def: $vgpr3_vgpr4
	v_cmpx_lt_u32_e64 v25, v21
; %bb.223:
	v_lshl_add_u32 v3, v25, 3, v11
	ds_read_b64 v[3:4], v3
; %bb.224:
	s_or_b32 exec_lo, exec_lo, s6
	s_nor_b32 s2, s2, s5
	s_and_saveexec_b32 s3, s2
	s_cbranch_execz .LBB616_226
; %bb.225:
	s_waitcnt lgkmcnt(0)
	v_mul_hi_i32 v5, 0x66666667, v3
	v_mul_hi_i32 v6, 0x66666667, v1
	s_andn2_b32 s5, s5, exec_lo
	v_lshrrev_b32_e32 v7, 31, v5
	v_ashrrev_i32_e32 v5, 2, v5
	v_lshrrev_b32_e32 v8, 31, v6
	v_ashrrev_i32_e32 v6, 2, v6
	v_add_nc_u32_e32 v5, v5, v7
	v_add_nc_u32_e32 v6, v6, v8
	v_cmp_ge_i32_e64 s2, v5, v6
	s_and_b32 s2, s2, exec_lo
	s_or_b32 s5, s5, s2
.LBB616_226:
	s_or_b32 exec_lo, exec_lo, s3
	v_cndmask_b32_e64 v5, v25, v24, s5
	v_cndmask_b32_e64 v6, v21, v20, s5
	s_mov_b32 s3, -1
	s_mov_b32 s6, -1
	s_mov_b32 s7, exec_lo
	v_add_nc_u32_e32 v9, 1, v5
	v_add_nc_u32_e32 v5, -1, v6
	v_cndmask_b32_e64 v6, v24, v9, s5
	v_min_u32_e32 v5, v9, v5
	v_lshl_add_u32 v5, v5, 3, v11
	ds_read_b64 v[7:8], v5
	v_cndmask_b32_e64 v5, v9, v25, s5
	s_waitcnt lgkmcnt(0)
	v_cndmask_b32_e64 v9, v8, v4, s5
	v_cndmask_b32_e64 v22, v7, v3, s5
	;; [unrolled: 1-line block ×4, first 2 shown]
	v_cmpx_lt_u32_e64 v5, v21
	s_cbranch_execz .LBB616_230
; %bb.227:
	s_mov_b32 s9, 0
	s_mov_b32 s6, exec_lo
	v_cmpx_lt_u32_e64 v6, v20
	s_cbranch_execz .LBB616_229
; %bb.228:
	v_mul_hi_i32 v7, 0x66666667, v22
	v_mul_hi_i32 v8, 0x66666667, v23
	v_lshrrev_b32_e32 v24, 31, v7
	v_ashrrev_i32_e32 v7, 2, v7
	v_lshrrev_b32_e32 v25, 31, v8
	v_ashrrev_i32_e32 v8, 2, v8
	v_add_nc_u32_e32 v7, v7, v24
	v_add_nc_u32_e32 v8, v8, v25
	v_cmp_ge_i32_e64 s2, v7, v8
	s_and_b32 s9, s2, exec_lo
.LBB616_229:
	s_or_b32 exec_lo, exec_lo, s6
	s_orn2_b32 s6, s9, exec_lo
.LBB616_230:
	s_or_b32 exec_lo, exec_lo, s7
	v_cndmask_b32_e64 v7, v5, v6, s6
	v_cndmask_b32_e64 v8, v21, v20, s6
	s_mov_b32 s7, exec_lo
	v_add_nc_u32_e32 v24, 1, v7
	v_add_nc_u32_e32 v7, -1, v8
	v_cndmask_b32_e64 v5, v24, v5, s6
	v_min_u32_e32 v7, v24, v7
	v_cndmask_b32_e64 v30, v6, v24, s6
	v_lshl_add_u32 v7, v7, 3, v11
	ds_read_b64 v[7:8], v7
	s_waitcnt lgkmcnt(0)
	v_cndmask_b32_e64 v24, v8, v9, s6
	v_cndmask_b32_e64 v25, v7, v22, s6
	;; [unrolled: 1-line block ×4, first 2 shown]
	v_cmpx_lt_u32_e64 v5, v21
	s_cbranch_execz .LBB616_234
; %bb.231:
	s_mov_b32 s9, 0
	s_mov_b32 s3, exec_lo
	v_cmpx_lt_u32_e64 v30, v20
	s_cbranch_execz .LBB616_233
; %bb.232:
	v_mul_hi_i32 v6, 0x66666667, v25
	v_mul_hi_i32 v7, 0x66666667, v27
	v_lshrrev_b32_e32 v8, 31, v6
	v_ashrrev_i32_e32 v6, 2, v6
	v_lshrrev_b32_e32 v31, 31, v7
	v_ashrrev_i32_e32 v7, 2, v7
	v_add_nc_u32_e32 v6, v6, v8
	v_add_nc_u32_e32 v7, v7, v31
	v_cmp_ge_i32_e64 s2, v6, v7
	s_and_b32 s9, s2, exec_lo
.LBB616_233:
	s_or_b32 exec_lo, exec_lo, s3
	s_orn2_b32 s3, s9, exec_lo
.LBB616_234:
	s_or_b32 exec_lo, exec_lo, s7
	v_cndmask_b32_e64 v6, v5, v30, s3
	v_cndmask_b32_e64 v7, v21, v20, s3
	s_mov_b32 s7, exec_lo
	v_add_nc_u32_e32 v31, 1, v6
	v_add_nc_u32_e32 v6, -1, v7
	v_cndmask_b32_e64 v32, v31, v5, s3
	v_min_u32_e32 v6, v31, v6
	v_lshl_add_u32 v6, v6, 3, v11
	ds_read_b64 v[7:8], v6
	s_waitcnt lgkmcnt(0)
	v_cndmask_b32_e64 v6, v26, v8, s3
	v_cndmask_b32_e64 v5, v27, v7, s3
	v_cmpx_lt_u32_e64 v32, v21
	s_cbranch_execz .LBB616_238
; %bb.235:
	v_cndmask_b32_e64 v21, v30, v31, s3
	v_cndmask_b32_e64 v8, v8, v24, s3
	;; [unrolled: 1-line block ×3, first 2 shown]
	s_mov_b32 s9, exec_lo
	v_cmpx_lt_u32_e64 v21, v20
	s_cbranch_execz .LBB616_237
; %bb.236:
	v_mul_hi_i32 v20, 0x66666667, v7
	v_mul_hi_i32 v21, 0x66666667, v5
	v_lshrrev_b32_e32 v30, 31, v20
	v_ashrrev_i32_e32 v20, 2, v20
	v_lshrrev_b32_e32 v31, 31, v21
	v_ashrrev_i32_e32 v21, 2, v21
	v_add_nc_u32_e32 v20, v20, v30
	v_add_nc_u32_e32 v21, v21, v31
	v_cmp_lt_i32_e64 s2, v20, v21
	v_cndmask_b32_e64 v8, v6, v8, s2
	v_cndmask_b32_e64 v7, v5, v7, s2
.LBB616_237:
	s_or_b32 exec_lo, exec_lo, s9
	v_mov_b32_e32 v5, v7
	v_mov_b32_e32 v6, v8
.LBB616_238:
	s_or_b32 exec_lo, exec_lo, s7
	v_cndmask_b32_e64 v8, v4, v2, s5
	v_cndmask_b32_e64 v7, v3, v1, s5
	;; [unrolled: 1-line block ×6, first 2 shown]
.LBB616_239:
	s_or_b32 exec_lo, exec_lo, s4
	v_and_b32_e32 v1, 0x70, v17
	v_and_b32_e32 v22, 12, v17
	v_add_nc_u32_e32 v19, v11, v19
	s_mov_b32 s3, exec_lo
	v_or_b32_e32 v2, 8, v1
	; wave barrier
	ds_write_b128 v19, v[7:10]
	ds_write_b128 v19, v[3:6] offset:16
	; wave barrier
	v_min_u32_e32 v20, v18, v2
	v_add_nc_u32_e32 v2, 8, v20
	v_sub_nc_u32_e32 v23, v20, v1
	v_min_u32_e32 v21, v18, v2
	v_min_u32_e32 v2, v18, v22
	v_sub_nc_u32_e32 v22, v21, v20
	v_min_u32_e32 v24, v2, v23
	v_lshl_add_u32 v23, v1, 3, v11
	v_sub_nc_u32_e64 v22, v2, v22 clamp
	v_cmpx_lt_u32_e64 v22, v24
	s_cbranch_execz .LBB616_243
; %bb.240:
	v_lshlrev_b32_e32 v25, 3, v20
	v_lshlrev_b32_e32 v26, 3, v2
	s_mov_b32 s4, 0
	v_add3_u32 v25, v11, v25, v26
	s_inst_prefetch 0x1
	.p2align	6
.LBB616_241:                            ; =>This Inner Loop Header: Depth=1
	v_add_nc_u32_e32 v26, v24, v22
	v_lshrrev_b32_e32 v26, 1, v26
	v_not_b32_e32 v27, v26
	v_lshl_add_u32 v30, v26, 3, v23
	v_lshl_add_u32 v27, v27, 3, v25
	ds_read_b32 v30, v30
	ds_read_b32 v27, v27
	s_waitcnt lgkmcnt(1)
	v_mul_hi_i32 v30, 0x66666667, v30
	s_waitcnt lgkmcnt(0)
	v_mul_hi_i32 v27, 0x66666667, v27
	v_lshrrev_b32_e32 v31, 31, v30
	v_ashrrev_i32_e32 v30, 2, v30
	v_lshrrev_b32_e32 v32, 31, v27
	v_ashrrev_i32_e32 v27, 2, v27
	v_add_nc_u32_e32 v30, v30, v31
	v_add_nc_u32_e32 v31, 1, v26
	;; [unrolled: 1-line block ×3, first 2 shown]
	v_cmp_lt_i32_e64 s2, v27, v30
	v_cndmask_b32_e64 v24, v24, v26, s2
	v_cndmask_b32_e64 v22, v31, v22, s2
	v_cmp_ge_u32_e64 s2, v22, v24
	s_or_b32 s4, s2, s4
	s_andn2_b32 exec_lo, exec_lo, s4
	s_cbranch_execnz .LBB616_241
; %bb.242:
	s_inst_prefetch 0x2
	s_or_b32 exec_lo, exec_lo, s4
.LBB616_243:
	s_or_b32 exec_lo, exec_lo, s3
	v_add_nc_u32_e32 v2, v20, v2
	v_add_nc_u32_e32 v24, v22, v1
	v_sub_nc_u32_e32 v25, v2, v22
	v_cmp_le_u32_e64 s2, v24, v20
	v_cmp_le_u32_e64 s3, v25, v21
	s_or_b32 s2, s2, s3
	s_and_saveexec_b32 s4, s2
	s_cbranch_execz .LBB616_263
; %bb.244:
	v_cmp_ge_u32_e64 s2, v24, v20
	s_mov_b32 s5, exec_lo
                                        ; implicit-def: $vgpr1_vgpr2
	v_cmpx_lt_u32_e64 v24, v20
; %bb.245:
	v_lshl_add_u32 v1, v22, 3, v23
	ds_read_b64 v[1:2], v1
; %bb.246:
	s_or_b32 exec_lo, exec_lo, s5
	v_cmp_ge_u32_e64 s5, v25, v21
	s_mov_b32 s6, exec_lo
                                        ; implicit-def: $vgpr3_vgpr4
	v_cmpx_lt_u32_e64 v25, v21
; %bb.247:
	v_lshl_add_u32 v3, v25, 3, v11
	ds_read_b64 v[3:4], v3
; %bb.248:
	s_or_b32 exec_lo, exec_lo, s6
	s_nor_b32 s2, s2, s5
	s_and_saveexec_b32 s3, s2
	s_cbranch_execz .LBB616_250
; %bb.249:
	s_waitcnt lgkmcnt(0)
	v_mul_hi_i32 v5, 0x66666667, v3
	v_mul_hi_i32 v6, 0x66666667, v1
	s_andn2_b32 s5, s5, exec_lo
	v_lshrrev_b32_e32 v7, 31, v5
	v_ashrrev_i32_e32 v5, 2, v5
	v_lshrrev_b32_e32 v8, 31, v6
	v_ashrrev_i32_e32 v6, 2, v6
	v_add_nc_u32_e32 v5, v5, v7
	v_add_nc_u32_e32 v6, v6, v8
	v_cmp_ge_i32_e64 s2, v5, v6
	s_and_b32 s2, s2, exec_lo
	s_or_b32 s5, s5, s2
.LBB616_250:
	s_or_b32 exec_lo, exec_lo, s3
	v_cndmask_b32_e64 v5, v25, v24, s5
	v_cndmask_b32_e64 v6, v21, v20, s5
	s_mov_b32 s3, -1
	s_mov_b32 s6, -1
	s_mov_b32 s7, exec_lo
	v_add_nc_u32_e32 v9, 1, v5
	v_add_nc_u32_e32 v5, -1, v6
	v_cndmask_b32_e64 v6, v24, v9, s5
	v_min_u32_e32 v5, v9, v5
	v_lshl_add_u32 v5, v5, 3, v11
	ds_read_b64 v[7:8], v5
	v_cndmask_b32_e64 v5, v9, v25, s5
	s_waitcnt lgkmcnt(0)
	v_cndmask_b32_e64 v9, v8, v4, s5
	v_cndmask_b32_e64 v22, v7, v3, s5
	;; [unrolled: 1-line block ×4, first 2 shown]
	v_cmpx_lt_u32_e64 v5, v21
	s_cbranch_execz .LBB616_254
; %bb.251:
	s_mov_b32 s9, 0
	s_mov_b32 s6, exec_lo
	v_cmpx_lt_u32_e64 v6, v20
	s_cbranch_execz .LBB616_253
; %bb.252:
	v_mul_hi_i32 v7, 0x66666667, v22
	v_mul_hi_i32 v8, 0x66666667, v23
	v_lshrrev_b32_e32 v24, 31, v7
	v_ashrrev_i32_e32 v7, 2, v7
	v_lshrrev_b32_e32 v25, 31, v8
	v_ashrrev_i32_e32 v8, 2, v8
	v_add_nc_u32_e32 v7, v7, v24
	v_add_nc_u32_e32 v8, v8, v25
	v_cmp_ge_i32_e64 s2, v7, v8
	s_and_b32 s9, s2, exec_lo
.LBB616_253:
	s_or_b32 exec_lo, exec_lo, s6
	s_orn2_b32 s6, s9, exec_lo
.LBB616_254:
	s_or_b32 exec_lo, exec_lo, s7
	v_cndmask_b32_e64 v7, v5, v6, s6
	v_cndmask_b32_e64 v8, v21, v20, s6
	s_mov_b32 s7, exec_lo
	v_add_nc_u32_e32 v24, 1, v7
	v_add_nc_u32_e32 v7, -1, v8
	v_cndmask_b32_e64 v5, v24, v5, s6
	v_min_u32_e32 v7, v24, v7
	v_cndmask_b32_e64 v30, v6, v24, s6
	v_lshl_add_u32 v7, v7, 3, v11
	ds_read_b64 v[7:8], v7
	s_waitcnt lgkmcnt(0)
	v_cndmask_b32_e64 v24, v8, v9, s6
	v_cndmask_b32_e64 v25, v7, v22, s6
	;; [unrolled: 1-line block ×4, first 2 shown]
	v_cmpx_lt_u32_e64 v5, v21
	s_cbranch_execz .LBB616_258
; %bb.255:
	s_mov_b32 s9, 0
	s_mov_b32 s3, exec_lo
	v_cmpx_lt_u32_e64 v30, v20
	s_cbranch_execz .LBB616_257
; %bb.256:
	v_mul_hi_i32 v6, 0x66666667, v25
	v_mul_hi_i32 v7, 0x66666667, v27
	v_lshrrev_b32_e32 v8, 31, v6
	v_ashrrev_i32_e32 v6, 2, v6
	v_lshrrev_b32_e32 v31, 31, v7
	v_ashrrev_i32_e32 v7, 2, v7
	v_add_nc_u32_e32 v6, v6, v8
	v_add_nc_u32_e32 v7, v7, v31
	v_cmp_ge_i32_e64 s2, v6, v7
	s_and_b32 s9, s2, exec_lo
.LBB616_257:
	s_or_b32 exec_lo, exec_lo, s3
	s_orn2_b32 s3, s9, exec_lo
.LBB616_258:
	s_or_b32 exec_lo, exec_lo, s7
	v_cndmask_b32_e64 v6, v5, v30, s3
	v_cndmask_b32_e64 v7, v21, v20, s3
	s_mov_b32 s7, exec_lo
	v_add_nc_u32_e32 v31, 1, v6
	v_add_nc_u32_e32 v6, -1, v7
	v_cndmask_b32_e64 v32, v31, v5, s3
	v_min_u32_e32 v6, v31, v6
	v_lshl_add_u32 v6, v6, 3, v11
	ds_read_b64 v[7:8], v6
	s_waitcnt lgkmcnt(0)
	v_cndmask_b32_e64 v6, v26, v8, s3
	v_cndmask_b32_e64 v5, v27, v7, s3
	v_cmpx_lt_u32_e64 v32, v21
	s_cbranch_execz .LBB616_262
; %bb.259:
	v_cndmask_b32_e64 v21, v30, v31, s3
	v_cndmask_b32_e64 v8, v8, v24, s3
	;; [unrolled: 1-line block ×3, first 2 shown]
	s_mov_b32 s9, exec_lo
	v_cmpx_lt_u32_e64 v21, v20
	s_cbranch_execz .LBB616_261
; %bb.260:
	v_mul_hi_i32 v20, 0x66666667, v7
	v_mul_hi_i32 v21, 0x66666667, v5
	v_lshrrev_b32_e32 v30, 31, v20
	v_ashrrev_i32_e32 v20, 2, v20
	v_lshrrev_b32_e32 v31, 31, v21
	v_ashrrev_i32_e32 v21, 2, v21
	v_add_nc_u32_e32 v20, v20, v30
	v_add_nc_u32_e32 v21, v21, v31
	v_cmp_lt_i32_e64 s2, v20, v21
	v_cndmask_b32_e64 v8, v6, v8, s2
	v_cndmask_b32_e64 v7, v5, v7, s2
.LBB616_261:
	s_or_b32 exec_lo, exec_lo, s9
	v_mov_b32_e32 v5, v7
	v_mov_b32_e32 v6, v8
.LBB616_262:
	s_or_b32 exec_lo, exec_lo, s7
	v_cndmask_b32_e64 v8, v4, v2, s5
	v_cndmask_b32_e64 v7, v3, v1, s5
	;; [unrolled: 1-line block ×6, first 2 shown]
.LBB616_263:
	s_or_b32 exec_lo, exec_lo, s4
	v_and_b32_e32 v1, 0x60, v17
	v_and_b32_e32 v22, 28, v17
	s_mov_b32 s3, exec_lo
	; wave barrier
	v_or_b32_e32 v2, 16, v1
	ds_write_b128 v19, v[7:10]
	ds_write_b128 v19, v[3:6] offset:16
	; wave barrier
	v_min_u32_e32 v20, v18, v2
	v_add_nc_u32_e32 v2, 16, v20
	v_sub_nc_u32_e32 v23, v20, v1
	v_min_u32_e32 v21, v18, v2
	v_min_u32_e32 v2, v18, v22
	v_sub_nc_u32_e32 v22, v21, v20
	v_min_u32_e32 v24, v2, v23
	v_lshl_add_u32 v23, v1, 3, v11
	v_sub_nc_u32_e64 v22, v2, v22 clamp
	v_cmpx_lt_u32_e64 v22, v24
	s_cbranch_execz .LBB616_267
; %bb.264:
	v_lshlrev_b32_e32 v25, 3, v20
	v_lshlrev_b32_e32 v26, 3, v2
	s_mov_b32 s4, 0
	v_add3_u32 v25, v11, v25, v26
	s_inst_prefetch 0x1
	.p2align	6
.LBB616_265:                            ; =>This Inner Loop Header: Depth=1
	v_add_nc_u32_e32 v26, v24, v22
	v_lshrrev_b32_e32 v26, 1, v26
	v_not_b32_e32 v27, v26
	v_lshl_add_u32 v30, v26, 3, v23
	v_lshl_add_u32 v27, v27, 3, v25
	ds_read_b32 v30, v30
	ds_read_b32 v27, v27
	s_waitcnt lgkmcnt(1)
	v_mul_hi_i32 v30, 0x66666667, v30
	s_waitcnt lgkmcnt(0)
	v_mul_hi_i32 v27, 0x66666667, v27
	v_lshrrev_b32_e32 v31, 31, v30
	v_ashrrev_i32_e32 v30, 2, v30
	v_lshrrev_b32_e32 v32, 31, v27
	v_ashrrev_i32_e32 v27, 2, v27
	v_add_nc_u32_e32 v30, v30, v31
	v_add_nc_u32_e32 v31, 1, v26
	;; [unrolled: 1-line block ×3, first 2 shown]
	v_cmp_lt_i32_e64 s2, v27, v30
	v_cndmask_b32_e64 v24, v24, v26, s2
	v_cndmask_b32_e64 v22, v31, v22, s2
	v_cmp_ge_u32_e64 s2, v22, v24
	s_or_b32 s4, s2, s4
	s_andn2_b32 exec_lo, exec_lo, s4
	s_cbranch_execnz .LBB616_265
; %bb.266:
	s_inst_prefetch 0x2
	s_or_b32 exec_lo, exec_lo, s4
.LBB616_267:
	s_or_b32 exec_lo, exec_lo, s3
	v_add_nc_u32_e32 v2, v20, v2
	v_add_nc_u32_e32 v24, v22, v1
	v_sub_nc_u32_e32 v25, v2, v22
	v_cmp_le_u32_e64 s2, v24, v20
	v_cmp_le_u32_e64 s3, v25, v21
	s_or_b32 s2, s2, s3
	s_and_saveexec_b32 s4, s2
	s_cbranch_execz .LBB616_287
; %bb.268:
	v_cmp_ge_u32_e64 s2, v24, v20
	s_mov_b32 s5, exec_lo
                                        ; implicit-def: $vgpr1_vgpr2
	v_cmpx_lt_u32_e64 v24, v20
; %bb.269:
	v_lshl_add_u32 v1, v22, 3, v23
	ds_read_b64 v[1:2], v1
; %bb.270:
	s_or_b32 exec_lo, exec_lo, s5
	v_cmp_ge_u32_e64 s5, v25, v21
	s_mov_b32 s6, exec_lo
                                        ; implicit-def: $vgpr3_vgpr4
	v_cmpx_lt_u32_e64 v25, v21
; %bb.271:
	v_lshl_add_u32 v3, v25, 3, v11
	ds_read_b64 v[3:4], v3
; %bb.272:
	s_or_b32 exec_lo, exec_lo, s6
	s_nor_b32 s2, s2, s5
	s_and_saveexec_b32 s3, s2
	s_cbranch_execz .LBB616_274
; %bb.273:
	s_waitcnt lgkmcnt(0)
	v_mul_hi_i32 v5, 0x66666667, v3
	v_mul_hi_i32 v6, 0x66666667, v1
	s_andn2_b32 s5, s5, exec_lo
	v_lshrrev_b32_e32 v7, 31, v5
	v_ashrrev_i32_e32 v5, 2, v5
	v_lshrrev_b32_e32 v8, 31, v6
	v_ashrrev_i32_e32 v6, 2, v6
	v_add_nc_u32_e32 v5, v5, v7
	v_add_nc_u32_e32 v6, v6, v8
	v_cmp_ge_i32_e64 s2, v5, v6
	s_and_b32 s2, s2, exec_lo
	s_or_b32 s5, s5, s2
.LBB616_274:
	s_or_b32 exec_lo, exec_lo, s3
	v_cndmask_b32_e64 v5, v25, v24, s5
	v_cndmask_b32_e64 v6, v21, v20, s5
	s_mov_b32 s3, -1
	s_mov_b32 s6, -1
	s_mov_b32 s7, exec_lo
	v_add_nc_u32_e32 v9, 1, v5
	v_add_nc_u32_e32 v5, -1, v6
	v_cndmask_b32_e64 v6, v24, v9, s5
	v_min_u32_e32 v5, v9, v5
	v_lshl_add_u32 v5, v5, 3, v11
	ds_read_b64 v[7:8], v5
	v_cndmask_b32_e64 v5, v9, v25, s5
	s_waitcnt lgkmcnt(0)
	v_cndmask_b32_e64 v9, v8, v4, s5
	v_cndmask_b32_e64 v22, v7, v3, s5
	;; [unrolled: 1-line block ×4, first 2 shown]
	v_cmpx_lt_u32_e64 v5, v21
	s_cbranch_execz .LBB616_278
; %bb.275:
	s_mov_b32 s9, 0
	s_mov_b32 s6, exec_lo
	v_cmpx_lt_u32_e64 v6, v20
	s_cbranch_execz .LBB616_277
; %bb.276:
	v_mul_hi_i32 v7, 0x66666667, v22
	v_mul_hi_i32 v8, 0x66666667, v23
	v_lshrrev_b32_e32 v24, 31, v7
	v_ashrrev_i32_e32 v7, 2, v7
	v_lshrrev_b32_e32 v25, 31, v8
	v_ashrrev_i32_e32 v8, 2, v8
	v_add_nc_u32_e32 v7, v7, v24
	v_add_nc_u32_e32 v8, v8, v25
	v_cmp_ge_i32_e64 s2, v7, v8
	s_and_b32 s9, s2, exec_lo
.LBB616_277:
	s_or_b32 exec_lo, exec_lo, s6
	s_orn2_b32 s6, s9, exec_lo
.LBB616_278:
	s_or_b32 exec_lo, exec_lo, s7
	v_cndmask_b32_e64 v7, v5, v6, s6
	v_cndmask_b32_e64 v8, v21, v20, s6
	s_mov_b32 s7, exec_lo
	v_add_nc_u32_e32 v24, 1, v7
	v_add_nc_u32_e32 v7, -1, v8
	v_cndmask_b32_e64 v5, v24, v5, s6
	v_min_u32_e32 v7, v24, v7
	v_cndmask_b32_e64 v30, v6, v24, s6
	v_lshl_add_u32 v7, v7, 3, v11
	ds_read_b64 v[7:8], v7
	s_waitcnt lgkmcnt(0)
	v_cndmask_b32_e64 v24, v8, v9, s6
	v_cndmask_b32_e64 v25, v7, v22, s6
	;; [unrolled: 1-line block ×4, first 2 shown]
	v_cmpx_lt_u32_e64 v5, v21
	s_cbranch_execz .LBB616_282
; %bb.279:
	s_mov_b32 s9, 0
	s_mov_b32 s3, exec_lo
	v_cmpx_lt_u32_e64 v30, v20
	s_cbranch_execz .LBB616_281
; %bb.280:
	v_mul_hi_i32 v6, 0x66666667, v25
	v_mul_hi_i32 v7, 0x66666667, v27
	v_lshrrev_b32_e32 v8, 31, v6
	v_ashrrev_i32_e32 v6, 2, v6
	v_lshrrev_b32_e32 v31, 31, v7
	v_ashrrev_i32_e32 v7, 2, v7
	v_add_nc_u32_e32 v6, v6, v8
	v_add_nc_u32_e32 v7, v7, v31
	v_cmp_ge_i32_e64 s2, v6, v7
	s_and_b32 s9, s2, exec_lo
.LBB616_281:
	s_or_b32 exec_lo, exec_lo, s3
	s_orn2_b32 s3, s9, exec_lo
.LBB616_282:
	s_or_b32 exec_lo, exec_lo, s7
	v_cndmask_b32_e64 v6, v5, v30, s3
	v_cndmask_b32_e64 v7, v21, v20, s3
	s_mov_b32 s7, exec_lo
	v_add_nc_u32_e32 v31, 1, v6
	v_add_nc_u32_e32 v6, -1, v7
	v_cndmask_b32_e64 v32, v31, v5, s3
	v_min_u32_e32 v6, v31, v6
	v_lshl_add_u32 v6, v6, 3, v11
	ds_read_b64 v[7:8], v6
	s_waitcnt lgkmcnt(0)
	v_cndmask_b32_e64 v6, v26, v8, s3
	v_cndmask_b32_e64 v5, v27, v7, s3
	v_cmpx_lt_u32_e64 v32, v21
	s_cbranch_execz .LBB616_286
; %bb.283:
	v_cndmask_b32_e64 v21, v30, v31, s3
	v_cndmask_b32_e64 v8, v8, v24, s3
	;; [unrolled: 1-line block ×3, first 2 shown]
	s_mov_b32 s9, exec_lo
	v_cmpx_lt_u32_e64 v21, v20
	s_cbranch_execz .LBB616_285
; %bb.284:
	v_mul_hi_i32 v20, 0x66666667, v7
	v_mul_hi_i32 v21, 0x66666667, v5
	v_lshrrev_b32_e32 v30, 31, v20
	v_ashrrev_i32_e32 v20, 2, v20
	v_lshrrev_b32_e32 v31, 31, v21
	v_ashrrev_i32_e32 v21, 2, v21
	v_add_nc_u32_e32 v20, v20, v30
	v_add_nc_u32_e32 v21, v21, v31
	v_cmp_lt_i32_e64 s2, v20, v21
	v_cndmask_b32_e64 v8, v6, v8, s2
	v_cndmask_b32_e64 v7, v5, v7, s2
.LBB616_285:
	s_or_b32 exec_lo, exec_lo, s9
	v_mov_b32_e32 v5, v7
	v_mov_b32_e32 v6, v8
.LBB616_286:
	s_or_b32 exec_lo, exec_lo, s7
	v_cndmask_b32_e64 v8, v4, v2, s5
	v_cndmask_b32_e64 v7, v3, v1, s5
	;; [unrolled: 1-line block ×6, first 2 shown]
.LBB616_287:
	s_or_b32 exec_lo, exec_lo, s4
	v_and_b32_e32 v1, 64, v17
	v_and_b32_e32 v21, 60, v17
	s_mov_b32 s3, exec_lo
	; wave barrier
	v_or_b32_e32 v2, 32, v1
	ds_write_b128 v19, v[7:10]
	ds_write_b128 v19, v[3:6] offset:16
	; wave barrier
	v_min_u32_e32 v20, v18, v2
	v_add_nc_u32_e32 v2, 32, v20
	v_min_u32_e32 v17, v18, v2
	v_min_u32_e32 v2, v18, v21
	v_sub_nc_u32_e32 v21, v20, v1
	v_sub_nc_u32_e32 v18, v17, v20
	v_min_u32_e32 v22, v2, v21
	v_lshl_add_u32 v21, v1, 3, v11
	v_sub_nc_u32_e64 v18, v2, v18 clamp
	v_cmpx_lt_u32_e64 v18, v22
	s_cbranch_execz .LBB616_291
; %bb.288:
	v_lshlrev_b32_e32 v19, 3, v20
	v_lshlrev_b32_e32 v23, 3, v2
	s_mov_b32 s4, 0
	v_add3_u32 v19, v11, v19, v23
	s_inst_prefetch 0x1
	.p2align	6
.LBB616_289:                            ; =>This Inner Loop Header: Depth=1
	v_add_nc_u32_e32 v23, v22, v18
	v_lshrrev_b32_e32 v23, 1, v23
	v_not_b32_e32 v24, v23
	v_lshl_add_u32 v25, v23, 3, v21
	v_lshl_add_u32 v24, v24, 3, v19
	ds_read_b32 v25, v25
	ds_read_b32 v24, v24
	s_waitcnt lgkmcnt(1)
	v_mul_hi_i32 v25, 0x66666667, v25
	s_waitcnt lgkmcnt(0)
	v_mul_hi_i32 v24, 0x66666667, v24
	v_lshrrev_b32_e32 v26, 31, v25
	v_ashrrev_i32_e32 v25, 2, v25
	v_lshrrev_b32_e32 v27, 31, v24
	v_ashrrev_i32_e32 v24, 2, v24
	v_add_nc_u32_e32 v25, v25, v26
	v_add_nc_u32_e32 v26, 1, v23
	;; [unrolled: 1-line block ×3, first 2 shown]
	v_cmp_lt_i32_e64 s2, v24, v25
	v_cndmask_b32_e64 v22, v22, v23, s2
	v_cndmask_b32_e64 v18, v26, v18, s2
	v_cmp_ge_u32_e64 s2, v18, v22
	s_or_b32 s4, s2, s4
	s_andn2_b32 exec_lo, exec_lo, s4
	s_cbranch_execnz .LBB616_289
; %bb.290:
	s_inst_prefetch 0x2
	s_or_b32 exec_lo, exec_lo, s4
.LBB616_291:
	s_or_b32 exec_lo, exec_lo, s3
	v_add_nc_u32_e32 v2, v20, v2
	v_add_nc_u32_e32 v19, v18, v1
	v_sub_nc_u32_e32 v22, v2, v18
	v_cmp_le_u32_e64 s2, v19, v20
	v_cmp_le_u32_e64 s3, v22, v17
	s_or_b32 s2, s2, s3
	s_and_saveexec_b32 s4, s2
	s_cbranch_execz .LBB616_311
; %bb.292:
	v_cmp_ge_u32_e64 s2, v19, v20
	s_mov_b32 s5, exec_lo
                                        ; implicit-def: $vgpr1_vgpr2
	v_cmpx_lt_u32_e64 v19, v20
; %bb.293:
	v_lshl_add_u32 v1, v18, 3, v21
	ds_read_b64 v[1:2], v1
; %bb.294:
	s_or_b32 exec_lo, exec_lo, s5
	v_cmp_ge_u32_e64 s5, v22, v17
	s_mov_b32 s6, exec_lo
                                        ; implicit-def: $vgpr3_vgpr4
	v_cmpx_lt_u32_e64 v22, v17
; %bb.295:
	v_lshl_add_u32 v3, v22, 3, v11
	ds_read_b64 v[3:4], v3
; %bb.296:
	s_or_b32 exec_lo, exec_lo, s6
	s_nor_b32 s2, s2, s5
	s_and_saveexec_b32 s3, s2
	s_cbranch_execz .LBB616_298
; %bb.297:
	s_waitcnt lgkmcnt(0)
	v_mul_hi_i32 v5, 0x66666667, v3
	v_mul_hi_i32 v6, 0x66666667, v1
	s_andn2_b32 s5, s5, exec_lo
	v_lshrrev_b32_e32 v7, 31, v5
	v_ashrrev_i32_e32 v5, 2, v5
	v_lshrrev_b32_e32 v8, 31, v6
	v_ashrrev_i32_e32 v6, 2, v6
	v_add_nc_u32_e32 v5, v5, v7
	v_add_nc_u32_e32 v6, v6, v8
	v_cmp_ge_i32_e64 s2, v5, v6
	s_and_b32 s2, s2, exec_lo
	s_or_b32 s5, s5, s2
.LBB616_298:
	s_or_b32 exec_lo, exec_lo, s3
	v_cndmask_b32_e64 v5, v22, v19, s5
	v_cndmask_b32_e64 v6, v17, v20, s5
	s_mov_b32 s3, -1
	s_mov_b32 s6, -1
	s_mov_b32 s7, exec_lo
	v_add_nc_u32_e32 v9, 1, v5
	v_add_nc_u32_e32 v5, -1, v6
	v_cndmask_b32_e64 v6, v19, v9, s5
	v_min_u32_e32 v5, v9, v5
	v_lshl_add_u32 v5, v5, 3, v11
	ds_read_b64 v[7:8], v5
	v_cndmask_b32_e64 v5, v9, v22, s5
	s_waitcnt lgkmcnt(0)
	v_cndmask_b32_e64 v9, v8, v4, s5
	v_cndmask_b32_e64 v18, v7, v3, s5
	;; [unrolled: 1-line block ×4, first 2 shown]
	v_cmpx_lt_u32_e64 v5, v17
	s_cbranch_execz .LBB616_302
; %bb.299:
	s_mov_b32 s9, 0
	s_mov_b32 s6, exec_lo
	v_cmpx_lt_u32_e64 v6, v20
	s_cbranch_execz .LBB616_301
; %bb.300:
	v_mul_hi_i32 v7, 0x66666667, v18
	v_mul_hi_i32 v8, 0x66666667, v19
	v_lshrrev_b32_e32 v21, 31, v7
	v_ashrrev_i32_e32 v7, 2, v7
	v_lshrrev_b32_e32 v22, 31, v8
	v_ashrrev_i32_e32 v8, 2, v8
	v_add_nc_u32_e32 v7, v7, v21
	v_add_nc_u32_e32 v8, v8, v22
	v_cmp_ge_i32_e64 s2, v7, v8
	s_and_b32 s9, s2, exec_lo
.LBB616_301:
	s_or_b32 exec_lo, exec_lo, s6
	s_orn2_b32 s6, s9, exec_lo
.LBB616_302:
	s_or_b32 exec_lo, exec_lo, s7
	v_cndmask_b32_e64 v7, v5, v6, s6
	v_cndmask_b32_e64 v8, v17, v20, s6
	s_mov_b32 s7, exec_lo
	v_add_nc_u32_e32 v21, 1, v7
	v_add_nc_u32_e32 v7, -1, v8
	v_cndmask_b32_e64 v5, v21, v5, s6
	v_min_u32_e32 v7, v21, v7
	v_cndmask_b32_e64 v25, v6, v21, s6
	v_lshl_add_u32 v7, v7, 3, v11
	ds_read_b64 v[7:8], v7
	s_waitcnt lgkmcnt(0)
	v_cndmask_b32_e64 v21, v8, v9, s6
	v_cndmask_b32_e64 v22, v7, v18, s6
	;; [unrolled: 1-line block ×4, first 2 shown]
	v_cmpx_lt_u32_e64 v5, v17
	s_cbranch_execz .LBB616_306
; %bb.303:
	s_mov_b32 s9, 0
	s_mov_b32 s3, exec_lo
	v_cmpx_lt_u32_e64 v25, v20
	s_cbranch_execz .LBB616_305
; %bb.304:
	v_mul_hi_i32 v6, 0x66666667, v22
	v_mul_hi_i32 v7, 0x66666667, v24
	v_lshrrev_b32_e32 v8, 31, v6
	v_ashrrev_i32_e32 v6, 2, v6
	v_lshrrev_b32_e32 v26, 31, v7
	v_ashrrev_i32_e32 v7, 2, v7
	v_add_nc_u32_e32 v6, v6, v8
	v_add_nc_u32_e32 v7, v7, v26
	v_cmp_ge_i32_e64 s2, v6, v7
	s_and_b32 s9, s2, exec_lo
.LBB616_305:
	s_or_b32 exec_lo, exec_lo, s3
	s_orn2_b32 s3, s9, exec_lo
.LBB616_306:
	s_or_b32 exec_lo, exec_lo, s7
	v_cndmask_b32_e64 v6, v5, v25, s3
	v_cndmask_b32_e64 v7, v17, v20, s3
	s_mov_b32 s7, exec_lo
	v_add_nc_u32_e32 v26, 1, v6
	v_add_nc_u32_e32 v6, -1, v7
	v_min_u32_e32 v6, v26, v6
	v_lshl_add_u32 v6, v6, 3, v11
	v_cndmask_b32_e64 v11, v26, v5, s3
	ds_read_b64 v[7:8], v6
	s_waitcnt lgkmcnt(0)
	v_cndmask_b32_e64 v6, v23, v8, s3
	v_cndmask_b32_e64 v5, v24, v7, s3
	v_cmpx_lt_u32_e64 v11, v17
	s_cbranch_execz .LBB616_310
; %bb.307:
	v_cndmask_b32_e64 v11, v25, v26, s3
	v_cndmask_b32_e64 v8, v8, v21, s3
	;; [unrolled: 1-line block ×3, first 2 shown]
	s_mov_b32 s9, exec_lo
	v_cmpx_lt_u32_e64 v11, v20
	s_cbranch_execz .LBB616_309
; %bb.308:
	v_mul_hi_i32 v11, 0x66666667, v7
	v_mul_hi_i32 v17, 0x66666667, v5
	v_lshrrev_b32_e32 v20, 31, v11
	v_ashrrev_i32_e32 v11, 2, v11
	v_lshrrev_b32_e32 v25, 31, v17
	v_ashrrev_i32_e32 v17, 2, v17
	v_add_nc_u32_e32 v11, v11, v20
	v_add_nc_u32_e32 v17, v17, v25
	v_cmp_lt_i32_e64 s2, v11, v17
	v_cndmask_b32_e64 v8, v6, v8, s2
	v_cndmask_b32_e64 v7, v5, v7, s2
.LBB616_309:
	s_or_b32 exec_lo, exec_lo, s9
	v_mov_b32_e32 v5, v7
	v_mov_b32_e32 v6, v8
.LBB616_310:
	s_or_b32 exec_lo, exec_lo, s7
	v_cndmask_b32_e64 v8, v4, v2, s5
	v_cndmask_b32_e64 v7, v3, v1, s5
	v_cndmask_b32_e64 v10, v9, v10, s6
	v_cndmask_b32_e64 v9, v18, v19, s6
	v_cndmask_b32_e64 v4, v21, v23, s3
	v_cndmask_b32_e64 v3, v22, v24, s3
.LBB616_311:
	s_or_b32 exec_lo, exec_lo, s4
	s_cmpk_lt_u32 s8, 0x41
	; wave barrier
	s_waitcnt lgkmcnt(0)
	s_barrier
	buffer_gl0_inv
	s_cbranch_scc1 .LBB616_338
; %bb.312:
	v_lshlrev_b32_e32 v11, 2, v0
	s_mov_b32 s4, 64
	s_branch .LBB616_316
.LBB616_313:                            ;   in Loop: Header=BB616_316 Depth=1
	s_or_b32 exec_lo, exec_lo, s10
	v_mov_b32_e32 v5, v7
	v_mov_b32_e32 v6, v8
.LBB616_314:                            ;   in Loop: Header=BB616_316 Depth=1
	s_or_b32 exec_lo, exec_lo, s9
	v_cndmask_b32_e64 v8, v4, v2, s6
	v_cndmask_b32_e64 v7, v3, v1, s6
	;; [unrolled: 1-line block ×6, first 2 shown]
.LBB616_315:                            ;   in Loop: Header=BB616_316 Depth=1
	s_or_b32 exec_lo, exec_lo, s5
	s_cmp_lt_u32 s4, s8
	s_barrier
	buffer_gl0_inv
	s_cbranch_scc0 .LBB616_338
.LBB616_316:                            ; =>This Loop Header: Depth=1
                                        ;     Child Loop BB616_318 Depth 2
	s_mov_b32 s2, s4
	s_lshl_b32 s4, s4, 1
	ds_write_b128 v29, v[7:10]
	s_sub_i32 s3, 0, s4
	ds_write_b128 v29, v[3:6] offset:16
	v_and_b32_e32 v1, s3, v11
	s_mov_b32 s3, exec_lo
	s_waitcnt lgkmcnt(0)
	s_barrier
	buffer_gl0_inv
	v_add_nc_u32_e32 v2, s2, v1
	v_min_u32_e32 v17, s8, v2
	v_add_nc_u32_e32 v2, s2, v17
	s_add_i32 s2, s4, -1
	v_sub_nc_u32_e32 v20, v17, v1
	v_and_b32_e32 v19, s2, v11
	v_min_u32_e32 v18, s8, v2
	v_min_u32_e32 v2, s8, v19
	v_sub_nc_u32_e32 v19, v18, v17
	v_min_u32_e32 v21, v2, v20
	v_lshlrev_b32_e32 v20, 3, v1
	v_sub_nc_u32_e64 v19, v2, v19 clamp
	v_cmpx_lt_u32_e64 v19, v21
	s_cbranch_execz .LBB616_320
; %bb.317:                              ;   in Loop: Header=BB616_316 Depth=1
	v_lshlrev_b32_e32 v22, 3, v2
	s_mov_b32 s5, 0
	v_lshl_add_u32 v22, v17, 3, v22
	s_inst_prefetch 0x1
	.p2align	6
.LBB616_318:                            ;   Parent Loop BB616_316 Depth=1
                                        ; =>  This Inner Loop Header: Depth=2
	v_add_nc_u32_e32 v23, v21, v19
	v_lshrrev_b32_e32 v23, 1, v23
	v_not_b32_e32 v24, v23
	v_lshl_add_u32 v25, v23, 3, v20
	v_lshl_add_u32 v24, v24, 3, v22
	ds_read_b32 v25, v25
	ds_read_b32 v24, v24
	s_waitcnt lgkmcnt(1)
	v_mul_hi_i32 v25, 0x66666667, v25
	s_waitcnt lgkmcnt(0)
	v_mul_hi_i32 v24, 0x66666667, v24
	v_lshrrev_b32_e32 v26, 31, v25
	v_ashrrev_i32_e32 v25, 2, v25
	v_lshrrev_b32_e32 v27, 31, v24
	v_ashrrev_i32_e32 v24, 2, v24
	v_add_nc_u32_e32 v25, v25, v26
	v_add_nc_u32_e32 v26, 1, v23
	;; [unrolled: 1-line block ×3, first 2 shown]
	v_cmp_lt_i32_e64 s2, v24, v25
	v_cndmask_b32_e64 v21, v21, v23, s2
	v_cndmask_b32_e64 v19, v26, v19, s2
	v_cmp_ge_u32_e64 s2, v19, v21
	s_or_b32 s5, s2, s5
	s_andn2_b32 exec_lo, exec_lo, s5
	s_cbranch_execnz .LBB616_318
; %bb.319:                              ;   in Loop: Header=BB616_316 Depth=1
	s_inst_prefetch 0x2
	s_or_b32 exec_lo, exec_lo, s5
.LBB616_320:                            ;   in Loop: Header=BB616_316 Depth=1
	s_or_b32 exec_lo, exec_lo, s3
	v_sub_nc_u32_e32 v2, v2, v19
	v_add_nc_u32_e32 v21, v19, v1
	v_add_nc_u32_e32 v22, v2, v17
	v_cmp_le_u32_e64 s2, v21, v17
	v_cmp_le_u32_e64 s3, v22, v18
	s_or_b32 s2, s2, s3
	s_and_saveexec_b32 s5, s2
	s_cbranch_execz .LBB616_315
; %bb.321:                              ;   in Loop: Header=BB616_316 Depth=1
	v_cmp_ge_u32_e64 s2, v21, v17
	s_mov_b32 s6, exec_lo
                                        ; implicit-def: $vgpr1_vgpr2
	v_cmpx_lt_u32_e64 v21, v17
; %bb.322:                              ;   in Loop: Header=BB616_316 Depth=1
	v_lshl_add_u32 v1, v19, 3, v20
	ds_read_b64 v[1:2], v1
; %bb.323:                              ;   in Loop: Header=BB616_316 Depth=1
	s_or_b32 exec_lo, exec_lo, s6
	v_cmp_ge_u32_e64 s6, v22, v18
	s_mov_b32 s7, exec_lo
                                        ; implicit-def: $vgpr3_vgpr4
	v_cmpx_lt_u32_e64 v22, v18
; %bb.324:                              ;   in Loop: Header=BB616_316 Depth=1
	v_lshlrev_b32_e32 v3, 3, v22
	ds_read_b64 v[3:4], v3
; %bb.325:                              ;   in Loop: Header=BB616_316 Depth=1
	s_or_b32 exec_lo, exec_lo, s7
	s_nor_b32 s2, s2, s6
	s_and_saveexec_b32 s3, s2
	s_cbranch_execz .LBB616_327
; %bb.326:                              ;   in Loop: Header=BB616_316 Depth=1
	s_waitcnt lgkmcnt(0)
	v_mul_hi_i32 v5, 0x66666667, v3
	v_mul_hi_i32 v6, 0x66666667, v1
	s_andn2_b32 s6, s6, exec_lo
	v_lshrrev_b32_e32 v7, 31, v5
	v_ashrrev_i32_e32 v5, 2, v5
	v_lshrrev_b32_e32 v8, 31, v6
	v_ashrrev_i32_e32 v6, 2, v6
	v_add_nc_u32_e32 v5, v5, v7
	v_add_nc_u32_e32 v6, v6, v8
	v_cmp_ge_i32_e64 s2, v5, v6
	s_and_b32 s2, s2, exec_lo
	s_or_b32 s6, s6, s2
.LBB616_327:                            ;   in Loop: Header=BB616_316 Depth=1
	s_or_b32 exec_lo, exec_lo, s3
	v_cndmask_b32_e64 v5, v22, v21, s6
	v_cndmask_b32_e64 v6, v18, v17, s6
	s_mov_b32 s3, -1
	s_mov_b32 s7, -1
	s_mov_b32 s9, exec_lo
	v_add_nc_u32_e32 v9, 1, v5
	v_add_nc_u32_e32 v5, -1, v6
	v_cndmask_b32_e64 v6, v21, v9, s6
	v_min_u32_e32 v5, v9, v5
	v_lshlrev_b32_e32 v5, 3, v5
	ds_read_b64 v[7:8], v5
	v_cndmask_b32_e64 v5, v9, v22, s6
	s_waitcnt lgkmcnt(0)
	v_cndmask_b32_e64 v9, v8, v4, s6
	v_cndmask_b32_e64 v19, v7, v3, s6
	;; [unrolled: 1-line block ×4, first 2 shown]
	v_cmpx_lt_u32_e64 v5, v18
	s_cbranch_execz .LBB616_331
; %bb.328:                              ;   in Loop: Header=BB616_316 Depth=1
	s_mov_b32 s10, 0
	s_mov_b32 s7, exec_lo
	v_cmpx_lt_u32_e64 v6, v17
	s_cbranch_execz .LBB616_330
; %bb.329:                              ;   in Loop: Header=BB616_316 Depth=1
	v_mul_hi_i32 v7, 0x66666667, v19
	v_mul_hi_i32 v8, 0x66666667, v20
	v_lshrrev_b32_e32 v21, 31, v7
	v_ashrrev_i32_e32 v7, 2, v7
	v_lshrrev_b32_e32 v22, 31, v8
	v_ashrrev_i32_e32 v8, 2, v8
	v_add_nc_u32_e32 v7, v7, v21
	v_add_nc_u32_e32 v8, v8, v22
	v_cmp_ge_i32_e64 s2, v7, v8
	s_and_b32 s10, s2, exec_lo
.LBB616_330:                            ;   in Loop: Header=BB616_316 Depth=1
	s_or_b32 exec_lo, exec_lo, s7
	s_orn2_b32 s7, s10, exec_lo
.LBB616_331:                            ;   in Loop: Header=BB616_316 Depth=1
	s_or_b32 exec_lo, exec_lo, s9
	v_cndmask_b32_e64 v7, v5, v6, s7
	v_cndmask_b32_e64 v8, v18, v17, s7
	s_mov_b32 s9, exec_lo
	v_add_nc_u32_e32 v21, 1, v7
	v_add_nc_u32_e32 v7, -1, v8
	v_cndmask_b32_e64 v5, v21, v5, s7
	v_min_u32_e32 v7, v21, v7
	v_cndmask_b32_e64 v25, v6, v21, s7
	v_lshlrev_b32_e32 v7, 3, v7
	ds_read_b64 v[7:8], v7
	s_waitcnt lgkmcnt(0)
	v_cndmask_b32_e64 v21, v8, v9, s7
	v_cndmask_b32_e64 v22, v7, v19, s7
	;; [unrolled: 1-line block ×4, first 2 shown]
	v_cmpx_lt_u32_e64 v5, v18
	s_cbranch_execz .LBB616_335
; %bb.332:                              ;   in Loop: Header=BB616_316 Depth=1
	s_mov_b32 s10, 0
	s_mov_b32 s3, exec_lo
	v_cmpx_lt_u32_e64 v25, v17
	s_cbranch_execz .LBB616_334
; %bb.333:                              ;   in Loop: Header=BB616_316 Depth=1
	v_mul_hi_i32 v6, 0x66666667, v22
	v_mul_hi_i32 v7, 0x66666667, v24
	v_lshrrev_b32_e32 v8, 31, v6
	v_ashrrev_i32_e32 v6, 2, v6
	v_lshrrev_b32_e32 v26, 31, v7
	v_ashrrev_i32_e32 v7, 2, v7
	v_add_nc_u32_e32 v6, v6, v8
	v_add_nc_u32_e32 v7, v7, v26
	v_cmp_ge_i32_e64 s2, v6, v7
	s_and_b32 s10, s2, exec_lo
.LBB616_334:                            ;   in Loop: Header=BB616_316 Depth=1
	s_or_b32 exec_lo, exec_lo, s3
	s_orn2_b32 s3, s10, exec_lo
.LBB616_335:                            ;   in Loop: Header=BB616_316 Depth=1
	s_or_b32 exec_lo, exec_lo, s9
	v_cndmask_b32_e64 v6, v5, v25, s3
	v_cndmask_b32_e64 v7, v18, v17, s3
	s_mov_b32 s9, exec_lo
	v_add_nc_u32_e32 v26, 1, v6
	v_add_nc_u32_e32 v6, -1, v7
	v_cndmask_b32_e64 v27, v26, v5, s3
	v_min_u32_e32 v6, v26, v6
	v_lshlrev_b32_e32 v6, 3, v6
	ds_read_b64 v[7:8], v6
	s_waitcnt lgkmcnt(0)
	v_cndmask_b32_e64 v6, v23, v8, s3
	v_cndmask_b32_e64 v5, v24, v7, s3
	v_cmpx_lt_u32_e64 v27, v18
	s_cbranch_execz .LBB616_314
; %bb.336:                              ;   in Loop: Header=BB616_316 Depth=1
	v_cndmask_b32_e64 v18, v25, v26, s3
	v_cndmask_b32_e64 v8, v8, v21, s3
	;; [unrolled: 1-line block ×3, first 2 shown]
	s_mov_b32 s10, exec_lo
	v_cmpx_lt_u32_e64 v18, v17
	s_cbranch_execz .LBB616_313
; %bb.337:                              ;   in Loop: Header=BB616_316 Depth=1
	v_mul_hi_i32 v17, 0x66666667, v7
	v_mul_hi_i32 v18, 0x66666667, v5
	v_lshrrev_b32_e32 v25, 31, v17
	v_ashrrev_i32_e32 v17, 2, v17
	v_lshrrev_b32_e32 v26, 31, v18
	v_ashrrev_i32_e32 v18, 2, v18
	v_add_nc_u32_e32 v17, v17, v25
	v_add_nc_u32_e32 v18, v18, v26
	v_cmp_lt_i32_e64 s2, v17, v18
	v_cndmask_b32_e64 v8, v6, v8, s2
	v_cndmask_b32_e64 v7, v5, v7, s2
	s_branch .LBB616_313
.LBB616_338:
	s_barrier
	buffer_gl0_inv
	ds_write2_b64 v16, v[7:8], v[9:10] offset1:1
	ds_write2_b64 v16, v[3:4], v[5:6] offset0:2 offset1:3
	s_waitcnt lgkmcnt(0)
	s_barrier
	buffer_gl0_inv
	ds_read_b64 v[8:9], v13 offset:2048
	ds_read_b64 v[2:3], v14 offset:4096
	;; [unrolled: 1-line block ×3, first 2 shown]
	v_add_co_u32 v6, s2, s11, v28
	v_mov_b32_e32 v1, 0
	v_add_co_ci_u32_e64 v7, null, s13, 0, s2
	s_and_saveexec_b32 s2, vcc_lo
	s_cbranch_execnz .LBB616_349
; %bb.339:
	s_or_b32 exec_lo, exec_lo, s2
	s_and_saveexec_b32 s2, s0
	s_cbranch_execnz .LBB616_350
.LBB616_340:
	s_or_b32 exec_lo, exec_lo, s2
	s_and_saveexec_b32 s0, s1
	s_cbranch_execz .LBB616_342
.LBB616_341:
	v_add_co_u32 v6, vcc_lo, 0x1000, v6
	v_add_co_ci_u32_e64 v7, null, 0, v7, vcc_lo
	s_waitcnt lgkmcnt(1)
	flat_store_dwordx2 v[6:7], v[2:3]
.LBB616_342:
	s_or_b32 exec_lo, exec_lo, s0
.LBB616_343:
	s_and_saveexec_b32 s0, s14
	s_cbranch_execz .LBB616_345
; %bb.344:
	v_lshlrev_b64 v[0:1], 3, v[0:1]
	v_add_co_u32 v0, vcc_lo, s11, v0
	v_add_co_ci_u32_e64 v1, null, s13, v1, vcc_lo
	v_add_co_u32 v0, vcc_lo, 0x1800, v0
	v_add_co_ci_u32_e64 v1, null, 0, v1, vcc_lo
	s_waitcnt lgkmcnt(0)
	flat_store_dwordx2 v[0:1], v[4:5]
.LBB616_345:
	s_endpgm
.LBB616_346:
	v_add_co_u32 v5, s1, s4, v28
	v_add_co_ci_u32_e64 v6, null, s5, 0, s1
	v_mov_b32_e32 v12, v4
	v_mov_b32_e32 v7, v4
	;; [unrolled: 1-line block ×3, first 2 shown]
	flat_load_dwordx2 v[5:6], v[5:6]
	v_mov_b32_e32 v9, v4
	v_mov_b32_e32 v10, v4
	;; [unrolled: 1-line block ×3, first 2 shown]
	s_waitcnt vmcnt(0) lgkmcnt(0)
	v_mov_b32_e32 v4, v5
	v_mov_b32_e32 v5, v6
	;; [unrolled: 1-line block ×8, first 2 shown]
	s_or_b32 exec_lo, exec_lo, s0
	v_cmp_gt_u32_e64 s0, s8, v34
	s_and_saveexec_b32 s1, s0
	s_cbranch_execz .LBB616_208
.LBB616_347:
	v_lshlrev_b32_e32 v1, 3, v34
	v_add_co_u32 v6, s7, s4, v1
	v_add_co_ci_u32_e64 v7, null, s5, 0, s7
	flat_load_dwordx2 v[6:7], v[6:7]
	s_or_b32 exec_lo, exec_lo, s1
	v_cmp_gt_u32_e64 s1, s8, v33
	s_and_saveexec_b32 s7, s1
	s_cbranch_execz .LBB616_209
.LBB616_348:
	v_lshlrev_b32_e32 v1, 3, v33
	v_add_co_u32 v8, s9, s4, v1
	v_add_co_ci_u32_e64 v9, null, s5, 0, s9
	flat_load_dwordx2 v[8:9], v[8:9]
	s_or_b32 exec_lo, exec_lo, s7
	v_cmp_gt_u32_e64 s14, s8, v32
	s_and_saveexec_b32 s7, s14
	s_cbranch_execnz .LBB616_210
	s_branch .LBB616_211
.LBB616_349:
	ds_read_b64 v[10:11], v12
	s_waitcnt lgkmcnt(0)
	flat_store_dwordx2 v[6:7], v[10:11]
	s_or_b32 exec_lo, exec_lo, s2
	s_and_saveexec_b32 s2, s0
	s_cbranch_execz .LBB616_340
.LBB616_350:
	v_add_co_u32 v10, vcc_lo, 0x800, v6
	v_add_co_ci_u32_e64 v11, null, 0, v7, vcc_lo
	s_waitcnt lgkmcnt(2)
	flat_store_dwordx2 v[10:11], v[8:9]
	s_or_b32 exec_lo, exec_lo, s2
	s_and_saveexec_b32 s0, s1
	s_cbranch_execnz .LBB616_341
	s_branch .LBB616_342
	.section	.rodata,"a",@progbits
	.p2align	6, 0x0
	.amdhsa_kernel _ZN7rocprim17ROCPRIM_400000_NS6detail17trampoline_kernelINS0_14default_configENS1_37merge_sort_block_sort_config_selectorImNS0_10empty_typeEEEZNS1_21merge_sort_block_sortIS3_N6thrust23THRUST_200600_302600_NS6detail15normal_iteratorINS9_10device_ptrImEEEESE_PS5_SF_11less_div_10ImEEE10hipError_tT0_T1_T2_T3_mRjT4_P12ihipStream_tbNS1_7vsmem_tEEUlT_E_NS1_11comp_targetILNS1_3genE8ELNS1_11target_archE1030ELNS1_3gpuE2ELNS1_3repE0EEENS1_30default_config_static_selectorELNS0_4arch9wavefront6targetE0EEEvSK_
		.amdhsa_group_segment_fixed_size 8448
		.amdhsa_private_segment_fixed_size 0
		.amdhsa_kernarg_size 320
		.amdhsa_user_sgpr_count 6
		.amdhsa_user_sgpr_private_segment_buffer 1
		.amdhsa_user_sgpr_dispatch_ptr 0
		.amdhsa_user_sgpr_queue_ptr 0
		.amdhsa_user_sgpr_kernarg_segment_ptr 1
		.amdhsa_user_sgpr_dispatch_id 0
		.amdhsa_user_sgpr_flat_scratch_init 0
		.amdhsa_user_sgpr_private_segment_size 0
		.amdhsa_wavefront_size32 1
		.amdhsa_uses_dynamic_stack 0
		.amdhsa_system_sgpr_private_segment_wavefront_offset 0
		.amdhsa_system_sgpr_workgroup_id_x 1
		.amdhsa_system_sgpr_workgroup_id_y 1
		.amdhsa_system_sgpr_workgroup_id_z 1
		.amdhsa_system_sgpr_workgroup_info 0
		.amdhsa_system_vgpr_workitem_id 2
		.amdhsa_next_free_vgpr 43
		.amdhsa_next_free_sgpr 20
		.amdhsa_reserve_vcc 1
		.amdhsa_reserve_flat_scratch 1
		.amdhsa_float_round_mode_32 0
		.amdhsa_float_round_mode_16_64 0
		.amdhsa_float_denorm_mode_32 3
		.amdhsa_float_denorm_mode_16_64 3
		.amdhsa_dx10_clamp 1
		.amdhsa_ieee_mode 1
		.amdhsa_fp16_overflow 0
		.amdhsa_workgroup_processor_mode 1
		.amdhsa_memory_ordered 1
		.amdhsa_forward_progress 1
		.amdhsa_shared_vgpr_count 0
		.amdhsa_exception_fp_ieee_invalid_op 0
		.amdhsa_exception_fp_denorm_src 0
		.amdhsa_exception_fp_ieee_div_zero 0
		.amdhsa_exception_fp_ieee_overflow 0
		.amdhsa_exception_fp_ieee_underflow 0
		.amdhsa_exception_fp_ieee_inexact 0
		.amdhsa_exception_int_div_zero 0
	.end_amdhsa_kernel
	.section	.text._ZN7rocprim17ROCPRIM_400000_NS6detail17trampoline_kernelINS0_14default_configENS1_37merge_sort_block_sort_config_selectorImNS0_10empty_typeEEEZNS1_21merge_sort_block_sortIS3_N6thrust23THRUST_200600_302600_NS6detail15normal_iteratorINS9_10device_ptrImEEEESE_PS5_SF_11less_div_10ImEEE10hipError_tT0_T1_T2_T3_mRjT4_P12ihipStream_tbNS1_7vsmem_tEEUlT_E_NS1_11comp_targetILNS1_3genE8ELNS1_11target_archE1030ELNS1_3gpuE2ELNS1_3repE0EEENS1_30default_config_static_selectorELNS0_4arch9wavefront6targetE0EEEvSK_,"axG",@progbits,_ZN7rocprim17ROCPRIM_400000_NS6detail17trampoline_kernelINS0_14default_configENS1_37merge_sort_block_sort_config_selectorImNS0_10empty_typeEEEZNS1_21merge_sort_block_sortIS3_N6thrust23THRUST_200600_302600_NS6detail15normal_iteratorINS9_10device_ptrImEEEESE_PS5_SF_11less_div_10ImEEE10hipError_tT0_T1_T2_T3_mRjT4_P12ihipStream_tbNS1_7vsmem_tEEUlT_E_NS1_11comp_targetILNS1_3genE8ELNS1_11target_archE1030ELNS1_3gpuE2ELNS1_3repE0EEENS1_30default_config_static_selectorELNS0_4arch9wavefront6targetE0EEEvSK_,comdat
.Lfunc_end616:
	.size	_ZN7rocprim17ROCPRIM_400000_NS6detail17trampoline_kernelINS0_14default_configENS1_37merge_sort_block_sort_config_selectorImNS0_10empty_typeEEEZNS1_21merge_sort_block_sortIS3_N6thrust23THRUST_200600_302600_NS6detail15normal_iteratorINS9_10device_ptrImEEEESE_PS5_SF_11less_div_10ImEEE10hipError_tT0_T1_T2_T3_mRjT4_P12ihipStream_tbNS1_7vsmem_tEEUlT_E_NS1_11comp_targetILNS1_3genE8ELNS1_11target_archE1030ELNS1_3gpuE2ELNS1_3repE0EEENS1_30default_config_static_selectorELNS0_4arch9wavefront6targetE0EEEvSK_, .Lfunc_end616-_ZN7rocprim17ROCPRIM_400000_NS6detail17trampoline_kernelINS0_14default_configENS1_37merge_sort_block_sort_config_selectorImNS0_10empty_typeEEEZNS1_21merge_sort_block_sortIS3_N6thrust23THRUST_200600_302600_NS6detail15normal_iteratorINS9_10device_ptrImEEEESE_PS5_SF_11less_div_10ImEEE10hipError_tT0_T1_T2_T3_mRjT4_P12ihipStream_tbNS1_7vsmem_tEEUlT_E_NS1_11comp_targetILNS1_3genE8ELNS1_11target_archE1030ELNS1_3gpuE2ELNS1_3repE0EEENS1_30default_config_static_selectorELNS0_4arch9wavefront6targetE0EEEvSK_
                                        ; -- End function
	.set _ZN7rocprim17ROCPRIM_400000_NS6detail17trampoline_kernelINS0_14default_configENS1_37merge_sort_block_sort_config_selectorImNS0_10empty_typeEEEZNS1_21merge_sort_block_sortIS3_N6thrust23THRUST_200600_302600_NS6detail15normal_iteratorINS9_10device_ptrImEEEESE_PS5_SF_11less_div_10ImEEE10hipError_tT0_T1_T2_T3_mRjT4_P12ihipStream_tbNS1_7vsmem_tEEUlT_E_NS1_11comp_targetILNS1_3genE8ELNS1_11target_archE1030ELNS1_3gpuE2ELNS1_3repE0EEENS1_30default_config_static_selectorELNS0_4arch9wavefront6targetE0EEEvSK_.num_vgpr, 43
	.set _ZN7rocprim17ROCPRIM_400000_NS6detail17trampoline_kernelINS0_14default_configENS1_37merge_sort_block_sort_config_selectorImNS0_10empty_typeEEEZNS1_21merge_sort_block_sortIS3_N6thrust23THRUST_200600_302600_NS6detail15normal_iteratorINS9_10device_ptrImEEEESE_PS5_SF_11less_div_10ImEEE10hipError_tT0_T1_T2_T3_mRjT4_P12ihipStream_tbNS1_7vsmem_tEEUlT_E_NS1_11comp_targetILNS1_3genE8ELNS1_11target_archE1030ELNS1_3gpuE2ELNS1_3repE0EEENS1_30default_config_static_selectorELNS0_4arch9wavefront6targetE0EEEvSK_.num_agpr, 0
	.set _ZN7rocprim17ROCPRIM_400000_NS6detail17trampoline_kernelINS0_14default_configENS1_37merge_sort_block_sort_config_selectorImNS0_10empty_typeEEEZNS1_21merge_sort_block_sortIS3_N6thrust23THRUST_200600_302600_NS6detail15normal_iteratorINS9_10device_ptrImEEEESE_PS5_SF_11less_div_10ImEEE10hipError_tT0_T1_T2_T3_mRjT4_P12ihipStream_tbNS1_7vsmem_tEEUlT_E_NS1_11comp_targetILNS1_3genE8ELNS1_11target_archE1030ELNS1_3gpuE2ELNS1_3repE0EEENS1_30default_config_static_selectorELNS0_4arch9wavefront6targetE0EEEvSK_.numbered_sgpr, 20
	.set _ZN7rocprim17ROCPRIM_400000_NS6detail17trampoline_kernelINS0_14default_configENS1_37merge_sort_block_sort_config_selectorImNS0_10empty_typeEEEZNS1_21merge_sort_block_sortIS3_N6thrust23THRUST_200600_302600_NS6detail15normal_iteratorINS9_10device_ptrImEEEESE_PS5_SF_11less_div_10ImEEE10hipError_tT0_T1_T2_T3_mRjT4_P12ihipStream_tbNS1_7vsmem_tEEUlT_E_NS1_11comp_targetILNS1_3genE8ELNS1_11target_archE1030ELNS1_3gpuE2ELNS1_3repE0EEENS1_30default_config_static_selectorELNS0_4arch9wavefront6targetE0EEEvSK_.num_named_barrier, 0
	.set _ZN7rocprim17ROCPRIM_400000_NS6detail17trampoline_kernelINS0_14default_configENS1_37merge_sort_block_sort_config_selectorImNS0_10empty_typeEEEZNS1_21merge_sort_block_sortIS3_N6thrust23THRUST_200600_302600_NS6detail15normal_iteratorINS9_10device_ptrImEEEESE_PS5_SF_11less_div_10ImEEE10hipError_tT0_T1_T2_T3_mRjT4_P12ihipStream_tbNS1_7vsmem_tEEUlT_E_NS1_11comp_targetILNS1_3genE8ELNS1_11target_archE1030ELNS1_3gpuE2ELNS1_3repE0EEENS1_30default_config_static_selectorELNS0_4arch9wavefront6targetE0EEEvSK_.private_seg_size, 0
	.set _ZN7rocprim17ROCPRIM_400000_NS6detail17trampoline_kernelINS0_14default_configENS1_37merge_sort_block_sort_config_selectorImNS0_10empty_typeEEEZNS1_21merge_sort_block_sortIS3_N6thrust23THRUST_200600_302600_NS6detail15normal_iteratorINS9_10device_ptrImEEEESE_PS5_SF_11less_div_10ImEEE10hipError_tT0_T1_T2_T3_mRjT4_P12ihipStream_tbNS1_7vsmem_tEEUlT_E_NS1_11comp_targetILNS1_3genE8ELNS1_11target_archE1030ELNS1_3gpuE2ELNS1_3repE0EEENS1_30default_config_static_selectorELNS0_4arch9wavefront6targetE0EEEvSK_.uses_vcc, 1
	.set _ZN7rocprim17ROCPRIM_400000_NS6detail17trampoline_kernelINS0_14default_configENS1_37merge_sort_block_sort_config_selectorImNS0_10empty_typeEEEZNS1_21merge_sort_block_sortIS3_N6thrust23THRUST_200600_302600_NS6detail15normal_iteratorINS9_10device_ptrImEEEESE_PS5_SF_11less_div_10ImEEE10hipError_tT0_T1_T2_T3_mRjT4_P12ihipStream_tbNS1_7vsmem_tEEUlT_E_NS1_11comp_targetILNS1_3genE8ELNS1_11target_archE1030ELNS1_3gpuE2ELNS1_3repE0EEENS1_30default_config_static_selectorELNS0_4arch9wavefront6targetE0EEEvSK_.uses_flat_scratch, 1
	.set _ZN7rocprim17ROCPRIM_400000_NS6detail17trampoline_kernelINS0_14default_configENS1_37merge_sort_block_sort_config_selectorImNS0_10empty_typeEEEZNS1_21merge_sort_block_sortIS3_N6thrust23THRUST_200600_302600_NS6detail15normal_iteratorINS9_10device_ptrImEEEESE_PS5_SF_11less_div_10ImEEE10hipError_tT0_T1_T2_T3_mRjT4_P12ihipStream_tbNS1_7vsmem_tEEUlT_E_NS1_11comp_targetILNS1_3genE8ELNS1_11target_archE1030ELNS1_3gpuE2ELNS1_3repE0EEENS1_30default_config_static_selectorELNS0_4arch9wavefront6targetE0EEEvSK_.has_dyn_sized_stack, 0
	.set _ZN7rocprim17ROCPRIM_400000_NS6detail17trampoline_kernelINS0_14default_configENS1_37merge_sort_block_sort_config_selectorImNS0_10empty_typeEEEZNS1_21merge_sort_block_sortIS3_N6thrust23THRUST_200600_302600_NS6detail15normal_iteratorINS9_10device_ptrImEEEESE_PS5_SF_11less_div_10ImEEE10hipError_tT0_T1_T2_T3_mRjT4_P12ihipStream_tbNS1_7vsmem_tEEUlT_E_NS1_11comp_targetILNS1_3genE8ELNS1_11target_archE1030ELNS1_3gpuE2ELNS1_3repE0EEENS1_30default_config_static_selectorELNS0_4arch9wavefront6targetE0EEEvSK_.has_recursion, 0
	.set _ZN7rocprim17ROCPRIM_400000_NS6detail17trampoline_kernelINS0_14default_configENS1_37merge_sort_block_sort_config_selectorImNS0_10empty_typeEEEZNS1_21merge_sort_block_sortIS3_N6thrust23THRUST_200600_302600_NS6detail15normal_iteratorINS9_10device_ptrImEEEESE_PS5_SF_11less_div_10ImEEE10hipError_tT0_T1_T2_T3_mRjT4_P12ihipStream_tbNS1_7vsmem_tEEUlT_E_NS1_11comp_targetILNS1_3genE8ELNS1_11target_archE1030ELNS1_3gpuE2ELNS1_3repE0EEENS1_30default_config_static_selectorELNS0_4arch9wavefront6targetE0EEEvSK_.has_indirect_call, 0
	.section	.AMDGPU.csdata,"",@progbits
; Kernel info:
; codeLenInByte = 18248
; TotalNumSgprs: 22
; NumVgprs: 43
; ScratchSize: 0
; MemoryBound: 0
; FloatMode: 240
; IeeeMode: 1
; LDSByteSize: 8448 bytes/workgroup (compile time only)
; SGPRBlocks: 0
; VGPRBlocks: 5
; NumSGPRsForWavesPerEU: 22
; NumVGPRsForWavesPerEU: 43
; Occupancy: 16
; WaveLimiterHint : 1
; COMPUTE_PGM_RSRC2:SCRATCH_EN: 0
; COMPUTE_PGM_RSRC2:USER_SGPR: 6
; COMPUTE_PGM_RSRC2:TRAP_HANDLER: 0
; COMPUTE_PGM_RSRC2:TGID_X_EN: 1
; COMPUTE_PGM_RSRC2:TGID_Y_EN: 1
; COMPUTE_PGM_RSRC2:TGID_Z_EN: 1
; COMPUTE_PGM_RSRC2:TIDIG_COMP_CNT: 2
	.section	.text._ZN7rocprim17ROCPRIM_400000_NS6detail17trampoline_kernelINS0_14default_configENS1_38merge_sort_block_merge_config_selectorImNS0_10empty_typeEEEZZNS1_27merge_sort_block_merge_implIS3_N6thrust23THRUST_200600_302600_NS6detail15normal_iteratorINS9_10device_ptrImEEEEPS5_m11less_div_10ImEEE10hipError_tT0_T1_T2_jT3_P12ihipStream_tbPNSt15iterator_traitsISJ_E10value_typeEPNSP_ISK_E10value_typeEPSL_NS1_7vsmem_tEENKUlT_SJ_SK_SL_E_clIPmSE_SF_SF_EESI_SY_SJ_SK_SL_EUlSY_E_NS1_11comp_targetILNS1_3genE0ELNS1_11target_archE4294967295ELNS1_3gpuE0ELNS1_3repE0EEENS1_48merge_mergepath_partition_config_static_selectorELNS0_4arch9wavefront6targetE0EEEvSK_,"axG",@progbits,_ZN7rocprim17ROCPRIM_400000_NS6detail17trampoline_kernelINS0_14default_configENS1_38merge_sort_block_merge_config_selectorImNS0_10empty_typeEEEZZNS1_27merge_sort_block_merge_implIS3_N6thrust23THRUST_200600_302600_NS6detail15normal_iteratorINS9_10device_ptrImEEEEPS5_m11less_div_10ImEEE10hipError_tT0_T1_T2_jT3_P12ihipStream_tbPNSt15iterator_traitsISJ_E10value_typeEPNSP_ISK_E10value_typeEPSL_NS1_7vsmem_tEENKUlT_SJ_SK_SL_E_clIPmSE_SF_SF_EESI_SY_SJ_SK_SL_EUlSY_E_NS1_11comp_targetILNS1_3genE0ELNS1_11target_archE4294967295ELNS1_3gpuE0ELNS1_3repE0EEENS1_48merge_mergepath_partition_config_static_selectorELNS0_4arch9wavefront6targetE0EEEvSK_,comdat
	.protected	_ZN7rocprim17ROCPRIM_400000_NS6detail17trampoline_kernelINS0_14default_configENS1_38merge_sort_block_merge_config_selectorImNS0_10empty_typeEEEZZNS1_27merge_sort_block_merge_implIS3_N6thrust23THRUST_200600_302600_NS6detail15normal_iteratorINS9_10device_ptrImEEEEPS5_m11less_div_10ImEEE10hipError_tT0_T1_T2_jT3_P12ihipStream_tbPNSt15iterator_traitsISJ_E10value_typeEPNSP_ISK_E10value_typeEPSL_NS1_7vsmem_tEENKUlT_SJ_SK_SL_E_clIPmSE_SF_SF_EESI_SY_SJ_SK_SL_EUlSY_E_NS1_11comp_targetILNS1_3genE0ELNS1_11target_archE4294967295ELNS1_3gpuE0ELNS1_3repE0EEENS1_48merge_mergepath_partition_config_static_selectorELNS0_4arch9wavefront6targetE0EEEvSK_ ; -- Begin function _ZN7rocprim17ROCPRIM_400000_NS6detail17trampoline_kernelINS0_14default_configENS1_38merge_sort_block_merge_config_selectorImNS0_10empty_typeEEEZZNS1_27merge_sort_block_merge_implIS3_N6thrust23THRUST_200600_302600_NS6detail15normal_iteratorINS9_10device_ptrImEEEEPS5_m11less_div_10ImEEE10hipError_tT0_T1_T2_jT3_P12ihipStream_tbPNSt15iterator_traitsISJ_E10value_typeEPNSP_ISK_E10value_typeEPSL_NS1_7vsmem_tEENKUlT_SJ_SK_SL_E_clIPmSE_SF_SF_EESI_SY_SJ_SK_SL_EUlSY_E_NS1_11comp_targetILNS1_3genE0ELNS1_11target_archE4294967295ELNS1_3gpuE0ELNS1_3repE0EEENS1_48merge_mergepath_partition_config_static_selectorELNS0_4arch9wavefront6targetE0EEEvSK_
	.globl	_ZN7rocprim17ROCPRIM_400000_NS6detail17trampoline_kernelINS0_14default_configENS1_38merge_sort_block_merge_config_selectorImNS0_10empty_typeEEEZZNS1_27merge_sort_block_merge_implIS3_N6thrust23THRUST_200600_302600_NS6detail15normal_iteratorINS9_10device_ptrImEEEEPS5_m11less_div_10ImEEE10hipError_tT0_T1_T2_jT3_P12ihipStream_tbPNSt15iterator_traitsISJ_E10value_typeEPNSP_ISK_E10value_typeEPSL_NS1_7vsmem_tEENKUlT_SJ_SK_SL_E_clIPmSE_SF_SF_EESI_SY_SJ_SK_SL_EUlSY_E_NS1_11comp_targetILNS1_3genE0ELNS1_11target_archE4294967295ELNS1_3gpuE0ELNS1_3repE0EEENS1_48merge_mergepath_partition_config_static_selectorELNS0_4arch9wavefront6targetE0EEEvSK_
	.p2align	8
	.type	_ZN7rocprim17ROCPRIM_400000_NS6detail17trampoline_kernelINS0_14default_configENS1_38merge_sort_block_merge_config_selectorImNS0_10empty_typeEEEZZNS1_27merge_sort_block_merge_implIS3_N6thrust23THRUST_200600_302600_NS6detail15normal_iteratorINS9_10device_ptrImEEEEPS5_m11less_div_10ImEEE10hipError_tT0_T1_T2_jT3_P12ihipStream_tbPNSt15iterator_traitsISJ_E10value_typeEPNSP_ISK_E10value_typeEPSL_NS1_7vsmem_tEENKUlT_SJ_SK_SL_E_clIPmSE_SF_SF_EESI_SY_SJ_SK_SL_EUlSY_E_NS1_11comp_targetILNS1_3genE0ELNS1_11target_archE4294967295ELNS1_3gpuE0ELNS1_3repE0EEENS1_48merge_mergepath_partition_config_static_selectorELNS0_4arch9wavefront6targetE0EEEvSK_,@function
_ZN7rocprim17ROCPRIM_400000_NS6detail17trampoline_kernelINS0_14default_configENS1_38merge_sort_block_merge_config_selectorImNS0_10empty_typeEEEZZNS1_27merge_sort_block_merge_implIS3_N6thrust23THRUST_200600_302600_NS6detail15normal_iteratorINS9_10device_ptrImEEEEPS5_m11less_div_10ImEEE10hipError_tT0_T1_T2_jT3_P12ihipStream_tbPNSt15iterator_traitsISJ_E10value_typeEPNSP_ISK_E10value_typeEPSL_NS1_7vsmem_tEENKUlT_SJ_SK_SL_E_clIPmSE_SF_SF_EESI_SY_SJ_SK_SL_EUlSY_E_NS1_11comp_targetILNS1_3genE0ELNS1_11target_archE4294967295ELNS1_3gpuE0ELNS1_3repE0EEENS1_48merge_mergepath_partition_config_static_selectorELNS0_4arch9wavefront6targetE0EEEvSK_: ; @_ZN7rocprim17ROCPRIM_400000_NS6detail17trampoline_kernelINS0_14default_configENS1_38merge_sort_block_merge_config_selectorImNS0_10empty_typeEEEZZNS1_27merge_sort_block_merge_implIS3_N6thrust23THRUST_200600_302600_NS6detail15normal_iteratorINS9_10device_ptrImEEEEPS5_m11less_div_10ImEEE10hipError_tT0_T1_T2_jT3_P12ihipStream_tbPNSt15iterator_traitsISJ_E10value_typeEPNSP_ISK_E10value_typeEPSL_NS1_7vsmem_tEENKUlT_SJ_SK_SL_E_clIPmSE_SF_SF_EESI_SY_SJ_SK_SL_EUlSY_E_NS1_11comp_targetILNS1_3genE0ELNS1_11target_archE4294967295ELNS1_3gpuE0ELNS1_3repE0EEENS1_48merge_mergepath_partition_config_static_selectorELNS0_4arch9wavefront6targetE0EEEvSK_
; %bb.0:
	.section	.rodata,"a",@progbits
	.p2align	6, 0x0
	.amdhsa_kernel _ZN7rocprim17ROCPRIM_400000_NS6detail17trampoline_kernelINS0_14default_configENS1_38merge_sort_block_merge_config_selectorImNS0_10empty_typeEEEZZNS1_27merge_sort_block_merge_implIS3_N6thrust23THRUST_200600_302600_NS6detail15normal_iteratorINS9_10device_ptrImEEEEPS5_m11less_div_10ImEEE10hipError_tT0_T1_T2_jT3_P12ihipStream_tbPNSt15iterator_traitsISJ_E10value_typeEPNSP_ISK_E10value_typeEPSL_NS1_7vsmem_tEENKUlT_SJ_SK_SL_E_clIPmSE_SF_SF_EESI_SY_SJ_SK_SL_EUlSY_E_NS1_11comp_targetILNS1_3genE0ELNS1_11target_archE4294967295ELNS1_3gpuE0ELNS1_3repE0EEENS1_48merge_mergepath_partition_config_static_selectorELNS0_4arch9wavefront6targetE0EEEvSK_
		.amdhsa_group_segment_fixed_size 0
		.amdhsa_private_segment_fixed_size 0
		.amdhsa_kernarg_size 48
		.amdhsa_user_sgpr_count 6
		.amdhsa_user_sgpr_private_segment_buffer 1
		.amdhsa_user_sgpr_dispatch_ptr 0
		.amdhsa_user_sgpr_queue_ptr 0
		.amdhsa_user_sgpr_kernarg_segment_ptr 1
		.amdhsa_user_sgpr_dispatch_id 0
		.amdhsa_user_sgpr_flat_scratch_init 0
		.amdhsa_user_sgpr_private_segment_size 0
		.amdhsa_wavefront_size32 1
		.amdhsa_uses_dynamic_stack 0
		.amdhsa_system_sgpr_private_segment_wavefront_offset 0
		.amdhsa_system_sgpr_workgroup_id_x 1
		.amdhsa_system_sgpr_workgroup_id_y 0
		.amdhsa_system_sgpr_workgroup_id_z 0
		.amdhsa_system_sgpr_workgroup_info 0
		.amdhsa_system_vgpr_workitem_id 0
		.amdhsa_next_free_vgpr 1
		.amdhsa_next_free_sgpr 1
		.amdhsa_reserve_vcc 0
		.amdhsa_reserve_flat_scratch 0
		.amdhsa_float_round_mode_32 0
		.amdhsa_float_round_mode_16_64 0
		.amdhsa_float_denorm_mode_32 3
		.amdhsa_float_denorm_mode_16_64 3
		.amdhsa_dx10_clamp 1
		.amdhsa_ieee_mode 1
		.amdhsa_fp16_overflow 0
		.amdhsa_workgroup_processor_mode 1
		.amdhsa_memory_ordered 1
		.amdhsa_forward_progress 1
		.amdhsa_shared_vgpr_count 0
		.amdhsa_exception_fp_ieee_invalid_op 0
		.amdhsa_exception_fp_denorm_src 0
		.amdhsa_exception_fp_ieee_div_zero 0
		.amdhsa_exception_fp_ieee_overflow 0
		.amdhsa_exception_fp_ieee_underflow 0
		.amdhsa_exception_fp_ieee_inexact 0
		.amdhsa_exception_int_div_zero 0
	.end_amdhsa_kernel
	.section	.text._ZN7rocprim17ROCPRIM_400000_NS6detail17trampoline_kernelINS0_14default_configENS1_38merge_sort_block_merge_config_selectorImNS0_10empty_typeEEEZZNS1_27merge_sort_block_merge_implIS3_N6thrust23THRUST_200600_302600_NS6detail15normal_iteratorINS9_10device_ptrImEEEEPS5_m11less_div_10ImEEE10hipError_tT0_T1_T2_jT3_P12ihipStream_tbPNSt15iterator_traitsISJ_E10value_typeEPNSP_ISK_E10value_typeEPSL_NS1_7vsmem_tEENKUlT_SJ_SK_SL_E_clIPmSE_SF_SF_EESI_SY_SJ_SK_SL_EUlSY_E_NS1_11comp_targetILNS1_3genE0ELNS1_11target_archE4294967295ELNS1_3gpuE0ELNS1_3repE0EEENS1_48merge_mergepath_partition_config_static_selectorELNS0_4arch9wavefront6targetE0EEEvSK_,"axG",@progbits,_ZN7rocprim17ROCPRIM_400000_NS6detail17trampoline_kernelINS0_14default_configENS1_38merge_sort_block_merge_config_selectorImNS0_10empty_typeEEEZZNS1_27merge_sort_block_merge_implIS3_N6thrust23THRUST_200600_302600_NS6detail15normal_iteratorINS9_10device_ptrImEEEEPS5_m11less_div_10ImEEE10hipError_tT0_T1_T2_jT3_P12ihipStream_tbPNSt15iterator_traitsISJ_E10value_typeEPNSP_ISK_E10value_typeEPSL_NS1_7vsmem_tEENKUlT_SJ_SK_SL_E_clIPmSE_SF_SF_EESI_SY_SJ_SK_SL_EUlSY_E_NS1_11comp_targetILNS1_3genE0ELNS1_11target_archE4294967295ELNS1_3gpuE0ELNS1_3repE0EEENS1_48merge_mergepath_partition_config_static_selectorELNS0_4arch9wavefront6targetE0EEEvSK_,comdat
.Lfunc_end617:
	.size	_ZN7rocprim17ROCPRIM_400000_NS6detail17trampoline_kernelINS0_14default_configENS1_38merge_sort_block_merge_config_selectorImNS0_10empty_typeEEEZZNS1_27merge_sort_block_merge_implIS3_N6thrust23THRUST_200600_302600_NS6detail15normal_iteratorINS9_10device_ptrImEEEEPS5_m11less_div_10ImEEE10hipError_tT0_T1_T2_jT3_P12ihipStream_tbPNSt15iterator_traitsISJ_E10value_typeEPNSP_ISK_E10value_typeEPSL_NS1_7vsmem_tEENKUlT_SJ_SK_SL_E_clIPmSE_SF_SF_EESI_SY_SJ_SK_SL_EUlSY_E_NS1_11comp_targetILNS1_3genE0ELNS1_11target_archE4294967295ELNS1_3gpuE0ELNS1_3repE0EEENS1_48merge_mergepath_partition_config_static_selectorELNS0_4arch9wavefront6targetE0EEEvSK_, .Lfunc_end617-_ZN7rocprim17ROCPRIM_400000_NS6detail17trampoline_kernelINS0_14default_configENS1_38merge_sort_block_merge_config_selectorImNS0_10empty_typeEEEZZNS1_27merge_sort_block_merge_implIS3_N6thrust23THRUST_200600_302600_NS6detail15normal_iteratorINS9_10device_ptrImEEEEPS5_m11less_div_10ImEEE10hipError_tT0_T1_T2_jT3_P12ihipStream_tbPNSt15iterator_traitsISJ_E10value_typeEPNSP_ISK_E10value_typeEPSL_NS1_7vsmem_tEENKUlT_SJ_SK_SL_E_clIPmSE_SF_SF_EESI_SY_SJ_SK_SL_EUlSY_E_NS1_11comp_targetILNS1_3genE0ELNS1_11target_archE4294967295ELNS1_3gpuE0ELNS1_3repE0EEENS1_48merge_mergepath_partition_config_static_selectorELNS0_4arch9wavefront6targetE0EEEvSK_
                                        ; -- End function
	.set _ZN7rocprim17ROCPRIM_400000_NS6detail17trampoline_kernelINS0_14default_configENS1_38merge_sort_block_merge_config_selectorImNS0_10empty_typeEEEZZNS1_27merge_sort_block_merge_implIS3_N6thrust23THRUST_200600_302600_NS6detail15normal_iteratorINS9_10device_ptrImEEEEPS5_m11less_div_10ImEEE10hipError_tT0_T1_T2_jT3_P12ihipStream_tbPNSt15iterator_traitsISJ_E10value_typeEPNSP_ISK_E10value_typeEPSL_NS1_7vsmem_tEENKUlT_SJ_SK_SL_E_clIPmSE_SF_SF_EESI_SY_SJ_SK_SL_EUlSY_E_NS1_11comp_targetILNS1_3genE0ELNS1_11target_archE4294967295ELNS1_3gpuE0ELNS1_3repE0EEENS1_48merge_mergepath_partition_config_static_selectorELNS0_4arch9wavefront6targetE0EEEvSK_.num_vgpr, 0
	.set _ZN7rocprim17ROCPRIM_400000_NS6detail17trampoline_kernelINS0_14default_configENS1_38merge_sort_block_merge_config_selectorImNS0_10empty_typeEEEZZNS1_27merge_sort_block_merge_implIS3_N6thrust23THRUST_200600_302600_NS6detail15normal_iteratorINS9_10device_ptrImEEEEPS5_m11less_div_10ImEEE10hipError_tT0_T1_T2_jT3_P12ihipStream_tbPNSt15iterator_traitsISJ_E10value_typeEPNSP_ISK_E10value_typeEPSL_NS1_7vsmem_tEENKUlT_SJ_SK_SL_E_clIPmSE_SF_SF_EESI_SY_SJ_SK_SL_EUlSY_E_NS1_11comp_targetILNS1_3genE0ELNS1_11target_archE4294967295ELNS1_3gpuE0ELNS1_3repE0EEENS1_48merge_mergepath_partition_config_static_selectorELNS0_4arch9wavefront6targetE0EEEvSK_.num_agpr, 0
	.set _ZN7rocprim17ROCPRIM_400000_NS6detail17trampoline_kernelINS0_14default_configENS1_38merge_sort_block_merge_config_selectorImNS0_10empty_typeEEEZZNS1_27merge_sort_block_merge_implIS3_N6thrust23THRUST_200600_302600_NS6detail15normal_iteratorINS9_10device_ptrImEEEEPS5_m11less_div_10ImEEE10hipError_tT0_T1_T2_jT3_P12ihipStream_tbPNSt15iterator_traitsISJ_E10value_typeEPNSP_ISK_E10value_typeEPSL_NS1_7vsmem_tEENKUlT_SJ_SK_SL_E_clIPmSE_SF_SF_EESI_SY_SJ_SK_SL_EUlSY_E_NS1_11comp_targetILNS1_3genE0ELNS1_11target_archE4294967295ELNS1_3gpuE0ELNS1_3repE0EEENS1_48merge_mergepath_partition_config_static_selectorELNS0_4arch9wavefront6targetE0EEEvSK_.numbered_sgpr, 0
	.set _ZN7rocprim17ROCPRIM_400000_NS6detail17trampoline_kernelINS0_14default_configENS1_38merge_sort_block_merge_config_selectorImNS0_10empty_typeEEEZZNS1_27merge_sort_block_merge_implIS3_N6thrust23THRUST_200600_302600_NS6detail15normal_iteratorINS9_10device_ptrImEEEEPS5_m11less_div_10ImEEE10hipError_tT0_T1_T2_jT3_P12ihipStream_tbPNSt15iterator_traitsISJ_E10value_typeEPNSP_ISK_E10value_typeEPSL_NS1_7vsmem_tEENKUlT_SJ_SK_SL_E_clIPmSE_SF_SF_EESI_SY_SJ_SK_SL_EUlSY_E_NS1_11comp_targetILNS1_3genE0ELNS1_11target_archE4294967295ELNS1_3gpuE0ELNS1_3repE0EEENS1_48merge_mergepath_partition_config_static_selectorELNS0_4arch9wavefront6targetE0EEEvSK_.num_named_barrier, 0
	.set _ZN7rocprim17ROCPRIM_400000_NS6detail17trampoline_kernelINS0_14default_configENS1_38merge_sort_block_merge_config_selectorImNS0_10empty_typeEEEZZNS1_27merge_sort_block_merge_implIS3_N6thrust23THRUST_200600_302600_NS6detail15normal_iteratorINS9_10device_ptrImEEEEPS5_m11less_div_10ImEEE10hipError_tT0_T1_T2_jT3_P12ihipStream_tbPNSt15iterator_traitsISJ_E10value_typeEPNSP_ISK_E10value_typeEPSL_NS1_7vsmem_tEENKUlT_SJ_SK_SL_E_clIPmSE_SF_SF_EESI_SY_SJ_SK_SL_EUlSY_E_NS1_11comp_targetILNS1_3genE0ELNS1_11target_archE4294967295ELNS1_3gpuE0ELNS1_3repE0EEENS1_48merge_mergepath_partition_config_static_selectorELNS0_4arch9wavefront6targetE0EEEvSK_.private_seg_size, 0
	.set _ZN7rocprim17ROCPRIM_400000_NS6detail17trampoline_kernelINS0_14default_configENS1_38merge_sort_block_merge_config_selectorImNS0_10empty_typeEEEZZNS1_27merge_sort_block_merge_implIS3_N6thrust23THRUST_200600_302600_NS6detail15normal_iteratorINS9_10device_ptrImEEEEPS5_m11less_div_10ImEEE10hipError_tT0_T1_T2_jT3_P12ihipStream_tbPNSt15iterator_traitsISJ_E10value_typeEPNSP_ISK_E10value_typeEPSL_NS1_7vsmem_tEENKUlT_SJ_SK_SL_E_clIPmSE_SF_SF_EESI_SY_SJ_SK_SL_EUlSY_E_NS1_11comp_targetILNS1_3genE0ELNS1_11target_archE4294967295ELNS1_3gpuE0ELNS1_3repE0EEENS1_48merge_mergepath_partition_config_static_selectorELNS0_4arch9wavefront6targetE0EEEvSK_.uses_vcc, 0
	.set _ZN7rocprim17ROCPRIM_400000_NS6detail17trampoline_kernelINS0_14default_configENS1_38merge_sort_block_merge_config_selectorImNS0_10empty_typeEEEZZNS1_27merge_sort_block_merge_implIS3_N6thrust23THRUST_200600_302600_NS6detail15normal_iteratorINS9_10device_ptrImEEEEPS5_m11less_div_10ImEEE10hipError_tT0_T1_T2_jT3_P12ihipStream_tbPNSt15iterator_traitsISJ_E10value_typeEPNSP_ISK_E10value_typeEPSL_NS1_7vsmem_tEENKUlT_SJ_SK_SL_E_clIPmSE_SF_SF_EESI_SY_SJ_SK_SL_EUlSY_E_NS1_11comp_targetILNS1_3genE0ELNS1_11target_archE4294967295ELNS1_3gpuE0ELNS1_3repE0EEENS1_48merge_mergepath_partition_config_static_selectorELNS0_4arch9wavefront6targetE0EEEvSK_.uses_flat_scratch, 0
	.set _ZN7rocprim17ROCPRIM_400000_NS6detail17trampoline_kernelINS0_14default_configENS1_38merge_sort_block_merge_config_selectorImNS0_10empty_typeEEEZZNS1_27merge_sort_block_merge_implIS3_N6thrust23THRUST_200600_302600_NS6detail15normal_iteratorINS9_10device_ptrImEEEEPS5_m11less_div_10ImEEE10hipError_tT0_T1_T2_jT3_P12ihipStream_tbPNSt15iterator_traitsISJ_E10value_typeEPNSP_ISK_E10value_typeEPSL_NS1_7vsmem_tEENKUlT_SJ_SK_SL_E_clIPmSE_SF_SF_EESI_SY_SJ_SK_SL_EUlSY_E_NS1_11comp_targetILNS1_3genE0ELNS1_11target_archE4294967295ELNS1_3gpuE0ELNS1_3repE0EEENS1_48merge_mergepath_partition_config_static_selectorELNS0_4arch9wavefront6targetE0EEEvSK_.has_dyn_sized_stack, 0
	.set _ZN7rocprim17ROCPRIM_400000_NS6detail17trampoline_kernelINS0_14default_configENS1_38merge_sort_block_merge_config_selectorImNS0_10empty_typeEEEZZNS1_27merge_sort_block_merge_implIS3_N6thrust23THRUST_200600_302600_NS6detail15normal_iteratorINS9_10device_ptrImEEEEPS5_m11less_div_10ImEEE10hipError_tT0_T1_T2_jT3_P12ihipStream_tbPNSt15iterator_traitsISJ_E10value_typeEPNSP_ISK_E10value_typeEPSL_NS1_7vsmem_tEENKUlT_SJ_SK_SL_E_clIPmSE_SF_SF_EESI_SY_SJ_SK_SL_EUlSY_E_NS1_11comp_targetILNS1_3genE0ELNS1_11target_archE4294967295ELNS1_3gpuE0ELNS1_3repE0EEENS1_48merge_mergepath_partition_config_static_selectorELNS0_4arch9wavefront6targetE0EEEvSK_.has_recursion, 0
	.set _ZN7rocprim17ROCPRIM_400000_NS6detail17trampoline_kernelINS0_14default_configENS1_38merge_sort_block_merge_config_selectorImNS0_10empty_typeEEEZZNS1_27merge_sort_block_merge_implIS3_N6thrust23THRUST_200600_302600_NS6detail15normal_iteratorINS9_10device_ptrImEEEEPS5_m11less_div_10ImEEE10hipError_tT0_T1_T2_jT3_P12ihipStream_tbPNSt15iterator_traitsISJ_E10value_typeEPNSP_ISK_E10value_typeEPSL_NS1_7vsmem_tEENKUlT_SJ_SK_SL_E_clIPmSE_SF_SF_EESI_SY_SJ_SK_SL_EUlSY_E_NS1_11comp_targetILNS1_3genE0ELNS1_11target_archE4294967295ELNS1_3gpuE0ELNS1_3repE0EEENS1_48merge_mergepath_partition_config_static_selectorELNS0_4arch9wavefront6targetE0EEEvSK_.has_indirect_call, 0
	.section	.AMDGPU.csdata,"",@progbits
; Kernel info:
; codeLenInByte = 0
; TotalNumSgprs: 0
; NumVgprs: 0
; ScratchSize: 0
; MemoryBound: 0
; FloatMode: 240
; IeeeMode: 1
; LDSByteSize: 0 bytes/workgroup (compile time only)
; SGPRBlocks: 0
; VGPRBlocks: 0
; NumSGPRsForWavesPerEU: 1
; NumVGPRsForWavesPerEU: 1
; Occupancy: 16
; WaveLimiterHint : 0
; COMPUTE_PGM_RSRC2:SCRATCH_EN: 0
; COMPUTE_PGM_RSRC2:USER_SGPR: 6
; COMPUTE_PGM_RSRC2:TRAP_HANDLER: 0
; COMPUTE_PGM_RSRC2:TGID_X_EN: 1
; COMPUTE_PGM_RSRC2:TGID_Y_EN: 0
; COMPUTE_PGM_RSRC2:TGID_Z_EN: 0
; COMPUTE_PGM_RSRC2:TIDIG_COMP_CNT: 0
	.section	.text._ZN7rocprim17ROCPRIM_400000_NS6detail17trampoline_kernelINS0_14default_configENS1_38merge_sort_block_merge_config_selectorImNS0_10empty_typeEEEZZNS1_27merge_sort_block_merge_implIS3_N6thrust23THRUST_200600_302600_NS6detail15normal_iteratorINS9_10device_ptrImEEEEPS5_m11less_div_10ImEEE10hipError_tT0_T1_T2_jT3_P12ihipStream_tbPNSt15iterator_traitsISJ_E10value_typeEPNSP_ISK_E10value_typeEPSL_NS1_7vsmem_tEENKUlT_SJ_SK_SL_E_clIPmSE_SF_SF_EESI_SY_SJ_SK_SL_EUlSY_E_NS1_11comp_targetILNS1_3genE10ELNS1_11target_archE1201ELNS1_3gpuE5ELNS1_3repE0EEENS1_48merge_mergepath_partition_config_static_selectorELNS0_4arch9wavefront6targetE0EEEvSK_,"axG",@progbits,_ZN7rocprim17ROCPRIM_400000_NS6detail17trampoline_kernelINS0_14default_configENS1_38merge_sort_block_merge_config_selectorImNS0_10empty_typeEEEZZNS1_27merge_sort_block_merge_implIS3_N6thrust23THRUST_200600_302600_NS6detail15normal_iteratorINS9_10device_ptrImEEEEPS5_m11less_div_10ImEEE10hipError_tT0_T1_T2_jT3_P12ihipStream_tbPNSt15iterator_traitsISJ_E10value_typeEPNSP_ISK_E10value_typeEPSL_NS1_7vsmem_tEENKUlT_SJ_SK_SL_E_clIPmSE_SF_SF_EESI_SY_SJ_SK_SL_EUlSY_E_NS1_11comp_targetILNS1_3genE10ELNS1_11target_archE1201ELNS1_3gpuE5ELNS1_3repE0EEENS1_48merge_mergepath_partition_config_static_selectorELNS0_4arch9wavefront6targetE0EEEvSK_,comdat
	.protected	_ZN7rocprim17ROCPRIM_400000_NS6detail17trampoline_kernelINS0_14default_configENS1_38merge_sort_block_merge_config_selectorImNS0_10empty_typeEEEZZNS1_27merge_sort_block_merge_implIS3_N6thrust23THRUST_200600_302600_NS6detail15normal_iteratorINS9_10device_ptrImEEEEPS5_m11less_div_10ImEEE10hipError_tT0_T1_T2_jT3_P12ihipStream_tbPNSt15iterator_traitsISJ_E10value_typeEPNSP_ISK_E10value_typeEPSL_NS1_7vsmem_tEENKUlT_SJ_SK_SL_E_clIPmSE_SF_SF_EESI_SY_SJ_SK_SL_EUlSY_E_NS1_11comp_targetILNS1_3genE10ELNS1_11target_archE1201ELNS1_3gpuE5ELNS1_3repE0EEENS1_48merge_mergepath_partition_config_static_selectorELNS0_4arch9wavefront6targetE0EEEvSK_ ; -- Begin function _ZN7rocprim17ROCPRIM_400000_NS6detail17trampoline_kernelINS0_14default_configENS1_38merge_sort_block_merge_config_selectorImNS0_10empty_typeEEEZZNS1_27merge_sort_block_merge_implIS3_N6thrust23THRUST_200600_302600_NS6detail15normal_iteratorINS9_10device_ptrImEEEEPS5_m11less_div_10ImEEE10hipError_tT0_T1_T2_jT3_P12ihipStream_tbPNSt15iterator_traitsISJ_E10value_typeEPNSP_ISK_E10value_typeEPSL_NS1_7vsmem_tEENKUlT_SJ_SK_SL_E_clIPmSE_SF_SF_EESI_SY_SJ_SK_SL_EUlSY_E_NS1_11comp_targetILNS1_3genE10ELNS1_11target_archE1201ELNS1_3gpuE5ELNS1_3repE0EEENS1_48merge_mergepath_partition_config_static_selectorELNS0_4arch9wavefront6targetE0EEEvSK_
	.globl	_ZN7rocprim17ROCPRIM_400000_NS6detail17trampoline_kernelINS0_14default_configENS1_38merge_sort_block_merge_config_selectorImNS0_10empty_typeEEEZZNS1_27merge_sort_block_merge_implIS3_N6thrust23THRUST_200600_302600_NS6detail15normal_iteratorINS9_10device_ptrImEEEEPS5_m11less_div_10ImEEE10hipError_tT0_T1_T2_jT3_P12ihipStream_tbPNSt15iterator_traitsISJ_E10value_typeEPNSP_ISK_E10value_typeEPSL_NS1_7vsmem_tEENKUlT_SJ_SK_SL_E_clIPmSE_SF_SF_EESI_SY_SJ_SK_SL_EUlSY_E_NS1_11comp_targetILNS1_3genE10ELNS1_11target_archE1201ELNS1_3gpuE5ELNS1_3repE0EEENS1_48merge_mergepath_partition_config_static_selectorELNS0_4arch9wavefront6targetE0EEEvSK_
	.p2align	8
	.type	_ZN7rocprim17ROCPRIM_400000_NS6detail17trampoline_kernelINS0_14default_configENS1_38merge_sort_block_merge_config_selectorImNS0_10empty_typeEEEZZNS1_27merge_sort_block_merge_implIS3_N6thrust23THRUST_200600_302600_NS6detail15normal_iteratorINS9_10device_ptrImEEEEPS5_m11less_div_10ImEEE10hipError_tT0_T1_T2_jT3_P12ihipStream_tbPNSt15iterator_traitsISJ_E10value_typeEPNSP_ISK_E10value_typeEPSL_NS1_7vsmem_tEENKUlT_SJ_SK_SL_E_clIPmSE_SF_SF_EESI_SY_SJ_SK_SL_EUlSY_E_NS1_11comp_targetILNS1_3genE10ELNS1_11target_archE1201ELNS1_3gpuE5ELNS1_3repE0EEENS1_48merge_mergepath_partition_config_static_selectorELNS0_4arch9wavefront6targetE0EEEvSK_,@function
_ZN7rocprim17ROCPRIM_400000_NS6detail17trampoline_kernelINS0_14default_configENS1_38merge_sort_block_merge_config_selectorImNS0_10empty_typeEEEZZNS1_27merge_sort_block_merge_implIS3_N6thrust23THRUST_200600_302600_NS6detail15normal_iteratorINS9_10device_ptrImEEEEPS5_m11less_div_10ImEEE10hipError_tT0_T1_T2_jT3_P12ihipStream_tbPNSt15iterator_traitsISJ_E10value_typeEPNSP_ISK_E10value_typeEPSL_NS1_7vsmem_tEENKUlT_SJ_SK_SL_E_clIPmSE_SF_SF_EESI_SY_SJ_SK_SL_EUlSY_E_NS1_11comp_targetILNS1_3genE10ELNS1_11target_archE1201ELNS1_3gpuE5ELNS1_3repE0EEENS1_48merge_mergepath_partition_config_static_selectorELNS0_4arch9wavefront6targetE0EEEvSK_: ; @_ZN7rocprim17ROCPRIM_400000_NS6detail17trampoline_kernelINS0_14default_configENS1_38merge_sort_block_merge_config_selectorImNS0_10empty_typeEEEZZNS1_27merge_sort_block_merge_implIS3_N6thrust23THRUST_200600_302600_NS6detail15normal_iteratorINS9_10device_ptrImEEEEPS5_m11less_div_10ImEEE10hipError_tT0_T1_T2_jT3_P12ihipStream_tbPNSt15iterator_traitsISJ_E10value_typeEPNSP_ISK_E10value_typeEPSL_NS1_7vsmem_tEENKUlT_SJ_SK_SL_E_clIPmSE_SF_SF_EESI_SY_SJ_SK_SL_EUlSY_E_NS1_11comp_targetILNS1_3genE10ELNS1_11target_archE1201ELNS1_3gpuE5ELNS1_3repE0EEENS1_48merge_mergepath_partition_config_static_selectorELNS0_4arch9wavefront6targetE0EEEvSK_
; %bb.0:
	.section	.rodata,"a",@progbits
	.p2align	6, 0x0
	.amdhsa_kernel _ZN7rocprim17ROCPRIM_400000_NS6detail17trampoline_kernelINS0_14default_configENS1_38merge_sort_block_merge_config_selectorImNS0_10empty_typeEEEZZNS1_27merge_sort_block_merge_implIS3_N6thrust23THRUST_200600_302600_NS6detail15normal_iteratorINS9_10device_ptrImEEEEPS5_m11less_div_10ImEEE10hipError_tT0_T1_T2_jT3_P12ihipStream_tbPNSt15iterator_traitsISJ_E10value_typeEPNSP_ISK_E10value_typeEPSL_NS1_7vsmem_tEENKUlT_SJ_SK_SL_E_clIPmSE_SF_SF_EESI_SY_SJ_SK_SL_EUlSY_E_NS1_11comp_targetILNS1_3genE10ELNS1_11target_archE1201ELNS1_3gpuE5ELNS1_3repE0EEENS1_48merge_mergepath_partition_config_static_selectorELNS0_4arch9wavefront6targetE0EEEvSK_
		.amdhsa_group_segment_fixed_size 0
		.amdhsa_private_segment_fixed_size 0
		.amdhsa_kernarg_size 48
		.amdhsa_user_sgpr_count 6
		.amdhsa_user_sgpr_private_segment_buffer 1
		.amdhsa_user_sgpr_dispatch_ptr 0
		.amdhsa_user_sgpr_queue_ptr 0
		.amdhsa_user_sgpr_kernarg_segment_ptr 1
		.amdhsa_user_sgpr_dispatch_id 0
		.amdhsa_user_sgpr_flat_scratch_init 0
		.amdhsa_user_sgpr_private_segment_size 0
		.amdhsa_wavefront_size32 1
		.amdhsa_uses_dynamic_stack 0
		.amdhsa_system_sgpr_private_segment_wavefront_offset 0
		.amdhsa_system_sgpr_workgroup_id_x 1
		.amdhsa_system_sgpr_workgroup_id_y 0
		.amdhsa_system_sgpr_workgroup_id_z 0
		.amdhsa_system_sgpr_workgroup_info 0
		.amdhsa_system_vgpr_workitem_id 0
		.amdhsa_next_free_vgpr 1
		.amdhsa_next_free_sgpr 1
		.amdhsa_reserve_vcc 0
		.amdhsa_reserve_flat_scratch 0
		.amdhsa_float_round_mode_32 0
		.amdhsa_float_round_mode_16_64 0
		.amdhsa_float_denorm_mode_32 3
		.amdhsa_float_denorm_mode_16_64 3
		.amdhsa_dx10_clamp 1
		.amdhsa_ieee_mode 1
		.amdhsa_fp16_overflow 0
		.amdhsa_workgroup_processor_mode 1
		.amdhsa_memory_ordered 1
		.amdhsa_forward_progress 1
		.amdhsa_shared_vgpr_count 0
		.amdhsa_exception_fp_ieee_invalid_op 0
		.amdhsa_exception_fp_denorm_src 0
		.amdhsa_exception_fp_ieee_div_zero 0
		.amdhsa_exception_fp_ieee_overflow 0
		.amdhsa_exception_fp_ieee_underflow 0
		.amdhsa_exception_fp_ieee_inexact 0
		.amdhsa_exception_int_div_zero 0
	.end_amdhsa_kernel
	.section	.text._ZN7rocprim17ROCPRIM_400000_NS6detail17trampoline_kernelINS0_14default_configENS1_38merge_sort_block_merge_config_selectorImNS0_10empty_typeEEEZZNS1_27merge_sort_block_merge_implIS3_N6thrust23THRUST_200600_302600_NS6detail15normal_iteratorINS9_10device_ptrImEEEEPS5_m11less_div_10ImEEE10hipError_tT0_T1_T2_jT3_P12ihipStream_tbPNSt15iterator_traitsISJ_E10value_typeEPNSP_ISK_E10value_typeEPSL_NS1_7vsmem_tEENKUlT_SJ_SK_SL_E_clIPmSE_SF_SF_EESI_SY_SJ_SK_SL_EUlSY_E_NS1_11comp_targetILNS1_3genE10ELNS1_11target_archE1201ELNS1_3gpuE5ELNS1_3repE0EEENS1_48merge_mergepath_partition_config_static_selectorELNS0_4arch9wavefront6targetE0EEEvSK_,"axG",@progbits,_ZN7rocprim17ROCPRIM_400000_NS6detail17trampoline_kernelINS0_14default_configENS1_38merge_sort_block_merge_config_selectorImNS0_10empty_typeEEEZZNS1_27merge_sort_block_merge_implIS3_N6thrust23THRUST_200600_302600_NS6detail15normal_iteratorINS9_10device_ptrImEEEEPS5_m11less_div_10ImEEE10hipError_tT0_T1_T2_jT3_P12ihipStream_tbPNSt15iterator_traitsISJ_E10value_typeEPNSP_ISK_E10value_typeEPSL_NS1_7vsmem_tEENKUlT_SJ_SK_SL_E_clIPmSE_SF_SF_EESI_SY_SJ_SK_SL_EUlSY_E_NS1_11comp_targetILNS1_3genE10ELNS1_11target_archE1201ELNS1_3gpuE5ELNS1_3repE0EEENS1_48merge_mergepath_partition_config_static_selectorELNS0_4arch9wavefront6targetE0EEEvSK_,comdat
.Lfunc_end618:
	.size	_ZN7rocprim17ROCPRIM_400000_NS6detail17trampoline_kernelINS0_14default_configENS1_38merge_sort_block_merge_config_selectorImNS0_10empty_typeEEEZZNS1_27merge_sort_block_merge_implIS3_N6thrust23THRUST_200600_302600_NS6detail15normal_iteratorINS9_10device_ptrImEEEEPS5_m11less_div_10ImEEE10hipError_tT0_T1_T2_jT3_P12ihipStream_tbPNSt15iterator_traitsISJ_E10value_typeEPNSP_ISK_E10value_typeEPSL_NS1_7vsmem_tEENKUlT_SJ_SK_SL_E_clIPmSE_SF_SF_EESI_SY_SJ_SK_SL_EUlSY_E_NS1_11comp_targetILNS1_3genE10ELNS1_11target_archE1201ELNS1_3gpuE5ELNS1_3repE0EEENS1_48merge_mergepath_partition_config_static_selectorELNS0_4arch9wavefront6targetE0EEEvSK_, .Lfunc_end618-_ZN7rocprim17ROCPRIM_400000_NS6detail17trampoline_kernelINS0_14default_configENS1_38merge_sort_block_merge_config_selectorImNS0_10empty_typeEEEZZNS1_27merge_sort_block_merge_implIS3_N6thrust23THRUST_200600_302600_NS6detail15normal_iteratorINS9_10device_ptrImEEEEPS5_m11less_div_10ImEEE10hipError_tT0_T1_T2_jT3_P12ihipStream_tbPNSt15iterator_traitsISJ_E10value_typeEPNSP_ISK_E10value_typeEPSL_NS1_7vsmem_tEENKUlT_SJ_SK_SL_E_clIPmSE_SF_SF_EESI_SY_SJ_SK_SL_EUlSY_E_NS1_11comp_targetILNS1_3genE10ELNS1_11target_archE1201ELNS1_3gpuE5ELNS1_3repE0EEENS1_48merge_mergepath_partition_config_static_selectorELNS0_4arch9wavefront6targetE0EEEvSK_
                                        ; -- End function
	.set _ZN7rocprim17ROCPRIM_400000_NS6detail17trampoline_kernelINS0_14default_configENS1_38merge_sort_block_merge_config_selectorImNS0_10empty_typeEEEZZNS1_27merge_sort_block_merge_implIS3_N6thrust23THRUST_200600_302600_NS6detail15normal_iteratorINS9_10device_ptrImEEEEPS5_m11less_div_10ImEEE10hipError_tT0_T1_T2_jT3_P12ihipStream_tbPNSt15iterator_traitsISJ_E10value_typeEPNSP_ISK_E10value_typeEPSL_NS1_7vsmem_tEENKUlT_SJ_SK_SL_E_clIPmSE_SF_SF_EESI_SY_SJ_SK_SL_EUlSY_E_NS1_11comp_targetILNS1_3genE10ELNS1_11target_archE1201ELNS1_3gpuE5ELNS1_3repE0EEENS1_48merge_mergepath_partition_config_static_selectorELNS0_4arch9wavefront6targetE0EEEvSK_.num_vgpr, 0
	.set _ZN7rocprim17ROCPRIM_400000_NS6detail17trampoline_kernelINS0_14default_configENS1_38merge_sort_block_merge_config_selectorImNS0_10empty_typeEEEZZNS1_27merge_sort_block_merge_implIS3_N6thrust23THRUST_200600_302600_NS6detail15normal_iteratorINS9_10device_ptrImEEEEPS5_m11less_div_10ImEEE10hipError_tT0_T1_T2_jT3_P12ihipStream_tbPNSt15iterator_traitsISJ_E10value_typeEPNSP_ISK_E10value_typeEPSL_NS1_7vsmem_tEENKUlT_SJ_SK_SL_E_clIPmSE_SF_SF_EESI_SY_SJ_SK_SL_EUlSY_E_NS1_11comp_targetILNS1_3genE10ELNS1_11target_archE1201ELNS1_3gpuE5ELNS1_3repE0EEENS1_48merge_mergepath_partition_config_static_selectorELNS0_4arch9wavefront6targetE0EEEvSK_.num_agpr, 0
	.set _ZN7rocprim17ROCPRIM_400000_NS6detail17trampoline_kernelINS0_14default_configENS1_38merge_sort_block_merge_config_selectorImNS0_10empty_typeEEEZZNS1_27merge_sort_block_merge_implIS3_N6thrust23THRUST_200600_302600_NS6detail15normal_iteratorINS9_10device_ptrImEEEEPS5_m11less_div_10ImEEE10hipError_tT0_T1_T2_jT3_P12ihipStream_tbPNSt15iterator_traitsISJ_E10value_typeEPNSP_ISK_E10value_typeEPSL_NS1_7vsmem_tEENKUlT_SJ_SK_SL_E_clIPmSE_SF_SF_EESI_SY_SJ_SK_SL_EUlSY_E_NS1_11comp_targetILNS1_3genE10ELNS1_11target_archE1201ELNS1_3gpuE5ELNS1_3repE0EEENS1_48merge_mergepath_partition_config_static_selectorELNS0_4arch9wavefront6targetE0EEEvSK_.numbered_sgpr, 0
	.set _ZN7rocprim17ROCPRIM_400000_NS6detail17trampoline_kernelINS0_14default_configENS1_38merge_sort_block_merge_config_selectorImNS0_10empty_typeEEEZZNS1_27merge_sort_block_merge_implIS3_N6thrust23THRUST_200600_302600_NS6detail15normal_iteratorINS9_10device_ptrImEEEEPS5_m11less_div_10ImEEE10hipError_tT0_T1_T2_jT3_P12ihipStream_tbPNSt15iterator_traitsISJ_E10value_typeEPNSP_ISK_E10value_typeEPSL_NS1_7vsmem_tEENKUlT_SJ_SK_SL_E_clIPmSE_SF_SF_EESI_SY_SJ_SK_SL_EUlSY_E_NS1_11comp_targetILNS1_3genE10ELNS1_11target_archE1201ELNS1_3gpuE5ELNS1_3repE0EEENS1_48merge_mergepath_partition_config_static_selectorELNS0_4arch9wavefront6targetE0EEEvSK_.num_named_barrier, 0
	.set _ZN7rocprim17ROCPRIM_400000_NS6detail17trampoline_kernelINS0_14default_configENS1_38merge_sort_block_merge_config_selectorImNS0_10empty_typeEEEZZNS1_27merge_sort_block_merge_implIS3_N6thrust23THRUST_200600_302600_NS6detail15normal_iteratorINS9_10device_ptrImEEEEPS5_m11less_div_10ImEEE10hipError_tT0_T1_T2_jT3_P12ihipStream_tbPNSt15iterator_traitsISJ_E10value_typeEPNSP_ISK_E10value_typeEPSL_NS1_7vsmem_tEENKUlT_SJ_SK_SL_E_clIPmSE_SF_SF_EESI_SY_SJ_SK_SL_EUlSY_E_NS1_11comp_targetILNS1_3genE10ELNS1_11target_archE1201ELNS1_3gpuE5ELNS1_3repE0EEENS1_48merge_mergepath_partition_config_static_selectorELNS0_4arch9wavefront6targetE0EEEvSK_.private_seg_size, 0
	.set _ZN7rocprim17ROCPRIM_400000_NS6detail17trampoline_kernelINS0_14default_configENS1_38merge_sort_block_merge_config_selectorImNS0_10empty_typeEEEZZNS1_27merge_sort_block_merge_implIS3_N6thrust23THRUST_200600_302600_NS6detail15normal_iteratorINS9_10device_ptrImEEEEPS5_m11less_div_10ImEEE10hipError_tT0_T1_T2_jT3_P12ihipStream_tbPNSt15iterator_traitsISJ_E10value_typeEPNSP_ISK_E10value_typeEPSL_NS1_7vsmem_tEENKUlT_SJ_SK_SL_E_clIPmSE_SF_SF_EESI_SY_SJ_SK_SL_EUlSY_E_NS1_11comp_targetILNS1_3genE10ELNS1_11target_archE1201ELNS1_3gpuE5ELNS1_3repE0EEENS1_48merge_mergepath_partition_config_static_selectorELNS0_4arch9wavefront6targetE0EEEvSK_.uses_vcc, 0
	.set _ZN7rocprim17ROCPRIM_400000_NS6detail17trampoline_kernelINS0_14default_configENS1_38merge_sort_block_merge_config_selectorImNS0_10empty_typeEEEZZNS1_27merge_sort_block_merge_implIS3_N6thrust23THRUST_200600_302600_NS6detail15normal_iteratorINS9_10device_ptrImEEEEPS5_m11less_div_10ImEEE10hipError_tT0_T1_T2_jT3_P12ihipStream_tbPNSt15iterator_traitsISJ_E10value_typeEPNSP_ISK_E10value_typeEPSL_NS1_7vsmem_tEENKUlT_SJ_SK_SL_E_clIPmSE_SF_SF_EESI_SY_SJ_SK_SL_EUlSY_E_NS1_11comp_targetILNS1_3genE10ELNS1_11target_archE1201ELNS1_3gpuE5ELNS1_3repE0EEENS1_48merge_mergepath_partition_config_static_selectorELNS0_4arch9wavefront6targetE0EEEvSK_.uses_flat_scratch, 0
	.set _ZN7rocprim17ROCPRIM_400000_NS6detail17trampoline_kernelINS0_14default_configENS1_38merge_sort_block_merge_config_selectorImNS0_10empty_typeEEEZZNS1_27merge_sort_block_merge_implIS3_N6thrust23THRUST_200600_302600_NS6detail15normal_iteratorINS9_10device_ptrImEEEEPS5_m11less_div_10ImEEE10hipError_tT0_T1_T2_jT3_P12ihipStream_tbPNSt15iterator_traitsISJ_E10value_typeEPNSP_ISK_E10value_typeEPSL_NS1_7vsmem_tEENKUlT_SJ_SK_SL_E_clIPmSE_SF_SF_EESI_SY_SJ_SK_SL_EUlSY_E_NS1_11comp_targetILNS1_3genE10ELNS1_11target_archE1201ELNS1_3gpuE5ELNS1_3repE0EEENS1_48merge_mergepath_partition_config_static_selectorELNS0_4arch9wavefront6targetE0EEEvSK_.has_dyn_sized_stack, 0
	.set _ZN7rocprim17ROCPRIM_400000_NS6detail17trampoline_kernelINS0_14default_configENS1_38merge_sort_block_merge_config_selectorImNS0_10empty_typeEEEZZNS1_27merge_sort_block_merge_implIS3_N6thrust23THRUST_200600_302600_NS6detail15normal_iteratorINS9_10device_ptrImEEEEPS5_m11less_div_10ImEEE10hipError_tT0_T1_T2_jT3_P12ihipStream_tbPNSt15iterator_traitsISJ_E10value_typeEPNSP_ISK_E10value_typeEPSL_NS1_7vsmem_tEENKUlT_SJ_SK_SL_E_clIPmSE_SF_SF_EESI_SY_SJ_SK_SL_EUlSY_E_NS1_11comp_targetILNS1_3genE10ELNS1_11target_archE1201ELNS1_3gpuE5ELNS1_3repE0EEENS1_48merge_mergepath_partition_config_static_selectorELNS0_4arch9wavefront6targetE0EEEvSK_.has_recursion, 0
	.set _ZN7rocprim17ROCPRIM_400000_NS6detail17trampoline_kernelINS0_14default_configENS1_38merge_sort_block_merge_config_selectorImNS0_10empty_typeEEEZZNS1_27merge_sort_block_merge_implIS3_N6thrust23THRUST_200600_302600_NS6detail15normal_iteratorINS9_10device_ptrImEEEEPS5_m11less_div_10ImEEE10hipError_tT0_T1_T2_jT3_P12ihipStream_tbPNSt15iterator_traitsISJ_E10value_typeEPNSP_ISK_E10value_typeEPSL_NS1_7vsmem_tEENKUlT_SJ_SK_SL_E_clIPmSE_SF_SF_EESI_SY_SJ_SK_SL_EUlSY_E_NS1_11comp_targetILNS1_3genE10ELNS1_11target_archE1201ELNS1_3gpuE5ELNS1_3repE0EEENS1_48merge_mergepath_partition_config_static_selectorELNS0_4arch9wavefront6targetE0EEEvSK_.has_indirect_call, 0
	.section	.AMDGPU.csdata,"",@progbits
; Kernel info:
; codeLenInByte = 0
; TotalNumSgprs: 0
; NumVgprs: 0
; ScratchSize: 0
; MemoryBound: 0
; FloatMode: 240
; IeeeMode: 1
; LDSByteSize: 0 bytes/workgroup (compile time only)
; SGPRBlocks: 0
; VGPRBlocks: 0
; NumSGPRsForWavesPerEU: 1
; NumVGPRsForWavesPerEU: 1
; Occupancy: 16
; WaveLimiterHint : 0
; COMPUTE_PGM_RSRC2:SCRATCH_EN: 0
; COMPUTE_PGM_RSRC2:USER_SGPR: 6
; COMPUTE_PGM_RSRC2:TRAP_HANDLER: 0
; COMPUTE_PGM_RSRC2:TGID_X_EN: 1
; COMPUTE_PGM_RSRC2:TGID_Y_EN: 0
; COMPUTE_PGM_RSRC2:TGID_Z_EN: 0
; COMPUTE_PGM_RSRC2:TIDIG_COMP_CNT: 0
	.section	.text._ZN7rocprim17ROCPRIM_400000_NS6detail17trampoline_kernelINS0_14default_configENS1_38merge_sort_block_merge_config_selectorImNS0_10empty_typeEEEZZNS1_27merge_sort_block_merge_implIS3_N6thrust23THRUST_200600_302600_NS6detail15normal_iteratorINS9_10device_ptrImEEEEPS5_m11less_div_10ImEEE10hipError_tT0_T1_T2_jT3_P12ihipStream_tbPNSt15iterator_traitsISJ_E10value_typeEPNSP_ISK_E10value_typeEPSL_NS1_7vsmem_tEENKUlT_SJ_SK_SL_E_clIPmSE_SF_SF_EESI_SY_SJ_SK_SL_EUlSY_E_NS1_11comp_targetILNS1_3genE5ELNS1_11target_archE942ELNS1_3gpuE9ELNS1_3repE0EEENS1_48merge_mergepath_partition_config_static_selectorELNS0_4arch9wavefront6targetE0EEEvSK_,"axG",@progbits,_ZN7rocprim17ROCPRIM_400000_NS6detail17trampoline_kernelINS0_14default_configENS1_38merge_sort_block_merge_config_selectorImNS0_10empty_typeEEEZZNS1_27merge_sort_block_merge_implIS3_N6thrust23THRUST_200600_302600_NS6detail15normal_iteratorINS9_10device_ptrImEEEEPS5_m11less_div_10ImEEE10hipError_tT0_T1_T2_jT3_P12ihipStream_tbPNSt15iterator_traitsISJ_E10value_typeEPNSP_ISK_E10value_typeEPSL_NS1_7vsmem_tEENKUlT_SJ_SK_SL_E_clIPmSE_SF_SF_EESI_SY_SJ_SK_SL_EUlSY_E_NS1_11comp_targetILNS1_3genE5ELNS1_11target_archE942ELNS1_3gpuE9ELNS1_3repE0EEENS1_48merge_mergepath_partition_config_static_selectorELNS0_4arch9wavefront6targetE0EEEvSK_,comdat
	.protected	_ZN7rocprim17ROCPRIM_400000_NS6detail17trampoline_kernelINS0_14default_configENS1_38merge_sort_block_merge_config_selectorImNS0_10empty_typeEEEZZNS1_27merge_sort_block_merge_implIS3_N6thrust23THRUST_200600_302600_NS6detail15normal_iteratorINS9_10device_ptrImEEEEPS5_m11less_div_10ImEEE10hipError_tT0_T1_T2_jT3_P12ihipStream_tbPNSt15iterator_traitsISJ_E10value_typeEPNSP_ISK_E10value_typeEPSL_NS1_7vsmem_tEENKUlT_SJ_SK_SL_E_clIPmSE_SF_SF_EESI_SY_SJ_SK_SL_EUlSY_E_NS1_11comp_targetILNS1_3genE5ELNS1_11target_archE942ELNS1_3gpuE9ELNS1_3repE0EEENS1_48merge_mergepath_partition_config_static_selectorELNS0_4arch9wavefront6targetE0EEEvSK_ ; -- Begin function _ZN7rocprim17ROCPRIM_400000_NS6detail17trampoline_kernelINS0_14default_configENS1_38merge_sort_block_merge_config_selectorImNS0_10empty_typeEEEZZNS1_27merge_sort_block_merge_implIS3_N6thrust23THRUST_200600_302600_NS6detail15normal_iteratorINS9_10device_ptrImEEEEPS5_m11less_div_10ImEEE10hipError_tT0_T1_T2_jT3_P12ihipStream_tbPNSt15iterator_traitsISJ_E10value_typeEPNSP_ISK_E10value_typeEPSL_NS1_7vsmem_tEENKUlT_SJ_SK_SL_E_clIPmSE_SF_SF_EESI_SY_SJ_SK_SL_EUlSY_E_NS1_11comp_targetILNS1_3genE5ELNS1_11target_archE942ELNS1_3gpuE9ELNS1_3repE0EEENS1_48merge_mergepath_partition_config_static_selectorELNS0_4arch9wavefront6targetE0EEEvSK_
	.globl	_ZN7rocprim17ROCPRIM_400000_NS6detail17trampoline_kernelINS0_14default_configENS1_38merge_sort_block_merge_config_selectorImNS0_10empty_typeEEEZZNS1_27merge_sort_block_merge_implIS3_N6thrust23THRUST_200600_302600_NS6detail15normal_iteratorINS9_10device_ptrImEEEEPS5_m11less_div_10ImEEE10hipError_tT0_T1_T2_jT3_P12ihipStream_tbPNSt15iterator_traitsISJ_E10value_typeEPNSP_ISK_E10value_typeEPSL_NS1_7vsmem_tEENKUlT_SJ_SK_SL_E_clIPmSE_SF_SF_EESI_SY_SJ_SK_SL_EUlSY_E_NS1_11comp_targetILNS1_3genE5ELNS1_11target_archE942ELNS1_3gpuE9ELNS1_3repE0EEENS1_48merge_mergepath_partition_config_static_selectorELNS0_4arch9wavefront6targetE0EEEvSK_
	.p2align	8
	.type	_ZN7rocprim17ROCPRIM_400000_NS6detail17trampoline_kernelINS0_14default_configENS1_38merge_sort_block_merge_config_selectorImNS0_10empty_typeEEEZZNS1_27merge_sort_block_merge_implIS3_N6thrust23THRUST_200600_302600_NS6detail15normal_iteratorINS9_10device_ptrImEEEEPS5_m11less_div_10ImEEE10hipError_tT0_T1_T2_jT3_P12ihipStream_tbPNSt15iterator_traitsISJ_E10value_typeEPNSP_ISK_E10value_typeEPSL_NS1_7vsmem_tEENKUlT_SJ_SK_SL_E_clIPmSE_SF_SF_EESI_SY_SJ_SK_SL_EUlSY_E_NS1_11comp_targetILNS1_3genE5ELNS1_11target_archE942ELNS1_3gpuE9ELNS1_3repE0EEENS1_48merge_mergepath_partition_config_static_selectorELNS0_4arch9wavefront6targetE0EEEvSK_,@function
_ZN7rocprim17ROCPRIM_400000_NS6detail17trampoline_kernelINS0_14default_configENS1_38merge_sort_block_merge_config_selectorImNS0_10empty_typeEEEZZNS1_27merge_sort_block_merge_implIS3_N6thrust23THRUST_200600_302600_NS6detail15normal_iteratorINS9_10device_ptrImEEEEPS5_m11less_div_10ImEEE10hipError_tT0_T1_T2_jT3_P12ihipStream_tbPNSt15iterator_traitsISJ_E10value_typeEPNSP_ISK_E10value_typeEPSL_NS1_7vsmem_tEENKUlT_SJ_SK_SL_E_clIPmSE_SF_SF_EESI_SY_SJ_SK_SL_EUlSY_E_NS1_11comp_targetILNS1_3genE5ELNS1_11target_archE942ELNS1_3gpuE9ELNS1_3repE0EEENS1_48merge_mergepath_partition_config_static_selectorELNS0_4arch9wavefront6targetE0EEEvSK_: ; @_ZN7rocprim17ROCPRIM_400000_NS6detail17trampoline_kernelINS0_14default_configENS1_38merge_sort_block_merge_config_selectorImNS0_10empty_typeEEEZZNS1_27merge_sort_block_merge_implIS3_N6thrust23THRUST_200600_302600_NS6detail15normal_iteratorINS9_10device_ptrImEEEEPS5_m11less_div_10ImEEE10hipError_tT0_T1_T2_jT3_P12ihipStream_tbPNSt15iterator_traitsISJ_E10value_typeEPNSP_ISK_E10value_typeEPSL_NS1_7vsmem_tEENKUlT_SJ_SK_SL_E_clIPmSE_SF_SF_EESI_SY_SJ_SK_SL_EUlSY_E_NS1_11comp_targetILNS1_3genE5ELNS1_11target_archE942ELNS1_3gpuE9ELNS1_3repE0EEENS1_48merge_mergepath_partition_config_static_selectorELNS0_4arch9wavefront6targetE0EEEvSK_
; %bb.0:
	.section	.rodata,"a",@progbits
	.p2align	6, 0x0
	.amdhsa_kernel _ZN7rocprim17ROCPRIM_400000_NS6detail17trampoline_kernelINS0_14default_configENS1_38merge_sort_block_merge_config_selectorImNS0_10empty_typeEEEZZNS1_27merge_sort_block_merge_implIS3_N6thrust23THRUST_200600_302600_NS6detail15normal_iteratorINS9_10device_ptrImEEEEPS5_m11less_div_10ImEEE10hipError_tT0_T1_T2_jT3_P12ihipStream_tbPNSt15iterator_traitsISJ_E10value_typeEPNSP_ISK_E10value_typeEPSL_NS1_7vsmem_tEENKUlT_SJ_SK_SL_E_clIPmSE_SF_SF_EESI_SY_SJ_SK_SL_EUlSY_E_NS1_11comp_targetILNS1_3genE5ELNS1_11target_archE942ELNS1_3gpuE9ELNS1_3repE0EEENS1_48merge_mergepath_partition_config_static_selectorELNS0_4arch9wavefront6targetE0EEEvSK_
		.amdhsa_group_segment_fixed_size 0
		.amdhsa_private_segment_fixed_size 0
		.amdhsa_kernarg_size 48
		.amdhsa_user_sgpr_count 6
		.amdhsa_user_sgpr_private_segment_buffer 1
		.amdhsa_user_sgpr_dispatch_ptr 0
		.amdhsa_user_sgpr_queue_ptr 0
		.amdhsa_user_sgpr_kernarg_segment_ptr 1
		.amdhsa_user_sgpr_dispatch_id 0
		.amdhsa_user_sgpr_flat_scratch_init 0
		.amdhsa_user_sgpr_private_segment_size 0
		.amdhsa_wavefront_size32 1
		.amdhsa_uses_dynamic_stack 0
		.amdhsa_system_sgpr_private_segment_wavefront_offset 0
		.amdhsa_system_sgpr_workgroup_id_x 1
		.amdhsa_system_sgpr_workgroup_id_y 0
		.amdhsa_system_sgpr_workgroup_id_z 0
		.amdhsa_system_sgpr_workgroup_info 0
		.amdhsa_system_vgpr_workitem_id 0
		.amdhsa_next_free_vgpr 1
		.amdhsa_next_free_sgpr 1
		.amdhsa_reserve_vcc 0
		.amdhsa_reserve_flat_scratch 0
		.amdhsa_float_round_mode_32 0
		.amdhsa_float_round_mode_16_64 0
		.amdhsa_float_denorm_mode_32 3
		.amdhsa_float_denorm_mode_16_64 3
		.amdhsa_dx10_clamp 1
		.amdhsa_ieee_mode 1
		.amdhsa_fp16_overflow 0
		.amdhsa_workgroup_processor_mode 1
		.amdhsa_memory_ordered 1
		.amdhsa_forward_progress 1
		.amdhsa_shared_vgpr_count 0
		.amdhsa_exception_fp_ieee_invalid_op 0
		.amdhsa_exception_fp_denorm_src 0
		.amdhsa_exception_fp_ieee_div_zero 0
		.amdhsa_exception_fp_ieee_overflow 0
		.amdhsa_exception_fp_ieee_underflow 0
		.amdhsa_exception_fp_ieee_inexact 0
		.amdhsa_exception_int_div_zero 0
	.end_amdhsa_kernel
	.section	.text._ZN7rocprim17ROCPRIM_400000_NS6detail17trampoline_kernelINS0_14default_configENS1_38merge_sort_block_merge_config_selectorImNS0_10empty_typeEEEZZNS1_27merge_sort_block_merge_implIS3_N6thrust23THRUST_200600_302600_NS6detail15normal_iteratorINS9_10device_ptrImEEEEPS5_m11less_div_10ImEEE10hipError_tT0_T1_T2_jT3_P12ihipStream_tbPNSt15iterator_traitsISJ_E10value_typeEPNSP_ISK_E10value_typeEPSL_NS1_7vsmem_tEENKUlT_SJ_SK_SL_E_clIPmSE_SF_SF_EESI_SY_SJ_SK_SL_EUlSY_E_NS1_11comp_targetILNS1_3genE5ELNS1_11target_archE942ELNS1_3gpuE9ELNS1_3repE0EEENS1_48merge_mergepath_partition_config_static_selectorELNS0_4arch9wavefront6targetE0EEEvSK_,"axG",@progbits,_ZN7rocprim17ROCPRIM_400000_NS6detail17trampoline_kernelINS0_14default_configENS1_38merge_sort_block_merge_config_selectorImNS0_10empty_typeEEEZZNS1_27merge_sort_block_merge_implIS3_N6thrust23THRUST_200600_302600_NS6detail15normal_iteratorINS9_10device_ptrImEEEEPS5_m11less_div_10ImEEE10hipError_tT0_T1_T2_jT3_P12ihipStream_tbPNSt15iterator_traitsISJ_E10value_typeEPNSP_ISK_E10value_typeEPSL_NS1_7vsmem_tEENKUlT_SJ_SK_SL_E_clIPmSE_SF_SF_EESI_SY_SJ_SK_SL_EUlSY_E_NS1_11comp_targetILNS1_3genE5ELNS1_11target_archE942ELNS1_3gpuE9ELNS1_3repE0EEENS1_48merge_mergepath_partition_config_static_selectorELNS0_4arch9wavefront6targetE0EEEvSK_,comdat
.Lfunc_end619:
	.size	_ZN7rocprim17ROCPRIM_400000_NS6detail17trampoline_kernelINS0_14default_configENS1_38merge_sort_block_merge_config_selectorImNS0_10empty_typeEEEZZNS1_27merge_sort_block_merge_implIS3_N6thrust23THRUST_200600_302600_NS6detail15normal_iteratorINS9_10device_ptrImEEEEPS5_m11less_div_10ImEEE10hipError_tT0_T1_T2_jT3_P12ihipStream_tbPNSt15iterator_traitsISJ_E10value_typeEPNSP_ISK_E10value_typeEPSL_NS1_7vsmem_tEENKUlT_SJ_SK_SL_E_clIPmSE_SF_SF_EESI_SY_SJ_SK_SL_EUlSY_E_NS1_11comp_targetILNS1_3genE5ELNS1_11target_archE942ELNS1_3gpuE9ELNS1_3repE0EEENS1_48merge_mergepath_partition_config_static_selectorELNS0_4arch9wavefront6targetE0EEEvSK_, .Lfunc_end619-_ZN7rocprim17ROCPRIM_400000_NS6detail17trampoline_kernelINS0_14default_configENS1_38merge_sort_block_merge_config_selectorImNS0_10empty_typeEEEZZNS1_27merge_sort_block_merge_implIS3_N6thrust23THRUST_200600_302600_NS6detail15normal_iteratorINS9_10device_ptrImEEEEPS5_m11less_div_10ImEEE10hipError_tT0_T1_T2_jT3_P12ihipStream_tbPNSt15iterator_traitsISJ_E10value_typeEPNSP_ISK_E10value_typeEPSL_NS1_7vsmem_tEENKUlT_SJ_SK_SL_E_clIPmSE_SF_SF_EESI_SY_SJ_SK_SL_EUlSY_E_NS1_11comp_targetILNS1_3genE5ELNS1_11target_archE942ELNS1_3gpuE9ELNS1_3repE0EEENS1_48merge_mergepath_partition_config_static_selectorELNS0_4arch9wavefront6targetE0EEEvSK_
                                        ; -- End function
	.set _ZN7rocprim17ROCPRIM_400000_NS6detail17trampoline_kernelINS0_14default_configENS1_38merge_sort_block_merge_config_selectorImNS0_10empty_typeEEEZZNS1_27merge_sort_block_merge_implIS3_N6thrust23THRUST_200600_302600_NS6detail15normal_iteratorINS9_10device_ptrImEEEEPS5_m11less_div_10ImEEE10hipError_tT0_T1_T2_jT3_P12ihipStream_tbPNSt15iterator_traitsISJ_E10value_typeEPNSP_ISK_E10value_typeEPSL_NS1_7vsmem_tEENKUlT_SJ_SK_SL_E_clIPmSE_SF_SF_EESI_SY_SJ_SK_SL_EUlSY_E_NS1_11comp_targetILNS1_3genE5ELNS1_11target_archE942ELNS1_3gpuE9ELNS1_3repE0EEENS1_48merge_mergepath_partition_config_static_selectorELNS0_4arch9wavefront6targetE0EEEvSK_.num_vgpr, 0
	.set _ZN7rocprim17ROCPRIM_400000_NS6detail17trampoline_kernelINS0_14default_configENS1_38merge_sort_block_merge_config_selectorImNS0_10empty_typeEEEZZNS1_27merge_sort_block_merge_implIS3_N6thrust23THRUST_200600_302600_NS6detail15normal_iteratorINS9_10device_ptrImEEEEPS5_m11less_div_10ImEEE10hipError_tT0_T1_T2_jT3_P12ihipStream_tbPNSt15iterator_traitsISJ_E10value_typeEPNSP_ISK_E10value_typeEPSL_NS1_7vsmem_tEENKUlT_SJ_SK_SL_E_clIPmSE_SF_SF_EESI_SY_SJ_SK_SL_EUlSY_E_NS1_11comp_targetILNS1_3genE5ELNS1_11target_archE942ELNS1_3gpuE9ELNS1_3repE0EEENS1_48merge_mergepath_partition_config_static_selectorELNS0_4arch9wavefront6targetE0EEEvSK_.num_agpr, 0
	.set _ZN7rocprim17ROCPRIM_400000_NS6detail17trampoline_kernelINS0_14default_configENS1_38merge_sort_block_merge_config_selectorImNS0_10empty_typeEEEZZNS1_27merge_sort_block_merge_implIS3_N6thrust23THRUST_200600_302600_NS6detail15normal_iteratorINS9_10device_ptrImEEEEPS5_m11less_div_10ImEEE10hipError_tT0_T1_T2_jT3_P12ihipStream_tbPNSt15iterator_traitsISJ_E10value_typeEPNSP_ISK_E10value_typeEPSL_NS1_7vsmem_tEENKUlT_SJ_SK_SL_E_clIPmSE_SF_SF_EESI_SY_SJ_SK_SL_EUlSY_E_NS1_11comp_targetILNS1_3genE5ELNS1_11target_archE942ELNS1_3gpuE9ELNS1_3repE0EEENS1_48merge_mergepath_partition_config_static_selectorELNS0_4arch9wavefront6targetE0EEEvSK_.numbered_sgpr, 0
	.set _ZN7rocprim17ROCPRIM_400000_NS6detail17trampoline_kernelINS0_14default_configENS1_38merge_sort_block_merge_config_selectorImNS0_10empty_typeEEEZZNS1_27merge_sort_block_merge_implIS3_N6thrust23THRUST_200600_302600_NS6detail15normal_iteratorINS9_10device_ptrImEEEEPS5_m11less_div_10ImEEE10hipError_tT0_T1_T2_jT3_P12ihipStream_tbPNSt15iterator_traitsISJ_E10value_typeEPNSP_ISK_E10value_typeEPSL_NS1_7vsmem_tEENKUlT_SJ_SK_SL_E_clIPmSE_SF_SF_EESI_SY_SJ_SK_SL_EUlSY_E_NS1_11comp_targetILNS1_3genE5ELNS1_11target_archE942ELNS1_3gpuE9ELNS1_3repE0EEENS1_48merge_mergepath_partition_config_static_selectorELNS0_4arch9wavefront6targetE0EEEvSK_.num_named_barrier, 0
	.set _ZN7rocprim17ROCPRIM_400000_NS6detail17trampoline_kernelINS0_14default_configENS1_38merge_sort_block_merge_config_selectorImNS0_10empty_typeEEEZZNS1_27merge_sort_block_merge_implIS3_N6thrust23THRUST_200600_302600_NS6detail15normal_iteratorINS9_10device_ptrImEEEEPS5_m11less_div_10ImEEE10hipError_tT0_T1_T2_jT3_P12ihipStream_tbPNSt15iterator_traitsISJ_E10value_typeEPNSP_ISK_E10value_typeEPSL_NS1_7vsmem_tEENKUlT_SJ_SK_SL_E_clIPmSE_SF_SF_EESI_SY_SJ_SK_SL_EUlSY_E_NS1_11comp_targetILNS1_3genE5ELNS1_11target_archE942ELNS1_3gpuE9ELNS1_3repE0EEENS1_48merge_mergepath_partition_config_static_selectorELNS0_4arch9wavefront6targetE0EEEvSK_.private_seg_size, 0
	.set _ZN7rocprim17ROCPRIM_400000_NS6detail17trampoline_kernelINS0_14default_configENS1_38merge_sort_block_merge_config_selectorImNS0_10empty_typeEEEZZNS1_27merge_sort_block_merge_implIS3_N6thrust23THRUST_200600_302600_NS6detail15normal_iteratorINS9_10device_ptrImEEEEPS5_m11less_div_10ImEEE10hipError_tT0_T1_T2_jT3_P12ihipStream_tbPNSt15iterator_traitsISJ_E10value_typeEPNSP_ISK_E10value_typeEPSL_NS1_7vsmem_tEENKUlT_SJ_SK_SL_E_clIPmSE_SF_SF_EESI_SY_SJ_SK_SL_EUlSY_E_NS1_11comp_targetILNS1_3genE5ELNS1_11target_archE942ELNS1_3gpuE9ELNS1_3repE0EEENS1_48merge_mergepath_partition_config_static_selectorELNS0_4arch9wavefront6targetE0EEEvSK_.uses_vcc, 0
	.set _ZN7rocprim17ROCPRIM_400000_NS6detail17trampoline_kernelINS0_14default_configENS1_38merge_sort_block_merge_config_selectorImNS0_10empty_typeEEEZZNS1_27merge_sort_block_merge_implIS3_N6thrust23THRUST_200600_302600_NS6detail15normal_iteratorINS9_10device_ptrImEEEEPS5_m11less_div_10ImEEE10hipError_tT0_T1_T2_jT3_P12ihipStream_tbPNSt15iterator_traitsISJ_E10value_typeEPNSP_ISK_E10value_typeEPSL_NS1_7vsmem_tEENKUlT_SJ_SK_SL_E_clIPmSE_SF_SF_EESI_SY_SJ_SK_SL_EUlSY_E_NS1_11comp_targetILNS1_3genE5ELNS1_11target_archE942ELNS1_3gpuE9ELNS1_3repE0EEENS1_48merge_mergepath_partition_config_static_selectorELNS0_4arch9wavefront6targetE0EEEvSK_.uses_flat_scratch, 0
	.set _ZN7rocprim17ROCPRIM_400000_NS6detail17trampoline_kernelINS0_14default_configENS1_38merge_sort_block_merge_config_selectorImNS0_10empty_typeEEEZZNS1_27merge_sort_block_merge_implIS3_N6thrust23THRUST_200600_302600_NS6detail15normal_iteratorINS9_10device_ptrImEEEEPS5_m11less_div_10ImEEE10hipError_tT0_T1_T2_jT3_P12ihipStream_tbPNSt15iterator_traitsISJ_E10value_typeEPNSP_ISK_E10value_typeEPSL_NS1_7vsmem_tEENKUlT_SJ_SK_SL_E_clIPmSE_SF_SF_EESI_SY_SJ_SK_SL_EUlSY_E_NS1_11comp_targetILNS1_3genE5ELNS1_11target_archE942ELNS1_3gpuE9ELNS1_3repE0EEENS1_48merge_mergepath_partition_config_static_selectorELNS0_4arch9wavefront6targetE0EEEvSK_.has_dyn_sized_stack, 0
	.set _ZN7rocprim17ROCPRIM_400000_NS6detail17trampoline_kernelINS0_14default_configENS1_38merge_sort_block_merge_config_selectorImNS0_10empty_typeEEEZZNS1_27merge_sort_block_merge_implIS3_N6thrust23THRUST_200600_302600_NS6detail15normal_iteratorINS9_10device_ptrImEEEEPS5_m11less_div_10ImEEE10hipError_tT0_T1_T2_jT3_P12ihipStream_tbPNSt15iterator_traitsISJ_E10value_typeEPNSP_ISK_E10value_typeEPSL_NS1_7vsmem_tEENKUlT_SJ_SK_SL_E_clIPmSE_SF_SF_EESI_SY_SJ_SK_SL_EUlSY_E_NS1_11comp_targetILNS1_3genE5ELNS1_11target_archE942ELNS1_3gpuE9ELNS1_3repE0EEENS1_48merge_mergepath_partition_config_static_selectorELNS0_4arch9wavefront6targetE0EEEvSK_.has_recursion, 0
	.set _ZN7rocprim17ROCPRIM_400000_NS6detail17trampoline_kernelINS0_14default_configENS1_38merge_sort_block_merge_config_selectorImNS0_10empty_typeEEEZZNS1_27merge_sort_block_merge_implIS3_N6thrust23THRUST_200600_302600_NS6detail15normal_iteratorINS9_10device_ptrImEEEEPS5_m11less_div_10ImEEE10hipError_tT0_T1_T2_jT3_P12ihipStream_tbPNSt15iterator_traitsISJ_E10value_typeEPNSP_ISK_E10value_typeEPSL_NS1_7vsmem_tEENKUlT_SJ_SK_SL_E_clIPmSE_SF_SF_EESI_SY_SJ_SK_SL_EUlSY_E_NS1_11comp_targetILNS1_3genE5ELNS1_11target_archE942ELNS1_3gpuE9ELNS1_3repE0EEENS1_48merge_mergepath_partition_config_static_selectorELNS0_4arch9wavefront6targetE0EEEvSK_.has_indirect_call, 0
	.section	.AMDGPU.csdata,"",@progbits
; Kernel info:
; codeLenInByte = 0
; TotalNumSgprs: 0
; NumVgprs: 0
; ScratchSize: 0
; MemoryBound: 0
; FloatMode: 240
; IeeeMode: 1
; LDSByteSize: 0 bytes/workgroup (compile time only)
; SGPRBlocks: 0
; VGPRBlocks: 0
; NumSGPRsForWavesPerEU: 1
; NumVGPRsForWavesPerEU: 1
; Occupancy: 16
; WaveLimiterHint : 0
; COMPUTE_PGM_RSRC2:SCRATCH_EN: 0
; COMPUTE_PGM_RSRC2:USER_SGPR: 6
; COMPUTE_PGM_RSRC2:TRAP_HANDLER: 0
; COMPUTE_PGM_RSRC2:TGID_X_EN: 1
; COMPUTE_PGM_RSRC2:TGID_Y_EN: 0
; COMPUTE_PGM_RSRC2:TGID_Z_EN: 0
; COMPUTE_PGM_RSRC2:TIDIG_COMP_CNT: 0
	.section	.text._ZN7rocprim17ROCPRIM_400000_NS6detail17trampoline_kernelINS0_14default_configENS1_38merge_sort_block_merge_config_selectorImNS0_10empty_typeEEEZZNS1_27merge_sort_block_merge_implIS3_N6thrust23THRUST_200600_302600_NS6detail15normal_iteratorINS9_10device_ptrImEEEEPS5_m11less_div_10ImEEE10hipError_tT0_T1_T2_jT3_P12ihipStream_tbPNSt15iterator_traitsISJ_E10value_typeEPNSP_ISK_E10value_typeEPSL_NS1_7vsmem_tEENKUlT_SJ_SK_SL_E_clIPmSE_SF_SF_EESI_SY_SJ_SK_SL_EUlSY_E_NS1_11comp_targetILNS1_3genE4ELNS1_11target_archE910ELNS1_3gpuE8ELNS1_3repE0EEENS1_48merge_mergepath_partition_config_static_selectorELNS0_4arch9wavefront6targetE0EEEvSK_,"axG",@progbits,_ZN7rocprim17ROCPRIM_400000_NS6detail17trampoline_kernelINS0_14default_configENS1_38merge_sort_block_merge_config_selectorImNS0_10empty_typeEEEZZNS1_27merge_sort_block_merge_implIS3_N6thrust23THRUST_200600_302600_NS6detail15normal_iteratorINS9_10device_ptrImEEEEPS5_m11less_div_10ImEEE10hipError_tT0_T1_T2_jT3_P12ihipStream_tbPNSt15iterator_traitsISJ_E10value_typeEPNSP_ISK_E10value_typeEPSL_NS1_7vsmem_tEENKUlT_SJ_SK_SL_E_clIPmSE_SF_SF_EESI_SY_SJ_SK_SL_EUlSY_E_NS1_11comp_targetILNS1_3genE4ELNS1_11target_archE910ELNS1_3gpuE8ELNS1_3repE0EEENS1_48merge_mergepath_partition_config_static_selectorELNS0_4arch9wavefront6targetE0EEEvSK_,comdat
	.protected	_ZN7rocprim17ROCPRIM_400000_NS6detail17trampoline_kernelINS0_14default_configENS1_38merge_sort_block_merge_config_selectorImNS0_10empty_typeEEEZZNS1_27merge_sort_block_merge_implIS3_N6thrust23THRUST_200600_302600_NS6detail15normal_iteratorINS9_10device_ptrImEEEEPS5_m11less_div_10ImEEE10hipError_tT0_T1_T2_jT3_P12ihipStream_tbPNSt15iterator_traitsISJ_E10value_typeEPNSP_ISK_E10value_typeEPSL_NS1_7vsmem_tEENKUlT_SJ_SK_SL_E_clIPmSE_SF_SF_EESI_SY_SJ_SK_SL_EUlSY_E_NS1_11comp_targetILNS1_3genE4ELNS1_11target_archE910ELNS1_3gpuE8ELNS1_3repE0EEENS1_48merge_mergepath_partition_config_static_selectorELNS0_4arch9wavefront6targetE0EEEvSK_ ; -- Begin function _ZN7rocprim17ROCPRIM_400000_NS6detail17trampoline_kernelINS0_14default_configENS1_38merge_sort_block_merge_config_selectorImNS0_10empty_typeEEEZZNS1_27merge_sort_block_merge_implIS3_N6thrust23THRUST_200600_302600_NS6detail15normal_iteratorINS9_10device_ptrImEEEEPS5_m11less_div_10ImEEE10hipError_tT0_T1_T2_jT3_P12ihipStream_tbPNSt15iterator_traitsISJ_E10value_typeEPNSP_ISK_E10value_typeEPSL_NS1_7vsmem_tEENKUlT_SJ_SK_SL_E_clIPmSE_SF_SF_EESI_SY_SJ_SK_SL_EUlSY_E_NS1_11comp_targetILNS1_3genE4ELNS1_11target_archE910ELNS1_3gpuE8ELNS1_3repE0EEENS1_48merge_mergepath_partition_config_static_selectorELNS0_4arch9wavefront6targetE0EEEvSK_
	.globl	_ZN7rocprim17ROCPRIM_400000_NS6detail17trampoline_kernelINS0_14default_configENS1_38merge_sort_block_merge_config_selectorImNS0_10empty_typeEEEZZNS1_27merge_sort_block_merge_implIS3_N6thrust23THRUST_200600_302600_NS6detail15normal_iteratorINS9_10device_ptrImEEEEPS5_m11less_div_10ImEEE10hipError_tT0_T1_T2_jT3_P12ihipStream_tbPNSt15iterator_traitsISJ_E10value_typeEPNSP_ISK_E10value_typeEPSL_NS1_7vsmem_tEENKUlT_SJ_SK_SL_E_clIPmSE_SF_SF_EESI_SY_SJ_SK_SL_EUlSY_E_NS1_11comp_targetILNS1_3genE4ELNS1_11target_archE910ELNS1_3gpuE8ELNS1_3repE0EEENS1_48merge_mergepath_partition_config_static_selectorELNS0_4arch9wavefront6targetE0EEEvSK_
	.p2align	8
	.type	_ZN7rocprim17ROCPRIM_400000_NS6detail17trampoline_kernelINS0_14default_configENS1_38merge_sort_block_merge_config_selectorImNS0_10empty_typeEEEZZNS1_27merge_sort_block_merge_implIS3_N6thrust23THRUST_200600_302600_NS6detail15normal_iteratorINS9_10device_ptrImEEEEPS5_m11less_div_10ImEEE10hipError_tT0_T1_T2_jT3_P12ihipStream_tbPNSt15iterator_traitsISJ_E10value_typeEPNSP_ISK_E10value_typeEPSL_NS1_7vsmem_tEENKUlT_SJ_SK_SL_E_clIPmSE_SF_SF_EESI_SY_SJ_SK_SL_EUlSY_E_NS1_11comp_targetILNS1_3genE4ELNS1_11target_archE910ELNS1_3gpuE8ELNS1_3repE0EEENS1_48merge_mergepath_partition_config_static_selectorELNS0_4arch9wavefront6targetE0EEEvSK_,@function
_ZN7rocprim17ROCPRIM_400000_NS6detail17trampoline_kernelINS0_14default_configENS1_38merge_sort_block_merge_config_selectorImNS0_10empty_typeEEEZZNS1_27merge_sort_block_merge_implIS3_N6thrust23THRUST_200600_302600_NS6detail15normal_iteratorINS9_10device_ptrImEEEEPS5_m11less_div_10ImEEE10hipError_tT0_T1_T2_jT3_P12ihipStream_tbPNSt15iterator_traitsISJ_E10value_typeEPNSP_ISK_E10value_typeEPSL_NS1_7vsmem_tEENKUlT_SJ_SK_SL_E_clIPmSE_SF_SF_EESI_SY_SJ_SK_SL_EUlSY_E_NS1_11comp_targetILNS1_3genE4ELNS1_11target_archE910ELNS1_3gpuE8ELNS1_3repE0EEENS1_48merge_mergepath_partition_config_static_selectorELNS0_4arch9wavefront6targetE0EEEvSK_: ; @_ZN7rocprim17ROCPRIM_400000_NS6detail17trampoline_kernelINS0_14default_configENS1_38merge_sort_block_merge_config_selectorImNS0_10empty_typeEEEZZNS1_27merge_sort_block_merge_implIS3_N6thrust23THRUST_200600_302600_NS6detail15normal_iteratorINS9_10device_ptrImEEEEPS5_m11less_div_10ImEEE10hipError_tT0_T1_T2_jT3_P12ihipStream_tbPNSt15iterator_traitsISJ_E10value_typeEPNSP_ISK_E10value_typeEPSL_NS1_7vsmem_tEENKUlT_SJ_SK_SL_E_clIPmSE_SF_SF_EESI_SY_SJ_SK_SL_EUlSY_E_NS1_11comp_targetILNS1_3genE4ELNS1_11target_archE910ELNS1_3gpuE8ELNS1_3repE0EEENS1_48merge_mergepath_partition_config_static_selectorELNS0_4arch9wavefront6targetE0EEEvSK_
; %bb.0:
	.section	.rodata,"a",@progbits
	.p2align	6, 0x0
	.amdhsa_kernel _ZN7rocprim17ROCPRIM_400000_NS6detail17trampoline_kernelINS0_14default_configENS1_38merge_sort_block_merge_config_selectorImNS0_10empty_typeEEEZZNS1_27merge_sort_block_merge_implIS3_N6thrust23THRUST_200600_302600_NS6detail15normal_iteratorINS9_10device_ptrImEEEEPS5_m11less_div_10ImEEE10hipError_tT0_T1_T2_jT3_P12ihipStream_tbPNSt15iterator_traitsISJ_E10value_typeEPNSP_ISK_E10value_typeEPSL_NS1_7vsmem_tEENKUlT_SJ_SK_SL_E_clIPmSE_SF_SF_EESI_SY_SJ_SK_SL_EUlSY_E_NS1_11comp_targetILNS1_3genE4ELNS1_11target_archE910ELNS1_3gpuE8ELNS1_3repE0EEENS1_48merge_mergepath_partition_config_static_selectorELNS0_4arch9wavefront6targetE0EEEvSK_
		.amdhsa_group_segment_fixed_size 0
		.amdhsa_private_segment_fixed_size 0
		.amdhsa_kernarg_size 48
		.amdhsa_user_sgpr_count 6
		.amdhsa_user_sgpr_private_segment_buffer 1
		.amdhsa_user_sgpr_dispatch_ptr 0
		.amdhsa_user_sgpr_queue_ptr 0
		.amdhsa_user_sgpr_kernarg_segment_ptr 1
		.amdhsa_user_sgpr_dispatch_id 0
		.amdhsa_user_sgpr_flat_scratch_init 0
		.amdhsa_user_sgpr_private_segment_size 0
		.amdhsa_wavefront_size32 1
		.amdhsa_uses_dynamic_stack 0
		.amdhsa_system_sgpr_private_segment_wavefront_offset 0
		.amdhsa_system_sgpr_workgroup_id_x 1
		.amdhsa_system_sgpr_workgroup_id_y 0
		.amdhsa_system_sgpr_workgroup_id_z 0
		.amdhsa_system_sgpr_workgroup_info 0
		.amdhsa_system_vgpr_workitem_id 0
		.amdhsa_next_free_vgpr 1
		.amdhsa_next_free_sgpr 1
		.amdhsa_reserve_vcc 0
		.amdhsa_reserve_flat_scratch 0
		.amdhsa_float_round_mode_32 0
		.amdhsa_float_round_mode_16_64 0
		.amdhsa_float_denorm_mode_32 3
		.amdhsa_float_denorm_mode_16_64 3
		.amdhsa_dx10_clamp 1
		.amdhsa_ieee_mode 1
		.amdhsa_fp16_overflow 0
		.amdhsa_workgroup_processor_mode 1
		.amdhsa_memory_ordered 1
		.amdhsa_forward_progress 1
		.amdhsa_shared_vgpr_count 0
		.amdhsa_exception_fp_ieee_invalid_op 0
		.amdhsa_exception_fp_denorm_src 0
		.amdhsa_exception_fp_ieee_div_zero 0
		.amdhsa_exception_fp_ieee_overflow 0
		.amdhsa_exception_fp_ieee_underflow 0
		.amdhsa_exception_fp_ieee_inexact 0
		.amdhsa_exception_int_div_zero 0
	.end_amdhsa_kernel
	.section	.text._ZN7rocprim17ROCPRIM_400000_NS6detail17trampoline_kernelINS0_14default_configENS1_38merge_sort_block_merge_config_selectorImNS0_10empty_typeEEEZZNS1_27merge_sort_block_merge_implIS3_N6thrust23THRUST_200600_302600_NS6detail15normal_iteratorINS9_10device_ptrImEEEEPS5_m11less_div_10ImEEE10hipError_tT0_T1_T2_jT3_P12ihipStream_tbPNSt15iterator_traitsISJ_E10value_typeEPNSP_ISK_E10value_typeEPSL_NS1_7vsmem_tEENKUlT_SJ_SK_SL_E_clIPmSE_SF_SF_EESI_SY_SJ_SK_SL_EUlSY_E_NS1_11comp_targetILNS1_3genE4ELNS1_11target_archE910ELNS1_3gpuE8ELNS1_3repE0EEENS1_48merge_mergepath_partition_config_static_selectorELNS0_4arch9wavefront6targetE0EEEvSK_,"axG",@progbits,_ZN7rocprim17ROCPRIM_400000_NS6detail17trampoline_kernelINS0_14default_configENS1_38merge_sort_block_merge_config_selectorImNS0_10empty_typeEEEZZNS1_27merge_sort_block_merge_implIS3_N6thrust23THRUST_200600_302600_NS6detail15normal_iteratorINS9_10device_ptrImEEEEPS5_m11less_div_10ImEEE10hipError_tT0_T1_T2_jT3_P12ihipStream_tbPNSt15iterator_traitsISJ_E10value_typeEPNSP_ISK_E10value_typeEPSL_NS1_7vsmem_tEENKUlT_SJ_SK_SL_E_clIPmSE_SF_SF_EESI_SY_SJ_SK_SL_EUlSY_E_NS1_11comp_targetILNS1_3genE4ELNS1_11target_archE910ELNS1_3gpuE8ELNS1_3repE0EEENS1_48merge_mergepath_partition_config_static_selectorELNS0_4arch9wavefront6targetE0EEEvSK_,comdat
.Lfunc_end620:
	.size	_ZN7rocprim17ROCPRIM_400000_NS6detail17trampoline_kernelINS0_14default_configENS1_38merge_sort_block_merge_config_selectorImNS0_10empty_typeEEEZZNS1_27merge_sort_block_merge_implIS3_N6thrust23THRUST_200600_302600_NS6detail15normal_iteratorINS9_10device_ptrImEEEEPS5_m11less_div_10ImEEE10hipError_tT0_T1_T2_jT3_P12ihipStream_tbPNSt15iterator_traitsISJ_E10value_typeEPNSP_ISK_E10value_typeEPSL_NS1_7vsmem_tEENKUlT_SJ_SK_SL_E_clIPmSE_SF_SF_EESI_SY_SJ_SK_SL_EUlSY_E_NS1_11comp_targetILNS1_3genE4ELNS1_11target_archE910ELNS1_3gpuE8ELNS1_3repE0EEENS1_48merge_mergepath_partition_config_static_selectorELNS0_4arch9wavefront6targetE0EEEvSK_, .Lfunc_end620-_ZN7rocprim17ROCPRIM_400000_NS6detail17trampoline_kernelINS0_14default_configENS1_38merge_sort_block_merge_config_selectorImNS0_10empty_typeEEEZZNS1_27merge_sort_block_merge_implIS3_N6thrust23THRUST_200600_302600_NS6detail15normal_iteratorINS9_10device_ptrImEEEEPS5_m11less_div_10ImEEE10hipError_tT0_T1_T2_jT3_P12ihipStream_tbPNSt15iterator_traitsISJ_E10value_typeEPNSP_ISK_E10value_typeEPSL_NS1_7vsmem_tEENKUlT_SJ_SK_SL_E_clIPmSE_SF_SF_EESI_SY_SJ_SK_SL_EUlSY_E_NS1_11comp_targetILNS1_3genE4ELNS1_11target_archE910ELNS1_3gpuE8ELNS1_3repE0EEENS1_48merge_mergepath_partition_config_static_selectorELNS0_4arch9wavefront6targetE0EEEvSK_
                                        ; -- End function
	.set _ZN7rocprim17ROCPRIM_400000_NS6detail17trampoline_kernelINS0_14default_configENS1_38merge_sort_block_merge_config_selectorImNS0_10empty_typeEEEZZNS1_27merge_sort_block_merge_implIS3_N6thrust23THRUST_200600_302600_NS6detail15normal_iteratorINS9_10device_ptrImEEEEPS5_m11less_div_10ImEEE10hipError_tT0_T1_T2_jT3_P12ihipStream_tbPNSt15iterator_traitsISJ_E10value_typeEPNSP_ISK_E10value_typeEPSL_NS1_7vsmem_tEENKUlT_SJ_SK_SL_E_clIPmSE_SF_SF_EESI_SY_SJ_SK_SL_EUlSY_E_NS1_11comp_targetILNS1_3genE4ELNS1_11target_archE910ELNS1_3gpuE8ELNS1_3repE0EEENS1_48merge_mergepath_partition_config_static_selectorELNS0_4arch9wavefront6targetE0EEEvSK_.num_vgpr, 0
	.set _ZN7rocprim17ROCPRIM_400000_NS6detail17trampoline_kernelINS0_14default_configENS1_38merge_sort_block_merge_config_selectorImNS0_10empty_typeEEEZZNS1_27merge_sort_block_merge_implIS3_N6thrust23THRUST_200600_302600_NS6detail15normal_iteratorINS9_10device_ptrImEEEEPS5_m11less_div_10ImEEE10hipError_tT0_T1_T2_jT3_P12ihipStream_tbPNSt15iterator_traitsISJ_E10value_typeEPNSP_ISK_E10value_typeEPSL_NS1_7vsmem_tEENKUlT_SJ_SK_SL_E_clIPmSE_SF_SF_EESI_SY_SJ_SK_SL_EUlSY_E_NS1_11comp_targetILNS1_3genE4ELNS1_11target_archE910ELNS1_3gpuE8ELNS1_3repE0EEENS1_48merge_mergepath_partition_config_static_selectorELNS0_4arch9wavefront6targetE0EEEvSK_.num_agpr, 0
	.set _ZN7rocprim17ROCPRIM_400000_NS6detail17trampoline_kernelINS0_14default_configENS1_38merge_sort_block_merge_config_selectorImNS0_10empty_typeEEEZZNS1_27merge_sort_block_merge_implIS3_N6thrust23THRUST_200600_302600_NS6detail15normal_iteratorINS9_10device_ptrImEEEEPS5_m11less_div_10ImEEE10hipError_tT0_T1_T2_jT3_P12ihipStream_tbPNSt15iterator_traitsISJ_E10value_typeEPNSP_ISK_E10value_typeEPSL_NS1_7vsmem_tEENKUlT_SJ_SK_SL_E_clIPmSE_SF_SF_EESI_SY_SJ_SK_SL_EUlSY_E_NS1_11comp_targetILNS1_3genE4ELNS1_11target_archE910ELNS1_3gpuE8ELNS1_3repE0EEENS1_48merge_mergepath_partition_config_static_selectorELNS0_4arch9wavefront6targetE0EEEvSK_.numbered_sgpr, 0
	.set _ZN7rocprim17ROCPRIM_400000_NS6detail17trampoline_kernelINS0_14default_configENS1_38merge_sort_block_merge_config_selectorImNS0_10empty_typeEEEZZNS1_27merge_sort_block_merge_implIS3_N6thrust23THRUST_200600_302600_NS6detail15normal_iteratorINS9_10device_ptrImEEEEPS5_m11less_div_10ImEEE10hipError_tT0_T1_T2_jT3_P12ihipStream_tbPNSt15iterator_traitsISJ_E10value_typeEPNSP_ISK_E10value_typeEPSL_NS1_7vsmem_tEENKUlT_SJ_SK_SL_E_clIPmSE_SF_SF_EESI_SY_SJ_SK_SL_EUlSY_E_NS1_11comp_targetILNS1_3genE4ELNS1_11target_archE910ELNS1_3gpuE8ELNS1_3repE0EEENS1_48merge_mergepath_partition_config_static_selectorELNS0_4arch9wavefront6targetE0EEEvSK_.num_named_barrier, 0
	.set _ZN7rocprim17ROCPRIM_400000_NS6detail17trampoline_kernelINS0_14default_configENS1_38merge_sort_block_merge_config_selectorImNS0_10empty_typeEEEZZNS1_27merge_sort_block_merge_implIS3_N6thrust23THRUST_200600_302600_NS6detail15normal_iteratorINS9_10device_ptrImEEEEPS5_m11less_div_10ImEEE10hipError_tT0_T1_T2_jT3_P12ihipStream_tbPNSt15iterator_traitsISJ_E10value_typeEPNSP_ISK_E10value_typeEPSL_NS1_7vsmem_tEENKUlT_SJ_SK_SL_E_clIPmSE_SF_SF_EESI_SY_SJ_SK_SL_EUlSY_E_NS1_11comp_targetILNS1_3genE4ELNS1_11target_archE910ELNS1_3gpuE8ELNS1_3repE0EEENS1_48merge_mergepath_partition_config_static_selectorELNS0_4arch9wavefront6targetE0EEEvSK_.private_seg_size, 0
	.set _ZN7rocprim17ROCPRIM_400000_NS6detail17trampoline_kernelINS0_14default_configENS1_38merge_sort_block_merge_config_selectorImNS0_10empty_typeEEEZZNS1_27merge_sort_block_merge_implIS3_N6thrust23THRUST_200600_302600_NS6detail15normal_iteratorINS9_10device_ptrImEEEEPS5_m11less_div_10ImEEE10hipError_tT0_T1_T2_jT3_P12ihipStream_tbPNSt15iterator_traitsISJ_E10value_typeEPNSP_ISK_E10value_typeEPSL_NS1_7vsmem_tEENKUlT_SJ_SK_SL_E_clIPmSE_SF_SF_EESI_SY_SJ_SK_SL_EUlSY_E_NS1_11comp_targetILNS1_3genE4ELNS1_11target_archE910ELNS1_3gpuE8ELNS1_3repE0EEENS1_48merge_mergepath_partition_config_static_selectorELNS0_4arch9wavefront6targetE0EEEvSK_.uses_vcc, 0
	.set _ZN7rocprim17ROCPRIM_400000_NS6detail17trampoline_kernelINS0_14default_configENS1_38merge_sort_block_merge_config_selectorImNS0_10empty_typeEEEZZNS1_27merge_sort_block_merge_implIS3_N6thrust23THRUST_200600_302600_NS6detail15normal_iteratorINS9_10device_ptrImEEEEPS5_m11less_div_10ImEEE10hipError_tT0_T1_T2_jT3_P12ihipStream_tbPNSt15iterator_traitsISJ_E10value_typeEPNSP_ISK_E10value_typeEPSL_NS1_7vsmem_tEENKUlT_SJ_SK_SL_E_clIPmSE_SF_SF_EESI_SY_SJ_SK_SL_EUlSY_E_NS1_11comp_targetILNS1_3genE4ELNS1_11target_archE910ELNS1_3gpuE8ELNS1_3repE0EEENS1_48merge_mergepath_partition_config_static_selectorELNS0_4arch9wavefront6targetE0EEEvSK_.uses_flat_scratch, 0
	.set _ZN7rocprim17ROCPRIM_400000_NS6detail17trampoline_kernelINS0_14default_configENS1_38merge_sort_block_merge_config_selectorImNS0_10empty_typeEEEZZNS1_27merge_sort_block_merge_implIS3_N6thrust23THRUST_200600_302600_NS6detail15normal_iteratorINS9_10device_ptrImEEEEPS5_m11less_div_10ImEEE10hipError_tT0_T1_T2_jT3_P12ihipStream_tbPNSt15iterator_traitsISJ_E10value_typeEPNSP_ISK_E10value_typeEPSL_NS1_7vsmem_tEENKUlT_SJ_SK_SL_E_clIPmSE_SF_SF_EESI_SY_SJ_SK_SL_EUlSY_E_NS1_11comp_targetILNS1_3genE4ELNS1_11target_archE910ELNS1_3gpuE8ELNS1_3repE0EEENS1_48merge_mergepath_partition_config_static_selectorELNS0_4arch9wavefront6targetE0EEEvSK_.has_dyn_sized_stack, 0
	.set _ZN7rocprim17ROCPRIM_400000_NS6detail17trampoline_kernelINS0_14default_configENS1_38merge_sort_block_merge_config_selectorImNS0_10empty_typeEEEZZNS1_27merge_sort_block_merge_implIS3_N6thrust23THRUST_200600_302600_NS6detail15normal_iteratorINS9_10device_ptrImEEEEPS5_m11less_div_10ImEEE10hipError_tT0_T1_T2_jT3_P12ihipStream_tbPNSt15iterator_traitsISJ_E10value_typeEPNSP_ISK_E10value_typeEPSL_NS1_7vsmem_tEENKUlT_SJ_SK_SL_E_clIPmSE_SF_SF_EESI_SY_SJ_SK_SL_EUlSY_E_NS1_11comp_targetILNS1_3genE4ELNS1_11target_archE910ELNS1_3gpuE8ELNS1_3repE0EEENS1_48merge_mergepath_partition_config_static_selectorELNS0_4arch9wavefront6targetE0EEEvSK_.has_recursion, 0
	.set _ZN7rocprim17ROCPRIM_400000_NS6detail17trampoline_kernelINS0_14default_configENS1_38merge_sort_block_merge_config_selectorImNS0_10empty_typeEEEZZNS1_27merge_sort_block_merge_implIS3_N6thrust23THRUST_200600_302600_NS6detail15normal_iteratorINS9_10device_ptrImEEEEPS5_m11less_div_10ImEEE10hipError_tT0_T1_T2_jT3_P12ihipStream_tbPNSt15iterator_traitsISJ_E10value_typeEPNSP_ISK_E10value_typeEPSL_NS1_7vsmem_tEENKUlT_SJ_SK_SL_E_clIPmSE_SF_SF_EESI_SY_SJ_SK_SL_EUlSY_E_NS1_11comp_targetILNS1_3genE4ELNS1_11target_archE910ELNS1_3gpuE8ELNS1_3repE0EEENS1_48merge_mergepath_partition_config_static_selectorELNS0_4arch9wavefront6targetE0EEEvSK_.has_indirect_call, 0
	.section	.AMDGPU.csdata,"",@progbits
; Kernel info:
; codeLenInByte = 0
; TotalNumSgprs: 0
; NumVgprs: 0
; ScratchSize: 0
; MemoryBound: 0
; FloatMode: 240
; IeeeMode: 1
; LDSByteSize: 0 bytes/workgroup (compile time only)
; SGPRBlocks: 0
; VGPRBlocks: 0
; NumSGPRsForWavesPerEU: 1
; NumVGPRsForWavesPerEU: 1
; Occupancy: 16
; WaveLimiterHint : 0
; COMPUTE_PGM_RSRC2:SCRATCH_EN: 0
; COMPUTE_PGM_RSRC2:USER_SGPR: 6
; COMPUTE_PGM_RSRC2:TRAP_HANDLER: 0
; COMPUTE_PGM_RSRC2:TGID_X_EN: 1
; COMPUTE_PGM_RSRC2:TGID_Y_EN: 0
; COMPUTE_PGM_RSRC2:TGID_Z_EN: 0
; COMPUTE_PGM_RSRC2:TIDIG_COMP_CNT: 0
	.section	.text._ZN7rocprim17ROCPRIM_400000_NS6detail17trampoline_kernelINS0_14default_configENS1_38merge_sort_block_merge_config_selectorImNS0_10empty_typeEEEZZNS1_27merge_sort_block_merge_implIS3_N6thrust23THRUST_200600_302600_NS6detail15normal_iteratorINS9_10device_ptrImEEEEPS5_m11less_div_10ImEEE10hipError_tT0_T1_T2_jT3_P12ihipStream_tbPNSt15iterator_traitsISJ_E10value_typeEPNSP_ISK_E10value_typeEPSL_NS1_7vsmem_tEENKUlT_SJ_SK_SL_E_clIPmSE_SF_SF_EESI_SY_SJ_SK_SL_EUlSY_E_NS1_11comp_targetILNS1_3genE3ELNS1_11target_archE908ELNS1_3gpuE7ELNS1_3repE0EEENS1_48merge_mergepath_partition_config_static_selectorELNS0_4arch9wavefront6targetE0EEEvSK_,"axG",@progbits,_ZN7rocprim17ROCPRIM_400000_NS6detail17trampoline_kernelINS0_14default_configENS1_38merge_sort_block_merge_config_selectorImNS0_10empty_typeEEEZZNS1_27merge_sort_block_merge_implIS3_N6thrust23THRUST_200600_302600_NS6detail15normal_iteratorINS9_10device_ptrImEEEEPS5_m11less_div_10ImEEE10hipError_tT0_T1_T2_jT3_P12ihipStream_tbPNSt15iterator_traitsISJ_E10value_typeEPNSP_ISK_E10value_typeEPSL_NS1_7vsmem_tEENKUlT_SJ_SK_SL_E_clIPmSE_SF_SF_EESI_SY_SJ_SK_SL_EUlSY_E_NS1_11comp_targetILNS1_3genE3ELNS1_11target_archE908ELNS1_3gpuE7ELNS1_3repE0EEENS1_48merge_mergepath_partition_config_static_selectorELNS0_4arch9wavefront6targetE0EEEvSK_,comdat
	.protected	_ZN7rocprim17ROCPRIM_400000_NS6detail17trampoline_kernelINS0_14default_configENS1_38merge_sort_block_merge_config_selectorImNS0_10empty_typeEEEZZNS1_27merge_sort_block_merge_implIS3_N6thrust23THRUST_200600_302600_NS6detail15normal_iteratorINS9_10device_ptrImEEEEPS5_m11less_div_10ImEEE10hipError_tT0_T1_T2_jT3_P12ihipStream_tbPNSt15iterator_traitsISJ_E10value_typeEPNSP_ISK_E10value_typeEPSL_NS1_7vsmem_tEENKUlT_SJ_SK_SL_E_clIPmSE_SF_SF_EESI_SY_SJ_SK_SL_EUlSY_E_NS1_11comp_targetILNS1_3genE3ELNS1_11target_archE908ELNS1_3gpuE7ELNS1_3repE0EEENS1_48merge_mergepath_partition_config_static_selectorELNS0_4arch9wavefront6targetE0EEEvSK_ ; -- Begin function _ZN7rocprim17ROCPRIM_400000_NS6detail17trampoline_kernelINS0_14default_configENS1_38merge_sort_block_merge_config_selectorImNS0_10empty_typeEEEZZNS1_27merge_sort_block_merge_implIS3_N6thrust23THRUST_200600_302600_NS6detail15normal_iteratorINS9_10device_ptrImEEEEPS5_m11less_div_10ImEEE10hipError_tT0_T1_T2_jT3_P12ihipStream_tbPNSt15iterator_traitsISJ_E10value_typeEPNSP_ISK_E10value_typeEPSL_NS1_7vsmem_tEENKUlT_SJ_SK_SL_E_clIPmSE_SF_SF_EESI_SY_SJ_SK_SL_EUlSY_E_NS1_11comp_targetILNS1_3genE3ELNS1_11target_archE908ELNS1_3gpuE7ELNS1_3repE0EEENS1_48merge_mergepath_partition_config_static_selectorELNS0_4arch9wavefront6targetE0EEEvSK_
	.globl	_ZN7rocprim17ROCPRIM_400000_NS6detail17trampoline_kernelINS0_14default_configENS1_38merge_sort_block_merge_config_selectorImNS0_10empty_typeEEEZZNS1_27merge_sort_block_merge_implIS3_N6thrust23THRUST_200600_302600_NS6detail15normal_iteratorINS9_10device_ptrImEEEEPS5_m11less_div_10ImEEE10hipError_tT0_T1_T2_jT3_P12ihipStream_tbPNSt15iterator_traitsISJ_E10value_typeEPNSP_ISK_E10value_typeEPSL_NS1_7vsmem_tEENKUlT_SJ_SK_SL_E_clIPmSE_SF_SF_EESI_SY_SJ_SK_SL_EUlSY_E_NS1_11comp_targetILNS1_3genE3ELNS1_11target_archE908ELNS1_3gpuE7ELNS1_3repE0EEENS1_48merge_mergepath_partition_config_static_selectorELNS0_4arch9wavefront6targetE0EEEvSK_
	.p2align	8
	.type	_ZN7rocprim17ROCPRIM_400000_NS6detail17trampoline_kernelINS0_14default_configENS1_38merge_sort_block_merge_config_selectorImNS0_10empty_typeEEEZZNS1_27merge_sort_block_merge_implIS3_N6thrust23THRUST_200600_302600_NS6detail15normal_iteratorINS9_10device_ptrImEEEEPS5_m11less_div_10ImEEE10hipError_tT0_T1_T2_jT3_P12ihipStream_tbPNSt15iterator_traitsISJ_E10value_typeEPNSP_ISK_E10value_typeEPSL_NS1_7vsmem_tEENKUlT_SJ_SK_SL_E_clIPmSE_SF_SF_EESI_SY_SJ_SK_SL_EUlSY_E_NS1_11comp_targetILNS1_3genE3ELNS1_11target_archE908ELNS1_3gpuE7ELNS1_3repE0EEENS1_48merge_mergepath_partition_config_static_selectorELNS0_4arch9wavefront6targetE0EEEvSK_,@function
_ZN7rocprim17ROCPRIM_400000_NS6detail17trampoline_kernelINS0_14default_configENS1_38merge_sort_block_merge_config_selectorImNS0_10empty_typeEEEZZNS1_27merge_sort_block_merge_implIS3_N6thrust23THRUST_200600_302600_NS6detail15normal_iteratorINS9_10device_ptrImEEEEPS5_m11less_div_10ImEEE10hipError_tT0_T1_T2_jT3_P12ihipStream_tbPNSt15iterator_traitsISJ_E10value_typeEPNSP_ISK_E10value_typeEPSL_NS1_7vsmem_tEENKUlT_SJ_SK_SL_E_clIPmSE_SF_SF_EESI_SY_SJ_SK_SL_EUlSY_E_NS1_11comp_targetILNS1_3genE3ELNS1_11target_archE908ELNS1_3gpuE7ELNS1_3repE0EEENS1_48merge_mergepath_partition_config_static_selectorELNS0_4arch9wavefront6targetE0EEEvSK_: ; @_ZN7rocprim17ROCPRIM_400000_NS6detail17trampoline_kernelINS0_14default_configENS1_38merge_sort_block_merge_config_selectorImNS0_10empty_typeEEEZZNS1_27merge_sort_block_merge_implIS3_N6thrust23THRUST_200600_302600_NS6detail15normal_iteratorINS9_10device_ptrImEEEEPS5_m11less_div_10ImEEE10hipError_tT0_T1_T2_jT3_P12ihipStream_tbPNSt15iterator_traitsISJ_E10value_typeEPNSP_ISK_E10value_typeEPSL_NS1_7vsmem_tEENKUlT_SJ_SK_SL_E_clIPmSE_SF_SF_EESI_SY_SJ_SK_SL_EUlSY_E_NS1_11comp_targetILNS1_3genE3ELNS1_11target_archE908ELNS1_3gpuE7ELNS1_3repE0EEENS1_48merge_mergepath_partition_config_static_selectorELNS0_4arch9wavefront6targetE0EEEvSK_
; %bb.0:
	.section	.rodata,"a",@progbits
	.p2align	6, 0x0
	.amdhsa_kernel _ZN7rocprim17ROCPRIM_400000_NS6detail17trampoline_kernelINS0_14default_configENS1_38merge_sort_block_merge_config_selectorImNS0_10empty_typeEEEZZNS1_27merge_sort_block_merge_implIS3_N6thrust23THRUST_200600_302600_NS6detail15normal_iteratorINS9_10device_ptrImEEEEPS5_m11less_div_10ImEEE10hipError_tT0_T1_T2_jT3_P12ihipStream_tbPNSt15iterator_traitsISJ_E10value_typeEPNSP_ISK_E10value_typeEPSL_NS1_7vsmem_tEENKUlT_SJ_SK_SL_E_clIPmSE_SF_SF_EESI_SY_SJ_SK_SL_EUlSY_E_NS1_11comp_targetILNS1_3genE3ELNS1_11target_archE908ELNS1_3gpuE7ELNS1_3repE0EEENS1_48merge_mergepath_partition_config_static_selectorELNS0_4arch9wavefront6targetE0EEEvSK_
		.amdhsa_group_segment_fixed_size 0
		.amdhsa_private_segment_fixed_size 0
		.amdhsa_kernarg_size 48
		.amdhsa_user_sgpr_count 6
		.amdhsa_user_sgpr_private_segment_buffer 1
		.amdhsa_user_sgpr_dispatch_ptr 0
		.amdhsa_user_sgpr_queue_ptr 0
		.amdhsa_user_sgpr_kernarg_segment_ptr 1
		.amdhsa_user_sgpr_dispatch_id 0
		.amdhsa_user_sgpr_flat_scratch_init 0
		.amdhsa_user_sgpr_private_segment_size 0
		.amdhsa_wavefront_size32 1
		.amdhsa_uses_dynamic_stack 0
		.amdhsa_system_sgpr_private_segment_wavefront_offset 0
		.amdhsa_system_sgpr_workgroup_id_x 1
		.amdhsa_system_sgpr_workgroup_id_y 0
		.amdhsa_system_sgpr_workgroup_id_z 0
		.amdhsa_system_sgpr_workgroup_info 0
		.amdhsa_system_vgpr_workitem_id 0
		.amdhsa_next_free_vgpr 1
		.amdhsa_next_free_sgpr 1
		.amdhsa_reserve_vcc 0
		.amdhsa_reserve_flat_scratch 0
		.amdhsa_float_round_mode_32 0
		.amdhsa_float_round_mode_16_64 0
		.amdhsa_float_denorm_mode_32 3
		.amdhsa_float_denorm_mode_16_64 3
		.amdhsa_dx10_clamp 1
		.amdhsa_ieee_mode 1
		.amdhsa_fp16_overflow 0
		.amdhsa_workgroup_processor_mode 1
		.amdhsa_memory_ordered 1
		.amdhsa_forward_progress 1
		.amdhsa_shared_vgpr_count 0
		.amdhsa_exception_fp_ieee_invalid_op 0
		.amdhsa_exception_fp_denorm_src 0
		.amdhsa_exception_fp_ieee_div_zero 0
		.amdhsa_exception_fp_ieee_overflow 0
		.amdhsa_exception_fp_ieee_underflow 0
		.amdhsa_exception_fp_ieee_inexact 0
		.amdhsa_exception_int_div_zero 0
	.end_amdhsa_kernel
	.section	.text._ZN7rocprim17ROCPRIM_400000_NS6detail17trampoline_kernelINS0_14default_configENS1_38merge_sort_block_merge_config_selectorImNS0_10empty_typeEEEZZNS1_27merge_sort_block_merge_implIS3_N6thrust23THRUST_200600_302600_NS6detail15normal_iteratorINS9_10device_ptrImEEEEPS5_m11less_div_10ImEEE10hipError_tT0_T1_T2_jT3_P12ihipStream_tbPNSt15iterator_traitsISJ_E10value_typeEPNSP_ISK_E10value_typeEPSL_NS1_7vsmem_tEENKUlT_SJ_SK_SL_E_clIPmSE_SF_SF_EESI_SY_SJ_SK_SL_EUlSY_E_NS1_11comp_targetILNS1_3genE3ELNS1_11target_archE908ELNS1_3gpuE7ELNS1_3repE0EEENS1_48merge_mergepath_partition_config_static_selectorELNS0_4arch9wavefront6targetE0EEEvSK_,"axG",@progbits,_ZN7rocprim17ROCPRIM_400000_NS6detail17trampoline_kernelINS0_14default_configENS1_38merge_sort_block_merge_config_selectorImNS0_10empty_typeEEEZZNS1_27merge_sort_block_merge_implIS3_N6thrust23THRUST_200600_302600_NS6detail15normal_iteratorINS9_10device_ptrImEEEEPS5_m11less_div_10ImEEE10hipError_tT0_T1_T2_jT3_P12ihipStream_tbPNSt15iterator_traitsISJ_E10value_typeEPNSP_ISK_E10value_typeEPSL_NS1_7vsmem_tEENKUlT_SJ_SK_SL_E_clIPmSE_SF_SF_EESI_SY_SJ_SK_SL_EUlSY_E_NS1_11comp_targetILNS1_3genE3ELNS1_11target_archE908ELNS1_3gpuE7ELNS1_3repE0EEENS1_48merge_mergepath_partition_config_static_selectorELNS0_4arch9wavefront6targetE0EEEvSK_,comdat
.Lfunc_end621:
	.size	_ZN7rocprim17ROCPRIM_400000_NS6detail17trampoline_kernelINS0_14default_configENS1_38merge_sort_block_merge_config_selectorImNS0_10empty_typeEEEZZNS1_27merge_sort_block_merge_implIS3_N6thrust23THRUST_200600_302600_NS6detail15normal_iteratorINS9_10device_ptrImEEEEPS5_m11less_div_10ImEEE10hipError_tT0_T1_T2_jT3_P12ihipStream_tbPNSt15iterator_traitsISJ_E10value_typeEPNSP_ISK_E10value_typeEPSL_NS1_7vsmem_tEENKUlT_SJ_SK_SL_E_clIPmSE_SF_SF_EESI_SY_SJ_SK_SL_EUlSY_E_NS1_11comp_targetILNS1_3genE3ELNS1_11target_archE908ELNS1_3gpuE7ELNS1_3repE0EEENS1_48merge_mergepath_partition_config_static_selectorELNS0_4arch9wavefront6targetE0EEEvSK_, .Lfunc_end621-_ZN7rocprim17ROCPRIM_400000_NS6detail17trampoline_kernelINS0_14default_configENS1_38merge_sort_block_merge_config_selectorImNS0_10empty_typeEEEZZNS1_27merge_sort_block_merge_implIS3_N6thrust23THRUST_200600_302600_NS6detail15normal_iteratorINS9_10device_ptrImEEEEPS5_m11less_div_10ImEEE10hipError_tT0_T1_T2_jT3_P12ihipStream_tbPNSt15iterator_traitsISJ_E10value_typeEPNSP_ISK_E10value_typeEPSL_NS1_7vsmem_tEENKUlT_SJ_SK_SL_E_clIPmSE_SF_SF_EESI_SY_SJ_SK_SL_EUlSY_E_NS1_11comp_targetILNS1_3genE3ELNS1_11target_archE908ELNS1_3gpuE7ELNS1_3repE0EEENS1_48merge_mergepath_partition_config_static_selectorELNS0_4arch9wavefront6targetE0EEEvSK_
                                        ; -- End function
	.set _ZN7rocprim17ROCPRIM_400000_NS6detail17trampoline_kernelINS0_14default_configENS1_38merge_sort_block_merge_config_selectorImNS0_10empty_typeEEEZZNS1_27merge_sort_block_merge_implIS3_N6thrust23THRUST_200600_302600_NS6detail15normal_iteratorINS9_10device_ptrImEEEEPS5_m11less_div_10ImEEE10hipError_tT0_T1_T2_jT3_P12ihipStream_tbPNSt15iterator_traitsISJ_E10value_typeEPNSP_ISK_E10value_typeEPSL_NS1_7vsmem_tEENKUlT_SJ_SK_SL_E_clIPmSE_SF_SF_EESI_SY_SJ_SK_SL_EUlSY_E_NS1_11comp_targetILNS1_3genE3ELNS1_11target_archE908ELNS1_3gpuE7ELNS1_3repE0EEENS1_48merge_mergepath_partition_config_static_selectorELNS0_4arch9wavefront6targetE0EEEvSK_.num_vgpr, 0
	.set _ZN7rocprim17ROCPRIM_400000_NS6detail17trampoline_kernelINS0_14default_configENS1_38merge_sort_block_merge_config_selectorImNS0_10empty_typeEEEZZNS1_27merge_sort_block_merge_implIS3_N6thrust23THRUST_200600_302600_NS6detail15normal_iteratorINS9_10device_ptrImEEEEPS5_m11less_div_10ImEEE10hipError_tT0_T1_T2_jT3_P12ihipStream_tbPNSt15iterator_traitsISJ_E10value_typeEPNSP_ISK_E10value_typeEPSL_NS1_7vsmem_tEENKUlT_SJ_SK_SL_E_clIPmSE_SF_SF_EESI_SY_SJ_SK_SL_EUlSY_E_NS1_11comp_targetILNS1_3genE3ELNS1_11target_archE908ELNS1_3gpuE7ELNS1_3repE0EEENS1_48merge_mergepath_partition_config_static_selectorELNS0_4arch9wavefront6targetE0EEEvSK_.num_agpr, 0
	.set _ZN7rocprim17ROCPRIM_400000_NS6detail17trampoline_kernelINS0_14default_configENS1_38merge_sort_block_merge_config_selectorImNS0_10empty_typeEEEZZNS1_27merge_sort_block_merge_implIS3_N6thrust23THRUST_200600_302600_NS6detail15normal_iteratorINS9_10device_ptrImEEEEPS5_m11less_div_10ImEEE10hipError_tT0_T1_T2_jT3_P12ihipStream_tbPNSt15iterator_traitsISJ_E10value_typeEPNSP_ISK_E10value_typeEPSL_NS1_7vsmem_tEENKUlT_SJ_SK_SL_E_clIPmSE_SF_SF_EESI_SY_SJ_SK_SL_EUlSY_E_NS1_11comp_targetILNS1_3genE3ELNS1_11target_archE908ELNS1_3gpuE7ELNS1_3repE0EEENS1_48merge_mergepath_partition_config_static_selectorELNS0_4arch9wavefront6targetE0EEEvSK_.numbered_sgpr, 0
	.set _ZN7rocprim17ROCPRIM_400000_NS6detail17trampoline_kernelINS0_14default_configENS1_38merge_sort_block_merge_config_selectorImNS0_10empty_typeEEEZZNS1_27merge_sort_block_merge_implIS3_N6thrust23THRUST_200600_302600_NS6detail15normal_iteratorINS9_10device_ptrImEEEEPS5_m11less_div_10ImEEE10hipError_tT0_T1_T2_jT3_P12ihipStream_tbPNSt15iterator_traitsISJ_E10value_typeEPNSP_ISK_E10value_typeEPSL_NS1_7vsmem_tEENKUlT_SJ_SK_SL_E_clIPmSE_SF_SF_EESI_SY_SJ_SK_SL_EUlSY_E_NS1_11comp_targetILNS1_3genE3ELNS1_11target_archE908ELNS1_3gpuE7ELNS1_3repE0EEENS1_48merge_mergepath_partition_config_static_selectorELNS0_4arch9wavefront6targetE0EEEvSK_.num_named_barrier, 0
	.set _ZN7rocprim17ROCPRIM_400000_NS6detail17trampoline_kernelINS0_14default_configENS1_38merge_sort_block_merge_config_selectorImNS0_10empty_typeEEEZZNS1_27merge_sort_block_merge_implIS3_N6thrust23THRUST_200600_302600_NS6detail15normal_iteratorINS9_10device_ptrImEEEEPS5_m11less_div_10ImEEE10hipError_tT0_T1_T2_jT3_P12ihipStream_tbPNSt15iterator_traitsISJ_E10value_typeEPNSP_ISK_E10value_typeEPSL_NS1_7vsmem_tEENKUlT_SJ_SK_SL_E_clIPmSE_SF_SF_EESI_SY_SJ_SK_SL_EUlSY_E_NS1_11comp_targetILNS1_3genE3ELNS1_11target_archE908ELNS1_3gpuE7ELNS1_3repE0EEENS1_48merge_mergepath_partition_config_static_selectorELNS0_4arch9wavefront6targetE0EEEvSK_.private_seg_size, 0
	.set _ZN7rocprim17ROCPRIM_400000_NS6detail17trampoline_kernelINS0_14default_configENS1_38merge_sort_block_merge_config_selectorImNS0_10empty_typeEEEZZNS1_27merge_sort_block_merge_implIS3_N6thrust23THRUST_200600_302600_NS6detail15normal_iteratorINS9_10device_ptrImEEEEPS5_m11less_div_10ImEEE10hipError_tT0_T1_T2_jT3_P12ihipStream_tbPNSt15iterator_traitsISJ_E10value_typeEPNSP_ISK_E10value_typeEPSL_NS1_7vsmem_tEENKUlT_SJ_SK_SL_E_clIPmSE_SF_SF_EESI_SY_SJ_SK_SL_EUlSY_E_NS1_11comp_targetILNS1_3genE3ELNS1_11target_archE908ELNS1_3gpuE7ELNS1_3repE0EEENS1_48merge_mergepath_partition_config_static_selectorELNS0_4arch9wavefront6targetE0EEEvSK_.uses_vcc, 0
	.set _ZN7rocprim17ROCPRIM_400000_NS6detail17trampoline_kernelINS0_14default_configENS1_38merge_sort_block_merge_config_selectorImNS0_10empty_typeEEEZZNS1_27merge_sort_block_merge_implIS3_N6thrust23THRUST_200600_302600_NS6detail15normal_iteratorINS9_10device_ptrImEEEEPS5_m11less_div_10ImEEE10hipError_tT0_T1_T2_jT3_P12ihipStream_tbPNSt15iterator_traitsISJ_E10value_typeEPNSP_ISK_E10value_typeEPSL_NS1_7vsmem_tEENKUlT_SJ_SK_SL_E_clIPmSE_SF_SF_EESI_SY_SJ_SK_SL_EUlSY_E_NS1_11comp_targetILNS1_3genE3ELNS1_11target_archE908ELNS1_3gpuE7ELNS1_3repE0EEENS1_48merge_mergepath_partition_config_static_selectorELNS0_4arch9wavefront6targetE0EEEvSK_.uses_flat_scratch, 0
	.set _ZN7rocprim17ROCPRIM_400000_NS6detail17trampoline_kernelINS0_14default_configENS1_38merge_sort_block_merge_config_selectorImNS0_10empty_typeEEEZZNS1_27merge_sort_block_merge_implIS3_N6thrust23THRUST_200600_302600_NS6detail15normal_iteratorINS9_10device_ptrImEEEEPS5_m11less_div_10ImEEE10hipError_tT0_T1_T2_jT3_P12ihipStream_tbPNSt15iterator_traitsISJ_E10value_typeEPNSP_ISK_E10value_typeEPSL_NS1_7vsmem_tEENKUlT_SJ_SK_SL_E_clIPmSE_SF_SF_EESI_SY_SJ_SK_SL_EUlSY_E_NS1_11comp_targetILNS1_3genE3ELNS1_11target_archE908ELNS1_3gpuE7ELNS1_3repE0EEENS1_48merge_mergepath_partition_config_static_selectorELNS0_4arch9wavefront6targetE0EEEvSK_.has_dyn_sized_stack, 0
	.set _ZN7rocprim17ROCPRIM_400000_NS6detail17trampoline_kernelINS0_14default_configENS1_38merge_sort_block_merge_config_selectorImNS0_10empty_typeEEEZZNS1_27merge_sort_block_merge_implIS3_N6thrust23THRUST_200600_302600_NS6detail15normal_iteratorINS9_10device_ptrImEEEEPS5_m11less_div_10ImEEE10hipError_tT0_T1_T2_jT3_P12ihipStream_tbPNSt15iterator_traitsISJ_E10value_typeEPNSP_ISK_E10value_typeEPSL_NS1_7vsmem_tEENKUlT_SJ_SK_SL_E_clIPmSE_SF_SF_EESI_SY_SJ_SK_SL_EUlSY_E_NS1_11comp_targetILNS1_3genE3ELNS1_11target_archE908ELNS1_3gpuE7ELNS1_3repE0EEENS1_48merge_mergepath_partition_config_static_selectorELNS0_4arch9wavefront6targetE0EEEvSK_.has_recursion, 0
	.set _ZN7rocprim17ROCPRIM_400000_NS6detail17trampoline_kernelINS0_14default_configENS1_38merge_sort_block_merge_config_selectorImNS0_10empty_typeEEEZZNS1_27merge_sort_block_merge_implIS3_N6thrust23THRUST_200600_302600_NS6detail15normal_iteratorINS9_10device_ptrImEEEEPS5_m11less_div_10ImEEE10hipError_tT0_T1_T2_jT3_P12ihipStream_tbPNSt15iterator_traitsISJ_E10value_typeEPNSP_ISK_E10value_typeEPSL_NS1_7vsmem_tEENKUlT_SJ_SK_SL_E_clIPmSE_SF_SF_EESI_SY_SJ_SK_SL_EUlSY_E_NS1_11comp_targetILNS1_3genE3ELNS1_11target_archE908ELNS1_3gpuE7ELNS1_3repE0EEENS1_48merge_mergepath_partition_config_static_selectorELNS0_4arch9wavefront6targetE0EEEvSK_.has_indirect_call, 0
	.section	.AMDGPU.csdata,"",@progbits
; Kernel info:
; codeLenInByte = 0
; TotalNumSgprs: 0
; NumVgprs: 0
; ScratchSize: 0
; MemoryBound: 0
; FloatMode: 240
; IeeeMode: 1
; LDSByteSize: 0 bytes/workgroup (compile time only)
; SGPRBlocks: 0
; VGPRBlocks: 0
; NumSGPRsForWavesPerEU: 1
; NumVGPRsForWavesPerEU: 1
; Occupancy: 16
; WaveLimiterHint : 0
; COMPUTE_PGM_RSRC2:SCRATCH_EN: 0
; COMPUTE_PGM_RSRC2:USER_SGPR: 6
; COMPUTE_PGM_RSRC2:TRAP_HANDLER: 0
; COMPUTE_PGM_RSRC2:TGID_X_EN: 1
; COMPUTE_PGM_RSRC2:TGID_Y_EN: 0
; COMPUTE_PGM_RSRC2:TGID_Z_EN: 0
; COMPUTE_PGM_RSRC2:TIDIG_COMP_CNT: 0
	.section	.text._ZN7rocprim17ROCPRIM_400000_NS6detail17trampoline_kernelINS0_14default_configENS1_38merge_sort_block_merge_config_selectorImNS0_10empty_typeEEEZZNS1_27merge_sort_block_merge_implIS3_N6thrust23THRUST_200600_302600_NS6detail15normal_iteratorINS9_10device_ptrImEEEEPS5_m11less_div_10ImEEE10hipError_tT0_T1_T2_jT3_P12ihipStream_tbPNSt15iterator_traitsISJ_E10value_typeEPNSP_ISK_E10value_typeEPSL_NS1_7vsmem_tEENKUlT_SJ_SK_SL_E_clIPmSE_SF_SF_EESI_SY_SJ_SK_SL_EUlSY_E_NS1_11comp_targetILNS1_3genE2ELNS1_11target_archE906ELNS1_3gpuE6ELNS1_3repE0EEENS1_48merge_mergepath_partition_config_static_selectorELNS0_4arch9wavefront6targetE0EEEvSK_,"axG",@progbits,_ZN7rocprim17ROCPRIM_400000_NS6detail17trampoline_kernelINS0_14default_configENS1_38merge_sort_block_merge_config_selectorImNS0_10empty_typeEEEZZNS1_27merge_sort_block_merge_implIS3_N6thrust23THRUST_200600_302600_NS6detail15normal_iteratorINS9_10device_ptrImEEEEPS5_m11less_div_10ImEEE10hipError_tT0_T1_T2_jT3_P12ihipStream_tbPNSt15iterator_traitsISJ_E10value_typeEPNSP_ISK_E10value_typeEPSL_NS1_7vsmem_tEENKUlT_SJ_SK_SL_E_clIPmSE_SF_SF_EESI_SY_SJ_SK_SL_EUlSY_E_NS1_11comp_targetILNS1_3genE2ELNS1_11target_archE906ELNS1_3gpuE6ELNS1_3repE0EEENS1_48merge_mergepath_partition_config_static_selectorELNS0_4arch9wavefront6targetE0EEEvSK_,comdat
	.protected	_ZN7rocprim17ROCPRIM_400000_NS6detail17trampoline_kernelINS0_14default_configENS1_38merge_sort_block_merge_config_selectorImNS0_10empty_typeEEEZZNS1_27merge_sort_block_merge_implIS3_N6thrust23THRUST_200600_302600_NS6detail15normal_iteratorINS9_10device_ptrImEEEEPS5_m11less_div_10ImEEE10hipError_tT0_T1_T2_jT3_P12ihipStream_tbPNSt15iterator_traitsISJ_E10value_typeEPNSP_ISK_E10value_typeEPSL_NS1_7vsmem_tEENKUlT_SJ_SK_SL_E_clIPmSE_SF_SF_EESI_SY_SJ_SK_SL_EUlSY_E_NS1_11comp_targetILNS1_3genE2ELNS1_11target_archE906ELNS1_3gpuE6ELNS1_3repE0EEENS1_48merge_mergepath_partition_config_static_selectorELNS0_4arch9wavefront6targetE0EEEvSK_ ; -- Begin function _ZN7rocprim17ROCPRIM_400000_NS6detail17trampoline_kernelINS0_14default_configENS1_38merge_sort_block_merge_config_selectorImNS0_10empty_typeEEEZZNS1_27merge_sort_block_merge_implIS3_N6thrust23THRUST_200600_302600_NS6detail15normal_iteratorINS9_10device_ptrImEEEEPS5_m11less_div_10ImEEE10hipError_tT0_T1_T2_jT3_P12ihipStream_tbPNSt15iterator_traitsISJ_E10value_typeEPNSP_ISK_E10value_typeEPSL_NS1_7vsmem_tEENKUlT_SJ_SK_SL_E_clIPmSE_SF_SF_EESI_SY_SJ_SK_SL_EUlSY_E_NS1_11comp_targetILNS1_3genE2ELNS1_11target_archE906ELNS1_3gpuE6ELNS1_3repE0EEENS1_48merge_mergepath_partition_config_static_selectorELNS0_4arch9wavefront6targetE0EEEvSK_
	.globl	_ZN7rocprim17ROCPRIM_400000_NS6detail17trampoline_kernelINS0_14default_configENS1_38merge_sort_block_merge_config_selectorImNS0_10empty_typeEEEZZNS1_27merge_sort_block_merge_implIS3_N6thrust23THRUST_200600_302600_NS6detail15normal_iteratorINS9_10device_ptrImEEEEPS5_m11less_div_10ImEEE10hipError_tT0_T1_T2_jT3_P12ihipStream_tbPNSt15iterator_traitsISJ_E10value_typeEPNSP_ISK_E10value_typeEPSL_NS1_7vsmem_tEENKUlT_SJ_SK_SL_E_clIPmSE_SF_SF_EESI_SY_SJ_SK_SL_EUlSY_E_NS1_11comp_targetILNS1_3genE2ELNS1_11target_archE906ELNS1_3gpuE6ELNS1_3repE0EEENS1_48merge_mergepath_partition_config_static_selectorELNS0_4arch9wavefront6targetE0EEEvSK_
	.p2align	8
	.type	_ZN7rocprim17ROCPRIM_400000_NS6detail17trampoline_kernelINS0_14default_configENS1_38merge_sort_block_merge_config_selectorImNS0_10empty_typeEEEZZNS1_27merge_sort_block_merge_implIS3_N6thrust23THRUST_200600_302600_NS6detail15normal_iteratorINS9_10device_ptrImEEEEPS5_m11less_div_10ImEEE10hipError_tT0_T1_T2_jT3_P12ihipStream_tbPNSt15iterator_traitsISJ_E10value_typeEPNSP_ISK_E10value_typeEPSL_NS1_7vsmem_tEENKUlT_SJ_SK_SL_E_clIPmSE_SF_SF_EESI_SY_SJ_SK_SL_EUlSY_E_NS1_11comp_targetILNS1_3genE2ELNS1_11target_archE906ELNS1_3gpuE6ELNS1_3repE0EEENS1_48merge_mergepath_partition_config_static_selectorELNS0_4arch9wavefront6targetE0EEEvSK_,@function
_ZN7rocprim17ROCPRIM_400000_NS6detail17trampoline_kernelINS0_14default_configENS1_38merge_sort_block_merge_config_selectorImNS0_10empty_typeEEEZZNS1_27merge_sort_block_merge_implIS3_N6thrust23THRUST_200600_302600_NS6detail15normal_iteratorINS9_10device_ptrImEEEEPS5_m11less_div_10ImEEE10hipError_tT0_T1_T2_jT3_P12ihipStream_tbPNSt15iterator_traitsISJ_E10value_typeEPNSP_ISK_E10value_typeEPSL_NS1_7vsmem_tEENKUlT_SJ_SK_SL_E_clIPmSE_SF_SF_EESI_SY_SJ_SK_SL_EUlSY_E_NS1_11comp_targetILNS1_3genE2ELNS1_11target_archE906ELNS1_3gpuE6ELNS1_3repE0EEENS1_48merge_mergepath_partition_config_static_selectorELNS0_4arch9wavefront6targetE0EEEvSK_: ; @_ZN7rocprim17ROCPRIM_400000_NS6detail17trampoline_kernelINS0_14default_configENS1_38merge_sort_block_merge_config_selectorImNS0_10empty_typeEEEZZNS1_27merge_sort_block_merge_implIS3_N6thrust23THRUST_200600_302600_NS6detail15normal_iteratorINS9_10device_ptrImEEEEPS5_m11less_div_10ImEEE10hipError_tT0_T1_T2_jT3_P12ihipStream_tbPNSt15iterator_traitsISJ_E10value_typeEPNSP_ISK_E10value_typeEPSL_NS1_7vsmem_tEENKUlT_SJ_SK_SL_E_clIPmSE_SF_SF_EESI_SY_SJ_SK_SL_EUlSY_E_NS1_11comp_targetILNS1_3genE2ELNS1_11target_archE906ELNS1_3gpuE6ELNS1_3repE0EEENS1_48merge_mergepath_partition_config_static_selectorELNS0_4arch9wavefront6targetE0EEEvSK_
; %bb.0:
	.section	.rodata,"a",@progbits
	.p2align	6, 0x0
	.amdhsa_kernel _ZN7rocprim17ROCPRIM_400000_NS6detail17trampoline_kernelINS0_14default_configENS1_38merge_sort_block_merge_config_selectorImNS0_10empty_typeEEEZZNS1_27merge_sort_block_merge_implIS3_N6thrust23THRUST_200600_302600_NS6detail15normal_iteratorINS9_10device_ptrImEEEEPS5_m11less_div_10ImEEE10hipError_tT0_T1_T2_jT3_P12ihipStream_tbPNSt15iterator_traitsISJ_E10value_typeEPNSP_ISK_E10value_typeEPSL_NS1_7vsmem_tEENKUlT_SJ_SK_SL_E_clIPmSE_SF_SF_EESI_SY_SJ_SK_SL_EUlSY_E_NS1_11comp_targetILNS1_3genE2ELNS1_11target_archE906ELNS1_3gpuE6ELNS1_3repE0EEENS1_48merge_mergepath_partition_config_static_selectorELNS0_4arch9wavefront6targetE0EEEvSK_
		.amdhsa_group_segment_fixed_size 0
		.amdhsa_private_segment_fixed_size 0
		.amdhsa_kernarg_size 48
		.amdhsa_user_sgpr_count 6
		.amdhsa_user_sgpr_private_segment_buffer 1
		.amdhsa_user_sgpr_dispatch_ptr 0
		.amdhsa_user_sgpr_queue_ptr 0
		.amdhsa_user_sgpr_kernarg_segment_ptr 1
		.amdhsa_user_sgpr_dispatch_id 0
		.amdhsa_user_sgpr_flat_scratch_init 0
		.amdhsa_user_sgpr_private_segment_size 0
		.amdhsa_wavefront_size32 1
		.amdhsa_uses_dynamic_stack 0
		.amdhsa_system_sgpr_private_segment_wavefront_offset 0
		.amdhsa_system_sgpr_workgroup_id_x 1
		.amdhsa_system_sgpr_workgroup_id_y 0
		.amdhsa_system_sgpr_workgroup_id_z 0
		.amdhsa_system_sgpr_workgroup_info 0
		.amdhsa_system_vgpr_workitem_id 0
		.amdhsa_next_free_vgpr 1
		.amdhsa_next_free_sgpr 1
		.amdhsa_reserve_vcc 0
		.amdhsa_reserve_flat_scratch 0
		.amdhsa_float_round_mode_32 0
		.amdhsa_float_round_mode_16_64 0
		.amdhsa_float_denorm_mode_32 3
		.amdhsa_float_denorm_mode_16_64 3
		.amdhsa_dx10_clamp 1
		.amdhsa_ieee_mode 1
		.amdhsa_fp16_overflow 0
		.amdhsa_workgroup_processor_mode 1
		.amdhsa_memory_ordered 1
		.amdhsa_forward_progress 1
		.amdhsa_shared_vgpr_count 0
		.amdhsa_exception_fp_ieee_invalid_op 0
		.amdhsa_exception_fp_denorm_src 0
		.amdhsa_exception_fp_ieee_div_zero 0
		.amdhsa_exception_fp_ieee_overflow 0
		.amdhsa_exception_fp_ieee_underflow 0
		.amdhsa_exception_fp_ieee_inexact 0
		.amdhsa_exception_int_div_zero 0
	.end_amdhsa_kernel
	.section	.text._ZN7rocprim17ROCPRIM_400000_NS6detail17trampoline_kernelINS0_14default_configENS1_38merge_sort_block_merge_config_selectorImNS0_10empty_typeEEEZZNS1_27merge_sort_block_merge_implIS3_N6thrust23THRUST_200600_302600_NS6detail15normal_iteratorINS9_10device_ptrImEEEEPS5_m11less_div_10ImEEE10hipError_tT0_T1_T2_jT3_P12ihipStream_tbPNSt15iterator_traitsISJ_E10value_typeEPNSP_ISK_E10value_typeEPSL_NS1_7vsmem_tEENKUlT_SJ_SK_SL_E_clIPmSE_SF_SF_EESI_SY_SJ_SK_SL_EUlSY_E_NS1_11comp_targetILNS1_3genE2ELNS1_11target_archE906ELNS1_3gpuE6ELNS1_3repE0EEENS1_48merge_mergepath_partition_config_static_selectorELNS0_4arch9wavefront6targetE0EEEvSK_,"axG",@progbits,_ZN7rocprim17ROCPRIM_400000_NS6detail17trampoline_kernelINS0_14default_configENS1_38merge_sort_block_merge_config_selectorImNS0_10empty_typeEEEZZNS1_27merge_sort_block_merge_implIS3_N6thrust23THRUST_200600_302600_NS6detail15normal_iteratorINS9_10device_ptrImEEEEPS5_m11less_div_10ImEEE10hipError_tT0_T1_T2_jT3_P12ihipStream_tbPNSt15iterator_traitsISJ_E10value_typeEPNSP_ISK_E10value_typeEPSL_NS1_7vsmem_tEENKUlT_SJ_SK_SL_E_clIPmSE_SF_SF_EESI_SY_SJ_SK_SL_EUlSY_E_NS1_11comp_targetILNS1_3genE2ELNS1_11target_archE906ELNS1_3gpuE6ELNS1_3repE0EEENS1_48merge_mergepath_partition_config_static_selectorELNS0_4arch9wavefront6targetE0EEEvSK_,comdat
.Lfunc_end622:
	.size	_ZN7rocprim17ROCPRIM_400000_NS6detail17trampoline_kernelINS0_14default_configENS1_38merge_sort_block_merge_config_selectorImNS0_10empty_typeEEEZZNS1_27merge_sort_block_merge_implIS3_N6thrust23THRUST_200600_302600_NS6detail15normal_iteratorINS9_10device_ptrImEEEEPS5_m11less_div_10ImEEE10hipError_tT0_T1_T2_jT3_P12ihipStream_tbPNSt15iterator_traitsISJ_E10value_typeEPNSP_ISK_E10value_typeEPSL_NS1_7vsmem_tEENKUlT_SJ_SK_SL_E_clIPmSE_SF_SF_EESI_SY_SJ_SK_SL_EUlSY_E_NS1_11comp_targetILNS1_3genE2ELNS1_11target_archE906ELNS1_3gpuE6ELNS1_3repE0EEENS1_48merge_mergepath_partition_config_static_selectorELNS0_4arch9wavefront6targetE0EEEvSK_, .Lfunc_end622-_ZN7rocprim17ROCPRIM_400000_NS6detail17trampoline_kernelINS0_14default_configENS1_38merge_sort_block_merge_config_selectorImNS0_10empty_typeEEEZZNS1_27merge_sort_block_merge_implIS3_N6thrust23THRUST_200600_302600_NS6detail15normal_iteratorINS9_10device_ptrImEEEEPS5_m11less_div_10ImEEE10hipError_tT0_T1_T2_jT3_P12ihipStream_tbPNSt15iterator_traitsISJ_E10value_typeEPNSP_ISK_E10value_typeEPSL_NS1_7vsmem_tEENKUlT_SJ_SK_SL_E_clIPmSE_SF_SF_EESI_SY_SJ_SK_SL_EUlSY_E_NS1_11comp_targetILNS1_3genE2ELNS1_11target_archE906ELNS1_3gpuE6ELNS1_3repE0EEENS1_48merge_mergepath_partition_config_static_selectorELNS0_4arch9wavefront6targetE0EEEvSK_
                                        ; -- End function
	.set _ZN7rocprim17ROCPRIM_400000_NS6detail17trampoline_kernelINS0_14default_configENS1_38merge_sort_block_merge_config_selectorImNS0_10empty_typeEEEZZNS1_27merge_sort_block_merge_implIS3_N6thrust23THRUST_200600_302600_NS6detail15normal_iteratorINS9_10device_ptrImEEEEPS5_m11less_div_10ImEEE10hipError_tT0_T1_T2_jT3_P12ihipStream_tbPNSt15iterator_traitsISJ_E10value_typeEPNSP_ISK_E10value_typeEPSL_NS1_7vsmem_tEENKUlT_SJ_SK_SL_E_clIPmSE_SF_SF_EESI_SY_SJ_SK_SL_EUlSY_E_NS1_11comp_targetILNS1_3genE2ELNS1_11target_archE906ELNS1_3gpuE6ELNS1_3repE0EEENS1_48merge_mergepath_partition_config_static_selectorELNS0_4arch9wavefront6targetE0EEEvSK_.num_vgpr, 0
	.set _ZN7rocprim17ROCPRIM_400000_NS6detail17trampoline_kernelINS0_14default_configENS1_38merge_sort_block_merge_config_selectorImNS0_10empty_typeEEEZZNS1_27merge_sort_block_merge_implIS3_N6thrust23THRUST_200600_302600_NS6detail15normal_iteratorINS9_10device_ptrImEEEEPS5_m11less_div_10ImEEE10hipError_tT0_T1_T2_jT3_P12ihipStream_tbPNSt15iterator_traitsISJ_E10value_typeEPNSP_ISK_E10value_typeEPSL_NS1_7vsmem_tEENKUlT_SJ_SK_SL_E_clIPmSE_SF_SF_EESI_SY_SJ_SK_SL_EUlSY_E_NS1_11comp_targetILNS1_3genE2ELNS1_11target_archE906ELNS1_3gpuE6ELNS1_3repE0EEENS1_48merge_mergepath_partition_config_static_selectorELNS0_4arch9wavefront6targetE0EEEvSK_.num_agpr, 0
	.set _ZN7rocprim17ROCPRIM_400000_NS6detail17trampoline_kernelINS0_14default_configENS1_38merge_sort_block_merge_config_selectorImNS0_10empty_typeEEEZZNS1_27merge_sort_block_merge_implIS3_N6thrust23THRUST_200600_302600_NS6detail15normal_iteratorINS9_10device_ptrImEEEEPS5_m11less_div_10ImEEE10hipError_tT0_T1_T2_jT3_P12ihipStream_tbPNSt15iterator_traitsISJ_E10value_typeEPNSP_ISK_E10value_typeEPSL_NS1_7vsmem_tEENKUlT_SJ_SK_SL_E_clIPmSE_SF_SF_EESI_SY_SJ_SK_SL_EUlSY_E_NS1_11comp_targetILNS1_3genE2ELNS1_11target_archE906ELNS1_3gpuE6ELNS1_3repE0EEENS1_48merge_mergepath_partition_config_static_selectorELNS0_4arch9wavefront6targetE0EEEvSK_.numbered_sgpr, 0
	.set _ZN7rocprim17ROCPRIM_400000_NS6detail17trampoline_kernelINS0_14default_configENS1_38merge_sort_block_merge_config_selectorImNS0_10empty_typeEEEZZNS1_27merge_sort_block_merge_implIS3_N6thrust23THRUST_200600_302600_NS6detail15normal_iteratorINS9_10device_ptrImEEEEPS5_m11less_div_10ImEEE10hipError_tT0_T1_T2_jT3_P12ihipStream_tbPNSt15iterator_traitsISJ_E10value_typeEPNSP_ISK_E10value_typeEPSL_NS1_7vsmem_tEENKUlT_SJ_SK_SL_E_clIPmSE_SF_SF_EESI_SY_SJ_SK_SL_EUlSY_E_NS1_11comp_targetILNS1_3genE2ELNS1_11target_archE906ELNS1_3gpuE6ELNS1_3repE0EEENS1_48merge_mergepath_partition_config_static_selectorELNS0_4arch9wavefront6targetE0EEEvSK_.num_named_barrier, 0
	.set _ZN7rocprim17ROCPRIM_400000_NS6detail17trampoline_kernelINS0_14default_configENS1_38merge_sort_block_merge_config_selectorImNS0_10empty_typeEEEZZNS1_27merge_sort_block_merge_implIS3_N6thrust23THRUST_200600_302600_NS6detail15normal_iteratorINS9_10device_ptrImEEEEPS5_m11less_div_10ImEEE10hipError_tT0_T1_T2_jT3_P12ihipStream_tbPNSt15iterator_traitsISJ_E10value_typeEPNSP_ISK_E10value_typeEPSL_NS1_7vsmem_tEENKUlT_SJ_SK_SL_E_clIPmSE_SF_SF_EESI_SY_SJ_SK_SL_EUlSY_E_NS1_11comp_targetILNS1_3genE2ELNS1_11target_archE906ELNS1_3gpuE6ELNS1_3repE0EEENS1_48merge_mergepath_partition_config_static_selectorELNS0_4arch9wavefront6targetE0EEEvSK_.private_seg_size, 0
	.set _ZN7rocprim17ROCPRIM_400000_NS6detail17trampoline_kernelINS0_14default_configENS1_38merge_sort_block_merge_config_selectorImNS0_10empty_typeEEEZZNS1_27merge_sort_block_merge_implIS3_N6thrust23THRUST_200600_302600_NS6detail15normal_iteratorINS9_10device_ptrImEEEEPS5_m11less_div_10ImEEE10hipError_tT0_T1_T2_jT3_P12ihipStream_tbPNSt15iterator_traitsISJ_E10value_typeEPNSP_ISK_E10value_typeEPSL_NS1_7vsmem_tEENKUlT_SJ_SK_SL_E_clIPmSE_SF_SF_EESI_SY_SJ_SK_SL_EUlSY_E_NS1_11comp_targetILNS1_3genE2ELNS1_11target_archE906ELNS1_3gpuE6ELNS1_3repE0EEENS1_48merge_mergepath_partition_config_static_selectorELNS0_4arch9wavefront6targetE0EEEvSK_.uses_vcc, 0
	.set _ZN7rocprim17ROCPRIM_400000_NS6detail17trampoline_kernelINS0_14default_configENS1_38merge_sort_block_merge_config_selectorImNS0_10empty_typeEEEZZNS1_27merge_sort_block_merge_implIS3_N6thrust23THRUST_200600_302600_NS6detail15normal_iteratorINS9_10device_ptrImEEEEPS5_m11less_div_10ImEEE10hipError_tT0_T1_T2_jT3_P12ihipStream_tbPNSt15iterator_traitsISJ_E10value_typeEPNSP_ISK_E10value_typeEPSL_NS1_7vsmem_tEENKUlT_SJ_SK_SL_E_clIPmSE_SF_SF_EESI_SY_SJ_SK_SL_EUlSY_E_NS1_11comp_targetILNS1_3genE2ELNS1_11target_archE906ELNS1_3gpuE6ELNS1_3repE0EEENS1_48merge_mergepath_partition_config_static_selectorELNS0_4arch9wavefront6targetE0EEEvSK_.uses_flat_scratch, 0
	.set _ZN7rocprim17ROCPRIM_400000_NS6detail17trampoline_kernelINS0_14default_configENS1_38merge_sort_block_merge_config_selectorImNS0_10empty_typeEEEZZNS1_27merge_sort_block_merge_implIS3_N6thrust23THRUST_200600_302600_NS6detail15normal_iteratorINS9_10device_ptrImEEEEPS5_m11less_div_10ImEEE10hipError_tT0_T1_T2_jT3_P12ihipStream_tbPNSt15iterator_traitsISJ_E10value_typeEPNSP_ISK_E10value_typeEPSL_NS1_7vsmem_tEENKUlT_SJ_SK_SL_E_clIPmSE_SF_SF_EESI_SY_SJ_SK_SL_EUlSY_E_NS1_11comp_targetILNS1_3genE2ELNS1_11target_archE906ELNS1_3gpuE6ELNS1_3repE0EEENS1_48merge_mergepath_partition_config_static_selectorELNS0_4arch9wavefront6targetE0EEEvSK_.has_dyn_sized_stack, 0
	.set _ZN7rocprim17ROCPRIM_400000_NS6detail17trampoline_kernelINS0_14default_configENS1_38merge_sort_block_merge_config_selectorImNS0_10empty_typeEEEZZNS1_27merge_sort_block_merge_implIS3_N6thrust23THRUST_200600_302600_NS6detail15normal_iteratorINS9_10device_ptrImEEEEPS5_m11less_div_10ImEEE10hipError_tT0_T1_T2_jT3_P12ihipStream_tbPNSt15iterator_traitsISJ_E10value_typeEPNSP_ISK_E10value_typeEPSL_NS1_7vsmem_tEENKUlT_SJ_SK_SL_E_clIPmSE_SF_SF_EESI_SY_SJ_SK_SL_EUlSY_E_NS1_11comp_targetILNS1_3genE2ELNS1_11target_archE906ELNS1_3gpuE6ELNS1_3repE0EEENS1_48merge_mergepath_partition_config_static_selectorELNS0_4arch9wavefront6targetE0EEEvSK_.has_recursion, 0
	.set _ZN7rocprim17ROCPRIM_400000_NS6detail17trampoline_kernelINS0_14default_configENS1_38merge_sort_block_merge_config_selectorImNS0_10empty_typeEEEZZNS1_27merge_sort_block_merge_implIS3_N6thrust23THRUST_200600_302600_NS6detail15normal_iteratorINS9_10device_ptrImEEEEPS5_m11less_div_10ImEEE10hipError_tT0_T1_T2_jT3_P12ihipStream_tbPNSt15iterator_traitsISJ_E10value_typeEPNSP_ISK_E10value_typeEPSL_NS1_7vsmem_tEENKUlT_SJ_SK_SL_E_clIPmSE_SF_SF_EESI_SY_SJ_SK_SL_EUlSY_E_NS1_11comp_targetILNS1_3genE2ELNS1_11target_archE906ELNS1_3gpuE6ELNS1_3repE0EEENS1_48merge_mergepath_partition_config_static_selectorELNS0_4arch9wavefront6targetE0EEEvSK_.has_indirect_call, 0
	.section	.AMDGPU.csdata,"",@progbits
; Kernel info:
; codeLenInByte = 0
; TotalNumSgprs: 0
; NumVgprs: 0
; ScratchSize: 0
; MemoryBound: 0
; FloatMode: 240
; IeeeMode: 1
; LDSByteSize: 0 bytes/workgroup (compile time only)
; SGPRBlocks: 0
; VGPRBlocks: 0
; NumSGPRsForWavesPerEU: 1
; NumVGPRsForWavesPerEU: 1
; Occupancy: 16
; WaveLimiterHint : 0
; COMPUTE_PGM_RSRC2:SCRATCH_EN: 0
; COMPUTE_PGM_RSRC2:USER_SGPR: 6
; COMPUTE_PGM_RSRC2:TRAP_HANDLER: 0
; COMPUTE_PGM_RSRC2:TGID_X_EN: 1
; COMPUTE_PGM_RSRC2:TGID_Y_EN: 0
; COMPUTE_PGM_RSRC2:TGID_Z_EN: 0
; COMPUTE_PGM_RSRC2:TIDIG_COMP_CNT: 0
	.section	.text._ZN7rocprim17ROCPRIM_400000_NS6detail17trampoline_kernelINS0_14default_configENS1_38merge_sort_block_merge_config_selectorImNS0_10empty_typeEEEZZNS1_27merge_sort_block_merge_implIS3_N6thrust23THRUST_200600_302600_NS6detail15normal_iteratorINS9_10device_ptrImEEEEPS5_m11less_div_10ImEEE10hipError_tT0_T1_T2_jT3_P12ihipStream_tbPNSt15iterator_traitsISJ_E10value_typeEPNSP_ISK_E10value_typeEPSL_NS1_7vsmem_tEENKUlT_SJ_SK_SL_E_clIPmSE_SF_SF_EESI_SY_SJ_SK_SL_EUlSY_E_NS1_11comp_targetILNS1_3genE9ELNS1_11target_archE1100ELNS1_3gpuE3ELNS1_3repE0EEENS1_48merge_mergepath_partition_config_static_selectorELNS0_4arch9wavefront6targetE0EEEvSK_,"axG",@progbits,_ZN7rocprim17ROCPRIM_400000_NS6detail17trampoline_kernelINS0_14default_configENS1_38merge_sort_block_merge_config_selectorImNS0_10empty_typeEEEZZNS1_27merge_sort_block_merge_implIS3_N6thrust23THRUST_200600_302600_NS6detail15normal_iteratorINS9_10device_ptrImEEEEPS5_m11less_div_10ImEEE10hipError_tT0_T1_T2_jT3_P12ihipStream_tbPNSt15iterator_traitsISJ_E10value_typeEPNSP_ISK_E10value_typeEPSL_NS1_7vsmem_tEENKUlT_SJ_SK_SL_E_clIPmSE_SF_SF_EESI_SY_SJ_SK_SL_EUlSY_E_NS1_11comp_targetILNS1_3genE9ELNS1_11target_archE1100ELNS1_3gpuE3ELNS1_3repE0EEENS1_48merge_mergepath_partition_config_static_selectorELNS0_4arch9wavefront6targetE0EEEvSK_,comdat
	.protected	_ZN7rocprim17ROCPRIM_400000_NS6detail17trampoline_kernelINS0_14default_configENS1_38merge_sort_block_merge_config_selectorImNS0_10empty_typeEEEZZNS1_27merge_sort_block_merge_implIS3_N6thrust23THRUST_200600_302600_NS6detail15normal_iteratorINS9_10device_ptrImEEEEPS5_m11less_div_10ImEEE10hipError_tT0_T1_T2_jT3_P12ihipStream_tbPNSt15iterator_traitsISJ_E10value_typeEPNSP_ISK_E10value_typeEPSL_NS1_7vsmem_tEENKUlT_SJ_SK_SL_E_clIPmSE_SF_SF_EESI_SY_SJ_SK_SL_EUlSY_E_NS1_11comp_targetILNS1_3genE9ELNS1_11target_archE1100ELNS1_3gpuE3ELNS1_3repE0EEENS1_48merge_mergepath_partition_config_static_selectorELNS0_4arch9wavefront6targetE0EEEvSK_ ; -- Begin function _ZN7rocprim17ROCPRIM_400000_NS6detail17trampoline_kernelINS0_14default_configENS1_38merge_sort_block_merge_config_selectorImNS0_10empty_typeEEEZZNS1_27merge_sort_block_merge_implIS3_N6thrust23THRUST_200600_302600_NS6detail15normal_iteratorINS9_10device_ptrImEEEEPS5_m11less_div_10ImEEE10hipError_tT0_T1_T2_jT3_P12ihipStream_tbPNSt15iterator_traitsISJ_E10value_typeEPNSP_ISK_E10value_typeEPSL_NS1_7vsmem_tEENKUlT_SJ_SK_SL_E_clIPmSE_SF_SF_EESI_SY_SJ_SK_SL_EUlSY_E_NS1_11comp_targetILNS1_3genE9ELNS1_11target_archE1100ELNS1_3gpuE3ELNS1_3repE0EEENS1_48merge_mergepath_partition_config_static_selectorELNS0_4arch9wavefront6targetE0EEEvSK_
	.globl	_ZN7rocprim17ROCPRIM_400000_NS6detail17trampoline_kernelINS0_14default_configENS1_38merge_sort_block_merge_config_selectorImNS0_10empty_typeEEEZZNS1_27merge_sort_block_merge_implIS3_N6thrust23THRUST_200600_302600_NS6detail15normal_iteratorINS9_10device_ptrImEEEEPS5_m11less_div_10ImEEE10hipError_tT0_T1_T2_jT3_P12ihipStream_tbPNSt15iterator_traitsISJ_E10value_typeEPNSP_ISK_E10value_typeEPSL_NS1_7vsmem_tEENKUlT_SJ_SK_SL_E_clIPmSE_SF_SF_EESI_SY_SJ_SK_SL_EUlSY_E_NS1_11comp_targetILNS1_3genE9ELNS1_11target_archE1100ELNS1_3gpuE3ELNS1_3repE0EEENS1_48merge_mergepath_partition_config_static_selectorELNS0_4arch9wavefront6targetE0EEEvSK_
	.p2align	8
	.type	_ZN7rocprim17ROCPRIM_400000_NS6detail17trampoline_kernelINS0_14default_configENS1_38merge_sort_block_merge_config_selectorImNS0_10empty_typeEEEZZNS1_27merge_sort_block_merge_implIS3_N6thrust23THRUST_200600_302600_NS6detail15normal_iteratorINS9_10device_ptrImEEEEPS5_m11less_div_10ImEEE10hipError_tT0_T1_T2_jT3_P12ihipStream_tbPNSt15iterator_traitsISJ_E10value_typeEPNSP_ISK_E10value_typeEPSL_NS1_7vsmem_tEENKUlT_SJ_SK_SL_E_clIPmSE_SF_SF_EESI_SY_SJ_SK_SL_EUlSY_E_NS1_11comp_targetILNS1_3genE9ELNS1_11target_archE1100ELNS1_3gpuE3ELNS1_3repE0EEENS1_48merge_mergepath_partition_config_static_selectorELNS0_4arch9wavefront6targetE0EEEvSK_,@function
_ZN7rocprim17ROCPRIM_400000_NS6detail17trampoline_kernelINS0_14default_configENS1_38merge_sort_block_merge_config_selectorImNS0_10empty_typeEEEZZNS1_27merge_sort_block_merge_implIS3_N6thrust23THRUST_200600_302600_NS6detail15normal_iteratorINS9_10device_ptrImEEEEPS5_m11less_div_10ImEEE10hipError_tT0_T1_T2_jT3_P12ihipStream_tbPNSt15iterator_traitsISJ_E10value_typeEPNSP_ISK_E10value_typeEPSL_NS1_7vsmem_tEENKUlT_SJ_SK_SL_E_clIPmSE_SF_SF_EESI_SY_SJ_SK_SL_EUlSY_E_NS1_11comp_targetILNS1_3genE9ELNS1_11target_archE1100ELNS1_3gpuE3ELNS1_3repE0EEENS1_48merge_mergepath_partition_config_static_selectorELNS0_4arch9wavefront6targetE0EEEvSK_: ; @_ZN7rocprim17ROCPRIM_400000_NS6detail17trampoline_kernelINS0_14default_configENS1_38merge_sort_block_merge_config_selectorImNS0_10empty_typeEEEZZNS1_27merge_sort_block_merge_implIS3_N6thrust23THRUST_200600_302600_NS6detail15normal_iteratorINS9_10device_ptrImEEEEPS5_m11less_div_10ImEEE10hipError_tT0_T1_T2_jT3_P12ihipStream_tbPNSt15iterator_traitsISJ_E10value_typeEPNSP_ISK_E10value_typeEPSL_NS1_7vsmem_tEENKUlT_SJ_SK_SL_E_clIPmSE_SF_SF_EESI_SY_SJ_SK_SL_EUlSY_E_NS1_11comp_targetILNS1_3genE9ELNS1_11target_archE1100ELNS1_3gpuE3ELNS1_3repE0EEENS1_48merge_mergepath_partition_config_static_selectorELNS0_4arch9wavefront6targetE0EEEvSK_
; %bb.0:
	.section	.rodata,"a",@progbits
	.p2align	6, 0x0
	.amdhsa_kernel _ZN7rocprim17ROCPRIM_400000_NS6detail17trampoline_kernelINS0_14default_configENS1_38merge_sort_block_merge_config_selectorImNS0_10empty_typeEEEZZNS1_27merge_sort_block_merge_implIS3_N6thrust23THRUST_200600_302600_NS6detail15normal_iteratorINS9_10device_ptrImEEEEPS5_m11less_div_10ImEEE10hipError_tT0_T1_T2_jT3_P12ihipStream_tbPNSt15iterator_traitsISJ_E10value_typeEPNSP_ISK_E10value_typeEPSL_NS1_7vsmem_tEENKUlT_SJ_SK_SL_E_clIPmSE_SF_SF_EESI_SY_SJ_SK_SL_EUlSY_E_NS1_11comp_targetILNS1_3genE9ELNS1_11target_archE1100ELNS1_3gpuE3ELNS1_3repE0EEENS1_48merge_mergepath_partition_config_static_selectorELNS0_4arch9wavefront6targetE0EEEvSK_
		.amdhsa_group_segment_fixed_size 0
		.amdhsa_private_segment_fixed_size 0
		.amdhsa_kernarg_size 48
		.amdhsa_user_sgpr_count 6
		.amdhsa_user_sgpr_private_segment_buffer 1
		.amdhsa_user_sgpr_dispatch_ptr 0
		.amdhsa_user_sgpr_queue_ptr 0
		.amdhsa_user_sgpr_kernarg_segment_ptr 1
		.amdhsa_user_sgpr_dispatch_id 0
		.amdhsa_user_sgpr_flat_scratch_init 0
		.amdhsa_user_sgpr_private_segment_size 0
		.amdhsa_wavefront_size32 1
		.amdhsa_uses_dynamic_stack 0
		.amdhsa_system_sgpr_private_segment_wavefront_offset 0
		.amdhsa_system_sgpr_workgroup_id_x 1
		.amdhsa_system_sgpr_workgroup_id_y 0
		.amdhsa_system_sgpr_workgroup_id_z 0
		.amdhsa_system_sgpr_workgroup_info 0
		.amdhsa_system_vgpr_workitem_id 0
		.amdhsa_next_free_vgpr 1
		.amdhsa_next_free_sgpr 1
		.amdhsa_reserve_vcc 0
		.amdhsa_reserve_flat_scratch 0
		.amdhsa_float_round_mode_32 0
		.amdhsa_float_round_mode_16_64 0
		.amdhsa_float_denorm_mode_32 3
		.amdhsa_float_denorm_mode_16_64 3
		.amdhsa_dx10_clamp 1
		.amdhsa_ieee_mode 1
		.amdhsa_fp16_overflow 0
		.amdhsa_workgroup_processor_mode 1
		.amdhsa_memory_ordered 1
		.amdhsa_forward_progress 1
		.amdhsa_shared_vgpr_count 0
		.amdhsa_exception_fp_ieee_invalid_op 0
		.amdhsa_exception_fp_denorm_src 0
		.amdhsa_exception_fp_ieee_div_zero 0
		.amdhsa_exception_fp_ieee_overflow 0
		.amdhsa_exception_fp_ieee_underflow 0
		.amdhsa_exception_fp_ieee_inexact 0
		.amdhsa_exception_int_div_zero 0
	.end_amdhsa_kernel
	.section	.text._ZN7rocprim17ROCPRIM_400000_NS6detail17trampoline_kernelINS0_14default_configENS1_38merge_sort_block_merge_config_selectorImNS0_10empty_typeEEEZZNS1_27merge_sort_block_merge_implIS3_N6thrust23THRUST_200600_302600_NS6detail15normal_iteratorINS9_10device_ptrImEEEEPS5_m11less_div_10ImEEE10hipError_tT0_T1_T2_jT3_P12ihipStream_tbPNSt15iterator_traitsISJ_E10value_typeEPNSP_ISK_E10value_typeEPSL_NS1_7vsmem_tEENKUlT_SJ_SK_SL_E_clIPmSE_SF_SF_EESI_SY_SJ_SK_SL_EUlSY_E_NS1_11comp_targetILNS1_3genE9ELNS1_11target_archE1100ELNS1_3gpuE3ELNS1_3repE0EEENS1_48merge_mergepath_partition_config_static_selectorELNS0_4arch9wavefront6targetE0EEEvSK_,"axG",@progbits,_ZN7rocprim17ROCPRIM_400000_NS6detail17trampoline_kernelINS0_14default_configENS1_38merge_sort_block_merge_config_selectorImNS0_10empty_typeEEEZZNS1_27merge_sort_block_merge_implIS3_N6thrust23THRUST_200600_302600_NS6detail15normal_iteratorINS9_10device_ptrImEEEEPS5_m11less_div_10ImEEE10hipError_tT0_T1_T2_jT3_P12ihipStream_tbPNSt15iterator_traitsISJ_E10value_typeEPNSP_ISK_E10value_typeEPSL_NS1_7vsmem_tEENKUlT_SJ_SK_SL_E_clIPmSE_SF_SF_EESI_SY_SJ_SK_SL_EUlSY_E_NS1_11comp_targetILNS1_3genE9ELNS1_11target_archE1100ELNS1_3gpuE3ELNS1_3repE0EEENS1_48merge_mergepath_partition_config_static_selectorELNS0_4arch9wavefront6targetE0EEEvSK_,comdat
.Lfunc_end623:
	.size	_ZN7rocprim17ROCPRIM_400000_NS6detail17trampoline_kernelINS0_14default_configENS1_38merge_sort_block_merge_config_selectorImNS0_10empty_typeEEEZZNS1_27merge_sort_block_merge_implIS3_N6thrust23THRUST_200600_302600_NS6detail15normal_iteratorINS9_10device_ptrImEEEEPS5_m11less_div_10ImEEE10hipError_tT0_T1_T2_jT3_P12ihipStream_tbPNSt15iterator_traitsISJ_E10value_typeEPNSP_ISK_E10value_typeEPSL_NS1_7vsmem_tEENKUlT_SJ_SK_SL_E_clIPmSE_SF_SF_EESI_SY_SJ_SK_SL_EUlSY_E_NS1_11comp_targetILNS1_3genE9ELNS1_11target_archE1100ELNS1_3gpuE3ELNS1_3repE0EEENS1_48merge_mergepath_partition_config_static_selectorELNS0_4arch9wavefront6targetE0EEEvSK_, .Lfunc_end623-_ZN7rocprim17ROCPRIM_400000_NS6detail17trampoline_kernelINS0_14default_configENS1_38merge_sort_block_merge_config_selectorImNS0_10empty_typeEEEZZNS1_27merge_sort_block_merge_implIS3_N6thrust23THRUST_200600_302600_NS6detail15normal_iteratorINS9_10device_ptrImEEEEPS5_m11less_div_10ImEEE10hipError_tT0_T1_T2_jT3_P12ihipStream_tbPNSt15iterator_traitsISJ_E10value_typeEPNSP_ISK_E10value_typeEPSL_NS1_7vsmem_tEENKUlT_SJ_SK_SL_E_clIPmSE_SF_SF_EESI_SY_SJ_SK_SL_EUlSY_E_NS1_11comp_targetILNS1_3genE9ELNS1_11target_archE1100ELNS1_3gpuE3ELNS1_3repE0EEENS1_48merge_mergepath_partition_config_static_selectorELNS0_4arch9wavefront6targetE0EEEvSK_
                                        ; -- End function
	.set _ZN7rocprim17ROCPRIM_400000_NS6detail17trampoline_kernelINS0_14default_configENS1_38merge_sort_block_merge_config_selectorImNS0_10empty_typeEEEZZNS1_27merge_sort_block_merge_implIS3_N6thrust23THRUST_200600_302600_NS6detail15normal_iteratorINS9_10device_ptrImEEEEPS5_m11less_div_10ImEEE10hipError_tT0_T1_T2_jT3_P12ihipStream_tbPNSt15iterator_traitsISJ_E10value_typeEPNSP_ISK_E10value_typeEPSL_NS1_7vsmem_tEENKUlT_SJ_SK_SL_E_clIPmSE_SF_SF_EESI_SY_SJ_SK_SL_EUlSY_E_NS1_11comp_targetILNS1_3genE9ELNS1_11target_archE1100ELNS1_3gpuE3ELNS1_3repE0EEENS1_48merge_mergepath_partition_config_static_selectorELNS0_4arch9wavefront6targetE0EEEvSK_.num_vgpr, 0
	.set _ZN7rocprim17ROCPRIM_400000_NS6detail17trampoline_kernelINS0_14default_configENS1_38merge_sort_block_merge_config_selectorImNS0_10empty_typeEEEZZNS1_27merge_sort_block_merge_implIS3_N6thrust23THRUST_200600_302600_NS6detail15normal_iteratorINS9_10device_ptrImEEEEPS5_m11less_div_10ImEEE10hipError_tT0_T1_T2_jT3_P12ihipStream_tbPNSt15iterator_traitsISJ_E10value_typeEPNSP_ISK_E10value_typeEPSL_NS1_7vsmem_tEENKUlT_SJ_SK_SL_E_clIPmSE_SF_SF_EESI_SY_SJ_SK_SL_EUlSY_E_NS1_11comp_targetILNS1_3genE9ELNS1_11target_archE1100ELNS1_3gpuE3ELNS1_3repE0EEENS1_48merge_mergepath_partition_config_static_selectorELNS0_4arch9wavefront6targetE0EEEvSK_.num_agpr, 0
	.set _ZN7rocprim17ROCPRIM_400000_NS6detail17trampoline_kernelINS0_14default_configENS1_38merge_sort_block_merge_config_selectorImNS0_10empty_typeEEEZZNS1_27merge_sort_block_merge_implIS3_N6thrust23THRUST_200600_302600_NS6detail15normal_iteratorINS9_10device_ptrImEEEEPS5_m11less_div_10ImEEE10hipError_tT0_T1_T2_jT3_P12ihipStream_tbPNSt15iterator_traitsISJ_E10value_typeEPNSP_ISK_E10value_typeEPSL_NS1_7vsmem_tEENKUlT_SJ_SK_SL_E_clIPmSE_SF_SF_EESI_SY_SJ_SK_SL_EUlSY_E_NS1_11comp_targetILNS1_3genE9ELNS1_11target_archE1100ELNS1_3gpuE3ELNS1_3repE0EEENS1_48merge_mergepath_partition_config_static_selectorELNS0_4arch9wavefront6targetE0EEEvSK_.numbered_sgpr, 0
	.set _ZN7rocprim17ROCPRIM_400000_NS6detail17trampoline_kernelINS0_14default_configENS1_38merge_sort_block_merge_config_selectorImNS0_10empty_typeEEEZZNS1_27merge_sort_block_merge_implIS3_N6thrust23THRUST_200600_302600_NS6detail15normal_iteratorINS9_10device_ptrImEEEEPS5_m11less_div_10ImEEE10hipError_tT0_T1_T2_jT3_P12ihipStream_tbPNSt15iterator_traitsISJ_E10value_typeEPNSP_ISK_E10value_typeEPSL_NS1_7vsmem_tEENKUlT_SJ_SK_SL_E_clIPmSE_SF_SF_EESI_SY_SJ_SK_SL_EUlSY_E_NS1_11comp_targetILNS1_3genE9ELNS1_11target_archE1100ELNS1_3gpuE3ELNS1_3repE0EEENS1_48merge_mergepath_partition_config_static_selectorELNS0_4arch9wavefront6targetE0EEEvSK_.num_named_barrier, 0
	.set _ZN7rocprim17ROCPRIM_400000_NS6detail17trampoline_kernelINS0_14default_configENS1_38merge_sort_block_merge_config_selectorImNS0_10empty_typeEEEZZNS1_27merge_sort_block_merge_implIS3_N6thrust23THRUST_200600_302600_NS6detail15normal_iteratorINS9_10device_ptrImEEEEPS5_m11less_div_10ImEEE10hipError_tT0_T1_T2_jT3_P12ihipStream_tbPNSt15iterator_traitsISJ_E10value_typeEPNSP_ISK_E10value_typeEPSL_NS1_7vsmem_tEENKUlT_SJ_SK_SL_E_clIPmSE_SF_SF_EESI_SY_SJ_SK_SL_EUlSY_E_NS1_11comp_targetILNS1_3genE9ELNS1_11target_archE1100ELNS1_3gpuE3ELNS1_3repE0EEENS1_48merge_mergepath_partition_config_static_selectorELNS0_4arch9wavefront6targetE0EEEvSK_.private_seg_size, 0
	.set _ZN7rocprim17ROCPRIM_400000_NS6detail17trampoline_kernelINS0_14default_configENS1_38merge_sort_block_merge_config_selectorImNS0_10empty_typeEEEZZNS1_27merge_sort_block_merge_implIS3_N6thrust23THRUST_200600_302600_NS6detail15normal_iteratorINS9_10device_ptrImEEEEPS5_m11less_div_10ImEEE10hipError_tT0_T1_T2_jT3_P12ihipStream_tbPNSt15iterator_traitsISJ_E10value_typeEPNSP_ISK_E10value_typeEPSL_NS1_7vsmem_tEENKUlT_SJ_SK_SL_E_clIPmSE_SF_SF_EESI_SY_SJ_SK_SL_EUlSY_E_NS1_11comp_targetILNS1_3genE9ELNS1_11target_archE1100ELNS1_3gpuE3ELNS1_3repE0EEENS1_48merge_mergepath_partition_config_static_selectorELNS0_4arch9wavefront6targetE0EEEvSK_.uses_vcc, 0
	.set _ZN7rocprim17ROCPRIM_400000_NS6detail17trampoline_kernelINS0_14default_configENS1_38merge_sort_block_merge_config_selectorImNS0_10empty_typeEEEZZNS1_27merge_sort_block_merge_implIS3_N6thrust23THRUST_200600_302600_NS6detail15normal_iteratorINS9_10device_ptrImEEEEPS5_m11less_div_10ImEEE10hipError_tT0_T1_T2_jT3_P12ihipStream_tbPNSt15iterator_traitsISJ_E10value_typeEPNSP_ISK_E10value_typeEPSL_NS1_7vsmem_tEENKUlT_SJ_SK_SL_E_clIPmSE_SF_SF_EESI_SY_SJ_SK_SL_EUlSY_E_NS1_11comp_targetILNS1_3genE9ELNS1_11target_archE1100ELNS1_3gpuE3ELNS1_3repE0EEENS1_48merge_mergepath_partition_config_static_selectorELNS0_4arch9wavefront6targetE0EEEvSK_.uses_flat_scratch, 0
	.set _ZN7rocprim17ROCPRIM_400000_NS6detail17trampoline_kernelINS0_14default_configENS1_38merge_sort_block_merge_config_selectorImNS0_10empty_typeEEEZZNS1_27merge_sort_block_merge_implIS3_N6thrust23THRUST_200600_302600_NS6detail15normal_iteratorINS9_10device_ptrImEEEEPS5_m11less_div_10ImEEE10hipError_tT0_T1_T2_jT3_P12ihipStream_tbPNSt15iterator_traitsISJ_E10value_typeEPNSP_ISK_E10value_typeEPSL_NS1_7vsmem_tEENKUlT_SJ_SK_SL_E_clIPmSE_SF_SF_EESI_SY_SJ_SK_SL_EUlSY_E_NS1_11comp_targetILNS1_3genE9ELNS1_11target_archE1100ELNS1_3gpuE3ELNS1_3repE0EEENS1_48merge_mergepath_partition_config_static_selectorELNS0_4arch9wavefront6targetE0EEEvSK_.has_dyn_sized_stack, 0
	.set _ZN7rocprim17ROCPRIM_400000_NS6detail17trampoline_kernelINS0_14default_configENS1_38merge_sort_block_merge_config_selectorImNS0_10empty_typeEEEZZNS1_27merge_sort_block_merge_implIS3_N6thrust23THRUST_200600_302600_NS6detail15normal_iteratorINS9_10device_ptrImEEEEPS5_m11less_div_10ImEEE10hipError_tT0_T1_T2_jT3_P12ihipStream_tbPNSt15iterator_traitsISJ_E10value_typeEPNSP_ISK_E10value_typeEPSL_NS1_7vsmem_tEENKUlT_SJ_SK_SL_E_clIPmSE_SF_SF_EESI_SY_SJ_SK_SL_EUlSY_E_NS1_11comp_targetILNS1_3genE9ELNS1_11target_archE1100ELNS1_3gpuE3ELNS1_3repE0EEENS1_48merge_mergepath_partition_config_static_selectorELNS0_4arch9wavefront6targetE0EEEvSK_.has_recursion, 0
	.set _ZN7rocprim17ROCPRIM_400000_NS6detail17trampoline_kernelINS0_14default_configENS1_38merge_sort_block_merge_config_selectorImNS0_10empty_typeEEEZZNS1_27merge_sort_block_merge_implIS3_N6thrust23THRUST_200600_302600_NS6detail15normal_iteratorINS9_10device_ptrImEEEEPS5_m11less_div_10ImEEE10hipError_tT0_T1_T2_jT3_P12ihipStream_tbPNSt15iterator_traitsISJ_E10value_typeEPNSP_ISK_E10value_typeEPSL_NS1_7vsmem_tEENKUlT_SJ_SK_SL_E_clIPmSE_SF_SF_EESI_SY_SJ_SK_SL_EUlSY_E_NS1_11comp_targetILNS1_3genE9ELNS1_11target_archE1100ELNS1_3gpuE3ELNS1_3repE0EEENS1_48merge_mergepath_partition_config_static_selectorELNS0_4arch9wavefront6targetE0EEEvSK_.has_indirect_call, 0
	.section	.AMDGPU.csdata,"",@progbits
; Kernel info:
; codeLenInByte = 0
; TotalNumSgprs: 0
; NumVgprs: 0
; ScratchSize: 0
; MemoryBound: 0
; FloatMode: 240
; IeeeMode: 1
; LDSByteSize: 0 bytes/workgroup (compile time only)
; SGPRBlocks: 0
; VGPRBlocks: 0
; NumSGPRsForWavesPerEU: 1
; NumVGPRsForWavesPerEU: 1
; Occupancy: 16
; WaveLimiterHint : 0
; COMPUTE_PGM_RSRC2:SCRATCH_EN: 0
; COMPUTE_PGM_RSRC2:USER_SGPR: 6
; COMPUTE_PGM_RSRC2:TRAP_HANDLER: 0
; COMPUTE_PGM_RSRC2:TGID_X_EN: 1
; COMPUTE_PGM_RSRC2:TGID_Y_EN: 0
; COMPUTE_PGM_RSRC2:TGID_Z_EN: 0
; COMPUTE_PGM_RSRC2:TIDIG_COMP_CNT: 0
	.section	.text._ZN7rocprim17ROCPRIM_400000_NS6detail17trampoline_kernelINS0_14default_configENS1_38merge_sort_block_merge_config_selectorImNS0_10empty_typeEEEZZNS1_27merge_sort_block_merge_implIS3_N6thrust23THRUST_200600_302600_NS6detail15normal_iteratorINS9_10device_ptrImEEEEPS5_m11less_div_10ImEEE10hipError_tT0_T1_T2_jT3_P12ihipStream_tbPNSt15iterator_traitsISJ_E10value_typeEPNSP_ISK_E10value_typeEPSL_NS1_7vsmem_tEENKUlT_SJ_SK_SL_E_clIPmSE_SF_SF_EESI_SY_SJ_SK_SL_EUlSY_E_NS1_11comp_targetILNS1_3genE8ELNS1_11target_archE1030ELNS1_3gpuE2ELNS1_3repE0EEENS1_48merge_mergepath_partition_config_static_selectorELNS0_4arch9wavefront6targetE0EEEvSK_,"axG",@progbits,_ZN7rocprim17ROCPRIM_400000_NS6detail17trampoline_kernelINS0_14default_configENS1_38merge_sort_block_merge_config_selectorImNS0_10empty_typeEEEZZNS1_27merge_sort_block_merge_implIS3_N6thrust23THRUST_200600_302600_NS6detail15normal_iteratorINS9_10device_ptrImEEEEPS5_m11less_div_10ImEEE10hipError_tT0_T1_T2_jT3_P12ihipStream_tbPNSt15iterator_traitsISJ_E10value_typeEPNSP_ISK_E10value_typeEPSL_NS1_7vsmem_tEENKUlT_SJ_SK_SL_E_clIPmSE_SF_SF_EESI_SY_SJ_SK_SL_EUlSY_E_NS1_11comp_targetILNS1_3genE8ELNS1_11target_archE1030ELNS1_3gpuE2ELNS1_3repE0EEENS1_48merge_mergepath_partition_config_static_selectorELNS0_4arch9wavefront6targetE0EEEvSK_,comdat
	.protected	_ZN7rocprim17ROCPRIM_400000_NS6detail17trampoline_kernelINS0_14default_configENS1_38merge_sort_block_merge_config_selectorImNS0_10empty_typeEEEZZNS1_27merge_sort_block_merge_implIS3_N6thrust23THRUST_200600_302600_NS6detail15normal_iteratorINS9_10device_ptrImEEEEPS5_m11less_div_10ImEEE10hipError_tT0_T1_T2_jT3_P12ihipStream_tbPNSt15iterator_traitsISJ_E10value_typeEPNSP_ISK_E10value_typeEPSL_NS1_7vsmem_tEENKUlT_SJ_SK_SL_E_clIPmSE_SF_SF_EESI_SY_SJ_SK_SL_EUlSY_E_NS1_11comp_targetILNS1_3genE8ELNS1_11target_archE1030ELNS1_3gpuE2ELNS1_3repE0EEENS1_48merge_mergepath_partition_config_static_selectorELNS0_4arch9wavefront6targetE0EEEvSK_ ; -- Begin function _ZN7rocprim17ROCPRIM_400000_NS6detail17trampoline_kernelINS0_14default_configENS1_38merge_sort_block_merge_config_selectorImNS0_10empty_typeEEEZZNS1_27merge_sort_block_merge_implIS3_N6thrust23THRUST_200600_302600_NS6detail15normal_iteratorINS9_10device_ptrImEEEEPS5_m11less_div_10ImEEE10hipError_tT0_T1_T2_jT3_P12ihipStream_tbPNSt15iterator_traitsISJ_E10value_typeEPNSP_ISK_E10value_typeEPSL_NS1_7vsmem_tEENKUlT_SJ_SK_SL_E_clIPmSE_SF_SF_EESI_SY_SJ_SK_SL_EUlSY_E_NS1_11comp_targetILNS1_3genE8ELNS1_11target_archE1030ELNS1_3gpuE2ELNS1_3repE0EEENS1_48merge_mergepath_partition_config_static_selectorELNS0_4arch9wavefront6targetE0EEEvSK_
	.globl	_ZN7rocprim17ROCPRIM_400000_NS6detail17trampoline_kernelINS0_14default_configENS1_38merge_sort_block_merge_config_selectorImNS0_10empty_typeEEEZZNS1_27merge_sort_block_merge_implIS3_N6thrust23THRUST_200600_302600_NS6detail15normal_iteratorINS9_10device_ptrImEEEEPS5_m11less_div_10ImEEE10hipError_tT0_T1_T2_jT3_P12ihipStream_tbPNSt15iterator_traitsISJ_E10value_typeEPNSP_ISK_E10value_typeEPSL_NS1_7vsmem_tEENKUlT_SJ_SK_SL_E_clIPmSE_SF_SF_EESI_SY_SJ_SK_SL_EUlSY_E_NS1_11comp_targetILNS1_3genE8ELNS1_11target_archE1030ELNS1_3gpuE2ELNS1_3repE0EEENS1_48merge_mergepath_partition_config_static_selectorELNS0_4arch9wavefront6targetE0EEEvSK_
	.p2align	8
	.type	_ZN7rocprim17ROCPRIM_400000_NS6detail17trampoline_kernelINS0_14default_configENS1_38merge_sort_block_merge_config_selectorImNS0_10empty_typeEEEZZNS1_27merge_sort_block_merge_implIS3_N6thrust23THRUST_200600_302600_NS6detail15normal_iteratorINS9_10device_ptrImEEEEPS5_m11less_div_10ImEEE10hipError_tT0_T1_T2_jT3_P12ihipStream_tbPNSt15iterator_traitsISJ_E10value_typeEPNSP_ISK_E10value_typeEPSL_NS1_7vsmem_tEENKUlT_SJ_SK_SL_E_clIPmSE_SF_SF_EESI_SY_SJ_SK_SL_EUlSY_E_NS1_11comp_targetILNS1_3genE8ELNS1_11target_archE1030ELNS1_3gpuE2ELNS1_3repE0EEENS1_48merge_mergepath_partition_config_static_selectorELNS0_4arch9wavefront6targetE0EEEvSK_,@function
_ZN7rocprim17ROCPRIM_400000_NS6detail17trampoline_kernelINS0_14default_configENS1_38merge_sort_block_merge_config_selectorImNS0_10empty_typeEEEZZNS1_27merge_sort_block_merge_implIS3_N6thrust23THRUST_200600_302600_NS6detail15normal_iteratorINS9_10device_ptrImEEEEPS5_m11less_div_10ImEEE10hipError_tT0_T1_T2_jT3_P12ihipStream_tbPNSt15iterator_traitsISJ_E10value_typeEPNSP_ISK_E10value_typeEPSL_NS1_7vsmem_tEENKUlT_SJ_SK_SL_E_clIPmSE_SF_SF_EESI_SY_SJ_SK_SL_EUlSY_E_NS1_11comp_targetILNS1_3genE8ELNS1_11target_archE1030ELNS1_3gpuE2ELNS1_3repE0EEENS1_48merge_mergepath_partition_config_static_selectorELNS0_4arch9wavefront6targetE0EEEvSK_: ; @_ZN7rocprim17ROCPRIM_400000_NS6detail17trampoline_kernelINS0_14default_configENS1_38merge_sort_block_merge_config_selectorImNS0_10empty_typeEEEZZNS1_27merge_sort_block_merge_implIS3_N6thrust23THRUST_200600_302600_NS6detail15normal_iteratorINS9_10device_ptrImEEEEPS5_m11less_div_10ImEEE10hipError_tT0_T1_T2_jT3_P12ihipStream_tbPNSt15iterator_traitsISJ_E10value_typeEPNSP_ISK_E10value_typeEPSL_NS1_7vsmem_tEENKUlT_SJ_SK_SL_E_clIPmSE_SF_SF_EESI_SY_SJ_SK_SL_EUlSY_E_NS1_11comp_targetILNS1_3genE8ELNS1_11target_archE1030ELNS1_3gpuE2ELNS1_3repE0EEENS1_48merge_mergepath_partition_config_static_selectorELNS0_4arch9wavefront6targetE0EEEvSK_
; %bb.0:
	s_load_dword s0, s[4:5], 0x0
	v_lshl_or_b32 v0, s6, 7, v0
	s_waitcnt lgkmcnt(0)
	v_cmp_gt_u32_e32 vcc_lo, s0, v0
	s_and_saveexec_b32 s0, vcc_lo
	s_cbranch_execz .LBB624_6
; %bb.1:
	s_load_dwordx4 s[0:3], s[4:5], 0x8
	v_mov_b32_e32 v2, 0
	v_mov_b32_e32 v11, v2
	s_waitcnt lgkmcnt(0)
	s_lshr_b64 s[6:7], s[0:1], 9
	s_and_b32 s6, s6, -2
	s_sub_i32 s7, 0, s6
	s_add_i32 s6, s6, -1
	v_and_b32_e32 v1, s7, v0
	v_and_b32_e32 v10, s6, v0
	v_lshlrev_b64 v[4:5], 10, v[1:2]
	v_add_co_u32 v6, vcc_lo, v4, s0
	v_add_co_ci_u32_e64 v7, null, s1, v5, vcc_lo
	v_cmp_lt_u64_e32 vcc_lo, s[2:3], v[6:7]
	v_cndmask_b32_e64 v8, v6, s2, vcc_lo
	v_cndmask_b32_e64 v9, v7, s3, vcc_lo
	v_add_co_u32 v6, vcc_lo, v8, s0
	v_add_co_ci_u32_e64 v7, null, s1, v9, vcc_lo
	v_cmp_lt_u64_e32 vcc_lo, s[2:3], v[4:5]
	s_mov_b32 s1, 0
	v_cmp_lt_u64_e64 s0, s[2:3], v[6:7]
	v_cndmask_b32_e64 v2, v4, s2, vcc_lo
	v_cndmask_b32_e64 v3, v5, s3, vcc_lo
	v_lshlrev_b64 v[4:5], 10, v[10:11]
	v_cndmask_b32_e64 v12, v6, s2, s0
	v_cndmask_b32_e64 v1, v7, s3, s0
	s_load_dwordx2 s[2:3], s[4:5], 0x28
	v_sub_co_u32 v6, vcc_lo, v12, v2
	v_sub_co_ci_u32_e64 v7, null, v1, v3, vcc_lo
	v_cmp_lt_u64_e32 vcc_lo, v[6:7], v[4:5]
	v_cndmask_b32_e32 v11, v5, v7, vcc_lo
	v_cndmask_b32_e32 v10, v4, v6, vcc_lo
	v_sub_co_u32 v4, vcc_lo, v8, v12
	v_sub_co_ci_u32_e64 v1, null, v9, v1, vcc_lo
	v_add_co_u32 v4, vcc_lo, v10, v4
	v_add_co_ci_u32_e64 v5, null, v11, v1, vcc_lo
	v_sub_co_u32 v6, vcc_lo, v8, v2
	v_sub_co_ci_u32_e64 v7, null, v9, v3, vcc_lo
	v_cmp_gt_u64_e32 vcc_lo, v[4:5], v[10:11]
	v_cmp_lt_u64_e64 s0, v[10:11], v[6:7]
	v_cndmask_b32_e64 v5, v5, 0, vcc_lo
	v_cndmask_b32_e64 v4, v4, 0, vcc_lo
	v_cndmask_b32_e64 v7, v7, v11, s0
	v_cndmask_b32_e64 v6, v6, v10, s0
	s_mov_b32 s0, exec_lo
	v_cmpx_lt_u64_e64 v[4:5], v[6:7]
	s_cbranch_execz .LBB624_5
; %bb.2:
	s_load_dwordx2 s[4:5], s[4:5], 0x18
	v_lshlrev_b64 v[8:9], 3, v[8:9]
	v_lshlrev_b64 v[12:13], 3, v[2:3]
	;; [unrolled: 1-line block ×3, first 2 shown]
	s_waitcnt lgkmcnt(0)
	v_add_co_u32 v14, vcc_lo, s4, v8
	v_add_co_ci_u32_e64 v15, null, s5, v9, vcc_lo
	v_add_co_u32 v1, vcc_lo, s4, v12
	v_add_co_ci_u32_e64 v8, null, s5, v13, vcc_lo
	;; [unrolled: 2-line block ×3, first 2 shown]
	s_inst_prefetch 0x1
	.p2align	6
.LBB624_3:                              ; =>This Inner Loop Header: Depth=1
	v_add_co_u32 v11, vcc_lo, v6, v4
	v_add_co_ci_u32_e64 v12, null, v7, v5, vcc_lo
	v_lshrrev_b64 v[11:12], 1, v[11:12]
	v_lshlrev_b64 v[13:14], 3, v[11:12]
	v_xor_b32_e32 v15, -8, v13
	v_xor_b32_e32 v16, -1, v14
	v_add_co_u32 v13, vcc_lo, v1, v13
	v_add_co_ci_u32_e64 v14, null, v8, v14, vcc_lo
	v_add_co_u32 v15, vcc_lo, v9, v15
	v_add_co_ci_u32_e64 v16, null, v10, v16, vcc_lo
	v_add_co_u32 v17, vcc_lo, v11, 1
	s_clause 0x1
	global_load_dword v13, v[13:14], off
	global_load_dword v14, v[15:16], off
	s_waitcnt vmcnt(1)
	v_mul_hi_i32 v13, 0x66666667, v13
	s_waitcnt vmcnt(0)
	v_mul_hi_i32 v14, 0x66666667, v14
	v_lshrrev_b32_e32 v15, 31, v13
	v_ashrrev_i32_e32 v13, 2, v13
	v_lshrrev_b32_e32 v16, 31, v14
	v_ashrrev_i32_e32 v14, 2, v14
	v_add_nc_u32_e32 v13, v13, v15
	v_add_co_ci_u32_e64 v15, null, 0, v12, vcc_lo
	v_add_nc_u32_e32 v14, v14, v16
	v_cmp_lt_i32_e32 vcc_lo, v14, v13
	v_cndmask_b32_e32 v7, v7, v12, vcc_lo
	v_cndmask_b32_e32 v6, v6, v11, vcc_lo
	;; [unrolled: 1-line block ×4, first 2 shown]
	v_cmp_ge_u64_e32 vcc_lo, v[4:5], v[6:7]
	s_or_b32 s1, vcc_lo, s1
	s_andn2_b32 exec_lo, exec_lo, s1
	s_cbranch_execnz .LBB624_3
; %bb.4:
	s_inst_prefetch 0x2
	s_or_b32 exec_lo, exec_lo, s1
.LBB624_5:
	s_or_b32 exec_lo, exec_lo, s0
	v_mov_b32_e32 v1, 0
	v_add_co_u32 v2, vcc_lo, v4, v2
	v_add_co_ci_u32_e64 v3, null, v5, v3, vcc_lo
	v_lshlrev_b64 v[0:1], 3, v[0:1]
	s_waitcnt lgkmcnt(0)
	v_add_co_u32 v0, vcc_lo, s2, v0
	v_add_co_ci_u32_e64 v1, null, s3, v1, vcc_lo
	global_store_dwordx2 v[0:1], v[2:3], off
.LBB624_6:
	s_endpgm
	.section	.rodata,"a",@progbits
	.p2align	6, 0x0
	.amdhsa_kernel _ZN7rocprim17ROCPRIM_400000_NS6detail17trampoline_kernelINS0_14default_configENS1_38merge_sort_block_merge_config_selectorImNS0_10empty_typeEEEZZNS1_27merge_sort_block_merge_implIS3_N6thrust23THRUST_200600_302600_NS6detail15normal_iteratorINS9_10device_ptrImEEEEPS5_m11less_div_10ImEEE10hipError_tT0_T1_T2_jT3_P12ihipStream_tbPNSt15iterator_traitsISJ_E10value_typeEPNSP_ISK_E10value_typeEPSL_NS1_7vsmem_tEENKUlT_SJ_SK_SL_E_clIPmSE_SF_SF_EESI_SY_SJ_SK_SL_EUlSY_E_NS1_11comp_targetILNS1_3genE8ELNS1_11target_archE1030ELNS1_3gpuE2ELNS1_3repE0EEENS1_48merge_mergepath_partition_config_static_selectorELNS0_4arch9wavefront6targetE0EEEvSK_
		.amdhsa_group_segment_fixed_size 0
		.amdhsa_private_segment_fixed_size 0
		.amdhsa_kernarg_size 48
		.amdhsa_user_sgpr_count 6
		.amdhsa_user_sgpr_private_segment_buffer 1
		.amdhsa_user_sgpr_dispatch_ptr 0
		.amdhsa_user_sgpr_queue_ptr 0
		.amdhsa_user_sgpr_kernarg_segment_ptr 1
		.amdhsa_user_sgpr_dispatch_id 0
		.amdhsa_user_sgpr_flat_scratch_init 0
		.amdhsa_user_sgpr_private_segment_size 0
		.amdhsa_wavefront_size32 1
		.amdhsa_uses_dynamic_stack 0
		.amdhsa_system_sgpr_private_segment_wavefront_offset 0
		.amdhsa_system_sgpr_workgroup_id_x 1
		.amdhsa_system_sgpr_workgroup_id_y 0
		.amdhsa_system_sgpr_workgroup_id_z 0
		.amdhsa_system_sgpr_workgroup_info 0
		.amdhsa_system_vgpr_workitem_id 0
		.amdhsa_next_free_vgpr 18
		.amdhsa_next_free_sgpr 8
		.amdhsa_reserve_vcc 1
		.amdhsa_reserve_flat_scratch 0
		.amdhsa_float_round_mode_32 0
		.amdhsa_float_round_mode_16_64 0
		.amdhsa_float_denorm_mode_32 3
		.amdhsa_float_denorm_mode_16_64 3
		.amdhsa_dx10_clamp 1
		.amdhsa_ieee_mode 1
		.amdhsa_fp16_overflow 0
		.amdhsa_workgroup_processor_mode 1
		.amdhsa_memory_ordered 1
		.amdhsa_forward_progress 1
		.amdhsa_shared_vgpr_count 0
		.amdhsa_exception_fp_ieee_invalid_op 0
		.amdhsa_exception_fp_denorm_src 0
		.amdhsa_exception_fp_ieee_div_zero 0
		.amdhsa_exception_fp_ieee_overflow 0
		.amdhsa_exception_fp_ieee_underflow 0
		.amdhsa_exception_fp_ieee_inexact 0
		.amdhsa_exception_int_div_zero 0
	.end_amdhsa_kernel
	.section	.text._ZN7rocprim17ROCPRIM_400000_NS6detail17trampoline_kernelINS0_14default_configENS1_38merge_sort_block_merge_config_selectorImNS0_10empty_typeEEEZZNS1_27merge_sort_block_merge_implIS3_N6thrust23THRUST_200600_302600_NS6detail15normal_iteratorINS9_10device_ptrImEEEEPS5_m11less_div_10ImEEE10hipError_tT0_T1_T2_jT3_P12ihipStream_tbPNSt15iterator_traitsISJ_E10value_typeEPNSP_ISK_E10value_typeEPSL_NS1_7vsmem_tEENKUlT_SJ_SK_SL_E_clIPmSE_SF_SF_EESI_SY_SJ_SK_SL_EUlSY_E_NS1_11comp_targetILNS1_3genE8ELNS1_11target_archE1030ELNS1_3gpuE2ELNS1_3repE0EEENS1_48merge_mergepath_partition_config_static_selectorELNS0_4arch9wavefront6targetE0EEEvSK_,"axG",@progbits,_ZN7rocprim17ROCPRIM_400000_NS6detail17trampoline_kernelINS0_14default_configENS1_38merge_sort_block_merge_config_selectorImNS0_10empty_typeEEEZZNS1_27merge_sort_block_merge_implIS3_N6thrust23THRUST_200600_302600_NS6detail15normal_iteratorINS9_10device_ptrImEEEEPS5_m11less_div_10ImEEE10hipError_tT0_T1_T2_jT3_P12ihipStream_tbPNSt15iterator_traitsISJ_E10value_typeEPNSP_ISK_E10value_typeEPSL_NS1_7vsmem_tEENKUlT_SJ_SK_SL_E_clIPmSE_SF_SF_EESI_SY_SJ_SK_SL_EUlSY_E_NS1_11comp_targetILNS1_3genE8ELNS1_11target_archE1030ELNS1_3gpuE2ELNS1_3repE0EEENS1_48merge_mergepath_partition_config_static_selectorELNS0_4arch9wavefront6targetE0EEEvSK_,comdat
.Lfunc_end624:
	.size	_ZN7rocprim17ROCPRIM_400000_NS6detail17trampoline_kernelINS0_14default_configENS1_38merge_sort_block_merge_config_selectorImNS0_10empty_typeEEEZZNS1_27merge_sort_block_merge_implIS3_N6thrust23THRUST_200600_302600_NS6detail15normal_iteratorINS9_10device_ptrImEEEEPS5_m11less_div_10ImEEE10hipError_tT0_T1_T2_jT3_P12ihipStream_tbPNSt15iterator_traitsISJ_E10value_typeEPNSP_ISK_E10value_typeEPSL_NS1_7vsmem_tEENKUlT_SJ_SK_SL_E_clIPmSE_SF_SF_EESI_SY_SJ_SK_SL_EUlSY_E_NS1_11comp_targetILNS1_3genE8ELNS1_11target_archE1030ELNS1_3gpuE2ELNS1_3repE0EEENS1_48merge_mergepath_partition_config_static_selectorELNS0_4arch9wavefront6targetE0EEEvSK_, .Lfunc_end624-_ZN7rocprim17ROCPRIM_400000_NS6detail17trampoline_kernelINS0_14default_configENS1_38merge_sort_block_merge_config_selectorImNS0_10empty_typeEEEZZNS1_27merge_sort_block_merge_implIS3_N6thrust23THRUST_200600_302600_NS6detail15normal_iteratorINS9_10device_ptrImEEEEPS5_m11less_div_10ImEEE10hipError_tT0_T1_T2_jT3_P12ihipStream_tbPNSt15iterator_traitsISJ_E10value_typeEPNSP_ISK_E10value_typeEPSL_NS1_7vsmem_tEENKUlT_SJ_SK_SL_E_clIPmSE_SF_SF_EESI_SY_SJ_SK_SL_EUlSY_E_NS1_11comp_targetILNS1_3genE8ELNS1_11target_archE1030ELNS1_3gpuE2ELNS1_3repE0EEENS1_48merge_mergepath_partition_config_static_selectorELNS0_4arch9wavefront6targetE0EEEvSK_
                                        ; -- End function
	.set _ZN7rocprim17ROCPRIM_400000_NS6detail17trampoline_kernelINS0_14default_configENS1_38merge_sort_block_merge_config_selectorImNS0_10empty_typeEEEZZNS1_27merge_sort_block_merge_implIS3_N6thrust23THRUST_200600_302600_NS6detail15normal_iteratorINS9_10device_ptrImEEEEPS5_m11less_div_10ImEEE10hipError_tT0_T1_T2_jT3_P12ihipStream_tbPNSt15iterator_traitsISJ_E10value_typeEPNSP_ISK_E10value_typeEPSL_NS1_7vsmem_tEENKUlT_SJ_SK_SL_E_clIPmSE_SF_SF_EESI_SY_SJ_SK_SL_EUlSY_E_NS1_11comp_targetILNS1_3genE8ELNS1_11target_archE1030ELNS1_3gpuE2ELNS1_3repE0EEENS1_48merge_mergepath_partition_config_static_selectorELNS0_4arch9wavefront6targetE0EEEvSK_.num_vgpr, 18
	.set _ZN7rocprim17ROCPRIM_400000_NS6detail17trampoline_kernelINS0_14default_configENS1_38merge_sort_block_merge_config_selectorImNS0_10empty_typeEEEZZNS1_27merge_sort_block_merge_implIS3_N6thrust23THRUST_200600_302600_NS6detail15normal_iteratorINS9_10device_ptrImEEEEPS5_m11less_div_10ImEEE10hipError_tT0_T1_T2_jT3_P12ihipStream_tbPNSt15iterator_traitsISJ_E10value_typeEPNSP_ISK_E10value_typeEPSL_NS1_7vsmem_tEENKUlT_SJ_SK_SL_E_clIPmSE_SF_SF_EESI_SY_SJ_SK_SL_EUlSY_E_NS1_11comp_targetILNS1_3genE8ELNS1_11target_archE1030ELNS1_3gpuE2ELNS1_3repE0EEENS1_48merge_mergepath_partition_config_static_selectorELNS0_4arch9wavefront6targetE0EEEvSK_.num_agpr, 0
	.set _ZN7rocprim17ROCPRIM_400000_NS6detail17trampoline_kernelINS0_14default_configENS1_38merge_sort_block_merge_config_selectorImNS0_10empty_typeEEEZZNS1_27merge_sort_block_merge_implIS3_N6thrust23THRUST_200600_302600_NS6detail15normal_iteratorINS9_10device_ptrImEEEEPS5_m11less_div_10ImEEE10hipError_tT0_T1_T2_jT3_P12ihipStream_tbPNSt15iterator_traitsISJ_E10value_typeEPNSP_ISK_E10value_typeEPSL_NS1_7vsmem_tEENKUlT_SJ_SK_SL_E_clIPmSE_SF_SF_EESI_SY_SJ_SK_SL_EUlSY_E_NS1_11comp_targetILNS1_3genE8ELNS1_11target_archE1030ELNS1_3gpuE2ELNS1_3repE0EEENS1_48merge_mergepath_partition_config_static_selectorELNS0_4arch9wavefront6targetE0EEEvSK_.numbered_sgpr, 8
	.set _ZN7rocprim17ROCPRIM_400000_NS6detail17trampoline_kernelINS0_14default_configENS1_38merge_sort_block_merge_config_selectorImNS0_10empty_typeEEEZZNS1_27merge_sort_block_merge_implIS3_N6thrust23THRUST_200600_302600_NS6detail15normal_iteratorINS9_10device_ptrImEEEEPS5_m11less_div_10ImEEE10hipError_tT0_T1_T2_jT3_P12ihipStream_tbPNSt15iterator_traitsISJ_E10value_typeEPNSP_ISK_E10value_typeEPSL_NS1_7vsmem_tEENKUlT_SJ_SK_SL_E_clIPmSE_SF_SF_EESI_SY_SJ_SK_SL_EUlSY_E_NS1_11comp_targetILNS1_3genE8ELNS1_11target_archE1030ELNS1_3gpuE2ELNS1_3repE0EEENS1_48merge_mergepath_partition_config_static_selectorELNS0_4arch9wavefront6targetE0EEEvSK_.num_named_barrier, 0
	.set _ZN7rocprim17ROCPRIM_400000_NS6detail17trampoline_kernelINS0_14default_configENS1_38merge_sort_block_merge_config_selectorImNS0_10empty_typeEEEZZNS1_27merge_sort_block_merge_implIS3_N6thrust23THRUST_200600_302600_NS6detail15normal_iteratorINS9_10device_ptrImEEEEPS5_m11less_div_10ImEEE10hipError_tT0_T1_T2_jT3_P12ihipStream_tbPNSt15iterator_traitsISJ_E10value_typeEPNSP_ISK_E10value_typeEPSL_NS1_7vsmem_tEENKUlT_SJ_SK_SL_E_clIPmSE_SF_SF_EESI_SY_SJ_SK_SL_EUlSY_E_NS1_11comp_targetILNS1_3genE8ELNS1_11target_archE1030ELNS1_3gpuE2ELNS1_3repE0EEENS1_48merge_mergepath_partition_config_static_selectorELNS0_4arch9wavefront6targetE0EEEvSK_.private_seg_size, 0
	.set _ZN7rocprim17ROCPRIM_400000_NS6detail17trampoline_kernelINS0_14default_configENS1_38merge_sort_block_merge_config_selectorImNS0_10empty_typeEEEZZNS1_27merge_sort_block_merge_implIS3_N6thrust23THRUST_200600_302600_NS6detail15normal_iteratorINS9_10device_ptrImEEEEPS5_m11less_div_10ImEEE10hipError_tT0_T1_T2_jT3_P12ihipStream_tbPNSt15iterator_traitsISJ_E10value_typeEPNSP_ISK_E10value_typeEPSL_NS1_7vsmem_tEENKUlT_SJ_SK_SL_E_clIPmSE_SF_SF_EESI_SY_SJ_SK_SL_EUlSY_E_NS1_11comp_targetILNS1_3genE8ELNS1_11target_archE1030ELNS1_3gpuE2ELNS1_3repE0EEENS1_48merge_mergepath_partition_config_static_selectorELNS0_4arch9wavefront6targetE0EEEvSK_.uses_vcc, 1
	.set _ZN7rocprim17ROCPRIM_400000_NS6detail17trampoline_kernelINS0_14default_configENS1_38merge_sort_block_merge_config_selectorImNS0_10empty_typeEEEZZNS1_27merge_sort_block_merge_implIS3_N6thrust23THRUST_200600_302600_NS6detail15normal_iteratorINS9_10device_ptrImEEEEPS5_m11less_div_10ImEEE10hipError_tT0_T1_T2_jT3_P12ihipStream_tbPNSt15iterator_traitsISJ_E10value_typeEPNSP_ISK_E10value_typeEPSL_NS1_7vsmem_tEENKUlT_SJ_SK_SL_E_clIPmSE_SF_SF_EESI_SY_SJ_SK_SL_EUlSY_E_NS1_11comp_targetILNS1_3genE8ELNS1_11target_archE1030ELNS1_3gpuE2ELNS1_3repE0EEENS1_48merge_mergepath_partition_config_static_selectorELNS0_4arch9wavefront6targetE0EEEvSK_.uses_flat_scratch, 0
	.set _ZN7rocprim17ROCPRIM_400000_NS6detail17trampoline_kernelINS0_14default_configENS1_38merge_sort_block_merge_config_selectorImNS0_10empty_typeEEEZZNS1_27merge_sort_block_merge_implIS3_N6thrust23THRUST_200600_302600_NS6detail15normal_iteratorINS9_10device_ptrImEEEEPS5_m11less_div_10ImEEE10hipError_tT0_T1_T2_jT3_P12ihipStream_tbPNSt15iterator_traitsISJ_E10value_typeEPNSP_ISK_E10value_typeEPSL_NS1_7vsmem_tEENKUlT_SJ_SK_SL_E_clIPmSE_SF_SF_EESI_SY_SJ_SK_SL_EUlSY_E_NS1_11comp_targetILNS1_3genE8ELNS1_11target_archE1030ELNS1_3gpuE2ELNS1_3repE0EEENS1_48merge_mergepath_partition_config_static_selectorELNS0_4arch9wavefront6targetE0EEEvSK_.has_dyn_sized_stack, 0
	.set _ZN7rocprim17ROCPRIM_400000_NS6detail17trampoline_kernelINS0_14default_configENS1_38merge_sort_block_merge_config_selectorImNS0_10empty_typeEEEZZNS1_27merge_sort_block_merge_implIS3_N6thrust23THRUST_200600_302600_NS6detail15normal_iteratorINS9_10device_ptrImEEEEPS5_m11less_div_10ImEEE10hipError_tT0_T1_T2_jT3_P12ihipStream_tbPNSt15iterator_traitsISJ_E10value_typeEPNSP_ISK_E10value_typeEPSL_NS1_7vsmem_tEENKUlT_SJ_SK_SL_E_clIPmSE_SF_SF_EESI_SY_SJ_SK_SL_EUlSY_E_NS1_11comp_targetILNS1_3genE8ELNS1_11target_archE1030ELNS1_3gpuE2ELNS1_3repE0EEENS1_48merge_mergepath_partition_config_static_selectorELNS0_4arch9wavefront6targetE0EEEvSK_.has_recursion, 0
	.set _ZN7rocprim17ROCPRIM_400000_NS6detail17trampoline_kernelINS0_14default_configENS1_38merge_sort_block_merge_config_selectorImNS0_10empty_typeEEEZZNS1_27merge_sort_block_merge_implIS3_N6thrust23THRUST_200600_302600_NS6detail15normal_iteratorINS9_10device_ptrImEEEEPS5_m11less_div_10ImEEE10hipError_tT0_T1_T2_jT3_P12ihipStream_tbPNSt15iterator_traitsISJ_E10value_typeEPNSP_ISK_E10value_typeEPSL_NS1_7vsmem_tEENKUlT_SJ_SK_SL_E_clIPmSE_SF_SF_EESI_SY_SJ_SK_SL_EUlSY_E_NS1_11comp_targetILNS1_3genE8ELNS1_11target_archE1030ELNS1_3gpuE2ELNS1_3repE0EEENS1_48merge_mergepath_partition_config_static_selectorELNS0_4arch9wavefront6targetE0EEEvSK_.has_indirect_call, 0
	.section	.AMDGPU.csdata,"",@progbits
; Kernel info:
; codeLenInByte = 720
; TotalNumSgprs: 10
; NumVgprs: 18
; ScratchSize: 0
; MemoryBound: 0
; FloatMode: 240
; IeeeMode: 1
; LDSByteSize: 0 bytes/workgroup (compile time only)
; SGPRBlocks: 0
; VGPRBlocks: 2
; NumSGPRsForWavesPerEU: 10
; NumVGPRsForWavesPerEU: 18
; Occupancy: 16
; WaveLimiterHint : 0
; COMPUTE_PGM_RSRC2:SCRATCH_EN: 0
; COMPUTE_PGM_RSRC2:USER_SGPR: 6
; COMPUTE_PGM_RSRC2:TRAP_HANDLER: 0
; COMPUTE_PGM_RSRC2:TGID_X_EN: 1
; COMPUTE_PGM_RSRC2:TGID_Y_EN: 0
; COMPUTE_PGM_RSRC2:TGID_Z_EN: 0
; COMPUTE_PGM_RSRC2:TIDIG_COMP_CNT: 0
	.section	.text._ZN7rocprim17ROCPRIM_400000_NS6detail17trampoline_kernelINS0_14default_configENS1_38merge_sort_block_merge_config_selectorImNS0_10empty_typeEEEZZNS1_27merge_sort_block_merge_implIS3_N6thrust23THRUST_200600_302600_NS6detail15normal_iteratorINS9_10device_ptrImEEEEPS5_m11less_div_10ImEEE10hipError_tT0_T1_T2_jT3_P12ihipStream_tbPNSt15iterator_traitsISJ_E10value_typeEPNSP_ISK_E10value_typeEPSL_NS1_7vsmem_tEENKUlT_SJ_SK_SL_E_clIPmSE_SF_SF_EESI_SY_SJ_SK_SL_EUlSY_E0_NS1_11comp_targetILNS1_3genE0ELNS1_11target_archE4294967295ELNS1_3gpuE0ELNS1_3repE0EEENS1_38merge_mergepath_config_static_selectorELNS0_4arch9wavefront6targetE0EEEvSK_,"axG",@progbits,_ZN7rocprim17ROCPRIM_400000_NS6detail17trampoline_kernelINS0_14default_configENS1_38merge_sort_block_merge_config_selectorImNS0_10empty_typeEEEZZNS1_27merge_sort_block_merge_implIS3_N6thrust23THRUST_200600_302600_NS6detail15normal_iteratorINS9_10device_ptrImEEEEPS5_m11less_div_10ImEEE10hipError_tT0_T1_T2_jT3_P12ihipStream_tbPNSt15iterator_traitsISJ_E10value_typeEPNSP_ISK_E10value_typeEPSL_NS1_7vsmem_tEENKUlT_SJ_SK_SL_E_clIPmSE_SF_SF_EESI_SY_SJ_SK_SL_EUlSY_E0_NS1_11comp_targetILNS1_3genE0ELNS1_11target_archE4294967295ELNS1_3gpuE0ELNS1_3repE0EEENS1_38merge_mergepath_config_static_selectorELNS0_4arch9wavefront6targetE0EEEvSK_,comdat
	.protected	_ZN7rocprim17ROCPRIM_400000_NS6detail17trampoline_kernelINS0_14default_configENS1_38merge_sort_block_merge_config_selectorImNS0_10empty_typeEEEZZNS1_27merge_sort_block_merge_implIS3_N6thrust23THRUST_200600_302600_NS6detail15normal_iteratorINS9_10device_ptrImEEEEPS5_m11less_div_10ImEEE10hipError_tT0_T1_T2_jT3_P12ihipStream_tbPNSt15iterator_traitsISJ_E10value_typeEPNSP_ISK_E10value_typeEPSL_NS1_7vsmem_tEENKUlT_SJ_SK_SL_E_clIPmSE_SF_SF_EESI_SY_SJ_SK_SL_EUlSY_E0_NS1_11comp_targetILNS1_3genE0ELNS1_11target_archE4294967295ELNS1_3gpuE0ELNS1_3repE0EEENS1_38merge_mergepath_config_static_selectorELNS0_4arch9wavefront6targetE0EEEvSK_ ; -- Begin function _ZN7rocprim17ROCPRIM_400000_NS6detail17trampoline_kernelINS0_14default_configENS1_38merge_sort_block_merge_config_selectorImNS0_10empty_typeEEEZZNS1_27merge_sort_block_merge_implIS3_N6thrust23THRUST_200600_302600_NS6detail15normal_iteratorINS9_10device_ptrImEEEEPS5_m11less_div_10ImEEE10hipError_tT0_T1_T2_jT3_P12ihipStream_tbPNSt15iterator_traitsISJ_E10value_typeEPNSP_ISK_E10value_typeEPSL_NS1_7vsmem_tEENKUlT_SJ_SK_SL_E_clIPmSE_SF_SF_EESI_SY_SJ_SK_SL_EUlSY_E0_NS1_11comp_targetILNS1_3genE0ELNS1_11target_archE4294967295ELNS1_3gpuE0ELNS1_3repE0EEENS1_38merge_mergepath_config_static_selectorELNS0_4arch9wavefront6targetE0EEEvSK_
	.globl	_ZN7rocprim17ROCPRIM_400000_NS6detail17trampoline_kernelINS0_14default_configENS1_38merge_sort_block_merge_config_selectorImNS0_10empty_typeEEEZZNS1_27merge_sort_block_merge_implIS3_N6thrust23THRUST_200600_302600_NS6detail15normal_iteratorINS9_10device_ptrImEEEEPS5_m11less_div_10ImEEE10hipError_tT0_T1_T2_jT3_P12ihipStream_tbPNSt15iterator_traitsISJ_E10value_typeEPNSP_ISK_E10value_typeEPSL_NS1_7vsmem_tEENKUlT_SJ_SK_SL_E_clIPmSE_SF_SF_EESI_SY_SJ_SK_SL_EUlSY_E0_NS1_11comp_targetILNS1_3genE0ELNS1_11target_archE4294967295ELNS1_3gpuE0ELNS1_3repE0EEENS1_38merge_mergepath_config_static_selectorELNS0_4arch9wavefront6targetE0EEEvSK_
	.p2align	8
	.type	_ZN7rocprim17ROCPRIM_400000_NS6detail17trampoline_kernelINS0_14default_configENS1_38merge_sort_block_merge_config_selectorImNS0_10empty_typeEEEZZNS1_27merge_sort_block_merge_implIS3_N6thrust23THRUST_200600_302600_NS6detail15normal_iteratorINS9_10device_ptrImEEEEPS5_m11less_div_10ImEEE10hipError_tT0_T1_T2_jT3_P12ihipStream_tbPNSt15iterator_traitsISJ_E10value_typeEPNSP_ISK_E10value_typeEPSL_NS1_7vsmem_tEENKUlT_SJ_SK_SL_E_clIPmSE_SF_SF_EESI_SY_SJ_SK_SL_EUlSY_E0_NS1_11comp_targetILNS1_3genE0ELNS1_11target_archE4294967295ELNS1_3gpuE0ELNS1_3repE0EEENS1_38merge_mergepath_config_static_selectorELNS0_4arch9wavefront6targetE0EEEvSK_,@function
_ZN7rocprim17ROCPRIM_400000_NS6detail17trampoline_kernelINS0_14default_configENS1_38merge_sort_block_merge_config_selectorImNS0_10empty_typeEEEZZNS1_27merge_sort_block_merge_implIS3_N6thrust23THRUST_200600_302600_NS6detail15normal_iteratorINS9_10device_ptrImEEEEPS5_m11less_div_10ImEEE10hipError_tT0_T1_T2_jT3_P12ihipStream_tbPNSt15iterator_traitsISJ_E10value_typeEPNSP_ISK_E10value_typeEPSL_NS1_7vsmem_tEENKUlT_SJ_SK_SL_E_clIPmSE_SF_SF_EESI_SY_SJ_SK_SL_EUlSY_E0_NS1_11comp_targetILNS1_3genE0ELNS1_11target_archE4294967295ELNS1_3gpuE0ELNS1_3repE0EEENS1_38merge_mergepath_config_static_selectorELNS0_4arch9wavefront6targetE0EEEvSK_: ; @_ZN7rocprim17ROCPRIM_400000_NS6detail17trampoline_kernelINS0_14default_configENS1_38merge_sort_block_merge_config_selectorImNS0_10empty_typeEEEZZNS1_27merge_sort_block_merge_implIS3_N6thrust23THRUST_200600_302600_NS6detail15normal_iteratorINS9_10device_ptrImEEEEPS5_m11less_div_10ImEEE10hipError_tT0_T1_T2_jT3_P12ihipStream_tbPNSt15iterator_traitsISJ_E10value_typeEPNSP_ISK_E10value_typeEPSL_NS1_7vsmem_tEENKUlT_SJ_SK_SL_E_clIPmSE_SF_SF_EESI_SY_SJ_SK_SL_EUlSY_E0_NS1_11comp_targetILNS1_3genE0ELNS1_11target_archE4294967295ELNS1_3gpuE0ELNS1_3repE0EEENS1_38merge_mergepath_config_static_selectorELNS0_4arch9wavefront6targetE0EEEvSK_
; %bb.0:
	.section	.rodata,"a",@progbits
	.p2align	6, 0x0
	.amdhsa_kernel _ZN7rocprim17ROCPRIM_400000_NS6detail17trampoline_kernelINS0_14default_configENS1_38merge_sort_block_merge_config_selectorImNS0_10empty_typeEEEZZNS1_27merge_sort_block_merge_implIS3_N6thrust23THRUST_200600_302600_NS6detail15normal_iteratorINS9_10device_ptrImEEEEPS5_m11less_div_10ImEEE10hipError_tT0_T1_T2_jT3_P12ihipStream_tbPNSt15iterator_traitsISJ_E10value_typeEPNSP_ISK_E10value_typeEPSL_NS1_7vsmem_tEENKUlT_SJ_SK_SL_E_clIPmSE_SF_SF_EESI_SY_SJ_SK_SL_EUlSY_E0_NS1_11comp_targetILNS1_3genE0ELNS1_11target_archE4294967295ELNS1_3gpuE0ELNS1_3repE0EEENS1_38merge_mergepath_config_static_selectorELNS0_4arch9wavefront6targetE0EEEvSK_
		.amdhsa_group_segment_fixed_size 0
		.amdhsa_private_segment_fixed_size 0
		.amdhsa_kernarg_size 72
		.amdhsa_user_sgpr_count 6
		.amdhsa_user_sgpr_private_segment_buffer 1
		.amdhsa_user_sgpr_dispatch_ptr 0
		.amdhsa_user_sgpr_queue_ptr 0
		.amdhsa_user_sgpr_kernarg_segment_ptr 1
		.amdhsa_user_sgpr_dispatch_id 0
		.amdhsa_user_sgpr_flat_scratch_init 0
		.amdhsa_user_sgpr_private_segment_size 0
		.amdhsa_wavefront_size32 1
		.amdhsa_uses_dynamic_stack 0
		.amdhsa_system_sgpr_private_segment_wavefront_offset 0
		.amdhsa_system_sgpr_workgroup_id_x 1
		.amdhsa_system_sgpr_workgroup_id_y 0
		.amdhsa_system_sgpr_workgroup_id_z 0
		.amdhsa_system_sgpr_workgroup_info 0
		.amdhsa_system_vgpr_workitem_id 0
		.amdhsa_next_free_vgpr 1
		.amdhsa_next_free_sgpr 1
		.amdhsa_reserve_vcc 0
		.amdhsa_reserve_flat_scratch 0
		.amdhsa_float_round_mode_32 0
		.amdhsa_float_round_mode_16_64 0
		.amdhsa_float_denorm_mode_32 3
		.amdhsa_float_denorm_mode_16_64 3
		.amdhsa_dx10_clamp 1
		.amdhsa_ieee_mode 1
		.amdhsa_fp16_overflow 0
		.amdhsa_workgroup_processor_mode 1
		.amdhsa_memory_ordered 1
		.amdhsa_forward_progress 1
		.amdhsa_shared_vgpr_count 0
		.amdhsa_exception_fp_ieee_invalid_op 0
		.amdhsa_exception_fp_denorm_src 0
		.amdhsa_exception_fp_ieee_div_zero 0
		.amdhsa_exception_fp_ieee_overflow 0
		.amdhsa_exception_fp_ieee_underflow 0
		.amdhsa_exception_fp_ieee_inexact 0
		.amdhsa_exception_int_div_zero 0
	.end_amdhsa_kernel
	.section	.text._ZN7rocprim17ROCPRIM_400000_NS6detail17trampoline_kernelINS0_14default_configENS1_38merge_sort_block_merge_config_selectorImNS0_10empty_typeEEEZZNS1_27merge_sort_block_merge_implIS3_N6thrust23THRUST_200600_302600_NS6detail15normal_iteratorINS9_10device_ptrImEEEEPS5_m11less_div_10ImEEE10hipError_tT0_T1_T2_jT3_P12ihipStream_tbPNSt15iterator_traitsISJ_E10value_typeEPNSP_ISK_E10value_typeEPSL_NS1_7vsmem_tEENKUlT_SJ_SK_SL_E_clIPmSE_SF_SF_EESI_SY_SJ_SK_SL_EUlSY_E0_NS1_11comp_targetILNS1_3genE0ELNS1_11target_archE4294967295ELNS1_3gpuE0ELNS1_3repE0EEENS1_38merge_mergepath_config_static_selectorELNS0_4arch9wavefront6targetE0EEEvSK_,"axG",@progbits,_ZN7rocprim17ROCPRIM_400000_NS6detail17trampoline_kernelINS0_14default_configENS1_38merge_sort_block_merge_config_selectorImNS0_10empty_typeEEEZZNS1_27merge_sort_block_merge_implIS3_N6thrust23THRUST_200600_302600_NS6detail15normal_iteratorINS9_10device_ptrImEEEEPS5_m11less_div_10ImEEE10hipError_tT0_T1_T2_jT3_P12ihipStream_tbPNSt15iterator_traitsISJ_E10value_typeEPNSP_ISK_E10value_typeEPSL_NS1_7vsmem_tEENKUlT_SJ_SK_SL_E_clIPmSE_SF_SF_EESI_SY_SJ_SK_SL_EUlSY_E0_NS1_11comp_targetILNS1_3genE0ELNS1_11target_archE4294967295ELNS1_3gpuE0ELNS1_3repE0EEENS1_38merge_mergepath_config_static_selectorELNS0_4arch9wavefront6targetE0EEEvSK_,comdat
.Lfunc_end625:
	.size	_ZN7rocprim17ROCPRIM_400000_NS6detail17trampoline_kernelINS0_14default_configENS1_38merge_sort_block_merge_config_selectorImNS0_10empty_typeEEEZZNS1_27merge_sort_block_merge_implIS3_N6thrust23THRUST_200600_302600_NS6detail15normal_iteratorINS9_10device_ptrImEEEEPS5_m11less_div_10ImEEE10hipError_tT0_T1_T2_jT3_P12ihipStream_tbPNSt15iterator_traitsISJ_E10value_typeEPNSP_ISK_E10value_typeEPSL_NS1_7vsmem_tEENKUlT_SJ_SK_SL_E_clIPmSE_SF_SF_EESI_SY_SJ_SK_SL_EUlSY_E0_NS1_11comp_targetILNS1_3genE0ELNS1_11target_archE4294967295ELNS1_3gpuE0ELNS1_3repE0EEENS1_38merge_mergepath_config_static_selectorELNS0_4arch9wavefront6targetE0EEEvSK_, .Lfunc_end625-_ZN7rocprim17ROCPRIM_400000_NS6detail17trampoline_kernelINS0_14default_configENS1_38merge_sort_block_merge_config_selectorImNS0_10empty_typeEEEZZNS1_27merge_sort_block_merge_implIS3_N6thrust23THRUST_200600_302600_NS6detail15normal_iteratorINS9_10device_ptrImEEEEPS5_m11less_div_10ImEEE10hipError_tT0_T1_T2_jT3_P12ihipStream_tbPNSt15iterator_traitsISJ_E10value_typeEPNSP_ISK_E10value_typeEPSL_NS1_7vsmem_tEENKUlT_SJ_SK_SL_E_clIPmSE_SF_SF_EESI_SY_SJ_SK_SL_EUlSY_E0_NS1_11comp_targetILNS1_3genE0ELNS1_11target_archE4294967295ELNS1_3gpuE0ELNS1_3repE0EEENS1_38merge_mergepath_config_static_selectorELNS0_4arch9wavefront6targetE0EEEvSK_
                                        ; -- End function
	.set _ZN7rocprim17ROCPRIM_400000_NS6detail17trampoline_kernelINS0_14default_configENS1_38merge_sort_block_merge_config_selectorImNS0_10empty_typeEEEZZNS1_27merge_sort_block_merge_implIS3_N6thrust23THRUST_200600_302600_NS6detail15normal_iteratorINS9_10device_ptrImEEEEPS5_m11less_div_10ImEEE10hipError_tT0_T1_T2_jT3_P12ihipStream_tbPNSt15iterator_traitsISJ_E10value_typeEPNSP_ISK_E10value_typeEPSL_NS1_7vsmem_tEENKUlT_SJ_SK_SL_E_clIPmSE_SF_SF_EESI_SY_SJ_SK_SL_EUlSY_E0_NS1_11comp_targetILNS1_3genE0ELNS1_11target_archE4294967295ELNS1_3gpuE0ELNS1_3repE0EEENS1_38merge_mergepath_config_static_selectorELNS0_4arch9wavefront6targetE0EEEvSK_.num_vgpr, 0
	.set _ZN7rocprim17ROCPRIM_400000_NS6detail17trampoline_kernelINS0_14default_configENS1_38merge_sort_block_merge_config_selectorImNS0_10empty_typeEEEZZNS1_27merge_sort_block_merge_implIS3_N6thrust23THRUST_200600_302600_NS6detail15normal_iteratorINS9_10device_ptrImEEEEPS5_m11less_div_10ImEEE10hipError_tT0_T1_T2_jT3_P12ihipStream_tbPNSt15iterator_traitsISJ_E10value_typeEPNSP_ISK_E10value_typeEPSL_NS1_7vsmem_tEENKUlT_SJ_SK_SL_E_clIPmSE_SF_SF_EESI_SY_SJ_SK_SL_EUlSY_E0_NS1_11comp_targetILNS1_3genE0ELNS1_11target_archE4294967295ELNS1_3gpuE0ELNS1_3repE0EEENS1_38merge_mergepath_config_static_selectorELNS0_4arch9wavefront6targetE0EEEvSK_.num_agpr, 0
	.set _ZN7rocprim17ROCPRIM_400000_NS6detail17trampoline_kernelINS0_14default_configENS1_38merge_sort_block_merge_config_selectorImNS0_10empty_typeEEEZZNS1_27merge_sort_block_merge_implIS3_N6thrust23THRUST_200600_302600_NS6detail15normal_iteratorINS9_10device_ptrImEEEEPS5_m11less_div_10ImEEE10hipError_tT0_T1_T2_jT3_P12ihipStream_tbPNSt15iterator_traitsISJ_E10value_typeEPNSP_ISK_E10value_typeEPSL_NS1_7vsmem_tEENKUlT_SJ_SK_SL_E_clIPmSE_SF_SF_EESI_SY_SJ_SK_SL_EUlSY_E0_NS1_11comp_targetILNS1_3genE0ELNS1_11target_archE4294967295ELNS1_3gpuE0ELNS1_3repE0EEENS1_38merge_mergepath_config_static_selectorELNS0_4arch9wavefront6targetE0EEEvSK_.numbered_sgpr, 0
	.set _ZN7rocprim17ROCPRIM_400000_NS6detail17trampoline_kernelINS0_14default_configENS1_38merge_sort_block_merge_config_selectorImNS0_10empty_typeEEEZZNS1_27merge_sort_block_merge_implIS3_N6thrust23THRUST_200600_302600_NS6detail15normal_iteratorINS9_10device_ptrImEEEEPS5_m11less_div_10ImEEE10hipError_tT0_T1_T2_jT3_P12ihipStream_tbPNSt15iterator_traitsISJ_E10value_typeEPNSP_ISK_E10value_typeEPSL_NS1_7vsmem_tEENKUlT_SJ_SK_SL_E_clIPmSE_SF_SF_EESI_SY_SJ_SK_SL_EUlSY_E0_NS1_11comp_targetILNS1_3genE0ELNS1_11target_archE4294967295ELNS1_3gpuE0ELNS1_3repE0EEENS1_38merge_mergepath_config_static_selectorELNS0_4arch9wavefront6targetE0EEEvSK_.num_named_barrier, 0
	.set _ZN7rocprim17ROCPRIM_400000_NS6detail17trampoline_kernelINS0_14default_configENS1_38merge_sort_block_merge_config_selectorImNS0_10empty_typeEEEZZNS1_27merge_sort_block_merge_implIS3_N6thrust23THRUST_200600_302600_NS6detail15normal_iteratorINS9_10device_ptrImEEEEPS5_m11less_div_10ImEEE10hipError_tT0_T1_T2_jT3_P12ihipStream_tbPNSt15iterator_traitsISJ_E10value_typeEPNSP_ISK_E10value_typeEPSL_NS1_7vsmem_tEENKUlT_SJ_SK_SL_E_clIPmSE_SF_SF_EESI_SY_SJ_SK_SL_EUlSY_E0_NS1_11comp_targetILNS1_3genE0ELNS1_11target_archE4294967295ELNS1_3gpuE0ELNS1_3repE0EEENS1_38merge_mergepath_config_static_selectorELNS0_4arch9wavefront6targetE0EEEvSK_.private_seg_size, 0
	.set _ZN7rocprim17ROCPRIM_400000_NS6detail17trampoline_kernelINS0_14default_configENS1_38merge_sort_block_merge_config_selectorImNS0_10empty_typeEEEZZNS1_27merge_sort_block_merge_implIS3_N6thrust23THRUST_200600_302600_NS6detail15normal_iteratorINS9_10device_ptrImEEEEPS5_m11less_div_10ImEEE10hipError_tT0_T1_T2_jT3_P12ihipStream_tbPNSt15iterator_traitsISJ_E10value_typeEPNSP_ISK_E10value_typeEPSL_NS1_7vsmem_tEENKUlT_SJ_SK_SL_E_clIPmSE_SF_SF_EESI_SY_SJ_SK_SL_EUlSY_E0_NS1_11comp_targetILNS1_3genE0ELNS1_11target_archE4294967295ELNS1_3gpuE0ELNS1_3repE0EEENS1_38merge_mergepath_config_static_selectorELNS0_4arch9wavefront6targetE0EEEvSK_.uses_vcc, 0
	.set _ZN7rocprim17ROCPRIM_400000_NS6detail17trampoline_kernelINS0_14default_configENS1_38merge_sort_block_merge_config_selectorImNS0_10empty_typeEEEZZNS1_27merge_sort_block_merge_implIS3_N6thrust23THRUST_200600_302600_NS6detail15normal_iteratorINS9_10device_ptrImEEEEPS5_m11less_div_10ImEEE10hipError_tT0_T1_T2_jT3_P12ihipStream_tbPNSt15iterator_traitsISJ_E10value_typeEPNSP_ISK_E10value_typeEPSL_NS1_7vsmem_tEENKUlT_SJ_SK_SL_E_clIPmSE_SF_SF_EESI_SY_SJ_SK_SL_EUlSY_E0_NS1_11comp_targetILNS1_3genE0ELNS1_11target_archE4294967295ELNS1_3gpuE0ELNS1_3repE0EEENS1_38merge_mergepath_config_static_selectorELNS0_4arch9wavefront6targetE0EEEvSK_.uses_flat_scratch, 0
	.set _ZN7rocprim17ROCPRIM_400000_NS6detail17trampoline_kernelINS0_14default_configENS1_38merge_sort_block_merge_config_selectorImNS0_10empty_typeEEEZZNS1_27merge_sort_block_merge_implIS3_N6thrust23THRUST_200600_302600_NS6detail15normal_iteratorINS9_10device_ptrImEEEEPS5_m11less_div_10ImEEE10hipError_tT0_T1_T2_jT3_P12ihipStream_tbPNSt15iterator_traitsISJ_E10value_typeEPNSP_ISK_E10value_typeEPSL_NS1_7vsmem_tEENKUlT_SJ_SK_SL_E_clIPmSE_SF_SF_EESI_SY_SJ_SK_SL_EUlSY_E0_NS1_11comp_targetILNS1_3genE0ELNS1_11target_archE4294967295ELNS1_3gpuE0ELNS1_3repE0EEENS1_38merge_mergepath_config_static_selectorELNS0_4arch9wavefront6targetE0EEEvSK_.has_dyn_sized_stack, 0
	.set _ZN7rocprim17ROCPRIM_400000_NS6detail17trampoline_kernelINS0_14default_configENS1_38merge_sort_block_merge_config_selectorImNS0_10empty_typeEEEZZNS1_27merge_sort_block_merge_implIS3_N6thrust23THRUST_200600_302600_NS6detail15normal_iteratorINS9_10device_ptrImEEEEPS5_m11less_div_10ImEEE10hipError_tT0_T1_T2_jT3_P12ihipStream_tbPNSt15iterator_traitsISJ_E10value_typeEPNSP_ISK_E10value_typeEPSL_NS1_7vsmem_tEENKUlT_SJ_SK_SL_E_clIPmSE_SF_SF_EESI_SY_SJ_SK_SL_EUlSY_E0_NS1_11comp_targetILNS1_3genE0ELNS1_11target_archE4294967295ELNS1_3gpuE0ELNS1_3repE0EEENS1_38merge_mergepath_config_static_selectorELNS0_4arch9wavefront6targetE0EEEvSK_.has_recursion, 0
	.set _ZN7rocprim17ROCPRIM_400000_NS6detail17trampoline_kernelINS0_14default_configENS1_38merge_sort_block_merge_config_selectorImNS0_10empty_typeEEEZZNS1_27merge_sort_block_merge_implIS3_N6thrust23THRUST_200600_302600_NS6detail15normal_iteratorINS9_10device_ptrImEEEEPS5_m11less_div_10ImEEE10hipError_tT0_T1_T2_jT3_P12ihipStream_tbPNSt15iterator_traitsISJ_E10value_typeEPNSP_ISK_E10value_typeEPSL_NS1_7vsmem_tEENKUlT_SJ_SK_SL_E_clIPmSE_SF_SF_EESI_SY_SJ_SK_SL_EUlSY_E0_NS1_11comp_targetILNS1_3genE0ELNS1_11target_archE4294967295ELNS1_3gpuE0ELNS1_3repE0EEENS1_38merge_mergepath_config_static_selectorELNS0_4arch9wavefront6targetE0EEEvSK_.has_indirect_call, 0
	.section	.AMDGPU.csdata,"",@progbits
; Kernel info:
; codeLenInByte = 0
; TotalNumSgprs: 0
; NumVgprs: 0
; ScratchSize: 0
; MemoryBound: 0
; FloatMode: 240
; IeeeMode: 1
; LDSByteSize: 0 bytes/workgroup (compile time only)
; SGPRBlocks: 0
; VGPRBlocks: 0
; NumSGPRsForWavesPerEU: 1
; NumVGPRsForWavesPerEU: 1
; Occupancy: 16
; WaveLimiterHint : 0
; COMPUTE_PGM_RSRC2:SCRATCH_EN: 0
; COMPUTE_PGM_RSRC2:USER_SGPR: 6
; COMPUTE_PGM_RSRC2:TRAP_HANDLER: 0
; COMPUTE_PGM_RSRC2:TGID_X_EN: 1
; COMPUTE_PGM_RSRC2:TGID_Y_EN: 0
; COMPUTE_PGM_RSRC2:TGID_Z_EN: 0
; COMPUTE_PGM_RSRC2:TIDIG_COMP_CNT: 0
	.section	.text._ZN7rocprim17ROCPRIM_400000_NS6detail17trampoline_kernelINS0_14default_configENS1_38merge_sort_block_merge_config_selectorImNS0_10empty_typeEEEZZNS1_27merge_sort_block_merge_implIS3_N6thrust23THRUST_200600_302600_NS6detail15normal_iteratorINS9_10device_ptrImEEEEPS5_m11less_div_10ImEEE10hipError_tT0_T1_T2_jT3_P12ihipStream_tbPNSt15iterator_traitsISJ_E10value_typeEPNSP_ISK_E10value_typeEPSL_NS1_7vsmem_tEENKUlT_SJ_SK_SL_E_clIPmSE_SF_SF_EESI_SY_SJ_SK_SL_EUlSY_E0_NS1_11comp_targetILNS1_3genE10ELNS1_11target_archE1201ELNS1_3gpuE5ELNS1_3repE0EEENS1_38merge_mergepath_config_static_selectorELNS0_4arch9wavefront6targetE0EEEvSK_,"axG",@progbits,_ZN7rocprim17ROCPRIM_400000_NS6detail17trampoline_kernelINS0_14default_configENS1_38merge_sort_block_merge_config_selectorImNS0_10empty_typeEEEZZNS1_27merge_sort_block_merge_implIS3_N6thrust23THRUST_200600_302600_NS6detail15normal_iteratorINS9_10device_ptrImEEEEPS5_m11less_div_10ImEEE10hipError_tT0_T1_T2_jT3_P12ihipStream_tbPNSt15iterator_traitsISJ_E10value_typeEPNSP_ISK_E10value_typeEPSL_NS1_7vsmem_tEENKUlT_SJ_SK_SL_E_clIPmSE_SF_SF_EESI_SY_SJ_SK_SL_EUlSY_E0_NS1_11comp_targetILNS1_3genE10ELNS1_11target_archE1201ELNS1_3gpuE5ELNS1_3repE0EEENS1_38merge_mergepath_config_static_selectorELNS0_4arch9wavefront6targetE0EEEvSK_,comdat
	.protected	_ZN7rocprim17ROCPRIM_400000_NS6detail17trampoline_kernelINS0_14default_configENS1_38merge_sort_block_merge_config_selectorImNS0_10empty_typeEEEZZNS1_27merge_sort_block_merge_implIS3_N6thrust23THRUST_200600_302600_NS6detail15normal_iteratorINS9_10device_ptrImEEEEPS5_m11less_div_10ImEEE10hipError_tT0_T1_T2_jT3_P12ihipStream_tbPNSt15iterator_traitsISJ_E10value_typeEPNSP_ISK_E10value_typeEPSL_NS1_7vsmem_tEENKUlT_SJ_SK_SL_E_clIPmSE_SF_SF_EESI_SY_SJ_SK_SL_EUlSY_E0_NS1_11comp_targetILNS1_3genE10ELNS1_11target_archE1201ELNS1_3gpuE5ELNS1_3repE0EEENS1_38merge_mergepath_config_static_selectorELNS0_4arch9wavefront6targetE0EEEvSK_ ; -- Begin function _ZN7rocprim17ROCPRIM_400000_NS6detail17trampoline_kernelINS0_14default_configENS1_38merge_sort_block_merge_config_selectorImNS0_10empty_typeEEEZZNS1_27merge_sort_block_merge_implIS3_N6thrust23THRUST_200600_302600_NS6detail15normal_iteratorINS9_10device_ptrImEEEEPS5_m11less_div_10ImEEE10hipError_tT0_T1_T2_jT3_P12ihipStream_tbPNSt15iterator_traitsISJ_E10value_typeEPNSP_ISK_E10value_typeEPSL_NS1_7vsmem_tEENKUlT_SJ_SK_SL_E_clIPmSE_SF_SF_EESI_SY_SJ_SK_SL_EUlSY_E0_NS1_11comp_targetILNS1_3genE10ELNS1_11target_archE1201ELNS1_3gpuE5ELNS1_3repE0EEENS1_38merge_mergepath_config_static_selectorELNS0_4arch9wavefront6targetE0EEEvSK_
	.globl	_ZN7rocprim17ROCPRIM_400000_NS6detail17trampoline_kernelINS0_14default_configENS1_38merge_sort_block_merge_config_selectorImNS0_10empty_typeEEEZZNS1_27merge_sort_block_merge_implIS3_N6thrust23THRUST_200600_302600_NS6detail15normal_iteratorINS9_10device_ptrImEEEEPS5_m11less_div_10ImEEE10hipError_tT0_T1_T2_jT3_P12ihipStream_tbPNSt15iterator_traitsISJ_E10value_typeEPNSP_ISK_E10value_typeEPSL_NS1_7vsmem_tEENKUlT_SJ_SK_SL_E_clIPmSE_SF_SF_EESI_SY_SJ_SK_SL_EUlSY_E0_NS1_11comp_targetILNS1_3genE10ELNS1_11target_archE1201ELNS1_3gpuE5ELNS1_3repE0EEENS1_38merge_mergepath_config_static_selectorELNS0_4arch9wavefront6targetE0EEEvSK_
	.p2align	8
	.type	_ZN7rocprim17ROCPRIM_400000_NS6detail17trampoline_kernelINS0_14default_configENS1_38merge_sort_block_merge_config_selectorImNS0_10empty_typeEEEZZNS1_27merge_sort_block_merge_implIS3_N6thrust23THRUST_200600_302600_NS6detail15normal_iteratorINS9_10device_ptrImEEEEPS5_m11less_div_10ImEEE10hipError_tT0_T1_T2_jT3_P12ihipStream_tbPNSt15iterator_traitsISJ_E10value_typeEPNSP_ISK_E10value_typeEPSL_NS1_7vsmem_tEENKUlT_SJ_SK_SL_E_clIPmSE_SF_SF_EESI_SY_SJ_SK_SL_EUlSY_E0_NS1_11comp_targetILNS1_3genE10ELNS1_11target_archE1201ELNS1_3gpuE5ELNS1_3repE0EEENS1_38merge_mergepath_config_static_selectorELNS0_4arch9wavefront6targetE0EEEvSK_,@function
_ZN7rocprim17ROCPRIM_400000_NS6detail17trampoline_kernelINS0_14default_configENS1_38merge_sort_block_merge_config_selectorImNS0_10empty_typeEEEZZNS1_27merge_sort_block_merge_implIS3_N6thrust23THRUST_200600_302600_NS6detail15normal_iteratorINS9_10device_ptrImEEEEPS5_m11less_div_10ImEEE10hipError_tT0_T1_T2_jT3_P12ihipStream_tbPNSt15iterator_traitsISJ_E10value_typeEPNSP_ISK_E10value_typeEPSL_NS1_7vsmem_tEENKUlT_SJ_SK_SL_E_clIPmSE_SF_SF_EESI_SY_SJ_SK_SL_EUlSY_E0_NS1_11comp_targetILNS1_3genE10ELNS1_11target_archE1201ELNS1_3gpuE5ELNS1_3repE0EEENS1_38merge_mergepath_config_static_selectorELNS0_4arch9wavefront6targetE0EEEvSK_: ; @_ZN7rocprim17ROCPRIM_400000_NS6detail17trampoline_kernelINS0_14default_configENS1_38merge_sort_block_merge_config_selectorImNS0_10empty_typeEEEZZNS1_27merge_sort_block_merge_implIS3_N6thrust23THRUST_200600_302600_NS6detail15normal_iteratorINS9_10device_ptrImEEEEPS5_m11less_div_10ImEEE10hipError_tT0_T1_T2_jT3_P12ihipStream_tbPNSt15iterator_traitsISJ_E10value_typeEPNSP_ISK_E10value_typeEPSL_NS1_7vsmem_tEENKUlT_SJ_SK_SL_E_clIPmSE_SF_SF_EESI_SY_SJ_SK_SL_EUlSY_E0_NS1_11comp_targetILNS1_3genE10ELNS1_11target_archE1201ELNS1_3gpuE5ELNS1_3repE0EEENS1_38merge_mergepath_config_static_selectorELNS0_4arch9wavefront6targetE0EEEvSK_
; %bb.0:
	.section	.rodata,"a",@progbits
	.p2align	6, 0x0
	.amdhsa_kernel _ZN7rocprim17ROCPRIM_400000_NS6detail17trampoline_kernelINS0_14default_configENS1_38merge_sort_block_merge_config_selectorImNS0_10empty_typeEEEZZNS1_27merge_sort_block_merge_implIS3_N6thrust23THRUST_200600_302600_NS6detail15normal_iteratorINS9_10device_ptrImEEEEPS5_m11less_div_10ImEEE10hipError_tT0_T1_T2_jT3_P12ihipStream_tbPNSt15iterator_traitsISJ_E10value_typeEPNSP_ISK_E10value_typeEPSL_NS1_7vsmem_tEENKUlT_SJ_SK_SL_E_clIPmSE_SF_SF_EESI_SY_SJ_SK_SL_EUlSY_E0_NS1_11comp_targetILNS1_3genE10ELNS1_11target_archE1201ELNS1_3gpuE5ELNS1_3repE0EEENS1_38merge_mergepath_config_static_selectorELNS0_4arch9wavefront6targetE0EEEvSK_
		.amdhsa_group_segment_fixed_size 0
		.amdhsa_private_segment_fixed_size 0
		.amdhsa_kernarg_size 72
		.amdhsa_user_sgpr_count 6
		.amdhsa_user_sgpr_private_segment_buffer 1
		.amdhsa_user_sgpr_dispatch_ptr 0
		.amdhsa_user_sgpr_queue_ptr 0
		.amdhsa_user_sgpr_kernarg_segment_ptr 1
		.amdhsa_user_sgpr_dispatch_id 0
		.amdhsa_user_sgpr_flat_scratch_init 0
		.amdhsa_user_sgpr_private_segment_size 0
		.amdhsa_wavefront_size32 1
		.amdhsa_uses_dynamic_stack 0
		.amdhsa_system_sgpr_private_segment_wavefront_offset 0
		.amdhsa_system_sgpr_workgroup_id_x 1
		.amdhsa_system_sgpr_workgroup_id_y 0
		.amdhsa_system_sgpr_workgroup_id_z 0
		.amdhsa_system_sgpr_workgroup_info 0
		.amdhsa_system_vgpr_workitem_id 0
		.amdhsa_next_free_vgpr 1
		.amdhsa_next_free_sgpr 1
		.amdhsa_reserve_vcc 0
		.amdhsa_reserve_flat_scratch 0
		.amdhsa_float_round_mode_32 0
		.amdhsa_float_round_mode_16_64 0
		.amdhsa_float_denorm_mode_32 3
		.amdhsa_float_denorm_mode_16_64 3
		.amdhsa_dx10_clamp 1
		.amdhsa_ieee_mode 1
		.amdhsa_fp16_overflow 0
		.amdhsa_workgroup_processor_mode 1
		.amdhsa_memory_ordered 1
		.amdhsa_forward_progress 1
		.amdhsa_shared_vgpr_count 0
		.amdhsa_exception_fp_ieee_invalid_op 0
		.amdhsa_exception_fp_denorm_src 0
		.amdhsa_exception_fp_ieee_div_zero 0
		.amdhsa_exception_fp_ieee_overflow 0
		.amdhsa_exception_fp_ieee_underflow 0
		.amdhsa_exception_fp_ieee_inexact 0
		.amdhsa_exception_int_div_zero 0
	.end_amdhsa_kernel
	.section	.text._ZN7rocprim17ROCPRIM_400000_NS6detail17trampoline_kernelINS0_14default_configENS1_38merge_sort_block_merge_config_selectorImNS0_10empty_typeEEEZZNS1_27merge_sort_block_merge_implIS3_N6thrust23THRUST_200600_302600_NS6detail15normal_iteratorINS9_10device_ptrImEEEEPS5_m11less_div_10ImEEE10hipError_tT0_T1_T2_jT3_P12ihipStream_tbPNSt15iterator_traitsISJ_E10value_typeEPNSP_ISK_E10value_typeEPSL_NS1_7vsmem_tEENKUlT_SJ_SK_SL_E_clIPmSE_SF_SF_EESI_SY_SJ_SK_SL_EUlSY_E0_NS1_11comp_targetILNS1_3genE10ELNS1_11target_archE1201ELNS1_3gpuE5ELNS1_3repE0EEENS1_38merge_mergepath_config_static_selectorELNS0_4arch9wavefront6targetE0EEEvSK_,"axG",@progbits,_ZN7rocprim17ROCPRIM_400000_NS6detail17trampoline_kernelINS0_14default_configENS1_38merge_sort_block_merge_config_selectorImNS0_10empty_typeEEEZZNS1_27merge_sort_block_merge_implIS3_N6thrust23THRUST_200600_302600_NS6detail15normal_iteratorINS9_10device_ptrImEEEEPS5_m11less_div_10ImEEE10hipError_tT0_T1_T2_jT3_P12ihipStream_tbPNSt15iterator_traitsISJ_E10value_typeEPNSP_ISK_E10value_typeEPSL_NS1_7vsmem_tEENKUlT_SJ_SK_SL_E_clIPmSE_SF_SF_EESI_SY_SJ_SK_SL_EUlSY_E0_NS1_11comp_targetILNS1_3genE10ELNS1_11target_archE1201ELNS1_3gpuE5ELNS1_3repE0EEENS1_38merge_mergepath_config_static_selectorELNS0_4arch9wavefront6targetE0EEEvSK_,comdat
.Lfunc_end626:
	.size	_ZN7rocprim17ROCPRIM_400000_NS6detail17trampoline_kernelINS0_14default_configENS1_38merge_sort_block_merge_config_selectorImNS0_10empty_typeEEEZZNS1_27merge_sort_block_merge_implIS3_N6thrust23THRUST_200600_302600_NS6detail15normal_iteratorINS9_10device_ptrImEEEEPS5_m11less_div_10ImEEE10hipError_tT0_T1_T2_jT3_P12ihipStream_tbPNSt15iterator_traitsISJ_E10value_typeEPNSP_ISK_E10value_typeEPSL_NS1_7vsmem_tEENKUlT_SJ_SK_SL_E_clIPmSE_SF_SF_EESI_SY_SJ_SK_SL_EUlSY_E0_NS1_11comp_targetILNS1_3genE10ELNS1_11target_archE1201ELNS1_3gpuE5ELNS1_3repE0EEENS1_38merge_mergepath_config_static_selectorELNS0_4arch9wavefront6targetE0EEEvSK_, .Lfunc_end626-_ZN7rocprim17ROCPRIM_400000_NS6detail17trampoline_kernelINS0_14default_configENS1_38merge_sort_block_merge_config_selectorImNS0_10empty_typeEEEZZNS1_27merge_sort_block_merge_implIS3_N6thrust23THRUST_200600_302600_NS6detail15normal_iteratorINS9_10device_ptrImEEEEPS5_m11less_div_10ImEEE10hipError_tT0_T1_T2_jT3_P12ihipStream_tbPNSt15iterator_traitsISJ_E10value_typeEPNSP_ISK_E10value_typeEPSL_NS1_7vsmem_tEENKUlT_SJ_SK_SL_E_clIPmSE_SF_SF_EESI_SY_SJ_SK_SL_EUlSY_E0_NS1_11comp_targetILNS1_3genE10ELNS1_11target_archE1201ELNS1_3gpuE5ELNS1_3repE0EEENS1_38merge_mergepath_config_static_selectorELNS0_4arch9wavefront6targetE0EEEvSK_
                                        ; -- End function
	.set _ZN7rocprim17ROCPRIM_400000_NS6detail17trampoline_kernelINS0_14default_configENS1_38merge_sort_block_merge_config_selectorImNS0_10empty_typeEEEZZNS1_27merge_sort_block_merge_implIS3_N6thrust23THRUST_200600_302600_NS6detail15normal_iteratorINS9_10device_ptrImEEEEPS5_m11less_div_10ImEEE10hipError_tT0_T1_T2_jT3_P12ihipStream_tbPNSt15iterator_traitsISJ_E10value_typeEPNSP_ISK_E10value_typeEPSL_NS1_7vsmem_tEENKUlT_SJ_SK_SL_E_clIPmSE_SF_SF_EESI_SY_SJ_SK_SL_EUlSY_E0_NS1_11comp_targetILNS1_3genE10ELNS1_11target_archE1201ELNS1_3gpuE5ELNS1_3repE0EEENS1_38merge_mergepath_config_static_selectorELNS0_4arch9wavefront6targetE0EEEvSK_.num_vgpr, 0
	.set _ZN7rocprim17ROCPRIM_400000_NS6detail17trampoline_kernelINS0_14default_configENS1_38merge_sort_block_merge_config_selectorImNS0_10empty_typeEEEZZNS1_27merge_sort_block_merge_implIS3_N6thrust23THRUST_200600_302600_NS6detail15normal_iteratorINS9_10device_ptrImEEEEPS5_m11less_div_10ImEEE10hipError_tT0_T1_T2_jT3_P12ihipStream_tbPNSt15iterator_traitsISJ_E10value_typeEPNSP_ISK_E10value_typeEPSL_NS1_7vsmem_tEENKUlT_SJ_SK_SL_E_clIPmSE_SF_SF_EESI_SY_SJ_SK_SL_EUlSY_E0_NS1_11comp_targetILNS1_3genE10ELNS1_11target_archE1201ELNS1_3gpuE5ELNS1_3repE0EEENS1_38merge_mergepath_config_static_selectorELNS0_4arch9wavefront6targetE0EEEvSK_.num_agpr, 0
	.set _ZN7rocprim17ROCPRIM_400000_NS6detail17trampoline_kernelINS0_14default_configENS1_38merge_sort_block_merge_config_selectorImNS0_10empty_typeEEEZZNS1_27merge_sort_block_merge_implIS3_N6thrust23THRUST_200600_302600_NS6detail15normal_iteratorINS9_10device_ptrImEEEEPS5_m11less_div_10ImEEE10hipError_tT0_T1_T2_jT3_P12ihipStream_tbPNSt15iterator_traitsISJ_E10value_typeEPNSP_ISK_E10value_typeEPSL_NS1_7vsmem_tEENKUlT_SJ_SK_SL_E_clIPmSE_SF_SF_EESI_SY_SJ_SK_SL_EUlSY_E0_NS1_11comp_targetILNS1_3genE10ELNS1_11target_archE1201ELNS1_3gpuE5ELNS1_3repE0EEENS1_38merge_mergepath_config_static_selectorELNS0_4arch9wavefront6targetE0EEEvSK_.numbered_sgpr, 0
	.set _ZN7rocprim17ROCPRIM_400000_NS6detail17trampoline_kernelINS0_14default_configENS1_38merge_sort_block_merge_config_selectorImNS0_10empty_typeEEEZZNS1_27merge_sort_block_merge_implIS3_N6thrust23THRUST_200600_302600_NS6detail15normal_iteratorINS9_10device_ptrImEEEEPS5_m11less_div_10ImEEE10hipError_tT0_T1_T2_jT3_P12ihipStream_tbPNSt15iterator_traitsISJ_E10value_typeEPNSP_ISK_E10value_typeEPSL_NS1_7vsmem_tEENKUlT_SJ_SK_SL_E_clIPmSE_SF_SF_EESI_SY_SJ_SK_SL_EUlSY_E0_NS1_11comp_targetILNS1_3genE10ELNS1_11target_archE1201ELNS1_3gpuE5ELNS1_3repE0EEENS1_38merge_mergepath_config_static_selectorELNS0_4arch9wavefront6targetE0EEEvSK_.num_named_barrier, 0
	.set _ZN7rocprim17ROCPRIM_400000_NS6detail17trampoline_kernelINS0_14default_configENS1_38merge_sort_block_merge_config_selectorImNS0_10empty_typeEEEZZNS1_27merge_sort_block_merge_implIS3_N6thrust23THRUST_200600_302600_NS6detail15normal_iteratorINS9_10device_ptrImEEEEPS5_m11less_div_10ImEEE10hipError_tT0_T1_T2_jT3_P12ihipStream_tbPNSt15iterator_traitsISJ_E10value_typeEPNSP_ISK_E10value_typeEPSL_NS1_7vsmem_tEENKUlT_SJ_SK_SL_E_clIPmSE_SF_SF_EESI_SY_SJ_SK_SL_EUlSY_E0_NS1_11comp_targetILNS1_3genE10ELNS1_11target_archE1201ELNS1_3gpuE5ELNS1_3repE0EEENS1_38merge_mergepath_config_static_selectorELNS0_4arch9wavefront6targetE0EEEvSK_.private_seg_size, 0
	.set _ZN7rocprim17ROCPRIM_400000_NS6detail17trampoline_kernelINS0_14default_configENS1_38merge_sort_block_merge_config_selectorImNS0_10empty_typeEEEZZNS1_27merge_sort_block_merge_implIS3_N6thrust23THRUST_200600_302600_NS6detail15normal_iteratorINS9_10device_ptrImEEEEPS5_m11less_div_10ImEEE10hipError_tT0_T1_T2_jT3_P12ihipStream_tbPNSt15iterator_traitsISJ_E10value_typeEPNSP_ISK_E10value_typeEPSL_NS1_7vsmem_tEENKUlT_SJ_SK_SL_E_clIPmSE_SF_SF_EESI_SY_SJ_SK_SL_EUlSY_E0_NS1_11comp_targetILNS1_3genE10ELNS1_11target_archE1201ELNS1_3gpuE5ELNS1_3repE0EEENS1_38merge_mergepath_config_static_selectorELNS0_4arch9wavefront6targetE0EEEvSK_.uses_vcc, 0
	.set _ZN7rocprim17ROCPRIM_400000_NS6detail17trampoline_kernelINS0_14default_configENS1_38merge_sort_block_merge_config_selectorImNS0_10empty_typeEEEZZNS1_27merge_sort_block_merge_implIS3_N6thrust23THRUST_200600_302600_NS6detail15normal_iteratorINS9_10device_ptrImEEEEPS5_m11less_div_10ImEEE10hipError_tT0_T1_T2_jT3_P12ihipStream_tbPNSt15iterator_traitsISJ_E10value_typeEPNSP_ISK_E10value_typeEPSL_NS1_7vsmem_tEENKUlT_SJ_SK_SL_E_clIPmSE_SF_SF_EESI_SY_SJ_SK_SL_EUlSY_E0_NS1_11comp_targetILNS1_3genE10ELNS1_11target_archE1201ELNS1_3gpuE5ELNS1_3repE0EEENS1_38merge_mergepath_config_static_selectorELNS0_4arch9wavefront6targetE0EEEvSK_.uses_flat_scratch, 0
	.set _ZN7rocprim17ROCPRIM_400000_NS6detail17trampoline_kernelINS0_14default_configENS1_38merge_sort_block_merge_config_selectorImNS0_10empty_typeEEEZZNS1_27merge_sort_block_merge_implIS3_N6thrust23THRUST_200600_302600_NS6detail15normal_iteratorINS9_10device_ptrImEEEEPS5_m11less_div_10ImEEE10hipError_tT0_T1_T2_jT3_P12ihipStream_tbPNSt15iterator_traitsISJ_E10value_typeEPNSP_ISK_E10value_typeEPSL_NS1_7vsmem_tEENKUlT_SJ_SK_SL_E_clIPmSE_SF_SF_EESI_SY_SJ_SK_SL_EUlSY_E0_NS1_11comp_targetILNS1_3genE10ELNS1_11target_archE1201ELNS1_3gpuE5ELNS1_3repE0EEENS1_38merge_mergepath_config_static_selectorELNS0_4arch9wavefront6targetE0EEEvSK_.has_dyn_sized_stack, 0
	.set _ZN7rocprim17ROCPRIM_400000_NS6detail17trampoline_kernelINS0_14default_configENS1_38merge_sort_block_merge_config_selectorImNS0_10empty_typeEEEZZNS1_27merge_sort_block_merge_implIS3_N6thrust23THRUST_200600_302600_NS6detail15normal_iteratorINS9_10device_ptrImEEEEPS5_m11less_div_10ImEEE10hipError_tT0_T1_T2_jT3_P12ihipStream_tbPNSt15iterator_traitsISJ_E10value_typeEPNSP_ISK_E10value_typeEPSL_NS1_7vsmem_tEENKUlT_SJ_SK_SL_E_clIPmSE_SF_SF_EESI_SY_SJ_SK_SL_EUlSY_E0_NS1_11comp_targetILNS1_3genE10ELNS1_11target_archE1201ELNS1_3gpuE5ELNS1_3repE0EEENS1_38merge_mergepath_config_static_selectorELNS0_4arch9wavefront6targetE0EEEvSK_.has_recursion, 0
	.set _ZN7rocprim17ROCPRIM_400000_NS6detail17trampoline_kernelINS0_14default_configENS1_38merge_sort_block_merge_config_selectorImNS0_10empty_typeEEEZZNS1_27merge_sort_block_merge_implIS3_N6thrust23THRUST_200600_302600_NS6detail15normal_iteratorINS9_10device_ptrImEEEEPS5_m11less_div_10ImEEE10hipError_tT0_T1_T2_jT3_P12ihipStream_tbPNSt15iterator_traitsISJ_E10value_typeEPNSP_ISK_E10value_typeEPSL_NS1_7vsmem_tEENKUlT_SJ_SK_SL_E_clIPmSE_SF_SF_EESI_SY_SJ_SK_SL_EUlSY_E0_NS1_11comp_targetILNS1_3genE10ELNS1_11target_archE1201ELNS1_3gpuE5ELNS1_3repE0EEENS1_38merge_mergepath_config_static_selectorELNS0_4arch9wavefront6targetE0EEEvSK_.has_indirect_call, 0
	.section	.AMDGPU.csdata,"",@progbits
; Kernel info:
; codeLenInByte = 0
; TotalNumSgprs: 0
; NumVgprs: 0
; ScratchSize: 0
; MemoryBound: 0
; FloatMode: 240
; IeeeMode: 1
; LDSByteSize: 0 bytes/workgroup (compile time only)
; SGPRBlocks: 0
; VGPRBlocks: 0
; NumSGPRsForWavesPerEU: 1
; NumVGPRsForWavesPerEU: 1
; Occupancy: 16
; WaveLimiterHint : 0
; COMPUTE_PGM_RSRC2:SCRATCH_EN: 0
; COMPUTE_PGM_RSRC2:USER_SGPR: 6
; COMPUTE_PGM_RSRC2:TRAP_HANDLER: 0
; COMPUTE_PGM_RSRC2:TGID_X_EN: 1
; COMPUTE_PGM_RSRC2:TGID_Y_EN: 0
; COMPUTE_PGM_RSRC2:TGID_Z_EN: 0
; COMPUTE_PGM_RSRC2:TIDIG_COMP_CNT: 0
	.section	.text._ZN7rocprim17ROCPRIM_400000_NS6detail17trampoline_kernelINS0_14default_configENS1_38merge_sort_block_merge_config_selectorImNS0_10empty_typeEEEZZNS1_27merge_sort_block_merge_implIS3_N6thrust23THRUST_200600_302600_NS6detail15normal_iteratorINS9_10device_ptrImEEEEPS5_m11less_div_10ImEEE10hipError_tT0_T1_T2_jT3_P12ihipStream_tbPNSt15iterator_traitsISJ_E10value_typeEPNSP_ISK_E10value_typeEPSL_NS1_7vsmem_tEENKUlT_SJ_SK_SL_E_clIPmSE_SF_SF_EESI_SY_SJ_SK_SL_EUlSY_E0_NS1_11comp_targetILNS1_3genE5ELNS1_11target_archE942ELNS1_3gpuE9ELNS1_3repE0EEENS1_38merge_mergepath_config_static_selectorELNS0_4arch9wavefront6targetE0EEEvSK_,"axG",@progbits,_ZN7rocprim17ROCPRIM_400000_NS6detail17trampoline_kernelINS0_14default_configENS1_38merge_sort_block_merge_config_selectorImNS0_10empty_typeEEEZZNS1_27merge_sort_block_merge_implIS3_N6thrust23THRUST_200600_302600_NS6detail15normal_iteratorINS9_10device_ptrImEEEEPS5_m11less_div_10ImEEE10hipError_tT0_T1_T2_jT3_P12ihipStream_tbPNSt15iterator_traitsISJ_E10value_typeEPNSP_ISK_E10value_typeEPSL_NS1_7vsmem_tEENKUlT_SJ_SK_SL_E_clIPmSE_SF_SF_EESI_SY_SJ_SK_SL_EUlSY_E0_NS1_11comp_targetILNS1_3genE5ELNS1_11target_archE942ELNS1_3gpuE9ELNS1_3repE0EEENS1_38merge_mergepath_config_static_selectorELNS0_4arch9wavefront6targetE0EEEvSK_,comdat
	.protected	_ZN7rocprim17ROCPRIM_400000_NS6detail17trampoline_kernelINS0_14default_configENS1_38merge_sort_block_merge_config_selectorImNS0_10empty_typeEEEZZNS1_27merge_sort_block_merge_implIS3_N6thrust23THRUST_200600_302600_NS6detail15normal_iteratorINS9_10device_ptrImEEEEPS5_m11less_div_10ImEEE10hipError_tT0_T1_T2_jT3_P12ihipStream_tbPNSt15iterator_traitsISJ_E10value_typeEPNSP_ISK_E10value_typeEPSL_NS1_7vsmem_tEENKUlT_SJ_SK_SL_E_clIPmSE_SF_SF_EESI_SY_SJ_SK_SL_EUlSY_E0_NS1_11comp_targetILNS1_3genE5ELNS1_11target_archE942ELNS1_3gpuE9ELNS1_3repE0EEENS1_38merge_mergepath_config_static_selectorELNS0_4arch9wavefront6targetE0EEEvSK_ ; -- Begin function _ZN7rocprim17ROCPRIM_400000_NS6detail17trampoline_kernelINS0_14default_configENS1_38merge_sort_block_merge_config_selectorImNS0_10empty_typeEEEZZNS1_27merge_sort_block_merge_implIS3_N6thrust23THRUST_200600_302600_NS6detail15normal_iteratorINS9_10device_ptrImEEEEPS5_m11less_div_10ImEEE10hipError_tT0_T1_T2_jT3_P12ihipStream_tbPNSt15iterator_traitsISJ_E10value_typeEPNSP_ISK_E10value_typeEPSL_NS1_7vsmem_tEENKUlT_SJ_SK_SL_E_clIPmSE_SF_SF_EESI_SY_SJ_SK_SL_EUlSY_E0_NS1_11comp_targetILNS1_3genE5ELNS1_11target_archE942ELNS1_3gpuE9ELNS1_3repE0EEENS1_38merge_mergepath_config_static_selectorELNS0_4arch9wavefront6targetE0EEEvSK_
	.globl	_ZN7rocprim17ROCPRIM_400000_NS6detail17trampoline_kernelINS0_14default_configENS1_38merge_sort_block_merge_config_selectorImNS0_10empty_typeEEEZZNS1_27merge_sort_block_merge_implIS3_N6thrust23THRUST_200600_302600_NS6detail15normal_iteratorINS9_10device_ptrImEEEEPS5_m11less_div_10ImEEE10hipError_tT0_T1_T2_jT3_P12ihipStream_tbPNSt15iterator_traitsISJ_E10value_typeEPNSP_ISK_E10value_typeEPSL_NS1_7vsmem_tEENKUlT_SJ_SK_SL_E_clIPmSE_SF_SF_EESI_SY_SJ_SK_SL_EUlSY_E0_NS1_11comp_targetILNS1_3genE5ELNS1_11target_archE942ELNS1_3gpuE9ELNS1_3repE0EEENS1_38merge_mergepath_config_static_selectorELNS0_4arch9wavefront6targetE0EEEvSK_
	.p2align	8
	.type	_ZN7rocprim17ROCPRIM_400000_NS6detail17trampoline_kernelINS0_14default_configENS1_38merge_sort_block_merge_config_selectorImNS0_10empty_typeEEEZZNS1_27merge_sort_block_merge_implIS3_N6thrust23THRUST_200600_302600_NS6detail15normal_iteratorINS9_10device_ptrImEEEEPS5_m11less_div_10ImEEE10hipError_tT0_T1_T2_jT3_P12ihipStream_tbPNSt15iterator_traitsISJ_E10value_typeEPNSP_ISK_E10value_typeEPSL_NS1_7vsmem_tEENKUlT_SJ_SK_SL_E_clIPmSE_SF_SF_EESI_SY_SJ_SK_SL_EUlSY_E0_NS1_11comp_targetILNS1_3genE5ELNS1_11target_archE942ELNS1_3gpuE9ELNS1_3repE0EEENS1_38merge_mergepath_config_static_selectorELNS0_4arch9wavefront6targetE0EEEvSK_,@function
_ZN7rocprim17ROCPRIM_400000_NS6detail17trampoline_kernelINS0_14default_configENS1_38merge_sort_block_merge_config_selectorImNS0_10empty_typeEEEZZNS1_27merge_sort_block_merge_implIS3_N6thrust23THRUST_200600_302600_NS6detail15normal_iteratorINS9_10device_ptrImEEEEPS5_m11less_div_10ImEEE10hipError_tT0_T1_T2_jT3_P12ihipStream_tbPNSt15iterator_traitsISJ_E10value_typeEPNSP_ISK_E10value_typeEPSL_NS1_7vsmem_tEENKUlT_SJ_SK_SL_E_clIPmSE_SF_SF_EESI_SY_SJ_SK_SL_EUlSY_E0_NS1_11comp_targetILNS1_3genE5ELNS1_11target_archE942ELNS1_3gpuE9ELNS1_3repE0EEENS1_38merge_mergepath_config_static_selectorELNS0_4arch9wavefront6targetE0EEEvSK_: ; @_ZN7rocprim17ROCPRIM_400000_NS6detail17trampoline_kernelINS0_14default_configENS1_38merge_sort_block_merge_config_selectorImNS0_10empty_typeEEEZZNS1_27merge_sort_block_merge_implIS3_N6thrust23THRUST_200600_302600_NS6detail15normal_iteratorINS9_10device_ptrImEEEEPS5_m11less_div_10ImEEE10hipError_tT0_T1_T2_jT3_P12ihipStream_tbPNSt15iterator_traitsISJ_E10value_typeEPNSP_ISK_E10value_typeEPSL_NS1_7vsmem_tEENKUlT_SJ_SK_SL_E_clIPmSE_SF_SF_EESI_SY_SJ_SK_SL_EUlSY_E0_NS1_11comp_targetILNS1_3genE5ELNS1_11target_archE942ELNS1_3gpuE9ELNS1_3repE0EEENS1_38merge_mergepath_config_static_selectorELNS0_4arch9wavefront6targetE0EEEvSK_
; %bb.0:
	.section	.rodata,"a",@progbits
	.p2align	6, 0x0
	.amdhsa_kernel _ZN7rocprim17ROCPRIM_400000_NS6detail17trampoline_kernelINS0_14default_configENS1_38merge_sort_block_merge_config_selectorImNS0_10empty_typeEEEZZNS1_27merge_sort_block_merge_implIS3_N6thrust23THRUST_200600_302600_NS6detail15normal_iteratorINS9_10device_ptrImEEEEPS5_m11less_div_10ImEEE10hipError_tT0_T1_T2_jT3_P12ihipStream_tbPNSt15iterator_traitsISJ_E10value_typeEPNSP_ISK_E10value_typeEPSL_NS1_7vsmem_tEENKUlT_SJ_SK_SL_E_clIPmSE_SF_SF_EESI_SY_SJ_SK_SL_EUlSY_E0_NS1_11comp_targetILNS1_3genE5ELNS1_11target_archE942ELNS1_3gpuE9ELNS1_3repE0EEENS1_38merge_mergepath_config_static_selectorELNS0_4arch9wavefront6targetE0EEEvSK_
		.amdhsa_group_segment_fixed_size 0
		.amdhsa_private_segment_fixed_size 0
		.amdhsa_kernarg_size 72
		.amdhsa_user_sgpr_count 6
		.amdhsa_user_sgpr_private_segment_buffer 1
		.amdhsa_user_sgpr_dispatch_ptr 0
		.amdhsa_user_sgpr_queue_ptr 0
		.amdhsa_user_sgpr_kernarg_segment_ptr 1
		.amdhsa_user_sgpr_dispatch_id 0
		.amdhsa_user_sgpr_flat_scratch_init 0
		.amdhsa_user_sgpr_private_segment_size 0
		.amdhsa_wavefront_size32 1
		.amdhsa_uses_dynamic_stack 0
		.amdhsa_system_sgpr_private_segment_wavefront_offset 0
		.amdhsa_system_sgpr_workgroup_id_x 1
		.amdhsa_system_sgpr_workgroup_id_y 0
		.amdhsa_system_sgpr_workgroup_id_z 0
		.amdhsa_system_sgpr_workgroup_info 0
		.amdhsa_system_vgpr_workitem_id 0
		.amdhsa_next_free_vgpr 1
		.amdhsa_next_free_sgpr 1
		.amdhsa_reserve_vcc 0
		.amdhsa_reserve_flat_scratch 0
		.amdhsa_float_round_mode_32 0
		.amdhsa_float_round_mode_16_64 0
		.amdhsa_float_denorm_mode_32 3
		.amdhsa_float_denorm_mode_16_64 3
		.amdhsa_dx10_clamp 1
		.amdhsa_ieee_mode 1
		.amdhsa_fp16_overflow 0
		.amdhsa_workgroup_processor_mode 1
		.amdhsa_memory_ordered 1
		.amdhsa_forward_progress 1
		.amdhsa_shared_vgpr_count 0
		.amdhsa_exception_fp_ieee_invalid_op 0
		.amdhsa_exception_fp_denorm_src 0
		.amdhsa_exception_fp_ieee_div_zero 0
		.amdhsa_exception_fp_ieee_overflow 0
		.amdhsa_exception_fp_ieee_underflow 0
		.amdhsa_exception_fp_ieee_inexact 0
		.amdhsa_exception_int_div_zero 0
	.end_amdhsa_kernel
	.section	.text._ZN7rocprim17ROCPRIM_400000_NS6detail17trampoline_kernelINS0_14default_configENS1_38merge_sort_block_merge_config_selectorImNS0_10empty_typeEEEZZNS1_27merge_sort_block_merge_implIS3_N6thrust23THRUST_200600_302600_NS6detail15normal_iteratorINS9_10device_ptrImEEEEPS5_m11less_div_10ImEEE10hipError_tT0_T1_T2_jT3_P12ihipStream_tbPNSt15iterator_traitsISJ_E10value_typeEPNSP_ISK_E10value_typeEPSL_NS1_7vsmem_tEENKUlT_SJ_SK_SL_E_clIPmSE_SF_SF_EESI_SY_SJ_SK_SL_EUlSY_E0_NS1_11comp_targetILNS1_3genE5ELNS1_11target_archE942ELNS1_3gpuE9ELNS1_3repE0EEENS1_38merge_mergepath_config_static_selectorELNS0_4arch9wavefront6targetE0EEEvSK_,"axG",@progbits,_ZN7rocprim17ROCPRIM_400000_NS6detail17trampoline_kernelINS0_14default_configENS1_38merge_sort_block_merge_config_selectorImNS0_10empty_typeEEEZZNS1_27merge_sort_block_merge_implIS3_N6thrust23THRUST_200600_302600_NS6detail15normal_iteratorINS9_10device_ptrImEEEEPS5_m11less_div_10ImEEE10hipError_tT0_T1_T2_jT3_P12ihipStream_tbPNSt15iterator_traitsISJ_E10value_typeEPNSP_ISK_E10value_typeEPSL_NS1_7vsmem_tEENKUlT_SJ_SK_SL_E_clIPmSE_SF_SF_EESI_SY_SJ_SK_SL_EUlSY_E0_NS1_11comp_targetILNS1_3genE5ELNS1_11target_archE942ELNS1_3gpuE9ELNS1_3repE0EEENS1_38merge_mergepath_config_static_selectorELNS0_4arch9wavefront6targetE0EEEvSK_,comdat
.Lfunc_end627:
	.size	_ZN7rocprim17ROCPRIM_400000_NS6detail17trampoline_kernelINS0_14default_configENS1_38merge_sort_block_merge_config_selectorImNS0_10empty_typeEEEZZNS1_27merge_sort_block_merge_implIS3_N6thrust23THRUST_200600_302600_NS6detail15normal_iteratorINS9_10device_ptrImEEEEPS5_m11less_div_10ImEEE10hipError_tT0_T1_T2_jT3_P12ihipStream_tbPNSt15iterator_traitsISJ_E10value_typeEPNSP_ISK_E10value_typeEPSL_NS1_7vsmem_tEENKUlT_SJ_SK_SL_E_clIPmSE_SF_SF_EESI_SY_SJ_SK_SL_EUlSY_E0_NS1_11comp_targetILNS1_3genE5ELNS1_11target_archE942ELNS1_3gpuE9ELNS1_3repE0EEENS1_38merge_mergepath_config_static_selectorELNS0_4arch9wavefront6targetE0EEEvSK_, .Lfunc_end627-_ZN7rocprim17ROCPRIM_400000_NS6detail17trampoline_kernelINS0_14default_configENS1_38merge_sort_block_merge_config_selectorImNS0_10empty_typeEEEZZNS1_27merge_sort_block_merge_implIS3_N6thrust23THRUST_200600_302600_NS6detail15normal_iteratorINS9_10device_ptrImEEEEPS5_m11less_div_10ImEEE10hipError_tT0_T1_T2_jT3_P12ihipStream_tbPNSt15iterator_traitsISJ_E10value_typeEPNSP_ISK_E10value_typeEPSL_NS1_7vsmem_tEENKUlT_SJ_SK_SL_E_clIPmSE_SF_SF_EESI_SY_SJ_SK_SL_EUlSY_E0_NS1_11comp_targetILNS1_3genE5ELNS1_11target_archE942ELNS1_3gpuE9ELNS1_3repE0EEENS1_38merge_mergepath_config_static_selectorELNS0_4arch9wavefront6targetE0EEEvSK_
                                        ; -- End function
	.set _ZN7rocprim17ROCPRIM_400000_NS6detail17trampoline_kernelINS0_14default_configENS1_38merge_sort_block_merge_config_selectorImNS0_10empty_typeEEEZZNS1_27merge_sort_block_merge_implIS3_N6thrust23THRUST_200600_302600_NS6detail15normal_iteratorINS9_10device_ptrImEEEEPS5_m11less_div_10ImEEE10hipError_tT0_T1_T2_jT3_P12ihipStream_tbPNSt15iterator_traitsISJ_E10value_typeEPNSP_ISK_E10value_typeEPSL_NS1_7vsmem_tEENKUlT_SJ_SK_SL_E_clIPmSE_SF_SF_EESI_SY_SJ_SK_SL_EUlSY_E0_NS1_11comp_targetILNS1_3genE5ELNS1_11target_archE942ELNS1_3gpuE9ELNS1_3repE0EEENS1_38merge_mergepath_config_static_selectorELNS0_4arch9wavefront6targetE0EEEvSK_.num_vgpr, 0
	.set _ZN7rocprim17ROCPRIM_400000_NS6detail17trampoline_kernelINS0_14default_configENS1_38merge_sort_block_merge_config_selectorImNS0_10empty_typeEEEZZNS1_27merge_sort_block_merge_implIS3_N6thrust23THRUST_200600_302600_NS6detail15normal_iteratorINS9_10device_ptrImEEEEPS5_m11less_div_10ImEEE10hipError_tT0_T1_T2_jT3_P12ihipStream_tbPNSt15iterator_traitsISJ_E10value_typeEPNSP_ISK_E10value_typeEPSL_NS1_7vsmem_tEENKUlT_SJ_SK_SL_E_clIPmSE_SF_SF_EESI_SY_SJ_SK_SL_EUlSY_E0_NS1_11comp_targetILNS1_3genE5ELNS1_11target_archE942ELNS1_3gpuE9ELNS1_3repE0EEENS1_38merge_mergepath_config_static_selectorELNS0_4arch9wavefront6targetE0EEEvSK_.num_agpr, 0
	.set _ZN7rocprim17ROCPRIM_400000_NS6detail17trampoline_kernelINS0_14default_configENS1_38merge_sort_block_merge_config_selectorImNS0_10empty_typeEEEZZNS1_27merge_sort_block_merge_implIS3_N6thrust23THRUST_200600_302600_NS6detail15normal_iteratorINS9_10device_ptrImEEEEPS5_m11less_div_10ImEEE10hipError_tT0_T1_T2_jT3_P12ihipStream_tbPNSt15iterator_traitsISJ_E10value_typeEPNSP_ISK_E10value_typeEPSL_NS1_7vsmem_tEENKUlT_SJ_SK_SL_E_clIPmSE_SF_SF_EESI_SY_SJ_SK_SL_EUlSY_E0_NS1_11comp_targetILNS1_3genE5ELNS1_11target_archE942ELNS1_3gpuE9ELNS1_3repE0EEENS1_38merge_mergepath_config_static_selectorELNS0_4arch9wavefront6targetE0EEEvSK_.numbered_sgpr, 0
	.set _ZN7rocprim17ROCPRIM_400000_NS6detail17trampoline_kernelINS0_14default_configENS1_38merge_sort_block_merge_config_selectorImNS0_10empty_typeEEEZZNS1_27merge_sort_block_merge_implIS3_N6thrust23THRUST_200600_302600_NS6detail15normal_iteratorINS9_10device_ptrImEEEEPS5_m11less_div_10ImEEE10hipError_tT0_T1_T2_jT3_P12ihipStream_tbPNSt15iterator_traitsISJ_E10value_typeEPNSP_ISK_E10value_typeEPSL_NS1_7vsmem_tEENKUlT_SJ_SK_SL_E_clIPmSE_SF_SF_EESI_SY_SJ_SK_SL_EUlSY_E0_NS1_11comp_targetILNS1_3genE5ELNS1_11target_archE942ELNS1_3gpuE9ELNS1_3repE0EEENS1_38merge_mergepath_config_static_selectorELNS0_4arch9wavefront6targetE0EEEvSK_.num_named_barrier, 0
	.set _ZN7rocprim17ROCPRIM_400000_NS6detail17trampoline_kernelINS0_14default_configENS1_38merge_sort_block_merge_config_selectorImNS0_10empty_typeEEEZZNS1_27merge_sort_block_merge_implIS3_N6thrust23THRUST_200600_302600_NS6detail15normal_iteratorINS9_10device_ptrImEEEEPS5_m11less_div_10ImEEE10hipError_tT0_T1_T2_jT3_P12ihipStream_tbPNSt15iterator_traitsISJ_E10value_typeEPNSP_ISK_E10value_typeEPSL_NS1_7vsmem_tEENKUlT_SJ_SK_SL_E_clIPmSE_SF_SF_EESI_SY_SJ_SK_SL_EUlSY_E0_NS1_11comp_targetILNS1_3genE5ELNS1_11target_archE942ELNS1_3gpuE9ELNS1_3repE0EEENS1_38merge_mergepath_config_static_selectorELNS0_4arch9wavefront6targetE0EEEvSK_.private_seg_size, 0
	.set _ZN7rocprim17ROCPRIM_400000_NS6detail17trampoline_kernelINS0_14default_configENS1_38merge_sort_block_merge_config_selectorImNS0_10empty_typeEEEZZNS1_27merge_sort_block_merge_implIS3_N6thrust23THRUST_200600_302600_NS6detail15normal_iteratorINS9_10device_ptrImEEEEPS5_m11less_div_10ImEEE10hipError_tT0_T1_T2_jT3_P12ihipStream_tbPNSt15iterator_traitsISJ_E10value_typeEPNSP_ISK_E10value_typeEPSL_NS1_7vsmem_tEENKUlT_SJ_SK_SL_E_clIPmSE_SF_SF_EESI_SY_SJ_SK_SL_EUlSY_E0_NS1_11comp_targetILNS1_3genE5ELNS1_11target_archE942ELNS1_3gpuE9ELNS1_3repE0EEENS1_38merge_mergepath_config_static_selectorELNS0_4arch9wavefront6targetE0EEEvSK_.uses_vcc, 0
	.set _ZN7rocprim17ROCPRIM_400000_NS6detail17trampoline_kernelINS0_14default_configENS1_38merge_sort_block_merge_config_selectorImNS0_10empty_typeEEEZZNS1_27merge_sort_block_merge_implIS3_N6thrust23THRUST_200600_302600_NS6detail15normal_iteratorINS9_10device_ptrImEEEEPS5_m11less_div_10ImEEE10hipError_tT0_T1_T2_jT3_P12ihipStream_tbPNSt15iterator_traitsISJ_E10value_typeEPNSP_ISK_E10value_typeEPSL_NS1_7vsmem_tEENKUlT_SJ_SK_SL_E_clIPmSE_SF_SF_EESI_SY_SJ_SK_SL_EUlSY_E0_NS1_11comp_targetILNS1_3genE5ELNS1_11target_archE942ELNS1_3gpuE9ELNS1_3repE0EEENS1_38merge_mergepath_config_static_selectorELNS0_4arch9wavefront6targetE0EEEvSK_.uses_flat_scratch, 0
	.set _ZN7rocprim17ROCPRIM_400000_NS6detail17trampoline_kernelINS0_14default_configENS1_38merge_sort_block_merge_config_selectorImNS0_10empty_typeEEEZZNS1_27merge_sort_block_merge_implIS3_N6thrust23THRUST_200600_302600_NS6detail15normal_iteratorINS9_10device_ptrImEEEEPS5_m11less_div_10ImEEE10hipError_tT0_T1_T2_jT3_P12ihipStream_tbPNSt15iterator_traitsISJ_E10value_typeEPNSP_ISK_E10value_typeEPSL_NS1_7vsmem_tEENKUlT_SJ_SK_SL_E_clIPmSE_SF_SF_EESI_SY_SJ_SK_SL_EUlSY_E0_NS1_11comp_targetILNS1_3genE5ELNS1_11target_archE942ELNS1_3gpuE9ELNS1_3repE0EEENS1_38merge_mergepath_config_static_selectorELNS0_4arch9wavefront6targetE0EEEvSK_.has_dyn_sized_stack, 0
	.set _ZN7rocprim17ROCPRIM_400000_NS6detail17trampoline_kernelINS0_14default_configENS1_38merge_sort_block_merge_config_selectorImNS0_10empty_typeEEEZZNS1_27merge_sort_block_merge_implIS3_N6thrust23THRUST_200600_302600_NS6detail15normal_iteratorINS9_10device_ptrImEEEEPS5_m11less_div_10ImEEE10hipError_tT0_T1_T2_jT3_P12ihipStream_tbPNSt15iterator_traitsISJ_E10value_typeEPNSP_ISK_E10value_typeEPSL_NS1_7vsmem_tEENKUlT_SJ_SK_SL_E_clIPmSE_SF_SF_EESI_SY_SJ_SK_SL_EUlSY_E0_NS1_11comp_targetILNS1_3genE5ELNS1_11target_archE942ELNS1_3gpuE9ELNS1_3repE0EEENS1_38merge_mergepath_config_static_selectorELNS0_4arch9wavefront6targetE0EEEvSK_.has_recursion, 0
	.set _ZN7rocprim17ROCPRIM_400000_NS6detail17trampoline_kernelINS0_14default_configENS1_38merge_sort_block_merge_config_selectorImNS0_10empty_typeEEEZZNS1_27merge_sort_block_merge_implIS3_N6thrust23THRUST_200600_302600_NS6detail15normal_iteratorINS9_10device_ptrImEEEEPS5_m11less_div_10ImEEE10hipError_tT0_T1_T2_jT3_P12ihipStream_tbPNSt15iterator_traitsISJ_E10value_typeEPNSP_ISK_E10value_typeEPSL_NS1_7vsmem_tEENKUlT_SJ_SK_SL_E_clIPmSE_SF_SF_EESI_SY_SJ_SK_SL_EUlSY_E0_NS1_11comp_targetILNS1_3genE5ELNS1_11target_archE942ELNS1_3gpuE9ELNS1_3repE0EEENS1_38merge_mergepath_config_static_selectorELNS0_4arch9wavefront6targetE0EEEvSK_.has_indirect_call, 0
	.section	.AMDGPU.csdata,"",@progbits
; Kernel info:
; codeLenInByte = 0
; TotalNumSgprs: 0
; NumVgprs: 0
; ScratchSize: 0
; MemoryBound: 0
; FloatMode: 240
; IeeeMode: 1
; LDSByteSize: 0 bytes/workgroup (compile time only)
; SGPRBlocks: 0
; VGPRBlocks: 0
; NumSGPRsForWavesPerEU: 1
; NumVGPRsForWavesPerEU: 1
; Occupancy: 16
; WaveLimiterHint : 0
; COMPUTE_PGM_RSRC2:SCRATCH_EN: 0
; COMPUTE_PGM_RSRC2:USER_SGPR: 6
; COMPUTE_PGM_RSRC2:TRAP_HANDLER: 0
; COMPUTE_PGM_RSRC2:TGID_X_EN: 1
; COMPUTE_PGM_RSRC2:TGID_Y_EN: 0
; COMPUTE_PGM_RSRC2:TGID_Z_EN: 0
; COMPUTE_PGM_RSRC2:TIDIG_COMP_CNT: 0
	.section	.text._ZN7rocprim17ROCPRIM_400000_NS6detail17trampoline_kernelINS0_14default_configENS1_38merge_sort_block_merge_config_selectorImNS0_10empty_typeEEEZZNS1_27merge_sort_block_merge_implIS3_N6thrust23THRUST_200600_302600_NS6detail15normal_iteratorINS9_10device_ptrImEEEEPS5_m11less_div_10ImEEE10hipError_tT0_T1_T2_jT3_P12ihipStream_tbPNSt15iterator_traitsISJ_E10value_typeEPNSP_ISK_E10value_typeEPSL_NS1_7vsmem_tEENKUlT_SJ_SK_SL_E_clIPmSE_SF_SF_EESI_SY_SJ_SK_SL_EUlSY_E0_NS1_11comp_targetILNS1_3genE4ELNS1_11target_archE910ELNS1_3gpuE8ELNS1_3repE0EEENS1_38merge_mergepath_config_static_selectorELNS0_4arch9wavefront6targetE0EEEvSK_,"axG",@progbits,_ZN7rocprim17ROCPRIM_400000_NS6detail17trampoline_kernelINS0_14default_configENS1_38merge_sort_block_merge_config_selectorImNS0_10empty_typeEEEZZNS1_27merge_sort_block_merge_implIS3_N6thrust23THRUST_200600_302600_NS6detail15normal_iteratorINS9_10device_ptrImEEEEPS5_m11less_div_10ImEEE10hipError_tT0_T1_T2_jT3_P12ihipStream_tbPNSt15iterator_traitsISJ_E10value_typeEPNSP_ISK_E10value_typeEPSL_NS1_7vsmem_tEENKUlT_SJ_SK_SL_E_clIPmSE_SF_SF_EESI_SY_SJ_SK_SL_EUlSY_E0_NS1_11comp_targetILNS1_3genE4ELNS1_11target_archE910ELNS1_3gpuE8ELNS1_3repE0EEENS1_38merge_mergepath_config_static_selectorELNS0_4arch9wavefront6targetE0EEEvSK_,comdat
	.protected	_ZN7rocprim17ROCPRIM_400000_NS6detail17trampoline_kernelINS0_14default_configENS1_38merge_sort_block_merge_config_selectorImNS0_10empty_typeEEEZZNS1_27merge_sort_block_merge_implIS3_N6thrust23THRUST_200600_302600_NS6detail15normal_iteratorINS9_10device_ptrImEEEEPS5_m11less_div_10ImEEE10hipError_tT0_T1_T2_jT3_P12ihipStream_tbPNSt15iterator_traitsISJ_E10value_typeEPNSP_ISK_E10value_typeEPSL_NS1_7vsmem_tEENKUlT_SJ_SK_SL_E_clIPmSE_SF_SF_EESI_SY_SJ_SK_SL_EUlSY_E0_NS1_11comp_targetILNS1_3genE4ELNS1_11target_archE910ELNS1_3gpuE8ELNS1_3repE0EEENS1_38merge_mergepath_config_static_selectorELNS0_4arch9wavefront6targetE0EEEvSK_ ; -- Begin function _ZN7rocprim17ROCPRIM_400000_NS6detail17trampoline_kernelINS0_14default_configENS1_38merge_sort_block_merge_config_selectorImNS0_10empty_typeEEEZZNS1_27merge_sort_block_merge_implIS3_N6thrust23THRUST_200600_302600_NS6detail15normal_iteratorINS9_10device_ptrImEEEEPS5_m11less_div_10ImEEE10hipError_tT0_T1_T2_jT3_P12ihipStream_tbPNSt15iterator_traitsISJ_E10value_typeEPNSP_ISK_E10value_typeEPSL_NS1_7vsmem_tEENKUlT_SJ_SK_SL_E_clIPmSE_SF_SF_EESI_SY_SJ_SK_SL_EUlSY_E0_NS1_11comp_targetILNS1_3genE4ELNS1_11target_archE910ELNS1_3gpuE8ELNS1_3repE0EEENS1_38merge_mergepath_config_static_selectorELNS0_4arch9wavefront6targetE0EEEvSK_
	.globl	_ZN7rocprim17ROCPRIM_400000_NS6detail17trampoline_kernelINS0_14default_configENS1_38merge_sort_block_merge_config_selectorImNS0_10empty_typeEEEZZNS1_27merge_sort_block_merge_implIS3_N6thrust23THRUST_200600_302600_NS6detail15normal_iteratorINS9_10device_ptrImEEEEPS5_m11less_div_10ImEEE10hipError_tT0_T1_T2_jT3_P12ihipStream_tbPNSt15iterator_traitsISJ_E10value_typeEPNSP_ISK_E10value_typeEPSL_NS1_7vsmem_tEENKUlT_SJ_SK_SL_E_clIPmSE_SF_SF_EESI_SY_SJ_SK_SL_EUlSY_E0_NS1_11comp_targetILNS1_3genE4ELNS1_11target_archE910ELNS1_3gpuE8ELNS1_3repE0EEENS1_38merge_mergepath_config_static_selectorELNS0_4arch9wavefront6targetE0EEEvSK_
	.p2align	8
	.type	_ZN7rocprim17ROCPRIM_400000_NS6detail17trampoline_kernelINS0_14default_configENS1_38merge_sort_block_merge_config_selectorImNS0_10empty_typeEEEZZNS1_27merge_sort_block_merge_implIS3_N6thrust23THRUST_200600_302600_NS6detail15normal_iteratorINS9_10device_ptrImEEEEPS5_m11less_div_10ImEEE10hipError_tT0_T1_T2_jT3_P12ihipStream_tbPNSt15iterator_traitsISJ_E10value_typeEPNSP_ISK_E10value_typeEPSL_NS1_7vsmem_tEENKUlT_SJ_SK_SL_E_clIPmSE_SF_SF_EESI_SY_SJ_SK_SL_EUlSY_E0_NS1_11comp_targetILNS1_3genE4ELNS1_11target_archE910ELNS1_3gpuE8ELNS1_3repE0EEENS1_38merge_mergepath_config_static_selectorELNS0_4arch9wavefront6targetE0EEEvSK_,@function
_ZN7rocprim17ROCPRIM_400000_NS6detail17trampoline_kernelINS0_14default_configENS1_38merge_sort_block_merge_config_selectorImNS0_10empty_typeEEEZZNS1_27merge_sort_block_merge_implIS3_N6thrust23THRUST_200600_302600_NS6detail15normal_iteratorINS9_10device_ptrImEEEEPS5_m11less_div_10ImEEE10hipError_tT0_T1_T2_jT3_P12ihipStream_tbPNSt15iterator_traitsISJ_E10value_typeEPNSP_ISK_E10value_typeEPSL_NS1_7vsmem_tEENKUlT_SJ_SK_SL_E_clIPmSE_SF_SF_EESI_SY_SJ_SK_SL_EUlSY_E0_NS1_11comp_targetILNS1_3genE4ELNS1_11target_archE910ELNS1_3gpuE8ELNS1_3repE0EEENS1_38merge_mergepath_config_static_selectorELNS0_4arch9wavefront6targetE0EEEvSK_: ; @_ZN7rocprim17ROCPRIM_400000_NS6detail17trampoline_kernelINS0_14default_configENS1_38merge_sort_block_merge_config_selectorImNS0_10empty_typeEEEZZNS1_27merge_sort_block_merge_implIS3_N6thrust23THRUST_200600_302600_NS6detail15normal_iteratorINS9_10device_ptrImEEEEPS5_m11less_div_10ImEEE10hipError_tT0_T1_T2_jT3_P12ihipStream_tbPNSt15iterator_traitsISJ_E10value_typeEPNSP_ISK_E10value_typeEPSL_NS1_7vsmem_tEENKUlT_SJ_SK_SL_E_clIPmSE_SF_SF_EESI_SY_SJ_SK_SL_EUlSY_E0_NS1_11comp_targetILNS1_3genE4ELNS1_11target_archE910ELNS1_3gpuE8ELNS1_3repE0EEENS1_38merge_mergepath_config_static_selectorELNS0_4arch9wavefront6targetE0EEEvSK_
; %bb.0:
	.section	.rodata,"a",@progbits
	.p2align	6, 0x0
	.amdhsa_kernel _ZN7rocprim17ROCPRIM_400000_NS6detail17trampoline_kernelINS0_14default_configENS1_38merge_sort_block_merge_config_selectorImNS0_10empty_typeEEEZZNS1_27merge_sort_block_merge_implIS3_N6thrust23THRUST_200600_302600_NS6detail15normal_iteratorINS9_10device_ptrImEEEEPS5_m11less_div_10ImEEE10hipError_tT0_T1_T2_jT3_P12ihipStream_tbPNSt15iterator_traitsISJ_E10value_typeEPNSP_ISK_E10value_typeEPSL_NS1_7vsmem_tEENKUlT_SJ_SK_SL_E_clIPmSE_SF_SF_EESI_SY_SJ_SK_SL_EUlSY_E0_NS1_11comp_targetILNS1_3genE4ELNS1_11target_archE910ELNS1_3gpuE8ELNS1_3repE0EEENS1_38merge_mergepath_config_static_selectorELNS0_4arch9wavefront6targetE0EEEvSK_
		.amdhsa_group_segment_fixed_size 0
		.amdhsa_private_segment_fixed_size 0
		.amdhsa_kernarg_size 72
		.amdhsa_user_sgpr_count 6
		.amdhsa_user_sgpr_private_segment_buffer 1
		.amdhsa_user_sgpr_dispatch_ptr 0
		.amdhsa_user_sgpr_queue_ptr 0
		.amdhsa_user_sgpr_kernarg_segment_ptr 1
		.amdhsa_user_sgpr_dispatch_id 0
		.amdhsa_user_sgpr_flat_scratch_init 0
		.amdhsa_user_sgpr_private_segment_size 0
		.amdhsa_wavefront_size32 1
		.amdhsa_uses_dynamic_stack 0
		.amdhsa_system_sgpr_private_segment_wavefront_offset 0
		.amdhsa_system_sgpr_workgroup_id_x 1
		.amdhsa_system_sgpr_workgroup_id_y 0
		.amdhsa_system_sgpr_workgroup_id_z 0
		.amdhsa_system_sgpr_workgroup_info 0
		.amdhsa_system_vgpr_workitem_id 0
		.amdhsa_next_free_vgpr 1
		.amdhsa_next_free_sgpr 1
		.amdhsa_reserve_vcc 0
		.amdhsa_reserve_flat_scratch 0
		.amdhsa_float_round_mode_32 0
		.amdhsa_float_round_mode_16_64 0
		.amdhsa_float_denorm_mode_32 3
		.amdhsa_float_denorm_mode_16_64 3
		.amdhsa_dx10_clamp 1
		.amdhsa_ieee_mode 1
		.amdhsa_fp16_overflow 0
		.amdhsa_workgroup_processor_mode 1
		.amdhsa_memory_ordered 1
		.amdhsa_forward_progress 1
		.amdhsa_shared_vgpr_count 0
		.amdhsa_exception_fp_ieee_invalid_op 0
		.amdhsa_exception_fp_denorm_src 0
		.amdhsa_exception_fp_ieee_div_zero 0
		.amdhsa_exception_fp_ieee_overflow 0
		.amdhsa_exception_fp_ieee_underflow 0
		.amdhsa_exception_fp_ieee_inexact 0
		.amdhsa_exception_int_div_zero 0
	.end_amdhsa_kernel
	.section	.text._ZN7rocprim17ROCPRIM_400000_NS6detail17trampoline_kernelINS0_14default_configENS1_38merge_sort_block_merge_config_selectorImNS0_10empty_typeEEEZZNS1_27merge_sort_block_merge_implIS3_N6thrust23THRUST_200600_302600_NS6detail15normal_iteratorINS9_10device_ptrImEEEEPS5_m11less_div_10ImEEE10hipError_tT0_T1_T2_jT3_P12ihipStream_tbPNSt15iterator_traitsISJ_E10value_typeEPNSP_ISK_E10value_typeEPSL_NS1_7vsmem_tEENKUlT_SJ_SK_SL_E_clIPmSE_SF_SF_EESI_SY_SJ_SK_SL_EUlSY_E0_NS1_11comp_targetILNS1_3genE4ELNS1_11target_archE910ELNS1_3gpuE8ELNS1_3repE0EEENS1_38merge_mergepath_config_static_selectorELNS0_4arch9wavefront6targetE0EEEvSK_,"axG",@progbits,_ZN7rocprim17ROCPRIM_400000_NS6detail17trampoline_kernelINS0_14default_configENS1_38merge_sort_block_merge_config_selectorImNS0_10empty_typeEEEZZNS1_27merge_sort_block_merge_implIS3_N6thrust23THRUST_200600_302600_NS6detail15normal_iteratorINS9_10device_ptrImEEEEPS5_m11less_div_10ImEEE10hipError_tT0_T1_T2_jT3_P12ihipStream_tbPNSt15iterator_traitsISJ_E10value_typeEPNSP_ISK_E10value_typeEPSL_NS1_7vsmem_tEENKUlT_SJ_SK_SL_E_clIPmSE_SF_SF_EESI_SY_SJ_SK_SL_EUlSY_E0_NS1_11comp_targetILNS1_3genE4ELNS1_11target_archE910ELNS1_3gpuE8ELNS1_3repE0EEENS1_38merge_mergepath_config_static_selectorELNS0_4arch9wavefront6targetE0EEEvSK_,comdat
.Lfunc_end628:
	.size	_ZN7rocprim17ROCPRIM_400000_NS6detail17trampoline_kernelINS0_14default_configENS1_38merge_sort_block_merge_config_selectorImNS0_10empty_typeEEEZZNS1_27merge_sort_block_merge_implIS3_N6thrust23THRUST_200600_302600_NS6detail15normal_iteratorINS9_10device_ptrImEEEEPS5_m11less_div_10ImEEE10hipError_tT0_T1_T2_jT3_P12ihipStream_tbPNSt15iterator_traitsISJ_E10value_typeEPNSP_ISK_E10value_typeEPSL_NS1_7vsmem_tEENKUlT_SJ_SK_SL_E_clIPmSE_SF_SF_EESI_SY_SJ_SK_SL_EUlSY_E0_NS1_11comp_targetILNS1_3genE4ELNS1_11target_archE910ELNS1_3gpuE8ELNS1_3repE0EEENS1_38merge_mergepath_config_static_selectorELNS0_4arch9wavefront6targetE0EEEvSK_, .Lfunc_end628-_ZN7rocprim17ROCPRIM_400000_NS6detail17trampoline_kernelINS0_14default_configENS1_38merge_sort_block_merge_config_selectorImNS0_10empty_typeEEEZZNS1_27merge_sort_block_merge_implIS3_N6thrust23THRUST_200600_302600_NS6detail15normal_iteratorINS9_10device_ptrImEEEEPS5_m11less_div_10ImEEE10hipError_tT0_T1_T2_jT3_P12ihipStream_tbPNSt15iterator_traitsISJ_E10value_typeEPNSP_ISK_E10value_typeEPSL_NS1_7vsmem_tEENKUlT_SJ_SK_SL_E_clIPmSE_SF_SF_EESI_SY_SJ_SK_SL_EUlSY_E0_NS1_11comp_targetILNS1_3genE4ELNS1_11target_archE910ELNS1_3gpuE8ELNS1_3repE0EEENS1_38merge_mergepath_config_static_selectorELNS0_4arch9wavefront6targetE0EEEvSK_
                                        ; -- End function
	.set _ZN7rocprim17ROCPRIM_400000_NS6detail17trampoline_kernelINS0_14default_configENS1_38merge_sort_block_merge_config_selectorImNS0_10empty_typeEEEZZNS1_27merge_sort_block_merge_implIS3_N6thrust23THRUST_200600_302600_NS6detail15normal_iteratorINS9_10device_ptrImEEEEPS5_m11less_div_10ImEEE10hipError_tT0_T1_T2_jT3_P12ihipStream_tbPNSt15iterator_traitsISJ_E10value_typeEPNSP_ISK_E10value_typeEPSL_NS1_7vsmem_tEENKUlT_SJ_SK_SL_E_clIPmSE_SF_SF_EESI_SY_SJ_SK_SL_EUlSY_E0_NS1_11comp_targetILNS1_3genE4ELNS1_11target_archE910ELNS1_3gpuE8ELNS1_3repE0EEENS1_38merge_mergepath_config_static_selectorELNS0_4arch9wavefront6targetE0EEEvSK_.num_vgpr, 0
	.set _ZN7rocprim17ROCPRIM_400000_NS6detail17trampoline_kernelINS0_14default_configENS1_38merge_sort_block_merge_config_selectorImNS0_10empty_typeEEEZZNS1_27merge_sort_block_merge_implIS3_N6thrust23THRUST_200600_302600_NS6detail15normal_iteratorINS9_10device_ptrImEEEEPS5_m11less_div_10ImEEE10hipError_tT0_T1_T2_jT3_P12ihipStream_tbPNSt15iterator_traitsISJ_E10value_typeEPNSP_ISK_E10value_typeEPSL_NS1_7vsmem_tEENKUlT_SJ_SK_SL_E_clIPmSE_SF_SF_EESI_SY_SJ_SK_SL_EUlSY_E0_NS1_11comp_targetILNS1_3genE4ELNS1_11target_archE910ELNS1_3gpuE8ELNS1_3repE0EEENS1_38merge_mergepath_config_static_selectorELNS0_4arch9wavefront6targetE0EEEvSK_.num_agpr, 0
	.set _ZN7rocprim17ROCPRIM_400000_NS6detail17trampoline_kernelINS0_14default_configENS1_38merge_sort_block_merge_config_selectorImNS0_10empty_typeEEEZZNS1_27merge_sort_block_merge_implIS3_N6thrust23THRUST_200600_302600_NS6detail15normal_iteratorINS9_10device_ptrImEEEEPS5_m11less_div_10ImEEE10hipError_tT0_T1_T2_jT3_P12ihipStream_tbPNSt15iterator_traitsISJ_E10value_typeEPNSP_ISK_E10value_typeEPSL_NS1_7vsmem_tEENKUlT_SJ_SK_SL_E_clIPmSE_SF_SF_EESI_SY_SJ_SK_SL_EUlSY_E0_NS1_11comp_targetILNS1_3genE4ELNS1_11target_archE910ELNS1_3gpuE8ELNS1_3repE0EEENS1_38merge_mergepath_config_static_selectorELNS0_4arch9wavefront6targetE0EEEvSK_.numbered_sgpr, 0
	.set _ZN7rocprim17ROCPRIM_400000_NS6detail17trampoline_kernelINS0_14default_configENS1_38merge_sort_block_merge_config_selectorImNS0_10empty_typeEEEZZNS1_27merge_sort_block_merge_implIS3_N6thrust23THRUST_200600_302600_NS6detail15normal_iteratorINS9_10device_ptrImEEEEPS5_m11less_div_10ImEEE10hipError_tT0_T1_T2_jT3_P12ihipStream_tbPNSt15iterator_traitsISJ_E10value_typeEPNSP_ISK_E10value_typeEPSL_NS1_7vsmem_tEENKUlT_SJ_SK_SL_E_clIPmSE_SF_SF_EESI_SY_SJ_SK_SL_EUlSY_E0_NS1_11comp_targetILNS1_3genE4ELNS1_11target_archE910ELNS1_3gpuE8ELNS1_3repE0EEENS1_38merge_mergepath_config_static_selectorELNS0_4arch9wavefront6targetE0EEEvSK_.num_named_barrier, 0
	.set _ZN7rocprim17ROCPRIM_400000_NS6detail17trampoline_kernelINS0_14default_configENS1_38merge_sort_block_merge_config_selectorImNS0_10empty_typeEEEZZNS1_27merge_sort_block_merge_implIS3_N6thrust23THRUST_200600_302600_NS6detail15normal_iteratorINS9_10device_ptrImEEEEPS5_m11less_div_10ImEEE10hipError_tT0_T1_T2_jT3_P12ihipStream_tbPNSt15iterator_traitsISJ_E10value_typeEPNSP_ISK_E10value_typeEPSL_NS1_7vsmem_tEENKUlT_SJ_SK_SL_E_clIPmSE_SF_SF_EESI_SY_SJ_SK_SL_EUlSY_E0_NS1_11comp_targetILNS1_3genE4ELNS1_11target_archE910ELNS1_3gpuE8ELNS1_3repE0EEENS1_38merge_mergepath_config_static_selectorELNS0_4arch9wavefront6targetE0EEEvSK_.private_seg_size, 0
	.set _ZN7rocprim17ROCPRIM_400000_NS6detail17trampoline_kernelINS0_14default_configENS1_38merge_sort_block_merge_config_selectorImNS0_10empty_typeEEEZZNS1_27merge_sort_block_merge_implIS3_N6thrust23THRUST_200600_302600_NS6detail15normal_iteratorINS9_10device_ptrImEEEEPS5_m11less_div_10ImEEE10hipError_tT0_T1_T2_jT3_P12ihipStream_tbPNSt15iterator_traitsISJ_E10value_typeEPNSP_ISK_E10value_typeEPSL_NS1_7vsmem_tEENKUlT_SJ_SK_SL_E_clIPmSE_SF_SF_EESI_SY_SJ_SK_SL_EUlSY_E0_NS1_11comp_targetILNS1_3genE4ELNS1_11target_archE910ELNS1_3gpuE8ELNS1_3repE0EEENS1_38merge_mergepath_config_static_selectorELNS0_4arch9wavefront6targetE0EEEvSK_.uses_vcc, 0
	.set _ZN7rocprim17ROCPRIM_400000_NS6detail17trampoline_kernelINS0_14default_configENS1_38merge_sort_block_merge_config_selectorImNS0_10empty_typeEEEZZNS1_27merge_sort_block_merge_implIS3_N6thrust23THRUST_200600_302600_NS6detail15normal_iteratorINS9_10device_ptrImEEEEPS5_m11less_div_10ImEEE10hipError_tT0_T1_T2_jT3_P12ihipStream_tbPNSt15iterator_traitsISJ_E10value_typeEPNSP_ISK_E10value_typeEPSL_NS1_7vsmem_tEENKUlT_SJ_SK_SL_E_clIPmSE_SF_SF_EESI_SY_SJ_SK_SL_EUlSY_E0_NS1_11comp_targetILNS1_3genE4ELNS1_11target_archE910ELNS1_3gpuE8ELNS1_3repE0EEENS1_38merge_mergepath_config_static_selectorELNS0_4arch9wavefront6targetE0EEEvSK_.uses_flat_scratch, 0
	.set _ZN7rocprim17ROCPRIM_400000_NS6detail17trampoline_kernelINS0_14default_configENS1_38merge_sort_block_merge_config_selectorImNS0_10empty_typeEEEZZNS1_27merge_sort_block_merge_implIS3_N6thrust23THRUST_200600_302600_NS6detail15normal_iteratorINS9_10device_ptrImEEEEPS5_m11less_div_10ImEEE10hipError_tT0_T1_T2_jT3_P12ihipStream_tbPNSt15iterator_traitsISJ_E10value_typeEPNSP_ISK_E10value_typeEPSL_NS1_7vsmem_tEENKUlT_SJ_SK_SL_E_clIPmSE_SF_SF_EESI_SY_SJ_SK_SL_EUlSY_E0_NS1_11comp_targetILNS1_3genE4ELNS1_11target_archE910ELNS1_3gpuE8ELNS1_3repE0EEENS1_38merge_mergepath_config_static_selectorELNS0_4arch9wavefront6targetE0EEEvSK_.has_dyn_sized_stack, 0
	.set _ZN7rocprim17ROCPRIM_400000_NS6detail17trampoline_kernelINS0_14default_configENS1_38merge_sort_block_merge_config_selectorImNS0_10empty_typeEEEZZNS1_27merge_sort_block_merge_implIS3_N6thrust23THRUST_200600_302600_NS6detail15normal_iteratorINS9_10device_ptrImEEEEPS5_m11less_div_10ImEEE10hipError_tT0_T1_T2_jT3_P12ihipStream_tbPNSt15iterator_traitsISJ_E10value_typeEPNSP_ISK_E10value_typeEPSL_NS1_7vsmem_tEENKUlT_SJ_SK_SL_E_clIPmSE_SF_SF_EESI_SY_SJ_SK_SL_EUlSY_E0_NS1_11comp_targetILNS1_3genE4ELNS1_11target_archE910ELNS1_3gpuE8ELNS1_3repE0EEENS1_38merge_mergepath_config_static_selectorELNS0_4arch9wavefront6targetE0EEEvSK_.has_recursion, 0
	.set _ZN7rocprim17ROCPRIM_400000_NS6detail17trampoline_kernelINS0_14default_configENS1_38merge_sort_block_merge_config_selectorImNS0_10empty_typeEEEZZNS1_27merge_sort_block_merge_implIS3_N6thrust23THRUST_200600_302600_NS6detail15normal_iteratorINS9_10device_ptrImEEEEPS5_m11less_div_10ImEEE10hipError_tT0_T1_T2_jT3_P12ihipStream_tbPNSt15iterator_traitsISJ_E10value_typeEPNSP_ISK_E10value_typeEPSL_NS1_7vsmem_tEENKUlT_SJ_SK_SL_E_clIPmSE_SF_SF_EESI_SY_SJ_SK_SL_EUlSY_E0_NS1_11comp_targetILNS1_3genE4ELNS1_11target_archE910ELNS1_3gpuE8ELNS1_3repE0EEENS1_38merge_mergepath_config_static_selectorELNS0_4arch9wavefront6targetE0EEEvSK_.has_indirect_call, 0
	.section	.AMDGPU.csdata,"",@progbits
; Kernel info:
; codeLenInByte = 0
; TotalNumSgprs: 0
; NumVgprs: 0
; ScratchSize: 0
; MemoryBound: 0
; FloatMode: 240
; IeeeMode: 1
; LDSByteSize: 0 bytes/workgroup (compile time only)
; SGPRBlocks: 0
; VGPRBlocks: 0
; NumSGPRsForWavesPerEU: 1
; NumVGPRsForWavesPerEU: 1
; Occupancy: 16
; WaveLimiterHint : 0
; COMPUTE_PGM_RSRC2:SCRATCH_EN: 0
; COMPUTE_PGM_RSRC2:USER_SGPR: 6
; COMPUTE_PGM_RSRC2:TRAP_HANDLER: 0
; COMPUTE_PGM_RSRC2:TGID_X_EN: 1
; COMPUTE_PGM_RSRC2:TGID_Y_EN: 0
; COMPUTE_PGM_RSRC2:TGID_Z_EN: 0
; COMPUTE_PGM_RSRC2:TIDIG_COMP_CNT: 0
	.section	.text._ZN7rocprim17ROCPRIM_400000_NS6detail17trampoline_kernelINS0_14default_configENS1_38merge_sort_block_merge_config_selectorImNS0_10empty_typeEEEZZNS1_27merge_sort_block_merge_implIS3_N6thrust23THRUST_200600_302600_NS6detail15normal_iteratorINS9_10device_ptrImEEEEPS5_m11less_div_10ImEEE10hipError_tT0_T1_T2_jT3_P12ihipStream_tbPNSt15iterator_traitsISJ_E10value_typeEPNSP_ISK_E10value_typeEPSL_NS1_7vsmem_tEENKUlT_SJ_SK_SL_E_clIPmSE_SF_SF_EESI_SY_SJ_SK_SL_EUlSY_E0_NS1_11comp_targetILNS1_3genE3ELNS1_11target_archE908ELNS1_3gpuE7ELNS1_3repE0EEENS1_38merge_mergepath_config_static_selectorELNS0_4arch9wavefront6targetE0EEEvSK_,"axG",@progbits,_ZN7rocprim17ROCPRIM_400000_NS6detail17trampoline_kernelINS0_14default_configENS1_38merge_sort_block_merge_config_selectorImNS0_10empty_typeEEEZZNS1_27merge_sort_block_merge_implIS3_N6thrust23THRUST_200600_302600_NS6detail15normal_iteratorINS9_10device_ptrImEEEEPS5_m11less_div_10ImEEE10hipError_tT0_T1_T2_jT3_P12ihipStream_tbPNSt15iterator_traitsISJ_E10value_typeEPNSP_ISK_E10value_typeEPSL_NS1_7vsmem_tEENKUlT_SJ_SK_SL_E_clIPmSE_SF_SF_EESI_SY_SJ_SK_SL_EUlSY_E0_NS1_11comp_targetILNS1_3genE3ELNS1_11target_archE908ELNS1_3gpuE7ELNS1_3repE0EEENS1_38merge_mergepath_config_static_selectorELNS0_4arch9wavefront6targetE0EEEvSK_,comdat
	.protected	_ZN7rocprim17ROCPRIM_400000_NS6detail17trampoline_kernelINS0_14default_configENS1_38merge_sort_block_merge_config_selectorImNS0_10empty_typeEEEZZNS1_27merge_sort_block_merge_implIS3_N6thrust23THRUST_200600_302600_NS6detail15normal_iteratorINS9_10device_ptrImEEEEPS5_m11less_div_10ImEEE10hipError_tT0_T1_T2_jT3_P12ihipStream_tbPNSt15iterator_traitsISJ_E10value_typeEPNSP_ISK_E10value_typeEPSL_NS1_7vsmem_tEENKUlT_SJ_SK_SL_E_clIPmSE_SF_SF_EESI_SY_SJ_SK_SL_EUlSY_E0_NS1_11comp_targetILNS1_3genE3ELNS1_11target_archE908ELNS1_3gpuE7ELNS1_3repE0EEENS1_38merge_mergepath_config_static_selectorELNS0_4arch9wavefront6targetE0EEEvSK_ ; -- Begin function _ZN7rocprim17ROCPRIM_400000_NS6detail17trampoline_kernelINS0_14default_configENS1_38merge_sort_block_merge_config_selectorImNS0_10empty_typeEEEZZNS1_27merge_sort_block_merge_implIS3_N6thrust23THRUST_200600_302600_NS6detail15normal_iteratorINS9_10device_ptrImEEEEPS5_m11less_div_10ImEEE10hipError_tT0_T1_T2_jT3_P12ihipStream_tbPNSt15iterator_traitsISJ_E10value_typeEPNSP_ISK_E10value_typeEPSL_NS1_7vsmem_tEENKUlT_SJ_SK_SL_E_clIPmSE_SF_SF_EESI_SY_SJ_SK_SL_EUlSY_E0_NS1_11comp_targetILNS1_3genE3ELNS1_11target_archE908ELNS1_3gpuE7ELNS1_3repE0EEENS1_38merge_mergepath_config_static_selectorELNS0_4arch9wavefront6targetE0EEEvSK_
	.globl	_ZN7rocprim17ROCPRIM_400000_NS6detail17trampoline_kernelINS0_14default_configENS1_38merge_sort_block_merge_config_selectorImNS0_10empty_typeEEEZZNS1_27merge_sort_block_merge_implIS3_N6thrust23THRUST_200600_302600_NS6detail15normal_iteratorINS9_10device_ptrImEEEEPS5_m11less_div_10ImEEE10hipError_tT0_T1_T2_jT3_P12ihipStream_tbPNSt15iterator_traitsISJ_E10value_typeEPNSP_ISK_E10value_typeEPSL_NS1_7vsmem_tEENKUlT_SJ_SK_SL_E_clIPmSE_SF_SF_EESI_SY_SJ_SK_SL_EUlSY_E0_NS1_11comp_targetILNS1_3genE3ELNS1_11target_archE908ELNS1_3gpuE7ELNS1_3repE0EEENS1_38merge_mergepath_config_static_selectorELNS0_4arch9wavefront6targetE0EEEvSK_
	.p2align	8
	.type	_ZN7rocprim17ROCPRIM_400000_NS6detail17trampoline_kernelINS0_14default_configENS1_38merge_sort_block_merge_config_selectorImNS0_10empty_typeEEEZZNS1_27merge_sort_block_merge_implIS3_N6thrust23THRUST_200600_302600_NS6detail15normal_iteratorINS9_10device_ptrImEEEEPS5_m11less_div_10ImEEE10hipError_tT0_T1_T2_jT3_P12ihipStream_tbPNSt15iterator_traitsISJ_E10value_typeEPNSP_ISK_E10value_typeEPSL_NS1_7vsmem_tEENKUlT_SJ_SK_SL_E_clIPmSE_SF_SF_EESI_SY_SJ_SK_SL_EUlSY_E0_NS1_11comp_targetILNS1_3genE3ELNS1_11target_archE908ELNS1_3gpuE7ELNS1_3repE0EEENS1_38merge_mergepath_config_static_selectorELNS0_4arch9wavefront6targetE0EEEvSK_,@function
_ZN7rocprim17ROCPRIM_400000_NS6detail17trampoline_kernelINS0_14default_configENS1_38merge_sort_block_merge_config_selectorImNS0_10empty_typeEEEZZNS1_27merge_sort_block_merge_implIS3_N6thrust23THRUST_200600_302600_NS6detail15normal_iteratorINS9_10device_ptrImEEEEPS5_m11less_div_10ImEEE10hipError_tT0_T1_T2_jT3_P12ihipStream_tbPNSt15iterator_traitsISJ_E10value_typeEPNSP_ISK_E10value_typeEPSL_NS1_7vsmem_tEENKUlT_SJ_SK_SL_E_clIPmSE_SF_SF_EESI_SY_SJ_SK_SL_EUlSY_E0_NS1_11comp_targetILNS1_3genE3ELNS1_11target_archE908ELNS1_3gpuE7ELNS1_3repE0EEENS1_38merge_mergepath_config_static_selectorELNS0_4arch9wavefront6targetE0EEEvSK_: ; @_ZN7rocprim17ROCPRIM_400000_NS6detail17trampoline_kernelINS0_14default_configENS1_38merge_sort_block_merge_config_selectorImNS0_10empty_typeEEEZZNS1_27merge_sort_block_merge_implIS3_N6thrust23THRUST_200600_302600_NS6detail15normal_iteratorINS9_10device_ptrImEEEEPS5_m11less_div_10ImEEE10hipError_tT0_T1_T2_jT3_P12ihipStream_tbPNSt15iterator_traitsISJ_E10value_typeEPNSP_ISK_E10value_typeEPSL_NS1_7vsmem_tEENKUlT_SJ_SK_SL_E_clIPmSE_SF_SF_EESI_SY_SJ_SK_SL_EUlSY_E0_NS1_11comp_targetILNS1_3genE3ELNS1_11target_archE908ELNS1_3gpuE7ELNS1_3repE0EEENS1_38merge_mergepath_config_static_selectorELNS0_4arch9wavefront6targetE0EEEvSK_
; %bb.0:
	.section	.rodata,"a",@progbits
	.p2align	6, 0x0
	.amdhsa_kernel _ZN7rocprim17ROCPRIM_400000_NS6detail17trampoline_kernelINS0_14default_configENS1_38merge_sort_block_merge_config_selectorImNS0_10empty_typeEEEZZNS1_27merge_sort_block_merge_implIS3_N6thrust23THRUST_200600_302600_NS6detail15normal_iteratorINS9_10device_ptrImEEEEPS5_m11less_div_10ImEEE10hipError_tT0_T1_T2_jT3_P12ihipStream_tbPNSt15iterator_traitsISJ_E10value_typeEPNSP_ISK_E10value_typeEPSL_NS1_7vsmem_tEENKUlT_SJ_SK_SL_E_clIPmSE_SF_SF_EESI_SY_SJ_SK_SL_EUlSY_E0_NS1_11comp_targetILNS1_3genE3ELNS1_11target_archE908ELNS1_3gpuE7ELNS1_3repE0EEENS1_38merge_mergepath_config_static_selectorELNS0_4arch9wavefront6targetE0EEEvSK_
		.amdhsa_group_segment_fixed_size 0
		.amdhsa_private_segment_fixed_size 0
		.amdhsa_kernarg_size 72
		.amdhsa_user_sgpr_count 6
		.amdhsa_user_sgpr_private_segment_buffer 1
		.amdhsa_user_sgpr_dispatch_ptr 0
		.amdhsa_user_sgpr_queue_ptr 0
		.amdhsa_user_sgpr_kernarg_segment_ptr 1
		.amdhsa_user_sgpr_dispatch_id 0
		.amdhsa_user_sgpr_flat_scratch_init 0
		.amdhsa_user_sgpr_private_segment_size 0
		.amdhsa_wavefront_size32 1
		.amdhsa_uses_dynamic_stack 0
		.amdhsa_system_sgpr_private_segment_wavefront_offset 0
		.amdhsa_system_sgpr_workgroup_id_x 1
		.amdhsa_system_sgpr_workgroup_id_y 0
		.amdhsa_system_sgpr_workgroup_id_z 0
		.amdhsa_system_sgpr_workgroup_info 0
		.amdhsa_system_vgpr_workitem_id 0
		.amdhsa_next_free_vgpr 1
		.amdhsa_next_free_sgpr 1
		.amdhsa_reserve_vcc 0
		.amdhsa_reserve_flat_scratch 0
		.amdhsa_float_round_mode_32 0
		.amdhsa_float_round_mode_16_64 0
		.amdhsa_float_denorm_mode_32 3
		.amdhsa_float_denorm_mode_16_64 3
		.amdhsa_dx10_clamp 1
		.amdhsa_ieee_mode 1
		.amdhsa_fp16_overflow 0
		.amdhsa_workgroup_processor_mode 1
		.amdhsa_memory_ordered 1
		.amdhsa_forward_progress 1
		.amdhsa_shared_vgpr_count 0
		.amdhsa_exception_fp_ieee_invalid_op 0
		.amdhsa_exception_fp_denorm_src 0
		.amdhsa_exception_fp_ieee_div_zero 0
		.amdhsa_exception_fp_ieee_overflow 0
		.amdhsa_exception_fp_ieee_underflow 0
		.amdhsa_exception_fp_ieee_inexact 0
		.amdhsa_exception_int_div_zero 0
	.end_amdhsa_kernel
	.section	.text._ZN7rocprim17ROCPRIM_400000_NS6detail17trampoline_kernelINS0_14default_configENS1_38merge_sort_block_merge_config_selectorImNS0_10empty_typeEEEZZNS1_27merge_sort_block_merge_implIS3_N6thrust23THRUST_200600_302600_NS6detail15normal_iteratorINS9_10device_ptrImEEEEPS5_m11less_div_10ImEEE10hipError_tT0_T1_T2_jT3_P12ihipStream_tbPNSt15iterator_traitsISJ_E10value_typeEPNSP_ISK_E10value_typeEPSL_NS1_7vsmem_tEENKUlT_SJ_SK_SL_E_clIPmSE_SF_SF_EESI_SY_SJ_SK_SL_EUlSY_E0_NS1_11comp_targetILNS1_3genE3ELNS1_11target_archE908ELNS1_3gpuE7ELNS1_3repE0EEENS1_38merge_mergepath_config_static_selectorELNS0_4arch9wavefront6targetE0EEEvSK_,"axG",@progbits,_ZN7rocprim17ROCPRIM_400000_NS6detail17trampoline_kernelINS0_14default_configENS1_38merge_sort_block_merge_config_selectorImNS0_10empty_typeEEEZZNS1_27merge_sort_block_merge_implIS3_N6thrust23THRUST_200600_302600_NS6detail15normal_iteratorINS9_10device_ptrImEEEEPS5_m11less_div_10ImEEE10hipError_tT0_T1_T2_jT3_P12ihipStream_tbPNSt15iterator_traitsISJ_E10value_typeEPNSP_ISK_E10value_typeEPSL_NS1_7vsmem_tEENKUlT_SJ_SK_SL_E_clIPmSE_SF_SF_EESI_SY_SJ_SK_SL_EUlSY_E0_NS1_11comp_targetILNS1_3genE3ELNS1_11target_archE908ELNS1_3gpuE7ELNS1_3repE0EEENS1_38merge_mergepath_config_static_selectorELNS0_4arch9wavefront6targetE0EEEvSK_,comdat
.Lfunc_end629:
	.size	_ZN7rocprim17ROCPRIM_400000_NS6detail17trampoline_kernelINS0_14default_configENS1_38merge_sort_block_merge_config_selectorImNS0_10empty_typeEEEZZNS1_27merge_sort_block_merge_implIS3_N6thrust23THRUST_200600_302600_NS6detail15normal_iteratorINS9_10device_ptrImEEEEPS5_m11less_div_10ImEEE10hipError_tT0_T1_T2_jT3_P12ihipStream_tbPNSt15iterator_traitsISJ_E10value_typeEPNSP_ISK_E10value_typeEPSL_NS1_7vsmem_tEENKUlT_SJ_SK_SL_E_clIPmSE_SF_SF_EESI_SY_SJ_SK_SL_EUlSY_E0_NS1_11comp_targetILNS1_3genE3ELNS1_11target_archE908ELNS1_3gpuE7ELNS1_3repE0EEENS1_38merge_mergepath_config_static_selectorELNS0_4arch9wavefront6targetE0EEEvSK_, .Lfunc_end629-_ZN7rocprim17ROCPRIM_400000_NS6detail17trampoline_kernelINS0_14default_configENS1_38merge_sort_block_merge_config_selectorImNS0_10empty_typeEEEZZNS1_27merge_sort_block_merge_implIS3_N6thrust23THRUST_200600_302600_NS6detail15normal_iteratorINS9_10device_ptrImEEEEPS5_m11less_div_10ImEEE10hipError_tT0_T1_T2_jT3_P12ihipStream_tbPNSt15iterator_traitsISJ_E10value_typeEPNSP_ISK_E10value_typeEPSL_NS1_7vsmem_tEENKUlT_SJ_SK_SL_E_clIPmSE_SF_SF_EESI_SY_SJ_SK_SL_EUlSY_E0_NS1_11comp_targetILNS1_3genE3ELNS1_11target_archE908ELNS1_3gpuE7ELNS1_3repE0EEENS1_38merge_mergepath_config_static_selectorELNS0_4arch9wavefront6targetE0EEEvSK_
                                        ; -- End function
	.set _ZN7rocprim17ROCPRIM_400000_NS6detail17trampoline_kernelINS0_14default_configENS1_38merge_sort_block_merge_config_selectorImNS0_10empty_typeEEEZZNS1_27merge_sort_block_merge_implIS3_N6thrust23THRUST_200600_302600_NS6detail15normal_iteratorINS9_10device_ptrImEEEEPS5_m11less_div_10ImEEE10hipError_tT0_T1_T2_jT3_P12ihipStream_tbPNSt15iterator_traitsISJ_E10value_typeEPNSP_ISK_E10value_typeEPSL_NS1_7vsmem_tEENKUlT_SJ_SK_SL_E_clIPmSE_SF_SF_EESI_SY_SJ_SK_SL_EUlSY_E0_NS1_11comp_targetILNS1_3genE3ELNS1_11target_archE908ELNS1_3gpuE7ELNS1_3repE0EEENS1_38merge_mergepath_config_static_selectorELNS0_4arch9wavefront6targetE0EEEvSK_.num_vgpr, 0
	.set _ZN7rocprim17ROCPRIM_400000_NS6detail17trampoline_kernelINS0_14default_configENS1_38merge_sort_block_merge_config_selectorImNS0_10empty_typeEEEZZNS1_27merge_sort_block_merge_implIS3_N6thrust23THRUST_200600_302600_NS6detail15normal_iteratorINS9_10device_ptrImEEEEPS5_m11less_div_10ImEEE10hipError_tT0_T1_T2_jT3_P12ihipStream_tbPNSt15iterator_traitsISJ_E10value_typeEPNSP_ISK_E10value_typeEPSL_NS1_7vsmem_tEENKUlT_SJ_SK_SL_E_clIPmSE_SF_SF_EESI_SY_SJ_SK_SL_EUlSY_E0_NS1_11comp_targetILNS1_3genE3ELNS1_11target_archE908ELNS1_3gpuE7ELNS1_3repE0EEENS1_38merge_mergepath_config_static_selectorELNS0_4arch9wavefront6targetE0EEEvSK_.num_agpr, 0
	.set _ZN7rocprim17ROCPRIM_400000_NS6detail17trampoline_kernelINS0_14default_configENS1_38merge_sort_block_merge_config_selectorImNS0_10empty_typeEEEZZNS1_27merge_sort_block_merge_implIS3_N6thrust23THRUST_200600_302600_NS6detail15normal_iteratorINS9_10device_ptrImEEEEPS5_m11less_div_10ImEEE10hipError_tT0_T1_T2_jT3_P12ihipStream_tbPNSt15iterator_traitsISJ_E10value_typeEPNSP_ISK_E10value_typeEPSL_NS1_7vsmem_tEENKUlT_SJ_SK_SL_E_clIPmSE_SF_SF_EESI_SY_SJ_SK_SL_EUlSY_E0_NS1_11comp_targetILNS1_3genE3ELNS1_11target_archE908ELNS1_3gpuE7ELNS1_3repE0EEENS1_38merge_mergepath_config_static_selectorELNS0_4arch9wavefront6targetE0EEEvSK_.numbered_sgpr, 0
	.set _ZN7rocprim17ROCPRIM_400000_NS6detail17trampoline_kernelINS0_14default_configENS1_38merge_sort_block_merge_config_selectorImNS0_10empty_typeEEEZZNS1_27merge_sort_block_merge_implIS3_N6thrust23THRUST_200600_302600_NS6detail15normal_iteratorINS9_10device_ptrImEEEEPS5_m11less_div_10ImEEE10hipError_tT0_T1_T2_jT3_P12ihipStream_tbPNSt15iterator_traitsISJ_E10value_typeEPNSP_ISK_E10value_typeEPSL_NS1_7vsmem_tEENKUlT_SJ_SK_SL_E_clIPmSE_SF_SF_EESI_SY_SJ_SK_SL_EUlSY_E0_NS1_11comp_targetILNS1_3genE3ELNS1_11target_archE908ELNS1_3gpuE7ELNS1_3repE0EEENS1_38merge_mergepath_config_static_selectorELNS0_4arch9wavefront6targetE0EEEvSK_.num_named_barrier, 0
	.set _ZN7rocprim17ROCPRIM_400000_NS6detail17trampoline_kernelINS0_14default_configENS1_38merge_sort_block_merge_config_selectorImNS0_10empty_typeEEEZZNS1_27merge_sort_block_merge_implIS3_N6thrust23THRUST_200600_302600_NS6detail15normal_iteratorINS9_10device_ptrImEEEEPS5_m11less_div_10ImEEE10hipError_tT0_T1_T2_jT3_P12ihipStream_tbPNSt15iterator_traitsISJ_E10value_typeEPNSP_ISK_E10value_typeEPSL_NS1_7vsmem_tEENKUlT_SJ_SK_SL_E_clIPmSE_SF_SF_EESI_SY_SJ_SK_SL_EUlSY_E0_NS1_11comp_targetILNS1_3genE3ELNS1_11target_archE908ELNS1_3gpuE7ELNS1_3repE0EEENS1_38merge_mergepath_config_static_selectorELNS0_4arch9wavefront6targetE0EEEvSK_.private_seg_size, 0
	.set _ZN7rocprim17ROCPRIM_400000_NS6detail17trampoline_kernelINS0_14default_configENS1_38merge_sort_block_merge_config_selectorImNS0_10empty_typeEEEZZNS1_27merge_sort_block_merge_implIS3_N6thrust23THRUST_200600_302600_NS6detail15normal_iteratorINS9_10device_ptrImEEEEPS5_m11less_div_10ImEEE10hipError_tT0_T1_T2_jT3_P12ihipStream_tbPNSt15iterator_traitsISJ_E10value_typeEPNSP_ISK_E10value_typeEPSL_NS1_7vsmem_tEENKUlT_SJ_SK_SL_E_clIPmSE_SF_SF_EESI_SY_SJ_SK_SL_EUlSY_E0_NS1_11comp_targetILNS1_3genE3ELNS1_11target_archE908ELNS1_3gpuE7ELNS1_3repE0EEENS1_38merge_mergepath_config_static_selectorELNS0_4arch9wavefront6targetE0EEEvSK_.uses_vcc, 0
	.set _ZN7rocprim17ROCPRIM_400000_NS6detail17trampoline_kernelINS0_14default_configENS1_38merge_sort_block_merge_config_selectorImNS0_10empty_typeEEEZZNS1_27merge_sort_block_merge_implIS3_N6thrust23THRUST_200600_302600_NS6detail15normal_iteratorINS9_10device_ptrImEEEEPS5_m11less_div_10ImEEE10hipError_tT0_T1_T2_jT3_P12ihipStream_tbPNSt15iterator_traitsISJ_E10value_typeEPNSP_ISK_E10value_typeEPSL_NS1_7vsmem_tEENKUlT_SJ_SK_SL_E_clIPmSE_SF_SF_EESI_SY_SJ_SK_SL_EUlSY_E0_NS1_11comp_targetILNS1_3genE3ELNS1_11target_archE908ELNS1_3gpuE7ELNS1_3repE0EEENS1_38merge_mergepath_config_static_selectorELNS0_4arch9wavefront6targetE0EEEvSK_.uses_flat_scratch, 0
	.set _ZN7rocprim17ROCPRIM_400000_NS6detail17trampoline_kernelINS0_14default_configENS1_38merge_sort_block_merge_config_selectorImNS0_10empty_typeEEEZZNS1_27merge_sort_block_merge_implIS3_N6thrust23THRUST_200600_302600_NS6detail15normal_iteratorINS9_10device_ptrImEEEEPS5_m11less_div_10ImEEE10hipError_tT0_T1_T2_jT3_P12ihipStream_tbPNSt15iterator_traitsISJ_E10value_typeEPNSP_ISK_E10value_typeEPSL_NS1_7vsmem_tEENKUlT_SJ_SK_SL_E_clIPmSE_SF_SF_EESI_SY_SJ_SK_SL_EUlSY_E0_NS1_11comp_targetILNS1_3genE3ELNS1_11target_archE908ELNS1_3gpuE7ELNS1_3repE0EEENS1_38merge_mergepath_config_static_selectorELNS0_4arch9wavefront6targetE0EEEvSK_.has_dyn_sized_stack, 0
	.set _ZN7rocprim17ROCPRIM_400000_NS6detail17trampoline_kernelINS0_14default_configENS1_38merge_sort_block_merge_config_selectorImNS0_10empty_typeEEEZZNS1_27merge_sort_block_merge_implIS3_N6thrust23THRUST_200600_302600_NS6detail15normal_iteratorINS9_10device_ptrImEEEEPS5_m11less_div_10ImEEE10hipError_tT0_T1_T2_jT3_P12ihipStream_tbPNSt15iterator_traitsISJ_E10value_typeEPNSP_ISK_E10value_typeEPSL_NS1_7vsmem_tEENKUlT_SJ_SK_SL_E_clIPmSE_SF_SF_EESI_SY_SJ_SK_SL_EUlSY_E0_NS1_11comp_targetILNS1_3genE3ELNS1_11target_archE908ELNS1_3gpuE7ELNS1_3repE0EEENS1_38merge_mergepath_config_static_selectorELNS0_4arch9wavefront6targetE0EEEvSK_.has_recursion, 0
	.set _ZN7rocprim17ROCPRIM_400000_NS6detail17trampoline_kernelINS0_14default_configENS1_38merge_sort_block_merge_config_selectorImNS0_10empty_typeEEEZZNS1_27merge_sort_block_merge_implIS3_N6thrust23THRUST_200600_302600_NS6detail15normal_iteratorINS9_10device_ptrImEEEEPS5_m11less_div_10ImEEE10hipError_tT0_T1_T2_jT3_P12ihipStream_tbPNSt15iterator_traitsISJ_E10value_typeEPNSP_ISK_E10value_typeEPSL_NS1_7vsmem_tEENKUlT_SJ_SK_SL_E_clIPmSE_SF_SF_EESI_SY_SJ_SK_SL_EUlSY_E0_NS1_11comp_targetILNS1_3genE3ELNS1_11target_archE908ELNS1_3gpuE7ELNS1_3repE0EEENS1_38merge_mergepath_config_static_selectorELNS0_4arch9wavefront6targetE0EEEvSK_.has_indirect_call, 0
	.section	.AMDGPU.csdata,"",@progbits
; Kernel info:
; codeLenInByte = 0
; TotalNumSgprs: 0
; NumVgprs: 0
; ScratchSize: 0
; MemoryBound: 0
; FloatMode: 240
; IeeeMode: 1
; LDSByteSize: 0 bytes/workgroup (compile time only)
; SGPRBlocks: 0
; VGPRBlocks: 0
; NumSGPRsForWavesPerEU: 1
; NumVGPRsForWavesPerEU: 1
; Occupancy: 16
; WaveLimiterHint : 0
; COMPUTE_PGM_RSRC2:SCRATCH_EN: 0
; COMPUTE_PGM_RSRC2:USER_SGPR: 6
; COMPUTE_PGM_RSRC2:TRAP_HANDLER: 0
; COMPUTE_PGM_RSRC2:TGID_X_EN: 1
; COMPUTE_PGM_RSRC2:TGID_Y_EN: 0
; COMPUTE_PGM_RSRC2:TGID_Z_EN: 0
; COMPUTE_PGM_RSRC2:TIDIG_COMP_CNT: 0
	.section	.text._ZN7rocprim17ROCPRIM_400000_NS6detail17trampoline_kernelINS0_14default_configENS1_38merge_sort_block_merge_config_selectorImNS0_10empty_typeEEEZZNS1_27merge_sort_block_merge_implIS3_N6thrust23THRUST_200600_302600_NS6detail15normal_iteratorINS9_10device_ptrImEEEEPS5_m11less_div_10ImEEE10hipError_tT0_T1_T2_jT3_P12ihipStream_tbPNSt15iterator_traitsISJ_E10value_typeEPNSP_ISK_E10value_typeEPSL_NS1_7vsmem_tEENKUlT_SJ_SK_SL_E_clIPmSE_SF_SF_EESI_SY_SJ_SK_SL_EUlSY_E0_NS1_11comp_targetILNS1_3genE2ELNS1_11target_archE906ELNS1_3gpuE6ELNS1_3repE0EEENS1_38merge_mergepath_config_static_selectorELNS0_4arch9wavefront6targetE0EEEvSK_,"axG",@progbits,_ZN7rocprim17ROCPRIM_400000_NS6detail17trampoline_kernelINS0_14default_configENS1_38merge_sort_block_merge_config_selectorImNS0_10empty_typeEEEZZNS1_27merge_sort_block_merge_implIS3_N6thrust23THRUST_200600_302600_NS6detail15normal_iteratorINS9_10device_ptrImEEEEPS5_m11less_div_10ImEEE10hipError_tT0_T1_T2_jT3_P12ihipStream_tbPNSt15iterator_traitsISJ_E10value_typeEPNSP_ISK_E10value_typeEPSL_NS1_7vsmem_tEENKUlT_SJ_SK_SL_E_clIPmSE_SF_SF_EESI_SY_SJ_SK_SL_EUlSY_E0_NS1_11comp_targetILNS1_3genE2ELNS1_11target_archE906ELNS1_3gpuE6ELNS1_3repE0EEENS1_38merge_mergepath_config_static_selectorELNS0_4arch9wavefront6targetE0EEEvSK_,comdat
	.protected	_ZN7rocprim17ROCPRIM_400000_NS6detail17trampoline_kernelINS0_14default_configENS1_38merge_sort_block_merge_config_selectorImNS0_10empty_typeEEEZZNS1_27merge_sort_block_merge_implIS3_N6thrust23THRUST_200600_302600_NS6detail15normal_iteratorINS9_10device_ptrImEEEEPS5_m11less_div_10ImEEE10hipError_tT0_T1_T2_jT3_P12ihipStream_tbPNSt15iterator_traitsISJ_E10value_typeEPNSP_ISK_E10value_typeEPSL_NS1_7vsmem_tEENKUlT_SJ_SK_SL_E_clIPmSE_SF_SF_EESI_SY_SJ_SK_SL_EUlSY_E0_NS1_11comp_targetILNS1_3genE2ELNS1_11target_archE906ELNS1_3gpuE6ELNS1_3repE0EEENS1_38merge_mergepath_config_static_selectorELNS0_4arch9wavefront6targetE0EEEvSK_ ; -- Begin function _ZN7rocprim17ROCPRIM_400000_NS6detail17trampoline_kernelINS0_14default_configENS1_38merge_sort_block_merge_config_selectorImNS0_10empty_typeEEEZZNS1_27merge_sort_block_merge_implIS3_N6thrust23THRUST_200600_302600_NS6detail15normal_iteratorINS9_10device_ptrImEEEEPS5_m11less_div_10ImEEE10hipError_tT0_T1_T2_jT3_P12ihipStream_tbPNSt15iterator_traitsISJ_E10value_typeEPNSP_ISK_E10value_typeEPSL_NS1_7vsmem_tEENKUlT_SJ_SK_SL_E_clIPmSE_SF_SF_EESI_SY_SJ_SK_SL_EUlSY_E0_NS1_11comp_targetILNS1_3genE2ELNS1_11target_archE906ELNS1_3gpuE6ELNS1_3repE0EEENS1_38merge_mergepath_config_static_selectorELNS0_4arch9wavefront6targetE0EEEvSK_
	.globl	_ZN7rocprim17ROCPRIM_400000_NS6detail17trampoline_kernelINS0_14default_configENS1_38merge_sort_block_merge_config_selectorImNS0_10empty_typeEEEZZNS1_27merge_sort_block_merge_implIS3_N6thrust23THRUST_200600_302600_NS6detail15normal_iteratorINS9_10device_ptrImEEEEPS5_m11less_div_10ImEEE10hipError_tT0_T1_T2_jT3_P12ihipStream_tbPNSt15iterator_traitsISJ_E10value_typeEPNSP_ISK_E10value_typeEPSL_NS1_7vsmem_tEENKUlT_SJ_SK_SL_E_clIPmSE_SF_SF_EESI_SY_SJ_SK_SL_EUlSY_E0_NS1_11comp_targetILNS1_3genE2ELNS1_11target_archE906ELNS1_3gpuE6ELNS1_3repE0EEENS1_38merge_mergepath_config_static_selectorELNS0_4arch9wavefront6targetE0EEEvSK_
	.p2align	8
	.type	_ZN7rocprim17ROCPRIM_400000_NS6detail17trampoline_kernelINS0_14default_configENS1_38merge_sort_block_merge_config_selectorImNS0_10empty_typeEEEZZNS1_27merge_sort_block_merge_implIS3_N6thrust23THRUST_200600_302600_NS6detail15normal_iteratorINS9_10device_ptrImEEEEPS5_m11less_div_10ImEEE10hipError_tT0_T1_T2_jT3_P12ihipStream_tbPNSt15iterator_traitsISJ_E10value_typeEPNSP_ISK_E10value_typeEPSL_NS1_7vsmem_tEENKUlT_SJ_SK_SL_E_clIPmSE_SF_SF_EESI_SY_SJ_SK_SL_EUlSY_E0_NS1_11comp_targetILNS1_3genE2ELNS1_11target_archE906ELNS1_3gpuE6ELNS1_3repE0EEENS1_38merge_mergepath_config_static_selectorELNS0_4arch9wavefront6targetE0EEEvSK_,@function
_ZN7rocprim17ROCPRIM_400000_NS6detail17trampoline_kernelINS0_14default_configENS1_38merge_sort_block_merge_config_selectorImNS0_10empty_typeEEEZZNS1_27merge_sort_block_merge_implIS3_N6thrust23THRUST_200600_302600_NS6detail15normal_iteratorINS9_10device_ptrImEEEEPS5_m11less_div_10ImEEE10hipError_tT0_T1_T2_jT3_P12ihipStream_tbPNSt15iterator_traitsISJ_E10value_typeEPNSP_ISK_E10value_typeEPSL_NS1_7vsmem_tEENKUlT_SJ_SK_SL_E_clIPmSE_SF_SF_EESI_SY_SJ_SK_SL_EUlSY_E0_NS1_11comp_targetILNS1_3genE2ELNS1_11target_archE906ELNS1_3gpuE6ELNS1_3repE0EEENS1_38merge_mergepath_config_static_selectorELNS0_4arch9wavefront6targetE0EEEvSK_: ; @_ZN7rocprim17ROCPRIM_400000_NS6detail17trampoline_kernelINS0_14default_configENS1_38merge_sort_block_merge_config_selectorImNS0_10empty_typeEEEZZNS1_27merge_sort_block_merge_implIS3_N6thrust23THRUST_200600_302600_NS6detail15normal_iteratorINS9_10device_ptrImEEEEPS5_m11less_div_10ImEEE10hipError_tT0_T1_T2_jT3_P12ihipStream_tbPNSt15iterator_traitsISJ_E10value_typeEPNSP_ISK_E10value_typeEPSL_NS1_7vsmem_tEENKUlT_SJ_SK_SL_E_clIPmSE_SF_SF_EESI_SY_SJ_SK_SL_EUlSY_E0_NS1_11comp_targetILNS1_3genE2ELNS1_11target_archE906ELNS1_3gpuE6ELNS1_3repE0EEENS1_38merge_mergepath_config_static_selectorELNS0_4arch9wavefront6targetE0EEEvSK_
; %bb.0:
	.section	.rodata,"a",@progbits
	.p2align	6, 0x0
	.amdhsa_kernel _ZN7rocprim17ROCPRIM_400000_NS6detail17trampoline_kernelINS0_14default_configENS1_38merge_sort_block_merge_config_selectorImNS0_10empty_typeEEEZZNS1_27merge_sort_block_merge_implIS3_N6thrust23THRUST_200600_302600_NS6detail15normal_iteratorINS9_10device_ptrImEEEEPS5_m11less_div_10ImEEE10hipError_tT0_T1_T2_jT3_P12ihipStream_tbPNSt15iterator_traitsISJ_E10value_typeEPNSP_ISK_E10value_typeEPSL_NS1_7vsmem_tEENKUlT_SJ_SK_SL_E_clIPmSE_SF_SF_EESI_SY_SJ_SK_SL_EUlSY_E0_NS1_11comp_targetILNS1_3genE2ELNS1_11target_archE906ELNS1_3gpuE6ELNS1_3repE0EEENS1_38merge_mergepath_config_static_selectorELNS0_4arch9wavefront6targetE0EEEvSK_
		.amdhsa_group_segment_fixed_size 0
		.amdhsa_private_segment_fixed_size 0
		.amdhsa_kernarg_size 72
		.amdhsa_user_sgpr_count 6
		.amdhsa_user_sgpr_private_segment_buffer 1
		.amdhsa_user_sgpr_dispatch_ptr 0
		.amdhsa_user_sgpr_queue_ptr 0
		.amdhsa_user_sgpr_kernarg_segment_ptr 1
		.amdhsa_user_sgpr_dispatch_id 0
		.amdhsa_user_sgpr_flat_scratch_init 0
		.amdhsa_user_sgpr_private_segment_size 0
		.amdhsa_wavefront_size32 1
		.amdhsa_uses_dynamic_stack 0
		.amdhsa_system_sgpr_private_segment_wavefront_offset 0
		.amdhsa_system_sgpr_workgroup_id_x 1
		.amdhsa_system_sgpr_workgroup_id_y 0
		.amdhsa_system_sgpr_workgroup_id_z 0
		.amdhsa_system_sgpr_workgroup_info 0
		.amdhsa_system_vgpr_workitem_id 0
		.amdhsa_next_free_vgpr 1
		.amdhsa_next_free_sgpr 1
		.amdhsa_reserve_vcc 0
		.amdhsa_reserve_flat_scratch 0
		.amdhsa_float_round_mode_32 0
		.amdhsa_float_round_mode_16_64 0
		.amdhsa_float_denorm_mode_32 3
		.amdhsa_float_denorm_mode_16_64 3
		.amdhsa_dx10_clamp 1
		.amdhsa_ieee_mode 1
		.amdhsa_fp16_overflow 0
		.amdhsa_workgroup_processor_mode 1
		.amdhsa_memory_ordered 1
		.amdhsa_forward_progress 1
		.amdhsa_shared_vgpr_count 0
		.amdhsa_exception_fp_ieee_invalid_op 0
		.amdhsa_exception_fp_denorm_src 0
		.amdhsa_exception_fp_ieee_div_zero 0
		.amdhsa_exception_fp_ieee_overflow 0
		.amdhsa_exception_fp_ieee_underflow 0
		.amdhsa_exception_fp_ieee_inexact 0
		.amdhsa_exception_int_div_zero 0
	.end_amdhsa_kernel
	.section	.text._ZN7rocprim17ROCPRIM_400000_NS6detail17trampoline_kernelINS0_14default_configENS1_38merge_sort_block_merge_config_selectorImNS0_10empty_typeEEEZZNS1_27merge_sort_block_merge_implIS3_N6thrust23THRUST_200600_302600_NS6detail15normal_iteratorINS9_10device_ptrImEEEEPS5_m11less_div_10ImEEE10hipError_tT0_T1_T2_jT3_P12ihipStream_tbPNSt15iterator_traitsISJ_E10value_typeEPNSP_ISK_E10value_typeEPSL_NS1_7vsmem_tEENKUlT_SJ_SK_SL_E_clIPmSE_SF_SF_EESI_SY_SJ_SK_SL_EUlSY_E0_NS1_11comp_targetILNS1_3genE2ELNS1_11target_archE906ELNS1_3gpuE6ELNS1_3repE0EEENS1_38merge_mergepath_config_static_selectorELNS0_4arch9wavefront6targetE0EEEvSK_,"axG",@progbits,_ZN7rocprim17ROCPRIM_400000_NS6detail17trampoline_kernelINS0_14default_configENS1_38merge_sort_block_merge_config_selectorImNS0_10empty_typeEEEZZNS1_27merge_sort_block_merge_implIS3_N6thrust23THRUST_200600_302600_NS6detail15normal_iteratorINS9_10device_ptrImEEEEPS5_m11less_div_10ImEEE10hipError_tT0_T1_T2_jT3_P12ihipStream_tbPNSt15iterator_traitsISJ_E10value_typeEPNSP_ISK_E10value_typeEPSL_NS1_7vsmem_tEENKUlT_SJ_SK_SL_E_clIPmSE_SF_SF_EESI_SY_SJ_SK_SL_EUlSY_E0_NS1_11comp_targetILNS1_3genE2ELNS1_11target_archE906ELNS1_3gpuE6ELNS1_3repE0EEENS1_38merge_mergepath_config_static_selectorELNS0_4arch9wavefront6targetE0EEEvSK_,comdat
.Lfunc_end630:
	.size	_ZN7rocprim17ROCPRIM_400000_NS6detail17trampoline_kernelINS0_14default_configENS1_38merge_sort_block_merge_config_selectorImNS0_10empty_typeEEEZZNS1_27merge_sort_block_merge_implIS3_N6thrust23THRUST_200600_302600_NS6detail15normal_iteratorINS9_10device_ptrImEEEEPS5_m11less_div_10ImEEE10hipError_tT0_T1_T2_jT3_P12ihipStream_tbPNSt15iterator_traitsISJ_E10value_typeEPNSP_ISK_E10value_typeEPSL_NS1_7vsmem_tEENKUlT_SJ_SK_SL_E_clIPmSE_SF_SF_EESI_SY_SJ_SK_SL_EUlSY_E0_NS1_11comp_targetILNS1_3genE2ELNS1_11target_archE906ELNS1_3gpuE6ELNS1_3repE0EEENS1_38merge_mergepath_config_static_selectorELNS0_4arch9wavefront6targetE0EEEvSK_, .Lfunc_end630-_ZN7rocprim17ROCPRIM_400000_NS6detail17trampoline_kernelINS0_14default_configENS1_38merge_sort_block_merge_config_selectorImNS0_10empty_typeEEEZZNS1_27merge_sort_block_merge_implIS3_N6thrust23THRUST_200600_302600_NS6detail15normal_iteratorINS9_10device_ptrImEEEEPS5_m11less_div_10ImEEE10hipError_tT0_T1_T2_jT3_P12ihipStream_tbPNSt15iterator_traitsISJ_E10value_typeEPNSP_ISK_E10value_typeEPSL_NS1_7vsmem_tEENKUlT_SJ_SK_SL_E_clIPmSE_SF_SF_EESI_SY_SJ_SK_SL_EUlSY_E0_NS1_11comp_targetILNS1_3genE2ELNS1_11target_archE906ELNS1_3gpuE6ELNS1_3repE0EEENS1_38merge_mergepath_config_static_selectorELNS0_4arch9wavefront6targetE0EEEvSK_
                                        ; -- End function
	.set _ZN7rocprim17ROCPRIM_400000_NS6detail17trampoline_kernelINS0_14default_configENS1_38merge_sort_block_merge_config_selectorImNS0_10empty_typeEEEZZNS1_27merge_sort_block_merge_implIS3_N6thrust23THRUST_200600_302600_NS6detail15normal_iteratorINS9_10device_ptrImEEEEPS5_m11less_div_10ImEEE10hipError_tT0_T1_T2_jT3_P12ihipStream_tbPNSt15iterator_traitsISJ_E10value_typeEPNSP_ISK_E10value_typeEPSL_NS1_7vsmem_tEENKUlT_SJ_SK_SL_E_clIPmSE_SF_SF_EESI_SY_SJ_SK_SL_EUlSY_E0_NS1_11comp_targetILNS1_3genE2ELNS1_11target_archE906ELNS1_3gpuE6ELNS1_3repE0EEENS1_38merge_mergepath_config_static_selectorELNS0_4arch9wavefront6targetE0EEEvSK_.num_vgpr, 0
	.set _ZN7rocprim17ROCPRIM_400000_NS6detail17trampoline_kernelINS0_14default_configENS1_38merge_sort_block_merge_config_selectorImNS0_10empty_typeEEEZZNS1_27merge_sort_block_merge_implIS3_N6thrust23THRUST_200600_302600_NS6detail15normal_iteratorINS9_10device_ptrImEEEEPS5_m11less_div_10ImEEE10hipError_tT0_T1_T2_jT3_P12ihipStream_tbPNSt15iterator_traitsISJ_E10value_typeEPNSP_ISK_E10value_typeEPSL_NS1_7vsmem_tEENKUlT_SJ_SK_SL_E_clIPmSE_SF_SF_EESI_SY_SJ_SK_SL_EUlSY_E0_NS1_11comp_targetILNS1_3genE2ELNS1_11target_archE906ELNS1_3gpuE6ELNS1_3repE0EEENS1_38merge_mergepath_config_static_selectorELNS0_4arch9wavefront6targetE0EEEvSK_.num_agpr, 0
	.set _ZN7rocprim17ROCPRIM_400000_NS6detail17trampoline_kernelINS0_14default_configENS1_38merge_sort_block_merge_config_selectorImNS0_10empty_typeEEEZZNS1_27merge_sort_block_merge_implIS3_N6thrust23THRUST_200600_302600_NS6detail15normal_iteratorINS9_10device_ptrImEEEEPS5_m11less_div_10ImEEE10hipError_tT0_T1_T2_jT3_P12ihipStream_tbPNSt15iterator_traitsISJ_E10value_typeEPNSP_ISK_E10value_typeEPSL_NS1_7vsmem_tEENKUlT_SJ_SK_SL_E_clIPmSE_SF_SF_EESI_SY_SJ_SK_SL_EUlSY_E0_NS1_11comp_targetILNS1_3genE2ELNS1_11target_archE906ELNS1_3gpuE6ELNS1_3repE0EEENS1_38merge_mergepath_config_static_selectorELNS0_4arch9wavefront6targetE0EEEvSK_.numbered_sgpr, 0
	.set _ZN7rocprim17ROCPRIM_400000_NS6detail17trampoline_kernelINS0_14default_configENS1_38merge_sort_block_merge_config_selectorImNS0_10empty_typeEEEZZNS1_27merge_sort_block_merge_implIS3_N6thrust23THRUST_200600_302600_NS6detail15normal_iteratorINS9_10device_ptrImEEEEPS5_m11less_div_10ImEEE10hipError_tT0_T1_T2_jT3_P12ihipStream_tbPNSt15iterator_traitsISJ_E10value_typeEPNSP_ISK_E10value_typeEPSL_NS1_7vsmem_tEENKUlT_SJ_SK_SL_E_clIPmSE_SF_SF_EESI_SY_SJ_SK_SL_EUlSY_E0_NS1_11comp_targetILNS1_3genE2ELNS1_11target_archE906ELNS1_3gpuE6ELNS1_3repE0EEENS1_38merge_mergepath_config_static_selectorELNS0_4arch9wavefront6targetE0EEEvSK_.num_named_barrier, 0
	.set _ZN7rocprim17ROCPRIM_400000_NS6detail17trampoline_kernelINS0_14default_configENS1_38merge_sort_block_merge_config_selectorImNS0_10empty_typeEEEZZNS1_27merge_sort_block_merge_implIS3_N6thrust23THRUST_200600_302600_NS6detail15normal_iteratorINS9_10device_ptrImEEEEPS5_m11less_div_10ImEEE10hipError_tT0_T1_T2_jT3_P12ihipStream_tbPNSt15iterator_traitsISJ_E10value_typeEPNSP_ISK_E10value_typeEPSL_NS1_7vsmem_tEENKUlT_SJ_SK_SL_E_clIPmSE_SF_SF_EESI_SY_SJ_SK_SL_EUlSY_E0_NS1_11comp_targetILNS1_3genE2ELNS1_11target_archE906ELNS1_3gpuE6ELNS1_3repE0EEENS1_38merge_mergepath_config_static_selectorELNS0_4arch9wavefront6targetE0EEEvSK_.private_seg_size, 0
	.set _ZN7rocprim17ROCPRIM_400000_NS6detail17trampoline_kernelINS0_14default_configENS1_38merge_sort_block_merge_config_selectorImNS0_10empty_typeEEEZZNS1_27merge_sort_block_merge_implIS3_N6thrust23THRUST_200600_302600_NS6detail15normal_iteratorINS9_10device_ptrImEEEEPS5_m11less_div_10ImEEE10hipError_tT0_T1_T2_jT3_P12ihipStream_tbPNSt15iterator_traitsISJ_E10value_typeEPNSP_ISK_E10value_typeEPSL_NS1_7vsmem_tEENKUlT_SJ_SK_SL_E_clIPmSE_SF_SF_EESI_SY_SJ_SK_SL_EUlSY_E0_NS1_11comp_targetILNS1_3genE2ELNS1_11target_archE906ELNS1_3gpuE6ELNS1_3repE0EEENS1_38merge_mergepath_config_static_selectorELNS0_4arch9wavefront6targetE0EEEvSK_.uses_vcc, 0
	.set _ZN7rocprim17ROCPRIM_400000_NS6detail17trampoline_kernelINS0_14default_configENS1_38merge_sort_block_merge_config_selectorImNS0_10empty_typeEEEZZNS1_27merge_sort_block_merge_implIS3_N6thrust23THRUST_200600_302600_NS6detail15normal_iteratorINS9_10device_ptrImEEEEPS5_m11less_div_10ImEEE10hipError_tT0_T1_T2_jT3_P12ihipStream_tbPNSt15iterator_traitsISJ_E10value_typeEPNSP_ISK_E10value_typeEPSL_NS1_7vsmem_tEENKUlT_SJ_SK_SL_E_clIPmSE_SF_SF_EESI_SY_SJ_SK_SL_EUlSY_E0_NS1_11comp_targetILNS1_3genE2ELNS1_11target_archE906ELNS1_3gpuE6ELNS1_3repE0EEENS1_38merge_mergepath_config_static_selectorELNS0_4arch9wavefront6targetE0EEEvSK_.uses_flat_scratch, 0
	.set _ZN7rocprim17ROCPRIM_400000_NS6detail17trampoline_kernelINS0_14default_configENS1_38merge_sort_block_merge_config_selectorImNS0_10empty_typeEEEZZNS1_27merge_sort_block_merge_implIS3_N6thrust23THRUST_200600_302600_NS6detail15normal_iteratorINS9_10device_ptrImEEEEPS5_m11less_div_10ImEEE10hipError_tT0_T1_T2_jT3_P12ihipStream_tbPNSt15iterator_traitsISJ_E10value_typeEPNSP_ISK_E10value_typeEPSL_NS1_7vsmem_tEENKUlT_SJ_SK_SL_E_clIPmSE_SF_SF_EESI_SY_SJ_SK_SL_EUlSY_E0_NS1_11comp_targetILNS1_3genE2ELNS1_11target_archE906ELNS1_3gpuE6ELNS1_3repE0EEENS1_38merge_mergepath_config_static_selectorELNS0_4arch9wavefront6targetE0EEEvSK_.has_dyn_sized_stack, 0
	.set _ZN7rocprim17ROCPRIM_400000_NS6detail17trampoline_kernelINS0_14default_configENS1_38merge_sort_block_merge_config_selectorImNS0_10empty_typeEEEZZNS1_27merge_sort_block_merge_implIS3_N6thrust23THRUST_200600_302600_NS6detail15normal_iteratorINS9_10device_ptrImEEEEPS5_m11less_div_10ImEEE10hipError_tT0_T1_T2_jT3_P12ihipStream_tbPNSt15iterator_traitsISJ_E10value_typeEPNSP_ISK_E10value_typeEPSL_NS1_7vsmem_tEENKUlT_SJ_SK_SL_E_clIPmSE_SF_SF_EESI_SY_SJ_SK_SL_EUlSY_E0_NS1_11comp_targetILNS1_3genE2ELNS1_11target_archE906ELNS1_3gpuE6ELNS1_3repE0EEENS1_38merge_mergepath_config_static_selectorELNS0_4arch9wavefront6targetE0EEEvSK_.has_recursion, 0
	.set _ZN7rocprim17ROCPRIM_400000_NS6detail17trampoline_kernelINS0_14default_configENS1_38merge_sort_block_merge_config_selectorImNS0_10empty_typeEEEZZNS1_27merge_sort_block_merge_implIS3_N6thrust23THRUST_200600_302600_NS6detail15normal_iteratorINS9_10device_ptrImEEEEPS5_m11less_div_10ImEEE10hipError_tT0_T1_T2_jT3_P12ihipStream_tbPNSt15iterator_traitsISJ_E10value_typeEPNSP_ISK_E10value_typeEPSL_NS1_7vsmem_tEENKUlT_SJ_SK_SL_E_clIPmSE_SF_SF_EESI_SY_SJ_SK_SL_EUlSY_E0_NS1_11comp_targetILNS1_3genE2ELNS1_11target_archE906ELNS1_3gpuE6ELNS1_3repE0EEENS1_38merge_mergepath_config_static_selectorELNS0_4arch9wavefront6targetE0EEEvSK_.has_indirect_call, 0
	.section	.AMDGPU.csdata,"",@progbits
; Kernel info:
; codeLenInByte = 0
; TotalNumSgprs: 0
; NumVgprs: 0
; ScratchSize: 0
; MemoryBound: 0
; FloatMode: 240
; IeeeMode: 1
; LDSByteSize: 0 bytes/workgroup (compile time only)
; SGPRBlocks: 0
; VGPRBlocks: 0
; NumSGPRsForWavesPerEU: 1
; NumVGPRsForWavesPerEU: 1
; Occupancy: 16
; WaveLimiterHint : 0
; COMPUTE_PGM_RSRC2:SCRATCH_EN: 0
; COMPUTE_PGM_RSRC2:USER_SGPR: 6
; COMPUTE_PGM_RSRC2:TRAP_HANDLER: 0
; COMPUTE_PGM_RSRC2:TGID_X_EN: 1
; COMPUTE_PGM_RSRC2:TGID_Y_EN: 0
; COMPUTE_PGM_RSRC2:TGID_Z_EN: 0
; COMPUTE_PGM_RSRC2:TIDIG_COMP_CNT: 0
	.section	.text._ZN7rocprim17ROCPRIM_400000_NS6detail17trampoline_kernelINS0_14default_configENS1_38merge_sort_block_merge_config_selectorImNS0_10empty_typeEEEZZNS1_27merge_sort_block_merge_implIS3_N6thrust23THRUST_200600_302600_NS6detail15normal_iteratorINS9_10device_ptrImEEEEPS5_m11less_div_10ImEEE10hipError_tT0_T1_T2_jT3_P12ihipStream_tbPNSt15iterator_traitsISJ_E10value_typeEPNSP_ISK_E10value_typeEPSL_NS1_7vsmem_tEENKUlT_SJ_SK_SL_E_clIPmSE_SF_SF_EESI_SY_SJ_SK_SL_EUlSY_E0_NS1_11comp_targetILNS1_3genE9ELNS1_11target_archE1100ELNS1_3gpuE3ELNS1_3repE0EEENS1_38merge_mergepath_config_static_selectorELNS0_4arch9wavefront6targetE0EEEvSK_,"axG",@progbits,_ZN7rocprim17ROCPRIM_400000_NS6detail17trampoline_kernelINS0_14default_configENS1_38merge_sort_block_merge_config_selectorImNS0_10empty_typeEEEZZNS1_27merge_sort_block_merge_implIS3_N6thrust23THRUST_200600_302600_NS6detail15normal_iteratorINS9_10device_ptrImEEEEPS5_m11less_div_10ImEEE10hipError_tT0_T1_T2_jT3_P12ihipStream_tbPNSt15iterator_traitsISJ_E10value_typeEPNSP_ISK_E10value_typeEPSL_NS1_7vsmem_tEENKUlT_SJ_SK_SL_E_clIPmSE_SF_SF_EESI_SY_SJ_SK_SL_EUlSY_E0_NS1_11comp_targetILNS1_3genE9ELNS1_11target_archE1100ELNS1_3gpuE3ELNS1_3repE0EEENS1_38merge_mergepath_config_static_selectorELNS0_4arch9wavefront6targetE0EEEvSK_,comdat
	.protected	_ZN7rocprim17ROCPRIM_400000_NS6detail17trampoline_kernelINS0_14default_configENS1_38merge_sort_block_merge_config_selectorImNS0_10empty_typeEEEZZNS1_27merge_sort_block_merge_implIS3_N6thrust23THRUST_200600_302600_NS6detail15normal_iteratorINS9_10device_ptrImEEEEPS5_m11less_div_10ImEEE10hipError_tT0_T1_T2_jT3_P12ihipStream_tbPNSt15iterator_traitsISJ_E10value_typeEPNSP_ISK_E10value_typeEPSL_NS1_7vsmem_tEENKUlT_SJ_SK_SL_E_clIPmSE_SF_SF_EESI_SY_SJ_SK_SL_EUlSY_E0_NS1_11comp_targetILNS1_3genE9ELNS1_11target_archE1100ELNS1_3gpuE3ELNS1_3repE0EEENS1_38merge_mergepath_config_static_selectorELNS0_4arch9wavefront6targetE0EEEvSK_ ; -- Begin function _ZN7rocprim17ROCPRIM_400000_NS6detail17trampoline_kernelINS0_14default_configENS1_38merge_sort_block_merge_config_selectorImNS0_10empty_typeEEEZZNS1_27merge_sort_block_merge_implIS3_N6thrust23THRUST_200600_302600_NS6detail15normal_iteratorINS9_10device_ptrImEEEEPS5_m11less_div_10ImEEE10hipError_tT0_T1_T2_jT3_P12ihipStream_tbPNSt15iterator_traitsISJ_E10value_typeEPNSP_ISK_E10value_typeEPSL_NS1_7vsmem_tEENKUlT_SJ_SK_SL_E_clIPmSE_SF_SF_EESI_SY_SJ_SK_SL_EUlSY_E0_NS1_11comp_targetILNS1_3genE9ELNS1_11target_archE1100ELNS1_3gpuE3ELNS1_3repE0EEENS1_38merge_mergepath_config_static_selectorELNS0_4arch9wavefront6targetE0EEEvSK_
	.globl	_ZN7rocprim17ROCPRIM_400000_NS6detail17trampoline_kernelINS0_14default_configENS1_38merge_sort_block_merge_config_selectorImNS0_10empty_typeEEEZZNS1_27merge_sort_block_merge_implIS3_N6thrust23THRUST_200600_302600_NS6detail15normal_iteratorINS9_10device_ptrImEEEEPS5_m11less_div_10ImEEE10hipError_tT0_T1_T2_jT3_P12ihipStream_tbPNSt15iterator_traitsISJ_E10value_typeEPNSP_ISK_E10value_typeEPSL_NS1_7vsmem_tEENKUlT_SJ_SK_SL_E_clIPmSE_SF_SF_EESI_SY_SJ_SK_SL_EUlSY_E0_NS1_11comp_targetILNS1_3genE9ELNS1_11target_archE1100ELNS1_3gpuE3ELNS1_3repE0EEENS1_38merge_mergepath_config_static_selectorELNS0_4arch9wavefront6targetE0EEEvSK_
	.p2align	8
	.type	_ZN7rocprim17ROCPRIM_400000_NS6detail17trampoline_kernelINS0_14default_configENS1_38merge_sort_block_merge_config_selectorImNS0_10empty_typeEEEZZNS1_27merge_sort_block_merge_implIS3_N6thrust23THRUST_200600_302600_NS6detail15normal_iteratorINS9_10device_ptrImEEEEPS5_m11less_div_10ImEEE10hipError_tT0_T1_T2_jT3_P12ihipStream_tbPNSt15iterator_traitsISJ_E10value_typeEPNSP_ISK_E10value_typeEPSL_NS1_7vsmem_tEENKUlT_SJ_SK_SL_E_clIPmSE_SF_SF_EESI_SY_SJ_SK_SL_EUlSY_E0_NS1_11comp_targetILNS1_3genE9ELNS1_11target_archE1100ELNS1_3gpuE3ELNS1_3repE0EEENS1_38merge_mergepath_config_static_selectorELNS0_4arch9wavefront6targetE0EEEvSK_,@function
_ZN7rocprim17ROCPRIM_400000_NS6detail17trampoline_kernelINS0_14default_configENS1_38merge_sort_block_merge_config_selectorImNS0_10empty_typeEEEZZNS1_27merge_sort_block_merge_implIS3_N6thrust23THRUST_200600_302600_NS6detail15normal_iteratorINS9_10device_ptrImEEEEPS5_m11less_div_10ImEEE10hipError_tT0_T1_T2_jT3_P12ihipStream_tbPNSt15iterator_traitsISJ_E10value_typeEPNSP_ISK_E10value_typeEPSL_NS1_7vsmem_tEENKUlT_SJ_SK_SL_E_clIPmSE_SF_SF_EESI_SY_SJ_SK_SL_EUlSY_E0_NS1_11comp_targetILNS1_3genE9ELNS1_11target_archE1100ELNS1_3gpuE3ELNS1_3repE0EEENS1_38merge_mergepath_config_static_selectorELNS0_4arch9wavefront6targetE0EEEvSK_: ; @_ZN7rocprim17ROCPRIM_400000_NS6detail17trampoline_kernelINS0_14default_configENS1_38merge_sort_block_merge_config_selectorImNS0_10empty_typeEEEZZNS1_27merge_sort_block_merge_implIS3_N6thrust23THRUST_200600_302600_NS6detail15normal_iteratorINS9_10device_ptrImEEEEPS5_m11less_div_10ImEEE10hipError_tT0_T1_T2_jT3_P12ihipStream_tbPNSt15iterator_traitsISJ_E10value_typeEPNSP_ISK_E10value_typeEPSL_NS1_7vsmem_tEENKUlT_SJ_SK_SL_E_clIPmSE_SF_SF_EESI_SY_SJ_SK_SL_EUlSY_E0_NS1_11comp_targetILNS1_3genE9ELNS1_11target_archE1100ELNS1_3gpuE3ELNS1_3repE0EEENS1_38merge_mergepath_config_static_selectorELNS0_4arch9wavefront6targetE0EEEvSK_
; %bb.0:
	.section	.rodata,"a",@progbits
	.p2align	6, 0x0
	.amdhsa_kernel _ZN7rocprim17ROCPRIM_400000_NS6detail17trampoline_kernelINS0_14default_configENS1_38merge_sort_block_merge_config_selectorImNS0_10empty_typeEEEZZNS1_27merge_sort_block_merge_implIS3_N6thrust23THRUST_200600_302600_NS6detail15normal_iteratorINS9_10device_ptrImEEEEPS5_m11less_div_10ImEEE10hipError_tT0_T1_T2_jT3_P12ihipStream_tbPNSt15iterator_traitsISJ_E10value_typeEPNSP_ISK_E10value_typeEPSL_NS1_7vsmem_tEENKUlT_SJ_SK_SL_E_clIPmSE_SF_SF_EESI_SY_SJ_SK_SL_EUlSY_E0_NS1_11comp_targetILNS1_3genE9ELNS1_11target_archE1100ELNS1_3gpuE3ELNS1_3repE0EEENS1_38merge_mergepath_config_static_selectorELNS0_4arch9wavefront6targetE0EEEvSK_
		.amdhsa_group_segment_fixed_size 0
		.amdhsa_private_segment_fixed_size 0
		.amdhsa_kernarg_size 72
		.amdhsa_user_sgpr_count 6
		.amdhsa_user_sgpr_private_segment_buffer 1
		.amdhsa_user_sgpr_dispatch_ptr 0
		.amdhsa_user_sgpr_queue_ptr 0
		.amdhsa_user_sgpr_kernarg_segment_ptr 1
		.amdhsa_user_sgpr_dispatch_id 0
		.amdhsa_user_sgpr_flat_scratch_init 0
		.amdhsa_user_sgpr_private_segment_size 0
		.amdhsa_wavefront_size32 1
		.amdhsa_uses_dynamic_stack 0
		.amdhsa_system_sgpr_private_segment_wavefront_offset 0
		.amdhsa_system_sgpr_workgroup_id_x 1
		.amdhsa_system_sgpr_workgroup_id_y 0
		.amdhsa_system_sgpr_workgroup_id_z 0
		.amdhsa_system_sgpr_workgroup_info 0
		.amdhsa_system_vgpr_workitem_id 0
		.amdhsa_next_free_vgpr 1
		.amdhsa_next_free_sgpr 1
		.amdhsa_reserve_vcc 0
		.amdhsa_reserve_flat_scratch 0
		.amdhsa_float_round_mode_32 0
		.amdhsa_float_round_mode_16_64 0
		.amdhsa_float_denorm_mode_32 3
		.amdhsa_float_denorm_mode_16_64 3
		.amdhsa_dx10_clamp 1
		.amdhsa_ieee_mode 1
		.amdhsa_fp16_overflow 0
		.amdhsa_workgroup_processor_mode 1
		.amdhsa_memory_ordered 1
		.amdhsa_forward_progress 1
		.amdhsa_shared_vgpr_count 0
		.amdhsa_exception_fp_ieee_invalid_op 0
		.amdhsa_exception_fp_denorm_src 0
		.amdhsa_exception_fp_ieee_div_zero 0
		.amdhsa_exception_fp_ieee_overflow 0
		.amdhsa_exception_fp_ieee_underflow 0
		.amdhsa_exception_fp_ieee_inexact 0
		.amdhsa_exception_int_div_zero 0
	.end_amdhsa_kernel
	.section	.text._ZN7rocprim17ROCPRIM_400000_NS6detail17trampoline_kernelINS0_14default_configENS1_38merge_sort_block_merge_config_selectorImNS0_10empty_typeEEEZZNS1_27merge_sort_block_merge_implIS3_N6thrust23THRUST_200600_302600_NS6detail15normal_iteratorINS9_10device_ptrImEEEEPS5_m11less_div_10ImEEE10hipError_tT0_T1_T2_jT3_P12ihipStream_tbPNSt15iterator_traitsISJ_E10value_typeEPNSP_ISK_E10value_typeEPSL_NS1_7vsmem_tEENKUlT_SJ_SK_SL_E_clIPmSE_SF_SF_EESI_SY_SJ_SK_SL_EUlSY_E0_NS1_11comp_targetILNS1_3genE9ELNS1_11target_archE1100ELNS1_3gpuE3ELNS1_3repE0EEENS1_38merge_mergepath_config_static_selectorELNS0_4arch9wavefront6targetE0EEEvSK_,"axG",@progbits,_ZN7rocprim17ROCPRIM_400000_NS6detail17trampoline_kernelINS0_14default_configENS1_38merge_sort_block_merge_config_selectorImNS0_10empty_typeEEEZZNS1_27merge_sort_block_merge_implIS3_N6thrust23THRUST_200600_302600_NS6detail15normal_iteratorINS9_10device_ptrImEEEEPS5_m11less_div_10ImEEE10hipError_tT0_T1_T2_jT3_P12ihipStream_tbPNSt15iterator_traitsISJ_E10value_typeEPNSP_ISK_E10value_typeEPSL_NS1_7vsmem_tEENKUlT_SJ_SK_SL_E_clIPmSE_SF_SF_EESI_SY_SJ_SK_SL_EUlSY_E0_NS1_11comp_targetILNS1_3genE9ELNS1_11target_archE1100ELNS1_3gpuE3ELNS1_3repE0EEENS1_38merge_mergepath_config_static_selectorELNS0_4arch9wavefront6targetE0EEEvSK_,comdat
.Lfunc_end631:
	.size	_ZN7rocprim17ROCPRIM_400000_NS6detail17trampoline_kernelINS0_14default_configENS1_38merge_sort_block_merge_config_selectorImNS0_10empty_typeEEEZZNS1_27merge_sort_block_merge_implIS3_N6thrust23THRUST_200600_302600_NS6detail15normal_iteratorINS9_10device_ptrImEEEEPS5_m11less_div_10ImEEE10hipError_tT0_T1_T2_jT3_P12ihipStream_tbPNSt15iterator_traitsISJ_E10value_typeEPNSP_ISK_E10value_typeEPSL_NS1_7vsmem_tEENKUlT_SJ_SK_SL_E_clIPmSE_SF_SF_EESI_SY_SJ_SK_SL_EUlSY_E0_NS1_11comp_targetILNS1_3genE9ELNS1_11target_archE1100ELNS1_3gpuE3ELNS1_3repE0EEENS1_38merge_mergepath_config_static_selectorELNS0_4arch9wavefront6targetE0EEEvSK_, .Lfunc_end631-_ZN7rocprim17ROCPRIM_400000_NS6detail17trampoline_kernelINS0_14default_configENS1_38merge_sort_block_merge_config_selectorImNS0_10empty_typeEEEZZNS1_27merge_sort_block_merge_implIS3_N6thrust23THRUST_200600_302600_NS6detail15normal_iteratorINS9_10device_ptrImEEEEPS5_m11less_div_10ImEEE10hipError_tT0_T1_T2_jT3_P12ihipStream_tbPNSt15iterator_traitsISJ_E10value_typeEPNSP_ISK_E10value_typeEPSL_NS1_7vsmem_tEENKUlT_SJ_SK_SL_E_clIPmSE_SF_SF_EESI_SY_SJ_SK_SL_EUlSY_E0_NS1_11comp_targetILNS1_3genE9ELNS1_11target_archE1100ELNS1_3gpuE3ELNS1_3repE0EEENS1_38merge_mergepath_config_static_selectorELNS0_4arch9wavefront6targetE0EEEvSK_
                                        ; -- End function
	.set _ZN7rocprim17ROCPRIM_400000_NS6detail17trampoline_kernelINS0_14default_configENS1_38merge_sort_block_merge_config_selectorImNS0_10empty_typeEEEZZNS1_27merge_sort_block_merge_implIS3_N6thrust23THRUST_200600_302600_NS6detail15normal_iteratorINS9_10device_ptrImEEEEPS5_m11less_div_10ImEEE10hipError_tT0_T1_T2_jT3_P12ihipStream_tbPNSt15iterator_traitsISJ_E10value_typeEPNSP_ISK_E10value_typeEPSL_NS1_7vsmem_tEENKUlT_SJ_SK_SL_E_clIPmSE_SF_SF_EESI_SY_SJ_SK_SL_EUlSY_E0_NS1_11comp_targetILNS1_3genE9ELNS1_11target_archE1100ELNS1_3gpuE3ELNS1_3repE0EEENS1_38merge_mergepath_config_static_selectorELNS0_4arch9wavefront6targetE0EEEvSK_.num_vgpr, 0
	.set _ZN7rocprim17ROCPRIM_400000_NS6detail17trampoline_kernelINS0_14default_configENS1_38merge_sort_block_merge_config_selectorImNS0_10empty_typeEEEZZNS1_27merge_sort_block_merge_implIS3_N6thrust23THRUST_200600_302600_NS6detail15normal_iteratorINS9_10device_ptrImEEEEPS5_m11less_div_10ImEEE10hipError_tT0_T1_T2_jT3_P12ihipStream_tbPNSt15iterator_traitsISJ_E10value_typeEPNSP_ISK_E10value_typeEPSL_NS1_7vsmem_tEENKUlT_SJ_SK_SL_E_clIPmSE_SF_SF_EESI_SY_SJ_SK_SL_EUlSY_E0_NS1_11comp_targetILNS1_3genE9ELNS1_11target_archE1100ELNS1_3gpuE3ELNS1_3repE0EEENS1_38merge_mergepath_config_static_selectorELNS0_4arch9wavefront6targetE0EEEvSK_.num_agpr, 0
	.set _ZN7rocprim17ROCPRIM_400000_NS6detail17trampoline_kernelINS0_14default_configENS1_38merge_sort_block_merge_config_selectorImNS0_10empty_typeEEEZZNS1_27merge_sort_block_merge_implIS3_N6thrust23THRUST_200600_302600_NS6detail15normal_iteratorINS9_10device_ptrImEEEEPS5_m11less_div_10ImEEE10hipError_tT0_T1_T2_jT3_P12ihipStream_tbPNSt15iterator_traitsISJ_E10value_typeEPNSP_ISK_E10value_typeEPSL_NS1_7vsmem_tEENKUlT_SJ_SK_SL_E_clIPmSE_SF_SF_EESI_SY_SJ_SK_SL_EUlSY_E0_NS1_11comp_targetILNS1_3genE9ELNS1_11target_archE1100ELNS1_3gpuE3ELNS1_3repE0EEENS1_38merge_mergepath_config_static_selectorELNS0_4arch9wavefront6targetE0EEEvSK_.numbered_sgpr, 0
	.set _ZN7rocprim17ROCPRIM_400000_NS6detail17trampoline_kernelINS0_14default_configENS1_38merge_sort_block_merge_config_selectorImNS0_10empty_typeEEEZZNS1_27merge_sort_block_merge_implIS3_N6thrust23THRUST_200600_302600_NS6detail15normal_iteratorINS9_10device_ptrImEEEEPS5_m11less_div_10ImEEE10hipError_tT0_T1_T2_jT3_P12ihipStream_tbPNSt15iterator_traitsISJ_E10value_typeEPNSP_ISK_E10value_typeEPSL_NS1_7vsmem_tEENKUlT_SJ_SK_SL_E_clIPmSE_SF_SF_EESI_SY_SJ_SK_SL_EUlSY_E0_NS1_11comp_targetILNS1_3genE9ELNS1_11target_archE1100ELNS1_3gpuE3ELNS1_3repE0EEENS1_38merge_mergepath_config_static_selectorELNS0_4arch9wavefront6targetE0EEEvSK_.num_named_barrier, 0
	.set _ZN7rocprim17ROCPRIM_400000_NS6detail17trampoline_kernelINS0_14default_configENS1_38merge_sort_block_merge_config_selectorImNS0_10empty_typeEEEZZNS1_27merge_sort_block_merge_implIS3_N6thrust23THRUST_200600_302600_NS6detail15normal_iteratorINS9_10device_ptrImEEEEPS5_m11less_div_10ImEEE10hipError_tT0_T1_T2_jT3_P12ihipStream_tbPNSt15iterator_traitsISJ_E10value_typeEPNSP_ISK_E10value_typeEPSL_NS1_7vsmem_tEENKUlT_SJ_SK_SL_E_clIPmSE_SF_SF_EESI_SY_SJ_SK_SL_EUlSY_E0_NS1_11comp_targetILNS1_3genE9ELNS1_11target_archE1100ELNS1_3gpuE3ELNS1_3repE0EEENS1_38merge_mergepath_config_static_selectorELNS0_4arch9wavefront6targetE0EEEvSK_.private_seg_size, 0
	.set _ZN7rocprim17ROCPRIM_400000_NS6detail17trampoline_kernelINS0_14default_configENS1_38merge_sort_block_merge_config_selectorImNS0_10empty_typeEEEZZNS1_27merge_sort_block_merge_implIS3_N6thrust23THRUST_200600_302600_NS6detail15normal_iteratorINS9_10device_ptrImEEEEPS5_m11less_div_10ImEEE10hipError_tT0_T1_T2_jT3_P12ihipStream_tbPNSt15iterator_traitsISJ_E10value_typeEPNSP_ISK_E10value_typeEPSL_NS1_7vsmem_tEENKUlT_SJ_SK_SL_E_clIPmSE_SF_SF_EESI_SY_SJ_SK_SL_EUlSY_E0_NS1_11comp_targetILNS1_3genE9ELNS1_11target_archE1100ELNS1_3gpuE3ELNS1_3repE0EEENS1_38merge_mergepath_config_static_selectorELNS0_4arch9wavefront6targetE0EEEvSK_.uses_vcc, 0
	.set _ZN7rocprim17ROCPRIM_400000_NS6detail17trampoline_kernelINS0_14default_configENS1_38merge_sort_block_merge_config_selectorImNS0_10empty_typeEEEZZNS1_27merge_sort_block_merge_implIS3_N6thrust23THRUST_200600_302600_NS6detail15normal_iteratorINS9_10device_ptrImEEEEPS5_m11less_div_10ImEEE10hipError_tT0_T1_T2_jT3_P12ihipStream_tbPNSt15iterator_traitsISJ_E10value_typeEPNSP_ISK_E10value_typeEPSL_NS1_7vsmem_tEENKUlT_SJ_SK_SL_E_clIPmSE_SF_SF_EESI_SY_SJ_SK_SL_EUlSY_E0_NS1_11comp_targetILNS1_3genE9ELNS1_11target_archE1100ELNS1_3gpuE3ELNS1_3repE0EEENS1_38merge_mergepath_config_static_selectorELNS0_4arch9wavefront6targetE0EEEvSK_.uses_flat_scratch, 0
	.set _ZN7rocprim17ROCPRIM_400000_NS6detail17trampoline_kernelINS0_14default_configENS1_38merge_sort_block_merge_config_selectorImNS0_10empty_typeEEEZZNS1_27merge_sort_block_merge_implIS3_N6thrust23THRUST_200600_302600_NS6detail15normal_iteratorINS9_10device_ptrImEEEEPS5_m11less_div_10ImEEE10hipError_tT0_T1_T2_jT3_P12ihipStream_tbPNSt15iterator_traitsISJ_E10value_typeEPNSP_ISK_E10value_typeEPSL_NS1_7vsmem_tEENKUlT_SJ_SK_SL_E_clIPmSE_SF_SF_EESI_SY_SJ_SK_SL_EUlSY_E0_NS1_11comp_targetILNS1_3genE9ELNS1_11target_archE1100ELNS1_3gpuE3ELNS1_3repE0EEENS1_38merge_mergepath_config_static_selectorELNS0_4arch9wavefront6targetE0EEEvSK_.has_dyn_sized_stack, 0
	.set _ZN7rocprim17ROCPRIM_400000_NS6detail17trampoline_kernelINS0_14default_configENS1_38merge_sort_block_merge_config_selectorImNS0_10empty_typeEEEZZNS1_27merge_sort_block_merge_implIS3_N6thrust23THRUST_200600_302600_NS6detail15normal_iteratorINS9_10device_ptrImEEEEPS5_m11less_div_10ImEEE10hipError_tT0_T1_T2_jT3_P12ihipStream_tbPNSt15iterator_traitsISJ_E10value_typeEPNSP_ISK_E10value_typeEPSL_NS1_7vsmem_tEENKUlT_SJ_SK_SL_E_clIPmSE_SF_SF_EESI_SY_SJ_SK_SL_EUlSY_E0_NS1_11comp_targetILNS1_3genE9ELNS1_11target_archE1100ELNS1_3gpuE3ELNS1_3repE0EEENS1_38merge_mergepath_config_static_selectorELNS0_4arch9wavefront6targetE0EEEvSK_.has_recursion, 0
	.set _ZN7rocprim17ROCPRIM_400000_NS6detail17trampoline_kernelINS0_14default_configENS1_38merge_sort_block_merge_config_selectorImNS0_10empty_typeEEEZZNS1_27merge_sort_block_merge_implIS3_N6thrust23THRUST_200600_302600_NS6detail15normal_iteratorINS9_10device_ptrImEEEEPS5_m11less_div_10ImEEE10hipError_tT0_T1_T2_jT3_P12ihipStream_tbPNSt15iterator_traitsISJ_E10value_typeEPNSP_ISK_E10value_typeEPSL_NS1_7vsmem_tEENKUlT_SJ_SK_SL_E_clIPmSE_SF_SF_EESI_SY_SJ_SK_SL_EUlSY_E0_NS1_11comp_targetILNS1_3genE9ELNS1_11target_archE1100ELNS1_3gpuE3ELNS1_3repE0EEENS1_38merge_mergepath_config_static_selectorELNS0_4arch9wavefront6targetE0EEEvSK_.has_indirect_call, 0
	.section	.AMDGPU.csdata,"",@progbits
; Kernel info:
; codeLenInByte = 0
; TotalNumSgprs: 0
; NumVgprs: 0
; ScratchSize: 0
; MemoryBound: 0
; FloatMode: 240
; IeeeMode: 1
; LDSByteSize: 0 bytes/workgroup (compile time only)
; SGPRBlocks: 0
; VGPRBlocks: 0
; NumSGPRsForWavesPerEU: 1
; NumVGPRsForWavesPerEU: 1
; Occupancy: 16
; WaveLimiterHint : 0
; COMPUTE_PGM_RSRC2:SCRATCH_EN: 0
; COMPUTE_PGM_RSRC2:USER_SGPR: 6
; COMPUTE_PGM_RSRC2:TRAP_HANDLER: 0
; COMPUTE_PGM_RSRC2:TGID_X_EN: 1
; COMPUTE_PGM_RSRC2:TGID_Y_EN: 0
; COMPUTE_PGM_RSRC2:TGID_Z_EN: 0
; COMPUTE_PGM_RSRC2:TIDIG_COMP_CNT: 0
	.section	.text._ZN7rocprim17ROCPRIM_400000_NS6detail17trampoline_kernelINS0_14default_configENS1_38merge_sort_block_merge_config_selectorImNS0_10empty_typeEEEZZNS1_27merge_sort_block_merge_implIS3_N6thrust23THRUST_200600_302600_NS6detail15normal_iteratorINS9_10device_ptrImEEEEPS5_m11less_div_10ImEEE10hipError_tT0_T1_T2_jT3_P12ihipStream_tbPNSt15iterator_traitsISJ_E10value_typeEPNSP_ISK_E10value_typeEPSL_NS1_7vsmem_tEENKUlT_SJ_SK_SL_E_clIPmSE_SF_SF_EESI_SY_SJ_SK_SL_EUlSY_E0_NS1_11comp_targetILNS1_3genE8ELNS1_11target_archE1030ELNS1_3gpuE2ELNS1_3repE0EEENS1_38merge_mergepath_config_static_selectorELNS0_4arch9wavefront6targetE0EEEvSK_,"axG",@progbits,_ZN7rocprim17ROCPRIM_400000_NS6detail17trampoline_kernelINS0_14default_configENS1_38merge_sort_block_merge_config_selectorImNS0_10empty_typeEEEZZNS1_27merge_sort_block_merge_implIS3_N6thrust23THRUST_200600_302600_NS6detail15normal_iteratorINS9_10device_ptrImEEEEPS5_m11less_div_10ImEEE10hipError_tT0_T1_T2_jT3_P12ihipStream_tbPNSt15iterator_traitsISJ_E10value_typeEPNSP_ISK_E10value_typeEPSL_NS1_7vsmem_tEENKUlT_SJ_SK_SL_E_clIPmSE_SF_SF_EESI_SY_SJ_SK_SL_EUlSY_E0_NS1_11comp_targetILNS1_3genE8ELNS1_11target_archE1030ELNS1_3gpuE2ELNS1_3repE0EEENS1_38merge_mergepath_config_static_selectorELNS0_4arch9wavefront6targetE0EEEvSK_,comdat
	.protected	_ZN7rocprim17ROCPRIM_400000_NS6detail17trampoline_kernelINS0_14default_configENS1_38merge_sort_block_merge_config_selectorImNS0_10empty_typeEEEZZNS1_27merge_sort_block_merge_implIS3_N6thrust23THRUST_200600_302600_NS6detail15normal_iteratorINS9_10device_ptrImEEEEPS5_m11less_div_10ImEEE10hipError_tT0_T1_T2_jT3_P12ihipStream_tbPNSt15iterator_traitsISJ_E10value_typeEPNSP_ISK_E10value_typeEPSL_NS1_7vsmem_tEENKUlT_SJ_SK_SL_E_clIPmSE_SF_SF_EESI_SY_SJ_SK_SL_EUlSY_E0_NS1_11comp_targetILNS1_3genE8ELNS1_11target_archE1030ELNS1_3gpuE2ELNS1_3repE0EEENS1_38merge_mergepath_config_static_selectorELNS0_4arch9wavefront6targetE0EEEvSK_ ; -- Begin function _ZN7rocprim17ROCPRIM_400000_NS6detail17trampoline_kernelINS0_14default_configENS1_38merge_sort_block_merge_config_selectorImNS0_10empty_typeEEEZZNS1_27merge_sort_block_merge_implIS3_N6thrust23THRUST_200600_302600_NS6detail15normal_iteratorINS9_10device_ptrImEEEEPS5_m11less_div_10ImEEE10hipError_tT0_T1_T2_jT3_P12ihipStream_tbPNSt15iterator_traitsISJ_E10value_typeEPNSP_ISK_E10value_typeEPSL_NS1_7vsmem_tEENKUlT_SJ_SK_SL_E_clIPmSE_SF_SF_EESI_SY_SJ_SK_SL_EUlSY_E0_NS1_11comp_targetILNS1_3genE8ELNS1_11target_archE1030ELNS1_3gpuE2ELNS1_3repE0EEENS1_38merge_mergepath_config_static_selectorELNS0_4arch9wavefront6targetE0EEEvSK_
	.globl	_ZN7rocprim17ROCPRIM_400000_NS6detail17trampoline_kernelINS0_14default_configENS1_38merge_sort_block_merge_config_selectorImNS0_10empty_typeEEEZZNS1_27merge_sort_block_merge_implIS3_N6thrust23THRUST_200600_302600_NS6detail15normal_iteratorINS9_10device_ptrImEEEEPS5_m11less_div_10ImEEE10hipError_tT0_T1_T2_jT3_P12ihipStream_tbPNSt15iterator_traitsISJ_E10value_typeEPNSP_ISK_E10value_typeEPSL_NS1_7vsmem_tEENKUlT_SJ_SK_SL_E_clIPmSE_SF_SF_EESI_SY_SJ_SK_SL_EUlSY_E0_NS1_11comp_targetILNS1_3genE8ELNS1_11target_archE1030ELNS1_3gpuE2ELNS1_3repE0EEENS1_38merge_mergepath_config_static_selectorELNS0_4arch9wavefront6targetE0EEEvSK_
	.p2align	8
	.type	_ZN7rocprim17ROCPRIM_400000_NS6detail17trampoline_kernelINS0_14default_configENS1_38merge_sort_block_merge_config_selectorImNS0_10empty_typeEEEZZNS1_27merge_sort_block_merge_implIS3_N6thrust23THRUST_200600_302600_NS6detail15normal_iteratorINS9_10device_ptrImEEEEPS5_m11less_div_10ImEEE10hipError_tT0_T1_T2_jT3_P12ihipStream_tbPNSt15iterator_traitsISJ_E10value_typeEPNSP_ISK_E10value_typeEPSL_NS1_7vsmem_tEENKUlT_SJ_SK_SL_E_clIPmSE_SF_SF_EESI_SY_SJ_SK_SL_EUlSY_E0_NS1_11comp_targetILNS1_3genE8ELNS1_11target_archE1030ELNS1_3gpuE2ELNS1_3repE0EEENS1_38merge_mergepath_config_static_selectorELNS0_4arch9wavefront6targetE0EEEvSK_,@function
_ZN7rocprim17ROCPRIM_400000_NS6detail17trampoline_kernelINS0_14default_configENS1_38merge_sort_block_merge_config_selectorImNS0_10empty_typeEEEZZNS1_27merge_sort_block_merge_implIS3_N6thrust23THRUST_200600_302600_NS6detail15normal_iteratorINS9_10device_ptrImEEEEPS5_m11less_div_10ImEEE10hipError_tT0_T1_T2_jT3_P12ihipStream_tbPNSt15iterator_traitsISJ_E10value_typeEPNSP_ISK_E10value_typeEPSL_NS1_7vsmem_tEENKUlT_SJ_SK_SL_E_clIPmSE_SF_SF_EESI_SY_SJ_SK_SL_EUlSY_E0_NS1_11comp_targetILNS1_3genE8ELNS1_11target_archE1030ELNS1_3gpuE2ELNS1_3repE0EEENS1_38merge_mergepath_config_static_selectorELNS0_4arch9wavefront6targetE0EEEvSK_: ; @_ZN7rocprim17ROCPRIM_400000_NS6detail17trampoline_kernelINS0_14default_configENS1_38merge_sort_block_merge_config_selectorImNS0_10empty_typeEEEZZNS1_27merge_sort_block_merge_implIS3_N6thrust23THRUST_200600_302600_NS6detail15normal_iteratorINS9_10device_ptrImEEEEPS5_m11less_div_10ImEEE10hipError_tT0_T1_T2_jT3_P12ihipStream_tbPNSt15iterator_traitsISJ_E10value_typeEPNSP_ISK_E10value_typeEPSL_NS1_7vsmem_tEENKUlT_SJ_SK_SL_E_clIPmSE_SF_SF_EESI_SY_SJ_SK_SL_EUlSY_E0_NS1_11comp_targetILNS1_3genE8ELNS1_11target_archE1030ELNS1_3gpuE2ELNS1_3repE0EEENS1_38merge_mergepath_config_static_selectorELNS0_4arch9wavefront6targetE0EEEvSK_
; %bb.0:
	s_clause 0x1
	s_load_dwordx2 s[0:1], s[4:5], 0x48
	s_load_dword s2, s[4:5], 0x38
	s_waitcnt lgkmcnt(0)
	s_mul_i32 s1, s1, s8
	s_add_i32 s1, s1, s7
	s_mul_i32 s0, s1, s0
	s_add_i32 s0, s0, s6
	s_cmp_ge_u32 s0, s2
	s_cbranch_scc1 .LBB632_24
; %bb.1:
	s_clause 0x1
	s_load_dwordx2 s[2:3], s[4:5], 0x40
	s_load_dwordx4 s[8:11], s[4:5], 0x28
	s_mov_b32 s1, 0
	s_lshl_b64 s[6:7], s[0:1], 3
	s_mov_b32 s17, s1
	s_waitcnt lgkmcnt(0)
	s_add_u32 s2, s2, s6
	s_addc_u32 s3, s3, s7
	s_lshl_b64 s[6:7], s[0:1], 10
	s_load_dwordx4 s[12:15], s[2:3], 0x0
	s_lshr_b64 s[2:3], s[10:11], 9
	s_and_b32 s2, s2, -2
	s_sub_i32 s22, 0, s2
	s_and_b32 s16, s0, s22
	s_lshl_b64 s[2:3], s[16:17], 10
	s_sub_u32 s20, s6, s2
	s_subb_u32 s21, s7, s3
	s_lshl_b64 s[16:17], s[16:17], 11
	s_add_u32 s18, s16, s10
	s_addc_u32 s19, s17, s11
	s_add_u32 s16, s18, s20
	s_addc_u32 s17, s19, s21
	s_waitcnt lgkmcnt(0)
	s_sub_u32 s20, s16, s14
	s_subb_u32 s15, s17, s15
	s_add_u32 s20, s20, 0x400
	s_addc_u32 s21, s15, 0
	v_cmp_lt_u64_e64 s15, s[8:9], s[20:21]
	s_and_b32 s15, s15, exec_lo
	s_cselect_b32 s15, s8, s20
	s_or_b32 s20, s0, s22
	s_cmp_lg_u32 s20, -1
	s_cbranch_scc1 .LBB632_3
; %bb.2:
	s_sub_u32 s2, s18, s2
	s_subb_u32 s3, s19, s3
	v_cmp_lt_u64_e64 s14, s[8:9], s[2:3]
	s_and_b32 s14, s14, exec_lo
	s_cselect_b32 s14, s8, s2
	s_add_u32 s2, s2, s10
	s_addc_u32 s3, s3, s11
	v_cmp_lt_u64_e64 s3, s[8:9], s[2:3]
	s_and_b32 s3, s3, exec_lo
	s_cselect_b32 s15, s8, s2
.LBB632_3:
	s_lshr_b64 s[2:3], s[8:9], 10
	v_mov_b32_e32 v3, 0
	s_cmp_lg_u64 s[2:3], s[0:1]
	s_load_dwordx4 s[0:3], s[4:5], 0x8
	s_cselect_b32 s10, -1, 0
	s_sub_u32 s16, s16, s12
	s_subb_u32 s17, s17, s13
                                        ; implicit-def: $vgpr1_vgpr2
	v_cmp_lt_u64_e64 s11, s[8:9], s[16:17]
	s_and_b32 s4, s11, exec_lo
	s_cselect_b32 s4, s8, s16
	s_cselect_b32 s5, s9, s17
	s_sub_i32 s11, s14, s12
	s_sub_i32 s14, s15, s4
	s_add_i32 s9, s11, s14
	v_cmp_gt_u32_e32 vcc_lo, s9, v0
	s_or_b32 s15, s10, vcc_lo
	s_and_saveexec_b32 s16, s15
	s_xor_b32 s15, exec_lo, s16
	s_cbranch_execz .LBB632_5
; %bb.4:
	v_lshlrev_b32_e32 v1, 3, v0
	v_sub_co_u32 v2, vcc_lo, v0, s11
	s_lshl_b64 s[12:13], s[12:13], 3
	s_waitcnt lgkmcnt(0)
	s_add_u32 s12, s0, s12
	s_addc_u32 s13, s1, s13
	v_add_co_u32 v4, s12, s12, v1
	v_lshlrev_b64 v[1:2], 3, v[2:3]
	s_lshl_b64 s[4:5], s[4:5], 3
	v_add_co_ci_u32_e64 v5, null, s13, 0, s12
	s_add_u32 s0, s0, s4
	s_addc_u32 s1, s1, s5
	v_add_co_u32 v1, s0, s0, v1
	v_add_co_ci_u32_e64 v2, null, s1, v2, s0
	v_cndmask_b32_e32 v1, v1, v4, vcc_lo
	v_cndmask_b32_e32 v2, v2, v5, vcc_lo
	global_load_dwordx2 v[1:2], v[1:2], off
.LBB632_5:
	s_waitcnt lgkmcnt(0)
	s_andn2_saveexec_b32 s0, s15
; %bb.6:
                                        ; implicit-def: $vgpr1_vgpr2
; %bb.7:
	s_or_b32 exec_lo, exec_lo, s0
	v_min_u32_e32 v4, s9, v0
	v_lshlrev_b32_e32 v5, 3, v0
	s_mov_b32 s0, exec_lo
	v_sub_nc_u32_e64 v3, v4, s14 clamp
	v_min_u32_e32 v6, s11, v4
	s_waitcnt vmcnt(0)
	ds_write_b64 v5, v[1:2]
	s_waitcnt lgkmcnt(0)
	s_barrier
	buffer_gl0_inv
	v_cmpx_lt_u32_e64 v3, v6
	s_cbranch_execz .LBB632_11
; %bb.8:
	v_lshlrev_b32_e32 v7, 3, v4
	s_mov_b32 s1, 0
	v_lshl_add_u32 v7, s11, 3, v7
	.p2align	6
.LBB632_9:                              ; =>This Inner Loop Header: Depth=1
	v_add_nc_u32_e32 v8, v6, v3
	v_lshrrev_b32_e32 v8, 1, v8
	v_not_b32_e32 v9, v8
	v_lshlrev_b32_e32 v10, 3, v8
	v_lshl_add_u32 v9, v9, 3, v7
	ds_read_b32 v10, v10
	ds_read_b32 v9, v9
	s_waitcnt lgkmcnt(1)
	v_mul_hi_i32 v10, 0x66666667, v10
	s_waitcnt lgkmcnt(0)
	v_mul_hi_i32 v9, 0x66666667, v9
	v_lshrrev_b32_e32 v11, 31, v10
	v_ashrrev_i32_e32 v10, 2, v10
	v_lshrrev_b32_e32 v12, 31, v9
	v_ashrrev_i32_e32 v9, 2, v9
	v_add_nc_u32_e32 v10, v10, v11
	v_add_nc_u32_e32 v11, 1, v8
	;; [unrolled: 1-line block ×3, first 2 shown]
	v_cmp_lt_i32_e32 vcc_lo, v9, v10
	v_cndmask_b32_e32 v6, v6, v8, vcc_lo
	v_cndmask_b32_e32 v3, v11, v3, vcc_lo
	v_cmp_ge_u32_e32 vcc_lo, v3, v6
	s_or_b32 s1, vcc_lo, s1
	s_andn2_b32 exec_lo, exec_lo, s1
	s_cbranch_execnz .LBB632_9
; %bb.10:
	s_or_b32 exec_lo, exec_lo, s1
.LBB632_11:
	s_or_b32 exec_lo, exec_lo, s0
	v_sub_nc_u32_e32 v4, v4, v3
	v_cmp_ge_u32_e32 vcc_lo, s11, v3
	v_add_nc_u32_e32 v6, s11, v4
	v_cmp_ge_u32_e64 s0, s9, v6
	s_or_b32 s0, vcc_lo, s0
	s_and_saveexec_b32 s1, s0
	s_cbranch_execz .LBB632_19
; %bb.12:
	s_mov_b32 s4, exec_lo
	v_cmp_le_u32_e32 vcc_lo, s11, v3
                                        ; implicit-def: $vgpr1_vgpr2
	v_cmpx_gt_u32_e64 s11, v3
; %bb.13:
	v_lshlrev_b32_e32 v1, 3, v3
	ds_read_b64 v[1:2], v1
; %bb.14:
	s_or_b32 exec_lo, exec_lo, s4
	v_cmp_le_u32_e64 s4, s9, v6
	s_mov_b32 s5, exec_lo
                                        ; implicit-def: $vgpr3_vgpr4
	v_cmpx_gt_u32_e64 s9, v6
; %bb.15:
	v_lshlrev_b32_e32 v3, 3, v6
	ds_read_b64 v[3:4], v3
; %bb.16:
	s_or_b32 exec_lo, exec_lo, s5
	s_nor_b32 s5, vcc_lo, s4
	s_and_saveexec_b32 s0, s5
	s_cbranch_execz .LBB632_18
; %bb.17:
	s_waitcnt lgkmcnt(0)
	v_mul_hi_i32 v6, 0x66666667, v3
	v_mul_hi_i32 v7, 0x66666667, v1
	s_andn2_b32 s4, s4, exec_lo
	v_lshrrev_b32_e32 v8, 31, v6
	v_ashrrev_i32_e32 v6, 2, v6
	v_lshrrev_b32_e32 v9, 31, v7
	v_ashrrev_i32_e32 v7, 2, v7
	v_add_nc_u32_e32 v6, v6, v8
	v_add_nc_u32_e32 v7, v7, v9
	v_cmp_ge_i32_e32 vcc_lo, v6, v7
	s_and_b32 s5, vcc_lo, exec_lo
	s_or_b32 s4, s4, s5
.LBB632_18:
	s_or_b32 exec_lo, exec_lo, s0
	s_waitcnt lgkmcnt(0)
	v_cndmask_b32_e64 v2, v4, v2, s4
	v_cndmask_b32_e64 v1, v3, v1, s4
.LBB632_19:
	s_or_b32 exec_lo, exec_lo, s1
	s_and_b32 vcc_lo, exec_lo, s10
	s_mov_b32 s0, -1
	s_barrier
	buffer_gl0_inv
	s_barrier
	buffer_gl0_inv
	s_cbranch_vccz .LBB632_21
; %bb.20:
	ds_write_b64 v5, v[1:2]
	s_waitcnt lgkmcnt(0)
	s_barrier
	buffer_gl0_inv
	ds_read_b64 v[3:4], v5
	s_lshl_b64 s[0:1], s[6:7], 3
	s_add_u32 s4, s2, s0
	s_addc_u32 s5, s3, s1
	s_mov_b32 s0, 0
	s_waitcnt lgkmcnt(0)
	global_store_dwordx2 v5, v[3:4], s[4:5]
.LBB632_21:
	s_andn2_b32 vcc_lo, exec_lo, s0
	s_cbranch_vccnz .LBB632_24
; %bb.22:
	s_sub_i32 s0, s8, s6
	ds_write_b64 v5, v[1:2]
	v_cmp_gt_u32_e32 vcc_lo, s0, v0
	s_waitcnt lgkmcnt(0)
	s_waitcnt_vscnt null, 0x0
	s_barrier
	buffer_gl0_inv
	s_and_saveexec_b32 s0, vcc_lo
	s_cbranch_execz .LBB632_24
; %bb.23:
	ds_read_b64 v[0:1], v5
	s_lshl_b64 s[0:1], s[6:7], 3
	s_add_u32 s0, s2, s0
	s_addc_u32 s1, s3, s1
	s_waitcnt lgkmcnt(0)
	global_store_dwordx2 v5, v[0:1], s[0:1]
.LBB632_24:
	s_endpgm
	.section	.rodata,"a",@progbits
	.p2align	6, 0x0
	.amdhsa_kernel _ZN7rocprim17ROCPRIM_400000_NS6detail17trampoline_kernelINS0_14default_configENS1_38merge_sort_block_merge_config_selectorImNS0_10empty_typeEEEZZNS1_27merge_sort_block_merge_implIS3_N6thrust23THRUST_200600_302600_NS6detail15normal_iteratorINS9_10device_ptrImEEEEPS5_m11less_div_10ImEEE10hipError_tT0_T1_T2_jT3_P12ihipStream_tbPNSt15iterator_traitsISJ_E10value_typeEPNSP_ISK_E10value_typeEPSL_NS1_7vsmem_tEENKUlT_SJ_SK_SL_E_clIPmSE_SF_SF_EESI_SY_SJ_SK_SL_EUlSY_E0_NS1_11comp_targetILNS1_3genE8ELNS1_11target_archE1030ELNS1_3gpuE2ELNS1_3repE0EEENS1_38merge_mergepath_config_static_selectorELNS0_4arch9wavefront6targetE0EEEvSK_
		.amdhsa_group_segment_fixed_size 8208
		.amdhsa_private_segment_fixed_size 0
		.amdhsa_kernarg_size 328
		.amdhsa_user_sgpr_count 6
		.amdhsa_user_sgpr_private_segment_buffer 1
		.amdhsa_user_sgpr_dispatch_ptr 0
		.amdhsa_user_sgpr_queue_ptr 0
		.amdhsa_user_sgpr_kernarg_segment_ptr 1
		.amdhsa_user_sgpr_dispatch_id 0
		.amdhsa_user_sgpr_flat_scratch_init 0
		.amdhsa_user_sgpr_private_segment_size 0
		.amdhsa_wavefront_size32 1
		.amdhsa_uses_dynamic_stack 0
		.amdhsa_system_sgpr_private_segment_wavefront_offset 0
		.amdhsa_system_sgpr_workgroup_id_x 1
		.amdhsa_system_sgpr_workgroup_id_y 1
		.amdhsa_system_sgpr_workgroup_id_z 1
		.amdhsa_system_sgpr_workgroup_info 0
		.amdhsa_system_vgpr_workitem_id 0
		.amdhsa_next_free_vgpr 13
		.amdhsa_next_free_sgpr 23
		.amdhsa_reserve_vcc 1
		.amdhsa_reserve_flat_scratch 0
		.amdhsa_float_round_mode_32 0
		.amdhsa_float_round_mode_16_64 0
		.amdhsa_float_denorm_mode_32 3
		.amdhsa_float_denorm_mode_16_64 3
		.amdhsa_dx10_clamp 1
		.amdhsa_ieee_mode 1
		.amdhsa_fp16_overflow 0
		.amdhsa_workgroup_processor_mode 1
		.amdhsa_memory_ordered 1
		.amdhsa_forward_progress 1
		.amdhsa_shared_vgpr_count 0
		.amdhsa_exception_fp_ieee_invalid_op 0
		.amdhsa_exception_fp_denorm_src 0
		.amdhsa_exception_fp_ieee_div_zero 0
		.amdhsa_exception_fp_ieee_overflow 0
		.amdhsa_exception_fp_ieee_underflow 0
		.amdhsa_exception_fp_ieee_inexact 0
		.amdhsa_exception_int_div_zero 0
	.end_amdhsa_kernel
	.section	.text._ZN7rocprim17ROCPRIM_400000_NS6detail17trampoline_kernelINS0_14default_configENS1_38merge_sort_block_merge_config_selectorImNS0_10empty_typeEEEZZNS1_27merge_sort_block_merge_implIS3_N6thrust23THRUST_200600_302600_NS6detail15normal_iteratorINS9_10device_ptrImEEEEPS5_m11less_div_10ImEEE10hipError_tT0_T1_T2_jT3_P12ihipStream_tbPNSt15iterator_traitsISJ_E10value_typeEPNSP_ISK_E10value_typeEPSL_NS1_7vsmem_tEENKUlT_SJ_SK_SL_E_clIPmSE_SF_SF_EESI_SY_SJ_SK_SL_EUlSY_E0_NS1_11comp_targetILNS1_3genE8ELNS1_11target_archE1030ELNS1_3gpuE2ELNS1_3repE0EEENS1_38merge_mergepath_config_static_selectorELNS0_4arch9wavefront6targetE0EEEvSK_,"axG",@progbits,_ZN7rocprim17ROCPRIM_400000_NS6detail17trampoline_kernelINS0_14default_configENS1_38merge_sort_block_merge_config_selectorImNS0_10empty_typeEEEZZNS1_27merge_sort_block_merge_implIS3_N6thrust23THRUST_200600_302600_NS6detail15normal_iteratorINS9_10device_ptrImEEEEPS5_m11less_div_10ImEEE10hipError_tT0_T1_T2_jT3_P12ihipStream_tbPNSt15iterator_traitsISJ_E10value_typeEPNSP_ISK_E10value_typeEPSL_NS1_7vsmem_tEENKUlT_SJ_SK_SL_E_clIPmSE_SF_SF_EESI_SY_SJ_SK_SL_EUlSY_E0_NS1_11comp_targetILNS1_3genE8ELNS1_11target_archE1030ELNS1_3gpuE2ELNS1_3repE0EEENS1_38merge_mergepath_config_static_selectorELNS0_4arch9wavefront6targetE0EEEvSK_,comdat
.Lfunc_end632:
	.size	_ZN7rocprim17ROCPRIM_400000_NS6detail17trampoline_kernelINS0_14default_configENS1_38merge_sort_block_merge_config_selectorImNS0_10empty_typeEEEZZNS1_27merge_sort_block_merge_implIS3_N6thrust23THRUST_200600_302600_NS6detail15normal_iteratorINS9_10device_ptrImEEEEPS5_m11less_div_10ImEEE10hipError_tT0_T1_T2_jT3_P12ihipStream_tbPNSt15iterator_traitsISJ_E10value_typeEPNSP_ISK_E10value_typeEPSL_NS1_7vsmem_tEENKUlT_SJ_SK_SL_E_clIPmSE_SF_SF_EESI_SY_SJ_SK_SL_EUlSY_E0_NS1_11comp_targetILNS1_3genE8ELNS1_11target_archE1030ELNS1_3gpuE2ELNS1_3repE0EEENS1_38merge_mergepath_config_static_selectorELNS0_4arch9wavefront6targetE0EEEvSK_, .Lfunc_end632-_ZN7rocprim17ROCPRIM_400000_NS6detail17trampoline_kernelINS0_14default_configENS1_38merge_sort_block_merge_config_selectorImNS0_10empty_typeEEEZZNS1_27merge_sort_block_merge_implIS3_N6thrust23THRUST_200600_302600_NS6detail15normal_iteratorINS9_10device_ptrImEEEEPS5_m11less_div_10ImEEE10hipError_tT0_T1_T2_jT3_P12ihipStream_tbPNSt15iterator_traitsISJ_E10value_typeEPNSP_ISK_E10value_typeEPSL_NS1_7vsmem_tEENKUlT_SJ_SK_SL_E_clIPmSE_SF_SF_EESI_SY_SJ_SK_SL_EUlSY_E0_NS1_11comp_targetILNS1_3genE8ELNS1_11target_archE1030ELNS1_3gpuE2ELNS1_3repE0EEENS1_38merge_mergepath_config_static_selectorELNS0_4arch9wavefront6targetE0EEEvSK_
                                        ; -- End function
	.set _ZN7rocprim17ROCPRIM_400000_NS6detail17trampoline_kernelINS0_14default_configENS1_38merge_sort_block_merge_config_selectorImNS0_10empty_typeEEEZZNS1_27merge_sort_block_merge_implIS3_N6thrust23THRUST_200600_302600_NS6detail15normal_iteratorINS9_10device_ptrImEEEEPS5_m11less_div_10ImEEE10hipError_tT0_T1_T2_jT3_P12ihipStream_tbPNSt15iterator_traitsISJ_E10value_typeEPNSP_ISK_E10value_typeEPSL_NS1_7vsmem_tEENKUlT_SJ_SK_SL_E_clIPmSE_SF_SF_EESI_SY_SJ_SK_SL_EUlSY_E0_NS1_11comp_targetILNS1_3genE8ELNS1_11target_archE1030ELNS1_3gpuE2ELNS1_3repE0EEENS1_38merge_mergepath_config_static_selectorELNS0_4arch9wavefront6targetE0EEEvSK_.num_vgpr, 13
	.set _ZN7rocprim17ROCPRIM_400000_NS6detail17trampoline_kernelINS0_14default_configENS1_38merge_sort_block_merge_config_selectorImNS0_10empty_typeEEEZZNS1_27merge_sort_block_merge_implIS3_N6thrust23THRUST_200600_302600_NS6detail15normal_iteratorINS9_10device_ptrImEEEEPS5_m11less_div_10ImEEE10hipError_tT0_T1_T2_jT3_P12ihipStream_tbPNSt15iterator_traitsISJ_E10value_typeEPNSP_ISK_E10value_typeEPSL_NS1_7vsmem_tEENKUlT_SJ_SK_SL_E_clIPmSE_SF_SF_EESI_SY_SJ_SK_SL_EUlSY_E0_NS1_11comp_targetILNS1_3genE8ELNS1_11target_archE1030ELNS1_3gpuE2ELNS1_3repE0EEENS1_38merge_mergepath_config_static_selectorELNS0_4arch9wavefront6targetE0EEEvSK_.num_agpr, 0
	.set _ZN7rocprim17ROCPRIM_400000_NS6detail17trampoline_kernelINS0_14default_configENS1_38merge_sort_block_merge_config_selectorImNS0_10empty_typeEEEZZNS1_27merge_sort_block_merge_implIS3_N6thrust23THRUST_200600_302600_NS6detail15normal_iteratorINS9_10device_ptrImEEEEPS5_m11less_div_10ImEEE10hipError_tT0_T1_T2_jT3_P12ihipStream_tbPNSt15iterator_traitsISJ_E10value_typeEPNSP_ISK_E10value_typeEPSL_NS1_7vsmem_tEENKUlT_SJ_SK_SL_E_clIPmSE_SF_SF_EESI_SY_SJ_SK_SL_EUlSY_E0_NS1_11comp_targetILNS1_3genE8ELNS1_11target_archE1030ELNS1_3gpuE2ELNS1_3repE0EEENS1_38merge_mergepath_config_static_selectorELNS0_4arch9wavefront6targetE0EEEvSK_.numbered_sgpr, 23
	.set _ZN7rocprim17ROCPRIM_400000_NS6detail17trampoline_kernelINS0_14default_configENS1_38merge_sort_block_merge_config_selectorImNS0_10empty_typeEEEZZNS1_27merge_sort_block_merge_implIS3_N6thrust23THRUST_200600_302600_NS6detail15normal_iteratorINS9_10device_ptrImEEEEPS5_m11less_div_10ImEEE10hipError_tT0_T1_T2_jT3_P12ihipStream_tbPNSt15iterator_traitsISJ_E10value_typeEPNSP_ISK_E10value_typeEPSL_NS1_7vsmem_tEENKUlT_SJ_SK_SL_E_clIPmSE_SF_SF_EESI_SY_SJ_SK_SL_EUlSY_E0_NS1_11comp_targetILNS1_3genE8ELNS1_11target_archE1030ELNS1_3gpuE2ELNS1_3repE0EEENS1_38merge_mergepath_config_static_selectorELNS0_4arch9wavefront6targetE0EEEvSK_.num_named_barrier, 0
	.set _ZN7rocprim17ROCPRIM_400000_NS6detail17trampoline_kernelINS0_14default_configENS1_38merge_sort_block_merge_config_selectorImNS0_10empty_typeEEEZZNS1_27merge_sort_block_merge_implIS3_N6thrust23THRUST_200600_302600_NS6detail15normal_iteratorINS9_10device_ptrImEEEEPS5_m11less_div_10ImEEE10hipError_tT0_T1_T2_jT3_P12ihipStream_tbPNSt15iterator_traitsISJ_E10value_typeEPNSP_ISK_E10value_typeEPSL_NS1_7vsmem_tEENKUlT_SJ_SK_SL_E_clIPmSE_SF_SF_EESI_SY_SJ_SK_SL_EUlSY_E0_NS1_11comp_targetILNS1_3genE8ELNS1_11target_archE1030ELNS1_3gpuE2ELNS1_3repE0EEENS1_38merge_mergepath_config_static_selectorELNS0_4arch9wavefront6targetE0EEEvSK_.private_seg_size, 0
	.set _ZN7rocprim17ROCPRIM_400000_NS6detail17trampoline_kernelINS0_14default_configENS1_38merge_sort_block_merge_config_selectorImNS0_10empty_typeEEEZZNS1_27merge_sort_block_merge_implIS3_N6thrust23THRUST_200600_302600_NS6detail15normal_iteratorINS9_10device_ptrImEEEEPS5_m11less_div_10ImEEE10hipError_tT0_T1_T2_jT3_P12ihipStream_tbPNSt15iterator_traitsISJ_E10value_typeEPNSP_ISK_E10value_typeEPSL_NS1_7vsmem_tEENKUlT_SJ_SK_SL_E_clIPmSE_SF_SF_EESI_SY_SJ_SK_SL_EUlSY_E0_NS1_11comp_targetILNS1_3genE8ELNS1_11target_archE1030ELNS1_3gpuE2ELNS1_3repE0EEENS1_38merge_mergepath_config_static_selectorELNS0_4arch9wavefront6targetE0EEEvSK_.uses_vcc, 1
	.set _ZN7rocprim17ROCPRIM_400000_NS6detail17trampoline_kernelINS0_14default_configENS1_38merge_sort_block_merge_config_selectorImNS0_10empty_typeEEEZZNS1_27merge_sort_block_merge_implIS3_N6thrust23THRUST_200600_302600_NS6detail15normal_iteratorINS9_10device_ptrImEEEEPS5_m11less_div_10ImEEE10hipError_tT0_T1_T2_jT3_P12ihipStream_tbPNSt15iterator_traitsISJ_E10value_typeEPNSP_ISK_E10value_typeEPSL_NS1_7vsmem_tEENKUlT_SJ_SK_SL_E_clIPmSE_SF_SF_EESI_SY_SJ_SK_SL_EUlSY_E0_NS1_11comp_targetILNS1_3genE8ELNS1_11target_archE1030ELNS1_3gpuE2ELNS1_3repE0EEENS1_38merge_mergepath_config_static_selectorELNS0_4arch9wavefront6targetE0EEEvSK_.uses_flat_scratch, 0
	.set _ZN7rocprim17ROCPRIM_400000_NS6detail17trampoline_kernelINS0_14default_configENS1_38merge_sort_block_merge_config_selectorImNS0_10empty_typeEEEZZNS1_27merge_sort_block_merge_implIS3_N6thrust23THRUST_200600_302600_NS6detail15normal_iteratorINS9_10device_ptrImEEEEPS5_m11less_div_10ImEEE10hipError_tT0_T1_T2_jT3_P12ihipStream_tbPNSt15iterator_traitsISJ_E10value_typeEPNSP_ISK_E10value_typeEPSL_NS1_7vsmem_tEENKUlT_SJ_SK_SL_E_clIPmSE_SF_SF_EESI_SY_SJ_SK_SL_EUlSY_E0_NS1_11comp_targetILNS1_3genE8ELNS1_11target_archE1030ELNS1_3gpuE2ELNS1_3repE0EEENS1_38merge_mergepath_config_static_selectorELNS0_4arch9wavefront6targetE0EEEvSK_.has_dyn_sized_stack, 0
	.set _ZN7rocprim17ROCPRIM_400000_NS6detail17trampoline_kernelINS0_14default_configENS1_38merge_sort_block_merge_config_selectorImNS0_10empty_typeEEEZZNS1_27merge_sort_block_merge_implIS3_N6thrust23THRUST_200600_302600_NS6detail15normal_iteratorINS9_10device_ptrImEEEEPS5_m11less_div_10ImEEE10hipError_tT0_T1_T2_jT3_P12ihipStream_tbPNSt15iterator_traitsISJ_E10value_typeEPNSP_ISK_E10value_typeEPSL_NS1_7vsmem_tEENKUlT_SJ_SK_SL_E_clIPmSE_SF_SF_EESI_SY_SJ_SK_SL_EUlSY_E0_NS1_11comp_targetILNS1_3genE8ELNS1_11target_archE1030ELNS1_3gpuE2ELNS1_3repE0EEENS1_38merge_mergepath_config_static_selectorELNS0_4arch9wavefront6targetE0EEEvSK_.has_recursion, 0
	.set _ZN7rocprim17ROCPRIM_400000_NS6detail17trampoline_kernelINS0_14default_configENS1_38merge_sort_block_merge_config_selectorImNS0_10empty_typeEEEZZNS1_27merge_sort_block_merge_implIS3_N6thrust23THRUST_200600_302600_NS6detail15normal_iteratorINS9_10device_ptrImEEEEPS5_m11less_div_10ImEEE10hipError_tT0_T1_T2_jT3_P12ihipStream_tbPNSt15iterator_traitsISJ_E10value_typeEPNSP_ISK_E10value_typeEPSL_NS1_7vsmem_tEENKUlT_SJ_SK_SL_E_clIPmSE_SF_SF_EESI_SY_SJ_SK_SL_EUlSY_E0_NS1_11comp_targetILNS1_3genE8ELNS1_11target_archE1030ELNS1_3gpuE2ELNS1_3repE0EEENS1_38merge_mergepath_config_static_selectorELNS0_4arch9wavefront6targetE0EEEvSK_.has_indirect_call, 0
	.section	.AMDGPU.csdata,"",@progbits
; Kernel info:
; codeLenInByte = 1104
; TotalNumSgprs: 25
; NumVgprs: 13
; ScratchSize: 0
; MemoryBound: 0
; FloatMode: 240
; IeeeMode: 1
; LDSByteSize: 8208 bytes/workgroup (compile time only)
; SGPRBlocks: 0
; VGPRBlocks: 1
; NumSGPRsForWavesPerEU: 25
; NumVGPRsForWavesPerEU: 13
; Occupancy: 16
; WaveLimiterHint : 1
; COMPUTE_PGM_RSRC2:SCRATCH_EN: 0
; COMPUTE_PGM_RSRC2:USER_SGPR: 6
; COMPUTE_PGM_RSRC2:TRAP_HANDLER: 0
; COMPUTE_PGM_RSRC2:TGID_X_EN: 1
; COMPUTE_PGM_RSRC2:TGID_Y_EN: 1
; COMPUTE_PGM_RSRC2:TGID_Z_EN: 1
; COMPUTE_PGM_RSRC2:TIDIG_COMP_CNT: 0
	.section	.text._ZN7rocprim17ROCPRIM_400000_NS6detail17trampoline_kernelINS0_14default_configENS1_38merge_sort_block_merge_config_selectorImNS0_10empty_typeEEEZZNS1_27merge_sort_block_merge_implIS3_N6thrust23THRUST_200600_302600_NS6detail15normal_iteratorINS9_10device_ptrImEEEEPS5_m11less_div_10ImEEE10hipError_tT0_T1_T2_jT3_P12ihipStream_tbPNSt15iterator_traitsISJ_E10value_typeEPNSP_ISK_E10value_typeEPSL_NS1_7vsmem_tEENKUlT_SJ_SK_SL_E_clIPmSE_SF_SF_EESI_SY_SJ_SK_SL_EUlSY_E1_NS1_11comp_targetILNS1_3genE0ELNS1_11target_archE4294967295ELNS1_3gpuE0ELNS1_3repE0EEENS1_36merge_oddeven_config_static_selectorELNS0_4arch9wavefront6targetE0EEEvSK_,"axG",@progbits,_ZN7rocprim17ROCPRIM_400000_NS6detail17trampoline_kernelINS0_14default_configENS1_38merge_sort_block_merge_config_selectorImNS0_10empty_typeEEEZZNS1_27merge_sort_block_merge_implIS3_N6thrust23THRUST_200600_302600_NS6detail15normal_iteratorINS9_10device_ptrImEEEEPS5_m11less_div_10ImEEE10hipError_tT0_T1_T2_jT3_P12ihipStream_tbPNSt15iterator_traitsISJ_E10value_typeEPNSP_ISK_E10value_typeEPSL_NS1_7vsmem_tEENKUlT_SJ_SK_SL_E_clIPmSE_SF_SF_EESI_SY_SJ_SK_SL_EUlSY_E1_NS1_11comp_targetILNS1_3genE0ELNS1_11target_archE4294967295ELNS1_3gpuE0ELNS1_3repE0EEENS1_36merge_oddeven_config_static_selectorELNS0_4arch9wavefront6targetE0EEEvSK_,comdat
	.protected	_ZN7rocprim17ROCPRIM_400000_NS6detail17trampoline_kernelINS0_14default_configENS1_38merge_sort_block_merge_config_selectorImNS0_10empty_typeEEEZZNS1_27merge_sort_block_merge_implIS3_N6thrust23THRUST_200600_302600_NS6detail15normal_iteratorINS9_10device_ptrImEEEEPS5_m11less_div_10ImEEE10hipError_tT0_T1_T2_jT3_P12ihipStream_tbPNSt15iterator_traitsISJ_E10value_typeEPNSP_ISK_E10value_typeEPSL_NS1_7vsmem_tEENKUlT_SJ_SK_SL_E_clIPmSE_SF_SF_EESI_SY_SJ_SK_SL_EUlSY_E1_NS1_11comp_targetILNS1_3genE0ELNS1_11target_archE4294967295ELNS1_3gpuE0ELNS1_3repE0EEENS1_36merge_oddeven_config_static_selectorELNS0_4arch9wavefront6targetE0EEEvSK_ ; -- Begin function _ZN7rocprim17ROCPRIM_400000_NS6detail17trampoline_kernelINS0_14default_configENS1_38merge_sort_block_merge_config_selectorImNS0_10empty_typeEEEZZNS1_27merge_sort_block_merge_implIS3_N6thrust23THRUST_200600_302600_NS6detail15normal_iteratorINS9_10device_ptrImEEEEPS5_m11less_div_10ImEEE10hipError_tT0_T1_T2_jT3_P12ihipStream_tbPNSt15iterator_traitsISJ_E10value_typeEPNSP_ISK_E10value_typeEPSL_NS1_7vsmem_tEENKUlT_SJ_SK_SL_E_clIPmSE_SF_SF_EESI_SY_SJ_SK_SL_EUlSY_E1_NS1_11comp_targetILNS1_3genE0ELNS1_11target_archE4294967295ELNS1_3gpuE0ELNS1_3repE0EEENS1_36merge_oddeven_config_static_selectorELNS0_4arch9wavefront6targetE0EEEvSK_
	.globl	_ZN7rocprim17ROCPRIM_400000_NS6detail17trampoline_kernelINS0_14default_configENS1_38merge_sort_block_merge_config_selectorImNS0_10empty_typeEEEZZNS1_27merge_sort_block_merge_implIS3_N6thrust23THRUST_200600_302600_NS6detail15normal_iteratorINS9_10device_ptrImEEEEPS5_m11less_div_10ImEEE10hipError_tT0_T1_T2_jT3_P12ihipStream_tbPNSt15iterator_traitsISJ_E10value_typeEPNSP_ISK_E10value_typeEPSL_NS1_7vsmem_tEENKUlT_SJ_SK_SL_E_clIPmSE_SF_SF_EESI_SY_SJ_SK_SL_EUlSY_E1_NS1_11comp_targetILNS1_3genE0ELNS1_11target_archE4294967295ELNS1_3gpuE0ELNS1_3repE0EEENS1_36merge_oddeven_config_static_selectorELNS0_4arch9wavefront6targetE0EEEvSK_
	.p2align	8
	.type	_ZN7rocprim17ROCPRIM_400000_NS6detail17trampoline_kernelINS0_14default_configENS1_38merge_sort_block_merge_config_selectorImNS0_10empty_typeEEEZZNS1_27merge_sort_block_merge_implIS3_N6thrust23THRUST_200600_302600_NS6detail15normal_iteratorINS9_10device_ptrImEEEEPS5_m11less_div_10ImEEE10hipError_tT0_T1_T2_jT3_P12ihipStream_tbPNSt15iterator_traitsISJ_E10value_typeEPNSP_ISK_E10value_typeEPSL_NS1_7vsmem_tEENKUlT_SJ_SK_SL_E_clIPmSE_SF_SF_EESI_SY_SJ_SK_SL_EUlSY_E1_NS1_11comp_targetILNS1_3genE0ELNS1_11target_archE4294967295ELNS1_3gpuE0ELNS1_3repE0EEENS1_36merge_oddeven_config_static_selectorELNS0_4arch9wavefront6targetE0EEEvSK_,@function
_ZN7rocprim17ROCPRIM_400000_NS6detail17trampoline_kernelINS0_14default_configENS1_38merge_sort_block_merge_config_selectorImNS0_10empty_typeEEEZZNS1_27merge_sort_block_merge_implIS3_N6thrust23THRUST_200600_302600_NS6detail15normal_iteratorINS9_10device_ptrImEEEEPS5_m11less_div_10ImEEE10hipError_tT0_T1_T2_jT3_P12ihipStream_tbPNSt15iterator_traitsISJ_E10value_typeEPNSP_ISK_E10value_typeEPSL_NS1_7vsmem_tEENKUlT_SJ_SK_SL_E_clIPmSE_SF_SF_EESI_SY_SJ_SK_SL_EUlSY_E1_NS1_11comp_targetILNS1_3genE0ELNS1_11target_archE4294967295ELNS1_3gpuE0ELNS1_3repE0EEENS1_36merge_oddeven_config_static_selectorELNS0_4arch9wavefront6targetE0EEEvSK_: ; @_ZN7rocprim17ROCPRIM_400000_NS6detail17trampoline_kernelINS0_14default_configENS1_38merge_sort_block_merge_config_selectorImNS0_10empty_typeEEEZZNS1_27merge_sort_block_merge_implIS3_N6thrust23THRUST_200600_302600_NS6detail15normal_iteratorINS9_10device_ptrImEEEEPS5_m11less_div_10ImEEE10hipError_tT0_T1_T2_jT3_P12ihipStream_tbPNSt15iterator_traitsISJ_E10value_typeEPNSP_ISK_E10value_typeEPSL_NS1_7vsmem_tEENKUlT_SJ_SK_SL_E_clIPmSE_SF_SF_EESI_SY_SJ_SK_SL_EUlSY_E1_NS1_11comp_targetILNS1_3genE0ELNS1_11target_archE4294967295ELNS1_3gpuE0ELNS1_3repE0EEENS1_36merge_oddeven_config_static_selectorELNS0_4arch9wavefront6targetE0EEEvSK_
; %bb.0:
	.section	.rodata,"a",@progbits
	.p2align	6, 0x0
	.amdhsa_kernel _ZN7rocprim17ROCPRIM_400000_NS6detail17trampoline_kernelINS0_14default_configENS1_38merge_sort_block_merge_config_selectorImNS0_10empty_typeEEEZZNS1_27merge_sort_block_merge_implIS3_N6thrust23THRUST_200600_302600_NS6detail15normal_iteratorINS9_10device_ptrImEEEEPS5_m11less_div_10ImEEE10hipError_tT0_T1_T2_jT3_P12ihipStream_tbPNSt15iterator_traitsISJ_E10value_typeEPNSP_ISK_E10value_typeEPSL_NS1_7vsmem_tEENKUlT_SJ_SK_SL_E_clIPmSE_SF_SF_EESI_SY_SJ_SK_SL_EUlSY_E1_NS1_11comp_targetILNS1_3genE0ELNS1_11target_archE4294967295ELNS1_3gpuE0ELNS1_3repE0EEENS1_36merge_oddeven_config_static_selectorELNS0_4arch9wavefront6targetE0EEEvSK_
		.amdhsa_group_segment_fixed_size 0
		.amdhsa_private_segment_fixed_size 0
		.amdhsa_kernarg_size 56
		.amdhsa_user_sgpr_count 6
		.amdhsa_user_sgpr_private_segment_buffer 1
		.amdhsa_user_sgpr_dispatch_ptr 0
		.amdhsa_user_sgpr_queue_ptr 0
		.amdhsa_user_sgpr_kernarg_segment_ptr 1
		.amdhsa_user_sgpr_dispatch_id 0
		.amdhsa_user_sgpr_flat_scratch_init 0
		.amdhsa_user_sgpr_private_segment_size 0
		.amdhsa_wavefront_size32 1
		.amdhsa_uses_dynamic_stack 0
		.amdhsa_system_sgpr_private_segment_wavefront_offset 0
		.amdhsa_system_sgpr_workgroup_id_x 1
		.amdhsa_system_sgpr_workgroup_id_y 0
		.amdhsa_system_sgpr_workgroup_id_z 0
		.amdhsa_system_sgpr_workgroup_info 0
		.amdhsa_system_vgpr_workitem_id 0
		.amdhsa_next_free_vgpr 1
		.amdhsa_next_free_sgpr 1
		.amdhsa_reserve_vcc 0
		.amdhsa_reserve_flat_scratch 0
		.amdhsa_float_round_mode_32 0
		.amdhsa_float_round_mode_16_64 0
		.amdhsa_float_denorm_mode_32 3
		.amdhsa_float_denorm_mode_16_64 3
		.amdhsa_dx10_clamp 1
		.amdhsa_ieee_mode 1
		.amdhsa_fp16_overflow 0
		.amdhsa_workgroup_processor_mode 1
		.amdhsa_memory_ordered 1
		.amdhsa_forward_progress 1
		.amdhsa_shared_vgpr_count 0
		.amdhsa_exception_fp_ieee_invalid_op 0
		.amdhsa_exception_fp_denorm_src 0
		.amdhsa_exception_fp_ieee_div_zero 0
		.amdhsa_exception_fp_ieee_overflow 0
		.amdhsa_exception_fp_ieee_underflow 0
		.amdhsa_exception_fp_ieee_inexact 0
		.amdhsa_exception_int_div_zero 0
	.end_amdhsa_kernel
	.section	.text._ZN7rocprim17ROCPRIM_400000_NS6detail17trampoline_kernelINS0_14default_configENS1_38merge_sort_block_merge_config_selectorImNS0_10empty_typeEEEZZNS1_27merge_sort_block_merge_implIS3_N6thrust23THRUST_200600_302600_NS6detail15normal_iteratorINS9_10device_ptrImEEEEPS5_m11less_div_10ImEEE10hipError_tT0_T1_T2_jT3_P12ihipStream_tbPNSt15iterator_traitsISJ_E10value_typeEPNSP_ISK_E10value_typeEPSL_NS1_7vsmem_tEENKUlT_SJ_SK_SL_E_clIPmSE_SF_SF_EESI_SY_SJ_SK_SL_EUlSY_E1_NS1_11comp_targetILNS1_3genE0ELNS1_11target_archE4294967295ELNS1_3gpuE0ELNS1_3repE0EEENS1_36merge_oddeven_config_static_selectorELNS0_4arch9wavefront6targetE0EEEvSK_,"axG",@progbits,_ZN7rocprim17ROCPRIM_400000_NS6detail17trampoline_kernelINS0_14default_configENS1_38merge_sort_block_merge_config_selectorImNS0_10empty_typeEEEZZNS1_27merge_sort_block_merge_implIS3_N6thrust23THRUST_200600_302600_NS6detail15normal_iteratorINS9_10device_ptrImEEEEPS5_m11less_div_10ImEEE10hipError_tT0_T1_T2_jT3_P12ihipStream_tbPNSt15iterator_traitsISJ_E10value_typeEPNSP_ISK_E10value_typeEPSL_NS1_7vsmem_tEENKUlT_SJ_SK_SL_E_clIPmSE_SF_SF_EESI_SY_SJ_SK_SL_EUlSY_E1_NS1_11comp_targetILNS1_3genE0ELNS1_11target_archE4294967295ELNS1_3gpuE0ELNS1_3repE0EEENS1_36merge_oddeven_config_static_selectorELNS0_4arch9wavefront6targetE0EEEvSK_,comdat
.Lfunc_end633:
	.size	_ZN7rocprim17ROCPRIM_400000_NS6detail17trampoline_kernelINS0_14default_configENS1_38merge_sort_block_merge_config_selectorImNS0_10empty_typeEEEZZNS1_27merge_sort_block_merge_implIS3_N6thrust23THRUST_200600_302600_NS6detail15normal_iteratorINS9_10device_ptrImEEEEPS5_m11less_div_10ImEEE10hipError_tT0_T1_T2_jT3_P12ihipStream_tbPNSt15iterator_traitsISJ_E10value_typeEPNSP_ISK_E10value_typeEPSL_NS1_7vsmem_tEENKUlT_SJ_SK_SL_E_clIPmSE_SF_SF_EESI_SY_SJ_SK_SL_EUlSY_E1_NS1_11comp_targetILNS1_3genE0ELNS1_11target_archE4294967295ELNS1_3gpuE0ELNS1_3repE0EEENS1_36merge_oddeven_config_static_selectorELNS0_4arch9wavefront6targetE0EEEvSK_, .Lfunc_end633-_ZN7rocprim17ROCPRIM_400000_NS6detail17trampoline_kernelINS0_14default_configENS1_38merge_sort_block_merge_config_selectorImNS0_10empty_typeEEEZZNS1_27merge_sort_block_merge_implIS3_N6thrust23THRUST_200600_302600_NS6detail15normal_iteratorINS9_10device_ptrImEEEEPS5_m11less_div_10ImEEE10hipError_tT0_T1_T2_jT3_P12ihipStream_tbPNSt15iterator_traitsISJ_E10value_typeEPNSP_ISK_E10value_typeEPSL_NS1_7vsmem_tEENKUlT_SJ_SK_SL_E_clIPmSE_SF_SF_EESI_SY_SJ_SK_SL_EUlSY_E1_NS1_11comp_targetILNS1_3genE0ELNS1_11target_archE4294967295ELNS1_3gpuE0ELNS1_3repE0EEENS1_36merge_oddeven_config_static_selectorELNS0_4arch9wavefront6targetE0EEEvSK_
                                        ; -- End function
	.set _ZN7rocprim17ROCPRIM_400000_NS6detail17trampoline_kernelINS0_14default_configENS1_38merge_sort_block_merge_config_selectorImNS0_10empty_typeEEEZZNS1_27merge_sort_block_merge_implIS3_N6thrust23THRUST_200600_302600_NS6detail15normal_iteratorINS9_10device_ptrImEEEEPS5_m11less_div_10ImEEE10hipError_tT0_T1_T2_jT3_P12ihipStream_tbPNSt15iterator_traitsISJ_E10value_typeEPNSP_ISK_E10value_typeEPSL_NS1_7vsmem_tEENKUlT_SJ_SK_SL_E_clIPmSE_SF_SF_EESI_SY_SJ_SK_SL_EUlSY_E1_NS1_11comp_targetILNS1_3genE0ELNS1_11target_archE4294967295ELNS1_3gpuE0ELNS1_3repE0EEENS1_36merge_oddeven_config_static_selectorELNS0_4arch9wavefront6targetE0EEEvSK_.num_vgpr, 0
	.set _ZN7rocprim17ROCPRIM_400000_NS6detail17trampoline_kernelINS0_14default_configENS1_38merge_sort_block_merge_config_selectorImNS0_10empty_typeEEEZZNS1_27merge_sort_block_merge_implIS3_N6thrust23THRUST_200600_302600_NS6detail15normal_iteratorINS9_10device_ptrImEEEEPS5_m11less_div_10ImEEE10hipError_tT0_T1_T2_jT3_P12ihipStream_tbPNSt15iterator_traitsISJ_E10value_typeEPNSP_ISK_E10value_typeEPSL_NS1_7vsmem_tEENKUlT_SJ_SK_SL_E_clIPmSE_SF_SF_EESI_SY_SJ_SK_SL_EUlSY_E1_NS1_11comp_targetILNS1_3genE0ELNS1_11target_archE4294967295ELNS1_3gpuE0ELNS1_3repE0EEENS1_36merge_oddeven_config_static_selectorELNS0_4arch9wavefront6targetE0EEEvSK_.num_agpr, 0
	.set _ZN7rocprim17ROCPRIM_400000_NS6detail17trampoline_kernelINS0_14default_configENS1_38merge_sort_block_merge_config_selectorImNS0_10empty_typeEEEZZNS1_27merge_sort_block_merge_implIS3_N6thrust23THRUST_200600_302600_NS6detail15normal_iteratorINS9_10device_ptrImEEEEPS5_m11less_div_10ImEEE10hipError_tT0_T1_T2_jT3_P12ihipStream_tbPNSt15iterator_traitsISJ_E10value_typeEPNSP_ISK_E10value_typeEPSL_NS1_7vsmem_tEENKUlT_SJ_SK_SL_E_clIPmSE_SF_SF_EESI_SY_SJ_SK_SL_EUlSY_E1_NS1_11comp_targetILNS1_3genE0ELNS1_11target_archE4294967295ELNS1_3gpuE0ELNS1_3repE0EEENS1_36merge_oddeven_config_static_selectorELNS0_4arch9wavefront6targetE0EEEvSK_.numbered_sgpr, 0
	.set _ZN7rocprim17ROCPRIM_400000_NS6detail17trampoline_kernelINS0_14default_configENS1_38merge_sort_block_merge_config_selectorImNS0_10empty_typeEEEZZNS1_27merge_sort_block_merge_implIS3_N6thrust23THRUST_200600_302600_NS6detail15normal_iteratorINS9_10device_ptrImEEEEPS5_m11less_div_10ImEEE10hipError_tT0_T1_T2_jT3_P12ihipStream_tbPNSt15iterator_traitsISJ_E10value_typeEPNSP_ISK_E10value_typeEPSL_NS1_7vsmem_tEENKUlT_SJ_SK_SL_E_clIPmSE_SF_SF_EESI_SY_SJ_SK_SL_EUlSY_E1_NS1_11comp_targetILNS1_3genE0ELNS1_11target_archE4294967295ELNS1_3gpuE0ELNS1_3repE0EEENS1_36merge_oddeven_config_static_selectorELNS0_4arch9wavefront6targetE0EEEvSK_.num_named_barrier, 0
	.set _ZN7rocprim17ROCPRIM_400000_NS6detail17trampoline_kernelINS0_14default_configENS1_38merge_sort_block_merge_config_selectorImNS0_10empty_typeEEEZZNS1_27merge_sort_block_merge_implIS3_N6thrust23THRUST_200600_302600_NS6detail15normal_iteratorINS9_10device_ptrImEEEEPS5_m11less_div_10ImEEE10hipError_tT0_T1_T2_jT3_P12ihipStream_tbPNSt15iterator_traitsISJ_E10value_typeEPNSP_ISK_E10value_typeEPSL_NS1_7vsmem_tEENKUlT_SJ_SK_SL_E_clIPmSE_SF_SF_EESI_SY_SJ_SK_SL_EUlSY_E1_NS1_11comp_targetILNS1_3genE0ELNS1_11target_archE4294967295ELNS1_3gpuE0ELNS1_3repE0EEENS1_36merge_oddeven_config_static_selectorELNS0_4arch9wavefront6targetE0EEEvSK_.private_seg_size, 0
	.set _ZN7rocprim17ROCPRIM_400000_NS6detail17trampoline_kernelINS0_14default_configENS1_38merge_sort_block_merge_config_selectorImNS0_10empty_typeEEEZZNS1_27merge_sort_block_merge_implIS3_N6thrust23THRUST_200600_302600_NS6detail15normal_iteratorINS9_10device_ptrImEEEEPS5_m11less_div_10ImEEE10hipError_tT0_T1_T2_jT3_P12ihipStream_tbPNSt15iterator_traitsISJ_E10value_typeEPNSP_ISK_E10value_typeEPSL_NS1_7vsmem_tEENKUlT_SJ_SK_SL_E_clIPmSE_SF_SF_EESI_SY_SJ_SK_SL_EUlSY_E1_NS1_11comp_targetILNS1_3genE0ELNS1_11target_archE4294967295ELNS1_3gpuE0ELNS1_3repE0EEENS1_36merge_oddeven_config_static_selectorELNS0_4arch9wavefront6targetE0EEEvSK_.uses_vcc, 0
	.set _ZN7rocprim17ROCPRIM_400000_NS6detail17trampoline_kernelINS0_14default_configENS1_38merge_sort_block_merge_config_selectorImNS0_10empty_typeEEEZZNS1_27merge_sort_block_merge_implIS3_N6thrust23THRUST_200600_302600_NS6detail15normal_iteratorINS9_10device_ptrImEEEEPS5_m11less_div_10ImEEE10hipError_tT0_T1_T2_jT3_P12ihipStream_tbPNSt15iterator_traitsISJ_E10value_typeEPNSP_ISK_E10value_typeEPSL_NS1_7vsmem_tEENKUlT_SJ_SK_SL_E_clIPmSE_SF_SF_EESI_SY_SJ_SK_SL_EUlSY_E1_NS1_11comp_targetILNS1_3genE0ELNS1_11target_archE4294967295ELNS1_3gpuE0ELNS1_3repE0EEENS1_36merge_oddeven_config_static_selectorELNS0_4arch9wavefront6targetE0EEEvSK_.uses_flat_scratch, 0
	.set _ZN7rocprim17ROCPRIM_400000_NS6detail17trampoline_kernelINS0_14default_configENS1_38merge_sort_block_merge_config_selectorImNS0_10empty_typeEEEZZNS1_27merge_sort_block_merge_implIS3_N6thrust23THRUST_200600_302600_NS6detail15normal_iteratorINS9_10device_ptrImEEEEPS5_m11less_div_10ImEEE10hipError_tT0_T1_T2_jT3_P12ihipStream_tbPNSt15iterator_traitsISJ_E10value_typeEPNSP_ISK_E10value_typeEPSL_NS1_7vsmem_tEENKUlT_SJ_SK_SL_E_clIPmSE_SF_SF_EESI_SY_SJ_SK_SL_EUlSY_E1_NS1_11comp_targetILNS1_3genE0ELNS1_11target_archE4294967295ELNS1_3gpuE0ELNS1_3repE0EEENS1_36merge_oddeven_config_static_selectorELNS0_4arch9wavefront6targetE0EEEvSK_.has_dyn_sized_stack, 0
	.set _ZN7rocprim17ROCPRIM_400000_NS6detail17trampoline_kernelINS0_14default_configENS1_38merge_sort_block_merge_config_selectorImNS0_10empty_typeEEEZZNS1_27merge_sort_block_merge_implIS3_N6thrust23THRUST_200600_302600_NS6detail15normal_iteratorINS9_10device_ptrImEEEEPS5_m11less_div_10ImEEE10hipError_tT0_T1_T2_jT3_P12ihipStream_tbPNSt15iterator_traitsISJ_E10value_typeEPNSP_ISK_E10value_typeEPSL_NS1_7vsmem_tEENKUlT_SJ_SK_SL_E_clIPmSE_SF_SF_EESI_SY_SJ_SK_SL_EUlSY_E1_NS1_11comp_targetILNS1_3genE0ELNS1_11target_archE4294967295ELNS1_3gpuE0ELNS1_3repE0EEENS1_36merge_oddeven_config_static_selectorELNS0_4arch9wavefront6targetE0EEEvSK_.has_recursion, 0
	.set _ZN7rocprim17ROCPRIM_400000_NS6detail17trampoline_kernelINS0_14default_configENS1_38merge_sort_block_merge_config_selectorImNS0_10empty_typeEEEZZNS1_27merge_sort_block_merge_implIS3_N6thrust23THRUST_200600_302600_NS6detail15normal_iteratorINS9_10device_ptrImEEEEPS5_m11less_div_10ImEEE10hipError_tT0_T1_T2_jT3_P12ihipStream_tbPNSt15iterator_traitsISJ_E10value_typeEPNSP_ISK_E10value_typeEPSL_NS1_7vsmem_tEENKUlT_SJ_SK_SL_E_clIPmSE_SF_SF_EESI_SY_SJ_SK_SL_EUlSY_E1_NS1_11comp_targetILNS1_3genE0ELNS1_11target_archE4294967295ELNS1_3gpuE0ELNS1_3repE0EEENS1_36merge_oddeven_config_static_selectorELNS0_4arch9wavefront6targetE0EEEvSK_.has_indirect_call, 0
	.section	.AMDGPU.csdata,"",@progbits
; Kernel info:
; codeLenInByte = 0
; TotalNumSgprs: 0
; NumVgprs: 0
; ScratchSize: 0
; MemoryBound: 0
; FloatMode: 240
; IeeeMode: 1
; LDSByteSize: 0 bytes/workgroup (compile time only)
; SGPRBlocks: 0
; VGPRBlocks: 0
; NumSGPRsForWavesPerEU: 1
; NumVGPRsForWavesPerEU: 1
; Occupancy: 16
; WaveLimiterHint : 0
; COMPUTE_PGM_RSRC2:SCRATCH_EN: 0
; COMPUTE_PGM_RSRC2:USER_SGPR: 6
; COMPUTE_PGM_RSRC2:TRAP_HANDLER: 0
; COMPUTE_PGM_RSRC2:TGID_X_EN: 1
; COMPUTE_PGM_RSRC2:TGID_Y_EN: 0
; COMPUTE_PGM_RSRC2:TGID_Z_EN: 0
; COMPUTE_PGM_RSRC2:TIDIG_COMP_CNT: 0
	.section	.text._ZN7rocprim17ROCPRIM_400000_NS6detail17trampoline_kernelINS0_14default_configENS1_38merge_sort_block_merge_config_selectorImNS0_10empty_typeEEEZZNS1_27merge_sort_block_merge_implIS3_N6thrust23THRUST_200600_302600_NS6detail15normal_iteratorINS9_10device_ptrImEEEEPS5_m11less_div_10ImEEE10hipError_tT0_T1_T2_jT3_P12ihipStream_tbPNSt15iterator_traitsISJ_E10value_typeEPNSP_ISK_E10value_typeEPSL_NS1_7vsmem_tEENKUlT_SJ_SK_SL_E_clIPmSE_SF_SF_EESI_SY_SJ_SK_SL_EUlSY_E1_NS1_11comp_targetILNS1_3genE10ELNS1_11target_archE1201ELNS1_3gpuE5ELNS1_3repE0EEENS1_36merge_oddeven_config_static_selectorELNS0_4arch9wavefront6targetE0EEEvSK_,"axG",@progbits,_ZN7rocprim17ROCPRIM_400000_NS6detail17trampoline_kernelINS0_14default_configENS1_38merge_sort_block_merge_config_selectorImNS0_10empty_typeEEEZZNS1_27merge_sort_block_merge_implIS3_N6thrust23THRUST_200600_302600_NS6detail15normal_iteratorINS9_10device_ptrImEEEEPS5_m11less_div_10ImEEE10hipError_tT0_T1_T2_jT3_P12ihipStream_tbPNSt15iterator_traitsISJ_E10value_typeEPNSP_ISK_E10value_typeEPSL_NS1_7vsmem_tEENKUlT_SJ_SK_SL_E_clIPmSE_SF_SF_EESI_SY_SJ_SK_SL_EUlSY_E1_NS1_11comp_targetILNS1_3genE10ELNS1_11target_archE1201ELNS1_3gpuE5ELNS1_3repE0EEENS1_36merge_oddeven_config_static_selectorELNS0_4arch9wavefront6targetE0EEEvSK_,comdat
	.protected	_ZN7rocprim17ROCPRIM_400000_NS6detail17trampoline_kernelINS0_14default_configENS1_38merge_sort_block_merge_config_selectorImNS0_10empty_typeEEEZZNS1_27merge_sort_block_merge_implIS3_N6thrust23THRUST_200600_302600_NS6detail15normal_iteratorINS9_10device_ptrImEEEEPS5_m11less_div_10ImEEE10hipError_tT0_T1_T2_jT3_P12ihipStream_tbPNSt15iterator_traitsISJ_E10value_typeEPNSP_ISK_E10value_typeEPSL_NS1_7vsmem_tEENKUlT_SJ_SK_SL_E_clIPmSE_SF_SF_EESI_SY_SJ_SK_SL_EUlSY_E1_NS1_11comp_targetILNS1_3genE10ELNS1_11target_archE1201ELNS1_3gpuE5ELNS1_3repE0EEENS1_36merge_oddeven_config_static_selectorELNS0_4arch9wavefront6targetE0EEEvSK_ ; -- Begin function _ZN7rocprim17ROCPRIM_400000_NS6detail17trampoline_kernelINS0_14default_configENS1_38merge_sort_block_merge_config_selectorImNS0_10empty_typeEEEZZNS1_27merge_sort_block_merge_implIS3_N6thrust23THRUST_200600_302600_NS6detail15normal_iteratorINS9_10device_ptrImEEEEPS5_m11less_div_10ImEEE10hipError_tT0_T1_T2_jT3_P12ihipStream_tbPNSt15iterator_traitsISJ_E10value_typeEPNSP_ISK_E10value_typeEPSL_NS1_7vsmem_tEENKUlT_SJ_SK_SL_E_clIPmSE_SF_SF_EESI_SY_SJ_SK_SL_EUlSY_E1_NS1_11comp_targetILNS1_3genE10ELNS1_11target_archE1201ELNS1_3gpuE5ELNS1_3repE0EEENS1_36merge_oddeven_config_static_selectorELNS0_4arch9wavefront6targetE0EEEvSK_
	.globl	_ZN7rocprim17ROCPRIM_400000_NS6detail17trampoline_kernelINS0_14default_configENS1_38merge_sort_block_merge_config_selectorImNS0_10empty_typeEEEZZNS1_27merge_sort_block_merge_implIS3_N6thrust23THRUST_200600_302600_NS6detail15normal_iteratorINS9_10device_ptrImEEEEPS5_m11less_div_10ImEEE10hipError_tT0_T1_T2_jT3_P12ihipStream_tbPNSt15iterator_traitsISJ_E10value_typeEPNSP_ISK_E10value_typeEPSL_NS1_7vsmem_tEENKUlT_SJ_SK_SL_E_clIPmSE_SF_SF_EESI_SY_SJ_SK_SL_EUlSY_E1_NS1_11comp_targetILNS1_3genE10ELNS1_11target_archE1201ELNS1_3gpuE5ELNS1_3repE0EEENS1_36merge_oddeven_config_static_selectorELNS0_4arch9wavefront6targetE0EEEvSK_
	.p2align	8
	.type	_ZN7rocprim17ROCPRIM_400000_NS6detail17trampoline_kernelINS0_14default_configENS1_38merge_sort_block_merge_config_selectorImNS0_10empty_typeEEEZZNS1_27merge_sort_block_merge_implIS3_N6thrust23THRUST_200600_302600_NS6detail15normal_iteratorINS9_10device_ptrImEEEEPS5_m11less_div_10ImEEE10hipError_tT0_T1_T2_jT3_P12ihipStream_tbPNSt15iterator_traitsISJ_E10value_typeEPNSP_ISK_E10value_typeEPSL_NS1_7vsmem_tEENKUlT_SJ_SK_SL_E_clIPmSE_SF_SF_EESI_SY_SJ_SK_SL_EUlSY_E1_NS1_11comp_targetILNS1_3genE10ELNS1_11target_archE1201ELNS1_3gpuE5ELNS1_3repE0EEENS1_36merge_oddeven_config_static_selectorELNS0_4arch9wavefront6targetE0EEEvSK_,@function
_ZN7rocprim17ROCPRIM_400000_NS6detail17trampoline_kernelINS0_14default_configENS1_38merge_sort_block_merge_config_selectorImNS0_10empty_typeEEEZZNS1_27merge_sort_block_merge_implIS3_N6thrust23THRUST_200600_302600_NS6detail15normal_iteratorINS9_10device_ptrImEEEEPS5_m11less_div_10ImEEE10hipError_tT0_T1_T2_jT3_P12ihipStream_tbPNSt15iterator_traitsISJ_E10value_typeEPNSP_ISK_E10value_typeEPSL_NS1_7vsmem_tEENKUlT_SJ_SK_SL_E_clIPmSE_SF_SF_EESI_SY_SJ_SK_SL_EUlSY_E1_NS1_11comp_targetILNS1_3genE10ELNS1_11target_archE1201ELNS1_3gpuE5ELNS1_3repE0EEENS1_36merge_oddeven_config_static_selectorELNS0_4arch9wavefront6targetE0EEEvSK_: ; @_ZN7rocprim17ROCPRIM_400000_NS6detail17trampoline_kernelINS0_14default_configENS1_38merge_sort_block_merge_config_selectorImNS0_10empty_typeEEEZZNS1_27merge_sort_block_merge_implIS3_N6thrust23THRUST_200600_302600_NS6detail15normal_iteratorINS9_10device_ptrImEEEEPS5_m11less_div_10ImEEE10hipError_tT0_T1_T2_jT3_P12ihipStream_tbPNSt15iterator_traitsISJ_E10value_typeEPNSP_ISK_E10value_typeEPSL_NS1_7vsmem_tEENKUlT_SJ_SK_SL_E_clIPmSE_SF_SF_EESI_SY_SJ_SK_SL_EUlSY_E1_NS1_11comp_targetILNS1_3genE10ELNS1_11target_archE1201ELNS1_3gpuE5ELNS1_3repE0EEENS1_36merge_oddeven_config_static_selectorELNS0_4arch9wavefront6targetE0EEEvSK_
; %bb.0:
	.section	.rodata,"a",@progbits
	.p2align	6, 0x0
	.amdhsa_kernel _ZN7rocprim17ROCPRIM_400000_NS6detail17trampoline_kernelINS0_14default_configENS1_38merge_sort_block_merge_config_selectorImNS0_10empty_typeEEEZZNS1_27merge_sort_block_merge_implIS3_N6thrust23THRUST_200600_302600_NS6detail15normal_iteratorINS9_10device_ptrImEEEEPS5_m11less_div_10ImEEE10hipError_tT0_T1_T2_jT3_P12ihipStream_tbPNSt15iterator_traitsISJ_E10value_typeEPNSP_ISK_E10value_typeEPSL_NS1_7vsmem_tEENKUlT_SJ_SK_SL_E_clIPmSE_SF_SF_EESI_SY_SJ_SK_SL_EUlSY_E1_NS1_11comp_targetILNS1_3genE10ELNS1_11target_archE1201ELNS1_3gpuE5ELNS1_3repE0EEENS1_36merge_oddeven_config_static_selectorELNS0_4arch9wavefront6targetE0EEEvSK_
		.amdhsa_group_segment_fixed_size 0
		.amdhsa_private_segment_fixed_size 0
		.amdhsa_kernarg_size 56
		.amdhsa_user_sgpr_count 6
		.amdhsa_user_sgpr_private_segment_buffer 1
		.amdhsa_user_sgpr_dispatch_ptr 0
		.amdhsa_user_sgpr_queue_ptr 0
		.amdhsa_user_sgpr_kernarg_segment_ptr 1
		.amdhsa_user_sgpr_dispatch_id 0
		.amdhsa_user_sgpr_flat_scratch_init 0
		.amdhsa_user_sgpr_private_segment_size 0
		.amdhsa_wavefront_size32 1
		.amdhsa_uses_dynamic_stack 0
		.amdhsa_system_sgpr_private_segment_wavefront_offset 0
		.amdhsa_system_sgpr_workgroup_id_x 1
		.amdhsa_system_sgpr_workgroup_id_y 0
		.amdhsa_system_sgpr_workgroup_id_z 0
		.amdhsa_system_sgpr_workgroup_info 0
		.amdhsa_system_vgpr_workitem_id 0
		.amdhsa_next_free_vgpr 1
		.amdhsa_next_free_sgpr 1
		.amdhsa_reserve_vcc 0
		.amdhsa_reserve_flat_scratch 0
		.amdhsa_float_round_mode_32 0
		.amdhsa_float_round_mode_16_64 0
		.amdhsa_float_denorm_mode_32 3
		.amdhsa_float_denorm_mode_16_64 3
		.amdhsa_dx10_clamp 1
		.amdhsa_ieee_mode 1
		.amdhsa_fp16_overflow 0
		.amdhsa_workgroup_processor_mode 1
		.amdhsa_memory_ordered 1
		.amdhsa_forward_progress 1
		.amdhsa_shared_vgpr_count 0
		.amdhsa_exception_fp_ieee_invalid_op 0
		.amdhsa_exception_fp_denorm_src 0
		.amdhsa_exception_fp_ieee_div_zero 0
		.amdhsa_exception_fp_ieee_overflow 0
		.amdhsa_exception_fp_ieee_underflow 0
		.amdhsa_exception_fp_ieee_inexact 0
		.amdhsa_exception_int_div_zero 0
	.end_amdhsa_kernel
	.section	.text._ZN7rocprim17ROCPRIM_400000_NS6detail17trampoline_kernelINS0_14default_configENS1_38merge_sort_block_merge_config_selectorImNS0_10empty_typeEEEZZNS1_27merge_sort_block_merge_implIS3_N6thrust23THRUST_200600_302600_NS6detail15normal_iteratorINS9_10device_ptrImEEEEPS5_m11less_div_10ImEEE10hipError_tT0_T1_T2_jT3_P12ihipStream_tbPNSt15iterator_traitsISJ_E10value_typeEPNSP_ISK_E10value_typeEPSL_NS1_7vsmem_tEENKUlT_SJ_SK_SL_E_clIPmSE_SF_SF_EESI_SY_SJ_SK_SL_EUlSY_E1_NS1_11comp_targetILNS1_3genE10ELNS1_11target_archE1201ELNS1_3gpuE5ELNS1_3repE0EEENS1_36merge_oddeven_config_static_selectorELNS0_4arch9wavefront6targetE0EEEvSK_,"axG",@progbits,_ZN7rocprim17ROCPRIM_400000_NS6detail17trampoline_kernelINS0_14default_configENS1_38merge_sort_block_merge_config_selectorImNS0_10empty_typeEEEZZNS1_27merge_sort_block_merge_implIS3_N6thrust23THRUST_200600_302600_NS6detail15normal_iteratorINS9_10device_ptrImEEEEPS5_m11less_div_10ImEEE10hipError_tT0_T1_T2_jT3_P12ihipStream_tbPNSt15iterator_traitsISJ_E10value_typeEPNSP_ISK_E10value_typeEPSL_NS1_7vsmem_tEENKUlT_SJ_SK_SL_E_clIPmSE_SF_SF_EESI_SY_SJ_SK_SL_EUlSY_E1_NS1_11comp_targetILNS1_3genE10ELNS1_11target_archE1201ELNS1_3gpuE5ELNS1_3repE0EEENS1_36merge_oddeven_config_static_selectorELNS0_4arch9wavefront6targetE0EEEvSK_,comdat
.Lfunc_end634:
	.size	_ZN7rocprim17ROCPRIM_400000_NS6detail17trampoline_kernelINS0_14default_configENS1_38merge_sort_block_merge_config_selectorImNS0_10empty_typeEEEZZNS1_27merge_sort_block_merge_implIS3_N6thrust23THRUST_200600_302600_NS6detail15normal_iteratorINS9_10device_ptrImEEEEPS5_m11less_div_10ImEEE10hipError_tT0_T1_T2_jT3_P12ihipStream_tbPNSt15iterator_traitsISJ_E10value_typeEPNSP_ISK_E10value_typeEPSL_NS1_7vsmem_tEENKUlT_SJ_SK_SL_E_clIPmSE_SF_SF_EESI_SY_SJ_SK_SL_EUlSY_E1_NS1_11comp_targetILNS1_3genE10ELNS1_11target_archE1201ELNS1_3gpuE5ELNS1_3repE0EEENS1_36merge_oddeven_config_static_selectorELNS0_4arch9wavefront6targetE0EEEvSK_, .Lfunc_end634-_ZN7rocprim17ROCPRIM_400000_NS6detail17trampoline_kernelINS0_14default_configENS1_38merge_sort_block_merge_config_selectorImNS0_10empty_typeEEEZZNS1_27merge_sort_block_merge_implIS3_N6thrust23THRUST_200600_302600_NS6detail15normal_iteratorINS9_10device_ptrImEEEEPS5_m11less_div_10ImEEE10hipError_tT0_T1_T2_jT3_P12ihipStream_tbPNSt15iterator_traitsISJ_E10value_typeEPNSP_ISK_E10value_typeEPSL_NS1_7vsmem_tEENKUlT_SJ_SK_SL_E_clIPmSE_SF_SF_EESI_SY_SJ_SK_SL_EUlSY_E1_NS1_11comp_targetILNS1_3genE10ELNS1_11target_archE1201ELNS1_3gpuE5ELNS1_3repE0EEENS1_36merge_oddeven_config_static_selectorELNS0_4arch9wavefront6targetE0EEEvSK_
                                        ; -- End function
	.set _ZN7rocprim17ROCPRIM_400000_NS6detail17trampoline_kernelINS0_14default_configENS1_38merge_sort_block_merge_config_selectorImNS0_10empty_typeEEEZZNS1_27merge_sort_block_merge_implIS3_N6thrust23THRUST_200600_302600_NS6detail15normal_iteratorINS9_10device_ptrImEEEEPS5_m11less_div_10ImEEE10hipError_tT0_T1_T2_jT3_P12ihipStream_tbPNSt15iterator_traitsISJ_E10value_typeEPNSP_ISK_E10value_typeEPSL_NS1_7vsmem_tEENKUlT_SJ_SK_SL_E_clIPmSE_SF_SF_EESI_SY_SJ_SK_SL_EUlSY_E1_NS1_11comp_targetILNS1_3genE10ELNS1_11target_archE1201ELNS1_3gpuE5ELNS1_3repE0EEENS1_36merge_oddeven_config_static_selectorELNS0_4arch9wavefront6targetE0EEEvSK_.num_vgpr, 0
	.set _ZN7rocprim17ROCPRIM_400000_NS6detail17trampoline_kernelINS0_14default_configENS1_38merge_sort_block_merge_config_selectorImNS0_10empty_typeEEEZZNS1_27merge_sort_block_merge_implIS3_N6thrust23THRUST_200600_302600_NS6detail15normal_iteratorINS9_10device_ptrImEEEEPS5_m11less_div_10ImEEE10hipError_tT0_T1_T2_jT3_P12ihipStream_tbPNSt15iterator_traitsISJ_E10value_typeEPNSP_ISK_E10value_typeEPSL_NS1_7vsmem_tEENKUlT_SJ_SK_SL_E_clIPmSE_SF_SF_EESI_SY_SJ_SK_SL_EUlSY_E1_NS1_11comp_targetILNS1_3genE10ELNS1_11target_archE1201ELNS1_3gpuE5ELNS1_3repE0EEENS1_36merge_oddeven_config_static_selectorELNS0_4arch9wavefront6targetE0EEEvSK_.num_agpr, 0
	.set _ZN7rocprim17ROCPRIM_400000_NS6detail17trampoline_kernelINS0_14default_configENS1_38merge_sort_block_merge_config_selectorImNS0_10empty_typeEEEZZNS1_27merge_sort_block_merge_implIS3_N6thrust23THRUST_200600_302600_NS6detail15normal_iteratorINS9_10device_ptrImEEEEPS5_m11less_div_10ImEEE10hipError_tT0_T1_T2_jT3_P12ihipStream_tbPNSt15iterator_traitsISJ_E10value_typeEPNSP_ISK_E10value_typeEPSL_NS1_7vsmem_tEENKUlT_SJ_SK_SL_E_clIPmSE_SF_SF_EESI_SY_SJ_SK_SL_EUlSY_E1_NS1_11comp_targetILNS1_3genE10ELNS1_11target_archE1201ELNS1_3gpuE5ELNS1_3repE0EEENS1_36merge_oddeven_config_static_selectorELNS0_4arch9wavefront6targetE0EEEvSK_.numbered_sgpr, 0
	.set _ZN7rocprim17ROCPRIM_400000_NS6detail17trampoline_kernelINS0_14default_configENS1_38merge_sort_block_merge_config_selectorImNS0_10empty_typeEEEZZNS1_27merge_sort_block_merge_implIS3_N6thrust23THRUST_200600_302600_NS6detail15normal_iteratorINS9_10device_ptrImEEEEPS5_m11less_div_10ImEEE10hipError_tT0_T1_T2_jT3_P12ihipStream_tbPNSt15iterator_traitsISJ_E10value_typeEPNSP_ISK_E10value_typeEPSL_NS1_7vsmem_tEENKUlT_SJ_SK_SL_E_clIPmSE_SF_SF_EESI_SY_SJ_SK_SL_EUlSY_E1_NS1_11comp_targetILNS1_3genE10ELNS1_11target_archE1201ELNS1_3gpuE5ELNS1_3repE0EEENS1_36merge_oddeven_config_static_selectorELNS0_4arch9wavefront6targetE0EEEvSK_.num_named_barrier, 0
	.set _ZN7rocprim17ROCPRIM_400000_NS6detail17trampoline_kernelINS0_14default_configENS1_38merge_sort_block_merge_config_selectorImNS0_10empty_typeEEEZZNS1_27merge_sort_block_merge_implIS3_N6thrust23THRUST_200600_302600_NS6detail15normal_iteratorINS9_10device_ptrImEEEEPS5_m11less_div_10ImEEE10hipError_tT0_T1_T2_jT3_P12ihipStream_tbPNSt15iterator_traitsISJ_E10value_typeEPNSP_ISK_E10value_typeEPSL_NS1_7vsmem_tEENKUlT_SJ_SK_SL_E_clIPmSE_SF_SF_EESI_SY_SJ_SK_SL_EUlSY_E1_NS1_11comp_targetILNS1_3genE10ELNS1_11target_archE1201ELNS1_3gpuE5ELNS1_3repE0EEENS1_36merge_oddeven_config_static_selectorELNS0_4arch9wavefront6targetE0EEEvSK_.private_seg_size, 0
	.set _ZN7rocprim17ROCPRIM_400000_NS6detail17trampoline_kernelINS0_14default_configENS1_38merge_sort_block_merge_config_selectorImNS0_10empty_typeEEEZZNS1_27merge_sort_block_merge_implIS3_N6thrust23THRUST_200600_302600_NS6detail15normal_iteratorINS9_10device_ptrImEEEEPS5_m11less_div_10ImEEE10hipError_tT0_T1_T2_jT3_P12ihipStream_tbPNSt15iterator_traitsISJ_E10value_typeEPNSP_ISK_E10value_typeEPSL_NS1_7vsmem_tEENKUlT_SJ_SK_SL_E_clIPmSE_SF_SF_EESI_SY_SJ_SK_SL_EUlSY_E1_NS1_11comp_targetILNS1_3genE10ELNS1_11target_archE1201ELNS1_3gpuE5ELNS1_3repE0EEENS1_36merge_oddeven_config_static_selectorELNS0_4arch9wavefront6targetE0EEEvSK_.uses_vcc, 0
	.set _ZN7rocprim17ROCPRIM_400000_NS6detail17trampoline_kernelINS0_14default_configENS1_38merge_sort_block_merge_config_selectorImNS0_10empty_typeEEEZZNS1_27merge_sort_block_merge_implIS3_N6thrust23THRUST_200600_302600_NS6detail15normal_iteratorINS9_10device_ptrImEEEEPS5_m11less_div_10ImEEE10hipError_tT0_T1_T2_jT3_P12ihipStream_tbPNSt15iterator_traitsISJ_E10value_typeEPNSP_ISK_E10value_typeEPSL_NS1_7vsmem_tEENKUlT_SJ_SK_SL_E_clIPmSE_SF_SF_EESI_SY_SJ_SK_SL_EUlSY_E1_NS1_11comp_targetILNS1_3genE10ELNS1_11target_archE1201ELNS1_3gpuE5ELNS1_3repE0EEENS1_36merge_oddeven_config_static_selectorELNS0_4arch9wavefront6targetE0EEEvSK_.uses_flat_scratch, 0
	.set _ZN7rocprim17ROCPRIM_400000_NS6detail17trampoline_kernelINS0_14default_configENS1_38merge_sort_block_merge_config_selectorImNS0_10empty_typeEEEZZNS1_27merge_sort_block_merge_implIS3_N6thrust23THRUST_200600_302600_NS6detail15normal_iteratorINS9_10device_ptrImEEEEPS5_m11less_div_10ImEEE10hipError_tT0_T1_T2_jT3_P12ihipStream_tbPNSt15iterator_traitsISJ_E10value_typeEPNSP_ISK_E10value_typeEPSL_NS1_7vsmem_tEENKUlT_SJ_SK_SL_E_clIPmSE_SF_SF_EESI_SY_SJ_SK_SL_EUlSY_E1_NS1_11comp_targetILNS1_3genE10ELNS1_11target_archE1201ELNS1_3gpuE5ELNS1_3repE0EEENS1_36merge_oddeven_config_static_selectorELNS0_4arch9wavefront6targetE0EEEvSK_.has_dyn_sized_stack, 0
	.set _ZN7rocprim17ROCPRIM_400000_NS6detail17trampoline_kernelINS0_14default_configENS1_38merge_sort_block_merge_config_selectorImNS0_10empty_typeEEEZZNS1_27merge_sort_block_merge_implIS3_N6thrust23THRUST_200600_302600_NS6detail15normal_iteratorINS9_10device_ptrImEEEEPS5_m11less_div_10ImEEE10hipError_tT0_T1_T2_jT3_P12ihipStream_tbPNSt15iterator_traitsISJ_E10value_typeEPNSP_ISK_E10value_typeEPSL_NS1_7vsmem_tEENKUlT_SJ_SK_SL_E_clIPmSE_SF_SF_EESI_SY_SJ_SK_SL_EUlSY_E1_NS1_11comp_targetILNS1_3genE10ELNS1_11target_archE1201ELNS1_3gpuE5ELNS1_3repE0EEENS1_36merge_oddeven_config_static_selectorELNS0_4arch9wavefront6targetE0EEEvSK_.has_recursion, 0
	.set _ZN7rocprim17ROCPRIM_400000_NS6detail17trampoline_kernelINS0_14default_configENS1_38merge_sort_block_merge_config_selectorImNS0_10empty_typeEEEZZNS1_27merge_sort_block_merge_implIS3_N6thrust23THRUST_200600_302600_NS6detail15normal_iteratorINS9_10device_ptrImEEEEPS5_m11less_div_10ImEEE10hipError_tT0_T1_T2_jT3_P12ihipStream_tbPNSt15iterator_traitsISJ_E10value_typeEPNSP_ISK_E10value_typeEPSL_NS1_7vsmem_tEENKUlT_SJ_SK_SL_E_clIPmSE_SF_SF_EESI_SY_SJ_SK_SL_EUlSY_E1_NS1_11comp_targetILNS1_3genE10ELNS1_11target_archE1201ELNS1_3gpuE5ELNS1_3repE0EEENS1_36merge_oddeven_config_static_selectorELNS0_4arch9wavefront6targetE0EEEvSK_.has_indirect_call, 0
	.section	.AMDGPU.csdata,"",@progbits
; Kernel info:
; codeLenInByte = 0
; TotalNumSgprs: 0
; NumVgprs: 0
; ScratchSize: 0
; MemoryBound: 0
; FloatMode: 240
; IeeeMode: 1
; LDSByteSize: 0 bytes/workgroup (compile time only)
; SGPRBlocks: 0
; VGPRBlocks: 0
; NumSGPRsForWavesPerEU: 1
; NumVGPRsForWavesPerEU: 1
; Occupancy: 16
; WaveLimiterHint : 0
; COMPUTE_PGM_RSRC2:SCRATCH_EN: 0
; COMPUTE_PGM_RSRC2:USER_SGPR: 6
; COMPUTE_PGM_RSRC2:TRAP_HANDLER: 0
; COMPUTE_PGM_RSRC2:TGID_X_EN: 1
; COMPUTE_PGM_RSRC2:TGID_Y_EN: 0
; COMPUTE_PGM_RSRC2:TGID_Z_EN: 0
; COMPUTE_PGM_RSRC2:TIDIG_COMP_CNT: 0
	.section	.text._ZN7rocprim17ROCPRIM_400000_NS6detail17trampoline_kernelINS0_14default_configENS1_38merge_sort_block_merge_config_selectorImNS0_10empty_typeEEEZZNS1_27merge_sort_block_merge_implIS3_N6thrust23THRUST_200600_302600_NS6detail15normal_iteratorINS9_10device_ptrImEEEEPS5_m11less_div_10ImEEE10hipError_tT0_T1_T2_jT3_P12ihipStream_tbPNSt15iterator_traitsISJ_E10value_typeEPNSP_ISK_E10value_typeEPSL_NS1_7vsmem_tEENKUlT_SJ_SK_SL_E_clIPmSE_SF_SF_EESI_SY_SJ_SK_SL_EUlSY_E1_NS1_11comp_targetILNS1_3genE5ELNS1_11target_archE942ELNS1_3gpuE9ELNS1_3repE0EEENS1_36merge_oddeven_config_static_selectorELNS0_4arch9wavefront6targetE0EEEvSK_,"axG",@progbits,_ZN7rocprim17ROCPRIM_400000_NS6detail17trampoline_kernelINS0_14default_configENS1_38merge_sort_block_merge_config_selectorImNS0_10empty_typeEEEZZNS1_27merge_sort_block_merge_implIS3_N6thrust23THRUST_200600_302600_NS6detail15normal_iteratorINS9_10device_ptrImEEEEPS5_m11less_div_10ImEEE10hipError_tT0_T1_T2_jT3_P12ihipStream_tbPNSt15iterator_traitsISJ_E10value_typeEPNSP_ISK_E10value_typeEPSL_NS1_7vsmem_tEENKUlT_SJ_SK_SL_E_clIPmSE_SF_SF_EESI_SY_SJ_SK_SL_EUlSY_E1_NS1_11comp_targetILNS1_3genE5ELNS1_11target_archE942ELNS1_3gpuE9ELNS1_3repE0EEENS1_36merge_oddeven_config_static_selectorELNS0_4arch9wavefront6targetE0EEEvSK_,comdat
	.protected	_ZN7rocprim17ROCPRIM_400000_NS6detail17trampoline_kernelINS0_14default_configENS1_38merge_sort_block_merge_config_selectorImNS0_10empty_typeEEEZZNS1_27merge_sort_block_merge_implIS3_N6thrust23THRUST_200600_302600_NS6detail15normal_iteratorINS9_10device_ptrImEEEEPS5_m11less_div_10ImEEE10hipError_tT0_T1_T2_jT3_P12ihipStream_tbPNSt15iterator_traitsISJ_E10value_typeEPNSP_ISK_E10value_typeEPSL_NS1_7vsmem_tEENKUlT_SJ_SK_SL_E_clIPmSE_SF_SF_EESI_SY_SJ_SK_SL_EUlSY_E1_NS1_11comp_targetILNS1_3genE5ELNS1_11target_archE942ELNS1_3gpuE9ELNS1_3repE0EEENS1_36merge_oddeven_config_static_selectorELNS0_4arch9wavefront6targetE0EEEvSK_ ; -- Begin function _ZN7rocprim17ROCPRIM_400000_NS6detail17trampoline_kernelINS0_14default_configENS1_38merge_sort_block_merge_config_selectorImNS0_10empty_typeEEEZZNS1_27merge_sort_block_merge_implIS3_N6thrust23THRUST_200600_302600_NS6detail15normal_iteratorINS9_10device_ptrImEEEEPS5_m11less_div_10ImEEE10hipError_tT0_T1_T2_jT3_P12ihipStream_tbPNSt15iterator_traitsISJ_E10value_typeEPNSP_ISK_E10value_typeEPSL_NS1_7vsmem_tEENKUlT_SJ_SK_SL_E_clIPmSE_SF_SF_EESI_SY_SJ_SK_SL_EUlSY_E1_NS1_11comp_targetILNS1_3genE5ELNS1_11target_archE942ELNS1_3gpuE9ELNS1_3repE0EEENS1_36merge_oddeven_config_static_selectorELNS0_4arch9wavefront6targetE0EEEvSK_
	.globl	_ZN7rocprim17ROCPRIM_400000_NS6detail17trampoline_kernelINS0_14default_configENS1_38merge_sort_block_merge_config_selectorImNS0_10empty_typeEEEZZNS1_27merge_sort_block_merge_implIS3_N6thrust23THRUST_200600_302600_NS6detail15normal_iteratorINS9_10device_ptrImEEEEPS5_m11less_div_10ImEEE10hipError_tT0_T1_T2_jT3_P12ihipStream_tbPNSt15iterator_traitsISJ_E10value_typeEPNSP_ISK_E10value_typeEPSL_NS1_7vsmem_tEENKUlT_SJ_SK_SL_E_clIPmSE_SF_SF_EESI_SY_SJ_SK_SL_EUlSY_E1_NS1_11comp_targetILNS1_3genE5ELNS1_11target_archE942ELNS1_3gpuE9ELNS1_3repE0EEENS1_36merge_oddeven_config_static_selectorELNS0_4arch9wavefront6targetE0EEEvSK_
	.p2align	8
	.type	_ZN7rocprim17ROCPRIM_400000_NS6detail17trampoline_kernelINS0_14default_configENS1_38merge_sort_block_merge_config_selectorImNS0_10empty_typeEEEZZNS1_27merge_sort_block_merge_implIS3_N6thrust23THRUST_200600_302600_NS6detail15normal_iteratorINS9_10device_ptrImEEEEPS5_m11less_div_10ImEEE10hipError_tT0_T1_T2_jT3_P12ihipStream_tbPNSt15iterator_traitsISJ_E10value_typeEPNSP_ISK_E10value_typeEPSL_NS1_7vsmem_tEENKUlT_SJ_SK_SL_E_clIPmSE_SF_SF_EESI_SY_SJ_SK_SL_EUlSY_E1_NS1_11comp_targetILNS1_3genE5ELNS1_11target_archE942ELNS1_3gpuE9ELNS1_3repE0EEENS1_36merge_oddeven_config_static_selectorELNS0_4arch9wavefront6targetE0EEEvSK_,@function
_ZN7rocprim17ROCPRIM_400000_NS6detail17trampoline_kernelINS0_14default_configENS1_38merge_sort_block_merge_config_selectorImNS0_10empty_typeEEEZZNS1_27merge_sort_block_merge_implIS3_N6thrust23THRUST_200600_302600_NS6detail15normal_iteratorINS9_10device_ptrImEEEEPS5_m11less_div_10ImEEE10hipError_tT0_T1_T2_jT3_P12ihipStream_tbPNSt15iterator_traitsISJ_E10value_typeEPNSP_ISK_E10value_typeEPSL_NS1_7vsmem_tEENKUlT_SJ_SK_SL_E_clIPmSE_SF_SF_EESI_SY_SJ_SK_SL_EUlSY_E1_NS1_11comp_targetILNS1_3genE5ELNS1_11target_archE942ELNS1_3gpuE9ELNS1_3repE0EEENS1_36merge_oddeven_config_static_selectorELNS0_4arch9wavefront6targetE0EEEvSK_: ; @_ZN7rocprim17ROCPRIM_400000_NS6detail17trampoline_kernelINS0_14default_configENS1_38merge_sort_block_merge_config_selectorImNS0_10empty_typeEEEZZNS1_27merge_sort_block_merge_implIS3_N6thrust23THRUST_200600_302600_NS6detail15normal_iteratorINS9_10device_ptrImEEEEPS5_m11less_div_10ImEEE10hipError_tT0_T1_T2_jT3_P12ihipStream_tbPNSt15iterator_traitsISJ_E10value_typeEPNSP_ISK_E10value_typeEPSL_NS1_7vsmem_tEENKUlT_SJ_SK_SL_E_clIPmSE_SF_SF_EESI_SY_SJ_SK_SL_EUlSY_E1_NS1_11comp_targetILNS1_3genE5ELNS1_11target_archE942ELNS1_3gpuE9ELNS1_3repE0EEENS1_36merge_oddeven_config_static_selectorELNS0_4arch9wavefront6targetE0EEEvSK_
; %bb.0:
	.section	.rodata,"a",@progbits
	.p2align	6, 0x0
	.amdhsa_kernel _ZN7rocprim17ROCPRIM_400000_NS6detail17trampoline_kernelINS0_14default_configENS1_38merge_sort_block_merge_config_selectorImNS0_10empty_typeEEEZZNS1_27merge_sort_block_merge_implIS3_N6thrust23THRUST_200600_302600_NS6detail15normal_iteratorINS9_10device_ptrImEEEEPS5_m11less_div_10ImEEE10hipError_tT0_T1_T2_jT3_P12ihipStream_tbPNSt15iterator_traitsISJ_E10value_typeEPNSP_ISK_E10value_typeEPSL_NS1_7vsmem_tEENKUlT_SJ_SK_SL_E_clIPmSE_SF_SF_EESI_SY_SJ_SK_SL_EUlSY_E1_NS1_11comp_targetILNS1_3genE5ELNS1_11target_archE942ELNS1_3gpuE9ELNS1_3repE0EEENS1_36merge_oddeven_config_static_selectorELNS0_4arch9wavefront6targetE0EEEvSK_
		.amdhsa_group_segment_fixed_size 0
		.amdhsa_private_segment_fixed_size 0
		.amdhsa_kernarg_size 56
		.amdhsa_user_sgpr_count 6
		.amdhsa_user_sgpr_private_segment_buffer 1
		.amdhsa_user_sgpr_dispatch_ptr 0
		.amdhsa_user_sgpr_queue_ptr 0
		.amdhsa_user_sgpr_kernarg_segment_ptr 1
		.amdhsa_user_sgpr_dispatch_id 0
		.amdhsa_user_sgpr_flat_scratch_init 0
		.amdhsa_user_sgpr_private_segment_size 0
		.amdhsa_wavefront_size32 1
		.amdhsa_uses_dynamic_stack 0
		.amdhsa_system_sgpr_private_segment_wavefront_offset 0
		.amdhsa_system_sgpr_workgroup_id_x 1
		.amdhsa_system_sgpr_workgroup_id_y 0
		.amdhsa_system_sgpr_workgroup_id_z 0
		.amdhsa_system_sgpr_workgroup_info 0
		.amdhsa_system_vgpr_workitem_id 0
		.amdhsa_next_free_vgpr 1
		.amdhsa_next_free_sgpr 1
		.amdhsa_reserve_vcc 0
		.amdhsa_reserve_flat_scratch 0
		.amdhsa_float_round_mode_32 0
		.amdhsa_float_round_mode_16_64 0
		.amdhsa_float_denorm_mode_32 3
		.amdhsa_float_denorm_mode_16_64 3
		.amdhsa_dx10_clamp 1
		.amdhsa_ieee_mode 1
		.amdhsa_fp16_overflow 0
		.amdhsa_workgroup_processor_mode 1
		.amdhsa_memory_ordered 1
		.amdhsa_forward_progress 1
		.amdhsa_shared_vgpr_count 0
		.amdhsa_exception_fp_ieee_invalid_op 0
		.amdhsa_exception_fp_denorm_src 0
		.amdhsa_exception_fp_ieee_div_zero 0
		.amdhsa_exception_fp_ieee_overflow 0
		.amdhsa_exception_fp_ieee_underflow 0
		.amdhsa_exception_fp_ieee_inexact 0
		.amdhsa_exception_int_div_zero 0
	.end_amdhsa_kernel
	.section	.text._ZN7rocprim17ROCPRIM_400000_NS6detail17trampoline_kernelINS0_14default_configENS1_38merge_sort_block_merge_config_selectorImNS0_10empty_typeEEEZZNS1_27merge_sort_block_merge_implIS3_N6thrust23THRUST_200600_302600_NS6detail15normal_iteratorINS9_10device_ptrImEEEEPS5_m11less_div_10ImEEE10hipError_tT0_T1_T2_jT3_P12ihipStream_tbPNSt15iterator_traitsISJ_E10value_typeEPNSP_ISK_E10value_typeEPSL_NS1_7vsmem_tEENKUlT_SJ_SK_SL_E_clIPmSE_SF_SF_EESI_SY_SJ_SK_SL_EUlSY_E1_NS1_11comp_targetILNS1_3genE5ELNS1_11target_archE942ELNS1_3gpuE9ELNS1_3repE0EEENS1_36merge_oddeven_config_static_selectorELNS0_4arch9wavefront6targetE0EEEvSK_,"axG",@progbits,_ZN7rocprim17ROCPRIM_400000_NS6detail17trampoline_kernelINS0_14default_configENS1_38merge_sort_block_merge_config_selectorImNS0_10empty_typeEEEZZNS1_27merge_sort_block_merge_implIS3_N6thrust23THRUST_200600_302600_NS6detail15normal_iteratorINS9_10device_ptrImEEEEPS5_m11less_div_10ImEEE10hipError_tT0_T1_T2_jT3_P12ihipStream_tbPNSt15iterator_traitsISJ_E10value_typeEPNSP_ISK_E10value_typeEPSL_NS1_7vsmem_tEENKUlT_SJ_SK_SL_E_clIPmSE_SF_SF_EESI_SY_SJ_SK_SL_EUlSY_E1_NS1_11comp_targetILNS1_3genE5ELNS1_11target_archE942ELNS1_3gpuE9ELNS1_3repE0EEENS1_36merge_oddeven_config_static_selectorELNS0_4arch9wavefront6targetE0EEEvSK_,comdat
.Lfunc_end635:
	.size	_ZN7rocprim17ROCPRIM_400000_NS6detail17trampoline_kernelINS0_14default_configENS1_38merge_sort_block_merge_config_selectorImNS0_10empty_typeEEEZZNS1_27merge_sort_block_merge_implIS3_N6thrust23THRUST_200600_302600_NS6detail15normal_iteratorINS9_10device_ptrImEEEEPS5_m11less_div_10ImEEE10hipError_tT0_T1_T2_jT3_P12ihipStream_tbPNSt15iterator_traitsISJ_E10value_typeEPNSP_ISK_E10value_typeEPSL_NS1_7vsmem_tEENKUlT_SJ_SK_SL_E_clIPmSE_SF_SF_EESI_SY_SJ_SK_SL_EUlSY_E1_NS1_11comp_targetILNS1_3genE5ELNS1_11target_archE942ELNS1_3gpuE9ELNS1_3repE0EEENS1_36merge_oddeven_config_static_selectorELNS0_4arch9wavefront6targetE0EEEvSK_, .Lfunc_end635-_ZN7rocprim17ROCPRIM_400000_NS6detail17trampoline_kernelINS0_14default_configENS1_38merge_sort_block_merge_config_selectorImNS0_10empty_typeEEEZZNS1_27merge_sort_block_merge_implIS3_N6thrust23THRUST_200600_302600_NS6detail15normal_iteratorINS9_10device_ptrImEEEEPS5_m11less_div_10ImEEE10hipError_tT0_T1_T2_jT3_P12ihipStream_tbPNSt15iterator_traitsISJ_E10value_typeEPNSP_ISK_E10value_typeEPSL_NS1_7vsmem_tEENKUlT_SJ_SK_SL_E_clIPmSE_SF_SF_EESI_SY_SJ_SK_SL_EUlSY_E1_NS1_11comp_targetILNS1_3genE5ELNS1_11target_archE942ELNS1_3gpuE9ELNS1_3repE0EEENS1_36merge_oddeven_config_static_selectorELNS0_4arch9wavefront6targetE0EEEvSK_
                                        ; -- End function
	.set _ZN7rocprim17ROCPRIM_400000_NS6detail17trampoline_kernelINS0_14default_configENS1_38merge_sort_block_merge_config_selectorImNS0_10empty_typeEEEZZNS1_27merge_sort_block_merge_implIS3_N6thrust23THRUST_200600_302600_NS6detail15normal_iteratorINS9_10device_ptrImEEEEPS5_m11less_div_10ImEEE10hipError_tT0_T1_T2_jT3_P12ihipStream_tbPNSt15iterator_traitsISJ_E10value_typeEPNSP_ISK_E10value_typeEPSL_NS1_7vsmem_tEENKUlT_SJ_SK_SL_E_clIPmSE_SF_SF_EESI_SY_SJ_SK_SL_EUlSY_E1_NS1_11comp_targetILNS1_3genE5ELNS1_11target_archE942ELNS1_3gpuE9ELNS1_3repE0EEENS1_36merge_oddeven_config_static_selectorELNS0_4arch9wavefront6targetE0EEEvSK_.num_vgpr, 0
	.set _ZN7rocprim17ROCPRIM_400000_NS6detail17trampoline_kernelINS0_14default_configENS1_38merge_sort_block_merge_config_selectorImNS0_10empty_typeEEEZZNS1_27merge_sort_block_merge_implIS3_N6thrust23THRUST_200600_302600_NS6detail15normal_iteratorINS9_10device_ptrImEEEEPS5_m11less_div_10ImEEE10hipError_tT0_T1_T2_jT3_P12ihipStream_tbPNSt15iterator_traitsISJ_E10value_typeEPNSP_ISK_E10value_typeEPSL_NS1_7vsmem_tEENKUlT_SJ_SK_SL_E_clIPmSE_SF_SF_EESI_SY_SJ_SK_SL_EUlSY_E1_NS1_11comp_targetILNS1_3genE5ELNS1_11target_archE942ELNS1_3gpuE9ELNS1_3repE0EEENS1_36merge_oddeven_config_static_selectorELNS0_4arch9wavefront6targetE0EEEvSK_.num_agpr, 0
	.set _ZN7rocprim17ROCPRIM_400000_NS6detail17trampoline_kernelINS0_14default_configENS1_38merge_sort_block_merge_config_selectorImNS0_10empty_typeEEEZZNS1_27merge_sort_block_merge_implIS3_N6thrust23THRUST_200600_302600_NS6detail15normal_iteratorINS9_10device_ptrImEEEEPS5_m11less_div_10ImEEE10hipError_tT0_T1_T2_jT3_P12ihipStream_tbPNSt15iterator_traitsISJ_E10value_typeEPNSP_ISK_E10value_typeEPSL_NS1_7vsmem_tEENKUlT_SJ_SK_SL_E_clIPmSE_SF_SF_EESI_SY_SJ_SK_SL_EUlSY_E1_NS1_11comp_targetILNS1_3genE5ELNS1_11target_archE942ELNS1_3gpuE9ELNS1_3repE0EEENS1_36merge_oddeven_config_static_selectorELNS0_4arch9wavefront6targetE0EEEvSK_.numbered_sgpr, 0
	.set _ZN7rocprim17ROCPRIM_400000_NS6detail17trampoline_kernelINS0_14default_configENS1_38merge_sort_block_merge_config_selectorImNS0_10empty_typeEEEZZNS1_27merge_sort_block_merge_implIS3_N6thrust23THRUST_200600_302600_NS6detail15normal_iteratorINS9_10device_ptrImEEEEPS5_m11less_div_10ImEEE10hipError_tT0_T1_T2_jT3_P12ihipStream_tbPNSt15iterator_traitsISJ_E10value_typeEPNSP_ISK_E10value_typeEPSL_NS1_7vsmem_tEENKUlT_SJ_SK_SL_E_clIPmSE_SF_SF_EESI_SY_SJ_SK_SL_EUlSY_E1_NS1_11comp_targetILNS1_3genE5ELNS1_11target_archE942ELNS1_3gpuE9ELNS1_3repE0EEENS1_36merge_oddeven_config_static_selectorELNS0_4arch9wavefront6targetE0EEEvSK_.num_named_barrier, 0
	.set _ZN7rocprim17ROCPRIM_400000_NS6detail17trampoline_kernelINS0_14default_configENS1_38merge_sort_block_merge_config_selectorImNS0_10empty_typeEEEZZNS1_27merge_sort_block_merge_implIS3_N6thrust23THRUST_200600_302600_NS6detail15normal_iteratorINS9_10device_ptrImEEEEPS5_m11less_div_10ImEEE10hipError_tT0_T1_T2_jT3_P12ihipStream_tbPNSt15iterator_traitsISJ_E10value_typeEPNSP_ISK_E10value_typeEPSL_NS1_7vsmem_tEENKUlT_SJ_SK_SL_E_clIPmSE_SF_SF_EESI_SY_SJ_SK_SL_EUlSY_E1_NS1_11comp_targetILNS1_3genE5ELNS1_11target_archE942ELNS1_3gpuE9ELNS1_3repE0EEENS1_36merge_oddeven_config_static_selectorELNS0_4arch9wavefront6targetE0EEEvSK_.private_seg_size, 0
	.set _ZN7rocprim17ROCPRIM_400000_NS6detail17trampoline_kernelINS0_14default_configENS1_38merge_sort_block_merge_config_selectorImNS0_10empty_typeEEEZZNS1_27merge_sort_block_merge_implIS3_N6thrust23THRUST_200600_302600_NS6detail15normal_iteratorINS9_10device_ptrImEEEEPS5_m11less_div_10ImEEE10hipError_tT0_T1_T2_jT3_P12ihipStream_tbPNSt15iterator_traitsISJ_E10value_typeEPNSP_ISK_E10value_typeEPSL_NS1_7vsmem_tEENKUlT_SJ_SK_SL_E_clIPmSE_SF_SF_EESI_SY_SJ_SK_SL_EUlSY_E1_NS1_11comp_targetILNS1_3genE5ELNS1_11target_archE942ELNS1_3gpuE9ELNS1_3repE0EEENS1_36merge_oddeven_config_static_selectorELNS0_4arch9wavefront6targetE0EEEvSK_.uses_vcc, 0
	.set _ZN7rocprim17ROCPRIM_400000_NS6detail17trampoline_kernelINS0_14default_configENS1_38merge_sort_block_merge_config_selectorImNS0_10empty_typeEEEZZNS1_27merge_sort_block_merge_implIS3_N6thrust23THRUST_200600_302600_NS6detail15normal_iteratorINS9_10device_ptrImEEEEPS5_m11less_div_10ImEEE10hipError_tT0_T1_T2_jT3_P12ihipStream_tbPNSt15iterator_traitsISJ_E10value_typeEPNSP_ISK_E10value_typeEPSL_NS1_7vsmem_tEENKUlT_SJ_SK_SL_E_clIPmSE_SF_SF_EESI_SY_SJ_SK_SL_EUlSY_E1_NS1_11comp_targetILNS1_3genE5ELNS1_11target_archE942ELNS1_3gpuE9ELNS1_3repE0EEENS1_36merge_oddeven_config_static_selectorELNS0_4arch9wavefront6targetE0EEEvSK_.uses_flat_scratch, 0
	.set _ZN7rocprim17ROCPRIM_400000_NS6detail17trampoline_kernelINS0_14default_configENS1_38merge_sort_block_merge_config_selectorImNS0_10empty_typeEEEZZNS1_27merge_sort_block_merge_implIS3_N6thrust23THRUST_200600_302600_NS6detail15normal_iteratorINS9_10device_ptrImEEEEPS5_m11less_div_10ImEEE10hipError_tT0_T1_T2_jT3_P12ihipStream_tbPNSt15iterator_traitsISJ_E10value_typeEPNSP_ISK_E10value_typeEPSL_NS1_7vsmem_tEENKUlT_SJ_SK_SL_E_clIPmSE_SF_SF_EESI_SY_SJ_SK_SL_EUlSY_E1_NS1_11comp_targetILNS1_3genE5ELNS1_11target_archE942ELNS1_3gpuE9ELNS1_3repE0EEENS1_36merge_oddeven_config_static_selectorELNS0_4arch9wavefront6targetE0EEEvSK_.has_dyn_sized_stack, 0
	.set _ZN7rocprim17ROCPRIM_400000_NS6detail17trampoline_kernelINS0_14default_configENS1_38merge_sort_block_merge_config_selectorImNS0_10empty_typeEEEZZNS1_27merge_sort_block_merge_implIS3_N6thrust23THRUST_200600_302600_NS6detail15normal_iteratorINS9_10device_ptrImEEEEPS5_m11less_div_10ImEEE10hipError_tT0_T1_T2_jT3_P12ihipStream_tbPNSt15iterator_traitsISJ_E10value_typeEPNSP_ISK_E10value_typeEPSL_NS1_7vsmem_tEENKUlT_SJ_SK_SL_E_clIPmSE_SF_SF_EESI_SY_SJ_SK_SL_EUlSY_E1_NS1_11comp_targetILNS1_3genE5ELNS1_11target_archE942ELNS1_3gpuE9ELNS1_3repE0EEENS1_36merge_oddeven_config_static_selectorELNS0_4arch9wavefront6targetE0EEEvSK_.has_recursion, 0
	.set _ZN7rocprim17ROCPRIM_400000_NS6detail17trampoline_kernelINS0_14default_configENS1_38merge_sort_block_merge_config_selectorImNS0_10empty_typeEEEZZNS1_27merge_sort_block_merge_implIS3_N6thrust23THRUST_200600_302600_NS6detail15normal_iteratorINS9_10device_ptrImEEEEPS5_m11less_div_10ImEEE10hipError_tT0_T1_T2_jT3_P12ihipStream_tbPNSt15iterator_traitsISJ_E10value_typeEPNSP_ISK_E10value_typeEPSL_NS1_7vsmem_tEENKUlT_SJ_SK_SL_E_clIPmSE_SF_SF_EESI_SY_SJ_SK_SL_EUlSY_E1_NS1_11comp_targetILNS1_3genE5ELNS1_11target_archE942ELNS1_3gpuE9ELNS1_3repE0EEENS1_36merge_oddeven_config_static_selectorELNS0_4arch9wavefront6targetE0EEEvSK_.has_indirect_call, 0
	.section	.AMDGPU.csdata,"",@progbits
; Kernel info:
; codeLenInByte = 0
; TotalNumSgprs: 0
; NumVgprs: 0
; ScratchSize: 0
; MemoryBound: 0
; FloatMode: 240
; IeeeMode: 1
; LDSByteSize: 0 bytes/workgroup (compile time only)
; SGPRBlocks: 0
; VGPRBlocks: 0
; NumSGPRsForWavesPerEU: 1
; NumVGPRsForWavesPerEU: 1
; Occupancy: 16
; WaveLimiterHint : 0
; COMPUTE_PGM_RSRC2:SCRATCH_EN: 0
; COMPUTE_PGM_RSRC2:USER_SGPR: 6
; COMPUTE_PGM_RSRC2:TRAP_HANDLER: 0
; COMPUTE_PGM_RSRC2:TGID_X_EN: 1
; COMPUTE_PGM_RSRC2:TGID_Y_EN: 0
; COMPUTE_PGM_RSRC2:TGID_Z_EN: 0
; COMPUTE_PGM_RSRC2:TIDIG_COMP_CNT: 0
	.section	.text._ZN7rocprim17ROCPRIM_400000_NS6detail17trampoline_kernelINS0_14default_configENS1_38merge_sort_block_merge_config_selectorImNS0_10empty_typeEEEZZNS1_27merge_sort_block_merge_implIS3_N6thrust23THRUST_200600_302600_NS6detail15normal_iteratorINS9_10device_ptrImEEEEPS5_m11less_div_10ImEEE10hipError_tT0_T1_T2_jT3_P12ihipStream_tbPNSt15iterator_traitsISJ_E10value_typeEPNSP_ISK_E10value_typeEPSL_NS1_7vsmem_tEENKUlT_SJ_SK_SL_E_clIPmSE_SF_SF_EESI_SY_SJ_SK_SL_EUlSY_E1_NS1_11comp_targetILNS1_3genE4ELNS1_11target_archE910ELNS1_3gpuE8ELNS1_3repE0EEENS1_36merge_oddeven_config_static_selectorELNS0_4arch9wavefront6targetE0EEEvSK_,"axG",@progbits,_ZN7rocprim17ROCPRIM_400000_NS6detail17trampoline_kernelINS0_14default_configENS1_38merge_sort_block_merge_config_selectorImNS0_10empty_typeEEEZZNS1_27merge_sort_block_merge_implIS3_N6thrust23THRUST_200600_302600_NS6detail15normal_iteratorINS9_10device_ptrImEEEEPS5_m11less_div_10ImEEE10hipError_tT0_T1_T2_jT3_P12ihipStream_tbPNSt15iterator_traitsISJ_E10value_typeEPNSP_ISK_E10value_typeEPSL_NS1_7vsmem_tEENKUlT_SJ_SK_SL_E_clIPmSE_SF_SF_EESI_SY_SJ_SK_SL_EUlSY_E1_NS1_11comp_targetILNS1_3genE4ELNS1_11target_archE910ELNS1_3gpuE8ELNS1_3repE0EEENS1_36merge_oddeven_config_static_selectorELNS0_4arch9wavefront6targetE0EEEvSK_,comdat
	.protected	_ZN7rocprim17ROCPRIM_400000_NS6detail17trampoline_kernelINS0_14default_configENS1_38merge_sort_block_merge_config_selectorImNS0_10empty_typeEEEZZNS1_27merge_sort_block_merge_implIS3_N6thrust23THRUST_200600_302600_NS6detail15normal_iteratorINS9_10device_ptrImEEEEPS5_m11less_div_10ImEEE10hipError_tT0_T1_T2_jT3_P12ihipStream_tbPNSt15iterator_traitsISJ_E10value_typeEPNSP_ISK_E10value_typeEPSL_NS1_7vsmem_tEENKUlT_SJ_SK_SL_E_clIPmSE_SF_SF_EESI_SY_SJ_SK_SL_EUlSY_E1_NS1_11comp_targetILNS1_3genE4ELNS1_11target_archE910ELNS1_3gpuE8ELNS1_3repE0EEENS1_36merge_oddeven_config_static_selectorELNS0_4arch9wavefront6targetE0EEEvSK_ ; -- Begin function _ZN7rocprim17ROCPRIM_400000_NS6detail17trampoline_kernelINS0_14default_configENS1_38merge_sort_block_merge_config_selectorImNS0_10empty_typeEEEZZNS1_27merge_sort_block_merge_implIS3_N6thrust23THRUST_200600_302600_NS6detail15normal_iteratorINS9_10device_ptrImEEEEPS5_m11less_div_10ImEEE10hipError_tT0_T1_T2_jT3_P12ihipStream_tbPNSt15iterator_traitsISJ_E10value_typeEPNSP_ISK_E10value_typeEPSL_NS1_7vsmem_tEENKUlT_SJ_SK_SL_E_clIPmSE_SF_SF_EESI_SY_SJ_SK_SL_EUlSY_E1_NS1_11comp_targetILNS1_3genE4ELNS1_11target_archE910ELNS1_3gpuE8ELNS1_3repE0EEENS1_36merge_oddeven_config_static_selectorELNS0_4arch9wavefront6targetE0EEEvSK_
	.globl	_ZN7rocprim17ROCPRIM_400000_NS6detail17trampoline_kernelINS0_14default_configENS1_38merge_sort_block_merge_config_selectorImNS0_10empty_typeEEEZZNS1_27merge_sort_block_merge_implIS3_N6thrust23THRUST_200600_302600_NS6detail15normal_iteratorINS9_10device_ptrImEEEEPS5_m11less_div_10ImEEE10hipError_tT0_T1_T2_jT3_P12ihipStream_tbPNSt15iterator_traitsISJ_E10value_typeEPNSP_ISK_E10value_typeEPSL_NS1_7vsmem_tEENKUlT_SJ_SK_SL_E_clIPmSE_SF_SF_EESI_SY_SJ_SK_SL_EUlSY_E1_NS1_11comp_targetILNS1_3genE4ELNS1_11target_archE910ELNS1_3gpuE8ELNS1_3repE0EEENS1_36merge_oddeven_config_static_selectorELNS0_4arch9wavefront6targetE0EEEvSK_
	.p2align	8
	.type	_ZN7rocprim17ROCPRIM_400000_NS6detail17trampoline_kernelINS0_14default_configENS1_38merge_sort_block_merge_config_selectorImNS0_10empty_typeEEEZZNS1_27merge_sort_block_merge_implIS3_N6thrust23THRUST_200600_302600_NS6detail15normal_iteratorINS9_10device_ptrImEEEEPS5_m11less_div_10ImEEE10hipError_tT0_T1_T2_jT3_P12ihipStream_tbPNSt15iterator_traitsISJ_E10value_typeEPNSP_ISK_E10value_typeEPSL_NS1_7vsmem_tEENKUlT_SJ_SK_SL_E_clIPmSE_SF_SF_EESI_SY_SJ_SK_SL_EUlSY_E1_NS1_11comp_targetILNS1_3genE4ELNS1_11target_archE910ELNS1_3gpuE8ELNS1_3repE0EEENS1_36merge_oddeven_config_static_selectorELNS0_4arch9wavefront6targetE0EEEvSK_,@function
_ZN7rocprim17ROCPRIM_400000_NS6detail17trampoline_kernelINS0_14default_configENS1_38merge_sort_block_merge_config_selectorImNS0_10empty_typeEEEZZNS1_27merge_sort_block_merge_implIS3_N6thrust23THRUST_200600_302600_NS6detail15normal_iteratorINS9_10device_ptrImEEEEPS5_m11less_div_10ImEEE10hipError_tT0_T1_T2_jT3_P12ihipStream_tbPNSt15iterator_traitsISJ_E10value_typeEPNSP_ISK_E10value_typeEPSL_NS1_7vsmem_tEENKUlT_SJ_SK_SL_E_clIPmSE_SF_SF_EESI_SY_SJ_SK_SL_EUlSY_E1_NS1_11comp_targetILNS1_3genE4ELNS1_11target_archE910ELNS1_3gpuE8ELNS1_3repE0EEENS1_36merge_oddeven_config_static_selectorELNS0_4arch9wavefront6targetE0EEEvSK_: ; @_ZN7rocprim17ROCPRIM_400000_NS6detail17trampoline_kernelINS0_14default_configENS1_38merge_sort_block_merge_config_selectorImNS0_10empty_typeEEEZZNS1_27merge_sort_block_merge_implIS3_N6thrust23THRUST_200600_302600_NS6detail15normal_iteratorINS9_10device_ptrImEEEEPS5_m11less_div_10ImEEE10hipError_tT0_T1_T2_jT3_P12ihipStream_tbPNSt15iterator_traitsISJ_E10value_typeEPNSP_ISK_E10value_typeEPSL_NS1_7vsmem_tEENKUlT_SJ_SK_SL_E_clIPmSE_SF_SF_EESI_SY_SJ_SK_SL_EUlSY_E1_NS1_11comp_targetILNS1_3genE4ELNS1_11target_archE910ELNS1_3gpuE8ELNS1_3repE0EEENS1_36merge_oddeven_config_static_selectorELNS0_4arch9wavefront6targetE0EEEvSK_
; %bb.0:
	.section	.rodata,"a",@progbits
	.p2align	6, 0x0
	.amdhsa_kernel _ZN7rocprim17ROCPRIM_400000_NS6detail17trampoline_kernelINS0_14default_configENS1_38merge_sort_block_merge_config_selectorImNS0_10empty_typeEEEZZNS1_27merge_sort_block_merge_implIS3_N6thrust23THRUST_200600_302600_NS6detail15normal_iteratorINS9_10device_ptrImEEEEPS5_m11less_div_10ImEEE10hipError_tT0_T1_T2_jT3_P12ihipStream_tbPNSt15iterator_traitsISJ_E10value_typeEPNSP_ISK_E10value_typeEPSL_NS1_7vsmem_tEENKUlT_SJ_SK_SL_E_clIPmSE_SF_SF_EESI_SY_SJ_SK_SL_EUlSY_E1_NS1_11comp_targetILNS1_3genE4ELNS1_11target_archE910ELNS1_3gpuE8ELNS1_3repE0EEENS1_36merge_oddeven_config_static_selectorELNS0_4arch9wavefront6targetE0EEEvSK_
		.amdhsa_group_segment_fixed_size 0
		.amdhsa_private_segment_fixed_size 0
		.amdhsa_kernarg_size 56
		.amdhsa_user_sgpr_count 6
		.amdhsa_user_sgpr_private_segment_buffer 1
		.amdhsa_user_sgpr_dispatch_ptr 0
		.amdhsa_user_sgpr_queue_ptr 0
		.amdhsa_user_sgpr_kernarg_segment_ptr 1
		.amdhsa_user_sgpr_dispatch_id 0
		.amdhsa_user_sgpr_flat_scratch_init 0
		.amdhsa_user_sgpr_private_segment_size 0
		.amdhsa_wavefront_size32 1
		.amdhsa_uses_dynamic_stack 0
		.amdhsa_system_sgpr_private_segment_wavefront_offset 0
		.amdhsa_system_sgpr_workgroup_id_x 1
		.amdhsa_system_sgpr_workgroup_id_y 0
		.amdhsa_system_sgpr_workgroup_id_z 0
		.amdhsa_system_sgpr_workgroup_info 0
		.amdhsa_system_vgpr_workitem_id 0
		.amdhsa_next_free_vgpr 1
		.amdhsa_next_free_sgpr 1
		.amdhsa_reserve_vcc 0
		.amdhsa_reserve_flat_scratch 0
		.amdhsa_float_round_mode_32 0
		.amdhsa_float_round_mode_16_64 0
		.amdhsa_float_denorm_mode_32 3
		.amdhsa_float_denorm_mode_16_64 3
		.amdhsa_dx10_clamp 1
		.amdhsa_ieee_mode 1
		.amdhsa_fp16_overflow 0
		.amdhsa_workgroup_processor_mode 1
		.amdhsa_memory_ordered 1
		.amdhsa_forward_progress 1
		.amdhsa_shared_vgpr_count 0
		.amdhsa_exception_fp_ieee_invalid_op 0
		.amdhsa_exception_fp_denorm_src 0
		.amdhsa_exception_fp_ieee_div_zero 0
		.amdhsa_exception_fp_ieee_overflow 0
		.amdhsa_exception_fp_ieee_underflow 0
		.amdhsa_exception_fp_ieee_inexact 0
		.amdhsa_exception_int_div_zero 0
	.end_amdhsa_kernel
	.section	.text._ZN7rocprim17ROCPRIM_400000_NS6detail17trampoline_kernelINS0_14default_configENS1_38merge_sort_block_merge_config_selectorImNS0_10empty_typeEEEZZNS1_27merge_sort_block_merge_implIS3_N6thrust23THRUST_200600_302600_NS6detail15normal_iteratorINS9_10device_ptrImEEEEPS5_m11less_div_10ImEEE10hipError_tT0_T1_T2_jT3_P12ihipStream_tbPNSt15iterator_traitsISJ_E10value_typeEPNSP_ISK_E10value_typeEPSL_NS1_7vsmem_tEENKUlT_SJ_SK_SL_E_clIPmSE_SF_SF_EESI_SY_SJ_SK_SL_EUlSY_E1_NS1_11comp_targetILNS1_3genE4ELNS1_11target_archE910ELNS1_3gpuE8ELNS1_3repE0EEENS1_36merge_oddeven_config_static_selectorELNS0_4arch9wavefront6targetE0EEEvSK_,"axG",@progbits,_ZN7rocprim17ROCPRIM_400000_NS6detail17trampoline_kernelINS0_14default_configENS1_38merge_sort_block_merge_config_selectorImNS0_10empty_typeEEEZZNS1_27merge_sort_block_merge_implIS3_N6thrust23THRUST_200600_302600_NS6detail15normal_iteratorINS9_10device_ptrImEEEEPS5_m11less_div_10ImEEE10hipError_tT0_T1_T2_jT3_P12ihipStream_tbPNSt15iterator_traitsISJ_E10value_typeEPNSP_ISK_E10value_typeEPSL_NS1_7vsmem_tEENKUlT_SJ_SK_SL_E_clIPmSE_SF_SF_EESI_SY_SJ_SK_SL_EUlSY_E1_NS1_11comp_targetILNS1_3genE4ELNS1_11target_archE910ELNS1_3gpuE8ELNS1_3repE0EEENS1_36merge_oddeven_config_static_selectorELNS0_4arch9wavefront6targetE0EEEvSK_,comdat
.Lfunc_end636:
	.size	_ZN7rocprim17ROCPRIM_400000_NS6detail17trampoline_kernelINS0_14default_configENS1_38merge_sort_block_merge_config_selectorImNS0_10empty_typeEEEZZNS1_27merge_sort_block_merge_implIS3_N6thrust23THRUST_200600_302600_NS6detail15normal_iteratorINS9_10device_ptrImEEEEPS5_m11less_div_10ImEEE10hipError_tT0_T1_T2_jT3_P12ihipStream_tbPNSt15iterator_traitsISJ_E10value_typeEPNSP_ISK_E10value_typeEPSL_NS1_7vsmem_tEENKUlT_SJ_SK_SL_E_clIPmSE_SF_SF_EESI_SY_SJ_SK_SL_EUlSY_E1_NS1_11comp_targetILNS1_3genE4ELNS1_11target_archE910ELNS1_3gpuE8ELNS1_3repE0EEENS1_36merge_oddeven_config_static_selectorELNS0_4arch9wavefront6targetE0EEEvSK_, .Lfunc_end636-_ZN7rocprim17ROCPRIM_400000_NS6detail17trampoline_kernelINS0_14default_configENS1_38merge_sort_block_merge_config_selectorImNS0_10empty_typeEEEZZNS1_27merge_sort_block_merge_implIS3_N6thrust23THRUST_200600_302600_NS6detail15normal_iteratorINS9_10device_ptrImEEEEPS5_m11less_div_10ImEEE10hipError_tT0_T1_T2_jT3_P12ihipStream_tbPNSt15iterator_traitsISJ_E10value_typeEPNSP_ISK_E10value_typeEPSL_NS1_7vsmem_tEENKUlT_SJ_SK_SL_E_clIPmSE_SF_SF_EESI_SY_SJ_SK_SL_EUlSY_E1_NS1_11comp_targetILNS1_3genE4ELNS1_11target_archE910ELNS1_3gpuE8ELNS1_3repE0EEENS1_36merge_oddeven_config_static_selectorELNS0_4arch9wavefront6targetE0EEEvSK_
                                        ; -- End function
	.set _ZN7rocprim17ROCPRIM_400000_NS6detail17trampoline_kernelINS0_14default_configENS1_38merge_sort_block_merge_config_selectorImNS0_10empty_typeEEEZZNS1_27merge_sort_block_merge_implIS3_N6thrust23THRUST_200600_302600_NS6detail15normal_iteratorINS9_10device_ptrImEEEEPS5_m11less_div_10ImEEE10hipError_tT0_T1_T2_jT3_P12ihipStream_tbPNSt15iterator_traitsISJ_E10value_typeEPNSP_ISK_E10value_typeEPSL_NS1_7vsmem_tEENKUlT_SJ_SK_SL_E_clIPmSE_SF_SF_EESI_SY_SJ_SK_SL_EUlSY_E1_NS1_11comp_targetILNS1_3genE4ELNS1_11target_archE910ELNS1_3gpuE8ELNS1_3repE0EEENS1_36merge_oddeven_config_static_selectorELNS0_4arch9wavefront6targetE0EEEvSK_.num_vgpr, 0
	.set _ZN7rocprim17ROCPRIM_400000_NS6detail17trampoline_kernelINS0_14default_configENS1_38merge_sort_block_merge_config_selectorImNS0_10empty_typeEEEZZNS1_27merge_sort_block_merge_implIS3_N6thrust23THRUST_200600_302600_NS6detail15normal_iteratorINS9_10device_ptrImEEEEPS5_m11less_div_10ImEEE10hipError_tT0_T1_T2_jT3_P12ihipStream_tbPNSt15iterator_traitsISJ_E10value_typeEPNSP_ISK_E10value_typeEPSL_NS1_7vsmem_tEENKUlT_SJ_SK_SL_E_clIPmSE_SF_SF_EESI_SY_SJ_SK_SL_EUlSY_E1_NS1_11comp_targetILNS1_3genE4ELNS1_11target_archE910ELNS1_3gpuE8ELNS1_3repE0EEENS1_36merge_oddeven_config_static_selectorELNS0_4arch9wavefront6targetE0EEEvSK_.num_agpr, 0
	.set _ZN7rocprim17ROCPRIM_400000_NS6detail17trampoline_kernelINS0_14default_configENS1_38merge_sort_block_merge_config_selectorImNS0_10empty_typeEEEZZNS1_27merge_sort_block_merge_implIS3_N6thrust23THRUST_200600_302600_NS6detail15normal_iteratorINS9_10device_ptrImEEEEPS5_m11less_div_10ImEEE10hipError_tT0_T1_T2_jT3_P12ihipStream_tbPNSt15iterator_traitsISJ_E10value_typeEPNSP_ISK_E10value_typeEPSL_NS1_7vsmem_tEENKUlT_SJ_SK_SL_E_clIPmSE_SF_SF_EESI_SY_SJ_SK_SL_EUlSY_E1_NS1_11comp_targetILNS1_3genE4ELNS1_11target_archE910ELNS1_3gpuE8ELNS1_3repE0EEENS1_36merge_oddeven_config_static_selectorELNS0_4arch9wavefront6targetE0EEEvSK_.numbered_sgpr, 0
	.set _ZN7rocprim17ROCPRIM_400000_NS6detail17trampoline_kernelINS0_14default_configENS1_38merge_sort_block_merge_config_selectorImNS0_10empty_typeEEEZZNS1_27merge_sort_block_merge_implIS3_N6thrust23THRUST_200600_302600_NS6detail15normal_iteratorINS9_10device_ptrImEEEEPS5_m11less_div_10ImEEE10hipError_tT0_T1_T2_jT3_P12ihipStream_tbPNSt15iterator_traitsISJ_E10value_typeEPNSP_ISK_E10value_typeEPSL_NS1_7vsmem_tEENKUlT_SJ_SK_SL_E_clIPmSE_SF_SF_EESI_SY_SJ_SK_SL_EUlSY_E1_NS1_11comp_targetILNS1_3genE4ELNS1_11target_archE910ELNS1_3gpuE8ELNS1_3repE0EEENS1_36merge_oddeven_config_static_selectorELNS0_4arch9wavefront6targetE0EEEvSK_.num_named_barrier, 0
	.set _ZN7rocprim17ROCPRIM_400000_NS6detail17trampoline_kernelINS0_14default_configENS1_38merge_sort_block_merge_config_selectorImNS0_10empty_typeEEEZZNS1_27merge_sort_block_merge_implIS3_N6thrust23THRUST_200600_302600_NS6detail15normal_iteratorINS9_10device_ptrImEEEEPS5_m11less_div_10ImEEE10hipError_tT0_T1_T2_jT3_P12ihipStream_tbPNSt15iterator_traitsISJ_E10value_typeEPNSP_ISK_E10value_typeEPSL_NS1_7vsmem_tEENKUlT_SJ_SK_SL_E_clIPmSE_SF_SF_EESI_SY_SJ_SK_SL_EUlSY_E1_NS1_11comp_targetILNS1_3genE4ELNS1_11target_archE910ELNS1_3gpuE8ELNS1_3repE0EEENS1_36merge_oddeven_config_static_selectorELNS0_4arch9wavefront6targetE0EEEvSK_.private_seg_size, 0
	.set _ZN7rocprim17ROCPRIM_400000_NS6detail17trampoline_kernelINS0_14default_configENS1_38merge_sort_block_merge_config_selectorImNS0_10empty_typeEEEZZNS1_27merge_sort_block_merge_implIS3_N6thrust23THRUST_200600_302600_NS6detail15normal_iteratorINS9_10device_ptrImEEEEPS5_m11less_div_10ImEEE10hipError_tT0_T1_T2_jT3_P12ihipStream_tbPNSt15iterator_traitsISJ_E10value_typeEPNSP_ISK_E10value_typeEPSL_NS1_7vsmem_tEENKUlT_SJ_SK_SL_E_clIPmSE_SF_SF_EESI_SY_SJ_SK_SL_EUlSY_E1_NS1_11comp_targetILNS1_3genE4ELNS1_11target_archE910ELNS1_3gpuE8ELNS1_3repE0EEENS1_36merge_oddeven_config_static_selectorELNS0_4arch9wavefront6targetE0EEEvSK_.uses_vcc, 0
	.set _ZN7rocprim17ROCPRIM_400000_NS6detail17trampoline_kernelINS0_14default_configENS1_38merge_sort_block_merge_config_selectorImNS0_10empty_typeEEEZZNS1_27merge_sort_block_merge_implIS3_N6thrust23THRUST_200600_302600_NS6detail15normal_iteratorINS9_10device_ptrImEEEEPS5_m11less_div_10ImEEE10hipError_tT0_T1_T2_jT3_P12ihipStream_tbPNSt15iterator_traitsISJ_E10value_typeEPNSP_ISK_E10value_typeEPSL_NS1_7vsmem_tEENKUlT_SJ_SK_SL_E_clIPmSE_SF_SF_EESI_SY_SJ_SK_SL_EUlSY_E1_NS1_11comp_targetILNS1_3genE4ELNS1_11target_archE910ELNS1_3gpuE8ELNS1_3repE0EEENS1_36merge_oddeven_config_static_selectorELNS0_4arch9wavefront6targetE0EEEvSK_.uses_flat_scratch, 0
	.set _ZN7rocprim17ROCPRIM_400000_NS6detail17trampoline_kernelINS0_14default_configENS1_38merge_sort_block_merge_config_selectorImNS0_10empty_typeEEEZZNS1_27merge_sort_block_merge_implIS3_N6thrust23THRUST_200600_302600_NS6detail15normal_iteratorINS9_10device_ptrImEEEEPS5_m11less_div_10ImEEE10hipError_tT0_T1_T2_jT3_P12ihipStream_tbPNSt15iterator_traitsISJ_E10value_typeEPNSP_ISK_E10value_typeEPSL_NS1_7vsmem_tEENKUlT_SJ_SK_SL_E_clIPmSE_SF_SF_EESI_SY_SJ_SK_SL_EUlSY_E1_NS1_11comp_targetILNS1_3genE4ELNS1_11target_archE910ELNS1_3gpuE8ELNS1_3repE0EEENS1_36merge_oddeven_config_static_selectorELNS0_4arch9wavefront6targetE0EEEvSK_.has_dyn_sized_stack, 0
	.set _ZN7rocprim17ROCPRIM_400000_NS6detail17trampoline_kernelINS0_14default_configENS1_38merge_sort_block_merge_config_selectorImNS0_10empty_typeEEEZZNS1_27merge_sort_block_merge_implIS3_N6thrust23THRUST_200600_302600_NS6detail15normal_iteratorINS9_10device_ptrImEEEEPS5_m11less_div_10ImEEE10hipError_tT0_T1_T2_jT3_P12ihipStream_tbPNSt15iterator_traitsISJ_E10value_typeEPNSP_ISK_E10value_typeEPSL_NS1_7vsmem_tEENKUlT_SJ_SK_SL_E_clIPmSE_SF_SF_EESI_SY_SJ_SK_SL_EUlSY_E1_NS1_11comp_targetILNS1_3genE4ELNS1_11target_archE910ELNS1_3gpuE8ELNS1_3repE0EEENS1_36merge_oddeven_config_static_selectorELNS0_4arch9wavefront6targetE0EEEvSK_.has_recursion, 0
	.set _ZN7rocprim17ROCPRIM_400000_NS6detail17trampoline_kernelINS0_14default_configENS1_38merge_sort_block_merge_config_selectorImNS0_10empty_typeEEEZZNS1_27merge_sort_block_merge_implIS3_N6thrust23THRUST_200600_302600_NS6detail15normal_iteratorINS9_10device_ptrImEEEEPS5_m11less_div_10ImEEE10hipError_tT0_T1_T2_jT3_P12ihipStream_tbPNSt15iterator_traitsISJ_E10value_typeEPNSP_ISK_E10value_typeEPSL_NS1_7vsmem_tEENKUlT_SJ_SK_SL_E_clIPmSE_SF_SF_EESI_SY_SJ_SK_SL_EUlSY_E1_NS1_11comp_targetILNS1_3genE4ELNS1_11target_archE910ELNS1_3gpuE8ELNS1_3repE0EEENS1_36merge_oddeven_config_static_selectorELNS0_4arch9wavefront6targetE0EEEvSK_.has_indirect_call, 0
	.section	.AMDGPU.csdata,"",@progbits
; Kernel info:
; codeLenInByte = 0
; TotalNumSgprs: 0
; NumVgprs: 0
; ScratchSize: 0
; MemoryBound: 0
; FloatMode: 240
; IeeeMode: 1
; LDSByteSize: 0 bytes/workgroup (compile time only)
; SGPRBlocks: 0
; VGPRBlocks: 0
; NumSGPRsForWavesPerEU: 1
; NumVGPRsForWavesPerEU: 1
; Occupancy: 16
; WaveLimiterHint : 0
; COMPUTE_PGM_RSRC2:SCRATCH_EN: 0
; COMPUTE_PGM_RSRC2:USER_SGPR: 6
; COMPUTE_PGM_RSRC2:TRAP_HANDLER: 0
; COMPUTE_PGM_RSRC2:TGID_X_EN: 1
; COMPUTE_PGM_RSRC2:TGID_Y_EN: 0
; COMPUTE_PGM_RSRC2:TGID_Z_EN: 0
; COMPUTE_PGM_RSRC2:TIDIG_COMP_CNT: 0
	.section	.text._ZN7rocprim17ROCPRIM_400000_NS6detail17trampoline_kernelINS0_14default_configENS1_38merge_sort_block_merge_config_selectorImNS0_10empty_typeEEEZZNS1_27merge_sort_block_merge_implIS3_N6thrust23THRUST_200600_302600_NS6detail15normal_iteratorINS9_10device_ptrImEEEEPS5_m11less_div_10ImEEE10hipError_tT0_T1_T2_jT3_P12ihipStream_tbPNSt15iterator_traitsISJ_E10value_typeEPNSP_ISK_E10value_typeEPSL_NS1_7vsmem_tEENKUlT_SJ_SK_SL_E_clIPmSE_SF_SF_EESI_SY_SJ_SK_SL_EUlSY_E1_NS1_11comp_targetILNS1_3genE3ELNS1_11target_archE908ELNS1_3gpuE7ELNS1_3repE0EEENS1_36merge_oddeven_config_static_selectorELNS0_4arch9wavefront6targetE0EEEvSK_,"axG",@progbits,_ZN7rocprim17ROCPRIM_400000_NS6detail17trampoline_kernelINS0_14default_configENS1_38merge_sort_block_merge_config_selectorImNS0_10empty_typeEEEZZNS1_27merge_sort_block_merge_implIS3_N6thrust23THRUST_200600_302600_NS6detail15normal_iteratorINS9_10device_ptrImEEEEPS5_m11less_div_10ImEEE10hipError_tT0_T1_T2_jT3_P12ihipStream_tbPNSt15iterator_traitsISJ_E10value_typeEPNSP_ISK_E10value_typeEPSL_NS1_7vsmem_tEENKUlT_SJ_SK_SL_E_clIPmSE_SF_SF_EESI_SY_SJ_SK_SL_EUlSY_E1_NS1_11comp_targetILNS1_3genE3ELNS1_11target_archE908ELNS1_3gpuE7ELNS1_3repE0EEENS1_36merge_oddeven_config_static_selectorELNS0_4arch9wavefront6targetE0EEEvSK_,comdat
	.protected	_ZN7rocprim17ROCPRIM_400000_NS6detail17trampoline_kernelINS0_14default_configENS1_38merge_sort_block_merge_config_selectorImNS0_10empty_typeEEEZZNS1_27merge_sort_block_merge_implIS3_N6thrust23THRUST_200600_302600_NS6detail15normal_iteratorINS9_10device_ptrImEEEEPS5_m11less_div_10ImEEE10hipError_tT0_T1_T2_jT3_P12ihipStream_tbPNSt15iterator_traitsISJ_E10value_typeEPNSP_ISK_E10value_typeEPSL_NS1_7vsmem_tEENKUlT_SJ_SK_SL_E_clIPmSE_SF_SF_EESI_SY_SJ_SK_SL_EUlSY_E1_NS1_11comp_targetILNS1_3genE3ELNS1_11target_archE908ELNS1_3gpuE7ELNS1_3repE0EEENS1_36merge_oddeven_config_static_selectorELNS0_4arch9wavefront6targetE0EEEvSK_ ; -- Begin function _ZN7rocprim17ROCPRIM_400000_NS6detail17trampoline_kernelINS0_14default_configENS1_38merge_sort_block_merge_config_selectorImNS0_10empty_typeEEEZZNS1_27merge_sort_block_merge_implIS3_N6thrust23THRUST_200600_302600_NS6detail15normal_iteratorINS9_10device_ptrImEEEEPS5_m11less_div_10ImEEE10hipError_tT0_T1_T2_jT3_P12ihipStream_tbPNSt15iterator_traitsISJ_E10value_typeEPNSP_ISK_E10value_typeEPSL_NS1_7vsmem_tEENKUlT_SJ_SK_SL_E_clIPmSE_SF_SF_EESI_SY_SJ_SK_SL_EUlSY_E1_NS1_11comp_targetILNS1_3genE3ELNS1_11target_archE908ELNS1_3gpuE7ELNS1_3repE0EEENS1_36merge_oddeven_config_static_selectorELNS0_4arch9wavefront6targetE0EEEvSK_
	.globl	_ZN7rocprim17ROCPRIM_400000_NS6detail17trampoline_kernelINS0_14default_configENS1_38merge_sort_block_merge_config_selectorImNS0_10empty_typeEEEZZNS1_27merge_sort_block_merge_implIS3_N6thrust23THRUST_200600_302600_NS6detail15normal_iteratorINS9_10device_ptrImEEEEPS5_m11less_div_10ImEEE10hipError_tT0_T1_T2_jT3_P12ihipStream_tbPNSt15iterator_traitsISJ_E10value_typeEPNSP_ISK_E10value_typeEPSL_NS1_7vsmem_tEENKUlT_SJ_SK_SL_E_clIPmSE_SF_SF_EESI_SY_SJ_SK_SL_EUlSY_E1_NS1_11comp_targetILNS1_3genE3ELNS1_11target_archE908ELNS1_3gpuE7ELNS1_3repE0EEENS1_36merge_oddeven_config_static_selectorELNS0_4arch9wavefront6targetE0EEEvSK_
	.p2align	8
	.type	_ZN7rocprim17ROCPRIM_400000_NS6detail17trampoline_kernelINS0_14default_configENS1_38merge_sort_block_merge_config_selectorImNS0_10empty_typeEEEZZNS1_27merge_sort_block_merge_implIS3_N6thrust23THRUST_200600_302600_NS6detail15normal_iteratorINS9_10device_ptrImEEEEPS5_m11less_div_10ImEEE10hipError_tT0_T1_T2_jT3_P12ihipStream_tbPNSt15iterator_traitsISJ_E10value_typeEPNSP_ISK_E10value_typeEPSL_NS1_7vsmem_tEENKUlT_SJ_SK_SL_E_clIPmSE_SF_SF_EESI_SY_SJ_SK_SL_EUlSY_E1_NS1_11comp_targetILNS1_3genE3ELNS1_11target_archE908ELNS1_3gpuE7ELNS1_3repE0EEENS1_36merge_oddeven_config_static_selectorELNS0_4arch9wavefront6targetE0EEEvSK_,@function
_ZN7rocprim17ROCPRIM_400000_NS6detail17trampoline_kernelINS0_14default_configENS1_38merge_sort_block_merge_config_selectorImNS0_10empty_typeEEEZZNS1_27merge_sort_block_merge_implIS3_N6thrust23THRUST_200600_302600_NS6detail15normal_iteratorINS9_10device_ptrImEEEEPS5_m11less_div_10ImEEE10hipError_tT0_T1_T2_jT3_P12ihipStream_tbPNSt15iterator_traitsISJ_E10value_typeEPNSP_ISK_E10value_typeEPSL_NS1_7vsmem_tEENKUlT_SJ_SK_SL_E_clIPmSE_SF_SF_EESI_SY_SJ_SK_SL_EUlSY_E1_NS1_11comp_targetILNS1_3genE3ELNS1_11target_archE908ELNS1_3gpuE7ELNS1_3repE0EEENS1_36merge_oddeven_config_static_selectorELNS0_4arch9wavefront6targetE0EEEvSK_: ; @_ZN7rocprim17ROCPRIM_400000_NS6detail17trampoline_kernelINS0_14default_configENS1_38merge_sort_block_merge_config_selectorImNS0_10empty_typeEEEZZNS1_27merge_sort_block_merge_implIS3_N6thrust23THRUST_200600_302600_NS6detail15normal_iteratorINS9_10device_ptrImEEEEPS5_m11less_div_10ImEEE10hipError_tT0_T1_T2_jT3_P12ihipStream_tbPNSt15iterator_traitsISJ_E10value_typeEPNSP_ISK_E10value_typeEPSL_NS1_7vsmem_tEENKUlT_SJ_SK_SL_E_clIPmSE_SF_SF_EESI_SY_SJ_SK_SL_EUlSY_E1_NS1_11comp_targetILNS1_3genE3ELNS1_11target_archE908ELNS1_3gpuE7ELNS1_3repE0EEENS1_36merge_oddeven_config_static_selectorELNS0_4arch9wavefront6targetE0EEEvSK_
; %bb.0:
	.section	.rodata,"a",@progbits
	.p2align	6, 0x0
	.amdhsa_kernel _ZN7rocprim17ROCPRIM_400000_NS6detail17trampoline_kernelINS0_14default_configENS1_38merge_sort_block_merge_config_selectorImNS0_10empty_typeEEEZZNS1_27merge_sort_block_merge_implIS3_N6thrust23THRUST_200600_302600_NS6detail15normal_iteratorINS9_10device_ptrImEEEEPS5_m11less_div_10ImEEE10hipError_tT0_T1_T2_jT3_P12ihipStream_tbPNSt15iterator_traitsISJ_E10value_typeEPNSP_ISK_E10value_typeEPSL_NS1_7vsmem_tEENKUlT_SJ_SK_SL_E_clIPmSE_SF_SF_EESI_SY_SJ_SK_SL_EUlSY_E1_NS1_11comp_targetILNS1_3genE3ELNS1_11target_archE908ELNS1_3gpuE7ELNS1_3repE0EEENS1_36merge_oddeven_config_static_selectorELNS0_4arch9wavefront6targetE0EEEvSK_
		.amdhsa_group_segment_fixed_size 0
		.amdhsa_private_segment_fixed_size 0
		.amdhsa_kernarg_size 56
		.amdhsa_user_sgpr_count 6
		.amdhsa_user_sgpr_private_segment_buffer 1
		.amdhsa_user_sgpr_dispatch_ptr 0
		.amdhsa_user_sgpr_queue_ptr 0
		.amdhsa_user_sgpr_kernarg_segment_ptr 1
		.amdhsa_user_sgpr_dispatch_id 0
		.amdhsa_user_sgpr_flat_scratch_init 0
		.amdhsa_user_sgpr_private_segment_size 0
		.amdhsa_wavefront_size32 1
		.amdhsa_uses_dynamic_stack 0
		.amdhsa_system_sgpr_private_segment_wavefront_offset 0
		.amdhsa_system_sgpr_workgroup_id_x 1
		.amdhsa_system_sgpr_workgroup_id_y 0
		.amdhsa_system_sgpr_workgroup_id_z 0
		.amdhsa_system_sgpr_workgroup_info 0
		.amdhsa_system_vgpr_workitem_id 0
		.amdhsa_next_free_vgpr 1
		.amdhsa_next_free_sgpr 1
		.amdhsa_reserve_vcc 0
		.amdhsa_reserve_flat_scratch 0
		.amdhsa_float_round_mode_32 0
		.amdhsa_float_round_mode_16_64 0
		.amdhsa_float_denorm_mode_32 3
		.amdhsa_float_denorm_mode_16_64 3
		.amdhsa_dx10_clamp 1
		.amdhsa_ieee_mode 1
		.amdhsa_fp16_overflow 0
		.amdhsa_workgroup_processor_mode 1
		.amdhsa_memory_ordered 1
		.amdhsa_forward_progress 1
		.amdhsa_shared_vgpr_count 0
		.amdhsa_exception_fp_ieee_invalid_op 0
		.amdhsa_exception_fp_denorm_src 0
		.amdhsa_exception_fp_ieee_div_zero 0
		.amdhsa_exception_fp_ieee_overflow 0
		.amdhsa_exception_fp_ieee_underflow 0
		.amdhsa_exception_fp_ieee_inexact 0
		.amdhsa_exception_int_div_zero 0
	.end_amdhsa_kernel
	.section	.text._ZN7rocprim17ROCPRIM_400000_NS6detail17trampoline_kernelINS0_14default_configENS1_38merge_sort_block_merge_config_selectorImNS0_10empty_typeEEEZZNS1_27merge_sort_block_merge_implIS3_N6thrust23THRUST_200600_302600_NS6detail15normal_iteratorINS9_10device_ptrImEEEEPS5_m11less_div_10ImEEE10hipError_tT0_T1_T2_jT3_P12ihipStream_tbPNSt15iterator_traitsISJ_E10value_typeEPNSP_ISK_E10value_typeEPSL_NS1_7vsmem_tEENKUlT_SJ_SK_SL_E_clIPmSE_SF_SF_EESI_SY_SJ_SK_SL_EUlSY_E1_NS1_11comp_targetILNS1_3genE3ELNS1_11target_archE908ELNS1_3gpuE7ELNS1_3repE0EEENS1_36merge_oddeven_config_static_selectorELNS0_4arch9wavefront6targetE0EEEvSK_,"axG",@progbits,_ZN7rocprim17ROCPRIM_400000_NS6detail17trampoline_kernelINS0_14default_configENS1_38merge_sort_block_merge_config_selectorImNS0_10empty_typeEEEZZNS1_27merge_sort_block_merge_implIS3_N6thrust23THRUST_200600_302600_NS6detail15normal_iteratorINS9_10device_ptrImEEEEPS5_m11less_div_10ImEEE10hipError_tT0_T1_T2_jT3_P12ihipStream_tbPNSt15iterator_traitsISJ_E10value_typeEPNSP_ISK_E10value_typeEPSL_NS1_7vsmem_tEENKUlT_SJ_SK_SL_E_clIPmSE_SF_SF_EESI_SY_SJ_SK_SL_EUlSY_E1_NS1_11comp_targetILNS1_3genE3ELNS1_11target_archE908ELNS1_3gpuE7ELNS1_3repE0EEENS1_36merge_oddeven_config_static_selectorELNS0_4arch9wavefront6targetE0EEEvSK_,comdat
.Lfunc_end637:
	.size	_ZN7rocprim17ROCPRIM_400000_NS6detail17trampoline_kernelINS0_14default_configENS1_38merge_sort_block_merge_config_selectorImNS0_10empty_typeEEEZZNS1_27merge_sort_block_merge_implIS3_N6thrust23THRUST_200600_302600_NS6detail15normal_iteratorINS9_10device_ptrImEEEEPS5_m11less_div_10ImEEE10hipError_tT0_T1_T2_jT3_P12ihipStream_tbPNSt15iterator_traitsISJ_E10value_typeEPNSP_ISK_E10value_typeEPSL_NS1_7vsmem_tEENKUlT_SJ_SK_SL_E_clIPmSE_SF_SF_EESI_SY_SJ_SK_SL_EUlSY_E1_NS1_11comp_targetILNS1_3genE3ELNS1_11target_archE908ELNS1_3gpuE7ELNS1_3repE0EEENS1_36merge_oddeven_config_static_selectorELNS0_4arch9wavefront6targetE0EEEvSK_, .Lfunc_end637-_ZN7rocprim17ROCPRIM_400000_NS6detail17trampoline_kernelINS0_14default_configENS1_38merge_sort_block_merge_config_selectorImNS0_10empty_typeEEEZZNS1_27merge_sort_block_merge_implIS3_N6thrust23THRUST_200600_302600_NS6detail15normal_iteratorINS9_10device_ptrImEEEEPS5_m11less_div_10ImEEE10hipError_tT0_T1_T2_jT3_P12ihipStream_tbPNSt15iterator_traitsISJ_E10value_typeEPNSP_ISK_E10value_typeEPSL_NS1_7vsmem_tEENKUlT_SJ_SK_SL_E_clIPmSE_SF_SF_EESI_SY_SJ_SK_SL_EUlSY_E1_NS1_11comp_targetILNS1_3genE3ELNS1_11target_archE908ELNS1_3gpuE7ELNS1_3repE0EEENS1_36merge_oddeven_config_static_selectorELNS0_4arch9wavefront6targetE0EEEvSK_
                                        ; -- End function
	.set _ZN7rocprim17ROCPRIM_400000_NS6detail17trampoline_kernelINS0_14default_configENS1_38merge_sort_block_merge_config_selectorImNS0_10empty_typeEEEZZNS1_27merge_sort_block_merge_implIS3_N6thrust23THRUST_200600_302600_NS6detail15normal_iteratorINS9_10device_ptrImEEEEPS5_m11less_div_10ImEEE10hipError_tT0_T1_T2_jT3_P12ihipStream_tbPNSt15iterator_traitsISJ_E10value_typeEPNSP_ISK_E10value_typeEPSL_NS1_7vsmem_tEENKUlT_SJ_SK_SL_E_clIPmSE_SF_SF_EESI_SY_SJ_SK_SL_EUlSY_E1_NS1_11comp_targetILNS1_3genE3ELNS1_11target_archE908ELNS1_3gpuE7ELNS1_3repE0EEENS1_36merge_oddeven_config_static_selectorELNS0_4arch9wavefront6targetE0EEEvSK_.num_vgpr, 0
	.set _ZN7rocprim17ROCPRIM_400000_NS6detail17trampoline_kernelINS0_14default_configENS1_38merge_sort_block_merge_config_selectorImNS0_10empty_typeEEEZZNS1_27merge_sort_block_merge_implIS3_N6thrust23THRUST_200600_302600_NS6detail15normal_iteratorINS9_10device_ptrImEEEEPS5_m11less_div_10ImEEE10hipError_tT0_T1_T2_jT3_P12ihipStream_tbPNSt15iterator_traitsISJ_E10value_typeEPNSP_ISK_E10value_typeEPSL_NS1_7vsmem_tEENKUlT_SJ_SK_SL_E_clIPmSE_SF_SF_EESI_SY_SJ_SK_SL_EUlSY_E1_NS1_11comp_targetILNS1_3genE3ELNS1_11target_archE908ELNS1_3gpuE7ELNS1_3repE0EEENS1_36merge_oddeven_config_static_selectorELNS0_4arch9wavefront6targetE0EEEvSK_.num_agpr, 0
	.set _ZN7rocprim17ROCPRIM_400000_NS6detail17trampoline_kernelINS0_14default_configENS1_38merge_sort_block_merge_config_selectorImNS0_10empty_typeEEEZZNS1_27merge_sort_block_merge_implIS3_N6thrust23THRUST_200600_302600_NS6detail15normal_iteratorINS9_10device_ptrImEEEEPS5_m11less_div_10ImEEE10hipError_tT0_T1_T2_jT3_P12ihipStream_tbPNSt15iterator_traitsISJ_E10value_typeEPNSP_ISK_E10value_typeEPSL_NS1_7vsmem_tEENKUlT_SJ_SK_SL_E_clIPmSE_SF_SF_EESI_SY_SJ_SK_SL_EUlSY_E1_NS1_11comp_targetILNS1_3genE3ELNS1_11target_archE908ELNS1_3gpuE7ELNS1_3repE0EEENS1_36merge_oddeven_config_static_selectorELNS0_4arch9wavefront6targetE0EEEvSK_.numbered_sgpr, 0
	.set _ZN7rocprim17ROCPRIM_400000_NS6detail17trampoline_kernelINS0_14default_configENS1_38merge_sort_block_merge_config_selectorImNS0_10empty_typeEEEZZNS1_27merge_sort_block_merge_implIS3_N6thrust23THRUST_200600_302600_NS6detail15normal_iteratorINS9_10device_ptrImEEEEPS5_m11less_div_10ImEEE10hipError_tT0_T1_T2_jT3_P12ihipStream_tbPNSt15iterator_traitsISJ_E10value_typeEPNSP_ISK_E10value_typeEPSL_NS1_7vsmem_tEENKUlT_SJ_SK_SL_E_clIPmSE_SF_SF_EESI_SY_SJ_SK_SL_EUlSY_E1_NS1_11comp_targetILNS1_3genE3ELNS1_11target_archE908ELNS1_3gpuE7ELNS1_3repE0EEENS1_36merge_oddeven_config_static_selectorELNS0_4arch9wavefront6targetE0EEEvSK_.num_named_barrier, 0
	.set _ZN7rocprim17ROCPRIM_400000_NS6detail17trampoline_kernelINS0_14default_configENS1_38merge_sort_block_merge_config_selectorImNS0_10empty_typeEEEZZNS1_27merge_sort_block_merge_implIS3_N6thrust23THRUST_200600_302600_NS6detail15normal_iteratorINS9_10device_ptrImEEEEPS5_m11less_div_10ImEEE10hipError_tT0_T1_T2_jT3_P12ihipStream_tbPNSt15iterator_traitsISJ_E10value_typeEPNSP_ISK_E10value_typeEPSL_NS1_7vsmem_tEENKUlT_SJ_SK_SL_E_clIPmSE_SF_SF_EESI_SY_SJ_SK_SL_EUlSY_E1_NS1_11comp_targetILNS1_3genE3ELNS1_11target_archE908ELNS1_3gpuE7ELNS1_3repE0EEENS1_36merge_oddeven_config_static_selectorELNS0_4arch9wavefront6targetE0EEEvSK_.private_seg_size, 0
	.set _ZN7rocprim17ROCPRIM_400000_NS6detail17trampoline_kernelINS0_14default_configENS1_38merge_sort_block_merge_config_selectorImNS0_10empty_typeEEEZZNS1_27merge_sort_block_merge_implIS3_N6thrust23THRUST_200600_302600_NS6detail15normal_iteratorINS9_10device_ptrImEEEEPS5_m11less_div_10ImEEE10hipError_tT0_T1_T2_jT3_P12ihipStream_tbPNSt15iterator_traitsISJ_E10value_typeEPNSP_ISK_E10value_typeEPSL_NS1_7vsmem_tEENKUlT_SJ_SK_SL_E_clIPmSE_SF_SF_EESI_SY_SJ_SK_SL_EUlSY_E1_NS1_11comp_targetILNS1_3genE3ELNS1_11target_archE908ELNS1_3gpuE7ELNS1_3repE0EEENS1_36merge_oddeven_config_static_selectorELNS0_4arch9wavefront6targetE0EEEvSK_.uses_vcc, 0
	.set _ZN7rocprim17ROCPRIM_400000_NS6detail17trampoline_kernelINS0_14default_configENS1_38merge_sort_block_merge_config_selectorImNS0_10empty_typeEEEZZNS1_27merge_sort_block_merge_implIS3_N6thrust23THRUST_200600_302600_NS6detail15normal_iteratorINS9_10device_ptrImEEEEPS5_m11less_div_10ImEEE10hipError_tT0_T1_T2_jT3_P12ihipStream_tbPNSt15iterator_traitsISJ_E10value_typeEPNSP_ISK_E10value_typeEPSL_NS1_7vsmem_tEENKUlT_SJ_SK_SL_E_clIPmSE_SF_SF_EESI_SY_SJ_SK_SL_EUlSY_E1_NS1_11comp_targetILNS1_3genE3ELNS1_11target_archE908ELNS1_3gpuE7ELNS1_3repE0EEENS1_36merge_oddeven_config_static_selectorELNS0_4arch9wavefront6targetE0EEEvSK_.uses_flat_scratch, 0
	.set _ZN7rocprim17ROCPRIM_400000_NS6detail17trampoline_kernelINS0_14default_configENS1_38merge_sort_block_merge_config_selectorImNS0_10empty_typeEEEZZNS1_27merge_sort_block_merge_implIS3_N6thrust23THRUST_200600_302600_NS6detail15normal_iteratorINS9_10device_ptrImEEEEPS5_m11less_div_10ImEEE10hipError_tT0_T1_T2_jT3_P12ihipStream_tbPNSt15iterator_traitsISJ_E10value_typeEPNSP_ISK_E10value_typeEPSL_NS1_7vsmem_tEENKUlT_SJ_SK_SL_E_clIPmSE_SF_SF_EESI_SY_SJ_SK_SL_EUlSY_E1_NS1_11comp_targetILNS1_3genE3ELNS1_11target_archE908ELNS1_3gpuE7ELNS1_3repE0EEENS1_36merge_oddeven_config_static_selectorELNS0_4arch9wavefront6targetE0EEEvSK_.has_dyn_sized_stack, 0
	.set _ZN7rocprim17ROCPRIM_400000_NS6detail17trampoline_kernelINS0_14default_configENS1_38merge_sort_block_merge_config_selectorImNS0_10empty_typeEEEZZNS1_27merge_sort_block_merge_implIS3_N6thrust23THRUST_200600_302600_NS6detail15normal_iteratorINS9_10device_ptrImEEEEPS5_m11less_div_10ImEEE10hipError_tT0_T1_T2_jT3_P12ihipStream_tbPNSt15iterator_traitsISJ_E10value_typeEPNSP_ISK_E10value_typeEPSL_NS1_7vsmem_tEENKUlT_SJ_SK_SL_E_clIPmSE_SF_SF_EESI_SY_SJ_SK_SL_EUlSY_E1_NS1_11comp_targetILNS1_3genE3ELNS1_11target_archE908ELNS1_3gpuE7ELNS1_3repE0EEENS1_36merge_oddeven_config_static_selectorELNS0_4arch9wavefront6targetE0EEEvSK_.has_recursion, 0
	.set _ZN7rocprim17ROCPRIM_400000_NS6detail17trampoline_kernelINS0_14default_configENS1_38merge_sort_block_merge_config_selectorImNS0_10empty_typeEEEZZNS1_27merge_sort_block_merge_implIS3_N6thrust23THRUST_200600_302600_NS6detail15normal_iteratorINS9_10device_ptrImEEEEPS5_m11less_div_10ImEEE10hipError_tT0_T1_T2_jT3_P12ihipStream_tbPNSt15iterator_traitsISJ_E10value_typeEPNSP_ISK_E10value_typeEPSL_NS1_7vsmem_tEENKUlT_SJ_SK_SL_E_clIPmSE_SF_SF_EESI_SY_SJ_SK_SL_EUlSY_E1_NS1_11comp_targetILNS1_3genE3ELNS1_11target_archE908ELNS1_3gpuE7ELNS1_3repE0EEENS1_36merge_oddeven_config_static_selectorELNS0_4arch9wavefront6targetE0EEEvSK_.has_indirect_call, 0
	.section	.AMDGPU.csdata,"",@progbits
; Kernel info:
; codeLenInByte = 0
; TotalNumSgprs: 0
; NumVgprs: 0
; ScratchSize: 0
; MemoryBound: 0
; FloatMode: 240
; IeeeMode: 1
; LDSByteSize: 0 bytes/workgroup (compile time only)
; SGPRBlocks: 0
; VGPRBlocks: 0
; NumSGPRsForWavesPerEU: 1
; NumVGPRsForWavesPerEU: 1
; Occupancy: 16
; WaveLimiterHint : 0
; COMPUTE_PGM_RSRC2:SCRATCH_EN: 0
; COMPUTE_PGM_RSRC2:USER_SGPR: 6
; COMPUTE_PGM_RSRC2:TRAP_HANDLER: 0
; COMPUTE_PGM_RSRC2:TGID_X_EN: 1
; COMPUTE_PGM_RSRC2:TGID_Y_EN: 0
; COMPUTE_PGM_RSRC2:TGID_Z_EN: 0
; COMPUTE_PGM_RSRC2:TIDIG_COMP_CNT: 0
	.section	.text._ZN7rocprim17ROCPRIM_400000_NS6detail17trampoline_kernelINS0_14default_configENS1_38merge_sort_block_merge_config_selectorImNS0_10empty_typeEEEZZNS1_27merge_sort_block_merge_implIS3_N6thrust23THRUST_200600_302600_NS6detail15normal_iteratorINS9_10device_ptrImEEEEPS5_m11less_div_10ImEEE10hipError_tT0_T1_T2_jT3_P12ihipStream_tbPNSt15iterator_traitsISJ_E10value_typeEPNSP_ISK_E10value_typeEPSL_NS1_7vsmem_tEENKUlT_SJ_SK_SL_E_clIPmSE_SF_SF_EESI_SY_SJ_SK_SL_EUlSY_E1_NS1_11comp_targetILNS1_3genE2ELNS1_11target_archE906ELNS1_3gpuE6ELNS1_3repE0EEENS1_36merge_oddeven_config_static_selectorELNS0_4arch9wavefront6targetE0EEEvSK_,"axG",@progbits,_ZN7rocprim17ROCPRIM_400000_NS6detail17trampoline_kernelINS0_14default_configENS1_38merge_sort_block_merge_config_selectorImNS0_10empty_typeEEEZZNS1_27merge_sort_block_merge_implIS3_N6thrust23THRUST_200600_302600_NS6detail15normal_iteratorINS9_10device_ptrImEEEEPS5_m11less_div_10ImEEE10hipError_tT0_T1_T2_jT3_P12ihipStream_tbPNSt15iterator_traitsISJ_E10value_typeEPNSP_ISK_E10value_typeEPSL_NS1_7vsmem_tEENKUlT_SJ_SK_SL_E_clIPmSE_SF_SF_EESI_SY_SJ_SK_SL_EUlSY_E1_NS1_11comp_targetILNS1_3genE2ELNS1_11target_archE906ELNS1_3gpuE6ELNS1_3repE0EEENS1_36merge_oddeven_config_static_selectorELNS0_4arch9wavefront6targetE0EEEvSK_,comdat
	.protected	_ZN7rocprim17ROCPRIM_400000_NS6detail17trampoline_kernelINS0_14default_configENS1_38merge_sort_block_merge_config_selectorImNS0_10empty_typeEEEZZNS1_27merge_sort_block_merge_implIS3_N6thrust23THRUST_200600_302600_NS6detail15normal_iteratorINS9_10device_ptrImEEEEPS5_m11less_div_10ImEEE10hipError_tT0_T1_T2_jT3_P12ihipStream_tbPNSt15iterator_traitsISJ_E10value_typeEPNSP_ISK_E10value_typeEPSL_NS1_7vsmem_tEENKUlT_SJ_SK_SL_E_clIPmSE_SF_SF_EESI_SY_SJ_SK_SL_EUlSY_E1_NS1_11comp_targetILNS1_3genE2ELNS1_11target_archE906ELNS1_3gpuE6ELNS1_3repE0EEENS1_36merge_oddeven_config_static_selectorELNS0_4arch9wavefront6targetE0EEEvSK_ ; -- Begin function _ZN7rocprim17ROCPRIM_400000_NS6detail17trampoline_kernelINS0_14default_configENS1_38merge_sort_block_merge_config_selectorImNS0_10empty_typeEEEZZNS1_27merge_sort_block_merge_implIS3_N6thrust23THRUST_200600_302600_NS6detail15normal_iteratorINS9_10device_ptrImEEEEPS5_m11less_div_10ImEEE10hipError_tT0_T1_T2_jT3_P12ihipStream_tbPNSt15iterator_traitsISJ_E10value_typeEPNSP_ISK_E10value_typeEPSL_NS1_7vsmem_tEENKUlT_SJ_SK_SL_E_clIPmSE_SF_SF_EESI_SY_SJ_SK_SL_EUlSY_E1_NS1_11comp_targetILNS1_3genE2ELNS1_11target_archE906ELNS1_3gpuE6ELNS1_3repE0EEENS1_36merge_oddeven_config_static_selectorELNS0_4arch9wavefront6targetE0EEEvSK_
	.globl	_ZN7rocprim17ROCPRIM_400000_NS6detail17trampoline_kernelINS0_14default_configENS1_38merge_sort_block_merge_config_selectorImNS0_10empty_typeEEEZZNS1_27merge_sort_block_merge_implIS3_N6thrust23THRUST_200600_302600_NS6detail15normal_iteratorINS9_10device_ptrImEEEEPS5_m11less_div_10ImEEE10hipError_tT0_T1_T2_jT3_P12ihipStream_tbPNSt15iterator_traitsISJ_E10value_typeEPNSP_ISK_E10value_typeEPSL_NS1_7vsmem_tEENKUlT_SJ_SK_SL_E_clIPmSE_SF_SF_EESI_SY_SJ_SK_SL_EUlSY_E1_NS1_11comp_targetILNS1_3genE2ELNS1_11target_archE906ELNS1_3gpuE6ELNS1_3repE0EEENS1_36merge_oddeven_config_static_selectorELNS0_4arch9wavefront6targetE0EEEvSK_
	.p2align	8
	.type	_ZN7rocprim17ROCPRIM_400000_NS6detail17trampoline_kernelINS0_14default_configENS1_38merge_sort_block_merge_config_selectorImNS0_10empty_typeEEEZZNS1_27merge_sort_block_merge_implIS3_N6thrust23THRUST_200600_302600_NS6detail15normal_iteratorINS9_10device_ptrImEEEEPS5_m11less_div_10ImEEE10hipError_tT0_T1_T2_jT3_P12ihipStream_tbPNSt15iterator_traitsISJ_E10value_typeEPNSP_ISK_E10value_typeEPSL_NS1_7vsmem_tEENKUlT_SJ_SK_SL_E_clIPmSE_SF_SF_EESI_SY_SJ_SK_SL_EUlSY_E1_NS1_11comp_targetILNS1_3genE2ELNS1_11target_archE906ELNS1_3gpuE6ELNS1_3repE0EEENS1_36merge_oddeven_config_static_selectorELNS0_4arch9wavefront6targetE0EEEvSK_,@function
_ZN7rocprim17ROCPRIM_400000_NS6detail17trampoline_kernelINS0_14default_configENS1_38merge_sort_block_merge_config_selectorImNS0_10empty_typeEEEZZNS1_27merge_sort_block_merge_implIS3_N6thrust23THRUST_200600_302600_NS6detail15normal_iteratorINS9_10device_ptrImEEEEPS5_m11less_div_10ImEEE10hipError_tT0_T1_T2_jT3_P12ihipStream_tbPNSt15iterator_traitsISJ_E10value_typeEPNSP_ISK_E10value_typeEPSL_NS1_7vsmem_tEENKUlT_SJ_SK_SL_E_clIPmSE_SF_SF_EESI_SY_SJ_SK_SL_EUlSY_E1_NS1_11comp_targetILNS1_3genE2ELNS1_11target_archE906ELNS1_3gpuE6ELNS1_3repE0EEENS1_36merge_oddeven_config_static_selectorELNS0_4arch9wavefront6targetE0EEEvSK_: ; @_ZN7rocprim17ROCPRIM_400000_NS6detail17trampoline_kernelINS0_14default_configENS1_38merge_sort_block_merge_config_selectorImNS0_10empty_typeEEEZZNS1_27merge_sort_block_merge_implIS3_N6thrust23THRUST_200600_302600_NS6detail15normal_iteratorINS9_10device_ptrImEEEEPS5_m11less_div_10ImEEE10hipError_tT0_T1_T2_jT3_P12ihipStream_tbPNSt15iterator_traitsISJ_E10value_typeEPNSP_ISK_E10value_typeEPSL_NS1_7vsmem_tEENKUlT_SJ_SK_SL_E_clIPmSE_SF_SF_EESI_SY_SJ_SK_SL_EUlSY_E1_NS1_11comp_targetILNS1_3genE2ELNS1_11target_archE906ELNS1_3gpuE6ELNS1_3repE0EEENS1_36merge_oddeven_config_static_selectorELNS0_4arch9wavefront6targetE0EEEvSK_
; %bb.0:
	.section	.rodata,"a",@progbits
	.p2align	6, 0x0
	.amdhsa_kernel _ZN7rocprim17ROCPRIM_400000_NS6detail17trampoline_kernelINS0_14default_configENS1_38merge_sort_block_merge_config_selectorImNS0_10empty_typeEEEZZNS1_27merge_sort_block_merge_implIS3_N6thrust23THRUST_200600_302600_NS6detail15normal_iteratorINS9_10device_ptrImEEEEPS5_m11less_div_10ImEEE10hipError_tT0_T1_T2_jT3_P12ihipStream_tbPNSt15iterator_traitsISJ_E10value_typeEPNSP_ISK_E10value_typeEPSL_NS1_7vsmem_tEENKUlT_SJ_SK_SL_E_clIPmSE_SF_SF_EESI_SY_SJ_SK_SL_EUlSY_E1_NS1_11comp_targetILNS1_3genE2ELNS1_11target_archE906ELNS1_3gpuE6ELNS1_3repE0EEENS1_36merge_oddeven_config_static_selectorELNS0_4arch9wavefront6targetE0EEEvSK_
		.amdhsa_group_segment_fixed_size 0
		.amdhsa_private_segment_fixed_size 0
		.amdhsa_kernarg_size 56
		.amdhsa_user_sgpr_count 6
		.amdhsa_user_sgpr_private_segment_buffer 1
		.amdhsa_user_sgpr_dispatch_ptr 0
		.amdhsa_user_sgpr_queue_ptr 0
		.amdhsa_user_sgpr_kernarg_segment_ptr 1
		.amdhsa_user_sgpr_dispatch_id 0
		.amdhsa_user_sgpr_flat_scratch_init 0
		.amdhsa_user_sgpr_private_segment_size 0
		.amdhsa_wavefront_size32 1
		.amdhsa_uses_dynamic_stack 0
		.amdhsa_system_sgpr_private_segment_wavefront_offset 0
		.amdhsa_system_sgpr_workgroup_id_x 1
		.amdhsa_system_sgpr_workgroup_id_y 0
		.amdhsa_system_sgpr_workgroup_id_z 0
		.amdhsa_system_sgpr_workgroup_info 0
		.amdhsa_system_vgpr_workitem_id 0
		.amdhsa_next_free_vgpr 1
		.amdhsa_next_free_sgpr 1
		.amdhsa_reserve_vcc 0
		.amdhsa_reserve_flat_scratch 0
		.amdhsa_float_round_mode_32 0
		.amdhsa_float_round_mode_16_64 0
		.amdhsa_float_denorm_mode_32 3
		.amdhsa_float_denorm_mode_16_64 3
		.amdhsa_dx10_clamp 1
		.amdhsa_ieee_mode 1
		.amdhsa_fp16_overflow 0
		.amdhsa_workgroup_processor_mode 1
		.amdhsa_memory_ordered 1
		.amdhsa_forward_progress 1
		.amdhsa_shared_vgpr_count 0
		.amdhsa_exception_fp_ieee_invalid_op 0
		.amdhsa_exception_fp_denorm_src 0
		.amdhsa_exception_fp_ieee_div_zero 0
		.amdhsa_exception_fp_ieee_overflow 0
		.amdhsa_exception_fp_ieee_underflow 0
		.amdhsa_exception_fp_ieee_inexact 0
		.amdhsa_exception_int_div_zero 0
	.end_amdhsa_kernel
	.section	.text._ZN7rocprim17ROCPRIM_400000_NS6detail17trampoline_kernelINS0_14default_configENS1_38merge_sort_block_merge_config_selectorImNS0_10empty_typeEEEZZNS1_27merge_sort_block_merge_implIS3_N6thrust23THRUST_200600_302600_NS6detail15normal_iteratorINS9_10device_ptrImEEEEPS5_m11less_div_10ImEEE10hipError_tT0_T1_T2_jT3_P12ihipStream_tbPNSt15iterator_traitsISJ_E10value_typeEPNSP_ISK_E10value_typeEPSL_NS1_7vsmem_tEENKUlT_SJ_SK_SL_E_clIPmSE_SF_SF_EESI_SY_SJ_SK_SL_EUlSY_E1_NS1_11comp_targetILNS1_3genE2ELNS1_11target_archE906ELNS1_3gpuE6ELNS1_3repE0EEENS1_36merge_oddeven_config_static_selectorELNS0_4arch9wavefront6targetE0EEEvSK_,"axG",@progbits,_ZN7rocprim17ROCPRIM_400000_NS6detail17trampoline_kernelINS0_14default_configENS1_38merge_sort_block_merge_config_selectorImNS0_10empty_typeEEEZZNS1_27merge_sort_block_merge_implIS3_N6thrust23THRUST_200600_302600_NS6detail15normal_iteratorINS9_10device_ptrImEEEEPS5_m11less_div_10ImEEE10hipError_tT0_T1_T2_jT3_P12ihipStream_tbPNSt15iterator_traitsISJ_E10value_typeEPNSP_ISK_E10value_typeEPSL_NS1_7vsmem_tEENKUlT_SJ_SK_SL_E_clIPmSE_SF_SF_EESI_SY_SJ_SK_SL_EUlSY_E1_NS1_11comp_targetILNS1_3genE2ELNS1_11target_archE906ELNS1_3gpuE6ELNS1_3repE0EEENS1_36merge_oddeven_config_static_selectorELNS0_4arch9wavefront6targetE0EEEvSK_,comdat
.Lfunc_end638:
	.size	_ZN7rocprim17ROCPRIM_400000_NS6detail17trampoline_kernelINS0_14default_configENS1_38merge_sort_block_merge_config_selectorImNS0_10empty_typeEEEZZNS1_27merge_sort_block_merge_implIS3_N6thrust23THRUST_200600_302600_NS6detail15normal_iteratorINS9_10device_ptrImEEEEPS5_m11less_div_10ImEEE10hipError_tT0_T1_T2_jT3_P12ihipStream_tbPNSt15iterator_traitsISJ_E10value_typeEPNSP_ISK_E10value_typeEPSL_NS1_7vsmem_tEENKUlT_SJ_SK_SL_E_clIPmSE_SF_SF_EESI_SY_SJ_SK_SL_EUlSY_E1_NS1_11comp_targetILNS1_3genE2ELNS1_11target_archE906ELNS1_3gpuE6ELNS1_3repE0EEENS1_36merge_oddeven_config_static_selectorELNS0_4arch9wavefront6targetE0EEEvSK_, .Lfunc_end638-_ZN7rocprim17ROCPRIM_400000_NS6detail17trampoline_kernelINS0_14default_configENS1_38merge_sort_block_merge_config_selectorImNS0_10empty_typeEEEZZNS1_27merge_sort_block_merge_implIS3_N6thrust23THRUST_200600_302600_NS6detail15normal_iteratorINS9_10device_ptrImEEEEPS5_m11less_div_10ImEEE10hipError_tT0_T1_T2_jT3_P12ihipStream_tbPNSt15iterator_traitsISJ_E10value_typeEPNSP_ISK_E10value_typeEPSL_NS1_7vsmem_tEENKUlT_SJ_SK_SL_E_clIPmSE_SF_SF_EESI_SY_SJ_SK_SL_EUlSY_E1_NS1_11comp_targetILNS1_3genE2ELNS1_11target_archE906ELNS1_3gpuE6ELNS1_3repE0EEENS1_36merge_oddeven_config_static_selectorELNS0_4arch9wavefront6targetE0EEEvSK_
                                        ; -- End function
	.set _ZN7rocprim17ROCPRIM_400000_NS6detail17trampoline_kernelINS0_14default_configENS1_38merge_sort_block_merge_config_selectorImNS0_10empty_typeEEEZZNS1_27merge_sort_block_merge_implIS3_N6thrust23THRUST_200600_302600_NS6detail15normal_iteratorINS9_10device_ptrImEEEEPS5_m11less_div_10ImEEE10hipError_tT0_T1_T2_jT3_P12ihipStream_tbPNSt15iterator_traitsISJ_E10value_typeEPNSP_ISK_E10value_typeEPSL_NS1_7vsmem_tEENKUlT_SJ_SK_SL_E_clIPmSE_SF_SF_EESI_SY_SJ_SK_SL_EUlSY_E1_NS1_11comp_targetILNS1_3genE2ELNS1_11target_archE906ELNS1_3gpuE6ELNS1_3repE0EEENS1_36merge_oddeven_config_static_selectorELNS0_4arch9wavefront6targetE0EEEvSK_.num_vgpr, 0
	.set _ZN7rocprim17ROCPRIM_400000_NS6detail17trampoline_kernelINS0_14default_configENS1_38merge_sort_block_merge_config_selectorImNS0_10empty_typeEEEZZNS1_27merge_sort_block_merge_implIS3_N6thrust23THRUST_200600_302600_NS6detail15normal_iteratorINS9_10device_ptrImEEEEPS5_m11less_div_10ImEEE10hipError_tT0_T1_T2_jT3_P12ihipStream_tbPNSt15iterator_traitsISJ_E10value_typeEPNSP_ISK_E10value_typeEPSL_NS1_7vsmem_tEENKUlT_SJ_SK_SL_E_clIPmSE_SF_SF_EESI_SY_SJ_SK_SL_EUlSY_E1_NS1_11comp_targetILNS1_3genE2ELNS1_11target_archE906ELNS1_3gpuE6ELNS1_3repE0EEENS1_36merge_oddeven_config_static_selectorELNS0_4arch9wavefront6targetE0EEEvSK_.num_agpr, 0
	.set _ZN7rocprim17ROCPRIM_400000_NS6detail17trampoline_kernelINS0_14default_configENS1_38merge_sort_block_merge_config_selectorImNS0_10empty_typeEEEZZNS1_27merge_sort_block_merge_implIS3_N6thrust23THRUST_200600_302600_NS6detail15normal_iteratorINS9_10device_ptrImEEEEPS5_m11less_div_10ImEEE10hipError_tT0_T1_T2_jT3_P12ihipStream_tbPNSt15iterator_traitsISJ_E10value_typeEPNSP_ISK_E10value_typeEPSL_NS1_7vsmem_tEENKUlT_SJ_SK_SL_E_clIPmSE_SF_SF_EESI_SY_SJ_SK_SL_EUlSY_E1_NS1_11comp_targetILNS1_3genE2ELNS1_11target_archE906ELNS1_3gpuE6ELNS1_3repE0EEENS1_36merge_oddeven_config_static_selectorELNS0_4arch9wavefront6targetE0EEEvSK_.numbered_sgpr, 0
	.set _ZN7rocprim17ROCPRIM_400000_NS6detail17trampoline_kernelINS0_14default_configENS1_38merge_sort_block_merge_config_selectorImNS0_10empty_typeEEEZZNS1_27merge_sort_block_merge_implIS3_N6thrust23THRUST_200600_302600_NS6detail15normal_iteratorINS9_10device_ptrImEEEEPS5_m11less_div_10ImEEE10hipError_tT0_T1_T2_jT3_P12ihipStream_tbPNSt15iterator_traitsISJ_E10value_typeEPNSP_ISK_E10value_typeEPSL_NS1_7vsmem_tEENKUlT_SJ_SK_SL_E_clIPmSE_SF_SF_EESI_SY_SJ_SK_SL_EUlSY_E1_NS1_11comp_targetILNS1_3genE2ELNS1_11target_archE906ELNS1_3gpuE6ELNS1_3repE0EEENS1_36merge_oddeven_config_static_selectorELNS0_4arch9wavefront6targetE0EEEvSK_.num_named_barrier, 0
	.set _ZN7rocprim17ROCPRIM_400000_NS6detail17trampoline_kernelINS0_14default_configENS1_38merge_sort_block_merge_config_selectorImNS0_10empty_typeEEEZZNS1_27merge_sort_block_merge_implIS3_N6thrust23THRUST_200600_302600_NS6detail15normal_iteratorINS9_10device_ptrImEEEEPS5_m11less_div_10ImEEE10hipError_tT0_T1_T2_jT3_P12ihipStream_tbPNSt15iterator_traitsISJ_E10value_typeEPNSP_ISK_E10value_typeEPSL_NS1_7vsmem_tEENKUlT_SJ_SK_SL_E_clIPmSE_SF_SF_EESI_SY_SJ_SK_SL_EUlSY_E1_NS1_11comp_targetILNS1_3genE2ELNS1_11target_archE906ELNS1_3gpuE6ELNS1_3repE0EEENS1_36merge_oddeven_config_static_selectorELNS0_4arch9wavefront6targetE0EEEvSK_.private_seg_size, 0
	.set _ZN7rocprim17ROCPRIM_400000_NS6detail17trampoline_kernelINS0_14default_configENS1_38merge_sort_block_merge_config_selectorImNS0_10empty_typeEEEZZNS1_27merge_sort_block_merge_implIS3_N6thrust23THRUST_200600_302600_NS6detail15normal_iteratorINS9_10device_ptrImEEEEPS5_m11less_div_10ImEEE10hipError_tT0_T1_T2_jT3_P12ihipStream_tbPNSt15iterator_traitsISJ_E10value_typeEPNSP_ISK_E10value_typeEPSL_NS1_7vsmem_tEENKUlT_SJ_SK_SL_E_clIPmSE_SF_SF_EESI_SY_SJ_SK_SL_EUlSY_E1_NS1_11comp_targetILNS1_3genE2ELNS1_11target_archE906ELNS1_3gpuE6ELNS1_3repE0EEENS1_36merge_oddeven_config_static_selectorELNS0_4arch9wavefront6targetE0EEEvSK_.uses_vcc, 0
	.set _ZN7rocprim17ROCPRIM_400000_NS6detail17trampoline_kernelINS0_14default_configENS1_38merge_sort_block_merge_config_selectorImNS0_10empty_typeEEEZZNS1_27merge_sort_block_merge_implIS3_N6thrust23THRUST_200600_302600_NS6detail15normal_iteratorINS9_10device_ptrImEEEEPS5_m11less_div_10ImEEE10hipError_tT0_T1_T2_jT3_P12ihipStream_tbPNSt15iterator_traitsISJ_E10value_typeEPNSP_ISK_E10value_typeEPSL_NS1_7vsmem_tEENKUlT_SJ_SK_SL_E_clIPmSE_SF_SF_EESI_SY_SJ_SK_SL_EUlSY_E1_NS1_11comp_targetILNS1_3genE2ELNS1_11target_archE906ELNS1_3gpuE6ELNS1_3repE0EEENS1_36merge_oddeven_config_static_selectorELNS0_4arch9wavefront6targetE0EEEvSK_.uses_flat_scratch, 0
	.set _ZN7rocprim17ROCPRIM_400000_NS6detail17trampoline_kernelINS0_14default_configENS1_38merge_sort_block_merge_config_selectorImNS0_10empty_typeEEEZZNS1_27merge_sort_block_merge_implIS3_N6thrust23THRUST_200600_302600_NS6detail15normal_iteratorINS9_10device_ptrImEEEEPS5_m11less_div_10ImEEE10hipError_tT0_T1_T2_jT3_P12ihipStream_tbPNSt15iterator_traitsISJ_E10value_typeEPNSP_ISK_E10value_typeEPSL_NS1_7vsmem_tEENKUlT_SJ_SK_SL_E_clIPmSE_SF_SF_EESI_SY_SJ_SK_SL_EUlSY_E1_NS1_11comp_targetILNS1_3genE2ELNS1_11target_archE906ELNS1_3gpuE6ELNS1_3repE0EEENS1_36merge_oddeven_config_static_selectorELNS0_4arch9wavefront6targetE0EEEvSK_.has_dyn_sized_stack, 0
	.set _ZN7rocprim17ROCPRIM_400000_NS6detail17trampoline_kernelINS0_14default_configENS1_38merge_sort_block_merge_config_selectorImNS0_10empty_typeEEEZZNS1_27merge_sort_block_merge_implIS3_N6thrust23THRUST_200600_302600_NS6detail15normal_iteratorINS9_10device_ptrImEEEEPS5_m11less_div_10ImEEE10hipError_tT0_T1_T2_jT3_P12ihipStream_tbPNSt15iterator_traitsISJ_E10value_typeEPNSP_ISK_E10value_typeEPSL_NS1_7vsmem_tEENKUlT_SJ_SK_SL_E_clIPmSE_SF_SF_EESI_SY_SJ_SK_SL_EUlSY_E1_NS1_11comp_targetILNS1_3genE2ELNS1_11target_archE906ELNS1_3gpuE6ELNS1_3repE0EEENS1_36merge_oddeven_config_static_selectorELNS0_4arch9wavefront6targetE0EEEvSK_.has_recursion, 0
	.set _ZN7rocprim17ROCPRIM_400000_NS6detail17trampoline_kernelINS0_14default_configENS1_38merge_sort_block_merge_config_selectorImNS0_10empty_typeEEEZZNS1_27merge_sort_block_merge_implIS3_N6thrust23THRUST_200600_302600_NS6detail15normal_iteratorINS9_10device_ptrImEEEEPS5_m11less_div_10ImEEE10hipError_tT0_T1_T2_jT3_P12ihipStream_tbPNSt15iterator_traitsISJ_E10value_typeEPNSP_ISK_E10value_typeEPSL_NS1_7vsmem_tEENKUlT_SJ_SK_SL_E_clIPmSE_SF_SF_EESI_SY_SJ_SK_SL_EUlSY_E1_NS1_11comp_targetILNS1_3genE2ELNS1_11target_archE906ELNS1_3gpuE6ELNS1_3repE0EEENS1_36merge_oddeven_config_static_selectorELNS0_4arch9wavefront6targetE0EEEvSK_.has_indirect_call, 0
	.section	.AMDGPU.csdata,"",@progbits
; Kernel info:
; codeLenInByte = 0
; TotalNumSgprs: 0
; NumVgprs: 0
; ScratchSize: 0
; MemoryBound: 0
; FloatMode: 240
; IeeeMode: 1
; LDSByteSize: 0 bytes/workgroup (compile time only)
; SGPRBlocks: 0
; VGPRBlocks: 0
; NumSGPRsForWavesPerEU: 1
; NumVGPRsForWavesPerEU: 1
; Occupancy: 16
; WaveLimiterHint : 0
; COMPUTE_PGM_RSRC2:SCRATCH_EN: 0
; COMPUTE_PGM_RSRC2:USER_SGPR: 6
; COMPUTE_PGM_RSRC2:TRAP_HANDLER: 0
; COMPUTE_PGM_RSRC2:TGID_X_EN: 1
; COMPUTE_PGM_RSRC2:TGID_Y_EN: 0
; COMPUTE_PGM_RSRC2:TGID_Z_EN: 0
; COMPUTE_PGM_RSRC2:TIDIG_COMP_CNT: 0
	.section	.text._ZN7rocprim17ROCPRIM_400000_NS6detail17trampoline_kernelINS0_14default_configENS1_38merge_sort_block_merge_config_selectorImNS0_10empty_typeEEEZZNS1_27merge_sort_block_merge_implIS3_N6thrust23THRUST_200600_302600_NS6detail15normal_iteratorINS9_10device_ptrImEEEEPS5_m11less_div_10ImEEE10hipError_tT0_T1_T2_jT3_P12ihipStream_tbPNSt15iterator_traitsISJ_E10value_typeEPNSP_ISK_E10value_typeEPSL_NS1_7vsmem_tEENKUlT_SJ_SK_SL_E_clIPmSE_SF_SF_EESI_SY_SJ_SK_SL_EUlSY_E1_NS1_11comp_targetILNS1_3genE9ELNS1_11target_archE1100ELNS1_3gpuE3ELNS1_3repE0EEENS1_36merge_oddeven_config_static_selectorELNS0_4arch9wavefront6targetE0EEEvSK_,"axG",@progbits,_ZN7rocprim17ROCPRIM_400000_NS6detail17trampoline_kernelINS0_14default_configENS1_38merge_sort_block_merge_config_selectorImNS0_10empty_typeEEEZZNS1_27merge_sort_block_merge_implIS3_N6thrust23THRUST_200600_302600_NS6detail15normal_iteratorINS9_10device_ptrImEEEEPS5_m11less_div_10ImEEE10hipError_tT0_T1_T2_jT3_P12ihipStream_tbPNSt15iterator_traitsISJ_E10value_typeEPNSP_ISK_E10value_typeEPSL_NS1_7vsmem_tEENKUlT_SJ_SK_SL_E_clIPmSE_SF_SF_EESI_SY_SJ_SK_SL_EUlSY_E1_NS1_11comp_targetILNS1_3genE9ELNS1_11target_archE1100ELNS1_3gpuE3ELNS1_3repE0EEENS1_36merge_oddeven_config_static_selectorELNS0_4arch9wavefront6targetE0EEEvSK_,comdat
	.protected	_ZN7rocprim17ROCPRIM_400000_NS6detail17trampoline_kernelINS0_14default_configENS1_38merge_sort_block_merge_config_selectorImNS0_10empty_typeEEEZZNS1_27merge_sort_block_merge_implIS3_N6thrust23THRUST_200600_302600_NS6detail15normal_iteratorINS9_10device_ptrImEEEEPS5_m11less_div_10ImEEE10hipError_tT0_T1_T2_jT3_P12ihipStream_tbPNSt15iterator_traitsISJ_E10value_typeEPNSP_ISK_E10value_typeEPSL_NS1_7vsmem_tEENKUlT_SJ_SK_SL_E_clIPmSE_SF_SF_EESI_SY_SJ_SK_SL_EUlSY_E1_NS1_11comp_targetILNS1_3genE9ELNS1_11target_archE1100ELNS1_3gpuE3ELNS1_3repE0EEENS1_36merge_oddeven_config_static_selectorELNS0_4arch9wavefront6targetE0EEEvSK_ ; -- Begin function _ZN7rocprim17ROCPRIM_400000_NS6detail17trampoline_kernelINS0_14default_configENS1_38merge_sort_block_merge_config_selectorImNS0_10empty_typeEEEZZNS1_27merge_sort_block_merge_implIS3_N6thrust23THRUST_200600_302600_NS6detail15normal_iteratorINS9_10device_ptrImEEEEPS5_m11less_div_10ImEEE10hipError_tT0_T1_T2_jT3_P12ihipStream_tbPNSt15iterator_traitsISJ_E10value_typeEPNSP_ISK_E10value_typeEPSL_NS1_7vsmem_tEENKUlT_SJ_SK_SL_E_clIPmSE_SF_SF_EESI_SY_SJ_SK_SL_EUlSY_E1_NS1_11comp_targetILNS1_3genE9ELNS1_11target_archE1100ELNS1_3gpuE3ELNS1_3repE0EEENS1_36merge_oddeven_config_static_selectorELNS0_4arch9wavefront6targetE0EEEvSK_
	.globl	_ZN7rocprim17ROCPRIM_400000_NS6detail17trampoline_kernelINS0_14default_configENS1_38merge_sort_block_merge_config_selectorImNS0_10empty_typeEEEZZNS1_27merge_sort_block_merge_implIS3_N6thrust23THRUST_200600_302600_NS6detail15normal_iteratorINS9_10device_ptrImEEEEPS5_m11less_div_10ImEEE10hipError_tT0_T1_T2_jT3_P12ihipStream_tbPNSt15iterator_traitsISJ_E10value_typeEPNSP_ISK_E10value_typeEPSL_NS1_7vsmem_tEENKUlT_SJ_SK_SL_E_clIPmSE_SF_SF_EESI_SY_SJ_SK_SL_EUlSY_E1_NS1_11comp_targetILNS1_3genE9ELNS1_11target_archE1100ELNS1_3gpuE3ELNS1_3repE0EEENS1_36merge_oddeven_config_static_selectorELNS0_4arch9wavefront6targetE0EEEvSK_
	.p2align	8
	.type	_ZN7rocprim17ROCPRIM_400000_NS6detail17trampoline_kernelINS0_14default_configENS1_38merge_sort_block_merge_config_selectorImNS0_10empty_typeEEEZZNS1_27merge_sort_block_merge_implIS3_N6thrust23THRUST_200600_302600_NS6detail15normal_iteratorINS9_10device_ptrImEEEEPS5_m11less_div_10ImEEE10hipError_tT0_T1_T2_jT3_P12ihipStream_tbPNSt15iterator_traitsISJ_E10value_typeEPNSP_ISK_E10value_typeEPSL_NS1_7vsmem_tEENKUlT_SJ_SK_SL_E_clIPmSE_SF_SF_EESI_SY_SJ_SK_SL_EUlSY_E1_NS1_11comp_targetILNS1_3genE9ELNS1_11target_archE1100ELNS1_3gpuE3ELNS1_3repE0EEENS1_36merge_oddeven_config_static_selectorELNS0_4arch9wavefront6targetE0EEEvSK_,@function
_ZN7rocprim17ROCPRIM_400000_NS6detail17trampoline_kernelINS0_14default_configENS1_38merge_sort_block_merge_config_selectorImNS0_10empty_typeEEEZZNS1_27merge_sort_block_merge_implIS3_N6thrust23THRUST_200600_302600_NS6detail15normal_iteratorINS9_10device_ptrImEEEEPS5_m11less_div_10ImEEE10hipError_tT0_T1_T2_jT3_P12ihipStream_tbPNSt15iterator_traitsISJ_E10value_typeEPNSP_ISK_E10value_typeEPSL_NS1_7vsmem_tEENKUlT_SJ_SK_SL_E_clIPmSE_SF_SF_EESI_SY_SJ_SK_SL_EUlSY_E1_NS1_11comp_targetILNS1_3genE9ELNS1_11target_archE1100ELNS1_3gpuE3ELNS1_3repE0EEENS1_36merge_oddeven_config_static_selectorELNS0_4arch9wavefront6targetE0EEEvSK_: ; @_ZN7rocprim17ROCPRIM_400000_NS6detail17trampoline_kernelINS0_14default_configENS1_38merge_sort_block_merge_config_selectorImNS0_10empty_typeEEEZZNS1_27merge_sort_block_merge_implIS3_N6thrust23THRUST_200600_302600_NS6detail15normal_iteratorINS9_10device_ptrImEEEEPS5_m11less_div_10ImEEE10hipError_tT0_T1_T2_jT3_P12ihipStream_tbPNSt15iterator_traitsISJ_E10value_typeEPNSP_ISK_E10value_typeEPSL_NS1_7vsmem_tEENKUlT_SJ_SK_SL_E_clIPmSE_SF_SF_EESI_SY_SJ_SK_SL_EUlSY_E1_NS1_11comp_targetILNS1_3genE9ELNS1_11target_archE1100ELNS1_3gpuE3ELNS1_3repE0EEENS1_36merge_oddeven_config_static_selectorELNS0_4arch9wavefront6targetE0EEEvSK_
; %bb.0:
	.section	.rodata,"a",@progbits
	.p2align	6, 0x0
	.amdhsa_kernel _ZN7rocprim17ROCPRIM_400000_NS6detail17trampoline_kernelINS0_14default_configENS1_38merge_sort_block_merge_config_selectorImNS0_10empty_typeEEEZZNS1_27merge_sort_block_merge_implIS3_N6thrust23THRUST_200600_302600_NS6detail15normal_iteratorINS9_10device_ptrImEEEEPS5_m11less_div_10ImEEE10hipError_tT0_T1_T2_jT3_P12ihipStream_tbPNSt15iterator_traitsISJ_E10value_typeEPNSP_ISK_E10value_typeEPSL_NS1_7vsmem_tEENKUlT_SJ_SK_SL_E_clIPmSE_SF_SF_EESI_SY_SJ_SK_SL_EUlSY_E1_NS1_11comp_targetILNS1_3genE9ELNS1_11target_archE1100ELNS1_3gpuE3ELNS1_3repE0EEENS1_36merge_oddeven_config_static_selectorELNS0_4arch9wavefront6targetE0EEEvSK_
		.amdhsa_group_segment_fixed_size 0
		.amdhsa_private_segment_fixed_size 0
		.amdhsa_kernarg_size 56
		.amdhsa_user_sgpr_count 6
		.amdhsa_user_sgpr_private_segment_buffer 1
		.amdhsa_user_sgpr_dispatch_ptr 0
		.amdhsa_user_sgpr_queue_ptr 0
		.amdhsa_user_sgpr_kernarg_segment_ptr 1
		.amdhsa_user_sgpr_dispatch_id 0
		.amdhsa_user_sgpr_flat_scratch_init 0
		.amdhsa_user_sgpr_private_segment_size 0
		.amdhsa_wavefront_size32 1
		.amdhsa_uses_dynamic_stack 0
		.amdhsa_system_sgpr_private_segment_wavefront_offset 0
		.amdhsa_system_sgpr_workgroup_id_x 1
		.amdhsa_system_sgpr_workgroup_id_y 0
		.amdhsa_system_sgpr_workgroup_id_z 0
		.amdhsa_system_sgpr_workgroup_info 0
		.amdhsa_system_vgpr_workitem_id 0
		.amdhsa_next_free_vgpr 1
		.amdhsa_next_free_sgpr 1
		.amdhsa_reserve_vcc 0
		.amdhsa_reserve_flat_scratch 0
		.amdhsa_float_round_mode_32 0
		.amdhsa_float_round_mode_16_64 0
		.amdhsa_float_denorm_mode_32 3
		.amdhsa_float_denorm_mode_16_64 3
		.amdhsa_dx10_clamp 1
		.amdhsa_ieee_mode 1
		.amdhsa_fp16_overflow 0
		.amdhsa_workgroup_processor_mode 1
		.amdhsa_memory_ordered 1
		.amdhsa_forward_progress 1
		.amdhsa_shared_vgpr_count 0
		.amdhsa_exception_fp_ieee_invalid_op 0
		.amdhsa_exception_fp_denorm_src 0
		.amdhsa_exception_fp_ieee_div_zero 0
		.amdhsa_exception_fp_ieee_overflow 0
		.amdhsa_exception_fp_ieee_underflow 0
		.amdhsa_exception_fp_ieee_inexact 0
		.amdhsa_exception_int_div_zero 0
	.end_amdhsa_kernel
	.section	.text._ZN7rocprim17ROCPRIM_400000_NS6detail17trampoline_kernelINS0_14default_configENS1_38merge_sort_block_merge_config_selectorImNS0_10empty_typeEEEZZNS1_27merge_sort_block_merge_implIS3_N6thrust23THRUST_200600_302600_NS6detail15normal_iteratorINS9_10device_ptrImEEEEPS5_m11less_div_10ImEEE10hipError_tT0_T1_T2_jT3_P12ihipStream_tbPNSt15iterator_traitsISJ_E10value_typeEPNSP_ISK_E10value_typeEPSL_NS1_7vsmem_tEENKUlT_SJ_SK_SL_E_clIPmSE_SF_SF_EESI_SY_SJ_SK_SL_EUlSY_E1_NS1_11comp_targetILNS1_3genE9ELNS1_11target_archE1100ELNS1_3gpuE3ELNS1_3repE0EEENS1_36merge_oddeven_config_static_selectorELNS0_4arch9wavefront6targetE0EEEvSK_,"axG",@progbits,_ZN7rocprim17ROCPRIM_400000_NS6detail17trampoline_kernelINS0_14default_configENS1_38merge_sort_block_merge_config_selectorImNS0_10empty_typeEEEZZNS1_27merge_sort_block_merge_implIS3_N6thrust23THRUST_200600_302600_NS6detail15normal_iteratorINS9_10device_ptrImEEEEPS5_m11less_div_10ImEEE10hipError_tT0_T1_T2_jT3_P12ihipStream_tbPNSt15iterator_traitsISJ_E10value_typeEPNSP_ISK_E10value_typeEPSL_NS1_7vsmem_tEENKUlT_SJ_SK_SL_E_clIPmSE_SF_SF_EESI_SY_SJ_SK_SL_EUlSY_E1_NS1_11comp_targetILNS1_3genE9ELNS1_11target_archE1100ELNS1_3gpuE3ELNS1_3repE0EEENS1_36merge_oddeven_config_static_selectorELNS0_4arch9wavefront6targetE0EEEvSK_,comdat
.Lfunc_end639:
	.size	_ZN7rocprim17ROCPRIM_400000_NS6detail17trampoline_kernelINS0_14default_configENS1_38merge_sort_block_merge_config_selectorImNS0_10empty_typeEEEZZNS1_27merge_sort_block_merge_implIS3_N6thrust23THRUST_200600_302600_NS6detail15normal_iteratorINS9_10device_ptrImEEEEPS5_m11less_div_10ImEEE10hipError_tT0_T1_T2_jT3_P12ihipStream_tbPNSt15iterator_traitsISJ_E10value_typeEPNSP_ISK_E10value_typeEPSL_NS1_7vsmem_tEENKUlT_SJ_SK_SL_E_clIPmSE_SF_SF_EESI_SY_SJ_SK_SL_EUlSY_E1_NS1_11comp_targetILNS1_3genE9ELNS1_11target_archE1100ELNS1_3gpuE3ELNS1_3repE0EEENS1_36merge_oddeven_config_static_selectorELNS0_4arch9wavefront6targetE0EEEvSK_, .Lfunc_end639-_ZN7rocprim17ROCPRIM_400000_NS6detail17trampoline_kernelINS0_14default_configENS1_38merge_sort_block_merge_config_selectorImNS0_10empty_typeEEEZZNS1_27merge_sort_block_merge_implIS3_N6thrust23THRUST_200600_302600_NS6detail15normal_iteratorINS9_10device_ptrImEEEEPS5_m11less_div_10ImEEE10hipError_tT0_T1_T2_jT3_P12ihipStream_tbPNSt15iterator_traitsISJ_E10value_typeEPNSP_ISK_E10value_typeEPSL_NS1_7vsmem_tEENKUlT_SJ_SK_SL_E_clIPmSE_SF_SF_EESI_SY_SJ_SK_SL_EUlSY_E1_NS1_11comp_targetILNS1_3genE9ELNS1_11target_archE1100ELNS1_3gpuE3ELNS1_3repE0EEENS1_36merge_oddeven_config_static_selectorELNS0_4arch9wavefront6targetE0EEEvSK_
                                        ; -- End function
	.set _ZN7rocprim17ROCPRIM_400000_NS6detail17trampoline_kernelINS0_14default_configENS1_38merge_sort_block_merge_config_selectorImNS0_10empty_typeEEEZZNS1_27merge_sort_block_merge_implIS3_N6thrust23THRUST_200600_302600_NS6detail15normal_iteratorINS9_10device_ptrImEEEEPS5_m11less_div_10ImEEE10hipError_tT0_T1_T2_jT3_P12ihipStream_tbPNSt15iterator_traitsISJ_E10value_typeEPNSP_ISK_E10value_typeEPSL_NS1_7vsmem_tEENKUlT_SJ_SK_SL_E_clIPmSE_SF_SF_EESI_SY_SJ_SK_SL_EUlSY_E1_NS1_11comp_targetILNS1_3genE9ELNS1_11target_archE1100ELNS1_3gpuE3ELNS1_3repE0EEENS1_36merge_oddeven_config_static_selectorELNS0_4arch9wavefront6targetE0EEEvSK_.num_vgpr, 0
	.set _ZN7rocprim17ROCPRIM_400000_NS6detail17trampoline_kernelINS0_14default_configENS1_38merge_sort_block_merge_config_selectorImNS0_10empty_typeEEEZZNS1_27merge_sort_block_merge_implIS3_N6thrust23THRUST_200600_302600_NS6detail15normal_iteratorINS9_10device_ptrImEEEEPS5_m11less_div_10ImEEE10hipError_tT0_T1_T2_jT3_P12ihipStream_tbPNSt15iterator_traitsISJ_E10value_typeEPNSP_ISK_E10value_typeEPSL_NS1_7vsmem_tEENKUlT_SJ_SK_SL_E_clIPmSE_SF_SF_EESI_SY_SJ_SK_SL_EUlSY_E1_NS1_11comp_targetILNS1_3genE9ELNS1_11target_archE1100ELNS1_3gpuE3ELNS1_3repE0EEENS1_36merge_oddeven_config_static_selectorELNS0_4arch9wavefront6targetE0EEEvSK_.num_agpr, 0
	.set _ZN7rocprim17ROCPRIM_400000_NS6detail17trampoline_kernelINS0_14default_configENS1_38merge_sort_block_merge_config_selectorImNS0_10empty_typeEEEZZNS1_27merge_sort_block_merge_implIS3_N6thrust23THRUST_200600_302600_NS6detail15normal_iteratorINS9_10device_ptrImEEEEPS5_m11less_div_10ImEEE10hipError_tT0_T1_T2_jT3_P12ihipStream_tbPNSt15iterator_traitsISJ_E10value_typeEPNSP_ISK_E10value_typeEPSL_NS1_7vsmem_tEENKUlT_SJ_SK_SL_E_clIPmSE_SF_SF_EESI_SY_SJ_SK_SL_EUlSY_E1_NS1_11comp_targetILNS1_3genE9ELNS1_11target_archE1100ELNS1_3gpuE3ELNS1_3repE0EEENS1_36merge_oddeven_config_static_selectorELNS0_4arch9wavefront6targetE0EEEvSK_.numbered_sgpr, 0
	.set _ZN7rocprim17ROCPRIM_400000_NS6detail17trampoline_kernelINS0_14default_configENS1_38merge_sort_block_merge_config_selectorImNS0_10empty_typeEEEZZNS1_27merge_sort_block_merge_implIS3_N6thrust23THRUST_200600_302600_NS6detail15normal_iteratorINS9_10device_ptrImEEEEPS5_m11less_div_10ImEEE10hipError_tT0_T1_T2_jT3_P12ihipStream_tbPNSt15iterator_traitsISJ_E10value_typeEPNSP_ISK_E10value_typeEPSL_NS1_7vsmem_tEENKUlT_SJ_SK_SL_E_clIPmSE_SF_SF_EESI_SY_SJ_SK_SL_EUlSY_E1_NS1_11comp_targetILNS1_3genE9ELNS1_11target_archE1100ELNS1_3gpuE3ELNS1_3repE0EEENS1_36merge_oddeven_config_static_selectorELNS0_4arch9wavefront6targetE0EEEvSK_.num_named_barrier, 0
	.set _ZN7rocprim17ROCPRIM_400000_NS6detail17trampoline_kernelINS0_14default_configENS1_38merge_sort_block_merge_config_selectorImNS0_10empty_typeEEEZZNS1_27merge_sort_block_merge_implIS3_N6thrust23THRUST_200600_302600_NS6detail15normal_iteratorINS9_10device_ptrImEEEEPS5_m11less_div_10ImEEE10hipError_tT0_T1_T2_jT3_P12ihipStream_tbPNSt15iterator_traitsISJ_E10value_typeEPNSP_ISK_E10value_typeEPSL_NS1_7vsmem_tEENKUlT_SJ_SK_SL_E_clIPmSE_SF_SF_EESI_SY_SJ_SK_SL_EUlSY_E1_NS1_11comp_targetILNS1_3genE9ELNS1_11target_archE1100ELNS1_3gpuE3ELNS1_3repE0EEENS1_36merge_oddeven_config_static_selectorELNS0_4arch9wavefront6targetE0EEEvSK_.private_seg_size, 0
	.set _ZN7rocprim17ROCPRIM_400000_NS6detail17trampoline_kernelINS0_14default_configENS1_38merge_sort_block_merge_config_selectorImNS0_10empty_typeEEEZZNS1_27merge_sort_block_merge_implIS3_N6thrust23THRUST_200600_302600_NS6detail15normal_iteratorINS9_10device_ptrImEEEEPS5_m11less_div_10ImEEE10hipError_tT0_T1_T2_jT3_P12ihipStream_tbPNSt15iterator_traitsISJ_E10value_typeEPNSP_ISK_E10value_typeEPSL_NS1_7vsmem_tEENKUlT_SJ_SK_SL_E_clIPmSE_SF_SF_EESI_SY_SJ_SK_SL_EUlSY_E1_NS1_11comp_targetILNS1_3genE9ELNS1_11target_archE1100ELNS1_3gpuE3ELNS1_3repE0EEENS1_36merge_oddeven_config_static_selectorELNS0_4arch9wavefront6targetE0EEEvSK_.uses_vcc, 0
	.set _ZN7rocprim17ROCPRIM_400000_NS6detail17trampoline_kernelINS0_14default_configENS1_38merge_sort_block_merge_config_selectorImNS0_10empty_typeEEEZZNS1_27merge_sort_block_merge_implIS3_N6thrust23THRUST_200600_302600_NS6detail15normal_iteratorINS9_10device_ptrImEEEEPS5_m11less_div_10ImEEE10hipError_tT0_T1_T2_jT3_P12ihipStream_tbPNSt15iterator_traitsISJ_E10value_typeEPNSP_ISK_E10value_typeEPSL_NS1_7vsmem_tEENKUlT_SJ_SK_SL_E_clIPmSE_SF_SF_EESI_SY_SJ_SK_SL_EUlSY_E1_NS1_11comp_targetILNS1_3genE9ELNS1_11target_archE1100ELNS1_3gpuE3ELNS1_3repE0EEENS1_36merge_oddeven_config_static_selectorELNS0_4arch9wavefront6targetE0EEEvSK_.uses_flat_scratch, 0
	.set _ZN7rocprim17ROCPRIM_400000_NS6detail17trampoline_kernelINS0_14default_configENS1_38merge_sort_block_merge_config_selectorImNS0_10empty_typeEEEZZNS1_27merge_sort_block_merge_implIS3_N6thrust23THRUST_200600_302600_NS6detail15normal_iteratorINS9_10device_ptrImEEEEPS5_m11less_div_10ImEEE10hipError_tT0_T1_T2_jT3_P12ihipStream_tbPNSt15iterator_traitsISJ_E10value_typeEPNSP_ISK_E10value_typeEPSL_NS1_7vsmem_tEENKUlT_SJ_SK_SL_E_clIPmSE_SF_SF_EESI_SY_SJ_SK_SL_EUlSY_E1_NS1_11comp_targetILNS1_3genE9ELNS1_11target_archE1100ELNS1_3gpuE3ELNS1_3repE0EEENS1_36merge_oddeven_config_static_selectorELNS0_4arch9wavefront6targetE0EEEvSK_.has_dyn_sized_stack, 0
	.set _ZN7rocprim17ROCPRIM_400000_NS6detail17trampoline_kernelINS0_14default_configENS1_38merge_sort_block_merge_config_selectorImNS0_10empty_typeEEEZZNS1_27merge_sort_block_merge_implIS3_N6thrust23THRUST_200600_302600_NS6detail15normal_iteratorINS9_10device_ptrImEEEEPS5_m11less_div_10ImEEE10hipError_tT0_T1_T2_jT3_P12ihipStream_tbPNSt15iterator_traitsISJ_E10value_typeEPNSP_ISK_E10value_typeEPSL_NS1_7vsmem_tEENKUlT_SJ_SK_SL_E_clIPmSE_SF_SF_EESI_SY_SJ_SK_SL_EUlSY_E1_NS1_11comp_targetILNS1_3genE9ELNS1_11target_archE1100ELNS1_3gpuE3ELNS1_3repE0EEENS1_36merge_oddeven_config_static_selectorELNS0_4arch9wavefront6targetE0EEEvSK_.has_recursion, 0
	.set _ZN7rocprim17ROCPRIM_400000_NS6detail17trampoline_kernelINS0_14default_configENS1_38merge_sort_block_merge_config_selectorImNS0_10empty_typeEEEZZNS1_27merge_sort_block_merge_implIS3_N6thrust23THRUST_200600_302600_NS6detail15normal_iteratorINS9_10device_ptrImEEEEPS5_m11less_div_10ImEEE10hipError_tT0_T1_T2_jT3_P12ihipStream_tbPNSt15iterator_traitsISJ_E10value_typeEPNSP_ISK_E10value_typeEPSL_NS1_7vsmem_tEENKUlT_SJ_SK_SL_E_clIPmSE_SF_SF_EESI_SY_SJ_SK_SL_EUlSY_E1_NS1_11comp_targetILNS1_3genE9ELNS1_11target_archE1100ELNS1_3gpuE3ELNS1_3repE0EEENS1_36merge_oddeven_config_static_selectorELNS0_4arch9wavefront6targetE0EEEvSK_.has_indirect_call, 0
	.section	.AMDGPU.csdata,"",@progbits
; Kernel info:
; codeLenInByte = 0
; TotalNumSgprs: 0
; NumVgprs: 0
; ScratchSize: 0
; MemoryBound: 0
; FloatMode: 240
; IeeeMode: 1
; LDSByteSize: 0 bytes/workgroup (compile time only)
; SGPRBlocks: 0
; VGPRBlocks: 0
; NumSGPRsForWavesPerEU: 1
; NumVGPRsForWavesPerEU: 1
; Occupancy: 16
; WaveLimiterHint : 0
; COMPUTE_PGM_RSRC2:SCRATCH_EN: 0
; COMPUTE_PGM_RSRC2:USER_SGPR: 6
; COMPUTE_PGM_RSRC2:TRAP_HANDLER: 0
; COMPUTE_PGM_RSRC2:TGID_X_EN: 1
; COMPUTE_PGM_RSRC2:TGID_Y_EN: 0
; COMPUTE_PGM_RSRC2:TGID_Z_EN: 0
; COMPUTE_PGM_RSRC2:TIDIG_COMP_CNT: 0
	.section	.text._ZN7rocprim17ROCPRIM_400000_NS6detail17trampoline_kernelINS0_14default_configENS1_38merge_sort_block_merge_config_selectorImNS0_10empty_typeEEEZZNS1_27merge_sort_block_merge_implIS3_N6thrust23THRUST_200600_302600_NS6detail15normal_iteratorINS9_10device_ptrImEEEEPS5_m11less_div_10ImEEE10hipError_tT0_T1_T2_jT3_P12ihipStream_tbPNSt15iterator_traitsISJ_E10value_typeEPNSP_ISK_E10value_typeEPSL_NS1_7vsmem_tEENKUlT_SJ_SK_SL_E_clIPmSE_SF_SF_EESI_SY_SJ_SK_SL_EUlSY_E1_NS1_11comp_targetILNS1_3genE8ELNS1_11target_archE1030ELNS1_3gpuE2ELNS1_3repE0EEENS1_36merge_oddeven_config_static_selectorELNS0_4arch9wavefront6targetE0EEEvSK_,"axG",@progbits,_ZN7rocprim17ROCPRIM_400000_NS6detail17trampoline_kernelINS0_14default_configENS1_38merge_sort_block_merge_config_selectorImNS0_10empty_typeEEEZZNS1_27merge_sort_block_merge_implIS3_N6thrust23THRUST_200600_302600_NS6detail15normal_iteratorINS9_10device_ptrImEEEEPS5_m11less_div_10ImEEE10hipError_tT0_T1_T2_jT3_P12ihipStream_tbPNSt15iterator_traitsISJ_E10value_typeEPNSP_ISK_E10value_typeEPSL_NS1_7vsmem_tEENKUlT_SJ_SK_SL_E_clIPmSE_SF_SF_EESI_SY_SJ_SK_SL_EUlSY_E1_NS1_11comp_targetILNS1_3genE8ELNS1_11target_archE1030ELNS1_3gpuE2ELNS1_3repE0EEENS1_36merge_oddeven_config_static_selectorELNS0_4arch9wavefront6targetE0EEEvSK_,comdat
	.protected	_ZN7rocprim17ROCPRIM_400000_NS6detail17trampoline_kernelINS0_14default_configENS1_38merge_sort_block_merge_config_selectorImNS0_10empty_typeEEEZZNS1_27merge_sort_block_merge_implIS3_N6thrust23THRUST_200600_302600_NS6detail15normal_iteratorINS9_10device_ptrImEEEEPS5_m11less_div_10ImEEE10hipError_tT0_T1_T2_jT3_P12ihipStream_tbPNSt15iterator_traitsISJ_E10value_typeEPNSP_ISK_E10value_typeEPSL_NS1_7vsmem_tEENKUlT_SJ_SK_SL_E_clIPmSE_SF_SF_EESI_SY_SJ_SK_SL_EUlSY_E1_NS1_11comp_targetILNS1_3genE8ELNS1_11target_archE1030ELNS1_3gpuE2ELNS1_3repE0EEENS1_36merge_oddeven_config_static_selectorELNS0_4arch9wavefront6targetE0EEEvSK_ ; -- Begin function _ZN7rocprim17ROCPRIM_400000_NS6detail17trampoline_kernelINS0_14default_configENS1_38merge_sort_block_merge_config_selectorImNS0_10empty_typeEEEZZNS1_27merge_sort_block_merge_implIS3_N6thrust23THRUST_200600_302600_NS6detail15normal_iteratorINS9_10device_ptrImEEEEPS5_m11less_div_10ImEEE10hipError_tT0_T1_T2_jT3_P12ihipStream_tbPNSt15iterator_traitsISJ_E10value_typeEPNSP_ISK_E10value_typeEPSL_NS1_7vsmem_tEENKUlT_SJ_SK_SL_E_clIPmSE_SF_SF_EESI_SY_SJ_SK_SL_EUlSY_E1_NS1_11comp_targetILNS1_3genE8ELNS1_11target_archE1030ELNS1_3gpuE2ELNS1_3repE0EEENS1_36merge_oddeven_config_static_selectorELNS0_4arch9wavefront6targetE0EEEvSK_
	.globl	_ZN7rocprim17ROCPRIM_400000_NS6detail17trampoline_kernelINS0_14default_configENS1_38merge_sort_block_merge_config_selectorImNS0_10empty_typeEEEZZNS1_27merge_sort_block_merge_implIS3_N6thrust23THRUST_200600_302600_NS6detail15normal_iteratorINS9_10device_ptrImEEEEPS5_m11less_div_10ImEEE10hipError_tT0_T1_T2_jT3_P12ihipStream_tbPNSt15iterator_traitsISJ_E10value_typeEPNSP_ISK_E10value_typeEPSL_NS1_7vsmem_tEENKUlT_SJ_SK_SL_E_clIPmSE_SF_SF_EESI_SY_SJ_SK_SL_EUlSY_E1_NS1_11comp_targetILNS1_3genE8ELNS1_11target_archE1030ELNS1_3gpuE2ELNS1_3repE0EEENS1_36merge_oddeven_config_static_selectorELNS0_4arch9wavefront6targetE0EEEvSK_
	.p2align	8
	.type	_ZN7rocprim17ROCPRIM_400000_NS6detail17trampoline_kernelINS0_14default_configENS1_38merge_sort_block_merge_config_selectorImNS0_10empty_typeEEEZZNS1_27merge_sort_block_merge_implIS3_N6thrust23THRUST_200600_302600_NS6detail15normal_iteratorINS9_10device_ptrImEEEEPS5_m11less_div_10ImEEE10hipError_tT0_T1_T2_jT3_P12ihipStream_tbPNSt15iterator_traitsISJ_E10value_typeEPNSP_ISK_E10value_typeEPSL_NS1_7vsmem_tEENKUlT_SJ_SK_SL_E_clIPmSE_SF_SF_EESI_SY_SJ_SK_SL_EUlSY_E1_NS1_11comp_targetILNS1_3genE8ELNS1_11target_archE1030ELNS1_3gpuE2ELNS1_3repE0EEENS1_36merge_oddeven_config_static_selectorELNS0_4arch9wavefront6targetE0EEEvSK_,@function
_ZN7rocprim17ROCPRIM_400000_NS6detail17trampoline_kernelINS0_14default_configENS1_38merge_sort_block_merge_config_selectorImNS0_10empty_typeEEEZZNS1_27merge_sort_block_merge_implIS3_N6thrust23THRUST_200600_302600_NS6detail15normal_iteratorINS9_10device_ptrImEEEEPS5_m11less_div_10ImEEE10hipError_tT0_T1_T2_jT3_P12ihipStream_tbPNSt15iterator_traitsISJ_E10value_typeEPNSP_ISK_E10value_typeEPSL_NS1_7vsmem_tEENKUlT_SJ_SK_SL_E_clIPmSE_SF_SF_EESI_SY_SJ_SK_SL_EUlSY_E1_NS1_11comp_targetILNS1_3genE8ELNS1_11target_archE1030ELNS1_3gpuE2ELNS1_3repE0EEENS1_36merge_oddeven_config_static_selectorELNS0_4arch9wavefront6targetE0EEEvSK_: ; @_ZN7rocprim17ROCPRIM_400000_NS6detail17trampoline_kernelINS0_14default_configENS1_38merge_sort_block_merge_config_selectorImNS0_10empty_typeEEEZZNS1_27merge_sort_block_merge_implIS3_N6thrust23THRUST_200600_302600_NS6detail15normal_iteratorINS9_10device_ptrImEEEEPS5_m11less_div_10ImEEE10hipError_tT0_T1_T2_jT3_P12ihipStream_tbPNSt15iterator_traitsISJ_E10value_typeEPNSP_ISK_E10value_typeEPSL_NS1_7vsmem_tEENKUlT_SJ_SK_SL_E_clIPmSE_SF_SF_EESI_SY_SJ_SK_SL_EUlSY_E1_NS1_11comp_targetILNS1_3genE8ELNS1_11target_archE1030ELNS1_3gpuE2ELNS1_3repE0EEENS1_36merge_oddeven_config_static_selectorELNS0_4arch9wavefront6targetE0EEEvSK_
; %bb.0:
	s_load_dword s7, s[4:5], 0x20
	s_waitcnt lgkmcnt(0)
	s_lshr_b32 s0, s7, 8
	s_cmp_lg_u32 s6, s0
	s_cselect_b32 s13, -1, 0
	s_cmp_eq_u32 s6, s0
	s_cselect_b32 s12, -1, 0
	s_lshl_b32 s2, s6, 8
	s_sub_i32 s0, s7, s2
	v_cmp_gt_u32_e64 s1, s0, v0
	s_or_b32 s0, s13, s1
	s_and_saveexec_b32 s3, s0
	s_cbranch_execz .LBB640_20
; %bb.1:
	s_load_dwordx4 s[8:11], s[4:5], 0x0
	s_mov_b32 s3, 0
	v_lshlrev_b32_e32 v1, 3, v0
	s_lshl_b64 s[14:15], s[2:3], 3
	s_load_dword s5, s[4:5], 0x28
	v_add_nc_u32_e32 v3, s2, v0
	s_waitcnt lgkmcnt(0)
	s_add_u32 s14, s8, s14
	s_addc_u32 s15, s9, s15
	global_load_dwordx2 v[1:2], v1, s[14:15]
	s_lshr_b32 s0, s5, 8
	s_sub_i32 s4, 0, s0
	s_and_b32 s4, s6, s4
	s_and_b32 s0, s4, s0
	s_lshl_b32 s6, s4, 8
	s_sub_i32 s4, 0, s5
	s_cmp_eq_u32 s0, 0
	s_cselect_b32 s0, -1, 0
	s_and_b32 s14, s0, exec_lo
	s_cselect_b32 s4, s5, s4
	s_add_i32 s4, s4, s6
	s_cmp_lt_u32 s4, s7
	s_cbranch_scc1 .LBB640_3
; %bb.2:
	v_cmp_gt_u32_e32 vcc_lo, s7, v3
	s_or_b32 s3, vcc_lo, s13
	s_and_b32 s3, s3, exec_lo
	s_cbranch_execz .LBB640_4
	s_branch .LBB640_18
.LBB640_3:
.LBB640_4:
	s_waitcnt vmcnt(0)
	v_mul_hi_i32 v0, 0x66666667, v1
	s_min_u32 s2, s4, s7
	s_and_b32 vcc_lo, exec_lo, s12
	s_add_i32 s13, s6, s2
	s_min_u32 s6, s6, s2
	v_subrev_nc_u32_e32 v3, s13, v3
	s_add_i32 s5, s2, s5
	s_min_u32 s5, s5, s7
	v_lshrrev_b32_e32 v4, 31, v0
	v_ashrrev_i32_e32 v5, 2, v0
	v_add_nc_u32_e32 v0, s6, v3
	v_add_nc_u32_e32 v5, v5, v4
	s_cbranch_vccz .LBB640_12
; %bb.5:
                                        ; implicit-def: $vgpr3
	s_and_saveexec_b32 s6, s1
	s_cbranch_execz .LBB640_11
; %bb.6:
	v_mov_b32_e32 v6, s2
	s_cmp_ge_u32 s4, s5
	s_cbranch_scc1 .LBB640_10
; %bb.7:
	v_mov_b32_e32 v7, s5
	v_mov_b32_e32 v6, s2
	;; [unrolled: 1-line block ×3, first 2 shown]
	s_mov_b32 s1, 0
	s_inst_prefetch 0x1
	.p2align	6
.LBB640_8:                              ; =>This Inner Loop Header: Depth=1
	v_add_nc_u32_e32 v3, v6, v7
	v_lshrrev_b32_e32 v3, 1, v3
	v_lshlrev_b64 v[8:9], 3, v[3:4]
	v_add_co_u32 v8, vcc_lo, s8, v8
	v_add_co_ci_u32_e64 v9, null, s9, v9, vcc_lo
	global_load_dword v8, v[8:9], off
	s_waitcnt vmcnt(0)
	v_mul_hi_i32 v8, 0x66666667, v8
	v_lshrrev_b32_e32 v9, 31, v8
	v_ashrrev_i32_e32 v8, 2, v8
	v_add_nc_u32_e32 v8, v8, v9
	v_cmp_lt_i32_e32 vcc_lo, v8, v5
	v_cndmask_b32_e64 v9, 0, 1, vcc_lo
	v_cmp_ge_i32_e32 vcc_lo, v5, v8
	v_cndmask_b32_e64 v8, 0, 1, vcc_lo
	v_cndmask_b32_e64 v8, v8, v9, s0
	v_add_nc_u32_e32 v9, 1, v3
	v_and_b32_e32 v8, 1, v8
	v_cmp_eq_u32_e32 vcc_lo, 1, v8
	v_cndmask_b32_e32 v7, v3, v7, vcc_lo
	v_cndmask_b32_e32 v6, v6, v9, vcc_lo
	v_cmp_ge_u32_e32 vcc_lo, v6, v7
	s_or_b32 s1, vcc_lo, s1
	s_andn2_b32 exec_lo, exec_lo, s1
	s_cbranch_execnz .LBB640_8
; %bb.9:
	s_inst_prefetch 0x2
	s_or_b32 exec_lo, exec_lo, s1
.LBB640_10:
	v_add_nc_u32_e32 v3, v6, v0
	s_or_b32 s3, s3, exec_lo
.LBB640_11:
	s_or_b32 exec_lo, exec_lo, s6
	s_branch .LBB640_18
.LBB640_12:
                                        ; implicit-def: $vgpr3
	s_cbranch_execz .LBB640_18
; %bb.13:
	v_mov_b32_e32 v6, s2
	s_cmp_ge_u32 s4, s5
	s_cbranch_scc1 .LBB640_17
; %bb.14:
	v_mov_b32_e32 v7, s5
	v_mov_b32_e32 v6, s2
	;; [unrolled: 1-line block ×3, first 2 shown]
	s_mov_b32 s1, 0
	s_inst_prefetch 0x1
	.p2align	6
.LBB640_15:                             ; =>This Inner Loop Header: Depth=1
	v_add_nc_u32_e32 v3, v6, v7
	v_lshrrev_b32_e32 v3, 1, v3
	v_lshlrev_b64 v[8:9], 3, v[3:4]
	v_add_co_u32 v8, vcc_lo, s8, v8
	v_add_co_ci_u32_e64 v9, null, s9, v9, vcc_lo
	global_load_dword v8, v[8:9], off
	s_waitcnt vmcnt(0)
	v_mul_hi_i32 v8, 0x66666667, v8
	v_lshrrev_b32_e32 v9, 31, v8
	v_ashrrev_i32_e32 v8, 2, v8
	v_add_nc_u32_e32 v8, v8, v9
	v_cmp_lt_i32_e32 vcc_lo, v8, v5
	v_cndmask_b32_e64 v9, 0, 1, vcc_lo
	v_cmp_ge_i32_e32 vcc_lo, v5, v8
	v_cndmask_b32_e64 v8, 0, 1, vcc_lo
	v_cndmask_b32_e64 v8, v8, v9, s0
	v_add_nc_u32_e32 v9, 1, v3
	v_and_b32_e32 v8, 1, v8
	v_cmp_eq_u32_e32 vcc_lo, 1, v8
	v_cndmask_b32_e32 v7, v3, v7, vcc_lo
	v_cndmask_b32_e32 v6, v6, v9, vcc_lo
	v_cmp_ge_u32_e32 vcc_lo, v6, v7
	s_or_b32 s1, vcc_lo, s1
	s_andn2_b32 exec_lo, exec_lo, s1
	s_cbranch_execnz .LBB640_15
; %bb.16:
	s_inst_prefetch 0x2
	s_or_b32 exec_lo, exec_lo, s1
.LBB640_17:
	v_add_nc_u32_e32 v3, v6, v0
	s_mov_b32 s3, -1
.LBB640_18:
	s_and_b32 exec_lo, exec_lo, s3
	s_cbranch_execz .LBB640_20
; %bb.19:
	v_mov_b32_e32 v4, 0
	v_lshlrev_b64 v[3:4], 3, v[3:4]
	v_add_co_u32 v3, vcc_lo, s10, v3
	v_add_co_ci_u32_e64 v4, null, s11, v4, vcc_lo
	s_waitcnt vmcnt(0)
	global_store_dwordx2 v[3:4], v[1:2], off
.LBB640_20:
	s_endpgm
	.section	.rodata,"a",@progbits
	.p2align	6, 0x0
	.amdhsa_kernel _ZN7rocprim17ROCPRIM_400000_NS6detail17trampoline_kernelINS0_14default_configENS1_38merge_sort_block_merge_config_selectorImNS0_10empty_typeEEEZZNS1_27merge_sort_block_merge_implIS3_N6thrust23THRUST_200600_302600_NS6detail15normal_iteratorINS9_10device_ptrImEEEEPS5_m11less_div_10ImEEE10hipError_tT0_T1_T2_jT3_P12ihipStream_tbPNSt15iterator_traitsISJ_E10value_typeEPNSP_ISK_E10value_typeEPSL_NS1_7vsmem_tEENKUlT_SJ_SK_SL_E_clIPmSE_SF_SF_EESI_SY_SJ_SK_SL_EUlSY_E1_NS1_11comp_targetILNS1_3genE8ELNS1_11target_archE1030ELNS1_3gpuE2ELNS1_3repE0EEENS1_36merge_oddeven_config_static_selectorELNS0_4arch9wavefront6targetE0EEEvSK_
		.amdhsa_group_segment_fixed_size 0
		.amdhsa_private_segment_fixed_size 0
		.amdhsa_kernarg_size 56
		.amdhsa_user_sgpr_count 6
		.amdhsa_user_sgpr_private_segment_buffer 1
		.amdhsa_user_sgpr_dispatch_ptr 0
		.amdhsa_user_sgpr_queue_ptr 0
		.amdhsa_user_sgpr_kernarg_segment_ptr 1
		.amdhsa_user_sgpr_dispatch_id 0
		.amdhsa_user_sgpr_flat_scratch_init 0
		.amdhsa_user_sgpr_private_segment_size 0
		.amdhsa_wavefront_size32 1
		.amdhsa_uses_dynamic_stack 0
		.amdhsa_system_sgpr_private_segment_wavefront_offset 0
		.amdhsa_system_sgpr_workgroup_id_x 1
		.amdhsa_system_sgpr_workgroup_id_y 0
		.amdhsa_system_sgpr_workgroup_id_z 0
		.amdhsa_system_sgpr_workgroup_info 0
		.amdhsa_system_vgpr_workitem_id 0
		.amdhsa_next_free_vgpr 10
		.amdhsa_next_free_sgpr 16
		.amdhsa_reserve_vcc 1
		.amdhsa_reserve_flat_scratch 0
		.amdhsa_float_round_mode_32 0
		.amdhsa_float_round_mode_16_64 0
		.amdhsa_float_denorm_mode_32 3
		.amdhsa_float_denorm_mode_16_64 3
		.amdhsa_dx10_clamp 1
		.amdhsa_ieee_mode 1
		.amdhsa_fp16_overflow 0
		.amdhsa_workgroup_processor_mode 1
		.amdhsa_memory_ordered 1
		.amdhsa_forward_progress 1
		.amdhsa_shared_vgpr_count 0
		.amdhsa_exception_fp_ieee_invalid_op 0
		.amdhsa_exception_fp_denorm_src 0
		.amdhsa_exception_fp_ieee_div_zero 0
		.amdhsa_exception_fp_ieee_overflow 0
		.amdhsa_exception_fp_ieee_underflow 0
		.amdhsa_exception_fp_ieee_inexact 0
		.amdhsa_exception_int_div_zero 0
	.end_amdhsa_kernel
	.section	.text._ZN7rocprim17ROCPRIM_400000_NS6detail17trampoline_kernelINS0_14default_configENS1_38merge_sort_block_merge_config_selectorImNS0_10empty_typeEEEZZNS1_27merge_sort_block_merge_implIS3_N6thrust23THRUST_200600_302600_NS6detail15normal_iteratorINS9_10device_ptrImEEEEPS5_m11less_div_10ImEEE10hipError_tT0_T1_T2_jT3_P12ihipStream_tbPNSt15iterator_traitsISJ_E10value_typeEPNSP_ISK_E10value_typeEPSL_NS1_7vsmem_tEENKUlT_SJ_SK_SL_E_clIPmSE_SF_SF_EESI_SY_SJ_SK_SL_EUlSY_E1_NS1_11comp_targetILNS1_3genE8ELNS1_11target_archE1030ELNS1_3gpuE2ELNS1_3repE0EEENS1_36merge_oddeven_config_static_selectorELNS0_4arch9wavefront6targetE0EEEvSK_,"axG",@progbits,_ZN7rocprim17ROCPRIM_400000_NS6detail17trampoline_kernelINS0_14default_configENS1_38merge_sort_block_merge_config_selectorImNS0_10empty_typeEEEZZNS1_27merge_sort_block_merge_implIS3_N6thrust23THRUST_200600_302600_NS6detail15normal_iteratorINS9_10device_ptrImEEEEPS5_m11less_div_10ImEEE10hipError_tT0_T1_T2_jT3_P12ihipStream_tbPNSt15iterator_traitsISJ_E10value_typeEPNSP_ISK_E10value_typeEPSL_NS1_7vsmem_tEENKUlT_SJ_SK_SL_E_clIPmSE_SF_SF_EESI_SY_SJ_SK_SL_EUlSY_E1_NS1_11comp_targetILNS1_3genE8ELNS1_11target_archE1030ELNS1_3gpuE2ELNS1_3repE0EEENS1_36merge_oddeven_config_static_selectorELNS0_4arch9wavefront6targetE0EEEvSK_,comdat
.Lfunc_end640:
	.size	_ZN7rocprim17ROCPRIM_400000_NS6detail17trampoline_kernelINS0_14default_configENS1_38merge_sort_block_merge_config_selectorImNS0_10empty_typeEEEZZNS1_27merge_sort_block_merge_implIS3_N6thrust23THRUST_200600_302600_NS6detail15normal_iteratorINS9_10device_ptrImEEEEPS5_m11less_div_10ImEEE10hipError_tT0_T1_T2_jT3_P12ihipStream_tbPNSt15iterator_traitsISJ_E10value_typeEPNSP_ISK_E10value_typeEPSL_NS1_7vsmem_tEENKUlT_SJ_SK_SL_E_clIPmSE_SF_SF_EESI_SY_SJ_SK_SL_EUlSY_E1_NS1_11comp_targetILNS1_3genE8ELNS1_11target_archE1030ELNS1_3gpuE2ELNS1_3repE0EEENS1_36merge_oddeven_config_static_selectorELNS0_4arch9wavefront6targetE0EEEvSK_, .Lfunc_end640-_ZN7rocprim17ROCPRIM_400000_NS6detail17trampoline_kernelINS0_14default_configENS1_38merge_sort_block_merge_config_selectorImNS0_10empty_typeEEEZZNS1_27merge_sort_block_merge_implIS3_N6thrust23THRUST_200600_302600_NS6detail15normal_iteratorINS9_10device_ptrImEEEEPS5_m11less_div_10ImEEE10hipError_tT0_T1_T2_jT3_P12ihipStream_tbPNSt15iterator_traitsISJ_E10value_typeEPNSP_ISK_E10value_typeEPSL_NS1_7vsmem_tEENKUlT_SJ_SK_SL_E_clIPmSE_SF_SF_EESI_SY_SJ_SK_SL_EUlSY_E1_NS1_11comp_targetILNS1_3genE8ELNS1_11target_archE1030ELNS1_3gpuE2ELNS1_3repE0EEENS1_36merge_oddeven_config_static_selectorELNS0_4arch9wavefront6targetE0EEEvSK_
                                        ; -- End function
	.set _ZN7rocprim17ROCPRIM_400000_NS6detail17trampoline_kernelINS0_14default_configENS1_38merge_sort_block_merge_config_selectorImNS0_10empty_typeEEEZZNS1_27merge_sort_block_merge_implIS3_N6thrust23THRUST_200600_302600_NS6detail15normal_iteratorINS9_10device_ptrImEEEEPS5_m11less_div_10ImEEE10hipError_tT0_T1_T2_jT3_P12ihipStream_tbPNSt15iterator_traitsISJ_E10value_typeEPNSP_ISK_E10value_typeEPSL_NS1_7vsmem_tEENKUlT_SJ_SK_SL_E_clIPmSE_SF_SF_EESI_SY_SJ_SK_SL_EUlSY_E1_NS1_11comp_targetILNS1_3genE8ELNS1_11target_archE1030ELNS1_3gpuE2ELNS1_3repE0EEENS1_36merge_oddeven_config_static_selectorELNS0_4arch9wavefront6targetE0EEEvSK_.num_vgpr, 10
	.set _ZN7rocprim17ROCPRIM_400000_NS6detail17trampoline_kernelINS0_14default_configENS1_38merge_sort_block_merge_config_selectorImNS0_10empty_typeEEEZZNS1_27merge_sort_block_merge_implIS3_N6thrust23THRUST_200600_302600_NS6detail15normal_iteratorINS9_10device_ptrImEEEEPS5_m11less_div_10ImEEE10hipError_tT0_T1_T2_jT3_P12ihipStream_tbPNSt15iterator_traitsISJ_E10value_typeEPNSP_ISK_E10value_typeEPSL_NS1_7vsmem_tEENKUlT_SJ_SK_SL_E_clIPmSE_SF_SF_EESI_SY_SJ_SK_SL_EUlSY_E1_NS1_11comp_targetILNS1_3genE8ELNS1_11target_archE1030ELNS1_3gpuE2ELNS1_3repE0EEENS1_36merge_oddeven_config_static_selectorELNS0_4arch9wavefront6targetE0EEEvSK_.num_agpr, 0
	.set _ZN7rocprim17ROCPRIM_400000_NS6detail17trampoline_kernelINS0_14default_configENS1_38merge_sort_block_merge_config_selectorImNS0_10empty_typeEEEZZNS1_27merge_sort_block_merge_implIS3_N6thrust23THRUST_200600_302600_NS6detail15normal_iteratorINS9_10device_ptrImEEEEPS5_m11less_div_10ImEEE10hipError_tT0_T1_T2_jT3_P12ihipStream_tbPNSt15iterator_traitsISJ_E10value_typeEPNSP_ISK_E10value_typeEPSL_NS1_7vsmem_tEENKUlT_SJ_SK_SL_E_clIPmSE_SF_SF_EESI_SY_SJ_SK_SL_EUlSY_E1_NS1_11comp_targetILNS1_3genE8ELNS1_11target_archE1030ELNS1_3gpuE2ELNS1_3repE0EEENS1_36merge_oddeven_config_static_selectorELNS0_4arch9wavefront6targetE0EEEvSK_.numbered_sgpr, 16
	.set _ZN7rocprim17ROCPRIM_400000_NS6detail17trampoline_kernelINS0_14default_configENS1_38merge_sort_block_merge_config_selectorImNS0_10empty_typeEEEZZNS1_27merge_sort_block_merge_implIS3_N6thrust23THRUST_200600_302600_NS6detail15normal_iteratorINS9_10device_ptrImEEEEPS5_m11less_div_10ImEEE10hipError_tT0_T1_T2_jT3_P12ihipStream_tbPNSt15iterator_traitsISJ_E10value_typeEPNSP_ISK_E10value_typeEPSL_NS1_7vsmem_tEENKUlT_SJ_SK_SL_E_clIPmSE_SF_SF_EESI_SY_SJ_SK_SL_EUlSY_E1_NS1_11comp_targetILNS1_3genE8ELNS1_11target_archE1030ELNS1_3gpuE2ELNS1_3repE0EEENS1_36merge_oddeven_config_static_selectorELNS0_4arch9wavefront6targetE0EEEvSK_.num_named_barrier, 0
	.set _ZN7rocprim17ROCPRIM_400000_NS6detail17trampoline_kernelINS0_14default_configENS1_38merge_sort_block_merge_config_selectorImNS0_10empty_typeEEEZZNS1_27merge_sort_block_merge_implIS3_N6thrust23THRUST_200600_302600_NS6detail15normal_iteratorINS9_10device_ptrImEEEEPS5_m11less_div_10ImEEE10hipError_tT0_T1_T2_jT3_P12ihipStream_tbPNSt15iterator_traitsISJ_E10value_typeEPNSP_ISK_E10value_typeEPSL_NS1_7vsmem_tEENKUlT_SJ_SK_SL_E_clIPmSE_SF_SF_EESI_SY_SJ_SK_SL_EUlSY_E1_NS1_11comp_targetILNS1_3genE8ELNS1_11target_archE1030ELNS1_3gpuE2ELNS1_3repE0EEENS1_36merge_oddeven_config_static_selectorELNS0_4arch9wavefront6targetE0EEEvSK_.private_seg_size, 0
	.set _ZN7rocprim17ROCPRIM_400000_NS6detail17trampoline_kernelINS0_14default_configENS1_38merge_sort_block_merge_config_selectorImNS0_10empty_typeEEEZZNS1_27merge_sort_block_merge_implIS3_N6thrust23THRUST_200600_302600_NS6detail15normal_iteratorINS9_10device_ptrImEEEEPS5_m11less_div_10ImEEE10hipError_tT0_T1_T2_jT3_P12ihipStream_tbPNSt15iterator_traitsISJ_E10value_typeEPNSP_ISK_E10value_typeEPSL_NS1_7vsmem_tEENKUlT_SJ_SK_SL_E_clIPmSE_SF_SF_EESI_SY_SJ_SK_SL_EUlSY_E1_NS1_11comp_targetILNS1_3genE8ELNS1_11target_archE1030ELNS1_3gpuE2ELNS1_3repE0EEENS1_36merge_oddeven_config_static_selectorELNS0_4arch9wavefront6targetE0EEEvSK_.uses_vcc, 1
	.set _ZN7rocprim17ROCPRIM_400000_NS6detail17trampoline_kernelINS0_14default_configENS1_38merge_sort_block_merge_config_selectorImNS0_10empty_typeEEEZZNS1_27merge_sort_block_merge_implIS3_N6thrust23THRUST_200600_302600_NS6detail15normal_iteratorINS9_10device_ptrImEEEEPS5_m11less_div_10ImEEE10hipError_tT0_T1_T2_jT3_P12ihipStream_tbPNSt15iterator_traitsISJ_E10value_typeEPNSP_ISK_E10value_typeEPSL_NS1_7vsmem_tEENKUlT_SJ_SK_SL_E_clIPmSE_SF_SF_EESI_SY_SJ_SK_SL_EUlSY_E1_NS1_11comp_targetILNS1_3genE8ELNS1_11target_archE1030ELNS1_3gpuE2ELNS1_3repE0EEENS1_36merge_oddeven_config_static_selectorELNS0_4arch9wavefront6targetE0EEEvSK_.uses_flat_scratch, 0
	.set _ZN7rocprim17ROCPRIM_400000_NS6detail17trampoline_kernelINS0_14default_configENS1_38merge_sort_block_merge_config_selectorImNS0_10empty_typeEEEZZNS1_27merge_sort_block_merge_implIS3_N6thrust23THRUST_200600_302600_NS6detail15normal_iteratorINS9_10device_ptrImEEEEPS5_m11less_div_10ImEEE10hipError_tT0_T1_T2_jT3_P12ihipStream_tbPNSt15iterator_traitsISJ_E10value_typeEPNSP_ISK_E10value_typeEPSL_NS1_7vsmem_tEENKUlT_SJ_SK_SL_E_clIPmSE_SF_SF_EESI_SY_SJ_SK_SL_EUlSY_E1_NS1_11comp_targetILNS1_3genE8ELNS1_11target_archE1030ELNS1_3gpuE2ELNS1_3repE0EEENS1_36merge_oddeven_config_static_selectorELNS0_4arch9wavefront6targetE0EEEvSK_.has_dyn_sized_stack, 0
	.set _ZN7rocprim17ROCPRIM_400000_NS6detail17trampoline_kernelINS0_14default_configENS1_38merge_sort_block_merge_config_selectorImNS0_10empty_typeEEEZZNS1_27merge_sort_block_merge_implIS3_N6thrust23THRUST_200600_302600_NS6detail15normal_iteratorINS9_10device_ptrImEEEEPS5_m11less_div_10ImEEE10hipError_tT0_T1_T2_jT3_P12ihipStream_tbPNSt15iterator_traitsISJ_E10value_typeEPNSP_ISK_E10value_typeEPSL_NS1_7vsmem_tEENKUlT_SJ_SK_SL_E_clIPmSE_SF_SF_EESI_SY_SJ_SK_SL_EUlSY_E1_NS1_11comp_targetILNS1_3genE8ELNS1_11target_archE1030ELNS1_3gpuE2ELNS1_3repE0EEENS1_36merge_oddeven_config_static_selectorELNS0_4arch9wavefront6targetE0EEEvSK_.has_recursion, 0
	.set _ZN7rocprim17ROCPRIM_400000_NS6detail17trampoline_kernelINS0_14default_configENS1_38merge_sort_block_merge_config_selectorImNS0_10empty_typeEEEZZNS1_27merge_sort_block_merge_implIS3_N6thrust23THRUST_200600_302600_NS6detail15normal_iteratorINS9_10device_ptrImEEEEPS5_m11less_div_10ImEEE10hipError_tT0_T1_T2_jT3_P12ihipStream_tbPNSt15iterator_traitsISJ_E10value_typeEPNSP_ISK_E10value_typeEPSL_NS1_7vsmem_tEENKUlT_SJ_SK_SL_E_clIPmSE_SF_SF_EESI_SY_SJ_SK_SL_EUlSY_E1_NS1_11comp_targetILNS1_3genE8ELNS1_11target_archE1030ELNS1_3gpuE2ELNS1_3repE0EEENS1_36merge_oddeven_config_static_selectorELNS0_4arch9wavefront6targetE0EEEvSK_.has_indirect_call, 0
	.section	.AMDGPU.csdata,"",@progbits
; Kernel info:
; codeLenInByte = 780
; TotalNumSgprs: 18
; NumVgprs: 10
; ScratchSize: 0
; MemoryBound: 0
; FloatMode: 240
; IeeeMode: 1
; LDSByteSize: 0 bytes/workgroup (compile time only)
; SGPRBlocks: 0
; VGPRBlocks: 1
; NumSGPRsForWavesPerEU: 18
; NumVGPRsForWavesPerEU: 10
; Occupancy: 16
; WaveLimiterHint : 0
; COMPUTE_PGM_RSRC2:SCRATCH_EN: 0
; COMPUTE_PGM_RSRC2:USER_SGPR: 6
; COMPUTE_PGM_RSRC2:TRAP_HANDLER: 0
; COMPUTE_PGM_RSRC2:TGID_X_EN: 1
; COMPUTE_PGM_RSRC2:TGID_Y_EN: 0
; COMPUTE_PGM_RSRC2:TGID_Z_EN: 0
; COMPUTE_PGM_RSRC2:TIDIG_COMP_CNT: 0
	.section	.text._ZN7rocprim17ROCPRIM_400000_NS6detail17trampoline_kernelINS0_14default_configENS1_38merge_sort_block_merge_config_selectorImNS0_10empty_typeEEEZZNS1_27merge_sort_block_merge_implIS3_N6thrust23THRUST_200600_302600_NS6detail15normal_iteratorINS9_10device_ptrImEEEEPS5_m11less_div_10ImEEE10hipError_tT0_T1_T2_jT3_P12ihipStream_tbPNSt15iterator_traitsISJ_E10value_typeEPNSP_ISK_E10value_typeEPSL_NS1_7vsmem_tEENKUlT_SJ_SK_SL_E_clISE_PmSF_SF_EESI_SY_SJ_SK_SL_EUlSY_E_NS1_11comp_targetILNS1_3genE0ELNS1_11target_archE4294967295ELNS1_3gpuE0ELNS1_3repE0EEENS1_48merge_mergepath_partition_config_static_selectorELNS0_4arch9wavefront6targetE0EEEvSK_,"axG",@progbits,_ZN7rocprim17ROCPRIM_400000_NS6detail17trampoline_kernelINS0_14default_configENS1_38merge_sort_block_merge_config_selectorImNS0_10empty_typeEEEZZNS1_27merge_sort_block_merge_implIS3_N6thrust23THRUST_200600_302600_NS6detail15normal_iteratorINS9_10device_ptrImEEEEPS5_m11less_div_10ImEEE10hipError_tT0_T1_T2_jT3_P12ihipStream_tbPNSt15iterator_traitsISJ_E10value_typeEPNSP_ISK_E10value_typeEPSL_NS1_7vsmem_tEENKUlT_SJ_SK_SL_E_clISE_PmSF_SF_EESI_SY_SJ_SK_SL_EUlSY_E_NS1_11comp_targetILNS1_3genE0ELNS1_11target_archE4294967295ELNS1_3gpuE0ELNS1_3repE0EEENS1_48merge_mergepath_partition_config_static_selectorELNS0_4arch9wavefront6targetE0EEEvSK_,comdat
	.protected	_ZN7rocprim17ROCPRIM_400000_NS6detail17trampoline_kernelINS0_14default_configENS1_38merge_sort_block_merge_config_selectorImNS0_10empty_typeEEEZZNS1_27merge_sort_block_merge_implIS3_N6thrust23THRUST_200600_302600_NS6detail15normal_iteratorINS9_10device_ptrImEEEEPS5_m11less_div_10ImEEE10hipError_tT0_T1_T2_jT3_P12ihipStream_tbPNSt15iterator_traitsISJ_E10value_typeEPNSP_ISK_E10value_typeEPSL_NS1_7vsmem_tEENKUlT_SJ_SK_SL_E_clISE_PmSF_SF_EESI_SY_SJ_SK_SL_EUlSY_E_NS1_11comp_targetILNS1_3genE0ELNS1_11target_archE4294967295ELNS1_3gpuE0ELNS1_3repE0EEENS1_48merge_mergepath_partition_config_static_selectorELNS0_4arch9wavefront6targetE0EEEvSK_ ; -- Begin function _ZN7rocprim17ROCPRIM_400000_NS6detail17trampoline_kernelINS0_14default_configENS1_38merge_sort_block_merge_config_selectorImNS0_10empty_typeEEEZZNS1_27merge_sort_block_merge_implIS3_N6thrust23THRUST_200600_302600_NS6detail15normal_iteratorINS9_10device_ptrImEEEEPS5_m11less_div_10ImEEE10hipError_tT0_T1_T2_jT3_P12ihipStream_tbPNSt15iterator_traitsISJ_E10value_typeEPNSP_ISK_E10value_typeEPSL_NS1_7vsmem_tEENKUlT_SJ_SK_SL_E_clISE_PmSF_SF_EESI_SY_SJ_SK_SL_EUlSY_E_NS1_11comp_targetILNS1_3genE0ELNS1_11target_archE4294967295ELNS1_3gpuE0ELNS1_3repE0EEENS1_48merge_mergepath_partition_config_static_selectorELNS0_4arch9wavefront6targetE0EEEvSK_
	.globl	_ZN7rocprim17ROCPRIM_400000_NS6detail17trampoline_kernelINS0_14default_configENS1_38merge_sort_block_merge_config_selectorImNS0_10empty_typeEEEZZNS1_27merge_sort_block_merge_implIS3_N6thrust23THRUST_200600_302600_NS6detail15normal_iteratorINS9_10device_ptrImEEEEPS5_m11less_div_10ImEEE10hipError_tT0_T1_T2_jT3_P12ihipStream_tbPNSt15iterator_traitsISJ_E10value_typeEPNSP_ISK_E10value_typeEPSL_NS1_7vsmem_tEENKUlT_SJ_SK_SL_E_clISE_PmSF_SF_EESI_SY_SJ_SK_SL_EUlSY_E_NS1_11comp_targetILNS1_3genE0ELNS1_11target_archE4294967295ELNS1_3gpuE0ELNS1_3repE0EEENS1_48merge_mergepath_partition_config_static_selectorELNS0_4arch9wavefront6targetE0EEEvSK_
	.p2align	8
	.type	_ZN7rocprim17ROCPRIM_400000_NS6detail17trampoline_kernelINS0_14default_configENS1_38merge_sort_block_merge_config_selectorImNS0_10empty_typeEEEZZNS1_27merge_sort_block_merge_implIS3_N6thrust23THRUST_200600_302600_NS6detail15normal_iteratorINS9_10device_ptrImEEEEPS5_m11less_div_10ImEEE10hipError_tT0_T1_T2_jT3_P12ihipStream_tbPNSt15iterator_traitsISJ_E10value_typeEPNSP_ISK_E10value_typeEPSL_NS1_7vsmem_tEENKUlT_SJ_SK_SL_E_clISE_PmSF_SF_EESI_SY_SJ_SK_SL_EUlSY_E_NS1_11comp_targetILNS1_3genE0ELNS1_11target_archE4294967295ELNS1_3gpuE0ELNS1_3repE0EEENS1_48merge_mergepath_partition_config_static_selectorELNS0_4arch9wavefront6targetE0EEEvSK_,@function
_ZN7rocprim17ROCPRIM_400000_NS6detail17trampoline_kernelINS0_14default_configENS1_38merge_sort_block_merge_config_selectorImNS0_10empty_typeEEEZZNS1_27merge_sort_block_merge_implIS3_N6thrust23THRUST_200600_302600_NS6detail15normal_iteratorINS9_10device_ptrImEEEEPS5_m11less_div_10ImEEE10hipError_tT0_T1_T2_jT3_P12ihipStream_tbPNSt15iterator_traitsISJ_E10value_typeEPNSP_ISK_E10value_typeEPSL_NS1_7vsmem_tEENKUlT_SJ_SK_SL_E_clISE_PmSF_SF_EESI_SY_SJ_SK_SL_EUlSY_E_NS1_11comp_targetILNS1_3genE0ELNS1_11target_archE4294967295ELNS1_3gpuE0ELNS1_3repE0EEENS1_48merge_mergepath_partition_config_static_selectorELNS0_4arch9wavefront6targetE0EEEvSK_: ; @_ZN7rocprim17ROCPRIM_400000_NS6detail17trampoline_kernelINS0_14default_configENS1_38merge_sort_block_merge_config_selectorImNS0_10empty_typeEEEZZNS1_27merge_sort_block_merge_implIS3_N6thrust23THRUST_200600_302600_NS6detail15normal_iteratorINS9_10device_ptrImEEEEPS5_m11less_div_10ImEEE10hipError_tT0_T1_T2_jT3_P12ihipStream_tbPNSt15iterator_traitsISJ_E10value_typeEPNSP_ISK_E10value_typeEPSL_NS1_7vsmem_tEENKUlT_SJ_SK_SL_E_clISE_PmSF_SF_EESI_SY_SJ_SK_SL_EUlSY_E_NS1_11comp_targetILNS1_3genE0ELNS1_11target_archE4294967295ELNS1_3gpuE0ELNS1_3repE0EEENS1_48merge_mergepath_partition_config_static_selectorELNS0_4arch9wavefront6targetE0EEEvSK_
; %bb.0:
	.section	.rodata,"a",@progbits
	.p2align	6, 0x0
	.amdhsa_kernel _ZN7rocprim17ROCPRIM_400000_NS6detail17trampoline_kernelINS0_14default_configENS1_38merge_sort_block_merge_config_selectorImNS0_10empty_typeEEEZZNS1_27merge_sort_block_merge_implIS3_N6thrust23THRUST_200600_302600_NS6detail15normal_iteratorINS9_10device_ptrImEEEEPS5_m11less_div_10ImEEE10hipError_tT0_T1_T2_jT3_P12ihipStream_tbPNSt15iterator_traitsISJ_E10value_typeEPNSP_ISK_E10value_typeEPSL_NS1_7vsmem_tEENKUlT_SJ_SK_SL_E_clISE_PmSF_SF_EESI_SY_SJ_SK_SL_EUlSY_E_NS1_11comp_targetILNS1_3genE0ELNS1_11target_archE4294967295ELNS1_3gpuE0ELNS1_3repE0EEENS1_48merge_mergepath_partition_config_static_selectorELNS0_4arch9wavefront6targetE0EEEvSK_
		.amdhsa_group_segment_fixed_size 0
		.amdhsa_private_segment_fixed_size 0
		.amdhsa_kernarg_size 48
		.amdhsa_user_sgpr_count 6
		.amdhsa_user_sgpr_private_segment_buffer 1
		.amdhsa_user_sgpr_dispatch_ptr 0
		.amdhsa_user_sgpr_queue_ptr 0
		.amdhsa_user_sgpr_kernarg_segment_ptr 1
		.amdhsa_user_sgpr_dispatch_id 0
		.amdhsa_user_sgpr_flat_scratch_init 0
		.amdhsa_user_sgpr_private_segment_size 0
		.amdhsa_wavefront_size32 1
		.amdhsa_uses_dynamic_stack 0
		.amdhsa_system_sgpr_private_segment_wavefront_offset 0
		.amdhsa_system_sgpr_workgroup_id_x 1
		.amdhsa_system_sgpr_workgroup_id_y 0
		.amdhsa_system_sgpr_workgroup_id_z 0
		.amdhsa_system_sgpr_workgroup_info 0
		.amdhsa_system_vgpr_workitem_id 0
		.amdhsa_next_free_vgpr 1
		.amdhsa_next_free_sgpr 1
		.amdhsa_reserve_vcc 0
		.amdhsa_reserve_flat_scratch 0
		.amdhsa_float_round_mode_32 0
		.amdhsa_float_round_mode_16_64 0
		.amdhsa_float_denorm_mode_32 3
		.amdhsa_float_denorm_mode_16_64 3
		.amdhsa_dx10_clamp 1
		.amdhsa_ieee_mode 1
		.amdhsa_fp16_overflow 0
		.amdhsa_workgroup_processor_mode 1
		.amdhsa_memory_ordered 1
		.amdhsa_forward_progress 1
		.amdhsa_shared_vgpr_count 0
		.amdhsa_exception_fp_ieee_invalid_op 0
		.amdhsa_exception_fp_denorm_src 0
		.amdhsa_exception_fp_ieee_div_zero 0
		.amdhsa_exception_fp_ieee_overflow 0
		.amdhsa_exception_fp_ieee_underflow 0
		.amdhsa_exception_fp_ieee_inexact 0
		.amdhsa_exception_int_div_zero 0
	.end_amdhsa_kernel
	.section	.text._ZN7rocprim17ROCPRIM_400000_NS6detail17trampoline_kernelINS0_14default_configENS1_38merge_sort_block_merge_config_selectorImNS0_10empty_typeEEEZZNS1_27merge_sort_block_merge_implIS3_N6thrust23THRUST_200600_302600_NS6detail15normal_iteratorINS9_10device_ptrImEEEEPS5_m11less_div_10ImEEE10hipError_tT0_T1_T2_jT3_P12ihipStream_tbPNSt15iterator_traitsISJ_E10value_typeEPNSP_ISK_E10value_typeEPSL_NS1_7vsmem_tEENKUlT_SJ_SK_SL_E_clISE_PmSF_SF_EESI_SY_SJ_SK_SL_EUlSY_E_NS1_11comp_targetILNS1_3genE0ELNS1_11target_archE4294967295ELNS1_3gpuE0ELNS1_3repE0EEENS1_48merge_mergepath_partition_config_static_selectorELNS0_4arch9wavefront6targetE0EEEvSK_,"axG",@progbits,_ZN7rocprim17ROCPRIM_400000_NS6detail17trampoline_kernelINS0_14default_configENS1_38merge_sort_block_merge_config_selectorImNS0_10empty_typeEEEZZNS1_27merge_sort_block_merge_implIS3_N6thrust23THRUST_200600_302600_NS6detail15normal_iteratorINS9_10device_ptrImEEEEPS5_m11less_div_10ImEEE10hipError_tT0_T1_T2_jT3_P12ihipStream_tbPNSt15iterator_traitsISJ_E10value_typeEPNSP_ISK_E10value_typeEPSL_NS1_7vsmem_tEENKUlT_SJ_SK_SL_E_clISE_PmSF_SF_EESI_SY_SJ_SK_SL_EUlSY_E_NS1_11comp_targetILNS1_3genE0ELNS1_11target_archE4294967295ELNS1_3gpuE0ELNS1_3repE0EEENS1_48merge_mergepath_partition_config_static_selectorELNS0_4arch9wavefront6targetE0EEEvSK_,comdat
.Lfunc_end641:
	.size	_ZN7rocprim17ROCPRIM_400000_NS6detail17trampoline_kernelINS0_14default_configENS1_38merge_sort_block_merge_config_selectorImNS0_10empty_typeEEEZZNS1_27merge_sort_block_merge_implIS3_N6thrust23THRUST_200600_302600_NS6detail15normal_iteratorINS9_10device_ptrImEEEEPS5_m11less_div_10ImEEE10hipError_tT0_T1_T2_jT3_P12ihipStream_tbPNSt15iterator_traitsISJ_E10value_typeEPNSP_ISK_E10value_typeEPSL_NS1_7vsmem_tEENKUlT_SJ_SK_SL_E_clISE_PmSF_SF_EESI_SY_SJ_SK_SL_EUlSY_E_NS1_11comp_targetILNS1_3genE0ELNS1_11target_archE4294967295ELNS1_3gpuE0ELNS1_3repE0EEENS1_48merge_mergepath_partition_config_static_selectorELNS0_4arch9wavefront6targetE0EEEvSK_, .Lfunc_end641-_ZN7rocprim17ROCPRIM_400000_NS6detail17trampoline_kernelINS0_14default_configENS1_38merge_sort_block_merge_config_selectorImNS0_10empty_typeEEEZZNS1_27merge_sort_block_merge_implIS3_N6thrust23THRUST_200600_302600_NS6detail15normal_iteratorINS9_10device_ptrImEEEEPS5_m11less_div_10ImEEE10hipError_tT0_T1_T2_jT3_P12ihipStream_tbPNSt15iterator_traitsISJ_E10value_typeEPNSP_ISK_E10value_typeEPSL_NS1_7vsmem_tEENKUlT_SJ_SK_SL_E_clISE_PmSF_SF_EESI_SY_SJ_SK_SL_EUlSY_E_NS1_11comp_targetILNS1_3genE0ELNS1_11target_archE4294967295ELNS1_3gpuE0ELNS1_3repE0EEENS1_48merge_mergepath_partition_config_static_selectorELNS0_4arch9wavefront6targetE0EEEvSK_
                                        ; -- End function
	.set _ZN7rocprim17ROCPRIM_400000_NS6detail17trampoline_kernelINS0_14default_configENS1_38merge_sort_block_merge_config_selectorImNS0_10empty_typeEEEZZNS1_27merge_sort_block_merge_implIS3_N6thrust23THRUST_200600_302600_NS6detail15normal_iteratorINS9_10device_ptrImEEEEPS5_m11less_div_10ImEEE10hipError_tT0_T1_T2_jT3_P12ihipStream_tbPNSt15iterator_traitsISJ_E10value_typeEPNSP_ISK_E10value_typeEPSL_NS1_7vsmem_tEENKUlT_SJ_SK_SL_E_clISE_PmSF_SF_EESI_SY_SJ_SK_SL_EUlSY_E_NS1_11comp_targetILNS1_3genE0ELNS1_11target_archE4294967295ELNS1_3gpuE0ELNS1_3repE0EEENS1_48merge_mergepath_partition_config_static_selectorELNS0_4arch9wavefront6targetE0EEEvSK_.num_vgpr, 0
	.set _ZN7rocprim17ROCPRIM_400000_NS6detail17trampoline_kernelINS0_14default_configENS1_38merge_sort_block_merge_config_selectorImNS0_10empty_typeEEEZZNS1_27merge_sort_block_merge_implIS3_N6thrust23THRUST_200600_302600_NS6detail15normal_iteratorINS9_10device_ptrImEEEEPS5_m11less_div_10ImEEE10hipError_tT0_T1_T2_jT3_P12ihipStream_tbPNSt15iterator_traitsISJ_E10value_typeEPNSP_ISK_E10value_typeEPSL_NS1_7vsmem_tEENKUlT_SJ_SK_SL_E_clISE_PmSF_SF_EESI_SY_SJ_SK_SL_EUlSY_E_NS1_11comp_targetILNS1_3genE0ELNS1_11target_archE4294967295ELNS1_3gpuE0ELNS1_3repE0EEENS1_48merge_mergepath_partition_config_static_selectorELNS0_4arch9wavefront6targetE0EEEvSK_.num_agpr, 0
	.set _ZN7rocprim17ROCPRIM_400000_NS6detail17trampoline_kernelINS0_14default_configENS1_38merge_sort_block_merge_config_selectorImNS0_10empty_typeEEEZZNS1_27merge_sort_block_merge_implIS3_N6thrust23THRUST_200600_302600_NS6detail15normal_iteratorINS9_10device_ptrImEEEEPS5_m11less_div_10ImEEE10hipError_tT0_T1_T2_jT3_P12ihipStream_tbPNSt15iterator_traitsISJ_E10value_typeEPNSP_ISK_E10value_typeEPSL_NS1_7vsmem_tEENKUlT_SJ_SK_SL_E_clISE_PmSF_SF_EESI_SY_SJ_SK_SL_EUlSY_E_NS1_11comp_targetILNS1_3genE0ELNS1_11target_archE4294967295ELNS1_3gpuE0ELNS1_3repE0EEENS1_48merge_mergepath_partition_config_static_selectorELNS0_4arch9wavefront6targetE0EEEvSK_.numbered_sgpr, 0
	.set _ZN7rocprim17ROCPRIM_400000_NS6detail17trampoline_kernelINS0_14default_configENS1_38merge_sort_block_merge_config_selectorImNS0_10empty_typeEEEZZNS1_27merge_sort_block_merge_implIS3_N6thrust23THRUST_200600_302600_NS6detail15normal_iteratorINS9_10device_ptrImEEEEPS5_m11less_div_10ImEEE10hipError_tT0_T1_T2_jT3_P12ihipStream_tbPNSt15iterator_traitsISJ_E10value_typeEPNSP_ISK_E10value_typeEPSL_NS1_7vsmem_tEENKUlT_SJ_SK_SL_E_clISE_PmSF_SF_EESI_SY_SJ_SK_SL_EUlSY_E_NS1_11comp_targetILNS1_3genE0ELNS1_11target_archE4294967295ELNS1_3gpuE0ELNS1_3repE0EEENS1_48merge_mergepath_partition_config_static_selectorELNS0_4arch9wavefront6targetE0EEEvSK_.num_named_barrier, 0
	.set _ZN7rocprim17ROCPRIM_400000_NS6detail17trampoline_kernelINS0_14default_configENS1_38merge_sort_block_merge_config_selectorImNS0_10empty_typeEEEZZNS1_27merge_sort_block_merge_implIS3_N6thrust23THRUST_200600_302600_NS6detail15normal_iteratorINS9_10device_ptrImEEEEPS5_m11less_div_10ImEEE10hipError_tT0_T1_T2_jT3_P12ihipStream_tbPNSt15iterator_traitsISJ_E10value_typeEPNSP_ISK_E10value_typeEPSL_NS1_7vsmem_tEENKUlT_SJ_SK_SL_E_clISE_PmSF_SF_EESI_SY_SJ_SK_SL_EUlSY_E_NS1_11comp_targetILNS1_3genE0ELNS1_11target_archE4294967295ELNS1_3gpuE0ELNS1_3repE0EEENS1_48merge_mergepath_partition_config_static_selectorELNS0_4arch9wavefront6targetE0EEEvSK_.private_seg_size, 0
	.set _ZN7rocprim17ROCPRIM_400000_NS6detail17trampoline_kernelINS0_14default_configENS1_38merge_sort_block_merge_config_selectorImNS0_10empty_typeEEEZZNS1_27merge_sort_block_merge_implIS3_N6thrust23THRUST_200600_302600_NS6detail15normal_iteratorINS9_10device_ptrImEEEEPS5_m11less_div_10ImEEE10hipError_tT0_T1_T2_jT3_P12ihipStream_tbPNSt15iterator_traitsISJ_E10value_typeEPNSP_ISK_E10value_typeEPSL_NS1_7vsmem_tEENKUlT_SJ_SK_SL_E_clISE_PmSF_SF_EESI_SY_SJ_SK_SL_EUlSY_E_NS1_11comp_targetILNS1_3genE0ELNS1_11target_archE4294967295ELNS1_3gpuE0ELNS1_3repE0EEENS1_48merge_mergepath_partition_config_static_selectorELNS0_4arch9wavefront6targetE0EEEvSK_.uses_vcc, 0
	.set _ZN7rocprim17ROCPRIM_400000_NS6detail17trampoline_kernelINS0_14default_configENS1_38merge_sort_block_merge_config_selectorImNS0_10empty_typeEEEZZNS1_27merge_sort_block_merge_implIS3_N6thrust23THRUST_200600_302600_NS6detail15normal_iteratorINS9_10device_ptrImEEEEPS5_m11less_div_10ImEEE10hipError_tT0_T1_T2_jT3_P12ihipStream_tbPNSt15iterator_traitsISJ_E10value_typeEPNSP_ISK_E10value_typeEPSL_NS1_7vsmem_tEENKUlT_SJ_SK_SL_E_clISE_PmSF_SF_EESI_SY_SJ_SK_SL_EUlSY_E_NS1_11comp_targetILNS1_3genE0ELNS1_11target_archE4294967295ELNS1_3gpuE0ELNS1_3repE0EEENS1_48merge_mergepath_partition_config_static_selectorELNS0_4arch9wavefront6targetE0EEEvSK_.uses_flat_scratch, 0
	.set _ZN7rocprim17ROCPRIM_400000_NS6detail17trampoline_kernelINS0_14default_configENS1_38merge_sort_block_merge_config_selectorImNS0_10empty_typeEEEZZNS1_27merge_sort_block_merge_implIS3_N6thrust23THRUST_200600_302600_NS6detail15normal_iteratorINS9_10device_ptrImEEEEPS5_m11less_div_10ImEEE10hipError_tT0_T1_T2_jT3_P12ihipStream_tbPNSt15iterator_traitsISJ_E10value_typeEPNSP_ISK_E10value_typeEPSL_NS1_7vsmem_tEENKUlT_SJ_SK_SL_E_clISE_PmSF_SF_EESI_SY_SJ_SK_SL_EUlSY_E_NS1_11comp_targetILNS1_3genE0ELNS1_11target_archE4294967295ELNS1_3gpuE0ELNS1_3repE0EEENS1_48merge_mergepath_partition_config_static_selectorELNS0_4arch9wavefront6targetE0EEEvSK_.has_dyn_sized_stack, 0
	.set _ZN7rocprim17ROCPRIM_400000_NS6detail17trampoline_kernelINS0_14default_configENS1_38merge_sort_block_merge_config_selectorImNS0_10empty_typeEEEZZNS1_27merge_sort_block_merge_implIS3_N6thrust23THRUST_200600_302600_NS6detail15normal_iteratorINS9_10device_ptrImEEEEPS5_m11less_div_10ImEEE10hipError_tT0_T1_T2_jT3_P12ihipStream_tbPNSt15iterator_traitsISJ_E10value_typeEPNSP_ISK_E10value_typeEPSL_NS1_7vsmem_tEENKUlT_SJ_SK_SL_E_clISE_PmSF_SF_EESI_SY_SJ_SK_SL_EUlSY_E_NS1_11comp_targetILNS1_3genE0ELNS1_11target_archE4294967295ELNS1_3gpuE0ELNS1_3repE0EEENS1_48merge_mergepath_partition_config_static_selectorELNS0_4arch9wavefront6targetE0EEEvSK_.has_recursion, 0
	.set _ZN7rocprim17ROCPRIM_400000_NS6detail17trampoline_kernelINS0_14default_configENS1_38merge_sort_block_merge_config_selectorImNS0_10empty_typeEEEZZNS1_27merge_sort_block_merge_implIS3_N6thrust23THRUST_200600_302600_NS6detail15normal_iteratorINS9_10device_ptrImEEEEPS5_m11less_div_10ImEEE10hipError_tT0_T1_T2_jT3_P12ihipStream_tbPNSt15iterator_traitsISJ_E10value_typeEPNSP_ISK_E10value_typeEPSL_NS1_7vsmem_tEENKUlT_SJ_SK_SL_E_clISE_PmSF_SF_EESI_SY_SJ_SK_SL_EUlSY_E_NS1_11comp_targetILNS1_3genE0ELNS1_11target_archE4294967295ELNS1_3gpuE0ELNS1_3repE0EEENS1_48merge_mergepath_partition_config_static_selectorELNS0_4arch9wavefront6targetE0EEEvSK_.has_indirect_call, 0
	.section	.AMDGPU.csdata,"",@progbits
; Kernel info:
; codeLenInByte = 0
; TotalNumSgprs: 0
; NumVgprs: 0
; ScratchSize: 0
; MemoryBound: 0
; FloatMode: 240
; IeeeMode: 1
; LDSByteSize: 0 bytes/workgroup (compile time only)
; SGPRBlocks: 0
; VGPRBlocks: 0
; NumSGPRsForWavesPerEU: 1
; NumVGPRsForWavesPerEU: 1
; Occupancy: 16
; WaveLimiterHint : 0
; COMPUTE_PGM_RSRC2:SCRATCH_EN: 0
; COMPUTE_PGM_RSRC2:USER_SGPR: 6
; COMPUTE_PGM_RSRC2:TRAP_HANDLER: 0
; COMPUTE_PGM_RSRC2:TGID_X_EN: 1
; COMPUTE_PGM_RSRC2:TGID_Y_EN: 0
; COMPUTE_PGM_RSRC2:TGID_Z_EN: 0
; COMPUTE_PGM_RSRC2:TIDIG_COMP_CNT: 0
	.section	.text._ZN7rocprim17ROCPRIM_400000_NS6detail17trampoline_kernelINS0_14default_configENS1_38merge_sort_block_merge_config_selectorImNS0_10empty_typeEEEZZNS1_27merge_sort_block_merge_implIS3_N6thrust23THRUST_200600_302600_NS6detail15normal_iteratorINS9_10device_ptrImEEEEPS5_m11less_div_10ImEEE10hipError_tT0_T1_T2_jT3_P12ihipStream_tbPNSt15iterator_traitsISJ_E10value_typeEPNSP_ISK_E10value_typeEPSL_NS1_7vsmem_tEENKUlT_SJ_SK_SL_E_clISE_PmSF_SF_EESI_SY_SJ_SK_SL_EUlSY_E_NS1_11comp_targetILNS1_3genE10ELNS1_11target_archE1201ELNS1_3gpuE5ELNS1_3repE0EEENS1_48merge_mergepath_partition_config_static_selectorELNS0_4arch9wavefront6targetE0EEEvSK_,"axG",@progbits,_ZN7rocprim17ROCPRIM_400000_NS6detail17trampoline_kernelINS0_14default_configENS1_38merge_sort_block_merge_config_selectorImNS0_10empty_typeEEEZZNS1_27merge_sort_block_merge_implIS3_N6thrust23THRUST_200600_302600_NS6detail15normal_iteratorINS9_10device_ptrImEEEEPS5_m11less_div_10ImEEE10hipError_tT0_T1_T2_jT3_P12ihipStream_tbPNSt15iterator_traitsISJ_E10value_typeEPNSP_ISK_E10value_typeEPSL_NS1_7vsmem_tEENKUlT_SJ_SK_SL_E_clISE_PmSF_SF_EESI_SY_SJ_SK_SL_EUlSY_E_NS1_11comp_targetILNS1_3genE10ELNS1_11target_archE1201ELNS1_3gpuE5ELNS1_3repE0EEENS1_48merge_mergepath_partition_config_static_selectorELNS0_4arch9wavefront6targetE0EEEvSK_,comdat
	.protected	_ZN7rocprim17ROCPRIM_400000_NS6detail17trampoline_kernelINS0_14default_configENS1_38merge_sort_block_merge_config_selectorImNS0_10empty_typeEEEZZNS1_27merge_sort_block_merge_implIS3_N6thrust23THRUST_200600_302600_NS6detail15normal_iteratorINS9_10device_ptrImEEEEPS5_m11less_div_10ImEEE10hipError_tT0_T1_T2_jT3_P12ihipStream_tbPNSt15iterator_traitsISJ_E10value_typeEPNSP_ISK_E10value_typeEPSL_NS1_7vsmem_tEENKUlT_SJ_SK_SL_E_clISE_PmSF_SF_EESI_SY_SJ_SK_SL_EUlSY_E_NS1_11comp_targetILNS1_3genE10ELNS1_11target_archE1201ELNS1_3gpuE5ELNS1_3repE0EEENS1_48merge_mergepath_partition_config_static_selectorELNS0_4arch9wavefront6targetE0EEEvSK_ ; -- Begin function _ZN7rocprim17ROCPRIM_400000_NS6detail17trampoline_kernelINS0_14default_configENS1_38merge_sort_block_merge_config_selectorImNS0_10empty_typeEEEZZNS1_27merge_sort_block_merge_implIS3_N6thrust23THRUST_200600_302600_NS6detail15normal_iteratorINS9_10device_ptrImEEEEPS5_m11less_div_10ImEEE10hipError_tT0_T1_T2_jT3_P12ihipStream_tbPNSt15iterator_traitsISJ_E10value_typeEPNSP_ISK_E10value_typeEPSL_NS1_7vsmem_tEENKUlT_SJ_SK_SL_E_clISE_PmSF_SF_EESI_SY_SJ_SK_SL_EUlSY_E_NS1_11comp_targetILNS1_3genE10ELNS1_11target_archE1201ELNS1_3gpuE5ELNS1_3repE0EEENS1_48merge_mergepath_partition_config_static_selectorELNS0_4arch9wavefront6targetE0EEEvSK_
	.globl	_ZN7rocprim17ROCPRIM_400000_NS6detail17trampoline_kernelINS0_14default_configENS1_38merge_sort_block_merge_config_selectorImNS0_10empty_typeEEEZZNS1_27merge_sort_block_merge_implIS3_N6thrust23THRUST_200600_302600_NS6detail15normal_iteratorINS9_10device_ptrImEEEEPS5_m11less_div_10ImEEE10hipError_tT0_T1_T2_jT3_P12ihipStream_tbPNSt15iterator_traitsISJ_E10value_typeEPNSP_ISK_E10value_typeEPSL_NS1_7vsmem_tEENKUlT_SJ_SK_SL_E_clISE_PmSF_SF_EESI_SY_SJ_SK_SL_EUlSY_E_NS1_11comp_targetILNS1_3genE10ELNS1_11target_archE1201ELNS1_3gpuE5ELNS1_3repE0EEENS1_48merge_mergepath_partition_config_static_selectorELNS0_4arch9wavefront6targetE0EEEvSK_
	.p2align	8
	.type	_ZN7rocprim17ROCPRIM_400000_NS6detail17trampoline_kernelINS0_14default_configENS1_38merge_sort_block_merge_config_selectorImNS0_10empty_typeEEEZZNS1_27merge_sort_block_merge_implIS3_N6thrust23THRUST_200600_302600_NS6detail15normal_iteratorINS9_10device_ptrImEEEEPS5_m11less_div_10ImEEE10hipError_tT0_T1_T2_jT3_P12ihipStream_tbPNSt15iterator_traitsISJ_E10value_typeEPNSP_ISK_E10value_typeEPSL_NS1_7vsmem_tEENKUlT_SJ_SK_SL_E_clISE_PmSF_SF_EESI_SY_SJ_SK_SL_EUlSY_E_NS1_11comp_targetILNS1_3genE10ELNS1_11target_archE1201ELNS1_3gpuE5ELNS1_3repE0EEENS1_48merge_mergepath_partition_config_static_selectorELNS0_4arch9wavefront6targetE0EEEvSK_,@function
_ZN7rocprim17ROCPRIM_400000_NS6detail17trampoline_kernelINS0_14default_configENS1_38merge_sort_block_merge_config_selectorImNS0_10empty_typeEEEZZNS1_27merge_sort_block_merge_implIS3_N6thrust23THRUST_200600_302600_NS6detail15normal_iteratorINS9_10device_ptrImEEEEPS5_m11less_div_10ImEEE10hipError_tT0_T1_T2_jT3_P12ihipStream_tbPNSt15iterator_traitsISJ_E10value_typeEPNSP_ISK_E10value_typeEPSL_NS1_7vsmem_tEENKUlT_SJ_SK_SL_E_clISE_PmSF_SF_EESI_SY_SJ_SK_SL_EUlSY_E_NS1_11comp_targetILNS1_3genE10ELNS1_11target_archE1201ELNS1_3gpuE5ELNS1_3repE0EEENS1_48merge_mergepath_partition_config_static_selectorELNS0_4arch9wavefront6targetE0EEEvSK_: ; @_ZN7rocprim17ROCPRIM_400000_NS6detail17trampoline_kernelINS0_14default_configENS1_38merge_sort_block_merge_config_selectorImNS0_10empty_typeEEEZZNS1_27merge_sort_block_merge_implIS3_N6thrust23THRUST_200600_302600_NS6detail15normal_iteratorINS9_10device_ptrImEEEEPS5_m11less_div_10ImEEE10hipError_tT0_T1_T2_jT3_P12ihipStream_tbPNSt15iterator_traitsISJ_E10value_typeEPNSP_ISK_E10value_typeEPSL_NS1_7vsmem_tEENKUlT_SJ_SK_SL_E_clISE_PmSF_SF_EESI_SY_SJ_SK_SL_EUlSY_E_NS1_11comp_targetILNS1_3genE10ELNS1_11target_archE1201ELNS1_3gpuE5ELNS1_3repE0EEENS1_48merge_mergepath_partition_config_static_selectorELNS0_4arch9wavefront6targetE0EEEvSK_
; %bb.0:
	.section	.rodata,"a",@progbits
	.p2align	6, 0x0
	.amdhsa_kernel _ZN7rocprim17ROCPRIM_400000_NS6detail17trampoline_kernelINS0_14default_configENS1_38merge_sort_block_merge_config_selectorImNS0_10empty_typeEEEZZNS1_27merge_sort_block_merge_implIS3_N6thrust23THRUST_200600_302600_NS6detail15normal_iteratorINS9_10device_ptrImEEEEPS5_m11less_div_10ImEEE10hipError_tT0_T1_T2_jT3_P12ihipStream_tbPNSt15iterator_traitsISJ_E10value_typeEPNSP_ISK_E10value_typeEPSL_NS1_7vsmem_tEENKUlT_SJ_SK_SL_E_clISE_PmSF_SF_EESI_SY_SJ_SK_SL_EUlSY_E_NS1_11comp_targetILNS1_3genE10ELNS1_11target_archE1201ELNS1_3gpuE5ELNS1_3repE0EEENS1_48merge_mergepath_partition_config_static_selectorELNS0_4arch9wavefront6targetE0EEEvSK_
		.amdhsa_group_segment_fixed_size 0
		.amdhsa_private_segment_fixed_size 0
		.amdhsa_kernarg_size 48
		.amdhsa_user_sgpr_count 6
		.amdhsa_user_sgpr_private_segment_buffer 1
		.amdhsa_user_sgpr_dispatch_ptr 0
		.amdhsa_user_sgpr_queue_ptr 0
		.amdhsa_user_sgpr_kernarg_segment_ptr 1
		.amdhsa_user_sgpr_dispatch_id 0
		.amdhsa_user_sgpr_flat_scratch_init 0
		.amdhsa_user_sgpr_private_segment_size 0
		.amdhsa_wavefront_size32 1
		.amdhsa_uses_dynamic_stack 0
		.amdhsa_system_sgpr_private_segment_wavefront_offset 0
		.amdhsa_system_sgpr_workgroup_id_x 1
		.amdhsa_system_sgpr_workgroup_id_y 0
		.amdhsa_system_sgpr_workgroup_id_z 0
		.amdhsa_system_sgpr_workgroup_info 0
		.amdhsa_system_vgpr_workitem_id 0
		.amdhsa_next_free_vgpr 1
		.amdhsa_next_free_sgpr 1
		.amdhsa_reserve_vcc 0
		.amdhsa_reserve_flat_scratch 0
		.amdhsa_float_round_mode_32 0
		.amdhsa_float_round_mode_16_64 0
		.amdhsa_float_denorm_mode_32 3
		.amdhsa_float_denorm_mode_16_64 3
		.amdhsa_dx10_clamp 1
		.amdhsa_ieee_mode 1
		.amdhsa_fp16_overflow 0
		.amdhsa_workgroup_processor_mode 1
		.amdhsa_memory_ordered 1
		.amdhsa_forward_progress 1
		.amdhsa_shared_vgpr_count 0
		.amdhsa_exception_fp_ieee_invalid_op 0
		.amdhsa_exception_fp_denorm_src 0
		.amdhsa_exception_fp_ieee_div_zero 0
		.amdhsa_exception_fp_ieee_overflow 0
		.amdhsa_exception_fp_ieee_underflow 0
		.amdhsa_exception_fp_ieee_inexact 0
		.amdhsa_exception_int_div_zero 0
	.end_amdhsa_kernel
	.section	.text._ZN7rocprim17ROCPRIM_400000_NS6detail17trampoline_kernelINS0_14default_configENS1_38merge_sort_block_merge_config_selectorImNS0_10empty_typeEEEZZNS1_27merge_sort_block_merge_implIS3_N6thrust23THRUST_200600_302600_NS6detail15normal_iteratorINS9_10device_ptrImEEEEPS5_m11less_div_10ImEEE10hipError_tT0_T1_T2_jT3_P12ihipStream_tbPNSt15iterator_traitsISJ_E10value_typeEPNSP_ISK_E10value_typeEPSL_NS1_7vsmem_tEENKUlT_SJ_SK_SL_E_clISE_PmSF_SF_EESI_SY_SJ_SK_SL_EUlSY_E_NS1_11comp_targetILNS1_3genE10ELNS1_11target_archE1201ELNS1_3gpuE5ELNS1_3repE0EEENS1_48merge_mergepath_partition_config_static_selectorELNS0_4arch9wavefront6targetE0EEEvSK_,"axG",@progbits,_ZN7rocprim17ROCPRIM_400000_NS6detail17trampoline_kernelINS0_14default_configENS1_38merge_sort_block_merge_config_selectorImNS0_10empty_typeEEEZZNS1_27merge_sort_block_merge_implIS3_N6thrust23THRUST_200600_302600_NS6detail15normal_iteratorINS9_10device_ptrImEEEEPS5_m11less_div_10ImEEE10hipError_tT0_T1_T2_jT3_P12ihipStream_tbPNSt15iterator_traitsISJ_E10value_typeEPNSP_ISK_E10value_typeEPSL_NS1_7vsmem_tEENKUlT_SJ_SK_SL_E_clISE_PmSF_SF_EESI_SY_SJ_SK_SL_EUlSY_E_NS1_11comp_targetILNS1_3genE10ELNS1_11target_archE1201ELNS1_3gpuE5ELNS1_3repE0EEENS1_48merge_mergepath_partition_config_static_selectorELNS0_4arch9wavefront6targetE0EEEvSK_,comdat
.Lfunc_end642:
	.size	_ZN7rocprim17ROCPRIM_400000_NS6detail17trampoline_kernelINS0_14default_configENS1_38merge_sort_block_merge_config_selectorImNS0_10empty_typeEEEZZNS1_27merge_sort_block_merge_implIS3_N6thrust23THRUST_200600_302600_NS6detail15normal_iteratorINS9_10device_ptrImEEEEPS5_m11less_div_10ImEEE10hipError_tT0_T1_T2_jT3_P12ihipStream_tbPNSt15iterator_traitsISJ_E10value_typeEPNSP_ISK_E10value_typeEPSL_NS1_7vsmem_tEENKUlT_SJ_SK_SL_E_clISE_PmSF_SF_EESI_SY_SJ_SK_SL_EUlSY_E_NS1_11comp_targetILNS1_3genE10ELNS1_11target_archE1201ELNS1_3gpuE5ELNS1_3repE0EEENS1_48merge_mergepath_partition_config_static_selectorELNS0_4arch9wavefront6targetE0EEEvSK_, .Lfunc_end642-_ZN7rocprim17ROCPRIM_400000_NS6detail17trampoline_kernelINS0_14default_configENS1_38merge_sort_block_merge_config_selectorImNS0_10empty_typeEEEZZNS1_27merge_sort_block_merge_implIS3_N6thrust23THRUST_200600_302600_NS6detail15normal_iteratorINS9_10device_ptrImEEEEPS5_m11less_div_10ImEEE10hipError_tT0_T1_T2_jT3_P12ihipStream_tbPNSt15iterator_traitsISJ_E10value_typeEPNSP_ISK_E10value_typeEPSL_NS1_7vsmem_tEENKUlT_SJ_SK_SL_E_clISE_PmSF_SF_EESI_SY_SJ_SK_SL_EUlSY_E_NS1_11comp_targetILNS1_3genE10ELNS1_11target_archE1201ELNS1_3gpuE5ELNS1_3repE0EEENS1_48merge_mergepath_partition_config_static_selectorELNS0_4arch9wavefront6targetE0EEEvSK_
                                        ; -- End function
	.set _ZN7rocprim17ROCPRIM_400000_NS6detail17trampoline_kernelINS0_14default_configENS1_38merge_sort_block_merge_config_selectorImNS0_10empty_typeEEEZZNS1_27merge_sort_block_merge_implIS3_N6thrust23THRUST_200600_302600_NS6detail15normal_iteratorINS9_10device_ptrImEEEEPS5_m11less_div_10ImEEE10hipError_tT0_T1_T2_jT3_P12ihipStream_tbPNSt15iterator_traitsISJ_E10value_typeEPNSP_ISK_E10value_typeEPSL_NS1_7vsmem_tEENKUlT_SJ_SK_SL_E_clISE_PmSF_SF_EESI_SY_SJ_SK_SL_EUlSY_E_NS1_11comp_targetILNS1_3genE10ELNS1_11target_archE1201ELNS1_3gpuE5ELNS1_3repE0EEENS1_48merge_mergepath_partition_config_static_selectorELNS0_4arch9wavefront6targetE0EEEvSK_.num_vgpr, 0
	.set _ZN7rocprim17ROCPRIM_400000_NS6detail17trampoline_kernelINS0_14default_configENS1_38merge_sort_block_merge_config_selectorImNS0_10empty_typeEEEZZNS1_27merge_sort_block_merge_implIS3_N6thrust23THRUST_200600_302600_NS6detail15normal_iteratorINS9_10device_ptrImEEEEPS5_m11less_div_10ImEEE10hipError_tT0_T1_T2_jT3_P12ihipStream_tbPNSt15iterator_traitsISJ_E10value_typeEPNSP_ISK_E10value_typeEPSL_NS1_7vsmem_tEENKUlT_SJ_SK_SL_E_clISE_PmSF_SF_EESI_SY_SJ_SK_SL_EUlSY_E_NS1_11comp_targetILNS1_3genE10ELNS1_11target_archE1201ELNS1_3gpuE5ELNS1_3repE0EEENS1_48merge_mergepath_partition_config_static_selectorELNS0_4arch9wavefront6targetE0EEEvSK_.num_agpr, 0
	.set _ZN7rocprim17ROCPRIM_400000_NS6detail17trampoline_kernelINS0_14default_configENS1_38merge_sort_block_merge_config_selectorImNS0_10empty_typeEEEZZNS1_27merge_sort_block_merge_implIS3_N6thrust23THRUST_200600_302600_NS6detail15normal_iteratorINS9_10device_ptrImEEEEPS5_m11less_div_10ImEEE10hipError_tT0_T1_T2_jT3_P12ihipStream_tbPNSt15iterator_traitsISJ_E10value_typeEPNSP_ISK_E10value_typeEPSL_NS1_7vsmem_tEENKUlT_SJ_SK_SL_E_clISE_PmSF_SF_EESI_SY_SJ_SK_SL_EUlSY_E_NS1_11comp_targetILNS1_3genE10ELNS1_11target_archE1201ELNS1_3gpuE5ELNS1_3repE0EEENS1_48merge_mergepath_partition_config_static_selectorELNS0_4arch9wavefront6targetE0EEEvSK_.numbered_sgpr, 0
	.set _ZN7rocprim17ROCPRIM_400000_NS6detail17trampoline_kernelINS0_14default_configENS1_38merge_sort_block_merge_config_selectorImNS0_10empty_typeEEEZZNS1_27merge_sort_block_merge_implIS3_N6thrust23THRUST_200600_302600_NS6detail15normal_iteratorINS9_10device_ptrImEEEEPS5_m11less_div_10ImEEE10hipError_tT0_T1_T2_jT3_P12ihipStream_tbPNSt15iterator_traitsISJ_E10value_typeEPNSP_ISK_E10value_typeEPSL_NS1_7vsmem_tEENKUlT_SJ_SK_SL_E_clISE_PmSF_SF_EESI_SY_SJ_SK_SL_EUlSY_E_NS1_11comp_targetILNS1_3genE10ELNS1_11target_archE1201ELNS1_3gpuE5ELNS1_3repE0EEENS1_48merge_mergepath_partition_config_static_selectorELNS0_4arch9wavefront6targetE0EEEvSK_.num_named_barrier, 0
	.set _ZN7rocprim17ROCPRIM_400000_NS6detail17trampoline_kernelINS0_14default_configENS1_38merge_sort_block_merge_config_selectorImNS0_10empty_typeEEEZZNS1_27merge_sort_block_merge_implIS3_N6thrust23THRUST_200600_302600_NS6detail15normal_iteratorINS9_10device_ptrImEEEEPS5_m11less_div_10ImEEE10hipError_tT0_T1_T2_jT3_P12ihipStream_tbPNSt15iterator_traitsISJ_E10value_typeEPNSP_ISK_E10value_typeEPSL_NS1_7vsmem_tEENKUlT_SJ_SK_SL_E_clISE_PmSF_SF_EESI_SY_SJ_SK_SL_EUlSY_E_NS1_11comp_targetILNS1_3genE10ELNS1_11target_archE1201ELNS1_3gpuE5ELNS1_3repE0EEENS1_48merge_mergepath_partition_config_static_selectorELNS0_4arch9wavefront6targetE0EEEvSK_.private_seg_size, 0
	.set _ZN7rocprim17ROCPRIM_400000_NS6detail17trampoline_kernelINS0_14default_configENS1_38merge_sort_block_merge_config_selectorImNS0_10empty_typeEEEZZNS1_27merge_sort_block_merge_implIS3_N6thrust23THRUST_200600_302600_NS6detail15normal_iteratorINS9_10device_ptrImEEEEPS5_m11less_div_10ImEEE10hipError_tT0_T1_T2_jT3_P12ihipStream_tbPNSt15iterator_traitsISJ_E10value_typeEPNSP_ISK_E10value_typeEPSL_NS1_7vsmem_tEENKUlT_SJ_SK_SL_E_clISE_PmSF_SF_EESI_SY_SJ_SK_SL_EUlSY_E_NS1_11comp_targetILNS1_3genE10ELNS1_11target_archE1201ELNS1_3gpuE5ELNS1_3repE0EEENS1_48merge_mergepath_partition_config_static_selectorELNS0_4arch9wavefront6targetE0EEEvSK_.uses_vcc, 0
	.set _ZN7rocprim17ROCPRIM_400000_NS6detail17trampoline_kernelINS0_14default_configENS1_38merge_sort_block_merge_config_selectorImNS0_10empty_typeEEEZZNS1_27merge_sort_block_merge_implIS3_N6thrust23THRUST_200600_302600_NS6detail15normal_iteratorINS9_10device_ptrImEEEEPS5_m11less_div_10ImEEE10hipError_tT0_T1_T2_jT3_P12ihipStream_tbPNSt15iterator_traitsISJ_E10value_typeEPNSP_ISK_E10value_typeEPSL_NS1_7vsmem_tEENKUlT_SJ_SK_SL_E_clISE_PmSF_SF_EESI_SY_SJ_SK_SL_EUlSY_E_NS1_11comp_targetILNS1_3genE10ELNS1_11target_archE1201ELNS1_3gpuE5ELNS1_3repE0EEENS1_48merge_mergepath_partition_config_static_selectorELNS0_4arch9wavefront6targetE0EEEvSK_.uses_flat_scratch, 0
	.set _ZN7rocprim17ROCPRIM_400000_NS6detail17trampoline_kernelINS0_14default_configENS1_38merge_sort_block_merge_config_selectorImNS0_10empty_typeEEEZZNS1_27merge_sort_block_merge_implIS3_N6thrust23THRUST_200600_302600_NS6detail15normal_iteratorINS9_10device_ptrImEEEEPS5_m11less_div_10ImEEE10hipError_tT0_T1_T2_jT3_P12ihipStream_tbPNSt15iterator_traitsISJ_E10value_typeEPNSP_ISK_E10value_typeEPSL_NS1_7vsmem_tEENKUlT_SJ_SK_SL_E_clISE_PmSF_SF_EESI_SY_SJ_SK_SL_EUlSY_E_NS1_11comp_targetILNS1_3genE10ELNS1_11target_archE1201ELNS1_3gpuE5ELNS1_3repE0EEENS1_48merge_mergepath_partition_config_static_selectorELNS0_4arch9wavefront6targetE0EEEvSK_.has_dyn_sized_stack, 0
	.set _ZN7rocprim17ROCPRIM_400000_NS6detail17trampoline_kernelINS0_14default_configENS1_38merge_sort_block_merge_config_selectorImNS0_10empty_typeEEEZZNS1_27merge_sort_block_merge_implIS3_N6thrust23THRUST_200600_302600_NS6detail15normal_iteratorINS9_10device_ptrImEEEEPS5_m11less_div_10ImEEE10hipError_tT0_T1_T2_jT3_P12ihipStream_tbPNSt15iterator_traitsISJ_E10value_typeEPNSP_ISK_E10value_typeEPSL_NS1_7vsmem_tEENKUlT_SJ_SK_SL_E_clISE_PmSF_SF_EESI_SY_SJ_SK_SL_EUlSY_E_NS1_11comp_targetILNS1_3genE10ELNS1_11target_archE1201ELNS1_3gpuE5ELNS1_3repE0EEENS1_48merge_mergepath_partition_config_static_selectorELNS0_4arch9wavefront6targetE0EEEvSK_.has_recursion, 0
	.set _ZN7rocprim17ROCPRIM_400000_NS6detail17trampoline_kernelINS0_14default_configENS1_38merge_sort_block_merge_config_selectorImNS0_10empty_typeEEEZZNS1_27merge_sort_block_merge_implIS3_N6thrust23THRUST_200600_302600_NS6detail15normal_iteratorINS9_10device_ptrImEEEEPS5_m11less_div_10ImEEE10hipError_tT0_T1_T2_jT3_P12ihipStream_tbPNSt15iterator_traitsISJ_E10value_typeEPNSP_ISK_E10value_typeEPSL_NS1_7vsmem_tEENKUlT_SJ_SK_SL_E_clISE_PmSF_SF_EESI_SY_SJ_SK_SL_EUlSY_E_NS1_11comp_targetILNS1_3genE10ELNS1_11target_archE1201ELNS1_3gpuE5ELNS1_3repE0EEENS1_48merge_mergepath_partition_config_static_selectorELNS0_4arch9wavefront6targetE0EEEvSK_.has_indirect_call, 0
	.section	.AMDGPU.csdata,"",@progbits
; Kernel info:
; codeLenInByte = 0
; TotalNumSgprs: 0
; NumVgprs: 0
; ScratchSize: 0
; MemoryBound: 0
; FloatMode: 240
; IeeeMode: 1
; LDSByteSize: 0 bytes/workgroup (compile time only)
; SGPRBlocks: 0
; VGPRBlocks: 0
; NumSGPRsForWavesPerEU: 1
; NumVGPRsForWavesPerEU: 1
; Occupancy: 16
; WaveLimiterHint : 0
; COMPUTE_PGM_RSRC2:SCRATCH_EN: 0
; COMPUTE_PGM_RSRC2:USER_SGPR: 6
; COMPUTE_PGM_RSRC2:TRAP_HANDLER: 0
; COMPUTE_PGM_RSRC2:TGID_X_EN: 1
; COMPUTE_PGM_RSRC2:TGID_Y_EN: 0
; COMPUTE_PGM_RSRC2:TGID_Z_EN: 0
; COMPUTE_PGM_RSRC2:TIDIG_COMP_CNT: 0
	.section	.text._ZN7rocprim17ROCPRIM_400000_NS6detail17trampoline_kernelINS0_14default_configENS1_38merge_sort_block_merge_config_selectorImNS0_10empty_typeEEEZZNS1_27merge_sort_block_merge_implIS3_N6thrust23THRUST_200600_302600_NS6detail15normal_iteratorINS9_10device_ptrImEEEEPS5_m11less_div_10ImEEE10hipError_tT0_T1_T2_jT3_P12ihipStream_tbPNSt15iterator_traitsISJ_E10value_typeEPNSP_ISK_E10value_typeEPSL_NS1_7vsmem_tEENKUlT_SJ_SK_SL_E_clISE_PmSF_SF_EESI_SY_SJ_SK_SL_EUlSY_E_NS1_11comp_targetILNS1_3genE5ELNS1_11target_archE942ELNS1_3gpuE9ELNS1_3repE0EEENS1_48merge_mergepath_partition_config_static_selectorELNS0_4arch9wavefront6targetE0EEEvSK_,"axG",@progbits,_ZN7rocprim17ROCPRIM_400000_NS6detail17trampoline_kernelINS0_14default_configENS1_38merge_sort_block_merge_config_selectorImNS0_10empty_typeEEEZZNS1_27merge_sort_block_merge_implIS3_N6thrust23THRUST_200600_302600_NS6detail15normal_iteratorINS9_10device_ptrImEEEEPS5_m11less_div_10ImEEE10hipError_tT0_T1_T2_jT3_P12ihipStream_tbPNSt15iterator_traitsISJ_E10value_typeEPNSP_ISK_E10value_typeEPSL_NS1_7vsmem_tEENKUlT_SJ_SK_SL_E_clISE_PmSF_SF_EESI_SY_SJ_SK_SL_EUlSY_E_NS1_11comp_targetILNS1_3genE5ELNS1_11target_archE942ELNS1_3gpuE9ELNS1_3repE0EEENS1_48merge_mergepath_partition_config_static_selectorELNS0_4arch9wavefront6targetE0EEEvSK_,comdat
	.protected	_ZN7rocprim17ROCPRIM_400000_NS6detail17trampoline_kernelINS0_14default_configENS1_38merge_sort_block_merge_config_selectorImNS0_10empty_typeEEEZZNS1_27merge_sort_block_merge_implIS3_N6thrust23THRUST_200600_302600_NS6detail15normal_iteratorINS9_10device_ptrImEEEEPS5_m11less_div_10ImEEE10hipError_tT0_T1_T2_jT3_P12ihipStream_tbPNSt15iterator_traitsISJ_E10value_typeEPNSP_ISK_E10value_typeEPSL_NS1_7vsmem_tEENKUlT_SJ_SK_SL_E_clISE_PmSF_SF_EESI_SY_SJ_SK_SL_EUlSY_E_NS1_11comp_targetILNS1_3genE5ELNS1_11target_archE942ELNS1_3gpuE9ELNS1_3repE0EEENS1_48merge_mergepath_partition_config_static_selectorELNS0_4arch9wavefront6targetE0EEEvSK_ ; -- Begin function _ZN7rocprim17ROCPRIM_400000_NS6detail17trampoline_kernelINS0_14default_configENS1_38merge_sort_block_merge_config_selectorImNS0_10empty_typeEEEZZNS1_27merge_sort_block_merge_implIS3_N6thrust23THRUST_200600_302600_NS6detail15normal_iteratorINS9_10device_ptrImEEEEPS5_m11less_div_10ImEEE10hipError_tT0_T1_T2_jT3_P12ihipStream_tbPNSt15iterator_traitsISJ_E10value_typeEPNSP_ISK_E10value_typeEPSL_NS1_7vsmem_tEENKUlT_SJ_SK_SL_E_clISE_PmSF_SF_EESI_SY_SJ_SK_SL_EUlSY_E_NS1_11comp_targetILNS1_3genE5ELNS1_11target_archE942ELNS1_3gpuE9ELNS1_3repE0EEENS1_48merge_mergepath_partition_config_static_selectorELNS0_4arch9wavefront6targetE0EEEvSK_
	.globl	_ZN7rocprim17ROCPRIM_400000_NS6detail17trampoline_kernelINS0_14default_configENS1_38merge_sort_block_merge_config_selectorImNS0_10empty_typeEEEZZNS1_27merge_sort_block_merge_implIS3_N6thrust23THRUST_200600_302600_NS6detail15normal_iteratorINS9_10device_ptrImEEEEPS5_m11less_div_10ImEEE10hipError_tT0_T1_T2_jT3_P12ihipStream_tbPNSt15iterator_traitsISJ_E10value_typeEPNSP_ISK_E10value_typeEPSL_NS1_7vsmem_tEENKUlT_SJ_SK_SL_E_clISE_PmSF_SF_EESI_SY_SJ_SK_SL_EUlSY_E_NS1_11comp_targetILNS1_3genE5ELNS1_11target_archE942ELNS1_3gpuE9ELNS1_3repE0EEENS1_48merge_mergepath_partition_config_static_selectorELNS0_4arch9wavefront6targetE0EEEvSK_
	.p2align	8
	.type	_ZN7rocprim17ROCPRIM_400000_NS6detail17trampoline_kernelINS0_14default_configENS1_38merge_sort_block_merge_config_selectorImNS0_10empty_typeEEEZZNS1_27merge_sort_block_merge_implIS3_N6thrust23THRUST_200600_302600_NS6detail15normal_iteratorINS9_10device_ptrImEEEEPS5_m11less_div_10ImEEE10hipError_tT0_T1_T2_jT3_P12ihipStream_tbPNSt15iterator_traitsISJ_E10value_typeEPNSP_ISK_E10value_typeEPSL_NS1_7vsmem_tEENKUlT_SJ_SK_SL_E_clISE_PmSF_SF_EESI_SY_SJ_SK_SL_EUlSY_E_NS1_11comp_targetILNS1_3genE5ELNS1_11target_archE942ELNS1_3gpuE9ELNS1_3repE0EEENS1_48merge_mergepath_partition_config_static_selectorELNS0_4arch9wavefront6targetE0EEEvSK_,@function
_ZN7rocprim17ROCPRIM_400000_NS6detail17trampoline_kernelINS0_14default_configENS1_38merge_sort_block_merge_config_selectorImNS0_10empty_typeEEEZZNS1_27merge_sort_block_merge_implIS3_N6thrust23THRUST_200600_302600_NS6detail15normal_iteratorINS9_10device_ptrImEEEEPS5_m11less_div_10ImEEE10hipError_tT0_T1_T2_jT3_P12ihipStream_tbPNSt15iterator_traitsISJ_E10value_typeEPNSP_ISK_E10value_typeEPSL_NS1_7vsmem_tEENKUlT_SJ_SK_SL_E_clISE_PmSF_SF_EESI_SY_SJ_SK_SL_EUlSY_E_NS1_11comp_targetILNS1_3genE5ELNS1_11target_archE942ELNS1_3gpuE9ELNS1_3repE0EEENS1_48merge_mergepath_partition_config_static_selectorELNS0_4arch9wavefront6targetE0EEEvSK_: ; @_ZN7rocprim17ROCPRIM_400000_NS6detail17trampoline_kernelINS0_14default_configENS1_38merge_sort_block_merge_config_selectorImNS0_10empty_typeEEEZZNS1_27merge_sort_block_merge_implIS3_N6thrust23THRUST_200600_302600_NS6detail15normal_iteratorINS9_10device_ptrImEEEEPS5_m11less_div_10ImEEE10hipError_tT0_T1_T2_jT3_P12ihipStream_tbPNSt15iterator_traitsISJ_E10value_typeEPNSP_ISK_E10value_typeEPSL_NS1_7vsmem_tEENKUlT_SJ_SK_SL_E_clISE_PmSF_SF_EESI_SY_SJ_SK_SL_EUlSY_E_NS1_11comp_targetILNS1_3genE5ELNS1_11target_archE942ELNS1_3gpuE9ELNS1_3repE0EEENS1_48merge_mergepath_partition_config_static_selectorELNS0_4arch9wavefront6targetE0EEEvSK_
; %bb.0:
	.section	.rodata,"a",@progbits
	.p2align	6, 0x0
	.amdhsa_kernel _ZN7rocprim17ROCPRIM_400000_NS6detail17trampoline_kernelINS0_14default_configENS1_38merge_sort_block_merge_config_selectorImNS0_10empty_typeEEEZZNS1_27merge_sort_block_merge_implIS3_N6thrust23THRUST_200600_302600_NS6detail15normal_iteratorINS9_10device_ptrImEEEEPS5_m11less_div_10ImEEE10hipError_tT0_T1_T2_jT3_P12ihipStream_tbPNSt15iterator_traitsISJ_E10value_typeEPNSP_ISK_E10value_typeEPSL_NS1_7vsmem_tEENKUlT_SJ_SK_SL_E_clISE_PmSF_SF_EESI_SY_SJ_SK_SL_EUlSY_E_NS1_11comp_targetILNS1_3genE5ELNS1_11target_archE942ELNS1_3gpuE9ELNS1_3repE0EEENS1_48merge_mergepath_partition_config_static_selectorELNS0_4arch9wavefront6targetE0EEEvSK_
		.amdhsa_group_segment_fixed_size 0
		.amdhsa_private_segment_fixed_size 0
		.amdhsa_kernarg_size 48
		.amdhsa_user_sgpr_count 6
		.amdhsa_user_sgpr_private_segment_buffer 1
		.amdhsa_user_sgpr_dispatch_ptr 0
		.amdhsa_user_sgpr_queue_ptr 0
		.amdhsa_user_sgpr_kernarg_segment_ptr 1
		.amdhsa_user_sgpr_dispatch_id 0
		.amdhsa_user_sgpr_flat_scratch_init 0
		.amdhsa_user_sgpr_private_segment_size 0
		.amdhsa_wavefront_size32 1
		.amdhsa_uses_dynamic_stack 0
		.amdhsa_system_sgpr_private_segment_wavefront_offset 0
		.amdhsa_system_sgpr_workgroup_id_x 1
		.amdhsa_system_sgpr_workgroup_id_y 0
		.amdhsa_system_sgpr_workgroup_id_z 0
		.amdhsa_system_sgpr_workgroup_info 0
		.amdhsa_system_vgpr_workitem_id 0
		.amdhsa_next_free_vgpr 1
		.amdhsa_next_free_sgpr 1
		.amdhsa_reserve_vcc 0
		.amdhsa_reserve_flat_scratch 0
		.amdhsa_float_round_mode_32 0
		.amdhsa_float_round_mode_16_64 0
		.amdhsa_float_denorm_mode_32 3
		.amdhsa_float_denorm_mode_16_64 3
		.amdhsa_dx10_clamp 1
		.amdhsa_ieee_mode 1
		.amdhsa_fp16_overflow 0
		.amdhsa_workgroup_processor_mode 1
		.amdhsa_memory_ordered 1
		.amdhsa_forward_progress 1
		.amdhsa_shared_vgpr_count 0
		.amdhsa_exception_fp_ieee_invalid_op 0
		.amdhsa_exception_fp_denorm_src 0
		.amdhsa_exception_fp_ieee_div_zero 0
		.amdhsa_exception_fp_ieee_overflow 0
		.amdhsa_exception_fp_ieee_underflow 0
		.amdhsa_exception_fp_ieee_inexact 0
		.amdhsa_exception_int_div_zero 0
	.end_amdhsa_kernel
	.section	.text._ZN7rocprim17ROCPRIM_400000_NS6detail17trampoline_kernelINS0_14default_configENS1_38merge_sort_block_merge_config_selectorImNS0_10empty_typeEEEZZNS1_27merge_sort_block_merge_implIS3_N6thrust23THRUST_200600_302600_NS6detail15normal_iteratorINS9_10device_ptrImEEEEPS5_m11less_div_10ImEEE10hipError_tT0_T1_T2_jT3_P12ihipStream_tbPNSt15iterator_traitsISJ_E10value_typeEPNSP_ISK_E10value_typeEPSL_NS1_7vsmem_tEENKUlT_SJ_SK_SL_E_clISE_PmSF_SF_EESI_SY_SJ_SK_SL_EUlSY_E_NS1_11comp_targetILNS1_3genE5ELNS1_11target_archE942ELNS1_3gpuE9ELNS1_3repE0EEENS1_48merge_mergepath_partition_config_static_selectorELNS0_4arch9wavefront6targetE0EEEvSK_,"axG",@progbits,_ZN7rocprim17ROCPRIM_400000_NS6detail17trampoline_kernelINS0_14default_configENS1_38merge_sort_block_merge_config_selectorImNS0_10empty_typeEEEZZNS1_27merge_sort_block_merge_implIS3_N6thrust23THRUST_200600_302600_NS6detail15normal_iteratorINS9_10device_ptrImEEEEPS5_m11less_div_10ImEEE10hipError_tT0_T1_T2_jT3_P12ihipStream_tbPNSt15iterator_traitsISJ_E10value_typeEPNSP_ISK_E10value_typeEPSL_NS1_7vsmem_tEENKUlT_SJ_SK_SL_E_clISE_PmSF_SF_EESI_SY_SJ_SK_SL_EUlSY_E_NS1_11comp_targetILNS1_3genE5ELNS1_11target_archE942ELNS1_3gpuE9ELNS1_3repE0EEENS1_48merge_mergepath_partition_config_static_selectorELNS0_4arch9wavefront6targetE0EEEvSK_,comdat
.Lfunc_end643:
	.size	_ZN7rocprim17ROCPRIM_400000_NS6detail17trampoline_kernelINS0_14default_configENS1_38merge_sort_block_merge_config_selectorImNS0_10empty_typeEEEZZNS1_27merge_sort_block_merge_implIS3_N6thrust23THRUST_200600_302600_NS6detail15normal_iteratorINS9_10device_ptrImEEEEPS5_m11less_div_10ImEEE10hipError_tT0_T1_T2_jT3_P12ihipStream_tbPNSt15iterator_traitsISJ_E10value_typeEPNSP_ISK_E10value_typeEPSL_NS1_7vsmem_tEENKUlT_SJ_SK_SL_E_clISE_PmSF_SF_EESI_SY_SJ_SK_SL_EUlSY_E_NS1_11comp_targetILNS1_3genE5ELNS1_11target_archE942ELNS1_3gpuE9ELNS1_3repE0EEENS1_48merge_mergepath_partition_config_static_selectorELNS0_4arch9wavefront6targetE0EEEvSK_, .Lfunc_end643-_ZN7rocprim17ROCPRIM_400000_NS6detail17trampoline_kernelINS0_14default_configENS1_38merge_sort_block_merge_config_selectorImNS0_10empty_typeEEEZZNS1_27merge_sort_block_merge_implIS3_N6thrust23THRUST_200600_302600_NS6detail15normal_iteratorINS9_10device_ptrImEEEEPS5_m11less_div_10ImEEE10hipError_tT0_T1_T2_jT3_P12ihipStream_tbPNSt15iterator_traitsISJ_E10value_typeEPNSP_ISK_E10value_typeEPSL_NS1_7vsmem_tEENKUlT_SJ_SK_SL_E_clISE_PmSF_SF_EESI_SY_SJ_SK_SL_EUlSY_E_NS1_11comp_targetILNS1_3genE5ELNS1_11target_archE942ELNS1_3gpuE9ELNS1_3repE0EEENS1_48merge_mergepath_partition_config_static_selectorELNS0_4arch9wavefront6targetE0EEEvSK_
                                        ; -- End function
	.set _ZN7rocprim17ROCPRIM_400000_NS6detail17trampoline_kernelINS0_14default_configENS1_38merge_sort_block_merge_config_selectorImNS0_10empty_typeEEEZZNS1_27merge_sort_block_merge_implIS3_N6thrust23THRUST_200600_302600_NS6detail15normal_iteratorINS9_10device_ptrImEEEEPS5_m11less_div_10ImEEE10hipError_tT0_T1_T2_jT3_P12ihipStream_tbPNSt15iterator_traitsISJ_E10value_typeEPNSP_ISK_E10value_typeEPSL_NS1_7vsmem_tEENKUlT_SJ_SK_SL_E_clISE_PmSF_SF_EESI_SY_SJ_SK_SL_EUlSY_E_NS1_11comp_targetILNS1_3genE5ELNS1_11target_archE942ELNS1_3gpuE9ELNS1_3repE0EEENS1_48merge_mergepath_partition_config_static_selectorELNS0_4arch9wavefront6targetE0EEEvSK_.num_vgpr, 0
	.set _ZN7rocprim17ROCPRIM_400000_NS6detail17trampoline_kernelINS0_14default_configENS1_38merge_sort_block_merge_config_selectorImNS0_10empty_typeEEEZZNS1_27merge_sort_block_merge_implIS3_N6thrust23THRUST_200600_302600_NS6detail15normal_iteratorINS9_10device_ptrImEEEEPS5_m11less_div_10ImEEE10hipError_tT0_T1_T2_jT3_P12ihipStream_tbPNSt15iterator_traitsISJ_E10value_typeEPNSP_ISK_E10value_typeEPSL_NS1_7vsmem_tEENKUlT_SJ_SK_SL_E_clISE_PmSF_SF_EESI_SY_SJ_SK_SL_EUlSY_E_NS1_11comp_targetILNS1_3genE5ELNS1_11target_archE942ELNS1_3gpuE9ELNS1_3repE0EEENS1_48merge_mergepath_partition_config_static_selectorELNS0_4arch9wavefront6targetE0EEEvSK_.num_agpr, 0
	.set _ZN7rocprim17ROCPRIM_400000_NS6detail17trampoline_kernelINS0_14default_configENS1_38merge_sort_block_merge_config_selectorImNS0_10empty_typeEEEZZNS1_27merge_sort_block_merge_implIS3_N6thrust23THRUST_200600_302600_NS6detail15normal_iteratorINS9_10device_ptrImEEEEPS5_m11less_div_10ImEEE10hipError_tT0_T1_T2_jT3_P12ihipStream_tbPNSt15iterator_traitsISJ_E10value_typeEPNSP_ISK_E10value_typeEPSL_NS1_7vsmem_tEENKUlT_SJ_SK_SL_E_clISE_PmSF_SF_EESI_SY_SJ_SK_SL_EUlSY_E_NS1_11comp_targetILNS1_3genE5ELNS1_11target_archE942ELNS1_3gpuE9ELNS1_3repE0EEENS1_48merge_mergepath_partition_config_static_selectorELNS0_4arch9wavefront6targetE0EEEvSK_.numbered_sgpr, 0
	.set _ZN7rocprim17ROCPRIM_400000_NS6detail17trampoline_kernelINS0_14default_configENS1_38merge_sort_block_merge_config_selectorImNS0_10empty_typeEEEZZNS1_27merge_sort_block_merge_implIS3_N6thrust23THRUST_200600_302600_NS6detail15normal_iteratorINS9_10device_ptrImEEEEPS5_m11less_div_10ImEEE10hipError_tT0_T1_T2_jT3_P12ihipStream_tbPNSt15iterator_traitsISJ_E10value_typeEPNSP_ISK_E10value_typeEPSL_NS1_7vsmem_tEENKUlT_SJ_SK_SL_E_clISE_PmSF_SF_EESI_SY_SJ_SK_SL_EUlSY_E_NS1_11comp_targetILNS1_3genE5ELNS1_11target_archE942ELNS1_3gpuE9ELNS1_3repE0EEENS1_48merge_mergepath_partition_config_static_selectorELNS0_4arch9wavefront6targetE0EEEvSK_.num_named_barrier, 0
	.set _ZN7rocprim17ROCPRIM_400000_NS6detail17trampoline_kernelINS0_14default_configENS1_38merge_sort_block_merge_config_selectorImNS0_10empty_typeEEEZZNS1_27merge_sort_block_merge_implIS3_N6thrust23THRUST_200600_302600_NS6detail15normal_iteratorINS9_10device_ptrImEEEEPS5_m11less_div_10ImEEE10hipError_tT0_T1_T2_jT3_P12ihipStream_tbPNSt15iterator_traitsISJ_E10value_typeEPNSP_ISK_E10value_typeEPSL_NS1_7vsmem_tEENKUlT_SJ_SK_SL_E_clISE_PmSF_SF_EESI_SY_SJ_SK_SL_EUlSY_E_NS1_11comp_targetILNS1_3genE5ELNS1_11target_archE942ELNS1_3gpuE9ELNS1_3repE0EEENS1_48merge_mergepath_partition_config_static_selectorELNS0_4arch9wavefront6targetE0EEEvSK_.private_seg_size, 0
	.set _ZN7rocprim17ROCPRIM_400000_NS6detail17trampoline_kernelINS0_14default_configENS1_38merge_sort_block_merge_config_selectorImNS0_10empty_typeEEEZZNS1_27merge_sort_block_merge_implIS3_N6thrust23THRUST_200600_302600_NS6detail15normal_iteratorINS9_10device_ptrImEEEEPS5_m11less_div_10ImEEE10hipError_tT0_T1_T2_jT3_P12ihipStream_tbPNSt15iterator_traitsISJ_E10value_typeEPNSP_ISK_E10value_typeEPSL_NS1_7vsmem_tEENKUlT_SJ_SK_SL_E_clISE_PmSF_SF_EESI_SY_SJ_SK_SL_EUlSY_E_NS1_11comp_targetILNS1_3genE5ELNS1_11target_archE942ELNS1_3gpuE9ELNS1_3repE0EEENS1_48merge_mergepath_partition_config_static_selectorELNS0_4arch9wavefront6targetE0EEEvSK_.uses_vcc, 0
	.set _ZN7rocprim17ROCPRIM_400000_NS6detail17trampoline_kernelINS0_14default_configENS1_38merge_sort_block_merge_config_selectorImNS0_10empty_typeEEEZZNS1_27merge_sort_block_merge_implIS3_N6thrust23THRUST_200600_302600_NS6detail15normal_iteratorINS9_10device_ptrImEEEEPS5_m11less_div_10ImEEE10hipError_tT0_T1_T2_jT3_P12ihipStream_tbPNSt15iterator_traitsISJ_E10value_typeEPNSP_ISK_E10value_typeEPSL_NS1_7vsmem_tEENKUlT_SJ_SK_SL_E_clISE_PmSF_SF_EESI_SY_SJ_SK_SL_EUlSY_E_NS1_11comp_targetILNS1_3genE5ELNS1_11target_archE942ELNS1_3gpuE9ELNS1_3repE0EEENS1_48merge_mergepath_partition_config_static_selectorELNS0_4arch9wavefront6targetE0EEEvSK_.uses_flat_scratch, 0
	.set _ZN7rocprim17ROCPRIM_400000_NS6detail17trampoline_kernelINS0_14default_configENS1_38merge_sort_block_merge_config_selectorImNS0_10empty_typeEEEZZNS1_27merge_sort_block_merge_implIS3_N6thrust23THRUST_200600_302600_NS6detail15normal_iteratorINS9_10device_ptrImEEEEPS5_m11less_div_10ImEEE10hipError_tT0_T1_T2_jT3_P12ihipStream_tbPNSt15iterator_traitsISJ_E10value_typeEPNSP_ISK_E10value_typeEPSL_NS1_7vsmem_tEENKUlT_SJ_SK_SL_E_clISE_PmSF_SF_EESI_SY_SJ_SK_SL_EUlSY_E_NS1_11comp_targetILNS1_3genE5ELNS1_11target_archE942ELNS1_3gpuE9ELNS1_3repE0EEENS1_48merge_mergepath_partition_config_static_selectorELNS0_4arch9wavefront6targetE0EEEvSK_.has_dyn_sized_stack, 0
	.set _ZN7rocprim17ROCPRIM_400000_NS6detail17trampoline_kernelINS0_14default_configENS1_38merge_sort_block_merge_config_selectorImNS0_10empty_typeEEEZZNS1_27merge_sort_block_merge_implIS3_N6thrust23THRUST_200600_302600_NS6detail15normal_iteratorINS9_10device_ptrImEEEEPS5_m11less_div_10ImEEE10hipError_tT0_T1_T2_jT3_P12ihipStream_tbPNSt15iterator_traitsISJ_E10value_typeEPNSP_ISK_E10value_typeEPSL_NS1_7vsmem_tEENKUlT_SJ_SK_SL_E_clISE_PmSF_SF_EESI_SY_SJ_SK_SL_EUlSY_E_NS1_11comp_targetILNS1_3genE5ELNS1_11target_archE942ELNS1_3gpuE9ELNS1_3repE0EEENS1_48merge_mergepath_partition_config_static_selectorELNS0_4arch9wavefront6targetE0EEEvSK_.has_recursion, 0
	.set _ZN7rocprim17ROCPRIM_400000_NS6detail17trampoline_kernelINS0_14default_configENS1_38merge_sort_block_merge_config_selectorImNS0_10empty_typeEEEZZNS1_27merge_sort_block_merge_implIS3_N6thrust23THRUST_200600_302600_NS6detail15normal_iteratorINS9_10device_ptrImEEEEPS5_m11less_div_10ImEEE10hipError_tT0_T1_T2_jT3_P12ihipStream_tbPNSt15iterator_traitsISJ_E10value_typeEPNSP_ISK_E10value_typeEPSL_NS1_7vsmem_tEENKUlT_SJ_SK_SL_E_clISE_PmSF_SF_EESI_SY_SJ_SK_SL_EUlSY_E_NS1_11comp_targetILNS1_3genE5ELNS1_11target_archE942ELNS1_3gpuE9ELNS1_3repE0EEENS1_48merge_mergepath_partition_config_static_selectorELNS0_4arch9wavefront6targetE0EEEvSK_.has_indirect_call, 0
	.section	.AMDGPU.csdata,"",@progbits
; Kernel info:
; codeLenInByte = 0
; TotalNumSgprs: 0
; NumVgprs: 0
; ScratchSize: 0
; MemoryBound: 0
; FloatMode: 240
; IeeeMode: 1
; LDSByteSize: 0 bytes/workgroup (compile time only)
; SGPRBlocks: 0
; VGPRBlocks: 0
; NumSGPRsForWavesPerEU: 1
; NumVGPRsForWavesPerEU: 1
; Occupancy: 16
; WaveLimiterHint : 0
; COMPUTE_PGM_RSRC2:SCRATCH_EN: 0
; COMPUTE_PGM_RSRC2:USER_SGPR: 6
; COMPUTE_PGM_RSRC2:TRAP_HANDLER: 0
; COMPUTE_PGM_RSRC2:TGID_X_EN: 1
; COMPUTE_PGM_RSRC2:TGID_Y_EN: 0
; COMPUTE_PGM_RSRC2:TGID_Z_EN: 0
; COMPUTE_PGM_RSRC2:TIDIG_COMP_CNT: 0
	.section	.text._ZN7rocprim17ROCPRIM_400000_NS6detail17trampoline_kernelINS0_14default_configENS1_38merge_sort_block_merge_config_selectorImNS0_10empty_typeEEEZZNS1_27merge_sort_block_merge_implIS3_N6thrust23THRUST_200600_302600_NS6detail15normal_iteratorINS9_10device_ptrImEEEEPS5_m11less_div_10ImEEE10hipError_tT0_T1_T2_jT3_P12ihipStream_tbPNSt15iterator_traitsISJ_E10value_typeEPNSP_ISK_E10value_typeEPSL_NS1_7vsmem_tEENKUlT_SJ_SK_SL_E_clISE_PmSF_SF_EESI_SY_SJ_SK_SL_EUlSY_E_NS1_11comp_targetILNS1_3genE4ELNS1_11target_archE910ELNS1_3gpuE8ELNS1_3repE0EEENS1_48merge_mergepath_partition_config_static_selectorELNS0_4arch9wavefront6targetE0EEEvSK_,"axG",@progbits,_ZN7rocprim17ROCPRIM_400000_NS6detail17trampoline_kernelINS0_14default_configENS1_38merge_sort_block_merge_config_selectorImNS0_10empty_typeEEEZZNS1_27merge_sort_block_merge_implIS3_N6thrust23THRUST_200600_302600_NS6detail15normal_iteratorINS9_10device_ptrImEEEEPS5_m11less_div_10ImEEE10hipError_tT0_T1_T2_jT3_P12ihipStream_tbPNSt15iterator_traitsISJ_E10value_typeEPNSP_ISK_E10value_typeEPSL_NS1_7vsmem_tEENKUlT_SJ_SK_SL_E_clISE_PmSF_SF_EESI_SY_SJ_SK_SL_EUlSY_E_NS1_11comp_targetILNS1_3genE4ELNS1_11target_archE910ELNS1_3gpuE8ELNS1_3repE0EEENS1_48merge_mergepath_partition_config_static_selectorELNS0_4arch9wavefront6targetE0EEEvSK_,comdat
	.protected	_ZN7rocprim17ROCPRIM_400000_NS6detail17trampoline_kernelINS0_14default_configENS1_38merge_sort_block_merge_config_selectorImNS0_10empty_typeEEEZZNS1_27merge_sort_block_merge_implIS3_N6thrust23THRUST_200600_302600_NS6detail15normal_iteratorINS9_10device_ptrImEEEEPS5_m11less_div_10ImEEE10hipError_tT0_T1_T2_jT3_P12ihipStream_tbPNSt15iterator_traitsISJ_E10value_typeEPNSP_ISK_E10value_typeEPSL_NS1_7vsmem_tEENKUlT_SJ_SK_SL_E_clISE_PmSF_SF_EESI_SY_SJ_SK_SL_EUlSY_E_NS1_11comp_targetILNS1_3genE4ELNS1_11target_archE910ELNS1_3gpuE8ELNS1_3repE0EEENS1_48merge_mergepath_partition_config_static_selectorELNS0_4arch9wavefront6targetE0EEEvSK_ ; -- Begin function _ZN7rocprim17ROCPRIM_400000_NS6detail17trampoline_kernelINS0_14default_configENS1_38merge_sort_block_merge_config_selectorImNS0_10empty_typeEEEZZNS1_27merge_sort_block_merge_implIS3_N6thrust23THRUST_200600_302600_NS6detail15normal_iteratorINS9_10device_ptrImEEEEPS5_m11less_div_10ImEEE10hipError_tT0_T1_T2_jT3_P12ihipStream_tbPNSt15iterator_traitsISJ_E10value_typeEPNSP_ISK_E10value_typeEPSL_NS1_7vsmem_tEENKUlT_SJ_SK_SL_E_clISE_PmSF_SF_EESI_SY_SJ_SK_SL_EUlSY_E_NS1_11comp_targetILNS1_3genE4ELNS1_11target_archE910ELNS1_3gpuE8ELNS1_3repE0EEENS1_48merge_mergepath_partition_config_static_selectorELNS0_4arch9wavefront6targetE0EEEvSK_
	.globl	_ZN7rocprim17ROCPRIM_400000_NS6detail17trampoline_kernelINS0_14default_configENS1_38merge_sort_block_merge_config_selectorImNS0_10empty_typeEEEZZNS1_27merge_sort_block_merge_implIS3_N6thrust23THRUST_200600_302600_NS6detail15normal_iteratorINS9_10device_ptrImEEEEPS5_m11less_div_10ImEEE10hipError_tT0_T1_T2_jT3_P12ihipStream_tbPNSt15iterator_traitsISJ_E10value_typeEPNSP_ISK_E10value_typeEPSL_NS1_7vsmem_tEENKUlT_SJ_SK_SL_E_clISE_PmSF_SF_EESI_SY_SJ_SK_SL_EUlSY_E_NS1_11comp_targetILNS1_3genE4ELNS1_11target_archE910ELNS1_3gpuE8ELNS1_3repE0EEENS1_48merge_mergepath_partition_config_static_selectorELNS0_4arch9wavefront6targetE0EEEvSK_
	.p2align	8
	.type	_ZN7rocprim17ROCPRIM_400000_NS6detail17trampoline_kernelINS0_14default_configENS1_38merge_sort_block_merge_config_selectorImNS0_10empty_typeEEEZZNS1_27merge_sort_block_merge_implIS3_N6thrust23THRUST_200600_302600_NS6detail15normal_iteratorINS9_10device_ptrImEEEEPS5_m11less_div_10ImEEE10hipError_tT0_T1_T2_jT3_P12ihipStream_tbPNSt15iterator_traitsISJ_E10value_typeEPNSP_ISK_E10value_typeEPSL_NS1_7vsmem_tEENKUlT_SJ_SK_SL_E_clISE_PmSF_SF_EESI_SY_SJ_SK_SL_EUlSY_E_NS1_11comp_targetILNS1_3genE4ELNS1_11target_archE910ELNS1_3gpuE8ELNS1_3repE0EEENS1_48merge_mergepath_partition_config_static_selectorELNS0_4arch9wavefront6targetE0EEEvSK_,@function
_ZN7rocprim17ROCPRIM_400000_NS6detail17trampoline_kernelINS0_14default_configENS1_38merge_sort_block_merge_config_selectorImNS0_10empty_typeEEEZZNS1_27merge_sort_block_merge_implIS3_N6thrust23THRUST_200600_302600_NS6detail15normal_iteratorINS9_10device_ptrImEEEEPS5_m11less_div_10ImEEE10hipError_tT0_T1_T2_jT3_P12ihipStream_tbPNSt15iterator_traitsISJ_E10value_typeEPNSP_ISK_E10value_typeEPSL_NS1_7vsmem_tEENKUlT_SJ_SK_SL_E_clISE_PmSF_SF_EESI_SY_SJ_SK_SL_EUlSY_E_NS1_11comp_targetILNS1_3genE4ELNS1_11target_archE910ELNS1_3gpuE8ELNS1_3repE0EEENS1_48merge_mergepath_partition_config_static_selectorELNS0_4arch9wavefront6targetE0EEEvSK_: ; @_ZN7rocprim17ROCPRIM_400000_NS6detail17trampoline_kernelINS0_14default_configENS1_38merge_sort_block_merge_config_selectorImNS0_10empty_typeEEEZZNS1_27merge_sort_block_merge_implIS3_N6thrust23THRUST_200600_302600_NS6detail15normal_iteratorINS9_10device_ptrImEEEEPS5_m11less_div_10ImEEE10hipError_tT0_T1_T2_jT3_P12ihipStream_tbPNSt15iterator_traitsISJ_E10value_typeEPNSP_ISK_E10value_typeEPSL_NS1_7vsmem_tEENKUlT_SJ_SK_SL_E_clISE_PmSF_SF_EESI_SY_SJ_SK_SL_EUlSY_E_NS1_11comp_targetILNS1_3genE4ELNS1_11target_archE910ELNS1_3gpuE8ELNS1_3repE0EEENS1_48merge_mergepath_partition_config_static_selectorELNS0_4arch9wavefront6targetE0EEEvSK_
; %bb.0:
	.section	.rodata,"a",@progbits
	.p2align	6, 0x0
	.amdhsa_kernel _ZN7rocprim17ROCPRIM_400000_NS6detail17trampoline_kernelINS0_14default_configENS1_38merge_sort_block_merge_config_selectorImNS0_10empty_typeEEEZZNS1_27merge_sort_block_merge_implIS3_N6thrust23THRUST_200600_302600_NS6detail15normal_iteratorINS9_10device_ptrImEEEEPS5_m11less_div_10ImEEE10hipError_tT0_T1_T2_jT3_P12ihipStream_tbPNSt15iterator_traitsISJ_E10value_typeEPNSP_ISK_E10value_typeEPSL_NS1_7vsmem_tEENKUlT_SJ_SK_SL_E_clISE_PmSF_SF_EESI_SY_SJ_SK_SL_EUlSY_E_NS1_11comp_targetILNS1_3genE4ELNS1_11target_archE910ELNS1_3gpuE8ELNS1_3repE0EEENS1_48merge_mergepath_partition_config_static_selectorELNS0_4arch9wavefront6targetE0EEEvSK_
		.amdhsa_group_segment_fixed_size 0
		.amdhsa_private_segment_fixed_size 0
		.amdhsa_kernarg_size 48
		.amdhsa_user_sgpr_count 6
		.amdhsa_user_sgpr_private_segment_buffer 1
		.amdhsa_user_sgpr_dispatch_ptr 0
		.amdhsa_user_sgpr_queue_ptr 0
		.amdhsa_user_sgpr_kernarg_segment_ptr 1
		.amdhsa_user_sgpr_dispatch_id 0
		.amdhsa_user_sgpr_flat_scratch_init 0
		.amdhsa_user_sgpr_private_segment_size 0
		.amdhsa_wavefront_size32 1
		.amdhsa_uses_dynamic_stack 0
		.amdhsa_system_sgpr_private_segment_wavefront_offset 0
		.amdhsa_system_sgpr_workgroup_id_x 1
		.amdhsa_system_sgpr_workgroup_id_y 0
		.amdhsa_system_sgpr_workgroup_id_z 0
		.amdhsa_system_sgpr_workgroup_info 0
		.amdhsa_system_vgpr_workitem_id 0
		.amdhsa_next_free_vgpr 1
		.amdhsa_next_free_sgpr 1
		.amdhsa_reserve_vcc 0
		.amdhsa_reserve_flat_scratch 0
		.amdhsa_float_round_mode_32 0
		.amdhsa_float_round_mode_16_64 0
		.amdhsa_float_denorm_mode_32 3
		.amdhsa_float_denorm_mode_16_64 3
		.amdhsa_dx10_clamp 1
		.amdhsa_ieee_mode 1
		.amdhsa_fp16_overflow 0
		.amdhsa_workgroup_processor_mode 1
		.amdhsa_memory_ordered 1
		.amdhsa_forward_progress 1
		.amdhsa_shared_vgpr_count 0
		.amdhsa_exception_fp_ieee_invalid_op 0
		.amdhsa_exception_fp_denorm_src 0
		.amdhsa_exception_fp_ieee_div_zero 0
		.amdhsa_exception_fp_ieee_overflow 0
		.amdhsa_exception_fp_ieee_underflow 0
		.amdhsa_exception_fp_ieee_inexact 0
		.amdhsa_exception_int_div_zero 0
	.end_amdhsa_kernel
	.section	.text._ZN7rocprim17ROCPRIM_400000_NS6detail17trampoline_kernelINS0_14default_configENS1_38merge_sort_block_merge_config_selectorImNS0_10empty_typeEEEZZNS1_27merge_sort_block_merge_implIS3_N6thrust23THRUST_200600_302600_NS6detail15normal_iteratorINS9_10device_ptrImEEEEPS5_m11less_div_10ImEEE10hipError_tT0_T1_T2_jT3_P12ihipStream_tbPNSt15iterator_traitsISJ_E10value_typeEPNSP_ISK_E10value_typeEPSL_NS1_7vsmem_tEENKUlT_SJ_SK_SL_E_clISE_PmSF_SF_EESI_SY_SJ_SK_SL_EUlSY_E_NS1_11comp_targetILNS1_3genE4ELNS1_11target_archE910ELNS1_3gpuE8ELNS1_3repE0EEENS1_48merge_mergepath_partition_config_static_selectorELNS0_4arch9wavefront6targetE0EEEvSK_,"axG",@progbits,_ZN7rocprim17ROCPRIM_400000_NS6detail17trampoline_kernelINS0_14default_configENS1_38merge_sort_block_merge_config_selectorImNS0_10empty_typeEEEZZNS1_27merge_sort_block_merge_implIS3_N6thrust23THRUST_200600_302600_NS6detail15normal_iteratorINS9_10device_ptrImEEEEPS5_m11less_div_10ImEEE10hipError_tT0_T1_T2_jT3_P12ihipStream_tbPNSt15iterator_traitsISJ_E10value_typeEPNSP_ISK_E10value_typeEPSL_NS1_7vsmem_tEENKUlT_SJ_SK_SL_E_clISE_PmSF_SF_EESI_SY_SJ_SK_SL_EUlSY_E_NS1_11comp_targetILNS1_3genE4ELNS1_11target_archE910ELNS1_3gpuE8ELNS1_3repE0EEENS1_48merge_mergepath_partition_config_static_selectorELNS0_4arch9wavefront6targetE0EEEvSK_,comdat
.Lfunc_end644:
	.size	_ZN7rocprim17ROCPRIM_400000_NS6detail17trampoline_kernelINS0_14default_configENS1_38merge_sort_block_merge_config_selectorImNS0_10empty_typeEEEZZNS1_27merge_sort_block_merge_implIS3_N6thrust23THRUST_200600_302600_NS6detail15normal_iteratorINS9_10device_ptrImEEEEPS5_m11less_div_10ImEEE10hipError_tT0_T1_T2_jT3_P12ihipStream_tbPNSt15iterator_traitsISJ_E10value_typeEPNSP_ISK_E10value_typeEPSL_NS1_7vsmem_tEENKUlT_SJ_SK_SL_E_clISE_PmSF_SF_EESI_SY_SJ_SK_SL_EUlSY_E_NS1_11comp_targetILNS1_3genE4ELNS1_11target_archE910ELNS1_3gpuE8ELNS1_3repE0EEENS1_48merge_mergepath_partition_config_static_selectorELNS0_4arch9wavefront6targetE0EEEvSK_, .Lfunc_end644-_ZN7rocprim17ROCPRIM_400000_NS6detail17trampoline_kernelINS0_14default_configENS1_38merge_sort_block_merge_config_selectorImNS0_10empty_typeEEEZZNS1_27merge_sort_block_merge_implIS3_N6thrust23THRUST_200600_302600_NS6detail15normal_iteratorINS9_10device_ptrImEEEEPS5_m11less_div_10ImEEE10hipError_tT0_T1_T2_jT3_P12ihipStream_tbPNSt15iterator_traitsISJ_E10value_typeEPNSP_ISK_E10value_typeEPSL_NS1_7vsmem_tEENKUlT_SJ_SK_SL_E_clISE_PmSF_SF_EESI_SY_SJ_SK_SL_EUlSY_E_NS1_11comp_targetILNS1_3genE4ELNS1_11target_archE910ELNS1_3gpuE8ELNS1_3repE0EEENS1_48merge_mergepath_partition_config_static_selectorELNS0_4arch9wavefront6targetE0EEEvSK_
                                        ; -- End function
	.set _ZN7rocprim17ROCPRIM_400000_NS6detail17trampoline_kernelINS0_14default_configENS1_38merge_sort_block_merge_config_selectorImNS0_10empty_typeEEEZZNS1_27merge_sort_block_merge_implIS3_N6thrust23THRUST_200600_302600_NS6detail15normal_iteratorINS9_10device_ptrImEEEEPS5_m11less_div_10ImEEE10hipError_tT0_T1_T2_jT3_P12ihipStream_tbPNSt15iterator_traitsISJ_E10value_typeEPNSP_ISK_E10value_typeEPSL_NS1_7vsmem_tEENKUlT_SJ_SK_SL_E_clISE_PmSF_SF_EESI_SY_SJ_SK_SL_EUlSY_E_NS1_11comp_targetILNS1_3genE4ELNS1_11target_archE910ELNS1_3gpuE8ELNS1_3repE0EEENS1_48merge_mergepath_partition_config_static_selectorELNS0_4arch9wavefront6targetE0EEEvSK_.num_vgpr, 0
	.set _ZN7rocprim17ROCPRIM_400000_NS6detail17trampoline_kernelINS0_14default_configENS1_38merge_sort_block_merge_config_selectorImNS0_10empty_typeEEEZZNS1_27merge_sort_block_merge_implIS3_N6thrust23THRUST_200600_302600_NS6detail15normal_iteratorINS9_10device_ptrImEEEEPS5_m11less_div_10ImEEE10hipError_tT0_T1_T2_jT3_P12ihipStream_tbPNSt15iterator_traitsISJ_E10value_typeEPNSP_ISK_E10value_typeEPSL_NS1_7vsmem_tEENKUlT_SJ_SK_SL_E_clISE_PmSF_SF_EESI_SY_SJ_SK_SL_EUlSY_E_NS1_11comp_targetILNS1_3genE4ELNS1_11target_archE910ELNS1_3gpuE8ELNS1_3repE0EEENS1_48merge_mergepath_partition_config_static_selectorELNS0_4arch9wavefront6targetE0EEEvSK_.num_agpr, 0
	.set _ZN7rocprim17ROCPRIM_400000_NS6detail17trampoline_kernelINS0_14default_configENS1_38merge_sort_block_merge_config_selectorImNS0_10empty_typeEEEZZNS1_27merge_sort_block_merge_implIS3_N6thrust23THRUST_200600_302600_NS6detail15normal_iteratorINS9_10device_ptrImEEEEPS5_m11less_div_10ImEEE10hipError_tT0_T1_T2_jT3_P12ihipStream_tbPNSt15iterator_traitsISJ_E10value_typeEPNSP_ISK_E10value_typeEPSL_NS1_7vsmem_tEENKUlT_SJ_SK_SL_E_clISE_PmSF_SF_EESI_SY_SJ_SK_SL_EUlSY_E_NS1_11comp_targetILNS1_3genE4ELNS1_11target_archE910ELNS1_3gpuE8ELNS1_3repE0EEENS1_48merge_mergepath_partition_config_static_selectorELNS0_4arch9wavefront6targetE0EEEvSK_.numbered_sgpr, 0
	.set _ZN7rocprim17ROCPRIM_400000_NS6detail17trampoline_kernelINS0_14default_configENS1_38merge_sort_block_merge_config_selectorImNS0_10empty_typeEEEZZNS1_27merge_sort_block_merge_implIS3_N6thrust23THRUST_200600_302600_NS6detail15normal_iteratorINS9_10device_ptrImEEEEPS5_m11less_div_10ImEEE10hipError_tT0_T1_T2_jT3_P12ihipStream_tbPNSt15iterator_traitsISJ_E10value_typeEPNSP_ISK_E10value_typeEPSL_NS1_7vsmem_tEENKUlT_SJ_SK_SL_E_clISE_PmSF_SF_EESI_SY_SJ_SK_SL_EUlSY_E_NS1_11comp_targetILNS1_3genE4ELNS1_11target_archE910ELNS1_3gpuE8ELNS1_3repE0EEENS1_48merge_mergepath_partition_config_static_selectorELNS0_4arch9wavefront6targetE0EEEvSK_.num_named_barrier, 0
	.set _ZN7rocprim17ROCPRIM_400000_NS6detail17trampoline_kernelINS0_14default_configENS1_38merge_sort_block_merge_config_selectorImNS0_10empty_typeEEEZZNS1_27merge_sort_block_merge_implIS3_N6thrust23THRUST_200600_302600_NS6detail15normal_iteratorINS9_10device_ptrImEEEEPS5_m11less_div_10ImEEE10hipError_tT0_T1_T2_jT3_P12ihipStream_tbPNSt15iterator_traitsISJ_E10value_typeEPNSP_ISK_E10value_typeEPSL_NS1_7vsmem_tEENKUlT_SJ_SK_SL_E_clISE_PmSF_SF_EESI_SY_SJ_SK_SL_EUlSY_E_NS1_11comp_targetILNS1_3genE4ELNS1_11target_archE910ELNS1_3gpuE8ELNS1_3repE0EEENS1_48merge_mergepath_partition_config_static_selectorELNS0_4arch9wavefront6targetE0EEEvSK_.private_seg_size, 0
	.set _ZN7rocprim17ROCPRIM_400000_NS6detail17trampoline_kernelINS0_14default_configENS1_38merge_sort_block_merge_config_selectorImNS0_10empty_typeEEEZZNS1_27merge_sort_block_merge_implIS3_N6thrust23THRUST_200600_302600_NS6detail15normal_iteratorINS9_10device_ptrImEEEEPS5_m11less_div_10ImEEE10hipError_tT0_T1_T2_jT3_P12ihipStream_tbPNSt15iterator_traitsISJ_E10value_typeEPNSP_ISK_E10value_typeEPSL_NS1_7vsmem_tEENKUlT_SJ_SK_SL_E_clISE_PmSF_SF_EESI_SY_SJ_SK_SL_EUlSY_E_NS1_11comp_targetILNS1_3genE4ELNS1_11target_archE910ELNS1_3gpuE8ELNS1_3repE0EEENS1_48merge_mergepath_partition_config_static_selectorELNS0_4arch9wavefront6targetE0EEEvSK_.uses_vcc, 0
	.set _ZN7rocprim17ROCPRIM_400000_NS6detail17trampoline_kernelINS0_14default_configENS1_38merge_sort_block_merge_config_selectorImNS0_10empty_typeEEEZZNS1_27merge_sort_block_merge_implIS3_N6thrust23THRUST_200600_302600_NS6detail15normal_iteratorINS9_10device_ptrImEEEEPS5_m11less_div_10ImEEE10hipError_tT0_T1_T2_jT3_P12ihipStream_tbPNSt15iterator_traitsISJ_E10value_typeEPNSP_ISK_E10value_typeEPSL_NS1_7vsmem_tEENKUlT_SJ_SK_SL_E_clISE_PmSF_SF_EESI_SY_SJ_SK_SL_EUlSY_E_NS1_11comp_targetILNS1_3genE4ELNS1_11target_archE910ELNS1_3gpuE8ELNS1_3repE0EEENS1_48merge_mergepath_partition_config_static_selectorELNS0_4arch9wavefront6targetE0EEEvSK_.uses_flat_scratch, 0
	.set _ZN7rocprim17ROCPRIM_400000_NS6detail17trampoline_kernelINS0_14default_configENS1_38merge_sort_block_merge_config_selectorImNS0_10empty_typeEEEZZNS1_27merge_sort_block_merge_implIS3_N6thrust23THRUST_200600_302600_NS6detail15normal_iteratorINS9_10device_ptrImEEEEPS5_m11less_div_10ImEEE10hipError_tT0_T1_T2_jT3_P12ihipStream_tbPNSt15iterator_traitsISJ_E10value_typeEPNSP_ISK_E10value_typeEPSL_NS1_7vsmem_tEENKUlT_SJ_SK_SL_E_clISE_PmSF_SF_EESI_SY_SJ_SK_SL_EUlSY_E_NS1_11comp_targetILNS1_3genE4ELNS1_11target_archE910ELNS1_3gpuE8ELNS1_3repE0EEENS1_48merge_mergepath_partition_config_static_selectorELNS0_4arch9wavefront6targetE0EEEvSK_.has_dyn_sized_stack, 0
	.set _ZN7rocprim17ROCPRIM_400000_NS6detail17trampoline_kernelINS0_14default_configENS1_38merge_sort_block_merge_config_selectorImNS0_10empty_typeEEEZZNS1_27merge_sort_block_merge_implIS3_N6thrust23THRUST_200600_302600_NS6detail15normal_iteratorINS9_10device_ptrImEEEEPS5_m11less_div_10ImEEE10hipError_tT0_T1_T2_jT3_P12ihipStream_tbPNSt15iterator_traitsISJ_E10value_typeEPNSP_ISK_E10value_typeEPSL_NS1_7vsmem_tEENKUlT_SJ_SK_SL_E_clISE_PmSF_SF_EESI_SY_SJ_SK_SL_EUlSY_E_NS1_11comp_targetILNS1_3genE4ELNS1_11target_archE910ELNS1_3gpuE8ELNS1_3repE0EEENS1_48merge_mergepath_partition_config_static_selectorELNS0_4arch9wavefront6targetE0EEEvSK_.has_recursion, 0
	.set _ZN7rocprim17ROCPRIM_400000_NS6detail17trampoline_kernelINS0_14default_configENS1_38merge_sort_block_merge_config_selectorImNS0_10empty_typeEEEZZNS1_27merge_sort_block_merge_implIS3_N6thrust23THRUST_200600_302600_NS6detail15normal_iteratorINS9_10device_ptrImEEEEPS5_m11less_div_10ImEEE10hipError_tT0_T1_T2_jT3_P12ihipStream_tbPNSt15iterator_traitsISJ_E10value_typeEPNSP_ISK_E10value_typeEPSL_NS1_7vsmem_tEENKUlT_SJ_SK_SL_E_clISE_PmSF_SF_EESI_SY_SJ_SK_SL_EUlSY_E_NS1_11comp_targetILNS1_3genE4ELNS1_11target_archE910ELNS1_3gpuE8ELNS1_3repE0EEENS1_48merge_mergepath_partition_config_static_selectorELNS0_4arch9wavefront6targetE0EEEvSK_.has_indirect_call, 0
	.section	.AMDGPU.csdata,"",@progbits
; Kernel info:
; codeLenInByte = 0
; TotalNumSgprs: 0
; NumVgprs: 0
; ScratchSize: 0
; MemoryBound: 0
; FloatMode: 240
; IeeeMode: 1
; LDSByteSize: 0 bytes/workgroup (compile time only)
; SGPRBlocks: 0
; VGPRBlocks: 0
; NumSGPRsForWavesPerEU: 1
; NumVGPRsForWavesPerEU: 1
; Occupancy: 16
; WaveLimiterHint : 0
; COMPUTE_PGM_RSRC2:SCRATCH_EN: 0
; COMPUTE_PGM_RSRC2:USER_SGPR: 6
; COMPUTE_PGM_RSRC2:TRAP_HANDLER: 0
; COMPUTE_PGM_RSRC2:TGID_X_EN: 1
; COMPUTE_PGM_RSRC2:TGID_Y_EN: 0
; COMPUTE_PGM_RSRC2:TGID_Z_EN: 0
; COMPUTE_PGM_RSRC2:TIDIG_COMP_CNT: 0
	.section	.text._ZN7rocprim17ROCPRIM_400000_NS6detail17trampoline_kernelINS0_14default_configENS1_38merge_sort_block_merge_config_selectorImNS0_10empty_typeEEEZZNS1_27merge_sort_block_merge_implIS3_N6thrust23THRUST_200600_302600_NS6detail15normal_iteratorINS9_10device_ptrImEEEEPS5_m11less_div_10ImEEE10hipError_tT0_T1_T2_jT3_P12ihipStream_tbPNSt15iterator_traitsISJ_E10value_typeEPNSP_ISK_E10value_typeEPSL_NS1_7vsmem_tEENKUlT_SJ_SK_SL_E_clISE_PmSF_SF_EESI_SY_SJ_SK_SL_EUlSY_E_NS1_11comp_targetILNS1_3genE3ELNS1_11target_archE908ELNS1_3gpuE7ELNS1_3repE0EEENS1_48merge_mergepath_partition_config_static_selectorELNS0_4arch9wavefront6targetE0EEEvSK_,"axG",@progbits,_ZN7rocprim17ROCPRIM_400000_NS6detail17trampoline_kernelINS0_14default_configENS1_38merge_sort_block_merge_config_selectorImNS0_10empty_typeEEEZZNS1_27merge_sort_block_merge_implIS3_N6thrust23THRUST_200600_302600_NS6detail15normal_iteratorINS9_10device_ptrImEEEEPS5_m11less_div_10ImEEE10hipError_tT0_T1_T2_jT3_P12ihipStream_tbPNSt15iterator_traitsISJ_E10value_typeEPNSP_ISK_E10value_typeEPSL_NS1_7vsmem_tEENKUlT_SJ_SK_SL_E_clISE_PmSF_SF_EESI_SY_SJ_SK_SL_EUlSY_E_NS1_11comp_targetILNS1_3genE3ELNS1_11target_archE908ELNS1_3gpuE7ELNS1_3repE0EEENS1_48merge_mergepath_partition_config_static_selectorELNS0_4arch9wavefront6targetE0EEEvSK_,comdat
	.protected	_ZN7rocprim17ROCPRIM_400000_NS6detail17trampoline_kernelINS0_14default_configENS1_38merge_sort_block_merge_config_selectorImNS0_10empty_typeEEEZZNS1_27merge_sort_block_merge_implIS3_N6thrust23THRUST_200600_302600_NS6detail15normal_iteratorINS9_10device_ptrImEEEEPS5_m11less_div_10ImEEE10hipError_tT0_T1_T2_jT3_P12ihipStream_tbPNSt15iterator_traitsISJ_E10value_typeEPNSP_ISK_E10value_typeEPSL_NS1_7vsmem_tEENKUlT_SJ_SK_SL_E_clISE_PmSF_SF_EESI_SY_SJ_SK_SL_EUlSY_E_NS1_11comp_targetILNS1_3genE3ELNS1_11target_archE908ELNS1_3gpuE7ELNS1_3repE0EEENS1_48merge_mergepath_partition_config_static_selectorELNS0_4arch9wavefront6targetE0EEEvSK_ ; -- Begin function _ZN7rocprim17ROCPRIM_400000_NS6detail17trampoline_kernelINS0_14default_configENS1_38merge_sort_block_merge_config_selectorImNS0_10empty_typeEEEZZNS1_27merge_sort_block_merge_implIS3_N6thrust23THRUST_200600_302600_NS6detail15normal_iteratorINS9_10device_ptrImEEEEPS5_m11less_div_10ImEEE10hipError_tT0_T1_T2_jT3_P12ihipStream_tbPNSt15iterator_traitsISJ_E10value_typeEPNSP_ISK_E10value_typeEPSL_NS1_7vsmem_tEENKUlT_SJ_SK_SL_E_clISE_PmSF_SF_EESI_SY_SJ_SK_SL_EUlSY_E_NS1_11comp_targetILNS1_3genE3ELNS1_11target_archE908ELNS1_3gpuE7ELNS1_3repE0EEENS1_48merge_mergepath_partition_config_static_selectorELNS0_4arch9wavefront6targetE0EEEvSK_
	.globl	_ZN7rocprim17ROCPRIM_400000_NS6detail17trampoline_kernelINS0_14default_configENS1_38merge_sort_block_merge_config_selectorImNS0_10empty_typeEEEZZNS1_27merge_sort_block_merge_implIS3_N6thrust23THRUST_200600_302600_NS6detail15normal_iteratorINS9_10device_ptrImEEEEPS5_m11less_div_10ImEEE10hipError_tT0_T1_T2_jT3_P12ihipStream_tbPNSt15iterator_traitsISJ_E10value_typeEPNSP_ISK_E10value_typeEPSL_NS1_7vsmem_tEENKUlT_SJ_SK_SL_E_clISE_PmSF_SF_EESI_SY_SJ_SK_SL_EUlSY_E_NS1_11comp_targetILNS1_3genE3ELNS1_11target_archE908ELNS1_3gpuE7ELNS1_3repE0EEENS1_48merge_mergepath_partition_config_static_selectorELNS0_4arch9wavefront6targetE0EEEvSK_
	.p2align	8
	.type	_ZN7rocprim17ROCPRIM_400000_NS6detail17trampoline_kernelINS0_14default_configENS1_38merge_sort_block_merge_config_selectorImNS0_10empty_typeEEEZZNS1_27merge_sort_block_merge_implIS3_N6thrust23THRUST_200600_302600_NS6detail15normal_iteratorINS9_10device_ptrImEEEEPS5_m11less_div_10ImEEE10hipError_tT0_T1_T2_jT3_P12ihipStream_tbPNSt15iterator_traitsISJ_E10value_typeEPNSP_ISK_E10value_typeEPSL_NS1_7vsmem_tEENKUlT_SJ_SK_SL_E_clISE_PmSF_SF_EESI_SY_SJ_SK_SL_EUlSY_E_NS1_11comp_targetILNS1_3genE3ELNS1_11target_archE908ELNS1_3gpuE7ELNS1_3repE0EEENS1_48merge_mergepath_partition_config_static_selectorELNS0_4arch9wavefront6targetE0EEEvSK_,@function
_ZN7rocprim17ROCPRIM_400000_NS6detail17trampoline_kernelINS0_14default_configENS1_38merge_sort_block_merge_config_selectorImNS0_10empty_typeEEEZZNS1_27merge_sort_block_merge_implIS3_N6thrust23THRUST_200600_302600_NS6detail15normal_iteratorINS9_10device_ptrImEEEEPS5_m11less_div_10ImEEE10hipError_tT0_T1_T2_jT3_P12ihipStream_tbPNSt15iterator_traitsISJ_E10value_typeEPNSP_ISK_E10value_typeEPSL_NS1_7vsmem_tEENKUlT_SJ_SK_SL_E_clISE_PmSF_SF_EESI_SY_SJ_SK_SL_EUlSY_E_NS1_11comp_targetILNS1_3genE3ELNS1_11target_archE908ELNS1_3gpuE7ELNS1_3repE0EEENS1_48merge_mergepath_partition_config_static_selectorELNS0_4arch9wavefront6targetE0EEEvSK_: ; @_ZN7rocprim17ROCPRIM_400000_NS6detail17trampoline_kernelINS0_14default_configENS1_38merge_sort_block_merge_config_selectorImNS0_10empty_typeEEEZZNS1_27merge_sort_block_merge_implIS3_N6thrust23THRUST_200600_302600_NS6detail15normal_iteratorINS9_10device_ptrImEEEEPS5_m11less_div_10ImEEE10hipError_tT0_T1_T2_jT3_P12ihipStream_tbPNSt15iterator_traitsISJ_E10value_typeEPNSP_ISK_E10value_typeEPSL_NS1_7vsmem_tEENKUlT_SJ_SK_SL_E_clISE_PmSF_SF_EESI_SY_SJ_SK_SL_EUlSY_E_NS1_11comp_targetILNS1_3genE3ELNS1_11target_archE908ELNS1_3gpuE7ELNS1_3repE0EEENS1_48merge_mergepath_partition_config_static_selectorELNS0_4arch9wavefront6targetE0EEEvSK_
; %bb.0:
	.section	.rodata,"a",@progbits
	.p2align	6, 0x0
	.amdhsa_kernel _ZN7rocprim17ROCPRIM_400000_NS6detail17trampoline_kernelINS0_14default_configENS1_38merge_sort_block_merge_config_selectorImNS0_10empty_typeEEEZZNS1_27merge_sort_block_merge_implIS3_N6thrust23THRUST_200600_302600_NS6detail15normal_iteratorINS9_10device_ptrImEEEEPS5_m11less_div_10ImEEE10hipError_tT0_T1_T2_jT3_P12ihipStream_tbPNSt15iterator_traitsISJ_E10value_typeEPNSP_ISK_E10value_typeEPSL_NS1_7vsmem_tEENKUlT_SJ_SK_SL_E_clISE_PmSF_SF_EESI_SY_SJ_SK_SL_EUlSY_E_NS1_11comp_targetILNS1_3genE3ELNS1_11target_archE908ELNS1_3gpuE7ELNS1_3repE0EEENS1_48merge_mergepath_partition_config_static_selectorELNS0_4arch9wavefront6targetE0EEEvSK_
		.amdhsa_group_segment_fixed_size 0
		.amdhsa_private_segment_fixed_size 0
		.amdhsa_kernarg_size 48
		.amdhsa_user_sgpr_count 6
		.amdhsa_user_sgpr_private_segment_buffer 1
		.amdhsa_user_sgpr_dispatch_ptr 0
		.amdhsa_user_sgpr_queue_ptr 0
		.amdhsa_user_sgpr_kernarg_segment_ptr 1
		.amdhsa_user_sgpr_dispatch_id 0
		.amdhsa_user_sgpr_flat_scratch_init 0
		.amdhsa_user_sgpr_private_segment_size 0
		.amdhsa_wavefront_size32 1
		.amdhsa_uses_dynamic_stack 0
		.amdhsa_system_sgpr_private_segment_wavefront_offset 0
		.amdhsa_system_sgpr_workgroup_id_x 1
		.amdhsa_system_sgpr_workgroup_id_y 0
		.amdhsa_system_sgpr_workgroup_id_z 0
		.amdhsa_system_sgpr_workgroup_info 0
		.amdhsa_system_vgpr_workitem_id 0
		.amdhsa_next_free_vgpr 1
		.amdhsa_next_free_sgpr 1
		.amdhsa_reserve_vcc 0
		.amdhsa_reserve_flat_scratch 0
		.amdhsa_float_round_mode_32 0
		.amdhsa_float_round_mode_16_64 0
		.amdhsa_float_denorm_mode_32 3
		.amdhsa_float_denorm_mode_16_64 3
		.amdhsa_dx10_clamp 1
		.amdhsa_ieee_mode 1
		.amdhsa_fp16_overflow 0
		.amdhsa_workgroup_processor_mode 1
		.amdhsa_memory_ordered 1
		.amdhsa_forward_progress 1
		.amdhsa_shared_vgpr_count 0
		.amdhsa_exception_fp_ieee_invalid_op 0
		.amdhsa_exception_fp_denorm_src 0
		.amdhsa_exception_fp_ieee_div_zero 0
		.amdhsa_exception_fp_ieee_overflow 0
		.amdhsa_exception_fp_ieee_underflow 0
		.amdhsa_exception_fp_ieee_inexact 0
		.amdhsa_exception_int_div_zero 0
	.end_amdhsa_kernel
	.section	.text._ZN7rocprim17ROCPRIM_400000_NS6detail17trampoline_kernelINS0_14default_configENS1_38merge_sort_block_merge_config_selectorImNS0_10empty_typeEEEZZNS1_27merge_sort_block_merge_implIS3_N6thrust23THRUST_200600_302600_NS6detail15normal_iteratorINS9_10device_ptrImEEEEPS5_m11less_div_10ImEEE10hipError_tT0_T1_T2_jT3_P12ihipStream_tbPNSt15iterator_traitsISJ_E10value_typeEPNSP_ISK_E10value_typeEPSL_NS1_7vsmem_tEENKUlT_SJ_SK_SL_E_clISE_PmSF_SF_EESI_SY_SJ_SK_SL_EUlSY_E_NS1_11comp_targetILNS1_3genE3ELNS1_11target_archE908ELNS1_3gpuE7ELNS1_3repE0EEENS1_48merge_mergepath_partition_config_static_selectorELNS0_4arch9wavefront6targetE0EEEvSK_,"axG",@progbits,_ZN7rocprim17ROCPRIM_400000_NS6detail17trampoline_kernelINS0_14default_configENS1_38merge_sort_block_merge_config_selectorImNS0_10empty_typeEEEZZNS1_27merge_sort_block_merge_implIS3_N6thrust23THRUST_200600_302600_NS6detail15normal_iteratorINS9_10device_ptrImEEEEPS5_m11less_div_10ImEEE10hipError_tT0_T1_T2_jT3_P12ihipStream_tbPNSt15iterator_traitsISJ_E10value_typeEPNSP_ISK_E10value_typeEPSL_NS1_7vsmem_tEENKUlT_SJ_SK_SL_E_clISE_PmSF_SF_EESI_SY_SJ_SK_SL_EUlSY_E_NS1_11comp_targetILNS1_3genE3ELNS1_11target_archE908ELNS1_3gpuE7ELNS1_3repE0EEENS1_48merge_mergepath_partition_config_static_selectorELNS0_4arch9wavefront6targetE0EEEvSK_,comdat
.Lfunc_end645:
	.size	_ZN7rocprim17ROCPRIM_400000_NS6detail17trampoline_kernelINS0_14default_configENS1_38merge_sort_block_merge_config_selectorImNS0_10empty_typeEEEZZNS1_27merge_sort_block_merge_implIS3_N6thrust23THRUST_200600_302600_NS6detail15normal_iteratorINS9_10device_ptrImEEEEPS5_m11less_div_10ImEEE10hipError_tT0_T1_T2_jT3_P12ihipStream_tbPNSt15iterator_traitsISJ_E10value_typeEPNSP_ISK_E10value_typeEPSL_NS1_7vsmem_tEENKUlT_SJ_SK_SL_E_clISE_PmSF_SF_EESI_SY_SJ_SK_SL_EUlSY_E_NS1_11comp_targetILNS1_3genE3ELNS1_11target_archE908ELNS1_3gpuE7ELNS1_3repE0EEENS1_48merge_mergepath_partition_config_static_selectorELNS0_4arch9wavefront6targetE0EEEvSK_, .Lfunc_end645-_ZN7rocprim17ROCPRIM_400000_NS6detail17trampoline_kernelINS0_14default_configENS1_38merge_sort_block_merge_config_selectorImNS0_10empty_typeEEEZZNS1_27merge_sort_block_merge_implIS3_N6thrust23THRUST_200600_302600_NS6detail15normal_iteratorINS9_10device_ptrImEEEEPS5_m11less_div_10ImEEE10hipError_tT0_T1_T2_jT3_P12ihipStream_tbPNSt15iterator_traitsISJ_E10value_typeEPNSP_ISK_E10value_typeEPSL_NS1_7vsmem_tEENKUlT_SJ_SK_SL_E_clISE_PmSF_SF_EESI_SY_SJ_SK_SL_EUlSY_E_NS1_11comp_targetILNS1_3genE3ELNS1_11target_archE908ELNS1_3gpuE7ELNS1_3repE0EEENS1_48merge_mergepath_partition_config_static_selectorELNS0_4arch9wavefront6targetE0EEEvSK_
                                        ; -- End function
	.set _ZN7rocprim17ROCPRIM_400000_NS6detail17trampoline_kernelINS0_14default_configENS1_38merge_sort_block_merge_config_selectorImNS0_10empty_typeEEEZZNS1_27merge_sort_block_merge_implIS3_N6thrust23THRUST_200600_302600_NS6detail15normal_iteratorINS9_10device_ptrImEEEEPS5_m11less_div_10ImEEE10hipError_tT0_T1_T2_jT3_P12ihipStream_tbPNSt15iterator_traitsISJ_E10value_typeEPNSP_ISK_E10value_typeEPSL_NS1_7vsmem_tEENKUlT_SJ_SK_SL_E_clISE_PmSF_SF_EESI_SY_SJ_SK_SL_EUlSY_E_NS1_11comp_targetILNS1_3genE3ELNS1_11target_archE908ELNS1_3gpuE7ELNS1_3repE0EEENS1_48merge_mergepath_partition_config_static_selectorELNS0_4arch9wavefront6targetE0EEEvSK_.num_vgpr, 0
	.set _ZN7rocprim17ROCPRIM_400000_NS6detail17trampoline_kernelINS0_14default_configENS1_38merge_sort_block_merge_config_selectorImNS0_10empty_typeEEEZZNS1_27merge_sort_block_merge_implIS3_N6thrust23THRUST_200600_302600_NS6detail15normal_iteratorINS9_10device_ptrImEEEEPS5_m11less_div_10ImEEE10hipError_tT0_T1_T2_jT3_P12ihipStream_tbPNSt15iterator_traitsISJ_E10value_typeEPNSP_ISK_E10value_typeEPSL_NS1_7vsmem_tEENKUlT_SJ_SK_SL_E_clISE_PmSF_SF_EESI_SY_SJ_SK_SL_EUlSY_E_NS1_11comp_targetILNS1_3genE3ELNS1_11target_archE908ELNS1_3gpuE7ELNS1_3repE0EEENS1_48merge_mergepath_partition_config_static_selectorELNS0_4arch9wavefront6targetE0EEEvSK_.num_agpr, 0
	.set _ZN7rocprim17ROCPRIM_400000_NS6detail17trampoline_kernelINS0_14default_configENS1_38merge_sort_block_merge_config_selectorImNS0_10empty_typeEEEZZNS1_27merge_sort_block_merge_implIS3_N6thrust23THRUST_200600_302600_NS6detail15normal_iteratorINS9_10device_ptrImEEEEPS5_m11less_div_10ImEEE10hipError_tT0_T1_T2_jT3_P12ihipStream_tbPNSt15iterator_traitsISJ_E10value_typeEPNSP_ISK_E10value_typeEPSL_NS1_7vsmem_tEENKUlT_SJ_SK_SL_E_clISE_PmSF_SF_EESI_SY_SJ_SK_SL_EUlSY_E_NS1_11comp_targetILNS1_3genE3ELNS1_11target_archE908ELNS1_3gpuE7ELNS1_3repE0EEENS1_48merge_mergepath_partition_config_static_selectorELNS0_4arch9wavefront6targetE0EEEvSK_.numbered_sgpr, 0
	.set _ZN7rocprim17ROCPRIM_400000_NS6detail17trampoline_kernelINS0_14default_configENS1_38merge_sort_block_merge_config_selectorImNS0_10empty_typeEEEZZNS1_27merge_sort_block_merge_implIS3_N6thrust23THRUST_200600_302600_NS6detail15normal_iteratorINS9_10device_ptrImEEEEPS5_m11less_div_10ImEEE10hipError_tT0_T1_T2_jT3_P12ihipStream_tbPNSt15iterator_traitsISJ_E10value_typeEPNSP_ISK_E10value_typeEPSL_NS1_7vsmem_tEENKUlT_SJ_SK_SL_E_clISE_PmSF_SF_EESI_SY_SJ_SK_SL_EUlSY_E_NS1_11comp_targetILNS1_3genE3ELNS1_11target_archE908ELNS1_3gpuE7ELNS1_3repE0EEENS1_48merge_mergepath_partition_config_static_selectorELNS0_4arch9wavefront6targetE0EEEvSK_.num_named_barrier, 0
	.set _ZN7rocprim17ROCPRIM_400000_NS6detail17trampoline_kernelINS0_14default_configENS1_38merge_sort_block_merge_config_selectorImNS0_10empty_typeEEEZZNS1_27merge_sort_block_merge_implIS3_N6thrust23THRUST_200600_302600_NS6detail15normal_iteratorINS9_10device_ptrImEEEEPS5_m11less_div_10ImEEE10hipError_tT0_T1_T2_jT3_P12ihipStream_tbPNSt15iterator_traitsISJ_E10value_typeEPNSP_ISK_E10value_typeEPSL_NS1_7vsmem_tEENKUlT_SJ_SK_SL_E_clISE_PmSF_SF_EESI_SY_SJ_SK_SL_EUlSY_E_NS1_11comp_targetILNS1_3genE3ELNS1_11target_archE908ELNS1_3gpuE7ELNS1_3repE0EEENS1_48merge_mergepath_partition_config_static_selectorELNS0_4arch9wavefront6targetE0EEEvSK_.private_seg_size, 0
	.set _ZN7rocprim17ROCPRIM_400000_NS6detail17trampoline_kernelINS0_14default_configENS1_38merge_sort_block_merge_config_selectorImNS0_10empty_typeEEEZZNS1_27merge_sort_block_merge_implIS3_N6thrust23THRUST_200600_302600_NS6detail15normal_iteratorINS9_10device_ptrImEEEEPS5_m11less_div_10ImEEE10hipError_tT0_T1_T2_jT3_P12ihipStream_tbPNSt15iterator_traitsISJ_E10value_typeEPNSP_ISK_E10value_typeEPSL_NS1_7vsmem_tEENKUlT_SJ_SK_SL_E_clISE_PmSF_SF_EESI_SY_SJ_SK_SL_EUlSY_E_NS1_11comp_targetILNS1_3genE3ELNS1_11target_archE908ELNS1_3gpuE7ELNS1_3repE0EEENS1_48merge_mergepath_partition_config_static_selectorELNS0_4arch9wavefront6targetE0EEEvSK_.uses_vcc, 0
	.set _ZN7rocprim17ROCPRIM_400000_NS6detail17trampoline_kernelINS0_14default_configENS1_38merge_sort_block_merge_config_selectorImNS0_10empty_typeEEEZZNS1_27merge_sort_block_merge_implIS3_N6thrust23THRUST_200600_302600_NS6detail15normal_iteratorINS9_10device_ptrImEEEEPS5_m11less_div_10ImEEE10hipError_tT0_T1_T2_jT3_P12ihipStream_tbPNSt15iterator_traitsISJ_E10value_typeEPNSP_ISK_E10value_typeEPSL_NS1_7vsmem_tEENKUlT_SJ_SK_SL_E_clISE_PmSF_SF_EESI_SY_SJ_SK_SL_EUlSY_E_NS1_11comp_targetILNS1_3genE3ELNS1_11target_archE908ELNS1_3gpuE7ELNS1_3repE0EEENS1_48merge_mergepath_partition_config_static_selectorELNS0_4arch9wavefront6targetE0EEEvSK_.uses_flat_scratch, 0
	.set _ZN7rocprim17ROCPRIM_400000_NS6detail17trampoline_kernelINS0_14default_configENS1_38merge_sort_block_merge_config_selectorImNS0_10empty_typeEEEZZNS1_27merge_sort_block_merge_implIS3_N6thrust23THRUST_200600_302600_NS6detail15normal_iteratorINS9_10device_ptrImEEEEPS5_m11less_div_10ImEEE10hipError_tT0_T1_T2_jT3_P12ihipStream_tbPNSt15iterator_traitsISJ_E10value_typeEPNSP_ISK_E10value_typeEPSL_NS1_7vsmem_tEENKUlT_SJ_SK_SL_E_clISE_PmSF_SF_EESI_SY_SJ_SK_SL_EUlSY_E_NS1_11comp_targetILNS1_3genE3ELNS1_11target_archE908ELNS1_3gpuE7ELNS1_3repE0EEENS1_48merge_mergepath_partition_config_static_selectorELNS0_4arch9wavefront6targetE0EEEvSK_.has_dyn_sized_stack, 0
	.set _ZN7rocprim17ROCPRIM_400000_NS6detail17trampoline_kernelINS0_14default_configENS1_38merge_sort_block_merge_config_selectorImNS0_10empty_typeEEEZZNS1_27merge_sort_block_merge_implIS3_N6thrust23THRUST_200600_302600_NS6detail15normal_iteratorINS9_10device_ptrImEEEEPS5_m11less_div_10ImEEE10hipError_tT0_T1_T2_jT3_P12ihipStream_tbPNSt15iterator_traitsISJ_E10value_typeEPNSP_ISK_E10value_typeEPSL_NS1_7vsmem_tEENKUlT_SJ_SK_SL_E_clISE_PmSF_SF_EESI_SY_SJ_SK_SL_EUlSY_E_NS1_11comp_targetILNS1_3genE3ELNS1_11target_archE908ELNS1_3gpuE7ELNS1_3repE0EEENS1_48merge_mergepath_partition_config_static_selectorELNS0_4arch9wavefront6targetE0EEEvSK_.has_recursion, 0
	.set _ZN7rocprim17ROCPRIM_400000_NS6detail17trampoline_kernelINS0_14default_configENS1_38merge_sort_block_merge_config_selectorImNS0_10empty_typeEEEZZNS1_27merge_sort_block_merge_implIS3_N6thrust23THRUST_200600_302600_NS6detail15normal_iteratorINS9_10device_ptrImEEEEPS5_m11less_div_10ImEEE10hipError_tT0_T1_T2_jT3_P12ihipStream_tbPNSt15iterator_traitsISJ_E10value_typeEPNSP_ISK_E10value_typeEPSL_NS1_7vsmem_tEENKUlT_SJ_SK_SL_E_clISE_PmSF_SF_EESI_SY_SJ_SK_SL_EUlSY_E_NS1_11comp_targetILNS1_3genE3ELNS1_11target_archE908ELNS1_3gpuE7ELNS1_3repE0EEENS1_48merge_mergepath_partition_config_static_selectorELNS0_4arch9wavefront6targetE0EEEvSK_.has_indirect_call, 0
	.section	.AMDGPU.csdata,"",@progbits
; Kernel info:
; codeLenInByte = 0
; TotalNumSgprs: 0
; NumVgprs: 0
; ScratchSize: 0
; MemoryBound: 0
; FloatMode: 240
; IeeeMode: 1
; LDSByteSize: 0 bytes/workgroup (compile time only)
; SGPRBlocks: 0
; VGPRBlocks: 0
; NumSGPRsForWavesPerEU: 1
; NumVGPRsForWavesPerEU: 1
; Occupancy: 16
; WaveLimiterHint : 0
; COMPUTE_PGM_RSRC2:SCRATCH_EN: 0
; COMPUTE_PGM_RSRC2:USER_SGPR: 6
; COMPUTE_PGM_RSRC2:TRAP_HANDLER: 0
; COMPUTE_PGM_RSRC2:TGID_X_EN: 1
; COMPUTE_PGM_RSRC2:TGID_Y_EN: 0
; COMPUTE_PGM_RSRC2:TGID_Z_EN: 0
; COMPUTE_PGM_RSRC2:TIDIG_COMP_CNT: 0
	.section	.text._ZN7rocprim17ROCPRIM_400000_NS6detail17trampoline_kernelINS0_14default_configENS1_38merge_sort_block_merge_config_selectorImNS0_10empty_typeEEEZZNS1_27merge_sort_block_merge_implIS3_N6thrust23THRUST_200600_302600_NS6detail15normal_iteratorINS9_10device_ptrImEEEEPS5_m11less_div_10ImEEE10hipError_tT0_T1_T2_jT3_P12ihipStream_tbPNSt15iterator_traitsISJ_E10value_typeEPNSP_ISK_E10value_typeEPSL_NS1_7vsmem_tEENKUlT_SJ_SK_SL_E_clISE_PmSF_SF_EESI_SY_SJ_SK_SL_EUlSY_E_NS1_11comp_targetILNS1_3genE2ELNS1_11target_archE906ELNS1_3gpuE6ELNS1_3repE0EEENS1_48merge_mergepath_partition_config_static_selectorELNS0_4arch9wavefront6targetE0EEEvSK_,"axG",@progbits,_ZN7rocprim17ROCPRIM_400000_NS6detail17trampoline_kernelINS0_14default_configENS1_38merge_sort_block_merge_config_selectorImNS0_10empty_typeEEEZZNS1_27merge_sort_block_merge_implIS3_N6thrust23THRUST_200600_302600_NS6detail15normal_iteratorINS9_10device_ptrImEEEEPS5_m11less_div_10ImEEE10hipError_tT0_T1_T2_jT3_P12ihipStream_tbPNSt15iterator_traitsISJ_E10value_typeEPNSP_ISK_E10value_typeEPSL_NS1_7vsmem_tEENKUlT_SJ_SK_SL_E_clISE_PmSF_SF_EESI_SY_SJ_SK_SL_EUlSY_E_NS1_11comp_targetILNS1_3genE2ELNS1_11target_archE906ELNS1_3gpuE6ELNS1_3repE0EEENS1_48merge_mergepath_partition_config_static_selectorELNS0_4arch9wavefront6targetE0EEEvSK_,comdat
	.protected	_ZN7rocprim17ROCPRIM_400000_NS6detail17trampoline_kernelINS0_14default_configENS1_38merge_sort_block_merge_config_selectorImNS0_10empty_typeEEEZZNS1_27merge_sort_block_merge_implIS3_N6thrust23THRUST_200600_302600_NS6detail15normal_iteratorINS9_10device_ptrImEEEEPS5_m11less_div_10ImEEE10hipError_tT0_T1_T2_jT3_P12ihipStream_tbPNSt15iterator_traitsISJ_E10value_typeEPNSP_ISK_E10value_typeEPSL_NS1_7vsmem_tEENKUlT_SJ_SK_SL_E_clISE_PmSF_SF_EESI_SY_SJ_SK_SL_EUlSY_E_NS1_11comp_targetILNS1_3genE2ELNS1_11target_archE906ELNS1_3gpuE6ELNS1_3repE0EEENS1_48merge_mergepath_partition_config_static_selectorELNS0_4arch9wavefront6targetE0EEEvSK_ ; -- Begin function _ZN7rocprim17ROCPRIM_400000_NS6detail17trampoline_kernelINS0_14default_configENS1_38merge_sort_block_merge_config_selectorImNS0_10empty_typeEEEZZNS1_27merge_sort_block_merge_implIS3_N6thrust23THRUST_200600_302600_NS6detail15normal_iteratorINS9_10device_ptrImEEEEPS5_m11less_div_10ImEEE10hipError_tT0_T1_T2_jT3_P12ihipStream_tbPNSt15iterator_traitsISJ_E10value_typeEPNSP_ISK_E10value_typeEPSL_NS1_7vsmem_tEENKUlT_SJ_SK_SL_E_clISE_PmSF_SF_EESI_SY_SJ_SK_SL_EUlSY_E_NS1_11comp_targetILNS1_3genE2ELNS1_11target_archE906ELNS1_3gpuE6ELNS1_3repE0EEENS1_48merge_mergepath_partition_config_static_selectorELNS0_4arch9wavefront6targetE0EEEvSK_
	.globl	_ZN7rocprim17ROCPRIM_400000_NS6detail17trampoline_kernelINS0_14default_configENS1_38merge_sort_block_merge_config_selectorImNS0_10empty_typeEEEZZNS1_27merge_sort_block_merge_implIS3_N6thrust23THRUST_200600_302600_NS6detail15normal_iteratorINS9_10device_ptrImEEEEPS5_m11less_div_10ImEEE10hipError_tT0_T1_T2_jT3_P12ihipStream_tbPNSt15iterator_traitsISJ_E10value_typeEPNSP_ISK_E10value_typeEPSL_NS1_7vsmem_tEENKUlT_SJ_SK_SL_E_clISE_PmSF_SF_EESI_SY_SJ_SK_SL_EUlSY_E_NS1_11comp_targetILNS1_3genE2ELNS1_11target_archE906ELNS1_3gpuE6ELNS1_3repE0EEENS1_48merge_mergepath_partition_config_static_selectorELNS0_4arch9wavefront6targetE0EEEvSK_
	.p2align	8
	.type	_ZN7rocprim17ROCPRIM_400000_NS6detail17trampoline_kernelINS0_14default_configENS1_38merge_sort_block_merge_config_selectorImNS0_10empty_typeEEEZZNS1_27merge_sort_block_merge_implIS3_N6thrust23THRUST_200600_302600_NS6detail15normal_iteratorINS9_10device_ptrImEEEEPS5_m11less_div_10ImEEE10hipError_tT0_T1_T2_jT3_P12ihipStream_tbPNSt15iterator_traitsISJ_E10value_typeEPNSP_ISK_E10value_typeEPSL_NS1_7vsmem_tEENKUlT_SJ_SK_SL_E_clISE_PmSF_SF_EESI_SY_SJ_SK_SL_EUlSY_E_NS1_11comp_targetILNS1_3genE2ELNS1_11target_archE906ELNS1_3gpuE6ELNS1_3repE0EEENS1_48merge_mergepath_partition_config_static_selectorELNS0_4arch9wavefront6targetE0EEEvSK_,@function
_ZN7rocprim17ROCPRIM_400000_NS6detail17trampoline_kernelINS0_14default_configENS1_38merge_sort_block_merge_config_selectorImNS0_10empty_typeEEEZZNS1_27merge_sort_block_merge_implIS3_N6thrust23THRUST_200600_302600_NS6detail15normal_iteratorINS9_10device_ptrImEEEEPS5_m11less_div_10ImEEE10hipError_tT0_T1_T2_jT3_P12ihipStream_tbPNSt15iterator_traitsISJ_E10value_typeEPNSP_ISK_E10value_typeEPSL_NS1_7vsmem_tEENKUlT_SJ_SK_SL_E_clISE_PmSF_SF_EESI_SY_SJ_SK_SL_EUlSY_E_NS1_11comp_targetILNS1_3genE2ELNS1_11target_archE906ELNS1_3gpuE6ELNS1_3repE0EEENS1_48merge_mergepath_partition_config_static_selectorELNS0_4arch9wavefront6targetE0EEEvSK_: ; @_ZN7rocprim17ROCPRIM_400000_NS6detail17trampoline_kernelINS0_14default_configENS1_38merge_sort_block_merge_config_selectorImNS0_10empty_typeEEEZZNS1_27merge_sort_block_merge_implIS3_N6thrust23THRUST_200600_302600_NS6detail15normal_iteratorINS9_10device_ptrImEEEEPS5_m11less_div_10ImEEE10hipError_tT0_T1_T2_jT3_P12ihipStream_tbPNSt15iterator_traitsISJ_E10value_typeEPNSP_ISK_E10value_typeEPSL_NS1_7vsmem_tEENKUlT_SJ_SK_SL_E_clISE_PmSF_SF_EESI_SY_SJ_SK_SL_EUlSY_E_NS1_11comp_targetILNS1_3genE2ELNS1_11target_archE906ELNS1_3gpuE6ELNS1_3repE0EEENS1_48merge_mergepath_partition_config_static_selectorELNS0_4arch9wavefront6targetE0EEEvSK_
; %bb.0:
	.section	.rodata,"a",@progbits
	.p2align	6, 0x0
	.amdhsa_kernel _ZN7rocprim17ROCPRIM_400000_NS6detail17trampoline_kernelINS0_14default_configENS1_38merge_sort_block_merge_config_selectorImNS0_10empty_typeEEEZZNS1_27merge_sort_block_merge_implIS3_N6thrust23THRUST_200600_302600_NS6detail15normal_iteratorINS9_10device_ptrImEEEEPS5_m11less_div_10ImEEE10hipError_tT0_T1_T2_jT3_P12ihipStream_tbPNSt15iterator_traitsISJ_E10value_typeEPNSP_ISK_E10value_typeEPSL_NS1_7vsmem_tEENKUlT_SJ_SK_SL_E_clISE_PmSF_SF_EESI_SY_SJ_SK_SL_EUlSY_E_NS1_11comp_targetILNS1_3genE2ELNS1_11target_archE906ELNS1_3gpuE6ELNS1_3repE0EEENS1_48merge_mergepath_partition_config_static_selectorELNS0_4arch9wavefront6targetE0EEEvSK_
		.amdhsa_group_segment_fixed_size 0
		.amdhsa_private_segment_fixed_size 0
		.amdhsa_kernarg_size 48
		.amdhsa_user_sgpr_count 6
		.amdhsa_user_sgpr_private_segment_buffer 1
		.amdhsa_user_sgpr_dispatch_ptr 0
		.amdhsa_user_sgpr_queue_ptr 0
		.amdhsa_user_sgpr_kernarg_segment_ptr 1
		.amdhsa_user_sgpr_dispatch_id 0
		.amdhsa_user_sgpr_flat_scratch_init 0
		.amdhsa_user_sgpr_private_segment_size 0
		.amdhsa_wavefront_size32 1
		.amdhsa_uses_dynamic_stack 0
		.amdhsa_system_sgpr_private_segment_wavefront_offset 0
		.amdhsa_system_sgpr_workgroup_id_x 1
		.amdhsa_system_sgpr_workgroup_id_y 0
		.amdhsa_system_sgpr_workgroup_id_z 0
		.amdhsa_system_sgpr_workgroup_info 0
		.amdhsa_system_vgpr_workitem_id 0
		.amdhsa_next_free_vgpr 1
		.amdhsa_next_free_sgpr 1
		.amdhsa_reserve_vcc 0
		.amdhsa_reserve_flat_scratch 0
		.amdhsa_float_round_mode_32 0
		.amdhsa_float_round_mode_16_64 0
		.amdhsa_float_denorm_mode_32 3
		.amdhsa_float_denorm_mode_16_64 3
		.amdhsa_dx10_clamp 1
		.amdhsa_ieee_mode 1
		.amdhsa_fp16_overflow 0
		.amdhsa_workgroup_processor_mode 1
		.amdhsa_memory_ordered 1
		.amdhsa_forward_progress 1
		.amdhsa_shared_vgpr_count 0
		.amdhsa_exception_fp_ieee_invalid_op 0
		.amdhsa_exception_fp_denorm_src 0
		.amdhsa_exception_fp_ieee_div_zero 0
		.amdhsa_exception_fp_ieee_overflow 0
		.amdhsa_exception_fp_ieee_underflow 0
		.amdhsa_exception_fp_ieee_inexact 0
		.amdhsa_exception_int_div_zero 0
	.end_amdhsa_kernel
	.section	.text._ZN7rocprim17ROCPRIM_400000_NS6detail17trampoline_kernelINS0_14default_configENS1_38merge_sort_block_merge_config_selectorImNS0_10empty_typeEEEZZNS1_27merge_sort_block_merge_implIS3_N6thrust23THRUST_200600_302600_NS6detail15normal_iteratorINS9_10device_ptrImEEEEPS5_m11less_div_10ImEEE10hipError_tT0_T1_T2_jT3_P12ihipStream_tbPNSt15iterator_traitsISJ_E10value_typeEPNSP_ISK_E10value_typeEPSL_NS1_7vsmem_tEENKUlT_SJ_SK_SL_E_clISE_PmSF_SF_EESI_SY_SJ_SK_SL_EUlSY_E_NS1_11comp_targetILNS1_3genE2ELNS1_11target_archE906ELNS1_3gpuE6ELNS1_3repE0EEENS1_48merge_mergepath_partition_config_static_selectorELNS0_4arch9wavefront6targetE0EEEvSK_,"axG",@progbits,_ZN7rocprim17ROCPRIM_400000_NS6detail17trampoline_kernelINS0_14default_configENS1_38merge_sort_block_merge_config_selectorImNS0_10empty_typeEEEZZNS1_27merge_sort_block_merge_implIS3_N6thrust23THRUST_200600_302600_NS6detail15normal_iteratorINS9_10device_ptrImEEEEPS5_m11less_div_10ImEEE10hipError_tT0_T1_T2_jT3_P12ihipStream_tbPNSt15iterator_traitsISJ_E10value_typeEPNSP_ISK_E10value_typeEPSL_NS1_7vsmem_tEENKUlT_SJ_SK_SL_E_clISE_PmSF_SF_EESI_SY_SJ_SK_SL_EUlSY_E_NS1_11comp_targetILNS1_3genE2ELNS1_11target_archE906ELNS1_3gpuE6ELNS1_3repE0EEENS1_48merge_mergepath_partition_config_static_selectorELNS0_4arch9wavefront6targetE0EEEvSK_,comdat
.Lfunc_end646:
	.size	_ZN7rocprim17ROCPRIM_400000_NS6detail17trampoline_kernelINS0_14default_configENS1_38merge_sort_block_merge_config_selectorImNS0_10empty_typeEEEZZNS1_27merge_sort_block_merge_implIS3_N6thrust23THRUST_200600_302600_NS6detail15normal_iteratorINS9_10device_ptrImEEEEPS5_m11less_div_10ImEEE10hipError_tT0_T1_T2_jT3_P12ihipStream_tbPNSt15iterator_traitsISJ_E10value_typeEPNSP_ISK_E10value_typeEPSL_NS1_7vsmem_tEENKUlT_SJ_SK_SL_E_clISE_PmSF_SF_EESI_SY_SJ_SK_SL_EUlSY_E_NS1_11comp_targetILNS1_3genE2ELNS1_11target_archE906ELNS1_3gpuE6ELNS1_3repE0EEENS1_48merge_mergepath_partition_config_static_selectorELNS0_4arch9wavefront6targetE0EEEvSK_, .Lfunc_end646-_ZN7rocprim17ROCPRIM_400000_NS6detail17trampoline_kernelINS0_14default_configENS1_38merge_sort_block_merge_config_selectorImNS0_10empty_typeEEEZZNS1_27merge_sort_block_merge_implIS3_N6thrust23THRUST_200600_302600_NS6detail15normal_iteratorINS9_10device_ptrImEEEEPS5_m11less_div_10ImEEE10hipError_tT0_T1_T2_jT3_P12ihipStream_tbPNSt15iterator_traitsISJ_E10value_typeEPNSP_ISK_E10value_typeEPSL_NS1_7vsmem_tEENKUlT_SJ_SK_SL_E_clISE_PmSF_SF_EESI_SY_SJ_SK_SL_EUlSY_E_NS1_11comp_targetILNS1_3genE2ELNS1_11target_archE906ELNS1_3gpuE6ELNS1_3repE0EEENS1_48merge_mergepath_partition_config_static_selectorELNS0_4arch9wavefront6targetE0EEEvSK_
                                        ; -- End function
	.set _ZN7rocprim17ROCPRIM_400000_NS6detail17trampoline_kernelINS0_14default_configENS1_38merge_sort_block_merge_config_selectorImNS0_10empty_typeEEEZZNS1_27merge_sort_block_merge_implIS3_N6thrust23THRUST_200600_302600_NS6detail15normal_iteratorINS9_10device_ptrImEEEEPS5_m11less_div_10ImEEE10hipError_tT0_T1_T2_jT3_P12ihipStream_tbPNSt15iterator_traitsISJ_E10value_typeEPNSP_ISK_E10value_typeEPSL_NS1_7vsmem_tEENKUlT_SJ_SK_SL_E_clISE_PmSF_SF_EESI_SY_SJ_SK_SL_EUlSY_E_NS1_11comp_targetILNS1_3genE2ELNS1_11target_archE906ELNS1_3gpuE6ELNS1_3repE0EEENS1_48merge_mergepath_partition_config_static_selectorELNS0_4arch9wavefront6targetE0EEEvSK_.num_vgpr, 0
	.set _ZN7rocprim17ROCPRIM_400000_NS6detail17trampoline_kernelINS0_14default_configENS1_38merge_sort_block_merge_config_selectorImNS0_10empty_typeEEEZZNS1_27merge_sort_block_merge_implIS3_N6thrust23THRUST_200600_302600_NS6detail15normal_iteratorINS9_10device_ptrImEEEEPS5_m11less_div_10ImEEE10hipError_tT0_T1_T2_jT3_P12ihipStream_tbPNSt15iterator_traitsISJ_E10value_typeEPNSP_ISK_E10value_typeEPSL_NS1_7vsmem_tEENKUlT_SJ_SK_SL_E_clISE_PmSF_SF_EESI_SY_SJ_SK_SL_EUlSY_E_NS1_11comp_targetILNS1_3genE2ELNS1_11target_archE906ELNS1_3gpuE6ELNS1_3repE0EEENS1_48merge_mergepath_partition_config_static_selectorELNS0_4arch9wavefront6targetE0EEEvSK_.num_agpr, 0
	.set _ZN7rocprim17ROCPRIM_400000_NS6detail17trampoline_kernelINS0_14default_configENS1_38merge_sort_block_merge_config_selectorImNS0_10empty_typeEEEZZNS1_27merge_sort_block_merge_implIS3_N6thrust23THRUST_200600_302600_NS6detail15normal_iteratorINS9_10device_ptrImEEEEPS5_m11less_div_10ImEEE10hipError_tT0_T1_T2_jT3_P12ihipStream_tbPNSt15iterator_traitsISJ_E10value_typeEPNSP_ISK_E10value_typeEPSL_NS1_7vsmem_tEENKUlT_SJ_SK_SL_E_clISE_PmSF_SF_EESI_SY_SJ_SK_SL_EUlSY_E_NS1_11comp_targetILNS1_3genE2ELNS1_11target_archE906ELNS1_3gpuE6ELNS1_3repE0EEENS1_48merge_mergepath_partition_config_static_selectorELNS0_4arch9wavefront6targetE0EEEvSK_.numbered_sgpr, 0
	.set _ZN7rocprim17ROCPRIM_400000_NS6detail17trampoline_kernelINS0_14default_configENS1_38merge_sort_block_merge_config_selectorImNS0_10empty_typeEEEZZNS1_27merge_sort_block_merge_implIS3_N6thrust23THRUST_200600_302600_NS6detail15normal_iteratorINS9_10device_ptrImEEEEPS5_m11less_div_10ImEEE10hipError_tT0_T1_T2_jT3_P12ihipStream_tbPNSt15iterator_traitsISJ_E10value_typeEPNSP_ISK_E10value_typeEPSL_NS1_7vsmem_tEENKUlT_SJ_SK_SL_E_clISE_PmSF_SF_EESI_SY_SJ_SK_SL_EUlSY_E_NS1_11comp_targetILNS1_3genE2ELNS1_11target_archE906ELNS1_3gpuE6ELNS1_3repE0EEENS1_48merge_mergepath_partition_config_static_selectorELNS0_4arch9wavefront6targetE0EEEvSK_.num_named_barrier, 0
	.set _ZN7rocprim17ROCPRIM_400000_NS6detail17trampoline_kernelINS0_14default_configENS1_38merge_sort_block_merge_config_selectorImNS0_10empty_typeEEEZZNS1_27merge_sort_block_merge_implIS3_N6thrust23THRUST_200600_302600_NS6detail15normal_iteratorINS9_10device_ptrImEEEEPS5_m11less_div_10ImEEE10hipError_tT0_T1_T2_jT3_P12ihipStream_tbPNSt15iterator_traitsISJ_E10value_typeEPNSP_ISK_E10value_typeEPSL_NS1_7vsmem_tEENKUlT_SJ_SK_SL_E_clISE_PmSF_SF_EESI_SY_SJ_SK_SL_EUlSY_E_NS1_11comp_targetILNS1_3genE2ELNS1_11target_archE906ELNS1_3gpuE6ELNS1_3repE0EEENS1_48merge_mergepath_partition_config_static_selectorELNS0_4arch9wavefront6targetE0EEEvSK_.private_seg_size, 0
	.set _ZN7rocprim17ROCPRIM_400000_NS6detail17trampoline_kernelINS0_14default_configENS1_38merge_sort_block_merge_config_selectorImNS0_10empty_typeEEEZZNS1_27merge_sort_block_merge_implIS3_N6thrust23THRUST_200600_302600_NS6detail15normal_iteratorINS9_10device_ptrImEEEEPS5_m11less_div_10ImEEE10hipError_tT0_T1_T2_jT3_P12ihipStream_tbPNSt15iterator_traitsISJ_E10value_typeEPNSP_ISK_E10value_typeEPSL_NS1_7vsmem_tEENKUlT_SJ_SK_SL_E_clISE_PmSF_SF_EESI_SY_SJ_SK_SL_EUlSY_E_NS1_11comp_targetILNS1_3genE2ELNS1_11target_archE906ELNS1_3gpuE6ELNS1_3repE0EEENS1_48merge_mergepath_partition_config_static_selectorELNS0_4arch9wavefront6targetE0EEEvSK_.uses_vcc, 0
	.set _ZN7rocprim17ROCPRIM_400000_NS6detail17trampoline_kernelINS0_14default_configENS1_38merge_sort_block_merge_config_selectorImNS0_10empty_typeEEEZZNS1_27merge_sort_block_merge_implIS3_N6thrust23THRUST_200600_302600_NS6detail15normal_iteratorINS9_10device_ptrImEEEEPS5_m11less_div_10ImEEE10hipError_tT0_T1_T2_jT3_P12ihipStream_tbPNSt15iterator_traitsISJ_E10value_typeEPNSP_ISK_E10value_typeEPSL_NS1_7vsmem_tEENKUlT_SJ_SK_SL_E_clISE_PmSF_SF_EESI_SY_SJ_SK_SL_EUlSY_E_NS1_11comp_targetILNS1_3genE2ELNS1_11target_archE906ELNS1_3gpuE6ELNS1_3repE0EEENS1_48merge_mergepath_partition_config_static_selectorELNS0_4arch9wavefront6targetE0EEEvSK_.uses_flat_scratch, 0
	.set _ZN7rocprim17ROCPRIM_400000_NS6detail17trampoline_kernelINS0_14default_configENS1_38merge_sort_block_merge_config_selectorImNS0_10empty_typeEEEZZNS1_27merge_sort_block_merge_implIS3_N6thrust23THRUST_200600_302600_NS6detail15normal_iteratorINS9_10device_ptrImEEEEPS5_m11less_div_10ImEEE10hipError_tT0_T1_T2_jT3_P12ihipStream_tbPNSt15iterator_traitsISJ_E10value_typeEPNSP_ISK_E10value_typeEPSL_NS1_7vsmem_tEENKUlT_SJ_SK_SL_E_clISE_PmSF_SF_EESI_SY_SJ_SK_SL_EUlSY_E_NS1_11comp_targetILNS1_3genE2ELNS1_11target_archE906ELNS1_3gpuE6ELNS1_3repE0EEENS1_48merge_mergepath_partition_config_static_selectorELNS0_4arch9wavefront6targetE0EEEvSK_.has_dyn_sized_stack, 0
	.set _ZN7rocprim17ROCPRIM_400000_NS6detail17trampoline_kernelINS0_14default_configENS1_38merge_sort_block_merge_config_selectorImNS0_10empty_typeEEEZZNS1_27merge_sort_block_merge_implIS3_N6thrust23THRUST_200600_302600_NS6detail15normal_iteratorINS9_10device_ptrImEEEEPS5_m11less_div_10ImEEE10hipError_tT0_T1_T2_jT3_P12ihipStream_tbPNSt15iterator_traitsISJ_E10value_typeEPNSP_ISK_E10value_typeEPSL_NS1_7vsmem_tEENKUlT_SJ_SK_SL_E_clISE_PmSF_SF_EESI_SY_SJ_SK_SL_EUlSY_E_NS1_11comp_targetILNS1_3genE2ELNS1_11target_archE906ELNS1_3gpuE6ELNS1_3repE0EEENS1_48merge_mergepath_partition_config_static_selectorELNS0_4arch9wavefront6targetE0EEEvSK_.has_recursion, 0
	.set _ZN7rocprim17ROCPRIM_400000_NS6detail17trampoline_kernelINS0_14default_configENS1_38merge_sort_block_merge_config_selectorImNS0_10empty_typeEEEZZNS1_27merge_sort_block_merge_implIS3_N6thrust23THRUST_200600_302600_NS6detail15normal_iteratorINS9_10device_ptrImEEEEPS5_m11less_div_10ImEEE10hipError_tT0_T1_T2_jT3_P12ihipStream_tbPNSt15iterator_traitsISJ_E10value_typeEPNSP_ISK_E10value_typeEPSL_NS1_7vsmem_tEENKUlT_SJ_SK_SL_E_clISE_PmSF_SF_EESI_SY_SJ_SK_SL_EUlSY_E_NS1_11comp_targetILNS1_3genE2ELNS1_11target_archE906ELNS1_3gpuE6ELNS1_3repE0EEENS1_48merge_mergepath_partition_config_static_selectorELNS0_4arch9wavefront6targetE0EEEvSK_.has_indirect_call, 0
	.section	.AMDGPU.csdata,"",@progbits
; Kernel info:
; codeLenInByte = 0
; TotalNumSgprs: 0
; NumVgprs: 0
; ScratchSize: 0
; MemoryBound: 0
; FloatMode: 240
; IeeeMode: 1
; LDSByteSize: 0 bytes/workgroup (compile time only)
; SGPRBlocks: 0
; VGPRBlocks: 0
; NumSGPRsForWavesPerEU: 1
; NumVGPRsForWavesPerEU: 1
; Occupancy: 16
; WaveLimiterHint : 0
; COMPUTE_PGM_RSRC2:SCRATCH_EN: 0
; COMPUTE_PGM_RSRC2:USER_SGPR: 6
; COMPUTE_PGM_RSRC2:TRAP_HANDLER: 0
; COMPUTE_PGM_RSRC2:TGID_X_EN: 1
; COMPUTE_PGM_RSRC2:TGID_Y_EN: 0
; COMPUTE_PGM_RSRC2:TGID_Z_EN: 0
; COMPUTE_PGM_RSRC2:TIDIG_COMP_CNT: 0
	.section	.text._ZN7rocprim17ROCPRIM_400000_NS6detail17trampoline_kernelINS0_14default_configENS1_38merge_sort_block_merge_config_selectorImNS0_10empty_typeEEEZZNS1_27merge_sort_block_merge_implIS3_N6thrust23THRUST_200600_302600_NS6detail15normal_iteratorINS9_10device_ptrImEEEEPS5_m11less_div_10ImEEE10hipError_tT0_T1_T2_jT3_P12ihipStream_tbPNSt15iterator_traitsISJ_E10value_typeEPNSP_ISK_E10value_typeEPSL_NS1_7vsmem_tEENKUlT_SJ_SK_SL_E_clISE_PmSF_SF_EESI_SY_SJ_SK_SL_EUlSY_E_NS1_11comp_targetILNS1_3genE9ELNS1_11target_archE1100ELNS1_3gpuE3ELNS1_3repE0EEENS1_48merge_mergepath_partition_config_static_selectorELNS0_4arch9wavefront6targetE0EEEvSK_,"axG",@progbits,_ZN7rocprim17ROCPRIM_400000_NS6detail17trampoline_kernelINS0_14default_configENS1_38merge_sort_block_merge_config_selectorImNS0_10empty_typeEEEZZNS1_27merge_sort_block_merge_implIS3_N6thrust23THRUST_200600_302600_NS6detail15normal_iteratorINS9_10device_ptrImEEEEPS5_m11less_div_10ImEEE10hipError_tT0_T1_T2_jT3_P12ihipStream_tbPNSt15iterator_traitsISJ_E10value_typeEPNSP_ISK_E10value_typeEPSL_NS1_7vsmem_tEENKUlT_SJ_SK_SL_E_clISE_PmSF_SF_EESI_SY_SJ_SK_SL_EUlSY_E_NS1_11comp_targetILNS1_3genE9ELNS1_11target_archE1100ELNS1_3gpuE3ELNS1_3repE0EEENS1_48merge_mergepath_partition_config_static_selectorELNS0_4arch9wavefront6targetE0EEEvSK_,comdat
	.protected	_ZN7rocprim17ROCPRIM_400000_NS6detail17trampoline_kernelINS0_14default_configENS1_38merge_sort_block_merge_config_selectorImNS0_10empty_typeEEEZZNS1_27merge_sort_block_merge_implIS3_N6thrust23THRUST_200600_302600_NS6detail15normal_iteratorINS9_10device_ptrImEEEEPS5_m11less_div_10ImEEE10hipError_tT0_T1_T2_jT3_P12ihipStream_tbPNSt15iterator_traitsISJ_E10value_typeEPNSP_ISK_E10value_typeEPSL_NS1_7vsmem_tEENKUlT_SJ_SK_SL_E_clISE_PmSF_SF_EESI_SY_SJ_SK_SL_EUlSY_E_NS1_11comp_targetILNS1_3genE9ELNS1_11target_archE1100ELNS1_3gpuE3ELNS1_3repE0EEENS1_48merge_mergepath_partition_config_static_selectorELNS0_4arch9wavefront6targetE0EEEvSK_ ; -- Begin function _ZN7rocprim17ROCPRIM_400000_NS6detail17trampoline_kernelINS0_14default_configENS1_38merge_sort_block_merge_config_selectorImNS0_10empty_typeEEEZZNS1_27merge_sort_block_merge_implIS3_N6thrust23THRUST_200600_302600_NS6detail15normal_iteratorINS9_10device_ptrImEEEEPS5_m11less_div_10ImEEE10hipError_tT0_T1_T2_jT3_P12ihipStream_tbPNSt15iterator_traitsISJ_E10value_typeEPNSP_ISK_E10value_typeEPSL_NS1_7vsmem_tEENKUlT_SJ_SK_SL_E_clISE_PmSF_SF_EESI_SY_SJ_SK_SL_EUlSY_E_NS1_11comp_targetILNS1_3genE9ELNS1_11target_archE1100ELNS1_3gpuE3ELNS1_3repE0EEENS1_48merge_mergepath_partition_config_static_selectorELNS0_4arch9wavefront6targetE0EEEvSK_
	.globl	_ZN7rocprim17ROCPRIM_400000_NS6detail17trampoline_kernelINS0_14default_configENS1_38merge_sort_block_merge_config_selectorImNS0_10empty_typeEEEZZNS1_27merge_sort_block_merge_implIS3_N6thrust23THRUST_200600_302600_NS6detail15normal_iteratorINS9_10device_ptrImEEEEPS5_m11less_div_10ImEEE10hipError_tT0_T1_T2_jT3_P12ihipStream_tbPNSt15iterator_traitsISJ_E10value_typeEPNSP_ISK_E10value_typeEPSL_NS1_7vsmem_tEENKUlT_SJ_SK_SL_E_clISE_PmSF_SF_EESI_SY_SJ_SK_SL_EUlSY_E_NS1_11comp_targetILNS1_3genE9ELNS1_11target_archE1100ELNS1_3gpuE3ELNS1_3repE0EEENS1_48merge_mergepath_partition_config_static_selectorELNS0_4arch9wavefront6targetE0EEEvSK_
	.p2align	8
	.type	_ZN7rocprim17ROCPRIM_400000_NS6detail17trampoline_kernelINS0_14default_configENS1_38merge_sort_block_merge_config_selectorImNS0_10empty_typeEEEZZNS1_27merge_sort_block_merge_implIS3_N6thrust23THRUST_200600_302600_NS6detail15normal_iteratorINS9_10device_ptrImEEEEPS5_m11less_div_10ImEEE10hipError_tT0_T1_T2_jT3_P12ihipStream_tbPNSt15iterator_traitsISJ_E10value_typeEPNSP_ISK_E10value_typeEPSL_NS1_7vsmem_tEENKUlT_SJ_SK_SL_E_clISE_PmSF_SF_EESI_SY_SJ_SK_SL_EUlSY_E_NS1_11comp_targetILNS1_3genE9ELNS1_11target_archE1100ELNS1_3gpuE3ELNS1_3repE0EEENS1_48merge_mergepath_partition_config_static_selectorELNS0_4arch9wavefront6targetE0EEEvSK_,@function
_ZN7rocprim17ROCPRIM_400000_NS6detail17trampoline_kernelINS0_14default_configENS1_38merge_sort_block_merge_config_selectorImNS0_10empty_typeEEEZZNS1_27merge_sort_block_merge_implIS3_N6thrust23THRUST_200600_302600_NS6detail15normal_iteratorINS9_10device_ptrImEEEEPS5_m11less_div_10ImEEE10hipError_tT0_T1_T2_jT3_P12ihipStream_tbPNSt15iterator_traitsISJ_E10value_typeEPNSP_ISK_E10value_typeEPSL_NS1_7vsmem_tEENKUlT_SJ_SK_SL_E_clISE_PmSF_SF_EESI_SY_SJ_SK_SL_EUlSY_E_NS1_11comp_targetILNS1_3genE9ELNS1_11target_archE1100ELNS1_3gpuE3ELNS1_3repE0EEENS1_48merge_mergepath_partition_config_static_selectorELNS0_4arch9wavefront6targetE0EEEvSK_: ; @_ZN7rocprim17ROCPRIM_400000_NS6detail17trampoline_kernelINS0_14default_configENS1_38merge_sort_block_merge_config_selectorImNS0_10empty_typeEEEZZNS1_27merge_sort_block_merge_implIS3_N6thrust23THRUST_200600_302600_NS6detail15normal_iteratorINS9_10device_ptrImEEEEPS5_m11less_div_10ImEEE10hipError_tT0_T1_T2_jT3_P12ihipStream_tbPNSt15iterator_traitsISJ_E10value_typeEPNSP_ISK_E10value_typeEPSL_NS1_7vsmem_tEENKUlT_SJ_SK_SL_E_clISE_PmSF_SF_EESI_SY_SJ_SK_SL_EUlSY_E_NS1_11comp_targetILNS1_3genE9ELNS1_11target_archE1100ELNS1_3gpuE3ELNS1_3repE0EEENS1_48merge_mergepath_partition_config_static_selectorELNS0_4arch9wavefront6targetE0EEEvSK_
; %bb.0:
	.section	.rodata,"a",@progbits
	.p2align	6, 0x0
	.amdhsa_kernel _ZN7rocprim17ROCPRIM_400000_NS6detail17trampoline_kernelINS0_14default_configENS1_38merge_sort_block_merge_config_selectorImNS0_10empty_typeEEEZZNS1_27merge_sort_block_merge_implIS3_N6thrust23THRUST_200600_302600_NS6detail15normal_iteratorINS9_10device_ptrImEEEEPS5_m11less_div_10ImEEE10hipError_tT0_T1_T2_jT3_P12ihipStream_tbPNSt15iterator_traitsISJ_E10value_typeEPNSP_ISK_E10value_typeEPSL_NS1_7vsmem_tEENKUlT_SJ_SK_SL_E_clISE_PmSF_SF_EESI_SY_SJ_SK_SL_EUlSY_E_NS1_11comp_targetILNS1_3genE9ELNS1_11target_archE1100ELNS1_3gpuE3ELNS1_3repE0EEENS1_48merge_mergepath_partition_config_static_selectorELNS0_4arch9wavefront6targetE0EEEvSK_
		.amdhsa_group_segment_fixed_size 0
		.amdhsa_private_segment_fixed_size 0
		.amdhsa_kernarg_size 48
		.amdhsa_user_sgpr_count 6
		.amdhsa_user_sgpr_private_segment_buffer 1
		.amdhsa_user_sgpr_dispatch_ptr 0
		.amdhsa_user_sgpr_queue_ptr 0
		.amdhsa_user_sgpr_kernarg_segment_ptr 1
		.amdhsa_user_sgpr_dispatch_id 0
		.amdhsa_user_sgpr_flat_scratch_init 0
		.amdhsa_user_sgpr_private_segment_size 0
		.amdhsa_wavefront_size32 1
		.amdhsa_uses_dynamic_stack 0
		.amdhsa_system_sgpr_private_segment_wavefront_offset 0
		.amdhsa_system_sgpr_workgroup_id_x 1
		.amdhsa_system_sgpr_workgroup_id_y 0
		.amdhsa_system_sgpr_workgroup_id_z 0
		.amdhsa_system_sgpr_workgroup_info 0
		.amdhsa_system_vgpr_workitem_id 0
		.amdhsa_next_free_vgpr 1
		.amdhsa_next_free_sgpr 1
		.amdhsa_reserve_vcc 0
		.amdhsa_reserve_flat_scratch 0
		.amdhsa_float_round_mode_32 0
		.amdhsa_float_round_mode_16_64 0
		.amdhsa_float_denorm_mode_32 3
		.amdhsa_float_denorm_mode_16_64 3
		.amdhsa_dx10_clamp 1
		.amdhsa_ieee_mode 1
		.amdhsa_fp16_overflow 0
		.amdhsa_workgroup_processor_mode 1
		.amdhsa_memory_ordered 1
		.amdhsa_forward_progress 1
		.amdhsa_shared_vgpr_count 0
		.amdhsa_exception_fp_ieee_invalid_op 0
		.amdhsa_exception_fp_denorm_src 0
		.amdhsa_exception_fp_ieee_div_zero 0
		.amdhsa_exception_fp_ieee_overflow 0
		.amdhsa_exception_fp_ieee_underflow 0
		.amdhsa_exception_fp_ieee_inexact 0
		.amdhsa_exception_int_div_zero 0
	.end_amdhsa_kernel
	.section	.text._ZN7rocprim17ROCPRIM_400000_NS6detail17trampoline_kernelINS0_14default_configENS1_38merge_sort_block_merge_config_selectorImNS0_10empty_typeEEEZZNS1_27merge_sort_block_merge_implIS3_N6thrust23THRUST_200600_302600_NS6detail15normal_iteratorINS9_10device_ptrImEEEEPS5_m11less_div_10ImEEE10hipError_tT0_T1_T2_jT3_P12ihipStream_tbPNSt15iterator_traitsISJ_E10value_typeEPNSP_ISK_E10value_typeEPSL_NS1_7vsmem_tEENKUlT_SJ_SK_SL_E_clISE_PmSF_SF_EESI_SY_SJ_SK_SL_EUlSY_E_NS1_11comp_targetILNS1_3genE9ELNS1_11target_archE1100ELNS1_3gpuE3ELNS1_3repE0EEENS1_48merge_mergepath_partition_config_static_selectorELNS0_4arch9wavefront6targetE0EEEvSK_,"axG",@progbits,_ZN7rocprim17ROCPRIM_400000_NS6detail17trampoline_kernelINS0_14default_configENS1_38merge_sort_block_merge_config_selectorImNS0_10empty_typeEEEZZNS1_27merge_sort_block_merge_implIS3_N6thrust23THRUST_200600_302600_NS6detail15normal_iteratorINS9_10device_ptrImEEEEPS5_m11less_div_10ImEEE10hipError_tT0_T1_T2_jT3_P12ihipStream_tbPNSt15iterator_traitsISJ_E10value_typeEPNSP_ISK_E10value_typeEPSL_NS1_7vsmem_tEENKUlT_SJ_SK_SL_E_clISE_PmSF_SF_EESI_SY_SJ_SK_SL_EUlSY_E_NS1_11comp_targetILNS1_3genE9ELNS1_11target_archE1100ELNS1_3gpuE3ELNS1_3repE0EEENS1_48merge_mergepath_partition_config_static_selectorELNS0_4arch9wavefront6targetE0EEEvSK_,comdat
.Lfunc_end647:
	.size	_ZN7rocprim17ROCPRIM_400000_NS6detail17trampoline_kernelINS0_14default_configENS1_38merge_sort_block_merge_config_selectorImNS0_10empty_typeEEEZZNS1_27merge_sort_block_merge_implIS3_N6thrust23THRUST_200600_302600_NS6detail15normal_iteratorINS9_10device_ptrImEEEEPS5_m11less_div_10ImEEE10hipError_tT0_T1_T2_jT3_P12ihipStream_tbPNSt15iterator_traitsISJ_E10value_typeEPNSP_ISK_E10value_typeEPSL_NS1_7vsmem_tEENKUlT_SJ_SK_SL_E_clISE_PmSF_SF_EESI_SY_SJ_SK_SL_EUlSY_E_NS1_11comp_targetILNS1_3genE9ELNS1_11target_archE1100ELNS1_3gpuE3ELNS1_3repE0EEENS1_48merge_mergepath_partition_config_static_selectorELNS0_4arch9wavefront6targetE0EEEvSK_, .Lfunc_end647-_ZN7rocprim17ROCPRIM_400000_NS6detail17trampoline_kernelINS0_14default_configENS1_38merge_sort_block_merge_config_selectorImNS0_10empty_typeEEEZZNS1_27merge_sort_block_merge_implIS3_N6thrust23THRUST_200600_302600_NS6detail15normal_iteratorINS9_10device_ptrImEEEEPS5_m11less_div_10ImEEE10hipError_tT0_T1_T2_jT3_P12ihipStream_tbPNSt15iterator_traitsISJ_E10value_typeEPNSP_ISK_E10value_typeEPSL_NS1_7vsmem_tEENKUlT_SJ_SK_SL_E_clISE_PmSF_SF_EESI_SY_SJ_SK_SL_EUlSY_E_NS1_11comp_targetILNS1_3genE9ELNS1_11target_archE1100ELNS1_3gpuE3ELNS1_3repE0EEENS1_48merge_mergepath_partition_config_static_selectorELNS0_4arch9wavefront6targetE0EEEvSK_
                                        ; -- End function
	.set _ZN7rocprim17ROCPRIM_400000_NS6detail17trampoline_kernelINS0_14default_configENS1_38merge_sort_block_merge_config_selectorImNS0_10empty_typeEEEZZNS1_27merge_sort_block_merge_implIS3_N6thrust23THRUST_200600_302600_NS6detail15normal_iteratorINS9_10device_ptrImEEEEPS5_m11less_div_10ImEEE10hipError_tT0_T1_T2_jT3_P12ihipStream_tbPNSt15iterator_traitsISJ_E10value_typeEPNSP_ISK_E10value_typeEPSL_NS1_7vsmem_tEENKUlT_SJ_SK_SL_E_clISE_PmSF_SF_EESI_SY_SJ_SK_SL_EUlSY_E_NS1_11comp_targetILNS1_3genE9ELNS1_11target_archE1100ELNS1_3gpuE3ELNS1_3repE0EEENS1_48merge_mergepath_partition_config_static_selectorELNS0_4arch9wavefront6targetE0EEEvSK_.num_vgpr, 0
	.set _ZN7rocprim17ROCPRIM_400000_NS6detail17trampoline_kernelINS0_14default_configENS1_38merge_sort_block_merge_config_selectorImNS0_10empty_typeEEEZZNS1_27merge_sort_block_merge_implIS3_N6thrust23THRUST_200600_302600_NS6detail15normal_iteratorINS9_10device_ptrImEEEEPS5_m11less_div_10ImEEE10hipError_tT0_T1_T2_jT3_P12ihipStream_tbPNSt15iterator_traitsISJ_E10value_typeEPNSP_ISK_E10value_typeEPSL_NS1_7vsmem_tEENKUlT_SJ_SK_SL_E_clISE_PmSF_SF_EESI_SY_SJ_SK_SL_EUlSY_E_NS1_11comp_targetILNS1_3genE9ELNS1_11target_archE1100ELNS1_3gpuE3ELNS1_3repE0EEENS1_48merge_mergepath_partition_config_static_selectorELNS0_4arch9wavefront6targetE0EEEvSK_.num_agpr, 0
	.set _ZN7rocprim17ROCPRIM_400000_NS6detail17trampoline_kernelINS0_14default_configENS1_38merge_sort_block_merge_config_selectorImNS0_10empty_typeEEEZZNS1_27merge_sort_block_merge_implIS3_N6thrust23THRUST_200600_302600_NS6detail15normal_iteratorINS9_10device_ptrImEEEEPS5_m11less_div_10ImEEE10hipError_tT0_T1_T2_jT3_P12ihipStream_tbPNSt15iterator_traitsISJ_E10value_typeEPNSP_ISK_E10value_typeEPSL_NS1_7vsmem_tEENKUlT_SJ_SK_SL_E_clISE_PmSF_SF_EESI_SY_SJ_SK_SL_EUlSY_E_NS1_11comp_targetILNS1_3genE9ELNS1_11target_archE1100ELNS1_3gpuE3ELNS1_3repE0EEENS1_48merge_mergepath_partition_config_static_selectorELNS0_4arch9wavefront6targetE0EEEvSK_.numbered_sgpr, 0
	.set _ZN7rocprim17ROCPRIM_400000_NS6detail17trampoline_kernelINS0_14default_configENS1_38merge_sort_block_merge_config_selectorImNS0_10empty_typeEEEZZNS1_27merge_sort_block_merge_implIS3_N6thrust23THRUST_200600_302600_NS6detail15normal_iteratorINS9_10device_ptrImEEEEPS5_m11less_div_10ImEEE10hipError_tT0_T1_T2_jT3_P12ihipStream_tbPNSt15iterator_traitsISJ_E10value_typeEPNSP_ISK_E10value_typeEPSL_NS1_7vsmem_tEENKUlT_SJ_SK_SL_E_clISE_PmSF_SF_EESI_SY_SJ_SK_SL_EUlSY_E_NS1_11comp_targetILNS1_3genE9ELNS1_11target_archE1100ELNS1_3gpuE3ELNS1_3repE0EEENS1_48merge_mergepath_partition_config_static_selectorELNS0_4arch9wavefront6targetE0EEEvSK_.num_named_barrier, 0
	.set _ZN7rocprim17ROCPRIM_400000_NS6detail17trampoline_kernelINS0_14default_configENS1_38merge_sort_block_merge_config_selectorImNS0_10empty_typeEEEZZNS1_27merge_sort_block_merge_implIS3_N6thrust23THRUST_200600_302600_NS6detail15normal_iteratorINS9_10device_ptrImEEEEPS5_m11less_div_10ImEEE10hipError_tT0_T1_T2_jT3_P12ihipStream_tbPNSt15iterator_traitsISJ_E10value_typeEPNSP_ISK_E10value_typeEPSL_NS1_7vsmem_tEENKUlT_SJ_SK_SL_E_clISE_PmSF_SF_EESI_SY_SJ_SK_SL_EUlSY_E_NS1_11comp_targetILNS1_3genE9ELNS1_11target_archE1100ELNS1_3gpuE3ELNS1_3repE0EEENS1_48merge_mergepath_partition_config_static_selectorELNS0_4arch9wavefront6targetE0EEEvSK_.private_seg_size, 0
	.set _ZN7rocprim17ROCPRIM_400000_NS6detail17trampoline_kernelINS0_14default_configENS1_38merge_sort_block_merge_config_selectorImNS0_10empty_typeEEEZZNS1_27merge_sort_block_merge_implIS3_N6thrust23THRUST_200600_302600_NS6detail15normal_iteratorINS9_10device_ptrImEEEEPS5_m11less_div_10ImEEE10hipError_tT0_T1_T2_jT3_P12ihipStream_tbPNSt15iterator_traitsISJ_E10value_typeEPNSP_ISK_E10value_typeEPSL_NS1_7vsmem_tEENKUlT_SJ_SK_SL_E_clISE_PmSF_SF_EESI_SY_SJ_SK_SL_EUlSY_E_NS1_11comp_targetILNS1_3genE9ELNS1_11target_archE1100ELNS1_3gpuE3ELNS1_3repE0EEENS1_48merge_mergepath_partition_config_static_selectorELNS0_4arch9wavefront6targetE0EEEvSK_.uses_vcc, 0
	.set _ZN7rocprim17ROCPRIM_400000_NS6detail17trampoline_kernelINS0_14default_configENS1_38merge_sort_block_merge_config_selectorImNS0_10empty_typeEEEZZNS1_27merge_sort_block_merge_implIS3_N6thrust23THRUST_200600_302600_NS6detail15normal_iteratorINS9_10device_ptrImEEEEPS5_m11less_div_10ImEEE10hipError_tT0_T1_T2_jT3_P12ihipStream_tbPNSt15iterator_traitsISJ_E10value_typeEPNSP_ISK_E10value_typeEPSL_NS1_7vsmem_tEENKUlT_SJ_SK_SL_E_clISE_PmSF_SF_EESI_SY_SJ_SK_SL_EUlSY_E_NS1_11comp_targetILNS1_3genE9ELNS1_11target_archE1100ELNS1_3gpuE3ELNS1_3repE0EEENS1_48merge_mergepath_partition_config_static_selectorELNS0_4arch9wavefront6targetE0EEEvSK_.uses_flat_scratch, 0
	.set _ZN7rocprim17ROCPRIM_400000_NS6detail17trampoline_kernelINS0_14default_configENS1_38merge_sort_block_merge_config_selectorImNS0_10empty_typeEEEZZNS1_27merge_sort_block_merge_implIS3_N6thrust23THRUST_200600_302600_NS6detail15normal_iteratorINS9_10device_ptrImEEEEPS5_m11less_div_10ImEEE10hipError_tT0_T1_T2_jT3_P12ihipStream_tbPNSt15iterator_traitsISJ_E10value_typeEPNSP_ISK_E10value_typeEPSL_NS1_7vsmem_tEENKUlT_SJ_SK_SL_E_clISE_PmSF_SF_EESI_SY_SJ_SK_SL_EUlSY_E_NS1_11comp_targetILNS1_3genE9ELNS1_11target_archE1100ELNS1_3gpuE3ELNS1_3repE0EEENS1_48merge_mergepath_partition_config_static_selectorELNS0_4arch9wavefront6targetE0EEEvSK_.has_dyn_sized_stack, 0
	.set _ZN7rocprim17ROCPRIM_400000_NS6detail17trampoline_kernelINS0_14default_configENS1_38merge_sort_block_merge_config_selectorImNS0_10empty_typeEEEZZNS1_27merge_sort_block_merge_implIS3_N6thrust23THRUST_200600_302600_NS6detail15normal_iteratorINS9_10device_ptrImEEEEPS5_m11less_div_10ImEEE10hipError_tT0_T1_T2_jT3_P12ihipStream_tbPNSt15iterator_traitsISJ_E10value_typeEPNSP_ISK_E10value_typeEPSL_NS1_7vsmem_tEENKUlT_SJ_SK_SL_E_clISE_PmSF_SF_EESI_SY_SJ_SK_SL_EUlSY_E_NS1_11comp_targetILNS1_3genE9ELNS1_11target_archE1100ELNS1_3gpuE3ELNS1_3repE0EEENS1_48merge_mergepath_partition_config_static_selectorELNS0_4arch9wavefront6targetE0EEEvSK_.has_recursion, 0
	.set _ZN7rocprim17ROCPRIM_400000_NS6detail17trampoline_kernelINS0_14default_configENS1_38merge_sort_block_merge_config_selectorImNS0_10empty_typeEEEZZNS1_27merge_sort_block_merge_implIS3_N6thrust23THRUST_200600_302600_NS6detail15normal_iteratorINS9_10device_ptrImEEEEPS5_m11less_div_10ImEEE10hipError_tT0_T1_T2_jT3_P12ihipStream_tbPNSt15iterator_traitsISJ_E10value_typeEPNSP_ISK_E10value_typeEPSL_NS1_7vsmem_tEENKUlT_SJ_SK_SL_E_clISE_PmSF_SF_EESI_SY_SJ_SK_SL_EUlSY_E_NS1_11comp_targetILNS1_3genE9ELNS1_11target_archE1100ELNS1_3gpuE3ELNS1_3repE0EEENS1_48merge_mergepath_partition_config_static_selectorELNS0_4arch9wavefront6targetE0EEEvSK_.has_indirect_call, 0
	.section	.AMDGPU.csdata,"",@progbits
; Kernel info:
; codeLenInByte = 0
; TotalNumSgprs: 0
; NumVgprs: 0
; ScratchSize: 0
; MemoryBound: 0
; FloatMode: 240
; IeeeMode: 1
; LDSByteSize: 0 bytes/workgroup (compile time only)
; SGPRBlocks: 0
; VGPRBlocks: 0
; NumSGPRsForWavesPerEU: 1
; NumVGPRsForWavesPerEU: 1
; Occupancy: 16
; WaveLimiterHint : 0
; COMPUTE_PGM_RSRC2:SCRATCH_EN: 0
; COMPUTE_PGM_RSRC2:USER_SGPR: 6
; COMPUTE_PGM_RSRC2:TRAP_HANDLER: 0
; COMPUTE_PGM_RSRC2:TGID_X_EN: 1
; COMPUTE_PGM_RSRC2:TGID_Y_EN: 0
; COMPUTE_PGM_RSRC2:TGID_Z_EN: 0
; COMPUTE_PGM_RSRC2:TIDIG_COMP_CNT: 0
	.section	.text._ZN7rocprim17ROCPRIM_400000_NS6detail17trampoline_kernelINS0_14default_configENS1_38merge_sort_block_merge_config_selectorImNS0_10empty_typeEEEZZNS1_27merge_sort_block_merge_implIS3_N6thrust23THRUST_200600_302600_NS6detail15normal_iteratorINS9_10device_ptrImEEEEPS5_m11less_div_10ImEEE10hipError_tT0_T1_T2_jT3_P12ihipStream_tbPNSt15iterator_traitsISJ_E10value_typeEPNSP_ISK_E10value_typeEPSL_NS1_7vsmem_tEENKUlT_SJ_SK_SL_E_clISE_PmSF_SF_EESI_SY_SJ_SK_SL_EUlSY_E_NS1_11comp_targetILNS1_3genE8ELNS1_11target_archE1030ELNS1_3gpuE2ELNS1_3repE0EEENS1_48merge_mergepath_partition_config_static_selectorELNS0_4arch9wavefront6targetE0EEEvSK_,"axG",@progbits,_ZN7rocprim17ROCPRIM_400000_NS6detail17trampoline_kernelINS0_14default_configENS1_38merge_sort_block_merge_config_selectorImNS0_10empty_typeEEEZZNS1_27merge_sort_block_merge_implIS3_N6thrust23THRUST_200600_302600_NS6detail15normal_iteratorINS9_10device_ptrImEEEEPS5_m11less_div_10ImEEE10hipError_tT0_T1_T2_jT3_P12ihipStream_tbPNSt15iterator_traitsISJ_E10value_typeEPNSP_ISK_E10value_typeEPSL_NS1_7vsmem_tEENKUlT_SJ_SK_SL_E_clISE_PmSF_SF_EESI_SY_SJ_SK_SL_EUlSY_E_NS1_11comp_targetILNS1_3genE8ELNS1_11target_archE1030ELNS1_3gpuE2ELNS1_3repE0EEENS1_48merge_mergepath_partition_config_static_selectorELNS0_4arch9wavefront6targetE0EEEvSK_,comdat
	.protected	_ZN7rocprim17ROCPRIM_400000_NS6detail17trampoline_kernelINS0_14default_configENS1_38merge_sort_block_merge_config_selectorImNS0_10empty_typeEEEZZNS1_27merge_sort_block_merge_implIS3_N6thrust23THRUST_200600_302600_NS6detail15normal_iteratorINS9_10device_ptrImEEEEPS5_m11less_div_10ImEEE10hipError_tT0_T1_T2_jT3_P12ihipStream_tbPNSt15iterator_traitsISJ_E10value_typeEPNSP_ISK_E10value_typeEPSL_NS1_7vsmem_tEENKUlT_SJ_SK_SL_E_clISE_PmSF_SF_EESI_SY_SJ_SK_SL_EUlSY_E_NS1_11comp_targetILNS1_3genE8ELNS1_11target_archE1030ELNS1_3gpuE2ELNS1_3repE0EEENS1_48merge_mergepath_partition_config_static_selectorELNS0_4arch9wavefront6targetE0EEEvSK_ ; -- Begin function _ZN7rocprim17ROCPRIM_400000_NS6detail17trampoline_kernelINS0_14default_configENS1_38merge_sort_block_merge_config_selectorImNS0_10empty_typeEEEZZNS1_27merge_sort_block_merge_implIS3_N6thrust23THRUST_200600_302600_NS6detail15normal_iteratorINS9_10device_ptrImEEEEPS5_m11less_div_10ImEEE10hipError_tT0_T1_T2_jT3_P12ihipStream_tbPNSt15iterator_traitsISJ_E10value_typeEPNSP_ISK_E10value_typeEPSL_NS1_7vsmem_tEENKUlT_SJ_SK_SL_E_clISE_PmSF_SF_EESI_SY_SJ_SK_SL_EUlSY_E_NS1_11comp_targetILNS1_3genE8ELNS1_11target_archE1030ELNS1_3gpuE2ELNS1_3repE0EEENS1_48merge_mergepath_partition_config_static_selectorELNS0_4arch9wavefront6targetE0EEEvSK_
	.globl	_ZN7rocprim17ROCPRIM_400000_NS6detail17trampoline_kernelINS0_14default_configENS1_38merge_sort_block_merge_config_selectorImNS0_10empty_typeEEEZZNS1_27merge_sort_block_merge_implIS3_N6thrust23THRUST_200600_302600_NS6detail15normal_iteratorINS9_10device_ptrImEEEEPS5_m11less_div_10ImEEE10hipError_tT0_T1_T2_jT3_P12ihipStream_tbPNSt15iterator_traitsISJ_E10value_typeEPNSP_ISK_E10value_typeEPSL_NS1_7vsmem_tEENKUlT_SJ_SK_SL_E_clISE_PmSF_SF_EESI_SY_SJ_SK_SL_EUlSY_E_NS1_11comp_targetILNS1_3genE8ELNS1_11target_archE1030ELNS1_3gpuE2ELNS1_3repE0EEENS1_48merge_mergepath_partition_config_static_selectorELNS0_4arch9wavefront6targetE0EEEvSK_
	.p2align	8
	.type	_ZN7rocprim17ROCPRIM_400000_NS6detail17trampoline_kernelINS0_14default_configENS1_38merge_sort_block_merge_config_selectorImNS0_10empty_typeEEEZZNS1_27merge_sort_block_merge_implIS3_N6thrust23THRUST_200600_302600_NS6detail15normal_iteratorINS9_10device_ptrImEEEEPS5_m11less_div_10ImEEE10hipError_tT0_T1_T2_jT3_P12ihipStream_tbPNSt15iterator_traitsISJ_E10value_typeEPNSP_ISK_E10value_typeEPSL_NS1_7vsmem_tEENKUlT_SJ_SK_SL_E_clISE_PmSF_SF_EESI_SY_SJ_SK_SL_EUlSY_E_NS1_11comp_targetILNS1_3genE8ELNS1_11target_archE1030ELNS1_3gpuE2ELNS1_3repE0EEENS1_48merge_mergepath_partition_config_static_selectorELNS0_4arch9wavefront6targetE0EEEvSK_,@function
_ZN7rocprim17ROCPRIM_400000_NS6detail17trampoline_kernelINS0_14default_configENS1_38merge_sort_block_merge_config_selectorImNS0_10empty_typeEEEZZNS1_27merge_sort_block_merge_implIS3_N6thrust23THRUST_200600_302600_NS6detail15normal_iteratorINS9_10device_ptrImEEEEPS5_m11less_div_10ImEEE10hipError_tT0_T1_T2_jT3_P12ihipStream_tbPNSt15iterator_traitsISJ_E10value_typeEPNSP_ISK_E10value_typeEPSL_NS1_7vsmem_tEENKUlT_SJ_SK_SL_E_clISE_PmSF_SF_EESI_SY_SJ_SK_SL_EUlSY_E_NS1_11comp_targetILNS1_3genE8ELNS1_11target_archE1030ELNS1_3gpuE2ELNS1_3repE0EEENS1_48merge_mergepath_partition_config_static_selectorELNS0_4arch9wavefront6targetE0EEEvSK_: ; @_ZN7rocprim17ROCPRIM_400000_NS6detail17trampoline_kernelINS0_14default_configENS1_38merge_sort_block_merge_config_selectorImNS0_10empty_typeEEEZZNS1_27merge_sort_block_merge_implIS3_N6thrust23THRUST_200600_302600_NS6detail15normal_iteratorINS9_10device_ptrImEEEEPS5_m11less_div_10ImEEE10hipError_tT0_T1_T2_jT3_P12ihipStream_tbPNSt15iterator_traitsISJ_E10value_typeEPNSP_ISK_E10value_typeEPSL_NS1_7vsmem_tEENKUlT_SJ_SK_SL_E_clISE_PmSF_SF_EESI_SY_SJ_SK_SL_EUlSY_E_NS1_11comp_targetILNS1_3genE8ELNS1_11target_archE1030ELNS1_3gpuE2ELNS1_3repE0EEENS1_48merge_mergepath_partition_config_static_selectorELNS0_4arch9wavefront6targetE0EEEvSK_
; %bb.0:
	s_load_dword s0, s[4:5], 0x0
	v_lshl_or_b32 v0, s6, 7, v0
	s_waitcnt lgkmcnt(0)
	v_cmp_gt_u32_e32 vcc_lo, s0, v0
	s_and_saveexec_b32 s0, vcc_lo
	s_cbranch_execz .LBB648_6
; %bb.1:
	s_load_dwordx4 s[0:3], s[4:5], 0x8
	v_mov_b32_e32 v2, 0
	v_mov_b32_e32 v11, v2
	s_waitcnt lgkmcnt(0)
	s_lshr_b64 s[6:7], s[0:1], 9
	s_and_b32 s6, s6, -2
	s_sub_i32 s7, 0, s6
	s_add_i32 s6, s6, -1
	v_and_b32_e32 v1, s7, v0
	v_and_b32_e32 v10, s6, v0
	v_lshlrev_b64 v[4:5], 10, v[1:2]
	v_add_co_u32 v6, vcc_lo, v4, s0
	v_add_co_ci_u32_e64 v7, null, s1, v5, vcc_lo
	v_cmp_lt_u64_e32 vcc_lo, s[2:3], v[6:7]
	v_cndmask_b32_e64 v8, v6, s2, vcc_lo
	v_cndmask_b32_e64 v9, v7, s3, vcc_lo
	v_add_co_u32 v6, vcc_lo, v8, s0
	v_add_co_ci_u32_e64 v7, null, s1, v9, vcc_lo
	v_cmp_lt_u64_e32 vcc_lo, s[2:3], v[4:5]
	s_mov_b32 s1, 0
	v_cmp_lt_u64_e64 s0, s[2:3], v[6:7]
	v_cndmask_b32_e64 v2, v4, s2, vcc_lo
	v_cndmask_b32_e64 v3, v5, s3, vcc_lo
	v_lshlrev_b64 v[4:5], 10, v[10:11]
	v_cndmask_b32_e64 v12, v6, s2, s0
	v_cndmask_b32_e64 v1, v7, s3, s0
	s_load_dwordx2 s[2:3], s[4:5], 0x28
	v_sub_co_u32 v6, vcc_lo, v12, v2
	v_sub_co_ci_u32_e64 v7, null, v1, v3, vcc_lo
	v_cmp_lt_u64_e32 vcc_lo, v[6:7], v[4:5]
	v_cndmask_b32_e32 v11, v5, v7, vcc_lo
	v_cndmask_b32_e32 v10, v4, v6, vcc_lo
	v_sub_co_u32 v4, vcc_lo, v8, v12
	v_sub_co_ci_u32_e64 v1, null, v9, v1, vcc_lo
	v_add_co_u32 v4, vcc_lo, v10, v4
	v_add_co_ci_u32_e64 v5, null, v11, v1, vcc_lo
	v_sub_co_u32 v6, vcc_lo, v8, v2
	v_sub_co_ci_u32_e64 v7, null, v9, v3, vcc_lo
	v_cmp_gt_u64_e32 vcc_lo, v[4:5], v[10:11]
	v_cmp_lt_u64_e64 s0, v[10:11], v[6:7]
	v_cndmask_b32_e64 v5, v5, 0, vcc_lo
	v_cndmask_b32_e64 v4, v4, 0, vcc_lo
	v_cndmask_b32_e64 v7, v7, v11, s0
	v_cndmask_b32_e64 v6, v6, v10, s0
	s_mov_b32 s0, exec_lo
	v_cmpx_lt_u64_e64 v[4:5], v[6:7]
	s_cbranch_execz .LBB648_5
; %bb.2:
	s_load_dwordx2 s[4:5], s[4:5], 0x18
	v_lshlrev_b64 v[8:9], 3, v[8:9]
	v_lshlrev_b64 v[12:13], 3, v[2:3]
	;; [unrolled: 1-line block ×3, first 2 shown]
	s_waitcnt lgkmcnt(0)
	v_add_co_u32 v14, vcc_lo, s4, v8
	v_add_co_ci_u32_e64 v15, null, s5, v9, vcc_lo
	v_add_co_u32 v1, vcc_lo, s4, v12
	v_add_co_ci_u32_e64 v8, null, s5, v13, vcc_lo
	;; [unrolled: 2-line block ×3, first 2 shown]
	s_inst_prefetch 0x1
	.p2align	6
.LBB648_3:                              ; =>This Inner Loop Header: Depth=1
	v_add_co_u32 v11, vcc_lo, v6, v4
	v_add_co_ci_u32_e64 v12, null, v7, v5, vcc_lo
	v_lshrrev_b64 v[11:12], 1, v[11:12]
	v_lshlrev_b64 v[13:14], 3, v[11:12]
	v_xor_b32_e32 v15, -8, v13
	v_xor_b32_e32 v16, -1, v14
	v_add_co_u32 v13, vcc_lo, v1, v13
	v_add_co_ci_u32_e64 v14, null, v8, v14, vcc_lo
	v_add_co_u32 v15, vcc_lo, v9, v15
	v_add_co_ci_u32_e64 v16, null, v10, v16, vcc_lo
	v_add_co_u32 v17, vcc_lo, v11, 1
	flat_load_dword v13, v[13:14]
	flat_load_dword v14, v[15:16]
	s_waitcnt vmcnt(1) lgkmcnt(1)
	v_mul_hi_i32 v13, 0x66666667, v13
	s_waitcnt vmcnt(0) lgkmcnt(0)
	v_mul_hi_i32 v14, 0x66666667, v14
	v_lshrrev_b32_e32 v15, 31, v13
	v_ashrrev_i32_e32 v13, 2, v13
	v_lshrrev_b32_e32 v16, 31, v14
	v_ashrrev_i32_e32 v14, 2, v14
	v_add_nc_u32_e32 v13, v13, v15
	v_add_co_ci_u32_e64 v15, null, 0, v12, vcc_lo
	v_add_nc_u32_e32 v14, v14, v16
	v_cmp_lt_i32_e32 vcc_lo, v14, v13
	v_cndmask_b32_e32 v7, v7, v12, vcc_lo
	v_cndmask_b32_e32 v6, v6, v11, vcc_lo
	;; [unrolled: 1-line block ×4, first 2 shown]
	v_cmp_ge_u64_e32 vcc_lo, v[4:5], v[6:7]
	s_or_b32 s1, vcc_lo, s1
	s_andn2_b32 exec_lo, exec_lo, s1
	s_cbranch_execnz .LBB648_3
; %bb.4:
	s_inst_prefetch 0x2
	s_or_b32 exec_lo, exec_lo, s1
.LBB648_5:
	s_or_b32 exec_lo, exec_lo, s0
	v_mov_b32_e32 v1, 0
	v_add_co_u32 v2, vcc_lo, v4, v2
	v_add_co_ci_u32_e64 v3, null, v5, v3, vcc_lo
	v_lshlrev_b64 v[0:1], 3, v[0:1]
	s_waitcnt lgkmcnt(0)
	v_add_co_u32 v0, vcc_lo, s2, v0
	v_add_co_ci_u32_e64 v1, null, s3, v1, vcc_lo
	global_store_dwordx2 v[0:1], v[2:3], off
.LBB648_6:
	s_endpgm
	.section	.rodata,"a",@progbits
	.p2align	6, 0x0
	.amdhsa_kernel _ZN7rocprim17ROCPRIM_400000_NS6detail17trampoline_kernelINS0_14default_configENS1_38merge_sort_block_merge_config_selectorImNS0_10empty_typeEEEZZNS1_27merge_sort_block_merge_implIS3_N6thrust23THRUST_200600_302600_NS6detail15normal_iteratorINS9_10device_ptrImEEEEPS5_m11less_div_10ImEEE10hipError_tT0_T1_T2_jT3_P12ihipStream_tbPNSt15iterator_traitsISJ_E10value_typeEPNSP_ISK_E10value_typeEPSL_NS1_7vsmem_tEENKUlT_SJ_SK_SL_E_clISE_PmSF_SF_EESI_SY_SJ_SK_SL_EUlSY_E_NS1_11comp_targetILNS1_3genE8ELNS1_11target_archE1030ELNS1_3gpuE2ELNS1_3repE0EEENS1_48merge_mergepath_partition_config_static_selectorELNS0_4arch9wavefront6targetE0EEEvSK_
		.amdhsa_group_segment_fixed_size 0
		.amdhsa_private_segment_fixed_size 0
		.amdhsa_kernarg_size 48
		.amdhsa_user_sgpr_count 6
		.amdhsa_user_sgpr_private_segment_buffer 1
		.amdhsa_user_sgpr_dispatch_ptr 0
		.amdhsa_user_sgpr_queue_ptr 0
		.amdhsa_user_sgpr_kernarg_segment_ptr 1
		.amdhsa_user_sgpr_dispatch_id 0
		.amdhsa_user_sgpr_flat_scratch_init 0
		.amdhsa_user_sgpr_private_segment_size 0
		.amdhsa_wavefront_size32 1
		.amdhsa_uses_dynamic_stack 0
		.amdhsa_system_sgpr_private_segment_wavefront_offset 0
		.amdhsa_system_sgpr_workgroup_id_x 1
		.amdhsa_system_sgpr_workgroup_id_y 0
		.amdhsa_system_sgpr_workgroup_id_z 0
		.amdhsa_system_sgpr_workgroup_info 0
		.amdhsa_system_vgpr_workitem_id 0
		.amdhsa_next_free_vgpr 18
		.amdhsa_next_free_sgpr 8
		.amdhsa_reserve_vcc 1
		.amdhsa_reserve_flat_scratch 0
		.amdhsa_float_round_mode_32 0
		.amdhsa_float_round_mode_16_64 0
		.amdhsa_float_denorm_mode_32 3
		.amdhsa_float_denorm_mode_16_64 3
		.amdhsa_dx10_clamp 1
		.amdhsa_ieee_mode 1
		.amdhsa_fp16_overflow 0
		.amdhsa_workgroup_processor_mode 1
		.amdhsa_memory_ordered 1
		.amdhsa_forward_progress 1
		.amdhsa_shared_vgpr_count 0
		.amdhsa_exception_fp_ieee_invalid_op 0
		.amdhsa_exception_fp_denorm_src 0
		.amdhsa_exception_fp_ieee_div_zero 0
		.amdhsa_exception_fp_ieee_overflow 0
		.amdhsa_exception_fp_ieee_underflow 0
		.amdhsa_exception_fp_ieee_inexact 0
		.amdhsa_exception_int_div_zero 0
	.end_amdhsa_kernel
	.section	.text._ZN7rocprim17ROCPRIM_400000_NS6detail17trampoline_kernelINS0_14default_configENS1_38merge_sort_block_merge_config_selectorImNS0_10empty_typeEEEZZNS1_27merge_sort_block_merge_implIS3_N6thrust23THRUST_200600_302600_NS6detail15normal_iteratorINS9_10device_ptrImEEEEPS5_m11less_div_10ImEEE10hipError_tT0_T1_T2_jT3_P12ihipStream_tbPNSt15iterator_traitsISJ_E10value_typeEPNSP_ISK_E10value_typeEPSL_NS1_7vsmem_tEENKUlT_SJ_SK_SL_E_clISE_PmSF_SF_EESI_SY_SJ_SK_SL_EUlSY_E_NS1_11comp_targetILNS1_3genE8ELNS1_11target_archE1030ELNS1_3gpuE2ELNS1_3repE0EEENS1_48merge_mergepath_partition_config_static_selectorELNS0_4arch9wavefront6targetE0EEEvSK_,"axG",@progbits,_ZN7rocprim17ROCPRIM_400000_NS6detail17trampoline_kernelINS0_14default_configENS1_38merge_sort_block_merge_config_selectorImNS0_10empty_typeEEEZZNS1_27merge_sort_block_merge_implIS3_N6thrust23THRUST_200600_302600_NS6detail15normal_iteratorINS9_10device_ptrImEEEEPS5_m11less_div_10ImEEE10hipError_tT0_T1_T2_jT3_P12ihipStream_tbPNSt15iterator_traitsISJ_E10value_typeEPNSP_ISK_E10value_typeEPSL_NS1_7vsmem_tEENKUlT_SJ_SK_SL_E_clISE_PmSF_SF_EESI_SY_SJ_SK_SL_EUlSY_E_NS1_11comp_targetILNS1_3genE8ELNS1_11target_archE1030ELNS1_3gpuE2ELNS1_3repE0EEENS1_48merge_mergepath_partition_config_static_selectorELNS0_4arch9wavefront6targetE0EEEvSK_,comdat
.Lfunc_end648:
	.size	_ZN7rocprim17ROCPRIM_400000_NS6detail17trampoline_kernelINS0_14default_configENS1_38merge_sort_block_merge_config_selectorImNS0_10empty_typeEEEZZNS1_27merge_sort_block_merge_implIS3_N6thrust23THRUST_200600_302600_NS6detail15normal_iteratorINS9_10device_ptrImEEEEPS5_m11less_div_10ImEEE10hipError_tT0_T1_T2_jT3_P12ihipStream_tbPNSt15iterator_traitsISJ_E10value_typeEPNSP_ISK_E10value_typeEPSL_NS1_7vsmem_tEENKUlT_SJ_SK_SL_E_clISE_PmSF_SF_EESI_SY_SJ_SK_SL_EUlSY_E_NS1_11comp_targetILNS1_3genE8ELNS1_11target_archE1030ELNS1_3gpuE2ELNS1_3repE0EEENS1_48merge_mergepath_partition_config_static_selectorELNS0_4arch9wavefront6targetE0EEEvSK_, .Lfunc_end648-_ZN7rocprim17ROCPRIM_400000_NS6detail17trampoline_kernelINS0_14default_configENS1_38merge_sort_block_merge_config_selectorImNS0_10empty_typeEEEZZNS1_27merge_sort_block_merge_implIS3_N6thrust23THRUST_200600_302600_NS6detail15normal_iteratorINS9_10device_ptrImEEEEPS5_m11less_div_10ImEEE10hipError_tT0_T1_T2_jT3_P12ihipStream_tbPNSt15iterator_traitsISJ_E10value_typeEPNSP_ISK_E10value_typeEPSL_NS1_7vsmem_tEENKUlT_SJ_SK_SL_E_clISE_PmSF_SF_EESI_SY_SJ_SK_SL_EUlSY_E_NS1_11comp_targetILNS1_3genE8ELNS1_11target_archE1030ELNS1_3gpuE2ELNS1_3repE0EEENS1_48merge_mergepath_partition_config_static_selectorELNS0_4arch9wavefront6targetE0EEEvSK_
                                        ; -- End function
	.set _ZN7rocprim17ROCPRIM_400000_NS6detail17trampoline_kernelINS0_14default_configENS1_38merge_sort_block_merge_config_selectorImNS0_10empty_typeEEEZZNS1_27merge_sort_block_merge_implIS3_N6thrust23THRUST_200600_302600_NS6detail15normal_iteratorINS9_10device_ptrImEEEEPS5_m11less_div_10ImEEE10hipError_tT0_T1_T2_jT3_P12ihipStream_tbPNSt15iterator_traitsISJ_E10value_typeEPNSP_ISK_E10value_typeEPSL_NS1_7vsmem_tEENKUlT_SJ_SK_SL_E_clISE_PmSF_SF_EESI_SY_SJ_SK_SL_EUlSY_E_NS1_11comp_targetILNS1_3genE8ELNS1_11target_archE1030ELNS1_3gpuE2ELNS1_3repE0EEENS1_48merge_mergepath_partition_config_static_selectorELNS0_4arch9wavefront6targetE0EEEvSK_.num_vgpr, 18
	.set _ZN7rocprim17ROCPRIM_400000_NS6detail17trampoline_kernelINS0_14default_configENS1_38merge_sort_block_merge_config_selectorImNS0_10empty_typeEEEZZNS1_27merge_sort_block_merge_implIS3_N6thrust23THRUST_200600_302600_NS6detail15normal_iteratorINS9_10device_ptrImEEEEPS5_m11less_div_10ImEEE10hipError_tT0_T1_T2_jT3_P12ihipStream_tbPNSt15iterator_traitsISJ_E10value_typeEPNSP_ISK_E10value_typeEPSL_NS1_7vsmem_tEENKUlT_SJ_SK_SL_E_clISE_PmSF_SF_EESI_SY_SJ_SK_SL_EUlSY_E_NS1_11comp_targetILNS1_3genE8ELNS1_11target_archE1030ELNS1_3gpuE2ELNS1_3repE0EEENS1_48merge_mergepath_partition_config_static_selectorELNS0_4arch9wavefront6targetE0EEEvSK_.num_agpr, 0
	.set _ZN7rocprim17ROCPRIM_400000_NS6detail17trampoline_kernelINS0_14default_configENS1_38merge_sort_block_merge_config_selectorImNS0_10empty_typeEEEZZNS1_27merge_sort_block_merge_implIS3_N6thrust23THRUST_200600_302600_NS6detail15normal_iteratorINS9_10device_ptrImEEEEPS5_m11less_div_10ImEEE10hipError_tT0_T1_T2_jT3_P12ihipStream_tbPNSt15iterator_traitsISJ_E10value_typeEPNSP_ISK_E10value_typeEPSL_NS1_7vsmem_tEENKUlT_SJ_SK_SL_E_clISE_PmSF_SF_EESI_SY_SJ_SK_SL_EUlSY_E_NS1_11comp_targetILNS1_3genE8ELNS1_11target_archE1030ELNS1_3gpuE2ELNS1_3repE0EEENS1_48merge_mergepath_partition_config_static_selectorELNS0_4arch9wavefront6targetE0EEEvSK_.numbered_sgpr, 8
	.set _ZN7rocprim17ROCPRIM_400000_NS6detail17trampoline_kernelINS0_14default_configENS1_38merge_sort_block_merge_config_selectorImNS0_10empty_typeEEEZZNS1_27merge_sort_block_merge_implIS3_N6thrust23THRUST_200600_302600_NS6detail15normal_iteratorINS9_10device_ptrImEEEEPS5_m11less_div_10ImEEE10hipError_tT0_T1_T2_jT3_P12ihipStream_tbPNSt15iterator_traitsISJ_E10value_typeEPNSP_ISK_E10value_typeEPSL_NS1_7vsmem_tEENKUlT_SJ_SK_SL_E_clISE_PmSF_SF_EESI_SY_SJ_SK_SL_EUlSY_E_NS1_11comp_targetILNS1_3genE8ELNS1_11target_archE1030ELNS1_3gpuE2ELNS1_3repE0EEENS1_48merge_mergepath_partition_config_static_selectorELNS0_4arch9wavefront6targetE0EEEvSK_.num_named_barrier, 0
	.set _ZN7rocprim17ROCPRIM_400000_NS6detail17trampoline_kernelINS0_14default_configENS1_38merge_sort_block_merge_config_selectorImNS0_10empty_typeEEEZZNS1_27merge_sort_block_merge_implIS3_N6thrust23THRUST_200600_302600_NS6detail15normal_iteratorINS9_10device_ptrImEEEEPS5_m11less_div_10ImEEE10hipError_tT0_T1_T2_jT3_P12ihipStream_tbPNSt15iterator_traitsISJ_E10value_typeEPNSP_ISK_E10value_typeEPSL_NS1_7vsmem_tEENKUlT_SJ_SK_SL_E_clISE_PmSF_SF_EESI_SY_SJ_SK_SL_EUlSY_E_NS1_11comp_targetILNS1_3genE8ELNS1_11target_archE1030ELNS1_3gpuE2ELNS1_3repE0EEENS1_48merge_mergepath_partition_config_static_selectorELNS0_4arch9wavefront6targetE0EEEvSK_.private_seg_size, 0
	.set _ZN7rocprim17ROCPRIM_400000_NS6detail17trampoline_kernelINS0_14default_configENS1_38merge_sort_block_merge_config_selectorImNS0_10empty_typeEEEZZNS1_27merge_sort_block_merge_implIS3_N6thrust23THRUST_200600_302600_NS6detail15normal_iteratorINS9_10device_ptrImEEEEPS5_m11less_div_10ImEEE10hipError_tT0_T1_T2_jT3_P12ihipStream_tbPNSt15iterator_traitsISJ_E10value_typeEPNSP_ISK_E10value_typeEPSL_NS1_7vsmem_tEENKUlT_SJ_SK_SL_E_clISE_PmSF_SF_EESI_SY_SJ_SK_SL_EUlSY_E_NS1_11comp_targetILNS1_3genE8ELNS1_11target_archE1030ELNS1_3gpuE2ELNS1_3repE0EEENS1_48merge_mergepath_partition_config_static_selectorELNS0_4arch9wavefront6targetE0EEEvSK_.uses_vcc, 1
	.set _ZN7rocprim17ROCPRIM_400000_NS6detail17trampoline_kernelINS0_14default_configENS1_38merge_sort_block_merge_config_selectorImNS0_10empty_typeEEEZZNS1_27merge_sort_block_merge_implIS3_N6thrust23THRUST_200600_302600_NS6detail15normal_iteratorINS9_10device_ptrImEEEEPS5_m11less_div_10ImEEE10hipError_tT0_T1_T2_jT3_P12ihipStream_tbPNSt15iterator_traitsISJ_E10value_typeEPNSP_ISK_E10value_typeEPSL_NS1_7vsmem_tEENKUlT_SJ_SK_SL_E_clISE_PmSF_SF_EESI_SY_SJ_SK_SL_EUlSY_E_NS1_11comp_targetILNS1_3genE8ELNS1_11target_archE1030ELNS1_3gpuE2ELNS1_3repE0EEENS1_48merge_mergepath_partition_config_static_selectorELNS0_4arch9wavefront6targetE0EEEvSK_.uses_flat_scratch, 0
	.set _ZN7rocprim17ROCPRIM_400000_NS6detail17trampoline_kernelINS0_14default_configENS1_38merge_sort_block_merge_config_selectorImNS0_10empty_typeEEEZZNS1_27merge_sort_block_merge_implIS3_N6thrust23THRUST_200600_302600_NS6detail15normal_iteratorINS9_10device_ptrImEEEEPS5_m11less_div_10ImEEE10hipError_tT0_T1_T2_jT3_P12ihipStream_tbPNSt15iterator_traitsISJ_E10value_typeEPNSP_ISK_E10value_typeEPSL_NS1_7vsmem_tEENKUlT_SJ_SK_SL_E_clISE_PmSF_SF_EESI_SY_SJ_SK_SL_EUlSY_E_NS1_11comp_targetILNS1_3genE8ELNS1_11target_archE1030ELNS1_3gpuE2ELNS1_3repE0EEENS1_48merge_mergepath_partition_config_static_selectorELNS0_4arch9wavefront6targetE0EEEvSK_.has_dyn_sized_stack, 0
	.set _ZN7rocprim17ROCPRIM_400000_NS6detail17trampoline_kernelINS0_14default_configENS1_38merge_sort_block_merge_config_selectorImNS0_10empty_typeEEEZZNS1_27merge_sort_block_merge_implIS3_N6thrust23THRUST_200600_302600_NS6detail15normal_iteratorINS9_10device_ptrImEEEEPS5_m11less_div_10ImEEE10hipError_tT0_T1_T2_jT3_P12ihipStream_tbPNSt15iterator_traitsISJ_E10value_typeEPNSP_ISK_E10value_typeEPSL_NS1_7vsmem_tEENKUlT_SJ_SK_SL_E_clISE_PmSF_SF_EESI_SY_SJ_SK_SL_EUlSY_E_NS1_11comp_targetILNS1_3genE8ELNS1_11target_archE1030ELNS1_3gpuE2ELNS1_3repE0EEENS1_48merge_mergepath_partition_config_static_selectorELNS0_4arch9wavefront6targetE0EEEvSK_.has_recursion, 0
	.set _ZN7rocprim17ROCPRIM_400000_NS6detail17trampoline_kernelINS0_14default_configENS1_38merge_sort_block_merge_config_selectorImNS0_10empty_typeEEEZZNS1_27merge_sort_block_merge_implIS3_N6thrust23THRUST_200600_302600_NS6detail15normal_iteratorINS9_10device_ptrImEEEEPS5_m11less_div_10ImEEE10hipError_tT0_T1_T2_jT3_P12ihipStream_tbPNSt15iterator_traitsISJ_E10value_typeEPNSP_ISK_E10value_typeEPSL_NS1_7vsmem_tEENKUlT_SJ_SK_SL_E_clISE_PmSF_SF_EESI_SY_SJ_SK_SL_EUlSY_E_NS1_11comp_targetILNS1_3genE8ELNS1_11target_archE1030ELNS1_3gpuE2ELNS1_3repE0EEENS1_48merge_mergepath_partition_config_static_selectorELNS0_4arch9wavefront6targetE0EEEvSK_.has_indirect_call, 0
	.section	.AMDGPU.csdata,"",@progbits
; Kernel info:
; codeLenInByte = 716
; TotalNumSgprs: 10
; NumVgprs: 18
; ScratchSize: 0
; MemoryBound: 0
; FloatMode: 240
; IeeeMode: 1
; LDSByteSize: 0 bytes/workgroup (compile time only)
; SGPRBlocks: 0
; VGPRBlocks: 2
; NumSGPRsForWavesPerEU: 10
; NumVGPRsForWavesPerEU: 18
; Occupancy: 16
; WaveLimiterHint : 0
; COMPUTE_PGM_RSRC2:SCRATCH_EN: 0
; COMPUTE_PGM_RSRC2:USER_SGPR: 6
; COMPUTE_PGM_RSRC2:TRAP_HANDLER: 0
; COMPUTE_PGM_RSRC2:TGID_X_EN: 1
; COMPUTE_PGM_RSRC2:TGID_Y_EN: 0
; COMPUTE_PGM_RSRC2:TGID_Z_EN: 0
; COMPUTE_PGM_RSRC2:TIDIG_COMP_CNT: 0
	.section	.text._ZN7rocprim17ROCPRIM_400000_NS6detail17trampoline_kernelINS0_14default_configENS1_38merge_sort_block_merge_config_selectorImNS0_10empty_typeEEEZZNS1_27merge_sort_block_merge_implIS3_N6thrust23THRUST_200600_302600_NS6detail15normal_iteratorINS9_10device_ptrImEEEEPS5_m11less_div_10ImEEE10hipError_tT0_T1_T2_jT3_P12ihipStream_tbPNSt15iterator_traitsISJ_E10value_typeEPNSP_ISK_E10value_typeEPSL_NS1_7vsmem_tEENKUlT_SJ_SK_SL_E_clISE_PmSF_SF_EESI_SY_SJ_SK_SL_EUlSY_E0_NS1_11comp_targetILNS1_3genE0ELNS1_11target_archE4294967295ELNS1_3gpuE0ELNS1_3repE0EEENS1_38merge_mergepath_config_static_selectorELNS0_4arch9wavefront6targetE0EEEvSK_,"axG",@progbits,_ZN7rocprim17ROCPRIM_400000_NS6detail17trampoline_kernelINS0_14default_configENS1_38merge_sort_block_merge_config_selectorImNS0_10empty_typeEEEZZNS1_27merge_sort_block_merge_implIS3_N6thrust23THRUST_200600_302600_NS6detail15normal_iteratorINS9_10device_ptrImEEEEPS5_m11less_div_10ImEEE10hipError_tT0_T1_T2_jT3_P12ihipStream_tbPNSt15iterator_traitsISJ_E10value_typeEPNSP_ISK_E10value_typeEPSL_NS1_7vsmem_tEENKUlT_SJ_SK_SL_E_clISE_PmSF_SF_EESI_SY_SJ_SK_SL_EUlSY_E0_NS1_11comp_targetILNS1_3genE0ELNS1_11target_archE4294967295ELNS1_3gpuE0ELNS1_3repE0EEENS1_38merge_mergepath_config_static_selectorELNS0_4arch9wavefront6targetE0EEEvSK_,comdat
	.protected	_ZN7rocprim17ROCPRIM_400000_NS6detail17trampoline_kernelINS0_14default_configENS1_38merge_sort_block_merge_config_selectorImNS0_10empty_typeEEEZZNS1_27merge_sort_block_merge_implIS3_N6thrust23THRUST_200600_302600_NS6detail15normal_iteratorINS9_10device_ptrImEEEEPS5_m11less_div_10ImEEE10hipError_tT0_T1_T2_jT3_P12ihipStream_tbPNSt15iterator_traitsISJ_E10value_typeEPNSP_ISK_E10value_typeEPSL_NS1_7vsmem_tEENKUlT_SJ_SK_SL_E_clISE_PmSF_SF_EESI_SY_SJ_SK_SL_EUlSY_E0_NS1_11comp_targetILNS1_3genE0ELNS1_11target_archE4294967295ELNS1_3gpuE0ELNS1_3repE0EEENS1_38merge_mergepath_config_static_selectorELNS0_4arch9wavefront6targetE0EEEvSK_ ; -- Begin function _ZN7rocprim17ROCPRIM_400000_NS6detail17trampoline_kernelINS0_14default_configENS1_38merge_sort_block_merge_config_selectorImNS0_10empty_typeEEEZZNS1_27merge_sort_block_merge_implIS3_N6thrust23THRUST_200600_302600_NS6detail15normal_iteratorINS9_10device_ptrImEEEEPS5_m11less_div_10ImEEE10hipError_tT0_T1_T2_jT3_P12ihipStream_tbPNSt15iterator_traitsISJ_E10value_typeEPNSP_ISK_E10value_typeEPSL_NS1_7vsmem_tEENKUlT_SJ_SK_SL_E_clISE_PmSF_SF_EESI_SY_SJ_SK_SL_EUlSY_E0_NS1_11comp_targetILNS1_3genE0ELNS1_11target_archE4294967295ELNS1_3gpuE0ELNS1_3repE0EEENS1_38merge_mergepath_config_static_selectorELNS0_4arch9wavefront6targetE0EEEvSK_
	.globl	_ZN7rocprim17ROCPRIM_400000_NS6detail17trampoline_kernelINS0_14default_configENS1_38merge_sort_block_merge_config_selectorImNS0_10empty_typeEEEZZNS1_27merge_sort_block_merge_implIS3_N6thrust23THRUST_200600_302600_NS6detail15normal_iteratorINS9_10device_ptrImEEEEPS5_m11less_div_10ImEEE10hipError_tT0_T1_T2_jT3_P12ihipStream_tbPNSt15iterator_traitsISJ_E10value_typeEPNSP_ISK_E10value_typeEPSL_NS1_7vsmem_tEENKUlT_SJ_SK_SL_E_clISE_PmSF_SF_EESI_SY_SJ_SK_SL_EUlSY_E0_NS1_11comp_targetILNS1_3genE0ELNS1_11target_archE4294967295ELNS1_3gpuE0ELNS1_3repE0EEENS1_38merge_mergepath_config_static_selectorELNS0_4arch9wavefront6targetE0EEEvSK_
	.p2align	8
	.type	_ZN7rocprim17ROCPRIM_400000_NS6detail17trampoline_kernelINS0_14default_configENS1_38merge_sort_block_merge_config_selectorImNS0_10empty_typeEEEZZNS1_27merge_sort_block_merge_implIS3_N6thrust23THRUST_200600_302600_NS6detail15normal_iteratorINS9_10device_ptrImEEEEPS5_m11less_div_10ImEEE10hipError_tT0_T1_T2_jT3_P12ihipStream_tbPNSt15iterator_traitsISJ_E10value_typeEPNSP_ISK_E10value_typeEPSL_NS1_7vsmem_tEENKUlT_SJ_SK_SL_E_clISE_PmSF_SF_EESI_SY_SJ_SK_SL_EUlSY_E0_NS1_11comp_targetILNS1_3genE0ELNS1_11target_archE4294967295ELNS1_3gpuE0ELNS1_3repE0EEENS1_38merge_mergepath_config_static_selectorELNS0_4arch9wavefront6targetE0EEEvSK_,@function
_ZN7rocprim17ROCPRIM_400000_NS6detail17trampoline_kernelINS0_14default_configENS1_38merge_sort_block_merge_config_selectorImNS0_10empty_typeEEEZZNS1_27merge_sort_block_merge_implIS3_N6thrust23THRUST_200600_302600_NS6detail15normal_iteratorINS9_10device_ptrImEEEEPS5_m11less_div_10ImEEE10hipError_tT0_T1_T2_jT3_P12ihipStream_tbPNSt15iterator_traitsISJ_E10value_typeEPNSP_ISK_E10value_typeEPSL_NS1_7vsmem_tEENKUlT_SJ_SK_SL_E_clISE_PmSF_SF_EESI_SY_SJ_SK_SL_EUlSY_E0_NS1_11comp_targetILNS1_3genE0ELNS1_11target_archE4294967295ELNS1_3gpuE0ELNS1_3repE0EEENS1_38merge_mergepath_config_static_selectorELNS0_4arch9wavefront6targetE0EEEvSK_: ; @_ZN7rocprim17ROCPRIM_400000_NS6detail17trampoline_kernelINS0_14default_configENS1_38merge_sort_block_merge_config_selectorImNS0_10empty_typeEEEZZNS1_27merge_sort_block_merge_implIS3_N6thrust23THRUST_200600_302600_NS6detail15normal_iteratorINS9_10device_ptrImEEEEPS5_m11less_div_10ImEEE10hipError_tT0_T1_T2_jT3_P12ihipStream_tbPNSt15iterator_traitsISJ_E10value_typeEPNSP_ISK_E10value_typeEPSL_NS1_7vsmem_tEENKUlT_SJ_SK_SL_E_clISE_PmSF_SF_EESI_SY_SJ_SK_SL_EUlSY_E0_NS1_11comp_targetILNS1_3genE0ELNS1_11target_archE4294967295ELNS1_3gpuE0ELNS1_3repE0EEENS1_38merge_mergepath_config_static_selectorELNS0_4arch9wavefront6targetE0EEEvSK_
; %bb.0:
	.section	.rodata,"a",@progbits
	.p2align	6, 0x0
	.amdhsa_kernel _ZN7rocprim17ROCPRIM_400000_NS6detail17trampoline_kernelINS0_14default_configENS1_38merge_sort_block_merge_config_selectorImNS0_10empty_typeEEEZZNS1_27merge_sort_block_merge_implIS3_N6thrust23THRUST_200600_302600_NS6detail15normal_iteratorINS9_10device_ptrImEEEEPS5_m11less_div_10ImEEE10hipError_tT0_T1_T2_jT3_P12ihipStream_tbPNSt15iterator_traitsISJ_E10value_typeEPNSP_ISK_E10value_typeEPSL_NS1_7vsmem_tEENKUlT_SJ_SK_SL_E_clISE_PmSF_SF_EESI_SY_SJ_SK_SL_EUlSY_E0_NS1_11comp_targetILNS1_3genE0ELNS1_11target_archE4294967295ELNS1_3gpuE0ELNS1_3repE0EEENS1_38merge_mergepath_config_static_selectorELNS0_4arch9wavefront6targetE0EEEvSK_
		.amdhsa_group_segment_fixed_size 0
		.amdhsa_private_segment_fixed_size 0
		.amdhsa_kernarg_size 72
		.amdhsa_user_sgpr_count 6
		.amdhsa_user_sgpr_private_segment_buffer 1
		.amdhsa_user_sgpr_dispatch_ptr 0
		.amdhsa_user_sgpr_queue_ptr 0
		.amdhsa_user_sgpr_kernarg_segment_ptr 1
		.amdhsa_user_sgpr_dispatch_id 0
		.amdhsa_user_sgpr_flat_scratch_init 0
		.amdhsa_user_sgpr_private_segment_size 0
		.amdhsa_wavefront_size32 1
		.amdhsa_uses_dynamic_stack 0
		.amdhsa_system_sgpr_private_segment_wavefront_offset 0
		.amdhsa_system_sgpr_workgroup_id_x 1
		.amdhsa_system_sgpr_workgroup_id_y 0
		.amdhsa_system_sgpr_workgroup_id_z 0
		.amdhsa_system_sgpr_workgroup_info 0
		.amdhsa_system_vgpr_workitem_id 0
		.amdhsa_next_free_vgpr 1
		.amdhsa_next_free_sgpr 1
		.amdhsa_reserve_vcc 0
		.amdhsa_reserve_flat_scratch 0
		.amdhsa_float_round_mode_32 0
		.amdhsa_float_round_mode_16_64 0
		.amdhsa_float_denorm_mode_32 3
		.amdhsa_float_denorm_mode_16_64 3
		.amdhsa_dx10_clamp 1
		.amdhsa_ieee_mode 1
		.amdhsa_fp16_overflow 0
		.amdhsa_workgroup_processor_mode 1
		.amdhsa_memory_ordered 1
		.amdhsa_forward_progress 1
		.amdhsa_shared_vgpr_count 0
		.amdhsa_exception_fp_ieee_invalid_op 0
		.amdhsa_exception_fp_denorm_src 0
		.amdhsa_exception_fp_ieee_div_zero 0
		.amdhsa_exception_fp_ieee_overflow 0
		.amdhsa_exception_fp_ieee_underflow 0
		.amdhsa_exception_fp_ieee_inexact 0
		.amdhsa_exception_int_div_zero 0
	.end_amdhsa_kernel
	.section	.text._ZN7rocprim17ROCPRIM_400000_NS6detail17trampoline_kernelINS0_14default_configENS1_38merge_sort_block_merge_config_selectorImNS0_10empty_typeEEEZZNS1_27merge_sort_block_merge_implIS3_N6thrust23THRUST_200600_302600_NS6detail15normal_iteratorINS9_10device_ptrImEEEEPS5_m11less_div_10ImEEE10hipError_tT0_T1_T2_jT3_P12ihipStream_tbPNSt15iterator_traitsISJ_E10value_typeEPNSP_ISK_E10value_typeEPSL_NS1_7vsmem_tEENKUlT_SJ_SK_SL_E_clISE_PmSF_SF_EESI_SY_SJ_SK_SL_EUlSY_E0_NS1_11comp_targetILNS1_3genE0ELNS1_11target_archE4294967295ELNS1_3gpuE0ELNS1_3repE0EEENS1_38merge_mergepath_config_static_selectorELNS0_4arch9wavefront6targetE0EEEvSK_,"axG",@progbits,_ZN7rocprim17ROCPRIM_400000_NS6detail17trampoline_kernelINS0_14default_configENS1_38merge_sort_block_merge_config_selectorImNS0_10empty_typeEEEZZNS1_27merge_sort_block_merge_implIS3_N6thrust23THRUST_200600_302600_NS6detail15normal_iteratorINS9_10device_ptrImEEEEPS5_m11less_div_10ImEEE10hipError_tT0_T1_T2_jT3_P12ihipStream_tbPNSt15iterator_traitsISJ_E10value_typeEPNSP_ISK_E10value_typeEPSL_NS1_7vsmem_tEENKUlT_SJ_SK_SL_E_clISE_PmSF_SF_EESI_SY_SJ_SK_SL_EUlSY_E0_NS1_11comp_targetILNS1_3genE0ELNS1_11target_archE4294967295ELNS1_3gpuE0ELNS1_3repE0EEENS1_38merge_mergepath_config_static_selectorELNS0_4arch9wavefront6targetE0EEEvSK_,comdat
.Lfunc_end649:
	.size	_ZN7rocprim17ROCPRIM_400000_NS6detail17trampoline_kernelINS0_14default_configENS1_38merge_sort_block_merge_config_selectorImNS0_10empty_typeEEEZZNS1_27merge_sort_block_merge_implIS3_N6thrust23THRUST_200600_302600_NS6detail15normal_iteratorINS9_10device_ptrImEEEEPS5_m11less_div_10ImEEE10hipError_tT0_T1_T2_jT3_P12ihipStream_tbPNSt15iterator_traitsISJ_E10value_typeEPNSP_ISK_E10value_typeEPSL_NS1_7vsmem_tEENKUlT_SJ_SK_SL_E_clISE_PmSF_SF_EESI_SY_SJ_SK_SL_EUlSY_E0_NS1_11comp_targetILNS1_3genE0ELNS1_11target_archE4294967295ELNS1_3gpuE0ELNS1_3repE0EEENS1_38merge_mergepath_config_static_selectorELNS0_4arch9wavefront6targetE0EEEvSK_, .Lfunc_end649-_ZN7rocprim17ROCPRIM_400000_NS6detail17trampoline_kernelINS0_14default_configENS1_38merge_sort_block_merge_config_selectorImNS0_10empty_typeEEEZZNS1_27merge_sort_block_merge_implIS3_N6thrust23THRUST_200600_302600_NS6detail15normal_iteratorINS9_10device_ptrImEEEEPS5_m11less_div_10ImEEE10hipError_tT0_T1_T2_jT3_P12ihipStream_tbPNSt15iterator_traitsISJ_E10value_typeEPNSP_ISK_E10value_typeEPSL_NS1_7vsmem_tEENKUlT_SJ_SK_SL_E_clISE_PmSF_SF_EESI_SY_SJ_SK_SL_EUlSY_E0_NS1_11comp_targetILNS1_3genE0ELNS1_11target_archE4294967295ELNS1_3gpuE0ELNS1_3repE0EEENS1_38merge_mergepath_config_static_selectorELNS0_4arch9wavefront6targetE0EEEvSK_
                                        ; -- End function
	.set _ZN7rocprim17ROCPRIM_400000_NS6detail17trampoline_kernelINS0_14default_configENS1_38merge_sort_block_merge_config_selectorImNS0_10empty_typeEEEZZNS1_27merge_sort_block_merge_implIS3_N6thrust23THRUST_200600_302600_NS6detail15normal_iteratorINS9_10device_ptrImEEEEPS5_m11less_div_10ImEEE10hipError_tT0_T1_T2_jT3_P12ihipStream_tbPNSt15iterator_traitsISJ_E10value_typeEPNSP_ISK_E10value_typeEPSL_NS1_7vsmem_tEENKUlT_SJ_SK_SL_E_clISE_PmSF_SF_EESI_SY_SJ_SK_SL_EUlSY_E0_NS1_11comp_targetILNS1_3genE0ELNS1_11target_archE4294967295ELNS1_3gpuE0ELNS1_3repE0EEENS1_38merge_mergepath_config_static_selectorELNS0_4arch9wavefront6targetE0EEEvSK_.num_vgpr, 0
	.set _ZN7rocprim17ROCPRIM_400000_NS6detail17trampoline_kernelINS0_14default_configENS1_38merge_sort_block_merge_config_selectorImNS0_10empty_typeEEEZZNS1_27merge_sort_block_merge_implIS3_N6thrust23THRUST_200600_302600_NS6detail15normal_iteratorINS9_10device_ptrImEEEEPS5_m11less_div_10ImEEE10hipError_tT0_T1_T2_jT3_P12ihipStream_tbPNSt15iterator_traitsISJ_E10value_typeEPNSP_ISK_E10value_typeEPSL_NS1_7vsmem_tEENKUlT_SJ_SK_SL_E_clISE_PmSF_SF_EESI_SY_SJ_SK_SL_EUlSY_E0_NS1_11comp_targetILNS1_3genE0ELNS1_11target_archE4294967295ELNS1_3gpuE0ELNS1_3repE0EEENS1_38merge_mergepath_config_static_selectorELNS0_4arch9wavefront6targetE0EEEvSK_.num_agpr, 0
	.set _ZN7rocprim17ROCPRIM_400000_NS6detail17trampoline_kernelINS0_14default_configENS1_38merge_sort_block_merge_config_selectorImNS0_10empty_typeEEEZZNS1_27merge_sort_block_merge_implIS3_N6thrust23THRUST_200600_302600_NS6detail15normal_iteratorINS9_10device_ptrImEEEEPS5_m11less_div_10ImEEE10hipError_tT0_T1_T2_jT3_P12ihipStream_tbPNSt15iterator_traitsISJ_E10value_typeEPNSP_ISK_E10value_typeEPSL_NS1_7vsmem_tEENKUlT_SJ_SK_SL_E_clISE_PmSF_SF_EESI_SY_SJ_SK_SL_EUlSY_E0_NS1_11comp_targetILNS1_3genE0ELNS1_11target_archE4294967295ELNS1_3gpuE0ELNS1_3repE0EEENS1_38merge_mergepath_config_static_selectorELNS0_4arch9wavefront6targetE0EEEvSK_.numbered_sgpr, 0
	.set _ZN7rocprim17ROCPRIM_400000_NS6detail17trampoline_kernelINS0_14default_configENS1_38merge_sort_block_merge_config_selectorImNS0_10empty_typeEEEZZNS1_27merge_sort_block_merge_implIS3_N6thrust23THRUST_200600_302600_NS6detail15normal_iteratorINS9_10device_ptrImEEEEPS5_m11less_div_10ImEEE10hipError_tT0_T1_T2_jT3_P12ihipStream_tbPNSt15iterator_traitsISJ_E10value_typeEPNSP_ISK_E10value_typeEPSL_NS1_7vsmem_tEENKUlT_SJ_SK_SL_E_clISE_PmSF_SF_EESI_SY_SJ_SK_SL_EUlSY_E0_NS1_11comp_targetILNS1_3genE0ELNS1_11target_archE4294967295ELNS1_3gpuE0ELNS1_3repE0EEENS1_38merge_mergepath_config_static_selectorELNS0_4arch9wavefront6targetE0EEEvSK_.num_named_barrier, 0
	.set _ZN7rocprim17ROCPRIM_400000_NS6detail17trampoline_kernelINS0_14default_configENS1_38merge_sort_block_merge_config_selectorImNS0_10empty_typeEEEZZNS1_27merge_sort_block_merge_implIS3_N6thrust23THRUST_200600_302600_NS6detail15normal_iteratorINS9_10device_ptrImEEEEPS5_m11less_div_10ImEEE10hipError_tT0_T1_T2_jT3_P12ihipStream_tbPNSt15iterator_traitsISJ_E10value_typeEPNSP_ISK_E10value_typeEPSL_NS1_7vsmem_tEENKUlT_SJ_SK_SL_E_clISE_PmSF_SF_EESI_SY_SJ_SK_SL_EUlSY_E0_NS1_11comp_targetILNS1_3genE0ELNS1_11target_archE4294967295ELNS1_3gpuE0ELNS1_3repE0EEENS1_38merge_mergepath_config_static_selectorELNS0_4arch9wavefront6targetE0EEEvSK_.private_seg_size, 0
	.set _ZN7rocprim17ROCPRIM_400000_NS6detail17trampoline_kernelINS0_14default_configENS1_38merge_sort_block_merge_config_selectorImNS0_10empty_typeEEEZZNS1_27merge_sort_block_merge_implIS3_N6thrust23THRUST_200600_302600_NS6detail15normal_iteratorINS9_10device_ptrImEEEEPS5_m11less_div_10ImEEE10hipError_tT0_T1_T2_jT3_P12ihipStream_tbPNSt15iterator_traitsISJ_E10value_typeEPNSP_ISK_E10value_typeEPSL_NS1_7vsmem_tEENKUlT_SJ_SK_SL_E_clISE_PmSF_SF_EESI_SY_SJ_SK_SL_EUlSY_E0_NS1_11comp_targetILNS1_3genE0ELNS1_11target_archE4294967295ELNS1_3gpuE0ELNS1_3repE0EEENS1_38merge_mergepath_config_static_selectorELNS0_4arch9wavefront6targetE0EEEvSK_.uses_vcc, 0
	.set _ZN7rocprim17ROCPRIM_400000_NS6detail17trampoline_kernelINS0_14default_configENS1_38merge_sort_block_merge_config_selectorImNS0_10empty_typeEEEZZNS1_27merge_sort_block_merge_implIS3_N6thrust23THRUST_200600_302600_NS6detail15normal_iteratorINS9_10device_ptrImEEEEPS5_m11less_div_10ImEEE10hipError_tT0_T1_T2_jT3_P12ihipStream_tbPNSt15iterator_traitsISJ_E10value_typeEPNSP_ISK_E10value_typeEPSL_NS1_7vsmem_tEENKUlT_SJ_SK_SL_E_clISE_PmSF_SF_EESI_SY_SJ_SK_SL_EUlSY_E0_NS1_11comp_targetILNS1_3genE0ELNS1_11target_archE4294967295ELNS1_3gpuE0ELNS1_3repE0EEENS1_38merge_mergepath_config_static_selectorELNS0_4arch9wavefront6targetE0EEEvSK_.uses_flat_scratch, 0
	.set _ZN7rocprim17ROCPRIM_400000_NS6detail17trampoline_kernelINS0_14default_configENS1_38merge_sort_block_merge_config_selectorImNS0_10empty_typeEEEZZNS1_27merge_sort_block_merge_implIS3_N6thrust23THRUST_200600_302600_NS6detail15normal_iteratorINS9_10device_ptrImEEEEPS5_m11less_div_10ImEEE10hipError_tT0_T1_T2_jT3_P12ihipStream_tbPNSt15iterator_traitsISJ_E10value_typeEPNSP_ISK_E10value_typeEPSL_NS1_7vsmem_tEENKUlT_SJ_SK_SL_E_clISE_PmSF_SF_EESI_SY_SJ_SK_SL_EUlSY_E0_NS1_11comp_targetILNS1_3genE0ELNS1_11target_archE4294967295ELNS1_3gpuE0ELNS1_3repE0EEENS1_38merge_mergepath_config_static_selectorELNS0_4arch9wavefront6targetE0EEEvSK_.has_dyn_sized_stack, 0
	.set _ZN7rocprim17ROCPRIM_400000_NS6detail17trampoline_kernelINS0_14default_configENS1_38merge_sort_block_merge_config_selectorImNS0_10empty_typeEEEZZNS1_27merge_sort_block_merge_implIS3_N6thrust23THRUST_200600_302600_NS6detail15normal_iteratorINS9_10device_ptrImEEEEPS5_m11less_div_10ImEEE10hipError_tT0_T1_T2_jT3_P12ihipStream_tbPNSt15iterator_traitsISJ_E10value_typeEPNSP_ISK_E10value_typeEPSL_NS1_7vsmem_tEENKUlT_SJ_SK_SL_E_clISE_PmSF_SF_EESI_SY_SJ_SK_SL_EUlSY_E0_NS1_11comp_targetILNS1_3genE0ELNS1_11target_archE4294967295ELNS1_3gpuE0ELNS1_3repE0EEENS1_38merge_mergepath_config_static_selectorELNS0_4arch9wavefront6targetE0EEEvSK_.has_recursion, 0
	.set _ZN7rocprim17ROCPRIM_400000_NS6detail17trampoline_kernelINS0_14default_configENS1_38merge_sort_block_merge_config_selectorImNS0_10empty_typeEEEZZNS1_27merge_sort_block_merge_implIS3_N6thrust23THRUST_200600_302600_NS6detail15normal_iteratorINS9_10device_ptrImEEEEPS5_m11less_div_10ImEEE10hipError_tT0_T1_T2_jT3_P12ihipStream_tbPNSt15iterator_traitsISJ_E10value_typeEPNSP_ISK_E10value_typeEPSL_NS1_7vsmem_tEENKUlT_SJ_SK_SL_E_clISE_PmSF_SF_EESI_SY_SJ_SK_SL_EUlSY_E0_NS1_11comp_targetILNS1_3genE0ELNS1_11target_archE4294967295ELNS1_3gpuE0ELNS1_3repE0EEENS1_38merge_mergepath_config_static_selectorELNS0_4arch9wavefront6targetE0EEEvSK_.has_indirect_call, 0
	.section	.AMDGPU.csdata,"",@progbits
; Kernel info:
; codeLenInByte = 0
; TotalNumSgprs: 0
; NumVgprs: 0
; ScratchSize: 0
; MemoryBound: 0
; FloatMode: 240
; IeeeMode: 1
; LDSByteSize: 0 bytes/workgroup (compile time only)
; SGPRBlocks: 0
; VGPRBlocks: 0
; NumSGPRsForWavesPerEU: 1
; NumVGPRsForWavesPerEU: 1
; Occupancy: 16
; WaveLimiterHint : 0
; COMPUTE_PGM_RSRC2:SCRATCH_EN: 0
; COMPUTE_PGM_RSRC2:USER_SGPR: 6
; COMPUTE_PGM_RSRC2:TRAP_HANDLER: 0
; COMPUTE_PGM_RSRC2:TGID_X_EN: 1
; COMPUTE_PGM_RSRC2:TGID_Y_EN: 0
; COMPUTE_PGM_RSRC2:TGID_Z_EN: 0
; COMPUTE_PGM_RSRC2:TIDIG_COMP_CNT: 0
	.section	.text._ZN7rocprim17ROCPRIM_400000_NS6detail17trampoline_kernelINS0_14default_configENS1_38merge_sort_block_merge_config_selectorImNS0_10empty_typeEEEZZNS1_27merge_sort_block_merge_implIS3_N6thrust23THRUST_200600_302600_NS6detail15normal_iteratorINS9_10device_ptrImEEEEPS5_m11less_div_10ImEEE10hipError_tT0_T1_T2_jT3_P12ihipStream_tbPNSt15iterator_traitsISJ_E10value_typeEPNSP_ISK_E10value_typeEPSL_NS1_7vsmem_tEENKUlT_SJ_SK_SL_E_clISE_PmSF_SF_EESI_SY_SJ_SK_SL_EUlSY_E0_NS1_11comp_targetILNS1_3genE10ELNS1_11target_archE1201ELNS1_3gpuE5ELNS1_3repE0EEENS1_38merge_mergepath_config_static_selectorELNS0_4arch9wavefront6targetE0EEEvSK_,"axG",@progbits,_ZN7rocprim17ROCPRIM_400000_NS6detail17trampoline_kernelINS0_14default_configENS1_38merge_sort_block_merge_config_selectorImNS0_10empty_typeEEEZZNS1_27merge_sort_block_merge_implIS3_N6thrust23THRUST_200600_302600_NS6detail15normal_iteratorINS9_10device_ptrImEEEEPS5_m11less_div_10ImEEE10hipError_tT0_T1_T2_jT3_P12ihipStream_tbPNSt15iterator_traitsISJ_E10value_typeEPNSP_ISK_E10value_typeEPSL_NS1_7vsmem_tEENKUlT_SJ_SK_SL_E_clISE_PmSF_SF_EESI_SY_SJ_SK_SL_EUlSY_E0_NS1_11comp_targetILNS1_3genE10ELNS1_11target_archE1201ELNS1_3gpuE5ELNS1_3repE0EEENS1_38merge_mergepath_config_static_selectorELNS0_4arch9wavefront6targetE0EEEvSK_,comdat
	.protected	_ZN7rocprim17ROCPRIM_400000_NS6detail17trampoline_kernelINS0_14default_configENS1_38merge_sort_block_merge_config_selectorImNS0_10empty_typeEEEZZNS1_27merge_sort_block_merge_implIS3_N6thrust23THRUST_200600_302600_NS6detail15normal_iteratorINS9_10device_ptrImEEEEPS5_m11less_div_10ImEEE10hipError_tT0_T1_T2_jT3_P12ihipStream_tbPNSt15iterator_traitsISJ_E10value_typeEPNSP_ISK_E10value_typeEPSL_NS1_7vsmem_tEENKUlT_SJ_SK_SL_E_clISE_PmSF_SF_EESI_SY_SJ_SK_SL_EUlSY_E0_NS1_11comp_targetILNS1_3genE10ELNS1_11target_archE1201ELNS1_3gpuE5ELNS1_3repE0EEENS1_38merge_mergepath_config_static_selectorELNS0_4arch9wavefront6targetE0EEEvSK_ ; -- Begin function _ZN7rocprim17ROCPRIM_400000_NS6detail17trampoline_kernelINS0_14default_configENS1_38merge_sort_block_merge_config_selectorImNS0_10empty_typeEEEZZNS1_27merge_sort_block_merge_implIS3_N6thrust23THRUST_200600_302600_NS6detail15normal_iteratorINS9_10device_ptrImEEEEPS5_m11less_div_10ImEEE10hipError_tT0_T1_T2_jT3_P12ihipStream_tbPNSt15iterator_traitsISJ_E10value_typeEPNSP_ISK_E10value_typeEPSL_NS1_7vsmem_tEENKUlT_SJ_SK_SL_E_clISE_PmSF_SF_EESI_SY_SJ_SK_SL_EUlSY_E0_NS1_11comp_targetILNS1_3genE10ELNS1_11target_archE1201ELNS1_3gpuE5ELNS1_3repE0EEENS1_38merge_mergepath_config_static_selectorELNS0_4arch9wavefront6targetE0EEEvSK_
	.globl	_ZN7rocprim17ROCPRIM_400000_NS6detail17trampoline_kernelINS0_14default_configENS1_38merge_sort_block_merge_config_selectorImNS0_10empty_typeEEEZZNS1_27merge_sort_block_merge_implIS3_N6thrust23THRUST_200600_302600_NS6detail15normal_iteratorINS9_10device_ptrImEEEEPS5_m11less_div_10ImEEE10hipError_tT0_T1_T2_jT3_P12ihipStream_tbPNSt15iterator_traitsISJ_E10value_typeEPNSP_ISK_E10value_typeEPSL_NS1_7vsmem_tEENKUlT_SJ_SK_SL_E_clISE_PmSF_SF_EESI_SY_SJ_SK_SL_EUlSY_E0_NS1_11comp_targetILNS1_3genE10ELNS1_11target_archE1201ELNS1_3gpuE5ELNS1_3repE0EEENS1_38merge_mergepath_config_static_selectorELNS0_4arch9wavefront6targetE0EEEvSK_
	.p2align	8
	.type	_ZN7rocprim17ROCPRIM_400000_NS6detail17trampoline_kernelINS0_14default_configENS1_38merge_sort_block_merge_config_selectorImNS0_10empty_typeEEEZZNS1_27merge_sort_block_merge_implIS3_N6thrust23THRUST_200600_302600_NS6detail15normal_iteratorINS9_10device_ptrImEEEEPS5_m11less_div_10ImEEE10hipError_tT0_T1_T2_jT3_P12ihipStream_tbPNSt15iterator_traitsISJ_E10value_typeEPNSP_ISK_E10value_typeEPSL_NS1_7vsmem_tEENKUlT_SJ_SK_SL_E_clISE_PmSF_SF_EESI_SY_SJ_SK_SL_EUlSY_E0_NS1_11comp_targetILNS1_3genE10ELNS1_11target_archE1201ELNS1_3gpuE5ELNS1_3repE0EEENS1_38merge_mergepath_config_static_selectorELNS0_4arch9wavefront6targetE0EEEvSK_,@function
_ZN7rocprim17ROCPRIM_400000_NS6detail17trampoline_kernelINS0_14default_configENS1_38merge_sort_block_merge_config_selectorImNS0_10empty_typeEEEZZNS1_27merge_sort_block_merge_implIS3_N6thrust23THRUST_200600_302600_NS6detail15normal_iteratorINS9_10device_ptrImEEEEPS5_m11less_div_10ImEEE10hipError_tT0_T1_T2_jT3_P12ihipStream_tbPNSt15iterator_traitsISJ_E10value_typeEPNSP_ISK_E10value_typeEPSL_NS1_7vsmem_tEENKUlT_SJ_SK_SL_E_clISE_PmSF_SF_EESI_SY_SJ_SK_SL_EUlSY_E0_NS1_11comp_targetILNS1_3genE10ELNS1_11target_archE1201ELNS1_3gpuE5ELNS1_3repE0EEENS1_38merge_mergepath_config_static_selectorELNS0_4arch9wavefront6targetE0EEEvSK_: ; @_ZN7rocprim17ROCPRIM_400000_NS6detail17trampoline_kernelINS0_14default_configENS1_38merge_sort_block_merge_config_selectorImNS0_10empty_typeEEEZZNS1_27merge_sort_block_merge_implIS3_N6thrust23THRUST_200600_302600_NS6detail15normal_iteratorINS9_10device_ptrImEEEEPS5_m11less_div_10ImEEE10hipError_tT0_T1_T2_jT3_P12ihipStream_tbPNSt15iterator_traitsISJ_E10value_typeEPNSP_ISK_E10value_typeEPSL_NS1_7vsmem_tEENKUlT_SJ_SK_SL_E_clISE_PmSF_SF_EESI_SY_SJ_SK_SL_EUlSY_E0_NS1_11comp_targetILNS1_3genE10ELNS1_11target_archE1201ELNS1_3gpuE5ELNS1_3repE0EEENS1_38merge_mergepath_config_static_selectorELNS0_4arch9wavefront6targetE0EEEvSK_
; %bb.0:
	.section	.rodata,"a",@progbits
	.p2align	6, 0x0
	.amdhsa_kernel _ZN7rocprim17ROCPRIM_400000_NS6detail17trampoline_kernelINS0_14default_configENS1_38merge_sort_block_merge_config_selectorImNS0_10empty_typeEEEZZNS1_27merge_sort_block_merge_implIS3_N6thrust23THRUST_200600_302600_NS6detail15normal_iteratorINS9_10device_ptrImEEEEPS5_m11less_div_10ImEEE10hipError_tT0_T1_T2_jT3_P12ihipStream_tbPNSt15iterator_traitsISJ_E10value_typeEPNSP_ISK_E10value_typeEPSL_NS1_7vsmem_tEENKUlT_SJ_SK_SL_E_clISE_PmSF_SF_EESI_SY_SJ_SK_SL_EUlSY_E0_NS1_11comp_targetILNS1_3genE10ELNS1_11target_archE1201ELNS1_3gpuE5ELNS1_3repE0EEENS1_38merge_mergepath_config_static_selectorELNS0_4arch9wavefront6targetE0EEEvSK_
		.amdhsa_group_segment_fixed_size 0
		.amdhsa_private_segment_fixed_size 0
		.amdhsa_kernarg_size 72
		.amdhsa_user_sgpr_count 6
		.amdhsa_user_sgpr_private_segment_buffer 1
		.amdhsa_user_sgpr_dispatch_ptr 0
		.amdhsa_user_sgpr_queue_ptr 0
		.amdhsa_user_sgpr_kernarg_segment_ptr 1
		.amdhsa_user_sgpr_dispatch_id 0
		.amdhsa_user_sgpr_flat_scratch_init 0
		.amdhsa_user_sgpr_private_segment_size 0
		.amdhsa_wavefront_size32 1
		.amdhsa_uses_dynamic_stack 0
		.amdhsa_system_sgpr_private_segment_wavefront_offset 0
		.amdhsa_system_sgpr_workgroup_id_x 1
		.amdhsa_system_sgpr_workgroup_id_y 0
		.amdhsa_system_sgpr_workgroup_id_z 0
		.amdhsa_system_sgpr_workgroup_info 0
		.amdhsa_system_vgpr_workitem_id 0
		.amdhsa_next_free_vgpr 1
		.amdhsa_next_free_sgpr 1
		.amdhsa_reserve_vcc 0
		.amdhsa_reserve_flat_scratch 0
		.amdhsa_float_round_mode_32 0
		.amdhsa_float_round_mode_16_64 0
		.amdhsa_float_denorm_mode_32 3
		.amdhsa_float_denorm_mode_16_64 3
		.amdhsa_dx10_clamp 1
		.amdhsa_ieee_mode 1
		.amdhsa_fp16_overflow 0
		.amdhsa_workgroup_processor_mode 1
		.amdhsa_memory_ordered 1
		.amdhsa_forward_progress 1
		.amdhsa_shared_vgpr_count 0
		.amdhsa_exception_fp_ieee_invalid_op 0
		.amdhsa_exception_fp_denorm_src 0
		.amdhsa_exception_fp_ieee_div_zero 0
		.amdhsa_exception_fp_ieee_overflow 0
		.amdhsa_exception_fp_ieee_underflow 0
		.amdhsa_exception_fp_ieee_inexact 0
		.amdhsa_exception_int_div_zero 0
	.end_amdhsa_kernel
	.section	.text._ZN7rocprim17ROCPRIM_400000_NS6detail17trampoline_kernelINS0_14default_configENS1_38merge_sort_block_merge_config_selectorImNS0_10empty_typeEEEZZNS1_27merge_sort_block_merge_implIS3_N6thrust23THRUST_200600_302600_NS6detail15normal_iteratorINS9_10device_ptrImEEEEPS5_m11less_div_10ImEEE10hipError_tT0_T1_T2_jT3_P12ihipStream_tbPNSt15iterator_traitsISJ_E10value_typeEPNSP_ISK_E10value_typeEPSL_NS1_7vsmem_tEENKUlT_SJ_SK_SL_E_clISE_PmSF_SF_EESI_SY_SJ_SK_SL_EUlSY_E0_NS1_11comp_targetILNS1_3genE10ELNS1_11target_archE1201ELNS1_3gpuE5ELNS1_3repE0EEENS1_38merge_mergepath_config_static_selectorELNS0_4arch9wavefront6targetE0EEEvSK_,"axG",@progbits,_ZN7rocprim17ROCPRIM_400000_NS6detail17trampoline_kernelINS0_14default_configENS1_38merge_sort_block_merge_config_selectorImNS0_10empty_typeEEEZZNS1_27merge_sort_block_merge_implIS3_N6thrust23THRUST_200600_302600_NS6detail15normal_iteratorINS9_10device_ptrImEEEEPS5_m11less_div_10ImEEE10hipError_tT0_T1_T2_jT3_P12ihipStream_tbPNSt15iterator_traitsISJ_E10value_typeEPNSP_ISK_E10value_typeEPSL_NS1_7vsmem_tEENKUlT_SJ_SK_SL_E_clISE_PmSF_SF_EESI_SY_SJ_SK_SL_EUlSY_E0_NS1_11comp_targetILNS1_3genE10ELNS1_11target_archE1201ELNS1_3gpuE5ELNS1_3repE0EEENS1_38merge_mergepath_config_static_selectorELNS0_4arch9wavefront6targetE0EEEvSK_,comdat
.Lfunc_end650:
	.size	_ZN7rocprim17ROCPRIM_400000_NS6detail17trampoline_kernelINS0_14default_configENS1_38merge_sort_block_merge_config_selectorImNS0_10empty_typeEEEZZNS1_27merge_sort_block_merge_implIS3_N6thrust23THRUST_200600_302600_NS6detail15normal_iteratorINS9_10device_ptrImEEEEPS5_m11less_div_10ImEEE10hipError_tT0_T1_T2_jT3_P12ihipStream_tbPNSt15iterator_traitsISJ_E10value_typeEPNSP_ISK_E10value_typeEPSL_NS1_7vsmem_tEENKUlT_SJ_SK_SL_E_clISE_PmSF_SF_EESI_SY_SJ_SK_SL_EUlSY_E0_NS1_11comp_targetILNS1_3genE10ELNS1_11target_archE1201ELNS1_3gpuE5ELNS1_3repE0EEENS1_38merge_mergepath_config_static_selectorELNS0_4arch9wavefront6targetE0EEEvSK_, .Lfunc_end650-_ZN7rocprim17ROCPRIM_400000_NS6detail17trampoline_kernelINS0_14default_configENS1_38merge_sort_block_merge_config_selectorImNS0_10empty_typeEEEZZNS1_27merge_sort_block_merge_implIS3_N6thrust23THRUST_200600_302600_NS6detail15normal_iteratorINS9_10device_ptrImEEEEPS5_m11less_div_10ImEEE10hipError_tT0_T1_T2_jT3_P12ihipStream_tbPNSt15iterator_traitsISJ_E10value_typeEPNSP_ISK_E10value_typeEPSL_NS1_7vsmem_tEENKUlT_SJ_SK_SL_E_clISE_PmSF_SF_EESI_SY_SJ_SK_SL_EUlSY_E0_NS1_11comp_targetILNS1_3genE10ELNS1_11target_archE1201ELNS1_3gpuE5ELNS1_3repE0EEENS1_38merge_mergepath_config_static_selectorELNS0_4arch9wavefront6targetE0EEEvSK_
                                        ; -- End function
	.set _ZN7rocprim17ROCPRIM_400000_NS6detail17trampoline_kernelINS0_14default_configENS1_38merge_sort_block_merge_config_selectorImNS0_10empty_typeEEEZZNS1_27merge_sort_block_merge_implIS3_N6thrust23THRUST_200600_302600_NS6detail15normal_iteratorINS9_10device_ptrImEEEEPS5_m11less_div_10ImEEE10hipError_tT0_T1_T2_jT3_P12ihipStream_tbPNSt15iterator_traitsISJ_E10value_typeEPNSP_ISK_E10value_typeEPSL_NS1_7vsmem_tEENKUlT_SJ_SK_SL_E_clISE_PmSF_SF_EESI_SY_SJ_SK_SL_EUlSY_E0_NS1_11comp_targetILNS1_3genE10ELNS1_11target_archE1201ELNS1_3gpuE5ELNS1_3repE0EEENS1_38merge_mergepath_config_static_selectorELNS0_4arch9wavefront6targetE0EEEvSK_.num_vgpr, 0
	.set _ZN7rocprim17ROCPRIM_400000_NS6detail17trampoline_kernelINS0_14default_configENS1_38merge_sort_block_merge_config_selectorImNS0_10empty_typeEEEZZNS1_27merge_sort_block_merge_implIS3_N6thrust23THRUST_200600_302600_NS6detail15normal_iteratorINS9_10device_ptrImEEEEPS5_m11less_div_10ImEEE10hipError_tT0_T1_T2_jT3_P12ihipStream_tbPNSt15iterator_traitsISJ_E10value_typeEPNSP_ISK_E10value_typeEPSL_NS1_7vsmem_tEENKUlT_SJ_SK_SL_E_clISE_PmSF_SF_EESI_SY_SJ_SK_SL_EUlSY_E0_NS1_11comp_targetILNS1_3genE10ELNS1_11target_archE1201ELNS1_3gpuE5ELNS1_3repE0EEENS1_38merge_mergepath_config_static_selectorELNS0_4arch9wavefront6targetE0EEEvSK_.num_agpr, 0
	.set _ZN7rocprim17ROCPRIM_400000_NS6detail17trampoline_kernelINS0_14default_configENS1_38merge_sort_block_merge_config_selectorImNS0_10empty_typeEEEZZNS1_27merge_sort_block_merge_implIS3_N6thrust23THRUST_200600_302600_NS6detail15normal_iteratorINS9_10device_ptrImEEEEPS5_m11less_div_10ImEEE10hipError_tT0_T1_T2_jT3_P12ihipStream_tbPNSt15iterator_traitsISJ_E10value_typeEPNSP_ISK_E10value_typeEPSL_NS1_7vsmem_tEENKUlT_SJ_SK_SL_E_clISE_PmSF_SF_EESI_SY_SJ_SK_SL_EUlSY_E0_NS1_11comp_targetILNS1_3genE10ELNS1_11target_archE1201ELNS1_3gpuE5ELNS1_3repE0EEENS1_38merge_mergepath_config_static_selectorELNS0_4arch9wavefront6targetE0EEEvSK_.numbered_sgpr, 0
	.set _ZN7rocprim17ROCPRIM_400000_NS6detail17trampoline_kernelINS0_14default_configENS1_38merge_sort_block_merge_config_selectorImNS0_10empty_typeEEEZZNS1_27merge_sort_block_merge_implIS3_N6thrust23THRUST_200600_302600_NS6detail15normal_iteratorINS9_10device_ptrImEEEEPS5_m11less_div_10ImEEE10hipError_tT0_T1_T2_jT3_P12ihipStream_tbPNSt15iterator_traitsISJ_E10value_typeEPNSP_ISK_E10value_typeEPSL_NS1_7vsmem_tEENKUlT_SJ_SK_SL_E_clISE_PmSF_SF_EESI_SY_SJ_SK_SL_EUlSY_E0_NS1_11comp_targetILNS1_3genE10ELNS1_11target_archE1201ELNS1_3gpuE5ELNS1_3repE0EEENS1_38merge_mergepath_config_static_selectorELNS0_4arch9wavefront6targetE0EEEvSK_.num_named_barrier, 0
	.set _ZN7rocprim17ROCPRIM_400000_NS6detail17trampoline_kernelINS0_14default_configENS1_38merge_sort_block_merge_config_selectorImNS0_10empty_typeEEEZZNS1_27merge_sort_block_merge_implIS3_N6thrust23THRUST_200600_302600_NS6detail15normal_iteratorINS9_10device_ptrImEEEEPS5_m11less_div_10ImEEE10hipError_tT0_T1_T2_jT3_P12ihipStream_tbPNSt15iterator_traitsISJ_E10value_typeEPNSP_ISK_E10value_typeEPSL_NS1_7vsmem_tEENKUlT_SJ_SK_SL_E_clISE_PmSF_SF_EESI_SY_SJ_SK_SL_EUlSY_E0_NS1_11comp_targetILNS1_3genE10ELNS1_11target_archE1201ELNS1_3gpuE5ELNS1_3repE0EEENS1_38merge_mergepath_config_static_selectorELNS0_4arch9wavefront6targetE0EEEvSK_.private_seg_size, 0
	.set _ZN7rocprim17ROCPRIM_400000_NS6detail17trampoline_kernelINS0_14default_configENS1_38merge_sort_block_merge_config_selectorImNS0_10empty_typeEEEZZNS1_27merge_sort_block_merge_implIS3_N6thrust23THRUST_200600_302600_NS6detail15normal_iteratorINS9_10device_ptrImEEEEPS5_m11less_div_10ImEEE10hipError_tT0_T1_T2_jT3_P12ihipStream_tbPNSt15iterator_traitsISJ_E10value_typeEPNSP_ISK_E10value_typeEPSL_NS1_7vsmem_tEENKUlT_SJ_SK_SL_E_clISE_PmSF_SF_EESI_SY_SJ_SK_SL_EUlSY_E0_NS1_11comp_targetILNS1_3genE10ELNS1_11target_archE1201ELNS1_3gpuE5ELNS1_3repE0EEENS1_38merge_mergepath_config_static_selectorELNS0_4arch9wavefront6targetE0EEEvSK_.uses_vcc, 0
	.set _ZN7rocprim17ROCPRIM_400000_NS6detail17trampoline_kernelINS0_14default_configENS1_38merge_sort_block_merge_config_selectorImNS0_10empty_typeEEEZZNS1_27merge_sort_block_merge_implIS3_N6thrust23THRUST_200600_302600_NS6detail15normal_iteratorINS9_10device_ptrImEEEEPS5_m11less_div_10ImEEE10hipError_tT0_T1_T2_jT3_P12ihipStream_tbPNSt15iterator_traitsISJ_E10value_typeEPNSP_ISK_E10value_typeEPSL_NS1_7vsmem_tEENKUlT_SJ_SK_SL_E_clISE_PmSF_SF_EESI_SY_SJ_SK_SL_EUlSY_E0_NS1_11comp_targetILNS1_3genE10ELNS1_11target_archE1201ELNS1_3gpuE5ELNS1_3repE0EEENS1_38merge_mergepath_config_static_selectorELNS0_4arch9wavefront6targetE0EEEvSK_.uses_flat_scratch, 0
	.set _ZN7rocprim17ROCPRIM_400000_NS6detail17trampoline_kernelINS0_14default_configENS1_38merge_sort_block_merge_config_selectorImNS0_10empty_typeEEEZZNS1_27merge_sort_block_merge_implIS3_N6thrust23THRUST_200600_302600_NS6detail15normal_iteratorINS9_10device_ptrImEEEEPS5_m11less_div_10ImEEE10hipError_tT0_T1_T2_jT3_P12ihipStream_tbPNSt15iterator_traitsISJ_E10value_typeEPNSP_ISK_E10value_typeEPSL_NS1_7vsmem_tEENKUlT_SJ_SK_SL_E_clISE_PmSF_SF_EESI_SY_SJ_SK_SL_EUlSY_E0_NS1_11comp_targetILNS1_3genE10ELNS1_11target_archE1201ELNS1_3gpuE5ELNS1_3repE0EEENS1_38merge_mergepath_config_static_selectorELNS0_4arch9wavefront6targetE0EEEvSK_.has_dyn_sized_stack, 0
	.set _ZN7rocprim17ROCPRIM_400000_NS6detail17trampoline_kernelINS0_14default_configENS1_38merge_sort_block_merge_config_selectorImNS0_10empty_typeEEEZZNS1_27merge_sort_block_merge_implIS3_N6thrust23THRUST_200600_302600_NS6detail15normal_iteratorINS9_10device_ptrImEEEEPS5_m11less_div_10ImEEE10hipError_tT0_T1_T2_jT3_P12ihipStream_tbPNSt15iterator_traitsISJ_E10value_typeEPNSP_ISK_E10value_typeEPSL_NS1_7vsmem_tEENKUlT_SJ_SK_SL_E_clISE_PmSF_SF_EESI_SY_SJ_SK_SL_EUlSY_E0_NS1_11comp_targetILNS1_3genE10ELNS1_11target_archE1201ELNS1_3gpuE5ELNS1_3repE0EEENS1_38merge_mergepath_config_static_selectorELNS0_4arch9wavefront6targetE0EEEvSK_.has_recursion, 0
	.set _ZN7rocprim17ROCPRIM_400000_NS6detail17trampoline_kernelINS0_14default_configENS1_38merge_sort_block_merge_config_selectorImNS0_10empty_typeEEEZZNS1_27merge_sort_block_merge_implIS3_N6thrust23THRUST_200600_302600_NS6detail15normal_iteratorINS9_10device_ptrImEEEEPS5_m11less_div_10ImEEE10hipError_tT0_T1_T2_jT3_P12ihipStream_tbPNSt15iterator_traitsISJ_E10value_typeEPNSP_ISK_E10value_typeEPSL_NS1_7vsmem_tEENKUlT_SJ_SK_SL_E_clISE_PmSF_SF_EESI_SY_SJ_SK_SL_EUlSY_E0_NS1_11comp_targetILNS1_3genE10ELNS1_11target_archE1201ELNS1_3gpuE5ELNS1_3repE0EEENS1_38merge_mergepath_config_static_selectorELNS0_4arch9wavefront6targetE0EEEvSK_.has_indirect_call, 0
	.section	.AMDGPU.csdata,"",@progbits
; Kernel info:
; codeLenInByte = 0
; TotalNumSgprs: 0
; NumVgprs: 0
; ScratchSize: 0
; MemoryBound: 0
; FloatMode: 240
; IeeeMode: 1
; LDSByteSize: 0 bytes/workgroup (compile time only)
; SGPRBlocks: 0
; VGPRBlocks: 0
; NumSGPRsForWavesPerEU: 1
; NumVGPRsForWavesPerEU: 1
; Occupancy: 16
; WaveLimiterHint : 0
; COMPUTE_PGM_RSRC2:SCRATCH_EN: 0
; COMPUTE_PGM_RSRC2:USER_SGPR: 6
; COMPUTE_PGM_RSRC2:TRAP_HANDLER: 0
; COMPUTE_PGM_RSRC2:TGID_X_EN: 1
; COMPUTE_PGM_RSRC2:TGID_Y_EN: 0
; COMPUTE_PGM_RSRC2:TGID_Z_EN: 0
; COMPUTE_PGM_RSRC2:TIDIG_COMP_CNT: 0
	.section	.text._ZN7rocprim17ROCPRIM_400000_NS6detail17trampoline_kernelINS0_14default_configENS1_38merge_sort_block_merge_config_selectorImNS0_10empty_typeEEEZZNS1_27merge_sort_block_merge_implIS3_N6thrust23THRUST_200600_302600_NS6detail15normal_iteratorINS9_10device_ptrImEEEEPS5_m11less_div_10ImEEE10hipError_tT0_T1_T2_jT3_P12ihipStream_tbPNSt15iterator_traitsISJ_E10value_typeEPNSP_ISK_E10value_typeEPSL_NS1_7vsmem_tEENKUlT_SJ_SK_SL_E_clISE_PmSF_SF_EESI_SY_SJ_SK_SL_EUlSY_E0_NS1_11comp_targetILNS1_3genE5ELNS1_11target_archE942ELNS1_3gpuE9ELNS1_3repE0EEENS1_38merge_mergepath_config_static_selectorELNS0_4arch9wavefront6targetE0EEEvSK_,"axG",@progbits,_ZN7rocprim17ROCPRIM_400000_NS6detail17trampoline_kernelINS0_14default_configENS1_38merge_sort_block_merge_config_selectorImNS0_10empty_typeEEEZZNS1_27merge_sort_block_merge_implIS3_N6thrust23THRUST_200600_302600_NS6detail15normal_iteratorINS9_10device_ptrImEEEEPS5_m11less_div_10ImEEE10hipError_tT0_T1_T2_jT3_P12ihipStream_tbPNSt15iterator_traitsISJ_E10value_typeEPNSP_ISK_E10value_typeEPSL_NS1_7vsmem_tEENKUlT_SJ_SK_SL_E_clISE_PmSF_SF_EESI_SY_SJ_SK_SL_EUlSY_E0_NS1_11comp_targetILNS1_3genE5ELNS1_11target_archE942ELNS1_3gpuE9ELNS1_3repE0EEENS1_38merge_mergepath_config_static_selectorELNS0_4arch9wavefront6targetE0EEEvSK_,comdat
	.protected	_ZN7rocprim17ROCPRIM_400000_NS6detail17trampoline_kernelINS0_14default_configENS1_38merge_sort_block_merge_config_selectorImNS0_10empty_typeEEEZZNS1_27merge_sort_block_merge_implIS3_N6thrust23THRUST_200600_302600_NS6detail15normal_iteratorINS9_10device_ptrImEEEEPS5_m11less_div_10ImEEE10hipError_tT0_T1_T2_jT3_P12ihipStream_tbPNSt15iterator_traitsISJ_E10value_typeEPNSP_ISK_E10value_typeEPSL_NS1_7vsmem_tEENKUlT_SJ_SK_SL_E_clISE_PmSF_SF_EESI_SY_SJ_SK_SL_EUlSY_E0_NS1_11comp_targetILNS1_3genE5ELNS1_11target_archE942ELNS1_3gpuE9ELNS1_3repE0EEENS1_38merge_mergepath_config_static_selectorELNS0_4arch9wavefront6targetE0EEEvSK_ ; -- Begin function _ZN7rocprim17ROCPRIM_400000_NS6detail17trampoline_kernelINS0_14default_configENS1_38merge_sort_block_merge_config_selectorImNS0_10empty_typeEEEZZNS1_27merge_sort_block_merge_implIS3_N6thrust23THRUST_200600_302600_NS6detail15normal_iteratorINS9_10device_ptrImEEEEPS5_m11less_div_10ImEEE10hipError_tT0_T1_T2_jT3_P12ihipStream_tbPNSt15iterator_traitsISJ_E10value_typeEPNSP_ISK_E10value_typeEPSL_NS1_7vsmem_tEENKUlT_SJ_SK_SL_E_clISE_PmSF_SF_EESI_SY_SJ_SK_SL_EUlSY_E0_NS1_11comp_targetILNS1_3genE5ELNS1_11target_archE942ELNS1_3gpuE9ELNS1_3repE0EEENS1_38merge_mergepath_config_static_selectorELNS0_4arch9wavefront6targetE0EEEvSK_
	.globl	_ZN7rocprim17ROCPRIM_400000_NS6detail17trampoline_kernelINS0_14default_configENS1_38merge_sort_block_merge_config_selectorImNS0_10empty_typeEEEZZNS1_27merge_sort_block_merge_implIS3_N6thrust23THRUST_200600_302600_NS6detail15normal_iteratorINS9_10device_ptrImEEEEPS5_m11less_div_10ImEEE10hipError_tT0_T1_T2_jT3_P12ihipStream_tbPNSt15iterator_traitsISJ_E10value_typeEPNSP_ISK_E10value_typeEPSL_NS1_7vsmem_tEENKUlT_SJ_SK_SL_E_clISE_PmSF_SF_EESI_SY_SJ_SK_SL_EUlSY_E0_NS1_11comp_targetILNS1_3genE5ELNS1_11target_archE942ELNS1_3gpuE9ELNS1_3repE0EEENS1_38merge_mergepath_config_static_selectorELNS0_4arch9wavefront6targetE0EEEvSK_
	.p2align	8
	.type	_ZN7rocprim17ROCPRIM_400000_NS6detail17trampoline_kernelINS0_14default_configENS1_38merge_sort_block_merge_config_selectorImNS0_10empty_typeEEEZZNS1_27merge_sort_block_merge_implIS3_N6thrust23THRUST_200600_302600_NS6detail15normal_iteratorINS9_10device_ptrImEEEEPS5_m11less_div_10ImEEE10hipError_tT0_T1_T2_jT3_P12ihipStream_tbPNSt15iterator_traitsISJ_E10value_typeEPNSP_ISK_E10value_typeEPSL_NS1_7vsmem_tEENKUlT_SJ_SK_SL_E_clISE_PmSF_SF_EESI_SY_SJ_SK_SL_EUlSY_E0_NS1_11comp_targetILNS1_3genE5ELNS1_11target_archE942ELNS1_3gpuE9ELNS1_3repE0EEENS1_38merge_mergepath_config_static_selectorELNS0_4arch9wavefront6targetE0EEEvSK_,@function
_ZN7rocprim17ROCPRIM_400000_NS6detail17trampoline_kernelINS0_14default_configENS1_38merge_sort_block_merge_config_selectorImNS0_10empty_typeEEEZZNS1_27merge_sort_block_merge_implIS3_N6thrust23THRUST_200600_302600_NS6detail15normal_iteratorINS9_10device_ptrImEEEEPS5_m11less_div_10ImEEE10hipError_tT0_T1_T2_jT3_P12ihipStream_tbPNSt15iterator_traitsISJ_E10value_typeEPNSP_ISK_E10value_typeEPSL_NS1_7vsmem_tEENKUlT_SJ_SK_SL_E_clISE_PmSF_SF_EESI_SY_SJ_SK_SL_EUlSY_E0_NS1_11comp_targetILNS1_3genE5ELNS1_11target_archE942ELNS1_3gpuE9ELNS1_3repE0EEENS1_38merge_mergepath_config_static_selectorELNS0_4arch9wavefront6targetE0EEEvSK_: ; @_ZN7rocprim17ROCPRIM_400000_NS6detail17trampoline_kernelINS0_14default_configENS1_38merge_sort_block_merge_config_selectorImNS0_10empty_typeEEEZZNS1_27merge_sort_block_merge_implIS3_N6thrust23THRUST_200600_302600_NS6detail15normal_iteratorINS9_10device_ptrImEEEEPS5_m11less_div_10ImEEE10hipError_tT0_T1_T2_jT3_P12ihipStream_tbPNSt15iterator_traitsISJ_E10value_typeEPNSP_ISK_E10value_typeEPSL_NS1_7vsmem_tEENKUlT_SJ_SK_SL_E_clISE_PmSF_SF_EESI_SY_SJ_SK_SL_EUlSY_E0_NS1_11comp_targetILNS1_3genE5ELNS1_11target_archE942ELNS1_3gpuE9ELNS1_3repE0EEENS1_38merge_mergepath_config_static_selectorELNS0_4arch9wavefront6targetE0EEEvSK_
; %bb.0:
	.section	.rodata,"a",@progbits
	.p2align	6, 0x0
	.amdhsa_kernel _ZN7rocprim17ROCPRIM_400000_NS6detail17trampoline_kernelINS0_14default_configENS1_38merge_sort_block_merge_config_selectorImNS0_10empty_typeEEEZZNS1_27merge_sort_block_merge_implIS3_N6thrust23THRUST_200600_302600_NS6detail15normal_iteratorINS9_10device_ptrImEEEEPS5_m11less_div_10ImEEE10hipError_tT0_T1_T2_jT3_P12ihipStream_tbPNSt15iterator_traitsISJ_E10value_typeEPNSP_ISK_E10value_typeEPSL_NS1_7vsmem_tEENKUlT_SJ_SK_SL_E_clISE_PmSF_SF_EESI_SY_SJ_SK_SL_EUlSY_E0_NS1_11comp_targetILNS1_3genE5ELNS1_11target_archE942ELNS1_3gpuE9ELNS1_3repE0EEENS1_38merge_mergepath_config_static_selectorELNS0_4arch9wavefront6targetE0EEEvSK_
		.amdhsa_group_segment_fixed_size 0
		.amdhsa_private_segment_fixed_size 0
		.amdhsa_kernarg_size 72
		.amdhsa_user_sgpr_count 6
		.amdhsa_user_sgpr_private_segment_buffer 1
		.amdhsa_user_sgpr_dispatch_ptr 0
		.amdhsa_user_sgpr_queue_ptr 0
		.amdhsa_user_sgpr_kernarg_segment_ptr 1
		.amdhsa_user_sgpr_dispatch_id 0
		.amdhsa_user_sgpr_flat_scratch_init 0
		.amdhsa_user_sgpr_private_segment_size 0
		.amdhsa_wavefront_size32 1
		.amdhsa_uses_dynamic_stack 0
		.amdhsa_system_sgpr_private_segment_wavefront_offset 0
		.amdhsa_system_sgpr_workgroup_id_x 1
		.amdhsa_system_sgpr_workgroup_id_y 0
		.amdhsa_system_sgpr_workgroup_id_z 0
		.amdhsa_system_sgpr_workgroup_info 0
		.amdhsa_system_vgpr_workitem_id 0
		.amdhsa_next_free_vgpr 1
		.amdhsa_next_free_sgpr 1
		.amdhsa_reserve_vcc 0
		.amdhsa_reserve_flat_scratch 0
		.amdhsa_float_round_mode_32 0
		.amdhsa_float_round_mode_16_64 0
		.amdhsa_float_denorm_mode_32 3
		.amdhsa_float_denorm_mode_16_64 3
		.amdhsa_dx10_clamp 1
		.amdhsa_ieee_mode 1
		.amdhsa_fp16_overflow 0
		.amdhsa_workgroup_processor_mode 1
		.amdhsa_memory_ordered 1
		.amdhsa_forward_progress 1
		.amdhsa_shared_vgpr_count 0
		.amdhsa_exception_fp_ieee_invalid_op 0
		.amdhsa_exception_fp_denorm_src 0
		.amdhsa_exception_fp_ieee_div_zero 0
		.amdhsa_exception_fp_ieee_overflow 0
		.amdhsa_exception_fp_ieee_underflow 0
		.amdhsa_exception_fp_ieee_inexact 0
		.amdhsa_exception_int_div_zero 0
	.end_amdhsa_kernel
	.section	.text._ZN7rocprim17ROCPRIM_400000_NS6detail17trampoline_kernelINS0_14default_configENS1_38merge_sort_block_merge_config_selectorImNS0_10empty_typeEEEZZNS1_27merge_sort_block_merge_implIS3_N6thrust23THRUST_200600_302600_NS6detail15normal_iteratorINS9_10device_ptrImEEEEPS5_m11less_div_10ImEEE10hipError_tT0_T1_T2_jT3_P12ihipStream_tbPNSt15iterator_traitsISJ_E10value_typeEPNSP_ISK_E10value_typeEPSL_NS1_7vsmem_tEENKUlT_SJ_SK_SL_E_clISE_PmSF_SF_EESI_SY_SJ_SK_SL_EUlSY_E0_NS1_11comp_targetILNS1_3genE5ELNS1_11target_archE942ELNS1_3gpuE9ELNS1_3repE0EEENS1_38merge_mergepath_config_static_selectorELNS0_4arch9wavefront6targetE0EEEvSK_,"axG",@progbits,_ZN7rocprim17ROCPRIM_400000_NS6detail17trampoline_kernelINS0_14default_configENS1_38merge_sort_block_merge_config_selectorImNS0_10empty_typeEEEZZNS1_27merge_sort_block_merge_implIS3_N6thrust23THRUST_200600_302600_NS6detail15normal_iteratorINS9_10device_ptrImEEEEPS5_m11less_div_10ImEEE10hipError_tT0_T1_T2_jT3_P12ihipStream_tbPNSt15iterator_traitsISJ_E10value_typeEPNSP_ISK_E10value_typeEPSL_NS1_7vsmem_tEENKUlT_SJ_SK_SL_E_clISE_PmSF_SF_EESI_SY_SJ_SK_SL_EUlSY_E0_NS1_11comp_targetILNS1_3genE5ELNS1_11target_archE942ELNS1_3gpuE9ELNS1_3repE0EEENS1_38merge_mergepath_config_static_selectorELNS0_4arch9wavefront6targetE0EEEvSK_,comdat
.Lfunc_end651:
	.size	_ZN7rocprim17ROCPRIM_400000_NS6detail17trampoline_kernelINS0_14default_configENS1_38merge_sort_block_merge_config_selectorImNS0_10empty_typeEEEZZNS1_27merge_sort_block_merge_implIS3_N6thrust23THRUST_200600_302600_NS6detail15normal_iteratorINS9_10device_ptrImEEEEPS5_m11less_div_10ImEEE10hipError_tT0_T1_T2_jT3_P12ihipStream_tbPNSt15iterator_traitsISJ_E10value_typeEPNSP_ISK_E10value_typeEPSL_NS1_7vsmem_tEENKUlT_SJ_SK_SL_E_clISE_PmSF_SF_EESI_SY_SJ_SK_SL_EUlSY_E0_NS1_11comp_targetILNS1_3genE5ELNS1_11target_archE942ELNS1_3gpuE9ELNS1_3repE0EEENS1_38merge_mergepath_config_static_selectorELNS0_4arch9wavefront6targetE0EEEvSK_, .Lfunc_end651-_ZN7rocprim17ROCPRIM_400000_NS6detail17trampoline_kernelINS0_14default_configENS1_38merge_sort_block_merge_config_selectorImNS0_10empty_typeEEEZZNS1_27merge_sort_block_merge_implIS3_N6thrust23THRUST_200600_302600_NS6detail15normal_iteratorINS9_10device_ptrImEEEEPS5_m11less_div_10ImEEE10hipError_tT0_T1_T2_jT3_P12ihipStream_tbPNSt15iterator_traitsISJ_E10value_typeEPNSP_ISK_E10value_typeEPSL_NS1_7vsmem_tEENKUlT_SJ_SK_SL_E_clISE_PmSF_SF_EESI_SY_SJ_SK_SL_EUlSY_E0_NS1_11comp_targetILNS1_3genE5ELNS1_11target_archE942ELNS1_3gpuE9ELNS1_3repE0EEENS1_38merge_mergepath_config_static_selectorELNS0_4arch9wavefront6targetE0EEEvSK_
                                        ; -- End function
	.set _ZN7rocprim17ROCPRIM_400000_NS6detail17trampoline_kernelINS0_14default_configENS1_38merge_sort_block_merge_config_selectorImNS0_10empty_typeEEEZZNS1_27merge_sort_block_merge_implIS3_N6thrust23THRUST_200600_302600_NS6detail15normal_iteratorINS9_10device_ptrImEEEEPS5_m11less_div_10ImEEE10hipError_tT0_T1_T2_jT3_P12ihipStream_tbPNSt15iterator_traitsISJ_E10value_typeEPNSP_ISK_E10value_typeEPSL_NS1_7vsmem_tEENKUlT_SJ_SK_SL_E_clISE_PmSF_SF_EESI_SY_SJ_SK_SL_EUlSY_E0_NS1_11comp_targetILNS1_3genE5ELNS1_11target_archE942ELNS1_3gpuE9ELNS1_3repE0EEENS1_38merge_mergepath_config_static_selectorELNS0_4arch9wavefront6targetE0EEEvSK_.num_vgpr, 0
	.set _ZN7rocprim17ROCPRIM_400000_NS6detail17trampoline_kernelINS0_14default_configENS1_38merge_sort_block_merge_config_selectorImNS0_10empty_typeEEEZZNS1_27merge_sort_block_merge_implIS3_N6thrust23THRUST_200600_302600_NS6detail15normal_iteratorINS9_10device_ptrImEEEEPS5_m11less_div_10ImEEE10hipError_tT0_T1_T2_jT3_P12ihipStream_tbPNSt15iterator_traitsISJ_E10value_typeEPNSP_ISK_E10value_typeEPSL_NS1_7vsmem_tEENKUlT_SJ_SK_SL_E_clISE_PmSF_SF_EESI_SY_SJ_SK_SL_EUlSY_E0_NS1_11comp_targetILNS1_3genE5ELNS1_11target_archE942ELNS1_3gpuE9ELNS1_3repE0EEENS1_38merge_mergepath_config_static_selectorELNS0_4arch9wavefront6targetE0EEEvSK_.num_agpr, 0
	.set _ZN7rocprim17ROCPRIM_400000_NS6detail17trampoline_kernelINS0_14default_configENS1_38merge_sort_block_merge_config_selectorImNS0_10empty_typeEEEZZNS1_27merge_sort_block_merge_implIS3_N6thrust23THRUST_200600_302600_NS6detail15normal_iteratorINS9_10device_ptrImEEEEPS5_m11less_div_10ImEEE10hipError_tT0_T1_T2_jT3_P12ihipStream_tbPNSt15iterator_traitsISJ_E10value_typeEPNSP_ISK_E10value_typeEPSL_NS1_7vsmem_tEENKUlT_SJ_SK_SL_E_clISE_PmSF_SF_EESI_SY_SJ_SK_SL_EUlSY_E0_NS1_11comp_targetILNS1_3genE5ELNS1_11target_archE942ELNS1_3gpuE9ELNS1_3repE0EEENS1_38merge_mergepath_config_static_selectorELNS0_4arch9wavefront6targetE0EEEvSK_.numbered_sgpr, 0
	.set _ZN7rocprim17ROCPRIM_400000_NS6detail17trampoline_kernelINS0_14default_configENS1_38merge_sort_block_merge_config_selectorImNS0_10empty_typeEEEZZNS1_27merge_sort_block_merge_implIS3_N6thrust23THRUST_200600_302600_NS6detail15normal_iteratorINS9_10device_ptrImEEEEPS5_m11less_div_10ImEEE10hipError_tT0_T1_T2_jT3_P12ihipStream_tbPNSt15iterator_traitsISJ_E10value_typeEPNSP_ISK_E10value_typeEPSL_NS1_7vsmem_tEENKUlT_SJ_SK_SL_E_clISE_PmSF_SF_EESI_SY_SJ_SK_SL_EUlSY_E0_NS1_11comp_targetILNS1_3genE5ELNS1_11target_archE942ELNS1_3gpuE9ELNS1_3repE0EEENS1_38merge_mergepath_config_static_selectorELNS0_4arch9wavefront6targetE0EEEvSK_.num_named_barrier, 0
	.set _ZN7rocprim17ROCPRIM_400000_NS6detail17trampoline_kernelINS0_14default_configENS1_38merge_sort_block_merge_config_selectorImNS0_10empty_typeEEEZZNS1_27merge_sort_block_merge_implIS3_N6thrust23THRUST_200600_302600_NS6detail15normal_iteratorINS9_10device_ptrImEEEEPS5_m11less_div_10ImEEE10hipError_tT0_T1_T2_jT3_P12ihipStream_tbPNSt15iterator_traitsISJ_E10value_typeEPNSP_ISK_E10value_typeEPSL_NS1_7vsmem_tEENKUlT_SJ_SK_SL_E_clISE_PmSF_SF_EESI_SY_SJ_SK_SL_EUlSY_E0_NS1_11comp_targetILNS1_3genE5ELNS1_11target_archE942ELNS1_3gpuE9ELNS1_3repE0EEENS1_38merge_mergepath_config_static_selectorELNS0_4arch9wavefront6targetE0EEEvSK_.private_seg_size, 0
	.set _ZN7rocprim17ROCPRIM_400000_NS6detail17trampoline_kernelINS0_14default_configENS1_38merge_sort_block_merge_config_selectorImNS0_10empty_typeEEEZZNS1_27merge_sort_block_merge_implIS3_N6thrust23THRUST_200600_302600_NS6detail15normal_iteratorINS9_10device_ptrImEEEEPS5_m11less_div_10ImEEE10hipError_tT0_T1_T2_jT3_P12ihipStream_tbPNSt15iterator_traitsISJ_E10value_typeEPNSP_ISK_E10value_typeEPSL_NS1_7vsmem_tEENKUlT_SJ_SK_SL_E_clISE_PmSF_SF_EESI_SY_SJ_SK_SL_EUlSY_E0_NS1_11comp_targetILNS1_3genE5ELNS1_11target_archE942ELNS1_3gpuE9ELNS1_3repE0EEENS1_38merge_mergepath_config_static_selectorELNS0_4arch9wavefront6targetE0EEEvSK_.uses_vcc, 0
	.set _ZN7rocprim17ROCPRIM_400000_NS6detail17trampoline_kernelINS0_14default_configENS1_38merge_sort_block_merge_config_selectorImNS0_10empty_typeEEEZZNS1_27merge_sort_block_merge_implIS3_N6thrust23THRUST_200600_302600_NS6detail15normal_iteratorINS9_10device_ptrImEEEEPS5_m11less_div_10ImEEE10hipError_tT0_T1_T2_jT3_P12ihipStream_tbPNSt15iterator_traitsISJ_E10value_typeEPNSP_ISK_E10value_typeEPSL_NS1_7vsmem_tEENKUlT_SJ_SK_SL_E_clISE_PmSF_SF_EESI_SY_SJ_SK_SL_EUlSY_E0_NS1_11comp_targetILNS1_3genE5ELNS1_11target_archE942ELNS1_3gpuE9ELNS1_3repE0EEENS1_38merge_mergepath_config_static_selectorELNS0_4arch9wavefront6targetE0EEEvSK_.uses_flat_scratch, 0
	.set _ZN7rocprim17ROCPRIM_400000_NS6detail17trampoline_kernelINS0_14default_configENS1_38merge_sort_block_merge_config_selectorImNS0_10empty_typeEEEZZNS1_27merge_sort_block_merge_implIS3_N6thrust23THRUST_200600_302600_NS6detail15normal_iteratorINS9_10device_ptrImEEEEPS5_m11less_div_10ImEEE10hipError_tT0_T1_T2_jT3_P12ihipStream_tbPNSt15iterator_traitsISJ_E10value_typeEPNSP_ISK_E10value_typeEPSL_NS1_7vsmem_tEENKUlT_SJ_SK_SL_E_clISE_PmSF_SF_EESI_SY_SJ_SK_SL_EUlSY_E0_NS1_11comp_targetILNS1_3genE5ELNS1_11target_archE942ELNS1_3gpuE9ELNS1_3repE0EEENS1_38merge_mergepath_config_static_selectorELNS0_4arch9wavefront6targetE0EEEvSK_.has_dyn_sized_stack, 0
	.set _ZN7rocprim17ROCPRIM_400000_NS6detail17trampoline_kernelINS0_14default_configENS1_38merge_sort_block_merge_config_selectorImNS0_10empty_typeEEEZZNS1_27merge_sort_block_merge_implIS3_N6thrust23THRUST_200600_302600_NS6detail15normal_iteratorINS9_10device_ptrImEEEEPS5_m11less_div_10ImEEE10hipError_tT0_T1_T2_jT3_P12ihipStream_tbPNSt15iterator_traitsISJ_E10value_typeEPNSP_ISK_E10value_typeEPSL_NS1_7vsmem_tEENKUlT_SJ_SK_SL_E_clISE_PmSF_SF_EESI_SY_SJ_SK_SL_EUlSY_E0_NS1_11comp_targetILNS1_3genE5ELNS1_11target_archE942ELNS1_3gpuE9ELNS1_3repE0EEENS1_38merge_mergepath_config_static_selectorELNS0_4arch9wavefront6targetE0EEEvSK_.has_recursion, 0
	.set _ZN7rocprim17ROCPRIM_400000_NS6detail17trampoline_kernelINS0_14default_configENS1_38merge_sort_block_merge_config_selectorImNS0_10empty_typeEEEZZNS1_27merge_sort_block_merge_implIS3_N6thrust23THRUST_200600_302600_NS6detail15normal_iteratorINS9_10device_ptrImEEEEPS5_m11less_div_10ImEEE10hipError_tT0_T1_T2_jT3_P12ihipStream_tbPNSt15iterator_traitsISJ_E10value_typeEPNSP_ISK_E10value_typeEPSL_NS1_7vsmem_tEENKUlT_SJ_SK_SL_E_clISE_PmSF_SF_EESI_SY_SJ_SK_SL_EUlSY_E0_NS1_11comp_targetILNS1_3genE5ELNS1_11target_archE942ELNS1_3gpuE9ELNS1_3repE0EEENS1_38merge_mergepath_config_static_selectorELNS0_4arch9wavefront6targetE0EEEvSK_.has_indirect_call, 0
	.section	.AMDGPU.csdata,"",@progbits
; Kernel info:
; codeLenInByte = 0
; TotalNumSgprs: 0
; NumVgprs: 0
; ScratchSize: 0
; MemoryBound: 0
; FloatMode: 240
; IeeeMode: 1
; LDSByteSize: 0 bytes/workgroup (compile time only)
; SGPRBlocks: 0
; VGPRBlocks: 0
; NumSGPRsForWavesPerEU: 1
; NumVGPRsForWavesPerEU: 1
; Occupancy: 16
; WaveLimiterHint : 0
; COMPUTE_PGM_RSRC2:SCRATCH_EN: 0
; COMPUTE_PGM_RSRC2:USER_SGPR: 6
; COMPUTE_PGM_RSRC2:TRAP_HANDLER: 0
; COMPUTE_PGM_RSRC2:TGID_X_EN: 1
; COMPUTE_PGM_RSRC2:TGID_Y_EN: 0
; COMPUTE_PGM_RSRC2:TGID_Z_EN: 0
; COMPUTE_PGM_RSRC2:TIDIG_COMP_CNT: 0
	.section	.text._ZN7rocprim17ROCPRIM_400000_NS6detail17trampoline_kernelINS0_14default_configENS1_38merge_sort_block_merge_config_selectorImNS0_10empty_typeEEEZZNS1_27merge_sort_block_merge_implIS3_N6thrust23THRUST_200600_302600_NS6detail15normal_iteratorINS9_10device_ptrImEEEEPS5_m11less_div_10ImEEE10hipError_tT0_T1_T2_jT3_P12ihipStream_tbPNSt15iterator_traitsISJ_E10value_typeEPNSP_ISK_E10value_typeEPSL_NS1_7vsmem_tEENKUlT_SJ_SK_SL_E_clISE_PmSF_SF_EESI_SY_SJ_SK_SL_EUlSY_E0_NS1_11comp_targetILNS1_3genE4ELNS1_11target_archE910ELNS1_3gpuE8ELNS1_3repE0EEENS1_38merge_mergepath_config_static_selectorELNS0_4arch9wavefront6targetE0EEEvSK_,"axG",@progbits,_ZN7rocprim17ROCPRIM_400000_NS6detail17trampoline_kernelINS0_14default_configENS1_38merge_sort_block_merge_config_selectorImNS0_10empty_typeEEEZZNS1_27merge_sort_block_merge_implIS3_N6thrust23THRUST_200600_302600_NS6detail15normal_iteratorINS9_10device_ptrImEEEEPS5_m11less_div_10ImEEE10hipError_tT0_T1_T2_jT3_P12ihipStream_tbPNSt15iterator_traitsISJ_E10value_typeEPNSP_ISK_E10value_typeEPSL_NS1_7vsmem_tEENKUlT_SJ_SK_SL_E_clISE_PmSF_SF_EESI_SY_SJ_SK_SL_EUlSY_E0_NS1_11comp_targetILNS1_3genE4ELNS1_11target_archE910ELNS1_3gpuE8ELNS1_3repE0EEENS1_38merge_mergepath_config_static_selectorELNS0_4arch9wavefront6targetE0EEEvSK_,comdat
	.protected	_ZN7rocprim17ROCPRIM_400000_NS6detail17trampoline_kernelINS0_14default_configENS1_38merge_sort_block_merge_config_selectorImNS0_10empty_typeEEEZZNS1_27merge_sort_block_merge_implIS3_N6thrust23THRUST_200600_302600_NS6detail15normal_iteratorINS9_10device_ptrImEEEEPS5_m11less_div_10ImEEE10hipError_tT0_T1_T2_jT3_P12ihipStream_tbPNSt15iterator_traitsISJ_E10value_typeEPNSP_ISK_E10value_typeEPSL_NS1_7vsmem_tEENKUlT_SJ_SK_SL_E_clISE_PmSF_SF_EESI_SY_SJ_SK_SL_EUlSY_E0_NS1_11comp_targetILNS1_3genE4ELNS1_11target_archE910ELNS1_3gpuE8ELNS1_3repE0EEENS1_38merge_mergepath_config_static_selectorELNS0_4arch9wavefront6targetE0EEEvSK_ ; -- Begin function _ZN7rocprim17ROCPRIM_400000_NS6detail17trampoline_kernelINS0_14default_configENS1_38merge_sort_block_merge_config_selectorImNS0_10empty_typeEEEZZNS1_27merge_sort_block_merge_implIS3_N6thrust23THRUST_200600_302600_NS6detail15normal_iteratorINS9_10device_ptrImEEEEPS5_m11less_div_10ImEEE10hipError_tT0_T1_T2_jT3_P12ihipStream_tbPNSt15iterator_traitsISJ_E10value_typeEPNSP_ISK_E10value_typeEPSL_NS1_7vsmem_tEENKUlT_SJ_SK_SL_E_clISE_PmSF_SF_EESI_SY_SJ_SK_SL_EUlSY_E0_NS1_11comp_targetILNS1_3genE4ELNS1_11target_archE910ELNS1_3gpuE8ELNS1_3repE0EEENS1_38merge_mergepath_config_static_selectorELNS0_4arch9wavefront6targetE0EEEvSK_
	.globl	_ZN7rocprim17ROCPRIM_400000_NS6detail17trampoline_kernelINS0_14default_configENS1_38merge_sort_block_merge_config_selectorImNS0_10empty_typeEEEZZNS1_27merge_sort_block_merge_implIS3_N6thrust23THRUST_200600_302600_NS6detail15normal_iteratorINS9_10device_ptrImEEEEPS5_m11less_div_10ImEEE10hipError_tT0_T1_T2_jT3_P12ihipStream_tbPNSt15iterator_traitsISJ_E10value_typeEPNSP_ISK_E10value_typeEPSL_NS1_7vsmem_tEENKUlT_SJ_SK_SL_E_clISE_PmSF_SF_EESI_SY_SJ_SK_SL_EUlSY_E0_NS1_11comp_targetILNS1_3genE4ELNS1_11target_archE910ELNS1_3gpuE8ELNS1_3repE0EEENS1_38merge_mergepath_config_static_selectorELNS0_4arch9wavefront6targetE0EEEvSK_
	.p2align	8
	.type	_ZN7rocprim17ROCPRIM_400000_NS6detail17trampoline_kernelINS0_14default_configENS1_38merge_sort_block_merge_config_selectorImNS0_10empty_typeEEEZZNS1_27merge_sort_block_merge_implIS3_N6thrust23THRUST_200600_302600_NS6detail15normal_iteratorINS9_10device_ptrImEEEEPS5_m11less_div_10ImEEE10hipError_tT0_T1_T2_jT3_P12ihipStream_tbPNSt15iterator_traitsISJ_E10value_typeEPNSP_ISK_E10value_typeEPSL_NS1_7vsmem_tEENKUlT_SJ_SK_SL_E_clISE_PmSF_SF_EESI_SY_SJ_SK_SL_EUlSY_E0_NS1_11comp_targetILNS1_3genE4ELNS1_11target_archE910ELNS1_3gpuE8ELNS1_3repE0EEENS1_38merge_mergepath_config_static_selectorELNS0_4arch9wavefront6targetE0EEEvSK_,@function
_ZN7rocprim17ROCPRIM_400000_NS6detail17trampoline_kernelINS0_14default_configENS1_38merge_sort_block_merge_config_selectorImNS0_10empty_typeEEEZZNS1_27merge_sort_block_merge_implIS3_N6thrust23THRUST_200600_302600_NS6detail15normal_iteratorINS9_10device_ptrImEEEEPS5_m11less_div_10ImEEE10hipError_tT0_T1_T2_jT3_P12ihipStream_tbPNSt15iterator_traitsISJ_E10value_typeEPNSP_ISK_E10value_typeEPSL_NS1_7vsmem_tEENKUlT_SJ_SK_SL_E_clISE_PmSF_SF_EESI_SY_SJ_SK_SL_EUlSY_E0_NS1_11comp_targetILNS1_3genE4ELNS1_11target_archE910ELNS1_3gpuE8ELNS1_3repE0EEENS1_38merge_mergepath_config_static_selectorELNS0_4arch9wavefront6targetE0EEEvSK_: ; @_ZN7rocprim17ROCPRIM_400000_NS6detail17trampoline_kernelINS0_14default_configENS1_38merge_sort_block_merge_config_selectorImNS0_10empty_typeEEEZZNS1_27merge_sort_block_merge_implIS3_N6thrust23THRUST_200600_302600_NS6detail15normal_iteratorINS9_10device_ptrImEEEEPS5_m11less_div_10ImEEE10hipError_tT0_T1_T2_jT3_P12ihipStream_tbPNSt15iterator_traitsISJ_E10value_typeEPNSP_ISK_E10value_typeEPSL_NS1_7vsmem_tEENKUlT_SJ_SK_SL_E_clISE_PmSF_SF_EESI_SY_SJ_SK_SL_EUlSY_E0_NS1_11comp_targetILNS1_3genE4ELNS1_11target_archE910ELNS1_3gpuE8ELNS1_3repE0EEENS1_38merge_mergepath_config_static_selectorELNS0_4arch9wavefront6targetE0EEEvSK_
; %bb.0:
	.section	.rodata,"a",@progbits
	.p2align	6, 0x0
	.amdhsa_kernel _ZN7rocprim17ROCPRIM_400000_NS6detail17trampoline_kernelINS0_14default_configENS1_38merge_sort_block_merge_config_selectorImNS0_10empty_typeEEEZZNS1_27merge_sort_block_merge_implIS3_N6thrust23THRUST_200600_302600_NS6detail15normal_iteratorINS9_10device_ptrImEEEEPS5_m11less_div_10ImEEE10hipError_tT0_T1_T2_jT3_P12ihipStream_tbPNSt15iterator_traitsISJ_E10value_typeEPNSP_ISK_E10value_typeEPSL_NS1_7vsmem_tEENKUlT_SJ_SK_SL_E_clISE_PmSF_SF_EESI_SY_SJ_SK_SL_EUlSY_E0_NS1_11comp_targetILNS1_3genE4ELNS1_11target_archE910ELNS1_3gpuE8ELNS1_3repE0EEENS1_38merge_mergepath_config_static_selectorELNS0_4arch9wavefront6targetE0EEEvSK_
		.amdhsa_group_segment_fixed_size 0
		.amdhsa_private_segment_fixed_size 0
		.amdhsa_kernarg_size 72
		.amdhsa_user_sgpr_count 6
		.amdhsa_user_sgpr_private_segment_buffer 1
		.amdhsa_user_sgpr_dispatch_ptr 0
		.amdhsa_user_sgpr_queue_ptr 0
		.amdhsa_user_sgpr_kernarg_segment_ptr 1
		.amdhsa_user_sgpr_dispatch_id 0
		.amdhsa_user_sgpr_flat_scratch_init 0
		.amdhsa_user_sgpr_private_segment_size 0
		.amdhsa_wavefront_size32 1
		.amdhsa_uses_dynamic_stack 0
		.amdhsa_system_sgpr_private_segment_wavefront_offset 0
		.amdhsa_system_sgpr_workgroup_id_x 1
		.amdhsa_system_sgpr_workgroup_id_y 0
		.amdhsa_system_sgpr_workgroup_id_z 0
		.amdhsa_system_sgpr_workgroup_info 0
		.amdhsa_system_vgpr_workitem_id 0
		.amdhsa_next_free_vgpr 1
		.amdhsa_next_free_sgpr 1
		.amdhsa_reserve_vcc 0
		.amdhsa_reserve_flat_scratch 0
		.amdhsa_float_round_mode_32 0
		.amdhsa_float_round_mode_16_64 0
		.amdhsa_float_denorm_mode_32 3
		.amdhsa_float_denorm_mode_16_64 3
		.amdhsa_dx10_clamp 1
		.amdhsa_ieee_mode 1
		.amdhsa_fp16_overflow 0
		.amdhsa_workgroup_processor_mode 1
		.amdhsa_memory_ordered 1
		.amdhsa_forward_progress 1
		.amdhsa_shared_vgpr_count 0
		.amdhsa_exception_fp_ieee_invalid_op 0
		.amdhsa_exception_fp_denorm_src 0
		.amdhsa_exception_fp_ieee_div_zero 0
		.amdhsa_exception_fp_ieee_overflow 0
		.amdhsa_exception_fp_ieee_underflow 0
		.amdhsa_exception_fp_ieee_inexact 0
		.amdhsa_exception_int_div_zero 0
	.end_amdhsa_kernel
	.section	.text._ZN7rocprim17ROCPRIM_400000_NS6detail17trampoline_kernelINS0_14default_configENS1_38merge_sort_block_merge_config_selectorImNS0_10empty_typeEEEZZNS1_27merge_sort_block_merge_implIS3_N6thrust23THRUST_200600_302600_NS6detail15normal_iteratorINS9_10device_ptrImEEEEPS5_m11less_div_10ImEEE10hipError_tT0_T1_T2_jT3_P12ihipStream_tbPNSt15iterator_traitsISJ_E10value_typeEPNSP_ISK_E10value_typeEPSL_NS1_7vsmem_tEENKUlT_SJ_SK_SL_E_clISE_PmSF_SF_EESI_SY_SJ_SK_SL_EUlSY_E0_NS1_11comp_targetILNS1_3genE4ELNS1_11target_archE910ELNS1_3gpuE8ELNS1_3repE0EEENS1_38merge_mergepath_config_static_selectorELNS0_4arch9wavefront6targetE0EEEvSK_,"axG",@progbits,_ZN7rocprim17ROCPRIM_400000_NS6detail17trampoline_kernelINS0_14default_configENS1_38merge_sort_block_merge_config_selectorImNS0_10empty_typeEEEZZNS1_27merge_sort_block_merge_implIS3_N6thrust23THRUST_200600_302600_NS6detail15normal_iteratorINS9_10device_ptrImEEEEPS5_m11less_div_10ImEEE10hipError_tT0_T1_T2_jT3_P12ihipStream_tbPNSt15iterator_traitsISJ_E10value_typeEPNSP_ISK_E10value_typeEPSL_NS1_7vsmem_tEENKUlT_SJ_SK_SL_E_clISE_PmSF_SF_EESI_SY_SJ_SK_SL_EUlSY_E0_NS1_11comp_targetILNS1_3genE4ELNS1_11target_archE910ELNS1_3gpuE8ELNS1_3repE0EEENS1_38merge_mergepath_config_static_selectorELNS0_4arch9wavefront6targetE0EEEvSK_,comdat
.Lfunc_end652:
	.size	_ZN7rocprim17ROCPRIM_400000_NS6detail17trampoline_kernelINS0_14default_configENS1_38merge_sort_block_merge_config_selectorImNS0_10empty_typeEEEZZNS1_27merge_sort_block_merge_implIS3_N6thrust23THRUST_200600_302600_NS6detail15normal_iteratorINS9_10device_ptrImEEEEPS5_m11less_div_10ImEEE10hipError_tT0_T1_T2_jT3_P12ihipStream_tbPNSt15iterator_traitsISJ_E10value_typeEPNSP_ISK_E10value_typeEPSL_NS1_7vsmem_tEENKUlT_SJ_SK_SL_E_clISE_PmSF_SF_EESI_SY_SJ_SK_SL_EUlSY_E0_NS1_11comp_targetILNS1_3genE4ELNS1_11target_archE910ELNS1_3gpuE8ELNS1_3repE0EEENS1_38merge_mergepath_config_static_selectorELNS0_4arch9wavefront6targetE0EEEvSK_, .Lfunc_end652-_ZN7rocprim17ROCPRIM_400000_NS6detail17trampoline_kernelINS0_14default_configENS1_38merge_sort_block_merge_config_selectorImNS0_10empty_typeEEEZZNS1_27merge_sort_block_merge_implIS3_N6thrust23THRUST_200600_302600_NS6detail15normal_iteratorINS9_10device_ptrImEEEEPS5_m11less_div_10ImEEE10hipError_tT0_T1_T2_jT3_P12ihipStream_tbPNSt15iterator_traitsISJ_E10value_typeEPNSP_ISK_E10value_typeEPSL_NS1_7vsmem_tEENKUlT_SJ_SK_SL_E_clISE_PmSF_SF_EESI_SY_SJ_SK_SL_EUlSY_E0_NS1_11comp_targetILNS1_3genE4ELNS1_11target_archE910ELNS1_3gpuE8ELNS1_3repE0EEENS1_38merge_mergepath_config_static_selectorELNS0_4arch9wavefront6targetE0EEEvSK_
                                        ; -- End function
	.set _ZN7rocprim17ROCPRIM_400000_NS6detail17trampoline_kernelINS0_14default_configENS1_38merge_sort_block_merge_config_selectorImNS0_10empty_typeEEEZZNS1_27merge_sort_block_merge_implIS3_N6thrust23THRUST_200600_302600_NS6detail15normal_iteratorINS9_10device_ptrImEEEEPS5_m11less_div_10ImEEE10hipError_tT0_T1_T2_jT3_P12ihipStream_tbPNSt15iterator_traitsISJ_E10value_typeEPNSP_ISK_E10value_typeEPSL_NS1_7vsmem_tEENKUlT_SJ_SK_SL_E_clISE_PmSF_SF_EESI_SY_SJ_SK_SL_EUlSY_E0_NS1_11comp_targetILNS1_3genE4ELNS1_11target_archE910ELNS1_3gpuE8ELNS1_3repE0EEENS1_38merge_mergepath_config_static_selectorELNS0_4arch9wavefront6targetE0EEEvSK_.num_vgpr, 0
	.set _ZN7rocprim17ROCPRIM_400000_NS6detail17trampoline_kernelINS0_14default_configENS1_38merge_sort_block_merge_config_selectorImNS0_10empty_typeEEEZZNS1_27merge_sort_block_merge_implIS3_N6thrust23THRUST_200600_302600_NS6detail15normal_iteratorINS9_10device_ptrImEEEEPS5_m11less_div_10ImEEE10hipError_tT0_T1_T2_jT3_P12ihipStream_tbPNSt15iterator_traitsISJ_E10value_typeEPNSP_ISK_E10value_typeEPSL_NS1_7vsmem_tEENKUlT_SJ_SK_SL_E_clISE_PmSF_SF_EESI_SY_SJ_SK_SL_EUlSY_E0_NS1_11comp_targetILNS1_3genE4ELNS1_11target_archE910ELNS1_3gpuE8ELNS1_3repE0EEENS1_38merge_mergepath_config_static_selectorELNS0_4arch9wavefront6targetE0EEEvSK_.num_agpr, 0
	.set _ZN7rocprim17ROCPRIM_400000_NS6detail17trampoline_kernelINS0_14default_configENS1_38merge_sort_block_merge_config_selectorImNS0_10empty_typeEEEZZNS1_27merge_sort_block_merge_implIS3_N6thrust23THRUST_200600_302600_NS6detail15normal_iteratorINS9_10device_ptrImEEEEPS5_m11less_div_10ImEEE10hipError_tT0_T1_T2_jT3_P12ihipStream_tbPNSt15iterator_traitsISJ_E10value_typeEPNSP_ISK_E10value_typeEPSL_NS1_7vsmem_tEENKUlT_SJ_SK_SL_E_clISE_PmSF_SF_EESI_SY_SJ_SK_SL_EUlSY_E0_NS1_11comp_targetILNS1_3genE4ELNS1_11target_archE910ELNS1_3gpuE8ELNS1_3repE0EEENS1_38merge_mergepath_config_static_selectorELNS0_4arch9wavefront6targetE0EEEvSK_.numbered_sgpr, 0
	.set _ZN7rocprim17ROCPRIM_400000_NS6detail17trampoline_kernelINS0_14default_configENS1_38merge_sort_block_merge_config_selectorImNS0_10empty_typeEEEZZNS1_27merge_sort_block_merge_implIS3_N6thrust23THRUST_200600_302600_NS6detail15normal_iteratorINS9_10device_ptrImEEEEPS5_m11less_div_10ImEEE10hipError_tT0_T1_T2_jT3_P12ihipStream_tbPNSt15iterator_traitsISJ_E10value_typeEPNSP_ISK_E10value_typeEPSL_NS1_7vsmem_tEENKUlT_SJ_SK_SL_E_clISE_PmSF_SF_EESI_SY_SJ_SK_SL_EUlSY_E0_NS1_11comp_targetILNS1_3genE4ELNS1_11target_archE910ELNS1_3gpuE8ELNS1_3repE0EEENS1_38merge_mergepath_config_static_selectorELNS0_4arch9wavefront6targetE0EEEvSK_.num_named_barrier, 0
	.set _ZN7rocprim17ROCPRIM_400000_NS6detail17trampoline_kernelINS0_14default_configENS1_38merge_sort_block_merge_config_selectorImNS0_10empty_typeEEEZZNS1_27merge_sort_block_merge_implIS3_N6thrust23THRUST_200600_302600_NS6detail15normal_iteratorINS9_10device_ptrImEEEEPS5_m11less_div_10ImEEE10hipError_tT0_T1_T2_jT3_P12ihipStream_tbPNSt15iterator_traitsISJ_E10value_typeEPNSP_ISK_E10value_typeEPSL_NS1_7vsmem_tEENKUlT_SJ_SK_SL_E_clISE_PmSF_SF_EESI_SY_SJ_SK_SL_EUlSY_E0_NS1_11comp_targetILNS1_3genE4ELNS1_11target_archE910ELNS1_3gpuE8ELNS1_3repE0EEENS1_38merge_mergepath_config_static_selectorELNS0_4arch9wavefront6targetE0EEEvSK_.private_seg_size, 0
	.set _ZN7rocprim17ROCPRIM_400000_NS6detail17trampoline_kernelINS0_14default_configENS1_38merge_sort_block_merge_config_selectorImNS0_10empty_typeEEEZZNS1_27merge_sort_block_merge_implIS3_N6thrust23THRUST_200600_302600_NS6detail15normal_iteratorINS9_10device_ptrImEEEEPS5_m11less_div_10ImEEE10hipError_tT0_T1_T2_jT3_P12ihipStream_tbPNSt15iterator_traitsISJ_E10value_typeEPNSP_ISK_E10value_typeEPSL_NS1_7vsmem_tEENKUlT_SJ_SK_SL_E_clISE_PmSF_SF_EESI_SY_SJ_SK_SL_EUlSY_E0_NS1_11comp_targetILNS1_3genE4ELNS1_11target_archE910ELNS1_3gpuE8ELNS1_3repE0EEENS1_38merge_mergepath_config_static_selectorELNS0_4arch9wavefront6targetE0EEEvSK_.uses_vcc, 0
	.set _ZN7rocprim17ROCPRIM_400000_NS6detail17trampoline_kernelINS0_14default_configENS1_38merge_sort_block_merge_config_selectorImNS0_10empty_typeEEEZZNS1_27merge_sort_block_merge_implIS3_N6thrust23THRUST_200600_302600_NS6detail15normal_iteratorINS9_10device_ptrImEEEEPS5_m11less_div_10ImEEE10hipError_tT0_T1_T2_jT3_P12ihipStream_tbPNSt15iterator_traitsISJ_E10value_typeEPNSP_ISK_E10value_typeEPSL_NS1_7vsmem_tEENKUlT_SJ_SK_SL_E_clISE_PmSF_SF_EESI_SY_SJ_SK_SL_EUlSY_E0_NS1_11comp_targetILNS1_3genE4ELNS1_11target_archE910ELNS1_3gpuE8ELNS1_3repE0EEENS1_38merge_mergepath_config_static_selectorELNS0_4arch9wavefront6targetE0EEEvSK_.uses_flat_scratch, 0
	.set _ZN7rocprim17ROCPRIM_400000_NS6detail17trampoline_kernelINS0_14default_configENS1_38merge_sort_block_merge_config_selectorImNS0_10empty_typeEEEZZNS1_27merge_sort_block_merge_implIS3_N6thrust23THRUST_200600_302600_NS6detail15normal_iteratorINS9_10device_ptrImEEEEPS5_m11less_div_10ImEEE10hipError_tT0_T1_T2_jT3_P12ihipStream_tbPNSt15iterator_traitsISJ_E10value_typeEPNSP_ISK_E10value_typeEPSL_NS1_7vsmem_tEENKUlT_SJ_SK_SL_E_clISE_PmSF_SF_EESI_SY_SJ_SK_SL_EUlSY_E0_NS1_11comp_targetILNS1_3genE4ELNS1_11target_archE910ELNS1_3gpuE8ELNS1_3repE0EEENS1_38merge_mergepath_config_static_selectorELNS0_4arch9wavefront6targetE0EEEvSK_.has_dyn_sized_stack, 0
	.set _ZN7rocprim17ROCPRIM_400000_NS6detail17trampoline_kernelINS0_14default_configENS1_38merge_sort_block_merge_config_selectorImNS0_10empty_typeEEEZZNS1_27merge_sort_block_merge_implIS3_N6thrust23THRUST_200600_302600_NS6detail15normal_iteratorINS9_10device_ptrImEEEEPS5_m11less_div_10ImEEE10hipError_tT0_T1_T2_jT3_P12ihipStream_tbPNSt15iterator_traitsISJ_E10value_typeEPNSP_ISK_E10value_typeEPSL_NS1_7vsmem_tEENKUlT_SJ_SK_SL_E_clISE_PmSF_SF_EESI_SY_SJ_SK_SL_EUlSY_E0_NS1_11comp_targetILNS1_3genE4ELNS1_11target_archE910ELNS1_3gpuE8ELNS1_3repE0EEENS1_38merge_mergepath_config_static_selectorELNS0_4arch9wavefront6targetE0EEEvSK_.has_recursion, 0
	.set _ZN7rocprim17ROCPRIM_400000_NS6detail17trampoline_kernelINS0_14default_configENS1_38merge_sort_block_merge_config_selectorImNS0_10empty_typeEEEZZNS1_27merge_sort_block_merge_implIS3_N6thrust23THRUST_200600_302600_NS6detail15normal_iteratorINS9_10device_ptrImEEEEPS5_m11less_div_10ImEEE10hipError_tT0_T1_T2_jT3_P12ihipStream_tbPNSt15iterator_traitsISJ_E10value_typeEPNSP_ISK_E10value_typeEPSL_NS1_7vsmem_tEENKUlT_SJ_SK_SL_E_clISE_PmSF_SF_EESI_SY_SJ_SK_SL_EUlSY_E0_NS1_11comp_targetILNS1_3genE4ELNS1_11target_archE910ELNS1_3gpuE8ELNS1_3repE0EEENS1_38merge_mergepath_config_static_selectorELNS0_4arch9wavefront6targetE0EEEvSK_.has_indirect_call, 0
	.section	.AMDGPU.csdata,"",@progbits
; Kernel info:
; codeLenInByte = 0
; TotalNumSgprs: 0
; NumVgprs: 0
; ScratchSize: 0
; MemoryBound: 0
; FloatMode: 240
; IeeeMode: 1
; LDSByteSize: 0 bytes/workgroup (compile time only)
; SGPRBlocks: 0
; VGPRBlocks: 0
; NumSGPRsForWavesPerEU: 1
; NumVGPRsForWavesPerEU: 1
; Occupancy: 16
; WaveLimiterHint : 0
; COMPUTE_PGM_RSRC2:SCRATCH_EN: 0
; COMPUTE_PGM_RSRC2:USER_SGPR: 6
; COMPUTE_PGM_RSRC2:TRAP_HANDLER: 0
; COMPUTE_PGM_RSRC2:TGID_X_EN: 1
; COMPUTE_PGM_RSRC2:TGID_Y_EN: 0
; COMPUTE_PGM_RSRC2:TGID_Z_EN: 0
; COMPUTE_PGM_RSRC2:TIDIG_COMP_CNT: 0
	.section	.text._ZN7rocprim17ROCPRIM_400000_NS6detail17trampoline_kernelINS0_14default_configENS1_38merge_sort_block_merge_config_selectorImNS0_10empty_typeEEEZZNS1_27merge_sort_block_merge_implIS3_N6thrust23THRUST_200600_302600_NS6detail15normal_iteratorINS9_10device_ptrImEEEEPS5_m11less_div_10ImEEE10hipError_tT0_T1_T2_jT3_P12ihipStream_tbPNSt15iterator_traitsISJ_E10value_typeEPNSP_ISK_E10value_typeEPSL_NS1_7vsmem_tEENKUlT_SJ_SK_SL_E_clISE_PmSF_SF_EESI_SY_SJ_SK_SL_EUlSY_E0_NS1_11comp_targetILNS1_3genE3ELNS1_11target_archE908ELNS1_3gpuE7ELNS1_3repE0EEENS1_38merge_mergepath_config_static_selectorELNS0_4arch9wavefront6targetE0EEEvSK_,"axG",@progbits,_ZN7rocprim17ROCPRIM_400000_NS6detail17trampoline_kernelINS0_14default_configENS1_38merge_sort_block_merge_config_selectorImNS0_10empty_typeEEEZZNS1_27merge_sort_block_merge_implIS3_N6thrust23THRUST_200600_302600_NS6detail15normal_iteratorINS9_10device_ptrImEEEEPS5_m11less_div_10ImEEE10hipError_tT0_T1_T2_jT3_P12ihipStream_tbPNSt15iterator_traitsISJ_E10value_typeEPNSP_ISK_E10value_typeEPSL_NS1_7vsmem_tEENKUlT_SJ_SK_SL_E_clISE_PmSF_SF_EESI_SY_SJ_SK_SL_EUlSY_E0_NS1_11comp_targetILNS1_3genE3ELNS1_11target_archE908ELNS1_3gpuE7ELNS1_3repE0EEENS1_38merge_mergepath_config_static_selectorELNS0_4arch9wavefront6targetE0EEEvSK_,comdat
	.protected	_ZN7rocprim17ROCPRIM_400000_NS6detail17trampoline_kernelINS0_14default_configENS1_38merge_sort_block_merge_config_selectorImNS0_10empty_typeEEEZZNS1_27merge_sort_block_merge_implIS3_N6thrust23THRUST_200600_302600_NS6detail15normal_iteratorINS9_10device_ptrImEEEEPS5_m11less_div_10ImEEE10hipError_tT0_T1_T2_jT3_P12ihipStream_tbPNSt15iterator_traitsISJ_E10value_typeEPNSP_ISK_E10value_typeEPSL_NS1_7vsmem_tEENKUlT_SJ_SK_SL_E_clISE_PmSF_SF_EESI_SY_SJ_SK_SL_EUlSY_E0_NS1_11comp_targetILNS1_3genE3ELNS1_11target_archE908ELNS1_3gpuE7ELNS1_3repE0EEENS1_38merge_mergepath_config_static_selectorELNS0_4arch9wavefront6targetE0EEEvSK_ ; -- Begin function _ZN7rocprim17ROCPRIM_400000_NS6detail17trampoline_kernelINS0_14default_configENS1_38merge_sort_block_merge_config_selectorImNS0_10empty_typeEEEZZNS1_27merge_sort_block_merge_implIS3_N6thrust23THRUST_200600_302600_NS6detail15normal_iteratorINS9_10device_ptrImEEEEPS5_m11less_div_10ImEEE10hipError_tT0_T1_T2_jT3_P12ihipStream_tbPNSt15iterator_traitsISJ_E10value_typeEPNSP_ISK_E10value_typeEPSL_NS1_7vsmem_tEENKUlT_SJ_SK_SL_E_clISE_PmSF_SF_EESI_SY_SJ_SK_SL_EUlSY_E0_NS1_11comp_targetILNS1_3genE3ELNS1_11target_archE908ELNS1_3gpuE7ELNS1_3repE0EEENS1_38merge_mergepath_config_static_selectorELNS0_4arch9wavefront6targetE0EEEvSK_
	.globl	_ZN7rocprim17ROCPRIM_400000_NS6detail17trampoline_kernelINS0_14default_configENS1_38merge_sort_block_merge_config_selectorImNS0_10empty_typeEEEZZNS1_27merge_sort_block_merge_implIS3_N6thrust23THRUST_200600_302600_NS6detail15normal_iteratorINS9_10device_ptrImEEEEPS5_m11less_div_10ImEEE10hipError_tT0_T1_T2_jT3_P12ihipStream_tbPNSt15iterator_traitsISJ_E10value_typeEPNSP_ISK_E10value_typeEPSL_NS1_7vsmem_tEENKUlT_SJ_SK_SL_E_clISE_PmSF_SF_EESI_SY_SJ_SK_SL_EUlSY_E0_NS1_11comp_targetILNS1_3genE3ELNS1_11target_archE908ELNS1_3gpuE7ELNS1_3repE0EEENS1_38merge_mergepath_config_static_selectorELNS0_4arch9wavefront6targetE0EEEvSK_
	.p2align	8
	.type	_ZN7rocprim17ROCPRIM_400000_NS6detail17trampoline_kernelINS0_14default_configENS1_38merge_sort_block_merge_config_selectorImNS0_10empty_typeEEEZZNS1_27merge_sort_block_merge_implIS3_N6thrust23THRUST_200600_302600_NS6detail15normal_iteratorINS9_10device_ptrImEEEEPS5_m11less_div_10ImEEE10hipError_tT0_T1_T2_jT3_P12ihipStream_tbPNSt15iterator_traitsISJ_E10value_typeEPNSP_ISK_E10value_typeEPSL_NS1_7vsmem_tEENKUlT_SJ_SK_SL_E_clISE_PmSF_SF_EESI_SY_SJ_SK_SL_EUlSY_E0_NS1_11comp_targetILNS1_3genE3ELNS1_11target_archE908ELNS1_3gpuE7ELNS1_3repE0EEENS1_38merge_mergepath_config_static_selectorELNS0_4arch9wavefront6targetE0EEEvSK_,@function
_ZN7rocprim17ROCPRIM_400000_NS6detail17trampoline_kernelINS0_14default_configENS1_38merge_sort_block_merge_config_selectorImNS0_10empty_typeEEEZZNS1_27merge_sort_block_merge_implIS3_N6thrust23THRUST_200600_302600_NS6detail15normal_iteratorINS9_10device_ptrImEEEEPS5_m11less_div_10ImEEE10hipError_tT0_T1_T2_jT3_P12ihipStream_tbPNSt15iterator_traitsISJ_E10value_typeEPNSP_ISK_E10value_typeEPSL_NS1_7vsmem_tEENKUlT_SJ_SK_SL_E_clISE_PmSF_SF_EESI_SY_SJ_SK_SL_EUlSY_E0_NS1_11comp_targetILNS1_3genE3ELNS1_11target_archE908ELNS1_3gpuE7ELNS1_3repE0EEENS1_38merge_mergepath_config_static_selectorELNS0_4arch9wavefront6targetE0EEEvSK_: ; @_ZN7rocprim17ROCPRIM_400000_NS6detail17trampoline_kernelINS0_14default_configENS1_38merge_sort_block_merge_config_selectorImNS0_10empty_typeEEEZZNS1_27merge_sort_block_merge_implIS3_N6thrust23THRUST_200600_302600_NS6detail15normal_iteratorINS9_10device_ptrImEEEEPS5_m11less_div_10ImEEE10hipError_tT0_T1_T2_jT3_P12ihipStream_tbPNSt15iterator_traitsISJ_E10value_typeEPNSP_ISK_E10value_typeEPSL_NS1_7vsmem_tEENKUlT_SJ_SK_SL_E_clISE_PmSF_SF_EESI_SY_SJ_SK_SL_EUlSY_E0_NS1_11comp_targetILNS1_3genE3ELNS1_11target_archE908ELNS1_3gpuE7ELNS1_3repE0EEENS1_38merge_mergepath_config_static_selectorELNS0_4arch9wavefront6targetE0EEEvSK_
; %bb.0:
	.section	.rodata,"a",@progbits
	.p2align	6, 0x0
	.amdhsa_kernel _ZN7rocprim17ROCPRIM_400000_NS6detail17trampoline_kernelINS0_14default_configENS1_38merge_sort_block_merge_config_selectorImNS0_10empty_typeEEEZZNS1_27merge_sort_block_merge_implIS3_N6thrust23THRUST_200600_302600_NS6detail15normal_iteratorINS9_10device_ptrImEEEEPS5_m11less_div_10ImEEE10hipError_tT0_T1_T2_jT3_P12ihipStream_tbPNSt15iterator_traitsISJ_E10value_typeEPNSP_ISK_E10value_typeEPSL_NS1_7vsmem_tEENKUlT_SJ_SK_SL_E_clISE_PmSF_SF_EESI_SY_SJ_SK_SL_EUlSY_E0_NS1_11comp_targetILNS1_3genE3ELNS1_11target_archE908ELNS1_3gpuE7ELNS1_3repE0EEENS1_38merge_mergepath_config_static_selectorELNS0_4arch9wavefront6targetE0EEEvSK_
		.amdhsa_group_segment_fixed_size 0
		.amdhsa_private_segment_fixed_size 0
		.amdhsa_kernarg_size 72
		.amdhsa_user_sgpr_count 6
		.amdhsa_user_sgpr_private_segment_buffer 1
		.amdhsa_user_sgpr_dispatch_ptr 0
		.amdhsa_user_sgpr_queue_ptr 0
		.amdhsa_user_sgpr_kernarg_segment_ptr 1
		.amdhsa_user_sgpr_dispatch_id 0
		.amdhsa_user_sgpr_flat_scratch_init 0
		.amdhsa_user_sgpr_private_segment_size 0
		.amdhsa_wavefront_size32 1
		.amdhsa_uses_dynamic_stack 0
		.amdhsa_system_sgpr_private_segment_wavefront_offset 0
		.amdhsa_system_sgpr_workgroup_id_x 1
		.amdhsa_system_sgpr_workgroup_id_y 0
		.amdhsa_system_sgpr_workgroup_id_z 0
		.amdhsa_system_sgpr_workgroup_info 0
		.amdhsa_system_vgpr_workitem_id 0
		.amdhsa_next_free_vgpr 1
		.amdhsa_next_free_sgpr 1
		.amdhsa_reserve_vcc 0
		.amdhsa_reserve_flat_scratch 0
		.amdhsa_float_round_mode_32 0
		.amdhsa_float_round_mode_16_64 0
		.amdhsa_float_denorm_mode_32 3
		.amdhsa_float_denorm_mode_16_64 3
		.amdhsa_dx10_clamp 1
		.amdhsa_ieee_mode 1
		.amdhsa_fp16_overflow 0
		.amdhsa_workgroup_processor_mode 1
		.amdhsa_memory_ordered 1
		.amdhsa_forward_progress 1
		.amdhsa_shared_vgpr_count 0
		.amdhsa_exception_fp_ieee_invalid_op 0
		.amdhsa_exception_fp_denorm_src 0
		.amdhsa_exception_fp_ieee_div_zero 0
		.amdhsa_exception_fp_ieee_overflow 0
		.amdhsa_exception_fp_ieee_underflow 0
		.amdhsa_exception_fp_ieee_inexact 0
		.amdhsa_exception_int_div_zero 0
	.end_amdhsa_kernel
	.section	.text._ZN7rocprim17ROCPRIM_400000_NS6detail17trampoline_kernelINS0_14default_configENS1_38merge_sort_block_merge_config_selectorImNS0_10empty_typeEEEZZNS1_27merge_sort_block_merge_implIS3_N6thrust23THRUST_200600_302600_NS6detail15normal_iteratorINS9_10device_ptrImEEEEPS5_m11less_div_10ImEEE10hipError_tT0_T1_T2_jT3_P12ihipStream_tbPNSt15iterator_traitsISJ_E10value_typeEPNSP_ISK_E10value_typeEPSL_NS1_7vsmem_tEENKUlT_SJ_SK_SL_E_clISE_PmSF_SF_EESI_SY_SJ_SK_SL_EUlSY_E0_NS1_11comp_targetILNS1_3genE3ELNS1_11target_archE908ELNS1_3gpuE7ELNS1_3repE0EEENS1_38merge_mergepath_config_static_selectorELNS0_4arch9wavefront6targetE0EEEvSK_,"axG",@progbits,_ZN7rocprim17ROCPRIM_400000_NS6detail17trampoline_kernelINS0_14default_configENS1_38merge_sort_block_merge_config_selectorImNS0_10empty_typeEEEZZNS1_27merge_sort_block_merge_implIS3_N6thrust23THRUST_200600_302600_NS6detail15normal_iteratorINS9_10device_ptrImEEEEPS5_m11less_div_10ImEEE10hipError_tT0_T1_T2_jT3_P12ihipStream_tbPNSt15iterator_traitsISJ_E10value_typeEPNSP_ISK_E10value_typeEPSL_NS1_7vsmem_tEENKUlT_SJ_SK_SL_E_clISE_PmSF_SF_EESI_SY_SJ_SK_SL_EUlSY_E0_NS1_11comp_targetILNS1_3genE3ELNS1_11target_archE908ELNS1_3gpuE7ELNS1_3repE0EEENS1_38merge_mergepath_config_static_selectorELNS0_4arch9wavefront6targetE0EEEvSK_,comdat
.Lfunc_end653:
	.size	_ZN7rocprim17ROCPRIM_400000_NS6detail17trampoline_kernelINS0_14default_configENS1_38merge_sort_block_merge_config_selectorImNS0_10empty_typeEEEZZNS1_27merge_sort_block_merge_implIS3_N6thrust23THRUST_200600_302600_NS6detail15normal_iteratorINS9_10device_ptrImEEEEPS5_m11less_div_10ImEEE10hipError_tT0_T1_T2_jT3_P12ihipStream_tbPNSt15iterator_traitsISJ_E10value_typeEPNSP_ISK_E10value_typeEPSL_NS1_7vsmem_tEENKUlT_SJ_SK_SL_E_clISE_PmSF_SF_EESI_SY_SJ_SK_SL_EUlSY_E0_NS1_11comp_targetILNS1_3genE3ELNS1_11target_archE908ELNS1_3gpuE7ELNS1_3repE0EEENS1_38merge_mergepath_config_static_selectorELNS0_4arch9wavefront6targetE0EEEvSK_, .Lfunc_end653-_ZN7rocprim17ROCPRIM_400000_NS6detail17trampoline_kernelINS0_14default_configENS1_38merge_sort_block_merge_config_selectorImNS0_10empty_typeEEEZZNS1_27merge_sort_block_merge_implIS3_N6thrust23THRUST_200600_302600_NS6detail15normal_iteratorINS9_10device_ptrImEEEEPS5_m11less_div_10ImEEE10hipError_tT0_T1_T2_jT3_P12ihipStream_tbPNSt15iterator_traitsISJ_E10value_typeEPNSP_ISK_E10value_typeEPSL_NS1_7vsmem_tEENKUlT_SJ_SK_SL_E_clISE_PmSF_SF_EESI_SY_SJ_SK_SL_EUlSY_E0_NS1_11comp_targetILNS1_3genE3ELNS1_11target_archE908ELNS1_3gpuE7ELNS1_3repE0EEENS1_38merge_mergepath_config_static_selectorELNS0_4arch9wavefront6targetE0EEEvSK_
                                        ; -- End function
	.set _ZN7rocprim17ROCPRIM_400000_NS6detail17trampoline_kernelINS0_14default_configENS1_38merge_sort_block_merge_config_selectorImNS0_10empty_typeEEEZZNS1_27merge_sort_block_merge_implIS3_N6thrust23THRUST_200600_302600_NS6detail15normal_iteratorINS9_10device_ptrImEEEEPS5_m11less_div_10ImEEE10hipError_tT0_T1_T2_jT3_P12ihipStream_tbPNSt15iterator_traitsISJ_E10value_typeEPNSP_ISK_E10value_typeEPSL_NS1_7vsmem_tEENKUlT_SJ_SK_SL_E_clISE_PmSF_SF_EESI_SY_SJ_SK_SL_EUlSY_E0_NS1_11comp_targetILNS1_3genE3ELNS1_11target_archE908ELNS1_3gpuE7ELNS1_3repE0EEENS1_38merge_mergepath_config_static_selectorELNS0_4arch9wavefront6targetE0EEEvSK_.num_vgpr, 0
	.set _ZN7rocprim17ROCPRIM_400000_NS6detail17trampoline_kernelINS0_14default_configENS1_38merge_sort_block_merge_config_selectorImNS0_10empty_typeEEEZZNS1_27merge_sort_block_merge_implIS3_N6thrust23THRUST_200600_302600_NS6detail15normal_iteratorINS9_10device_ptrImEEEEPS5_m11less_div_10ImEEE10hipError_tT0_T1_T2_jT3_P12ihipStream_tbPNSt15iterator_traitsISJ_E10value_typeEPNSP_ISK_E10value_typeEPSL_NS1_7vsmem_tEENKUlT_SJ_SK_SL_E_clISE_PmSF_SF_EESI_SY_SJ_SK_SL_EUlSY_E0_NS1_11comp_targetILNS1_3genE3ELNS1_11target_archE908ELNS1_3gpuE7ELNS1_3repE0EEENS1_38merge_mergepath_config_static_selectorELNS0_4arch9wavefront6targetE0EEEvSK_.num_agpr, 0
	.set _ZN7rocprim17ROCPRIM_400000_NS6detail17trampoline_kernelINS0_14default_configENS1_38merge_sort_block_merge_config_selectorImNS0_10empty_typeEEEZZNS1_27merge_sort_block_merge_implIS3_N6thrust23THRUST_200600_302600_NS6detail15normal_iteratorINS9_10device_ptrImEEEEPS5_m11less_div_10ImEEE10hipError_tT0_T1_T2_jT3_P12ihipStream_tbPNSt15iterator_traitsISJ_E10value_typeEPNSP_ISK_E10value_typeEPSL_NS1_7vsmem_tEENKUlT_SJ_SK_SL_E_clISE_PmSF_SF_EESI_SY_SJ_SK_SL_EUlSY_E0_NS1_11comp_targetILNS1_3genE3ELNS1_11target_archE908ELNS1_3gpuE7ELNS1_3repE0EEENS1_38merge_mergepath_config_static_selectorELNS0_4arch9wavefront6targetE0EEEvSK_.numbered_sgpr, 0
	.set _ZN7rocprim17ROCPRIM_400000_NS6detail17trampoline_kernelINS0_14default_configENS1_38merge_sort_block_merge_config_selectorImNS0_10empty_typeEEEZZNS1_27merge_sort_block_merge_implIS3_N6thrust23THRUST_200600_302600_NS6detail15normal_iteratorINS9_10device_ptrImEEEEPS5_m11less_div_10ImEEE10hipError_tT0_T1_T2_jT3_P12ihipStream_tbPNSt15iterator_traitsISJ_E10value_typeEPNSP_ISK_E10value_typeEPSL_NS1_7vsmem_tEENKUlT_SJ_SK_SL_E_clISE_PmSF_SF_EESI_SY_SJ_SK_SL_EUlSY_E0_NS1_11comp_targetILNS1_3genE3ELNS1_11target_archE908ELNS1_3gpuE7ELNS1_3repE0EEENS1_38merge_mergepath_config_static_selectorELNS0_4arch9wavefront6targetE0EEEvSK_.num_named_barrier, 0
	.set _ZN7rocprim17ROCPRIM_400000_NS6detail17trampoline_kernelINS0_14default_configENS1_38merge_sort_block_merge_config_selectorImNS0_10empty_typeEEEZZNS1_27merge_sort_block_merge_implIS3_N6thrust23THRUST_200600_302600_NS6detail15normal_iteratorINS9_10device_ptrImEEEEPS5_m11less_div_10ImEEE10hipError_tT0_T1_T2_jT3_P12ihipStream_tbPNSt15iterator_traitsISJ_E10value_typeEPNSP_ISK_E10value_typeEPSL_NS1_7vsmem_tEENKUlT_SJ_SK_SL_E_clISE_PmSF_SF_EESI_SY_SJ_SK_SL_EUlSY_E0_NS1_11comp_targetILNS1_3genE3ELNS1_11target_archE908ELNS1_3gpuE7ELNS1_3repE0EEENS1_38merge_mergepath_config_static_selectorELNS0_4arch9wavefront6targetE0EEEvSK_.private_seg_size, 0
	.set _ZN7rocprim17ROCPRIM_400000_NS6detail17trampoline_kernelINS0_14default_configENS1_38merge_sort_block_merge_config_selectorImNS0_10empty_typeEEEZZNS1_27merge_sort_block_merge_implIS3_N6thrust23THRUST_200600_302600_NS6detail15normal_iteratorINS9_10device_ptrImEEEEPS5_m11less_div_10ImEEE10hipError_tT0_T1_T2_jT3_P12ihipStream_tbPNSt15iterator_traitsISJ_E10value_typeEPNSP_ISK_E10value_typeEPSL_NS1_7vsmem_tEENKUlT_SJ_SK_SL_E_clISE_PmSF_SF_EESI_SY_SJ_SK_SL_EUlSY_E0_NS1_11comp_targetILNS1_3genE3ELNS1_11target_archE908ELNS1_3gpuE7ELNS1_3repE0EEENS1_38merge_mergepath_config_static_selectorELNS0_4arch9wavefront6targetE0EEEvSK_.uses_vcc, 0
	.set _ZN7rocprim17ROCPRIM_400000_NS6detail17trampoline_kernelINS0_14default_configENS1_38merge_sort_block_merge_config_selectorImNS0_10empty_typeEEEZZNS1_27merge_sort_block_merge_implIS3_N6thrust23THRUST_200600_302600_NS6detail15normal_iteratorINS9_10device_ptrImEEEEPS5_m11less_div_10ImEEE10hipError_tT0_T1_T2_jT3_P12ihipStream_tbPNSt15iterator_traitsISJ_E10value_typeEPNSP_ISK_E10value_typeEPSL_NS1_7vsmem_tEENKUlT_SJ_SK_SL_E_clISE_PmSF_SF_EESI_SY_SJ_SK_SL_EUlSY_E0_NS1_11comp_targetILNS1_3genE3ELNS1_11target_archE908ELNS1_3gpuE7ELNS1_3repE0EEENS1_38merge_mergepath_config_static_selectorELNS0_4arch9wavefront6targetE0EEEvSK_.uses_flat_scratch, 0
	.set _ZN7rocprim17ROCPRIM_400000_NS6detail17trampoline_kernelINS0_14default_configENS1_38merge_sort_block_merge_config_selectorImNS0_10empty_typeEEEZZNS1_27merge_sort_block_merge_implIS3_N6thrust23THRUST_200600_302600_NS6detail15normal_iteratorINS9_10device_ptrImEEEEPS5_m11less_div_10ImEEE10hipError_tT0_T1_T2_jT3_P12ihipStream_tbPNSt15iterator_traitsISJ_E10value_typeEPNSP_ISK_E10value_typeEPSL_NS1_7vsmem_tEENKUlT_SJ_SK_SL_E_clISE_PmSF_SF_EESI_SY_SJ_SK_SL_EUlSY_E0_NS1_11comp_targetILNS1_3genE3ELNS1_11target_archE908ELNS1_3gpuE7ELNS1_3repE0EEENS1_38merge_mergepath_config_static_selectorELNS0_4arch9wavefront6targetE0EEEvSK_.has_dyn_sized_stack, 0
	.set _ZN7rocprim17ROCPRIM_400000_NS6detail17trampoline_kernelINS0_14default_configENS1_38merge_sort_block_merge_config_selectorImNS0_10empty_typeEEEZZNS1_27merge_sort_block_merge_implIS3_N6thrust23THRUST_200600_302600_NS6detail15normal_iteratorINS9_10device_ptrImEEEEPS5_m11less_div_10ImEEE10hipError_tT0_T1_T2_jT3_P12ihipStream_tbPNSt15iterator_traitsISJ_E10value_typeEPNSP_ISK_E10value_typeEPSL_NS1_7vsmem_tEENKUlT_SJ_SK_SL_E_clISE_PmSF_SF_EESI_SY_SJ_SK_SL_EUlSY_E0_NS1_11comp_targetILNS1_3genE3ELNS1_11target_archE908ELNS1_3gpuE7ELNS1_3repE0EEENS1_38merge_mergepath_config_static_selectorELNS0_4arch9wavefront6targetE0EEEvSK_.has_recursion, 0
	.set _ZN7rocprim17ROCPRIM_400000_NS6detail17trampoline_kernelINS0_14default_configENS1_38merge_sort_block_merge_config_selectorImNS0_10empty_typeEEEZZNS1_27merge_sort_block_merge_implIS3_N6thrust23THRUST_200600_302600_NS6detail15normal_iteratorINS9_10device_ptrImEEEEPS5_m11less_div_10ImEEE10hipError_tT0_T1_T2_jT3_P12ihipStream_tbPNSt15iterator_traitsISJ_E10value_typeEPNSP_ISK_E10value_typeEPSL_NS1_7vsmem_tEENKUlT_SJ_SK_SL_E_clISE_PmSF_SF_EESI_SY_SJ_SK_SL_EUlSY_E0_NS1_11comp_targetILNS1_3genE3ELNS1_11target_archE908ELNS1_3gpuE7ELNS1_3repE0EEENS1_38merge_mergepath_config_static_selectorELNS0_4arch9wavefront6targetE0EEEvSK_.has_indirect_call, 0
	.section	.AMDGPU.csdata,"",@progbits
; Kernel info:
; codeLenInByte = 0
; TotalNumSgprs: 0
; NumVgprs: 0
; ScratchSize: 0
; MemoryBound: 0
; FloatMode: 240
; IeeeMode: 1
; LDSByteSize: 0 bytes/workgroup (compile time only)
; SGPRBlocks: 0
; VGPRBlocks: 0
; NumSGPRsForWavesPerEU: 1
; NumVGPRsForWavesPerEU: 1
; Occupancy: 16
; WaveLimiterHint : 0
; COMPUTE_PGM_RSRC2:SCRATCH_EN: 0
; COMPUTE_PGM_RSRC2:USER_SGPR: 6
; COMPUTE_PGM_RSRC2:TRAP_HANDLER: 0
; COMPUTE_PGM_RSRC2:TGID_X_EN: 1
; COMPUTE_PGM_RSRC2:TGID_Y_EN: 0
; COMPUTE_PGM_RSRC2:TGID_Z_EN: 0
; COMPUTE_PGM_RSRC2:TIDIG_COMP_CNT: 0
	.section	.text._ZN7rocprim17ROCPRIM_400000_NS6detail17trampoline_kernelINS0_14default_configENS1_38merge_sort_block_merge_config_selectorImNS0_10empty_typeEEEZZNS1_27merge_sort_block_merge_implIS3_N6thrust23THRUST_200600_302600_NS6detail15normal_iteratorINS9_10device_ptrImEEEEPS5_m11less_div_10ImEEE10hipError_tT0_T1_T2_jT3_P12ihipStream_tbPNSt15iterator_traitsISJ_E10value_typeEPNSP_ISK_E10value_typeEPSL_NS1_7vsmem_tEENKUlT_SJ_SK_SL_E_clISE_PmSF_SF_EESI_SY_SJ_SK_SL_EUlSY_E0_NS1_11comp_targetILNS1_3genE2ELNS1_11target_archE906ELNS1_3gpuE6ELNS1_3repE0EEENS1_38merge_mergepath_config_static_selectorELNS0_4arch9wavefront6targetE0EEEvSK_,"axG",@progbits,_ZN7rocprim17ROCPRIM_400000_NS6detail17trampoline_kernelINS0_14default_configENS1_38merge_sort_block_merge_config_selectorImNS0_10empty_typeEEEZZNS1_27merge_sort_block_merge_implIS3_N6thrust23THRUST_200600_302600_NS6detail15normal_iteratorINS9_10device_ptrImEEEEPS5_m11less_div_10ImEEE10hipError_tT0_T1_T2_jT3_P12ihipStream_tbPNSt15iterator_traitsISJ_E10value_typeEPNSP_ISK_E10value_typeEPSL_NS1_7vsmem_tEENKUlT_SJ_SK_SL_E_clISE_PmSF_SF_EESI_SY_SJ_SK_SL_EUlSY_E0_NS1_11comp_targetILNS1_3genE2ELNS1_11target_archE906ELNS1_3gpuE6ELNS1_3repE0EEENS1_38merge_mergepath_config_static_selectorELNS0_4arch9wavefront6targetE0EEEvSK_,comdat
	.protected	_ZN7rocprim17ROCPRIM_400000_NS6detail17trampoline_kernelINS0_14default_configENS1_38merge_sort_block_merge_config_selectorImNS0_10empty_typeEEEZZNS1_27merge_sort_block_merge_implIS3_N6thrust23THRUST_200600_302600_NS6detail15normal_iteratorINS9_10device_ptrImEEEEPS5_m11less_div_10ImEEE10hipError_tT0_T1_T2_jT3_P12ihipStream_tbPNSt15iterator_traitsISJ_E10value_typeEPNSP_ISK_E10value_typeEPSL_NS1_7vsmem_tEENKUlT_SJ_SK_SL_E_clISE_PmSF_SF_EESI_SY_SJ_SK_SL_EUlSY_E0_NS1_11comp_targetILNS1_3genE2ELNS1_11target_archE906ELNS1_3gpuE6ELNS1_3repE0EEENS1_38merge_mergepath_config_static_selectorELNS0_4arch9wavefront6targetE0EEEvSK_ ; -- Begin function _ZN7rocprim17ROCPRIM_400000_NS6detail17trampoline_kernelINS0_14default_configENS1_38merge_sort_block_merge_config_selectorImNS0_10empty_typeEEEZZNS1_27merge_sort_block_merge_implIS3_N6thrust23THRUST_200600_302600_NS6detail15normal_iteratorINS9_10device_ptrImEEEEPS5_m11less_div_10ImEEE10hipError_tT0_T1_T2_jT3_P12ihipStream_tbPNSt15iterator_traitsISJ_E10value_typeEPNSP_ISK_E10value_typeEPSL_NS1_7vsmem_tEENKUlT_SJ_SK_SL_E_clISE_PmSF_SF_EESI_SY_SJ_SK_SL_EUlSY_E0_NS1_11comp_targetILNS1_3genE2ELNS1_11target_archE906ELNS1_3gpuE6ELNS1_3repE0EEENS1_38merge_mergepath_config_static_selectorELNS0_4arch9wavefront6targetE0EEEvSK_
	.globl	_ZN7rocprim17ROCPRIM_400000_NS6detail17trampoline_kernelINS0_14default_configENS1_38merge_sort_block_merge_config_selectorImNS0_10empty_typeEEEZZNS1_27merge_sort_block_merge_implIS3_N6thrust23THRUST_200600_302600_NS6detail15normal_iteratorINS9_10device_ptrImEEEEPS5_m11less_div_10ImEEE10hipError_tT0_T1_T2_jT3_P12ihipStream_tbPNSt15iterator_traitsISJ_E10value_typeEPNSP_ISK_E10value_typeEPSL_NS1_7vsmem_tEENKUlT_SJ_SK_SL_E_clISE_PmSF_SF_EESI_SY_SJ_SK_SL_EUlSY_E0_NS1_11comp_targetILNS1_3genE2ELNS1_11target_archE906ELNS1_3gpuE6ELNS1_3repE0EEENS1_38merge_mergepath_config_static_selectorELNS0_4arch9wavefront6targetE0EEEvSK_
	.p2align	8
	.type	_ZN7rocprim17ROCPRIM_400000_NS6detail17trampoline_kernelINS0_14default_configENS1_38merge_sort_block_merge_config_selectorImNS0_10empty_typeEEEZZNS1_27merge_sort_block_merge_implIS3_N6thrust23THRUST_200600_302600_NS6detail15normal_iteratorINS9_10device_ptrImEEEEPS5_m11less_div_10ImEEE10hipError_tT0_T1_T2_jT3_P12ihipStream_tbPNSt15iterator_traitsISJ_E10value_typeEPNSP_ISK_E10value_typeEPSL_NS1_7vsmem_tEENKUlT_SJ_SK_SL_E_clISE_PmSF_SF_EESI_SY_SJ_SK_SL_EUlSY_E0_NS1_11comp_targetILNS1_3genE2ELNS1_11target_archE906ELNS1_3gpuE6ELNS1_3repE0EEENS1_38merge_mergepath_config_static_selectorELNS0_4arch9wavefront6targetE0EEEvSK_,@function
_ZN7rocprim17ROCPRIM_400000_NS6detail17trampoline_kernelINS0_14default_configENS1_38merge_sort_block_merge_config_selectorImNS0_10empty_typeEEEZZNS1_27merge_sort_block_merge_implIS3_N6thrust23THRUST_200600_302600_NS6detail15normal_iteratorINS9_10device_ptrImEEEEPS5_m11less_div_10ImEEE10hipError_tT0_T1_T2_jT3_P12ihipStream_tbPNSt15iterator_traitsISJ_E10value_typeEPNSP_ISK_E10value_typeEPSL_NS1_7vsmem_tEENKUlT_SJ_SK_SL_E_clISE_PmSF_SF_EESI_SY_SJ_SK_SL_EUlSY_E0_NS1_11comp_targetILNS1_3genE2ELNS1_11target_archE906ELNS1_3gpuE6ELNS1_3repE0EEENS1_38merge_mergepath_config_static_selectorELNS0_4arch9wavefront6targetE0EEEvSK_: ; @_ZN7rocprim17ROCPRIM_400000_NS6detail17trampoline_kernelINS0_14default_configENS1_38merge_sort_block_merge_config_selectorImNS0_10empty_typeEEEZZNS1_27merge_sort_block_merge_implIS3_N6thrust23THRUST_200600_302600_NS6detail15normal_iteratorINS9_10device_ptrImEEEEPS5_m11less_div_10ImEEE10hipError_tT0_T1_T2_jT3_P12ihipStream_tbPNSt15iterator_traitsISJ_E10value_typeEPNSP_ISK_E10value_typeEPSL_NS1_7vsmem_tEENKUlT_SJ_SK_SL_E_clISE_PmSF_SF_EESI_SY_SJ_SK_SL_EUlSY_E0_NS1_11comp_targetILNS1_3genE2ELNS1_11target_archE906ELNS1_3gpuE6ELNS1_3repE0EEENS1_38merge_mergepath_config_static_selectorELNS0_4arch9wavefront6targetE0EEEvSK_
; %bb.0:
	.section	.rodata,"a",@progbits
	.p2align	6, 0x0
	.amdhsa_kernel _ZN7rocprim17ROCPRIM_400000_NS6detail17trampoline_kernelINS0_14default_configENS1_38merge_sort_block_merge_config_selectorImNS0_10empty_typeEEEZZNS1_27merge_sort_block_merge_implIS3_N6thrust23THRUST_200600_302600_NS6detail15normal_iteratorINS9_10device_ptrImEEEEPS5_m11less_div_10ImEEE10hipError_tT0_T1_T2_jT3_P12ihipStream_tbPNSt15iterator_traitsISJ_E10value_typeEPNSP_ISK_E10value_typeEPSL_NS1_7vsmem_tEENKUlT_SJ_SK_SL_E_clISE_PmSF_SF_EESI_SY_SJ_SK_SL_EUlSY_E0_NS1_11comp_targetILNS1_3genE2ELNS1_11target_archE906ELNS1_3gpuE6ELNS1_3repE0EEENS1_38merge_mergepath_config_static_selectorELNS0_4arch9wavefront6targetE0EEEvSK_
		.amdhsa_group_segment_fixed_size 0
		.amdhsa_private_segment_fixed_size 0
		.amdhsa_kernarg_size 72
		.amdhsa_user_sgpr_count 6
		.amdhsa_user_sgpr_private_segment_buffer 1
		.amdhsa_user_sgpr_dispatch_ptr 0
		.amdhsa_user_sgpr_queue_ptr 0
		.amdhsa_user_sgpr_kernarg_segment_ptr 1
		.amdhsa_user_sgpr_dispatch_id 0
		.amdhsa_user_sgpr_flat_scratch_init 0
		.amdhsa_user_sgpr_private_segment_size 0
		.amdhsa_wavefront_size32 1
		.amdhsa_uses_dynamic_stack 0
		.amdhsa_system_sgpr_private_segment_wavefront_offset 0
		.amdhsa_system_sgpr_workgroup_id_x 1
		.amdhsa_system_sgpr_workgroup_id_y 0
		.amdhsa_system_sgpr_workgroup_id_z 0
		.amdhsa_system_sgpr_workgroup_info 0
		.amdhsa_system_vgpr_workitem_id 0
		.amdhsa_next_free_vgpr 1
		.amdhsa_next_free_sgpr 1
		.amdhsa_reserve_vcc 0
		.amdhsa_reserve_flat_scratch 0
		.amdhsa_float_round_mode_32 0
		.amdhsa_float_round_mode_16_64 0
		.amdhsa_float_denorm_mode_32 3
		.amdhsa_float_denorm_mode_16_64 3
		.amdhsa_dx10_clamp 1
		.amdhsa_ieee_mode 1
		.amdhsa_fp16_overflow 0
		.amdhsa_workgroup_processor_mode 1
		.amdhsa_memory_ordered 1
		.amdhsa_forward_progress 1
		.amdhsa_shared_vgpr_count 0
		.amdhsa_exception_fp_ieee_invalid_op 0
		.amdhsa_exception_fp_denorm_src 0
		.amdhsa_exception_fp_ieee_div_zero 0
		.amdhsa_exception_fp_ieee_overflow 0
		.amdhsa_exception_fp_ieee_underflow 0
		.amdhsa_exception_fp_ieee_inexact 0
		.amdhsa_exception_int_div_zero 0
	.end_amdhsa_kernel
	.section	.text._ZN7rocprim17ROCPRIM_400000_NS6detail17trampoline_kernelINS0_14default_configENS1_38merge_sort_block_merge_config_selectorImNS0_10empty_typeEEEZZNS1_27merge_sort_block_merge_implIS3_N6thrust23THRUST_200600_302600_NS6detail15normal_iteratorINS9_10device_ptrImEEEEPS5_m11less_div_10ImEEE10hipError_tT0_T1_T2_jT3_P12ihipStream_tbPNSt15iterator_traitsISJ_E10value_typeEPNSP_ISK_E10value_typeEPSL_NS1_7vsmem_tEENKUlT_SJ_SK_SL_E_clISE_PmSF_SF_EESI_SY_SJ_SK_SL_EUlSY_E0_NS1_11comp_targetILNS1_3genE2ELNS1_11target_archE906ELNS1_3gpuE6ELNS1_3repE0EEENS1_38merge_mergepath_config_static_selectorELNS0_4arch9wavefront6targetE0EEEvSK_,"axG",@progbits,_ZN7rocprim17ROCPRIM_400000_NS6detail17trampoline_kernelINS0_14default_configENS1_38merge_sort_block_merge_config_selectorImNS0_10empty_typeEEEZZNS1_27merge_sort_block_merge_implIS3_N6thrust23THRUST_200600_302600_NS6detail15normal_iteratorINS9_10device_ptrImEEEEPS5_m11less_div_10ImEEE10hipError_tT0_T1_T2_jT3_P12ihipStream_tbPNSt15iterator_traitsISJ_E10value_typeEPNSP_ISK_E10value_typeEPSL_NS1_7vsmem_tEENKUlT_SJ_SK_SL_E_clISE_PmSF_SF_EESI_SY_SJ_SK_SL_EUlSY_E0_NS1_11comp_targetILNS1_3genE2ELNS1_11target_archE906ELNS1_3gpuE6ELNS1_3repE0EEENS1_38merge_mergepath_config_static_selectorELNS0_4arch9wavefront6targetE0EEEvSK_,comdat
.Lfunc_end654:
	.size	_ZN7rocprim17ROCPRIM_400000_NS6detail17trampoline_kernelINS0_14default_configENS1_38merge_sort_block_merge_config_selectorImNS0_10empty_typeEEEZZNS1_27merge_sort_block_merge_implIS3_N6thrust23THRUST_200600_302600_NS6detail15normal_iteratorINS9_10device_ptrImEEEEPS5_m11less_div_10ImEEE10hipError_tT0_T1_T2_jT3_P12ihipStream_tbPNSt15iterator_traitsISJ_E10value_typeEPNSP_ISK_E10value_typeEPSL_NS1_7vsmem_tEENKUlT_SJ_SK_SL_E_clISE_PmSF_SF_EESI_SY_SJ_SK_SL_EUlSY_E0_NS1_11comp_targetILNS1_3genE2ELNS1_11target_archE906ELNS1_3gpuE6ELNS1_3repE0EEENS1_38merge_mergepath_config_static_selectorELNS0_4arch9wavefront6targetE0EEEvSK_, .Lfunc_end654-_ZN7rocprim17ROCPRIM_400000_NS6detail17trampoline_kernelINS0_14default_configENS1_38merge_sort_block_merge_config_selectorImNS0_10empty_typeEEEZZNS1_27merge_sort_block_merge_implIS3_N6thrust23THRUST_200600_302600_NS6detail15normal_iteratorINS9_10device_ptrImEEEEPS5_m11less_div_10ImEEE10hipError_tT0_T1_T2_jT3_P12ihipStream_tbPNSt15iterator_traitsISJ_E10value_typeEPNSP_ISK_E10value_typeEPSL_NS1_7vsmem_tEENKUlT_SJ_SK_SL_E_clISE_PmSF_SF_EESI_SY_SJ_SK_SL_EUlSY_E0_NS1_11comp_targetILNS1_3genE2ELNS1_11target_archE906ELNS1_3gpuE6ELNS1_3repE0EEENS1_38merge_mergepath_config_static_selectorELNS0_4arch9wavefront6targetE0EEEvSK_
                                        ; -- End function
	.set _ZN7rocprim17ROCPRIM_400000_NS6detail17trampoline_kernelINS0_14default_configENS1_38merge_sort_block_merge_config_selectorImNS0_10empty_typeEEEZZNS1_27merge_sort_block_merge_implIS3_N6thrust23THRUST_200600_302600_NS6detail15normal_iteratorINS9_10device_ptrImEEEEPS5_m11less_div_10ImEEE10hipError_tT0_T1_T2_jT3_P12ihipStream_tbPNSt15iterator_traitsISJ_E10value_typeEPNSP_ISK_E10value_typeEPSL_NS1_7vsmem_tEENKUlT_SJ_SK_SL_E_clISE_PmSF_SF_EESI_SY_SJ_SK_SL_EUlSY_E0_NS1_11comp_targetILNS1_3genE2ELNS1_11target_archE906ELNS1_3gpuE6ELNS1_3repE0EEENS1_38merge_mergepath_config_static_selectorELNS0_4arch9wavefront6targetE0EEEvSK_.num_vgpr, 0
	.set _ZN7rocprim17ROCPRIM_400000_NS6detail17trampoline_kernelINS0_14default_configENS1_38merge_sort_block_merge_config_selectorImNS0_10empty_typeEEEZZNS1_27merge_sort_block_merge_implIS3_N6thrust23THRUST_200600_302600_NS6detail15normal_iteratorINS9_10device_ptrImEEEEPS5_m11less_div_10ImEEE10hipError_tT0_T1_T2_jT3_P12ihipStream_tbPNSt15iterator_traitsISJ_E10value_typeEPNSP_ISK_E10value_typeEPSL_NS1_7vsmem_tEENKUlT_SJ_SK_SL_E_clISE_PmSF_SF_EESI_SY_SJ_SK_SL_EUlSY_E0_NS1_11comp_targetILNS1_3genE2ELNS1_11target_archE906ELNS1_3gpuE6ELNS1_3repE0EEENS1_38merge_mergepath_config_static_selectorELNS0_4arch9wavefront6targetE0EEEvSK_.num_agpr, 0
	.set _ZN7rocprim17ROCPRIM_400000_NS6detail17trampoline_kernelINS0_14default_configENS1_38merge_sort_block_merge_config_selectorImNS0_10empty_typeEEEZZNS1_27merge_sort_block_merge_implIS3_N6thrust23THRUST_200600_302600_NS6detail15normal_iteratorINS9_10device_ptrImEEEEPS5_m11less_div_10ImEEE10hipError_tT0_T1_T2_jT3_P12ihipStream_tbPNSt15iterator_traitsISJ_E10value_typeEPNSP_ISK_E10value_typeEPSL_NS1_7vsmem_tEENKUlT_SJ_SK_SL_E_clISE_PmSF_SF_EESI_SY_SJ_SK_SL_EUlSY_E0_NS1_11comp_targetILNS1_3genE2ELNS1_11target_archE906ELNS1_3gpuE6ELNS1_3repE0EEENS1_38merge_mergepath_config_static_selectorELNS0_4arch9wavefront6targetE0EEEvSK_.numbered_sgpr, 0
	.set _ZN7rocprim17ROCPRIM_400000_NS6detail17trampoline_kernelINS0_14default_configENS1_38merge_sort_block_merge_config_selectorImNS0_10empty_typeEEEZZNS1_27merge_sort_block_merge_implIS3_N6thrust23THRUST_200600_302600_NS6detail15normal_iteratorINS9_10device_ptrImEEEEPS5_m11less_div_10ImEEE10hipError_tT0_T1_T2_jT3_P12ihipStream_tbPNSt15iterator_traitsISJ_E10value_typeEPNSP_ISK_E10value_typeEPSL_NS1_7vsmem_tEENKUlT_SJ_SK_SL_E_clISE_PmSF_SF_EESI_SY_SJ_SK_SL_EUlSY_E0_NS1_11comp_targetILNS1_3genE2ELNS1_11target_archE906ELNS1_3gpuE6ELNS1_3repE0EEENS1_38merge_mergepath_config_static_selectorELNS0_4arch9wavefront6targetE0EEEvSK_.num_named_barrier, 0
	.set _ZN7rocprim17ROCPRIM_400000_NS6detail17trampoline_kernelINS0_14default_configENS1_38merge_sort_block_merge_config_selectorImNS0_10empty_typeEEEZZNS1_27merge_sort_block_merge_implIS3_N6thrust23THRUST_200600_302600_NS6detail15normal_iteratorINS9_10device_ptrImEEEEPS5_m11less_div_10ImEEE10hipError_tT0_T1_T2_jT3_P12ihipStream_tbPNSt15iterator_traitsISJ_E10value_typeEPNSP_ISK_E10value_typeEPSL_NS1_7vsmem_tEENKUlT_SJ_SK_SL_E_clISE_PmSF_SF_EESI_SY_SJ_SK_SL_EUlSY_E0_NS1_11comp_targetILNS1_3genE2ELNS1_11target_archE906ELNS1_3gpuE6ELNS1_3repE0EEENS1_38merge_mergepath_config_static_selectorELNS0_4arch9wavefront6targetE0EEEvSK_.private_seg_size, 0
	.set _ZN7rocprim17ROCPRIM_400000_NS6detail17trampoline_kernelINS0_14default_configENS1_38merge_sort_block_merge_config_selectorImNS0_10empty_typeEEEZZNS1_27merge_sort_block_merge_implIS3_N6thrust23THRUST_200600_302600_NS6detail15normal_iteratorINS9_10device_ptrImEEEEPS5_m11less_div_10ImEEE10hipError_tT0_T1_T2_jT3_P12ihipStream_tbPNSt15iterator_traitsISJ_E10value_typeEPNSP_ISK_E10value_typeEPSL_NS1_7vsmem_tEENKUlT_SJ_SK_SL_E_clISE_PmSF_SF_EESI_SY_SJ_SK_SL_EUlSY_E0_NS1_11comp_targetILNS1_3genE2ELNS1_11target_archE906ELNS1_3gpuE6ELNS1_3repE0EEENS1_38merge_mergepath_config_static_selectorELNS0_4arch9wavefront6targetE0EEEvSK_.uses_vcc, 0
	.set _ZN7rocprim17ROCPRIM_400000_NS6detail17trampoline_kernelINS0_14default_configENS1_38merge_sort_block_merge_config_selectorImNS0_10empty_typeEEEZZNS1_27merge_sort_block_merge_implIS3_N6thrust23THRUST_200600_302600_NS6detail15normal_iteratorINS9_10device_ptrImEEEEPS5_m11less_div_10ImEEE10hipError_tT0_T1_T2_jT3_P12ihipStream_tbPNSt15iterator_traitsISJ_E10value_typeEPNSP_ISK_E10value_typeEPSL_NS1_7vsmem_tEENKUlT_SJ_SK_SL_E_clISE_PmSF_SF_EESI_SY_SJ_SK_SL_EUlSY_E0_NS1_11comp_targetILNS1_3genE2ELNS1_11target_archE906ELNS1_3gpuE6ELNS1_3repE0EEENS1_38merge_mergepath_config_static_selectorELNS0_4arch9wavefront6targetE0EEEvSK_.uses_flat_scratch, 0
	.set _ZN7rocprim17ROCPRIM_400000_NS6detail17trampoline_kernelINS0_14default_configENS1_38merge_sort_block_merge_config_selectorImNS0_10empty_typeEEEZZNS1_27merge_sort_block_merge_implIS3_N6thrust23THRUST_200600_302600_NS6detail15normal_iteratorINS9_10device_ptrImEEEEPS5_m11less_div_10ImEEE10hipError_tT0_T1_T2_jT3_P12ihipStream_tbPNSt15iterator_traitsISJ_E10value_typeEPNSP_ISK_E10value_typeEPSL_NS1_7vsmem_tEENKUlT_SJ_SK_SL_E_clISE_PmSF_SF_EESI_SY_SJ_SK_SL_EUlSY_E0_NS1_11comp_targetILNS1_3genE2ELNS1_11target_archE906ELNS1_3gpuE6ELNS1_3repE0EEENS1_38merge_mergepath_config_static_selectorELNS0_4arch9wavefront6targetE0EEEvSK_.has_dyn_sized_stack, 0
	.set _ZN7rocprim17ROCPRIM_400000_NS6detail17trampoline_kernelINS0_14default_configENS1_38merge_sort_block_merge_config_selectorImNS0_10empty_typeEEEZZNS1_27merge_sort_block_merge_implIS3_N6thrust23THRUST_200600_302600_NS6detail15normal_iteratorINS9_10device_ptrImEEEEPS5_m11less_div_10ImEEE10hipError_tT0_T1_T2_jT3_P12ihipStream_tbPNSt15iterator_traitsISJ_E10value_typeEPNSP_ISK_E10value_typeEPSL_NS1_7vsmem_tEENKUlT_SJ_SK_SL_E_clISE_PmSF_SF_EESI_SY_SJ_SK_SL_EUlSY_E0_NS1_11comp_targetILNS1_3genE2ELNS1_11target_archE906ELNS1_3gpuE6ELNS1_3repE0EEENS1_38merge_mergepath_config_static_selectorELNS0_4arch9wavefront6targetE0EEEvSK_.has_recursion, 0
	.set _ZN7rocprim17ROCPRIM_400000_NS6detail17trampoline_kernelINS0_14default_configENS1_38merge_sort_block_merge_config_selectorImNS0_10empty_typeEEEZZNS1_27merge_sort_block_merge_implIS3_N6thrust23THRUST_200600_302600_NS6detail15normal_iteratorINS9_10device_ptrImEEEEPS5_m11less_div_10ImEEE10hipError_tT0_T1_T2_jT3_P12ihipStream_tbPNSt15iterator_traitsISJ_E10value_typeEPNSP_ISK_E10value_typeEPSL_NS1_7vsmem_tEENKUlT_SJ_SK_SL_E_clISE_PmSF_SF_EESI_SY_SJ_SK_SL_EUlSY_E0_NS1_11comp_targetILNS1_3genE2ELNS1_11target_archE906ELNS1_3gpuE6ELNS1_3repE0EEENS1_38merge_mergepath_config_static_selectorELNS0_4arch9wavefront6targetE0EEEvSK_.has_indirect_call, 0
	.section	.AMDGPU.csdata,"",@progbits
; Kernel info:
; codeLenInByte = 0
; TotalNumSgprs: 0
; NumVgprs: 0
; ScratchSize: 0
; MemoryBound: 0
; FloatMode: 240
; IeeeMode: 1
; LDSByteSize: 0 bytes/workgroup (compile time only)
; SGPRBlocks: 0
; VGPRBlocks: 0
; NumSGPRsForWavesPerEU: 1
; NumVGPRsForWavesPerEU: 1
; Occupancy: 16
; WaveLimiterHint : 0
; COMPUTE_PGM_RSRC2:SCRATCH_EN: 0
; COMPUTE_PGM_RSRC2:USER_SGPR: 6
; COMPUTE_PGM_RSRC2:TRAP_HANDLER: 0
; COMPUTE_PGM_RSRC2:TGID_X_EN: 1
; COMPUTE_PGM_RSRC2:TGID_Y_EN: 0
; COMPUTE_PGM_RSRC2:TGID_Z_EN: 0
; COMPUTE_PGM_RSRC2:TIDIG_COMP_CNT: 0
	.section	.text._ZN7rocprim17ROCPRIM_400000_NS6detail17trampoline_kernelINS0_14default_configENS1_38merge_sort_block_merge_config_selectorImNS0_10empty_typeEEEZZNS1_27merge_sort_block_merge_implIS3_N6thrust23THRUST_200600_302600_NS6detail15normal_iteratorINS9_10device_ptrImEEEEPS5_m11less_div_10ImEEE10hipError_tT0_T1_T2_jT3_P12ihipStream_tbPNSt15iterator_traitsISJ_E10value_typeEPNSP_ISK_E10value_typeEPSL_NS1_7vsmem_tEENKUlT_SJ_SK_SL_E_clISE_PmSF_SF_EESI_SY_SJ_SK_SL_EUlSY_E0_NS1_11comp_targetILNS1_3genE9ELNS1_11target_archE1100ELNS1_3gpuE3ELNS1_3repE0EEENS1_38merge_mergepath_config_static_selectorELNS0_4arch9wavefront6targetE0EEEvSK_,"axG",@progbits,_ZN7rocprim17ROCPRIM_400000_NS6detail17trampoline_kernelINS0_14default_configENS1_38merge_sort_block_merge_config_selectorImNS0_10empty_typeEEEZZNS1_27merge_sort_block_merge_implIS3_N6thrust23THRUST_200600_302600_NS6detail15normal_iteratorINS9_10device_ptrImEEEEPS5_m11less_div_10ImEEE10hipError_tT0_T1_T2_jT3_P12ihipStream_tbPNSt15iterator_traitsISJ_E10value_typeEPNSP_ISK_E10value_typeEPSL_NS1_7vsmem_tEENKUlT_SJ_SK_SL_E_clISE_PmSF_SF_EESI_SY_SJ_SK_SL_EUlSY_E0_NS1_11comp_targetILNS1_3genE9ELNS1_11target_archE1100ELNS1_3gpuE3ELNS1_3repE0EEENS1_38merge_mergepath_config_static_selectorELNS0_4arch9wavefront6targetE0EEEvSK_,comdat
	.protected	_ZN7rocprim17ROCPRIM_400000_NS6detail17trampoline_kernelINS0_14default_configENS1_38merge_sort_block_merge_config_selectorImNS0_10empty_typeEEEZZNS1_27merge_sort_block_merge_implIS3_N6thrust23THRUST_200600_302600_NS6detail15normal_iteratorINS9_10device_ptrImEEEEPS5_m11less_div_10ImEEE10hipError_tT0_T1_T2_jT3_P12ihipStream_tbPNSt15iterator_traitsISJ_E10value_typeEPNSP_ISK_E10value_typeEPSL_NS1_7vsmem_tEENKUlT_SJ_SK_SL_E_clISE_PmSF_SF_EESI_SY_SJ_SK_SL_EUlSY_E0_NS1_11comp_targetILNS1_3genE9ELNS1_11target_archE1100ELNS1_3gpuE3ELNS1_3repE0EEENS1_38merge_mergepath_config_static_selectorELNS0_4arch9wavefront6targetE0EEEvSK_ ; -- Begin function _ZN7rocprim17ROCPRIM_400000_NS6detail17trampoline_kernelINS0_14default_configENS1_38merge_sort_block_merge_config_selectorImNS0_10empty_typeEEEZZNS1_27merge_sort_block_merge_implIS3_N6thrust23THRUST_200600_302600_NS6detail15normal_iteratorINS9_10device_ptrImEEEEPS5_m11less_div_10ImEEE10hipError_tT0_T1_T2_jT3_P12ihipStream_tbPNSt15iterator_traitsISJ_E10value_typeEPNSP_ISK_E10value_typeEPSL_NS1_7vsmem_tEENKUlT_SJ_SK_SL_E_clISE_PmSF_SF_EESI_SY_SJ_SK_SL_EUlSY_E0_NS1_11comp_targetILNS1_3genE9ELNS1_11target_archE1100ELNS1_3gpuE3ELNS1_3repE0EEENS1_38merge_mergepath_config_static_selectorELNS0_4arch9wavefront6targetE0EEEvSK_
	.globl	_ZN7rocprim17ROCPRIM_400000_NS6detail17trampoline_kernelINS0_14default_configENS1_38merge_sort_block_merge_config_selectorImNS0_10empty_typeEEEZZNS1_27merge_sort_block_merge_implIS3_N6thrust23THRUST_200600_302600_NS6detail15normal_iteratorINS9_10device_ptrImEEEEPS5_m11less_div_10ImEEE10hipError_tT0_T1_T2_jT3_P12ihipStream_tbPNSt15iterator_traitsISJ_E10value_typeEPNSP_ISK_E10value_typeEPSL_NS1_7vsmem_tEENKUlT_SJ_SK_SL_E_clISE_PmSF_SF_EESI_SY_SJ_SK_SL_EUlSY_E0_NS1_11comp_targetILNS1_3genE9ELNS1_11target_archE1100ELNS1_3gpuE3ELNS1_3repE0EEENS1_38merge_mergepath_config_static_selectorELNS0_4arch9wavefront6targetE0EEEvSK_
	.p2align	8
	.type	_ZN7rocprim17ROCPRIM_400000_NS6detail17trampoline_kernelINS0_14default_configENS1_38merge_sort_block_merge_config_selectorImNS0_10empty_typeEEEZZNS1_27merge_sort_block_merge_implIS3_N6thrust23THRUST_200600_302600_NS6detail15normal_iteratorINS9_10device_ptrImEEEEPS5_m11less_div_10ImEEE10hipError_tT0_T1_T2_jT3_P12ihipStream_tbPNSt15iterator_traitsISJ_E10value_typeEPNSP_ISK_E10value_typeEPSL_NS1_7vsmem_tEENKUlT_SJ_SK_SL_E_clISE_PmSF_SF_EESI_SY_SJ_SK_SL_EUlSY_E0_NS1_11comp_targetILNS1_3genE9ELNS1_11target_archE1100ELNS1_3gpuE3ELNS1_3repE0EEENS1_38merge_mergepath_config_static_selectorELNS0_4arch9wavefront6targetE0EEEvSK_,@function
_ZN7rocprim17ROCPRIM_400000_NS6detail17trampoline_kernelINS0_14default_configENS1_38merge_sort_block_merge_config_selectorImNS0_10empty_typeEEEZZNS1_27merge_sort_block_merge_implIS3_N6thrust23THRUST_200600_302600_NS6detail15normal_iteratorINS9_10device_ptrImEEEEPS5_m11less_div_10ImEEE10hipError_tT0_T1_T2_jT3_P12ihipStream_tbPNSt15iterator_traitsISJ_E10value_typeEPNSP_ISK_E10value_typeEPSL_NS1_7vsmem_tEENKUlT_SJ_SK_SL_E_clISE_PmSF_SF_EESI_SY_SJ_SK_SL_EUlSY_E0_NS1_11comp_targetILNS1_3genE9ELNS1_11target_archE1100ELNS1_3gpuE3ELNS1_3repE0EEENS1_38merge_mergepath_config_static_selectorELNS0_4arch9wavefront6targetE0EEEvSK_: ; @_ZN7rocprim17ROCPRIM_400000_NS6detail17trampoline_kernelINS0_14default_configENS1_38merge_sort_block_merge_config_selectorImNS0_10empty_typeEEEZZNS1_27merge_sort_block_merge_implIS3_N6thrust23THRUST_200600_302600_NS6detail15normal_iteratorINS9_10device_ptrImEEEEPS5_m11less_div_10ImEEE10hipError_tT0_T1_T2_jT3_P12ihipStream_tbPNSt15iterator_traitsISJ_E10value_typeEPNSP_ISK_E10value_typeEPSL_NS1_7vsmem_tEENKUlT_SJ_SK_SL_E_clISE_PmSF_SF_EESI_SY_SJ_SK_SL_EUlSY_E0_NS1_11comp_targetILNS1_3genE9ELNS1_11target_archE1100ELNS1_3gpuE3ELNS1_3repE0EEENS1_38merge_mergepath_config_static_selectorELNS0_4arch9wavefront6targetE0EEEvSK_
; %bb.0:
	.section	.rodata,"a",@progbits
	.p2align	6, 0x0
	.amdhsa_kernel _ZN7rocprim17ROCPRIM_400000_NS6detail17trampoline_kernelINS0_14default_configENS1_38merge_sort_block_merge_config_selectorImNS0_10empty_typeEEEZZNS1_27merge_sort_block_merge_implIS3_N6thrust23THRUST_200600_302600_NS6detail15normal_iteratorINS9_10device_ptrImEEEEPS5_m11less_div_10ImEEE10hipError_tT0_T1_T2_jT3_P12ihipStream_tbPNSt15iterator_traitsISJ_E10value_typeEPNSP_ISK_E10value_typeEPSL_NS1_7vsmem_tEENKUlT_SJ_SK_SL_E_clISE_PmSF_SF_EESI_SY_SJ_SK_SL_EUlSY_E0_NS1_11comp_targetILNS1_3genE9ELNS1_11target_archE1100ELNS1_3gpuE3ELNS1_3repE0EEENS1_38merge_mergepath_config_static_selectorELNS0_4arch9wavefront6targetE0EEEvSK_
		.amdhsa_group_segment_fixed_size 0
		.amdhsa_private_segment_fixed_size 0
		.amdhsa_kernarg_size 72
		.amdhsa_user_sgpr_count 6
		.amdhsa_user_sgpr_private_segment_buffer 1
		.amdhsa_user_sgpr_dispatch_ptr 0
		.amdhsa_user_sgpr_queue_ptr 0
		.amdhsa_user_sgpr_kernarg_segment_ptr 1
		.amdhsa_user_sgpr_dispatch_id 0
		.amdhsa_user_sgpr_flat_scratch_init 0
		.amdhsa_user_sgpr_private_segment_size 0
		.amdhsa_wavefront_size32 1
		.amdhsa_uses_dynamic_stack 0
		.amdhsa_system_sgpr_private_segment_wavefront_offset 0
		.amdhsa_system_sgpr_workgroup_id_x 1
		.amdhsa_system_sgpr_workgroup_id_y 0
		.amdhsa_system_sgpr_workgroup_id_z 0
		.amdhsa_system_sgpr_workgroup_info 0
		.amdhsa_system_vgpr_workitem_id 0
		.amdhsa_next_free_vgpr 1
		.amdhsa_next_free_sgpr 1
		.amdhsa_reserve_vcc 0
		.amdhsa_reserve_flat_scratch 0
		.amdhsa_float_round_mode_32 0
		.amdhsa_float_round_mode_16_64 0
		.amdhsa_float_denorm_mode_32 3
		.amdhsa_float_denorm_mode_16_64 3
		.amdhsa_dx10_clamp 1
		.amdhsa_ieee_mode 1
		.amdhsa_fp16_overflow 0
		.amdhsa_workgroup_processor_mode 1
		.amdhsa_memory_ordered 1
		.amdhsa_forward_progress 1
		.amdhsa_shared_vgpr_count 0
		.amdhsa_exception_fp_ieee_invalid_op 0
		.amdhsa_exception_fp_denorm_src 0
		.amdhsa_exception_fp_ieee_div_zero 0
		.amdhsa_exception_fp_ieee_overflow 0
		.amdhsa_exception_fp_ieee_underflow 0
		.amdhsa_exception_fp_ieee_inexact 0
		.amdhsa_exception_int_div_zero 0
	.end_amdhsa_kernel
	.section	.text._ZN7rocprim17ROCPRIM_400000_NS6detail17trampoline_kernelINS0_14default_configENS1_38merge_sort_block_merge_config_selectorImNS0_10empty_typeEEEZZNS1_27merge_sort_block_merge_implIS3_N6thrust23THRUST_200600_302600_NS6detail15normal_iteratorINS9_10device_ptrImEEEEPS5_m11less_div_10ImEEE10hipError_tT0_T1_T2_jT3_P12ihipStream_tbPNSt15iterator_traitsISJ_E10value_typeEPNSP_ISK_E10value_typeEPSL_NS1_7vsmem_tEENKUlT_SJ_SK_SL_E_clISE_PmSF_SF_EESI_SY_SJ_SK_SL_EUlSY_E0_NS1_11comp_targetILNS1_3genE9ELNS1_11target_archE1100ELNS1_3gpuE3ELNS1_3repE0EEENS1_38merge_mergepath_config_static_selectorELNS0_4arch9wavefront6targetE0EEEvSK_,"axG",@progbits,_ZN7rocprim17ROCPRIM_400000_NS6detail17trampoline_kernelINS0_14default_configENS1_38merge_sort_block_merge_config_selectorImNS0_10empty_typeEEEZZNS1_27merge_sort_block_merge_implIS3_N6thrust23THRUST_200600_302600_NS6detail15normal_iteratorINS9_10device_ptrImEEEEPS5_m11less_div_10ImEEE10hipError_tT0_T1_T2_jT3_P12ihipStream_tbPNSt15iterator_traitsISJ_E10value_typeEPNSP_ISK_E10value_typeEPSL_NS1_7vsmem_tEENKUlT_SJ_SK_SL_E_clISE_PmSF_SF_EESI_SY_SJ_SK_SL_EUlSY_E0_NS1_11comp_targetILNS1_3genE9ELNS1_11target_archE1100ELNS1_3gpuE3ELNS1_3repE0EEENS1_38merge_mergepath_config_static_selectorELNS0_4arch9wavefront6targetE0EEEvSK_,comdat
.Lfunc_end655:
	.size	_ZN7rocprim17ROCPRIM_400000_NS6detail17trampoline_kernelINS0_14default_configENS1_38merge_sort_block_merge_config_selectorImNS0_10empty_typeEEEZZNS1_27merge_sort_block_merge_implIS3_N6thrust23THRUST_200600_302600_NS6detail15normal_iteratorINS9_10device_ptrImEEEEPS5_m11less_div_10ImEEE10hipError_tT0_T1_T2_jT3_P12ihipStream_tbPNSt15iterator_traitsISJ_E10value_typeEPNSP_ISK_E10value_typeEPSL_NS1_7vsmem_tEENKUlT_SJ_SK_SL_E_clISE_PmSF_SF_EESI_SY_SJ_SK_SL_EUlSY_E0_NS1_11comp_targetILNS1_3genE9ELNS1_11target_archE1100ELNS1_3gpuE3ELNS1_3repE0EEENS1_38merge_mergepath_config_static_selectorELNS0_4arch9wavefront6targetE0EEEvSK_, .Lfunc_end655-_ZN7rocprim17ROCPRIM_400000_NS6detail17trampoline_kernelINS0_14default_configENS1_38merge_sort_block_merge_config_selectorImNS0_10empty_typeEEEZZNS1_27merge_sort_block_merge_implIS3_N6thrust23THRUST_200600_302600_NS6detail15normal_iteratorINS9_10device_ptrImEEEEPS5_m11less_div_10ImEEE10hipError_tT0_T1_T2_jT3_P12ihipStream_tbPNSt15iterator_traitsISJ_E10value_typeEPNSP_ISK_E10value_typeEPSL_NS1_7vsmem_tEENKUlT_SJ_SK_SL_E_clISE_PmSF_SF_EESI_SY_SJ_SK_SL_EUlSY_E0_NS1_11comp_targetILNS1_3genE9ELNS1_11target_archE1100ELNS1_3gpuE3ELNS1_3repE0EEENS1_38merge_mergepath_config_static_selectorELNS0_4arch9wavefront6targetE0EEEvSK_
                                        ; -- End function
	.set _ZN7rocprim17ROCPRIM_400000_NS6detail17trampoline_kernelINS0_14default_configENS1_38merge_sort_block_merge_config_selectorImNS0_10empty_typeEEEZZNS1_27merge_sort_block_merge_implIS3_N6thrust23THRUST_200600_302600_NS6detail15normal_iteratorINS9_10device_ptrImEEEEPS5_m11less_div_10ImEEE10hipError_tT0_T1_T2_jT3_P12ihipStream_tbPNSt15iterator_traitsISJ_E10value_typeEPNSP_ISK_E10value_typeEPSL_NS1_7vsmem_tEENKUlT_SJ_SK_SL_E_clISE_PmSF_SF_EESI_SY_SJ_SK_SL_EUlSY_E0_NS1_11comp_targetILNS1_3genE9ELNS1_11target_archE1100ELNS1_3gpuE3ELNS1_3repE0EEENS1_38merge_mergepath_config_static_selectorELNS0_4arch9wavefront6targetE0EEEvSK_.num_vgpr, 0
	.set _ZN7rocprim17ROCPRIM_400000_NS6detail17trampoline_kernelINS0_14default_configENS1_38merge_sort_block_merge_config_selectorImNS0_10empty_typeEEEZZNS1_27merge_sort_block_merge_implIS3_N6thrust23THRUST_200600_302600_NS6detail15normal_iteratorINS9_10device_ptrImEEEEPS5_m11less_div_10ImEEE10hipError_tT0_T1_T2_jT3_P12ihipStream_tbPNSt15iterator_traitsISJ_E10value_typeEPNSP_ISK_E10value_typeEPSL_NS1_7vsmem_tEENKUlT_SJ_SK_SL_E_clISE_PmSF_SF_EESI_SY_SJ_SK_SL_EUlSY_E0_NS1_11comp_targetILNS1_3genE9ELNS1_11target_archE1100ELNS1_3gpuE3ELNS1_3repE0EEENS1_38merge_mergepath_config_static_selectorELNS0_4arch9wavefront6targetE0EEEvSK_.num_agpr, 0
	.set _ZN7rocprim17ROCPRIM_400000_NS6detail17trampoline_kernelINS0_14default_configENS1_38merge_sort_block_merge_config_selectorImNS0_10empty_typeEEEZZNS1_27merge_sort_block_merge_implIS3_N6thrust23THRUST_200600_302600_NS6detail15normal_iteratorINS9_10device_ptrImEEEEPS5_m11less_div_10ImEEE10hipError_tT0_T1_T2_jT3_P12ihipStream_tbPNSt15iterator_traitsISJ_E10value_typeEPNSP_ISK_E10value_typeEPSL_NS1_7vsmem_tEENKUlT_SJ_SK_SL_E_clISE_PmSF_SF_EESI_SY_SJ_SK_SL_EUlSY_E0_NS1_11comp_targetILNS1_3genE9ELNS1_11target_archE1100ELNS1_3gpuE3ELNS1_3repE0EEENS1_38merge_mergepath_config_static_selectorELNS0_4arch9wavefront6targetE0EEEvSK_.numbered_sgpr, 0
	.set _ZN7rocprim17ROCPRIM_400000_NS6detail17trampoline_kernelINS0_14default_configENS1_38merge_sort_block_merge_config_selectorImNS0_10empty_typeEEEZZNS1_27merge_sort_block_merge_implIS3_N6thrust23THRUST_200600_302600_NS6detail15normal_iteratorINS9_10device_ptrImEEEEPS5_m11less_div_10ImEEE10hipError_tT0_T1_T2_jT3_P12ihipStream_tbPNSt15iterator_traitsISJ_E10value_typeEPNSP_ISK_E10value_typeEPSL_NS1_7vsmem_tEENKUlT_SJ_SK_SL_E_clISE_PmSF_SF_EESI_SY_SJ_SK_SL_EUlSY_E0_NS1_11comp_targetILNS1_3genE9ELNS1_11target_archE1100ELNS1_3gpuE3ELNS1_3repE0EEENS1_38merge_mergepath_config_static_selectorELNS0_4arch9wavefront6targetE0EEEvSK_.num_named_barrier, 0
	.set _ZN7rocprim17ROCPRIM_400000_NS6detail17trampoline_kernelINS0_14default_configENS1_38merge_sort_block_merge_config_selectorImNS0_10empty_typeEEEZZNS1_27merge_sort_block_merge_implIS3_N6thrust23THRUST_200600_302600_NS6detail15normal_iteratorINS9_10device_ptrImEEEEPS5_m11less_div_10ImEEE10hipError_tT0_T1_T2_jT3_P12ihipStream_tbPNSt15iterator_traitsISJ_E10value_typeEPNSP_ISK_E10value_typeEPSL_NS1_7vsmem_tEENKUlT_SJ_SK_SL_E_clISE_PmSF_SF_EESI_SY_SJ_SK_SL_EUlSY_E0_NS1_11comp_targetILNS1_3genE9ELNS1_11target_archE1100ELNS1_3gpuE3ELNS1_3repE0EEENS1_38merge_mergepath_config_static_selectorELNS0_4arch9wavefront6targetE0EEEvSK_.private_seg_size, 0
	.set _ZN7rocprim17ROCPRIM_400000_NS6detail17trampoline_kernelINS0_14default_configENS1_38merge_sort_block_merge_config_selectorImNS0_10empty_typeEEEZZNS1_27merge_sort_block_merge_implIS3_N6thrust23THRUST_200600_302600_NS6detail15normal_iteratorINS9_10device_ptrImEEEEPS5_m11less_div_10ImEEE10hipError_tT0_T1_T2_jT3_P12ihipStream_tbPNSt15iterator_traitsISJ_E10value_typeEPNSP_ISK_E10value_typeEPSL_NS1_7vsmem_tEENKUlT_SJ_SK_SL_E_clISE_PmSF_SF_EESI_SY_SJ_SK_SL_EUlSY_E0_NS1_11comp_targetILNS1_3genE9ELNS1_11target_archE1100ELNS1_3gpuE3ELNS1_3repE0EEENS1_38merge_mergepath_config_static_selectorELNS0_4arch9wavefront6targetE0EEEvSK_.uses_vcc, 0
	.set _ZN7rocprim17ROCPRIM_400000_NS6detail17trampoline_kernelINS0_14default_configENS1_38merge_sort_block_merge_config_selectorImNS0_10empty_typeEEEZZNS1_27merge_sort_block_merge_implIS3_N6thrust23THRUST_200600_302600_NS6detail15normal_iteratorINS9_10device_ptrImEEEEPS5_m11less_div_10ImEEE10hipError_tT0_T1_T2_jT3_P12ihipStream_tbPNSt15iterator_traitsISJ_E10value_typeEPNSP_ISK_E10value_typeEPSL_NS1_7vsmem_tEENKUlT_SJ_SK_SL_E_clISE_PmSF_SF_EESI_SY_SJ_SK_SL_EUlSY_E0_NS1_11comp_targetILNS1_3genE9ELNS1_11target_archE1100ELNS1_3gpuE3ELNS1_3repE0EEENS1_38merge_mergepath_config_static_selectorELNS0_4arch9wavefront6targetE0EEEvSK_.uses_flat_scratch, 0
	.set _ZN7rocprim17ROCPRIM_400000_NS6detail17trampoline_kernelINS0_14default_configENS1_38merge_sort_block_merge_config_selectorImNS0_10empty_typeEEEZZNS1_27merge_sort_block_merge_implIS3_N6thrust23THRUST_200600_302600_NS6detail15normal_iteratorINS9_10device_ptrImEEEEPS5_m11less_div_10ImEEE10hipError_tT0_T1_T2_jT3_P12ihipStream_tbPNSt15iterator_traitsISJ_E10value_typeEPNSP_ISK_E10value_typeEPSL_NS1_7vsmem_tEENKUlT_SJ_SK_SL_E_clISE_PmSF_SF_EESI_SY_SJ_SK_SL_EUlSY_E0_NS1_11comp_targetILNS1_3genE9ELNS1_11target_archE1100ELNS1_3gpuE3ELNS1_3repE0EEENS1_38merge_mergepath_config_static_selectorELNS0_4arch9wavefront6targetE0EEEvSK_.has_dyn_sized_stack, 0
	.set _ZN7rocprim17ROCPRIM_400000_NS6detail17trampoline_kernelINS0_14default_configENS1_38merge_sort_block_merge_config_selectorImNS0_10empty_typeEEEZZNS1_27merge_sort_block_merge_implIS3_N6thrust23THRUST_200600_302600_NS6detail15normal_iteratorINS9_10device_ptrImEEEEPS5_m11less_div_10ImEEE10hipError_tT0_T1_T2_jT3_P12ihipStream_tbPNSt15iterator_traitsISJ_E10value_typeEPNSP_ISK_E10value_typeEPSL_NS1_7vsmem_tEENKUlT_SJ_SK_SL_E_clISE_PmSF_SF_EESI_SY_SJ_SK_SL_EUlSY_E0_NS1_11comp_targetILNS1_3genE9ELNS1_11target_archE1100ELNS1_3gpuE3ELNS1_3repE0EEENS1_38merge_mergepath_config_static_selectorELNS0_4arch9wavefront6targetE0EEEvSK_.has_recursion, 0
	.set _ZN7rocprim17ROCPRIM_400000_NS6detail17trampoline_kernelINS0_14default_configENS1_38merge_sort_block_merge_config_selectorImNS0_10empty_typeEEEZZNS1_27merge_sort_block_merge_implIS3_N6thrust23THRUST_200600_302600_NS6detail15normal_iteratorINS9_10device_ptrImEEEEPS5_m11less_div_10ImEEE10hipError_tT0_T1_T2_jT3_P12ihipStream_tbPNSt15iterator_traitsISJ_E10value_typeEPNSP_ISK_E10value_typeEPSL_NS1_7vsmem_tEENKUlT_SJ_SK_SL_E_clISE_PmSF_SF_EESI_SY_SJ_SK_SL_EUlSY_E0_NS1_11comp_targetILNS1_3genE9ELNS1_11target_archE1100ELNS1_3gpuE3ELNS1_3repE0EEENS1_38merge_mergepath_config_static_selectorELNS0_4arch9wavefront6targetE0EEEvSK_.has_indirect_call, 0
	.section	.AMDGPU.csdata,"",@progbits
; Kernel info:
; codeLenInByte = 0
; TotalNumSgprs: 0
; NumVgprs: 0
; ScratchSize: 0
; MemoryBound: 0
; FloatMode: 240
; IeeeMode: 1
; LDSByteSize: 0 bytes/workgroup (compile time only)
; SGPRBlocks: 0
; VGPRBlocks: 0
; NumSGPRsForWavesPerEU: 1
; NumVGPRsForWavesPerEU: 1
; Occupancy: 16
; WaveLimiterHint : 0
; COMPUTE_PGM_RSRC2:SCRATCH_EN: 0
; COMPUTE_PGM_RSRC2:USER_SGPR: 6
; COMPUTE_PGM_RSRC2:TRAP_HANDLER: 0
; COMPUTE_PGM_RSRC2:TGID_X_EN: 1
; COMPUTE_PGM_RSRC2:TGID_Y_EN: 0
; COMPUTE_PGM_RSRC2:TGID_Z_EN: 0
; COMPUTE_PGM_RSRC2:TIDIG_COMP_CNT: 0
	.section	.text._ZN7rocprim17ROCPRIM_400000_NS6detail17trampoline_kernelINS0_14default_configENS1_38merge_sort_block_merge_config_selectorImNS0_10empty_typeEEEZZNS1_27merge_sort_block_merge_implIS3_N6thrust23THRUST_200600_302600_NS6detail15normal_iteratorINS9_10device_ptrImEEEEPS5_m11less_div_10ImEEE10hipError_tT0_T1_T2_jT3_P12ihipStream_tbPNSt15iterator_traitsISJ_E10value_typeEPNSP_ISK_E10value_typeEPSL_NS1_7vsmem_tEENKUlT_SJ_SK_SL_E_clISE_PmSF_SF_EESI_SY_SJ_SK_SL_EUlSY_E0_NS1_11comp_targetILNS1_3genE8ELNS1_11target_archE1030ELNS1_3gpuE2ELNS1_3repE0EEENS1_38merge_mergepath_config_static_selectorELNS0_4arch9wavefront6targetE0EEEvSK_,"axG",@progbits,_ZN7rocprim17ROCPRIM_400000_NS6detail17trampoline_kernelINS0_14default_configENS1_38merge_sort_block_merge_config_selectorImNS0_10empty_typeEEEZZNS1_27merge_sort_block_merge_implIS3_N6thrust23THRUST_200600_302600_NS6detail15normal_iteratorINS9_10device_ptrImEEEEPS5_m11less_div_10ImEEE10hipError_tT0_T1_T2_jT3_P12ihipStream_tbPNSt15iterator_traitsISJ_E10value_typeEPNSP_ISK_E10value_typeEPSL_NS1_7vsmem_tEENKUlT_SJ_SK_SL_E_clISE_PmSF_SF_EESI_SY_SJ_SK_SL_EUlSY_E0_NS1_11comp_targetILNS1_3genE8ELNS1_11target_archE1030ELNS1_3gpuE2ELNS1_3repE0EEENS1_38merge_mergepath_config_static_selectorELNS0_4arch9wavefront6targetE0EEEvSK_,comdat
	.protected	_ZN7rocprim17ROCPRIM_400000_NS6detail17trampoline_kernelINS0_14default_configENS1_38merge_sort_block_merge_config_selectorImNS0_10empty_typeEEEZZNS1_27merge_sort_block_merge_implIS3_N6thrust23THRUST_200600_302600_NS6detail15normal_iteratorINS9_10device_ptrImEEEEPS5_m11less_div_10ImEEE10hipError_tT0_T1_T2_jT3_P12ihipStream_tbPNSt15iterator_traitsISJ_E10value_typeEPNSP_ISK_E10value_typeEPSL_NS1_7vsmem_tEENKUlT_SJ_SK_SL_E_clISE_PmSF_SF_EESI_SY_SJ_SK_SL_EUlSY_E0_NS1_11comp_targetILNS1_3genE8ELNS1_11target_archE1030ELNS1_3gpuE2ELNS1_3repE0EEENS1_38merge_mergepath_config_static_selectorELNS0_4arch9wavefront6targetE0EEEvSK_ ; -- Begin function _ZN7rocprim17ROCPRIM_400000_NS6detail17trampoline_kernelINS0_14default_configENS1_38merge_sort_block_merge_config_selectorImNS0_10empty_typeEEEZZNS1_27merge_sort_block_merge_implIS3_N6thrust23THRUST_200600_302600_NS6detail15normal_iteratorINS9_10device_ptrImEEEEPS5_m11less_div_10ImEEE10hipError_tT0_T1_T2_jT3_P12ihipStream_tbPNSt15iterator_traitsISJ_E10value_typeEPNSP_ISK_E10value_typeEPSL_NS1_7vsmem_tEENKUlT_SJ_SK_SL_E_clISE_PmSF_SF_EESI_SY_SJ_SK_SL_EUlSY_E0_NS1_11comp_targetILNS1_3genE8ELNS1_11target_archE1030ELNS1_3gpuE2ELNS1_3repE0EEENS1_38merge_mergepath_config_static_selectorELNS0_4arch9wavefront6targetE0EEEvSK_
	.globl	_ZN7rocprim17ROCPRIM_400000_NS6detail17trampoline_kernelINS0_14default_configENS1_38merge_sort_block_merge_config_selectorImNS0_10empty_typeEEEZZNS1_27merge_sort_block_merge_implIS3_N6thrust23THRUST_200600_302600_NS6detail15normal_iteratorINS9_10device_ptrImEEEEPS5_m11less_div_10ImEEE10hipError_tT0_T1_T2_jT3_P12ihipStream_tbPNSt15iterator_traitsISJ_E10value_typeEPNSP_ISK_E10value_typeEPSL_NS1_7vsmem_tEENKUlT_SJ_SK_SL_E_clISE_PmSF_SF_EESI_SY_SJ_SK_SL_EUlSY_E0_NS1_11comp_targetILNS1_3genE8ELNS1_11target_archE1030ELNS1_3gpuE2ELNS1_3repE0EEENS1_38merge_mergepath_config_static_selectorELNS0_4arch9wavefront6targetE0EEEvSK_
	.p2align	8
	.type	_ZN7rocprim17ROCPRIM_400000_NS6detail17trampoline_kernelINS0_14default_configENS1_38merge_sort_block_merge_config_selectorImNS0_10empty_typeEEEZZNS1_27merge_sort_block_merge_implIS3_N6thrust23THRUST_200600_302600_NS6detail15normal_iteratorINS9_10device_ptrImEEEEPS5_m11less_div_10ImEEE10hipError_tT0_T1_T2_jT3_P12ihipStream_tbPNSt15iterator_traitsISJ_E10value_typeEPNSP_ISK_E10value_typeEPSL_NS1_7vsmem_tEENKUlT_SJ_SK_SL_E_clISE_PmSF_SF_EESI_SY_SJ_SK_SL_EUlSY_E0_NS1_11comp_targetILNS1_3genE8ELNS1_11target_archE1030ELNS1_3gpuE2ELNS1_3repE0EEENS1_38merge_mergepath_config_static_selectorELNS0_4arch9wavefront6targetE0EEEvSK_,@function
_ZN7rocprim17ROCPRIM_400000_NS6detail17trampoline_kernelINS0_14default_configENS1_38merge_sort_block_merge_config_selectorImNS0_10empty_typeEEEZZNS1_27merge_sort_block_merge_implIS3_N6thrust23THRUST_200600_302600_NS6detail15normal_iteratorINS9_10device_ptrImEEEEPS5_m11less_div_10ImEEE10hipError_tT0_T1_T2_jT3_P12ihipStream_tbPNSt15iterator_traitsISJ_E10value_typeEPNSP_ISK_E10value_typeEPSL_NS1_7vsmem_tEENKUlT_SJ_SK_SL_E_clISE_PmSF_SF_EESI_SY_SJ_SK_SL_EUlSY_E0_NS1_11comp_targetILNS1_3genE8ELNS1_11target_archE1030ELNS1_3gpuE2ELNS1_3repE0EEENS1_38merge_mergepath_config_static_selectorELNS0_4arch9wavefront6targetE0EEEvSK_: ; @_ZN7rocprim17ROCPRIM_400000_NS6detail17trampoline_kernelINS0_14default_configENS1_38merge_sort_block_merge_config_selectorImNS0_10empty_typeEEEZZNS1_27merge_sort_block_merge_implIS3_N6thrust23THRUST_200600_302600_NS6detail15normal_iteratorINS9_10device_ptrImEEEEPS5_m11less_div_10ImEEE10hipError_tT0_T1_T2_jT3_P12ihipStream_tbPNSt15iterator_traitsISJ_E10value_typeEPNSP_ISK_E10value_typeEPSL_NS1_7vsmem_tEENKUlT_SJ_SK_SL_E_clISE_PmSF_SF_EESI_SY_SJ_SK_SL_EUlSY_E0_NS1_11comp_targetILNS1_3genE8ELNS1_11target_archE1030ELNS1_3gpuE2ELNS1_3repE0EEENS1_38merge_mergepath_config_static_selectorELNS0_4arch9wavefront6targetE0EEEvSK_
; %bb.0:
	s_clause 0x1
	s_load_dwordx2 s[0:1], s[4:5], 0x48
	s_load_dword s2, s[4:5], 0x38
	s_waitcnt lgkmcnt(0)
	s_mul_i32 s1, s1, s8
	s_add_i32 s1, s1, s7
	s_mul_i32 s0, s1, s0
	s_add_i32 s16, s0, s6
	s_cmp_ge_u32 s16, s2
	s_cbranch_scc1 .LBB656_28
; %bb.1:
	s_clause 0x1
	s_load_dwordx2 s[0:1], s[4:5], 0x40
	s_load_dwordx4 s[8:11], s[4:5], 0x28
	s_mov_b32 s17, 0
	s_lshl_b64 s[2:3], s[16:17], 3
	s_waitcnt lgkmcnt(0)
	s_add_u32 s0, s0, s2
	s_addc_u32 s1, s1, s3
	s_lshl_b64 s[6:7], s[16:17], 10
	s_load_dwordx4 s[12:15], s[0:1], 0x0
	s_lshr_b64 s[0:1], s[10:11], 9
	s_mov_b32 s1, s17
	s_and_b32 s0, s0, -2
	s_sub_i32 s23, 0, s0
	s_and_b32 s0, s16, s23
	s_lshl_b64 s[18:19], s[0:1], 10
	s_sub_u32 s24, s6, s18
	s_subb_u32 s25, s7, s19
	s_lshl_b64 s[20:21], s[0:1], 11
	s_load_dwordx4 s[0:3], s[4:5], 0x8
	s_add_u32 s4, s20, s10
	s_addc_u32 s22, s21, s11
	s_add_u32 s5, s4, s24
	s_addc_u32 s20, s22, s25
	s_waitcnt lgkmcnt(0)
	s_sub_u32 s21, s5, s14
	s_subb_u32 s15, s20, s15
	s_add_u32 s24, s21, 0x400
	s_addc_u32 s25, s15, 0
	v_cmp_lt_u64_e64 s15, s[8:9], s[24:25]
	s_and_b32 s15, s15, exec_lo
	s_cselect_b32 s21, s8, s24
	s_or_b32 s15, s16, s23
	s_cmp_lg_u32 s15, -1
	s_mov_b32 s15, -1
	s_cbranch_scc1 .LBB656_3
; %bb.2:
	s_sub_u32 s18, s4, s18
	s_subb_u32 s19, s22, s19
	v_cmp_lt_u64_e64 s4, s[8:9], s[18:19]
	s_and_b32 s4, s4, exec_lo
	s_cselect_b32 s14, s8, s18
	s_add_u32 s10, s18, s10
	s_addc_u32 s11, s19, s11
	v_cmp_lt_u64_e64 s4, s[8:9], s[10:11]
	s_and_b32 s4, s4, exec_lo
	s_cselect_b32 s21, s8, s10
.LBB656_3:
	s_lshr_b64 s[18:19], s[8:9], 10
	v_lshlrev_b32_e32 v5, 3, v0
	s_cmp_lg_u64 s[18:19], s[16:17]
	s_cselect_b32 s4, -1, 0
	s_sub_u32 s10, s5, s12
	s_subb_u32 s11, s20, s13
	v_cmp_lt_u64_e64 s5, s[8:9], s[10:11]
	s_and_b32 s5, s5, exec_lo
	s_cselect_b32 s10, s8, s10
	s_cselect_b32 s11, s9, s11
	s_sub_i32 s5, s14, s12
	s_lshl_b64 s[12:13], s[12:13], 3
	s_sub_i32 s9, s21, s10
	s_add_u32 s12, s0, s12
	s_addc_u32 s13, s1, s13
	s_lshl_b64 s[10:11], s[10:11], 3
	s_add_u32 s10, s0, s10
	s_addc_u32 s11, s1, s11
	s_cmp_eq_u64 s[18:19], s[16:17]
	s_cbranch_scc1 .LBB656_5
; %bb.4:
	v_sub_co_u32 v1, vcc_lo, v0, s5
	v_mov_b32_e32 v2, 0
	v_add_co_u32 v3, s0, s12, v5
	v_add_co_ci_u32_e64 v4, null, s13, 0, s0
	v_lshlrev_b64 v[1:2], 3, v[1:2]
	s_add_i32 s1, s5, s9
	s_mov_b32 s17, -1
	v_add_co_u32 v1, s0, s10, v1
	v_add_co_ci_u32_e64 v2, null, s11, v2, s0
	v_cndmask_b32_e32 v3, v1, v3, vcc_lo
	v_cndmask_b32_e32 v4, v2, v4, vcc_lo
	s_cbranch_execz .LBB656_6
	s_branch .LBB656_9
.LBB656_5:
                                        ; implicit-def: $vgpr3_vgpr4
                                        ; implicit-def: $sgpr1
	s_andn2_b32 vcc_lo, exec_lo, s15
	s_cbranch_vccnz .LBB656_9
.LBB656_6:
	s_add_i32 s1, s5, s9
	s_mov_b32 s14, exec_lo
                                        ; implicit-def: $vgpr3_vgpr4
	v_cmpx_gt_u32_e64 s1, v0
	s_cbranch_execz .LBB656_8
; %bb.7:
	v_sub_co_u32 v1, vcc_lo, v0, s5
	v_mov_b32_e32 v2, 0
	v_add_co_u32 v3, s0, s12, v5
	v_add_co_ci_u32_e64 v4, null, s13, 0, s0
	v_lshlrev_b64 v[1:2], 3, v[1:2]
	s_or_b32 s17, s17, exec_lo
	v_add_co_u32 v1, s0, s10, v1
	v_add_co_ci_u32_e64 v2, null, s11, v2, s0
	v_cndmask_b32_e32 v3, v1, v3, vcc_lo
	v_cndmask_b32_e32 v4, v2, v4, vcc_lo
.LBB656_8:
	s_or_b32 exec_lo, exec_lo, s14
.LBB656_9:
	v_mov_b32_e32 v6, s1
                                        ; implicit-def: $vgpr1_vgpr2
	s_and_saveexec_b32 s0, s17
	s_cbranch_execz .LBB656_11
; %bb.10:
	global_load_dwordx2 v[1:2], v[3:4], off
	v_mov_b32_e32 v6, s1
.LBB656_11:
	s_or_b32 exec_lo, exec_lo, s0
	v_min_u32_e32 v4, v6, v0
	s_mov_b32 s0, exec_lo
	s_waitcnt vmcnt(0)
	ds_write_b64 v5, v[1:2]
	s_waitcnt lgkmcnt(0)
	s_barrier
	v_sub_nc_u32_e64 v3, v4, s9 clamp
	v_min_u32_e32 v7, s5, v4
	buffer_gl0_inv
	v_cmpx_lt_u32_e64 v3, v7
	s_cbranch_execz .LBB656_15
; %bb.12:
	v_lshlrev_b32_e32 v8, 3, v4
	s_mov_b32 s1, 0
	v_lshl_add_u32 v8, s5, 3, v8
	.p2align	6
.LBB656_13:                             ; =>This Inner Loop Header: Depth=1
	v_add_nc_u32_e32 v9, v7, v3
	v_lshrrev_b32_e32 v9, 1, v9
	v_not_b32_e32 v10, v9
	v_lshlrev_b32_e32 v11, 3, v9
	v_lshl_add_u32 v10, v10, 3, v8
	ds_read_b32 v11, v11
	ds_read_b32 v10, v10
	s_waitcnt lgkmcnt(1)
	v_mul_hi_i32 v11, 0x66666667, v11
	s_waitcnt lgkmcnt(0)
	v_mul_hi_i32 v10, 0x66666667, v10
	v_lshrrev_b32_e32 v12, 31, v11
	v_ashrrev_i32_e32 v11, 2, v11
	v_lshrrev_b32_e32 v13, 31, v10
	v_ashrrev_i32_e32 v10, 2, v10
	v_add_nc_u32_e32 v11, v11, v12
	v_add_nc_u32_e32 v12, 1, v9
	;; [unrolled: 1-line block ×3, first 2 shown]
	v_cmp_lt_i32_e32 vcc_lo, v10, v11
	v_cndmask_b32_e32 v7, v7, v9, vcc_lo
	v_cndmask_b32_e32 v3, v12, v3, vcc_lo
	v_cmp_ge_u32_e32 vcc_lo, v3, v7
	s_or_b32 s1, vcc_lo, s1
	s_andn2_b32 exec_lo, exec_lo, s1
	s_cbranch_execnz .LBB656_13
; %bb.14:
	s_or_b32 exec_lo, exec_lo, s1
.LBB656_15:
	s_or_b32 exec_lo, exec_lo, s0
	v_sub_nc_u32_e32 v4, v4, v3
	v_cmp_ge_u32_e32 vcc_lo, s5, v3
	v_add_nc_u32_e32 v7, s5, v4
	v_cmp_le_u32_e64 s0, v7, v6
	s_or_b32 s0, vcc_lo, s0
	s_and_saveexec_b32 s1, s0
	s_cbranch_execz .LBB656_23
; %bb.16:
	v_cmp_gt_u32_e64 s0, s5, v3
	v_cmp_le_u32_e32 vcc_lo, s5, v3
                                        ; implicit-def: $vgpr1_vgpr2
	s_and_saveexec_b32 s5, s0
; %bb.17:
	v_lshlrev_b32_e32 v1, 3, v3
	ds_read_b64 v[1:2], v1
; %bb.18:
	s_or_b32 exec_lo, exec_lo, s5
	v_cmp_ge_u32_e64 s5, v7, v6
	s_mov_b32 s9, exec_lo
                                        ; implicit-def: $vgpr3_vgpr4
	v_cmpx_lt_u32_e64 v7, v6
; %bb.19:
	v_lshlrev_b32_e32 v3, 3, v7
	ds_read_b64 v[3:4], v3
; %bb.20:
	s_or_b32 exec_lo, exec_lo, s9
	s_nor_b32 s9, vcc_lo, s5
	s_and_saveexec_b32 s0, s9
	s_cbranch_execz .LBB656_22
; %bb.21:
	s_waitcnt lgkmcnt(0)
	v_mul_hi_i32 v6, 0x66666667, v3
	v_mul_hi_i32 v7, 0x66666667, v1
	s_andn2_b32 s5, s5, exec_lo
	v_lshrrev_b32_e32 v8, 31, v6
	v_ashrrev_i32_e32 v6, 2, v6
	v_lshrrev_b32_e32 v9, 31, v7
	v_ashrrev_i32_e32 v7, 2, v7
	v_add_nc_u32_e32 v6, v6, v8
	v_add_nc_u32_e32 v7, v7, v9
	v_cmp_ge_i32_e32 vcc_lo, v6, v7
	s_and_b32 s9, vcc_lo, exec_lo
	s_or_b32 s5, s5, s9
.LBB656_22:
	s_or_b32 exec_lo, exec_lo, s0
	s_waitcnt lgkmcnt(0)
	v_cndmask_b32_e64 v2, v4, v2, s5
	v_cndmask_b32_e64 v1, v3, v1, s5
.LBB656_23:
	s_or_b32 exec_lo, exec_lo, s1
	s_and_b32 vcc_lo, exec_lo, s4
	s_mov_b32 s0, -1
	s_barrier
	buffer_gl0_inv
	s_barrier
	buffer_gl0_inv
	s_cbranch_vccz .LBB656_25
; %bb.24:
	ds_write_b64 v5, v[1:2]
	s_waitcnt lgkmcnt(0)
	s_barrier
	buffer_gl0_inv
	ds_read_b64 v[3:4], v5
	s_lshl_b64 s[0:1], s[6:7], 3
	s_add_u32 s4, s2, s0
	s_addc_u32 s5, s3, s1
	s_mov_b32 s0, 0
	s_waitcnt lgkmcnt(0)
	global_store_dwordx2 v5, v[3:4], s[4:5]
.LBB656_25:
	s_andn2_b32 vcc_lo, exec_lo, s0
	s_cbranch_vccnz .LBB656_28
; %bb.26:
	s_sub_i32 s0, s8, s6
	ds_write_b64 v5, v[1:2]
	v_cmp_gt_u32_e32 vcc_lo, s0, v0
	s_waitcnt lgkmcnt(0)
	s_waitcnt_vscnt null, 0x0
	s_barrier
	buffer_gl0_inv
	s_and_saveexec_b32 s0, vcc_lo
	s_cbranch_execz .LBB656_28
; %bb.27:
	ds_read_b64 v[0:1], v5
	s_lshl_b64 s[0:1], s[6:7], 3
	s_add_u32 s0, s2, s0
	s_addc_u32 s1, s3, s1
	s_waitcnt lgkmcnt(0)
	global_store_dwordx2 v5, v[0:1], s[0:1]
.LBB656_28:
	s_endpgm
	.section	.rodata,"a",@progbits
	.p2align	6, 0x0
	.amdhsa_kernel _ZN7rocprim17ROCPRIM_400000_NS6detail17trampoline_kernelINS0_14default_configENS1_38merge_sort_block_merge_config_selectorImNS0_10empty_typeEEEZZNS1_27merge_sort_block_merge_implIS3_N6thrust23THRUST_200600_302600_NS6detail15normal_iteratorINS9_10device_ptrImEEEEPS5_m11less_div_10ImEEE10hipError_tT0_T1_T2_jT3_P12ihipStream_tbPNSt15iterator_traitsISJ_E10value_typeEPNSP_ISK_E10value_typeEPSL_NS1_7vsmem_tEENKUlT_SJ_SK_SL_E_clISE_PmSF_SF_EESI_SY_SJ_SK_SL_EUlSY_E0_NS1_11comp_targetILNS1_3genE8ELNS1_11target_archE1030ELNS1_3gpuE2ELNS1_3repE0EEENS1_38merge_mergepath_config_static_selectorELNS0_4arch9wavefront6targetE0EEEvSK_
		.amdhsa_group_segment_fixed_size 8208
		.amdhsa_private_segment_fixed_size 0
		.amdhsa_kernarg_size 328
		.amdhsa_user_sgpr_count 6
		.amdhsa_user_sgpr_private_segment_buffer 1
		.amdhsa_user_sgpr_dispatch_ptr 0
		.amdhsa_user_sgpr_queue_ptr 0
		.amdhsa_user_sgpr_kernarg_segment_ptr 1
		.amdhsa_user_sgpr_dispatch_id 0
		.amdhsa_user_sgpr_flat_scratch_init 0
		.amdhsa_user_sgpr_private_segment_size 0
		.amdhsa_wavefront_size32 1
		.amdhsa_uses_dynamic_stack 0
		.amdhsa_system_sgpr_private_segment_wavefront_offset 0
		.amdhsa_system_sgpr_workgroup_id_x 1
		.amdhsa_system_sgpr_workgroup_id_y 1
		.amdhsa_system_sgpr_workgroup_id_z 1
		.amdhsa_system_sgpr_workgroup_info 0
		.amdhsa_system_vgpr_workitem_id 0
		.amdhsa_next_free_vgpr 14
		.amdhsa_next_free_sgpr 26
		.amdhsa_reserve_vcc 1
		.amdhsa_reserve_flat_scratch 0
		.amdhsa_float_round_mode_32 0
		.amdhsa_float_round_mode_16_64 0
		.amdhsa_float_denorm_mode_32 3
		.amdhsa_float_denorm_mode_16_64 3
		.amdhsa_dx10_clamp 1
		.amdhsa_ieee_mode 1
		.amdhsa_fp16_overflow 0
		.amdhsa_workgroup_processor_mode 1
		.amdhsa_memory_ordered 1
		.amdhsa_forward_progress 1
		.amdhsa_shared_vgpr_count 0
		.amdhsa_exception_fp_ieee_invalid_op 0
		.amdhsa_exception_fp_denorm_src 0
		.amdhsa_exception_fp_ieee_div_zero 0
		.amdhsa_exception_fp_ieee_overflow 0
		.amdhsa_exception_fp_ieee_underflow 0
		.amdhsa_exception_fp_ieee_inexact 0
		.amdhsa_exception_int_div_zero 0
	.end_amdhsa_kernel
	.section	.text._ZN7rocprim17ROCPRIM_400000_NS6detail17trampoline_kernelINS0_14default_configENS1_38merge_sort_block_merge_config_selectorImNS0_10empty_typeEEEZZNS1_27merge_sort_block_merge_implIS3_N6thrust23THRUST_200600_302600_NS6detail15normal_iteratorINS9_10device_ptrImEEEEPS5_m11less_div_10ImEEE10hipError_tT0_T1_T2_jT3_P12ihipStream_tbPNSt15iterator_traitsISJ_E10value_typeEPNSP_ISK_E10value_typeEPSL_NS1_7vsmem_tEENKUlT_SJ_SK_SL_E_clISE_PmSF_SF_EESI_SY_SJ_SK_SL_EUlSY_E0_NS1_11comp_targetILNS1_3genE8ELNS1_11target_archE1030ELNS1_3gpuE2ELNS1_3repE0EEENS1_38merge_mergepath_config_static_selectorELNS0_4arch9wavefront6targetE0EEEvSK_,"axG",@progbits,_ZN7rocprim17ROCPRIM_400000_NS6detail17trampoline_kernelINS0_14default_configENS1_38merge_sort_block_merge_config_selectorImNS0_10empty_typeEEEZZNS1_27merge_sort_block_merge_implIS3_N6thrust23THRUST_200600_302600_NS6detail15normal_iteratorINS9_10device_ptrImEEEEPS5_m11less_div_10ImEEE10hipError_tT0_T1_T2_jT3_P12ihipStream_tbPNSt15iterator_traitsISJ_E10value_typeEPNSP_ISK_E10value_typeEPSL_NS1_7vsmem_tEENKUlT_SJ_SK_SL_E_clISE_PmSF_SF_EESI_SY_SJ_SK_SL_EUlSY_E0_NS1_11comp_targetILNS1_3genE8ELNS1_11target_archE1030ELNS1_3gpuE2ELNS1_3repE0EEENS1_38merge_mergepath_config_static_selectorELNS0_4arch9wavefront6targetE0EEEvSK_,comdat
.Lfunc_end656:
	.size	_ZN7rocprim17ROCPRIM_400000_NS6detail17trampoline_kernelINS0_14default_configENS1_38merge_sort_block_merge_config_selectorImNS0_10empty_typeEEEZZNS1_27merge_sort_block_merge_implIS3_N6thrust23THRUST_200600_302600_NS6detail15normal_iteratorINS9_10device_ptrImEEEEPS5_m11less_div_10ImEEE10hipError_tT0_T1_T2_jT3_P12ihipStream_tbPNSt15iterator_traitsISJ_E10value_typeEPNSP_ISK_E10value_typeEPSL_NS1_7vsmem_tEENKUlT_SJ_SK_SL_E_clISE_PmSF_SF_EESI_SY_SJ_SK_SL_EUlSY_E0_NS1_11comp_targetILNS1_3genE8ELNS1_11target_archE1030ELNS1_3gpuE2ELNS1_3repE0EEENS1_38merge_mergepath_config_static_selectorELNS0_4arch9wavefront6targetE0EEEvSK_, .Lfunc_end656-_ZN7rocprim17ROCPRIM_400000_NS6detail17trampoline_kernelINS0_14default_configENS1_38merge_sort_block_merge_config_selectorImNS0_10empty_typeEEEZZNS1_27merge_sort_block_merge_implIS3_N6thrust23THRUST_200600_302600_NS6detail15normal_iteratorINS9_10device_ptrImEEEEPS5_m11less_div_10ImEEE10hipError_tT0_T1_T2_jT3_P12ihipStream_tbPNSt15iterator_traitsISJ_E10value_typeEPNSP_ISK_E10value_typeEPSL_NS1_7vsmem_tEENKUlT_SJ_SK_SL_E_clISE_PmSF_SF_EESI_SY_SJ_SK_SL_EUlSY_E0_NS1_11comp_targetILNS1_3genE8ELNS1_11target_archE1030ELNS1_3gpuE2ELNS1_3repE0EEENS1_38merge_mergepath_config_static_selectorELNS0_4arch9wavefront6targetE0EEEvSK_
                                        ; -- End function
	.set _ZN7rocprim17ROCPRIM_400000_NS6detail17trampoline_kernelINS0_14default_configENS1_38merge_sort_block_merge_config_selectorImNS0_10empty_typeEEEZZNS1_27merge_sort_block_merge_implIS3_N6thrust23THRUST_200600_302600_NS6detail15normal_iteratorINS9_10device_ptrImEEEEPS5_m11less_div_10ImEEE10hipError_tT0_T1_T2_jT3_P12ihipStream_tbPNSt15iterator_traitsISJ_E10value_typeEPNSP_ISK_E10value_typeEPSL_NS1_7vsmem_tEENKUlT_SJ_SK_SL_E_clISE_PmSF_SF_EESI_SY_SJ_SK_SL_EUlSY_E0_NS1_11comp_targetILNS1_3genE8ELNS1_11target_archE1030ELNS1_3gpuE2ELNS1_3repE0EEENS1_38merge_mergepath_config_static_selectorELNS0_4arch9wavefront6targetE0EEEvSK_.num_vgpr, 14
	.set _ZN7rocprim17ROCPRIM_400000_NS6detail17trampoline_kernelINS0_14default_configENS1_38merge_sort_block_merge_config_selectorImNS0_10empty_typeEEEZZNS1_27merge_sort_block_merge_implIS3_N6thrust23THRUST_200600_302600_NS6detail15normal_iteratorINS9_10device_ptrImEEEEPS5_m11less_div_10ImEEE10hipError_tT0_T1_T2_jT3_P12ihipStream_tbPNSt15iterator_traitsISJ_E10value_typeEPNSP_ISK_E10value_typeEPSL_NS1_7vsmem_tEENKUlT_SJ_SK_SL_E_clISE_PmSF_SF_EESI_SY_SJ_SK_SL_EUlSY_E0_NS1_11comp_targetILNS1_3genE8ELNS1_11target_archE1030ELNS1_3gpuE2ELNS1_3repE0EEENS1_38merge_mergepath_config_static_selectorELNS0_4arch9wavefront6targetE0EEEvSK_.num_agpr, 0
	.set _ZN7rocprim17ROCPRIM_400000_NS6detail17trampoline_kernelINS0_14default_configENS1_38merge_sort_block_merge_config_selectorImNS0_10empty_typeEEEZZNS1_27merge_sort_block_merge_implIS3_N6thrust23THRUST_200600_302600_NS6detail15normal_iteratorINS9_10device_ptrImEEEEPS5_m11less_div_10ImEEE10hipError_tT0_T1_T2_jT3_P12ihipStream_tbPNSt15iterator_traitsISJ_E10value_typeEPNSP_ISK_E10value_typeEPSL_NS1_7vsmem_tEENKUlT_SJ_SK_SL_E_clISE_PmSF_SF_EESI_SY_SJ_SK_SL_EUlSY_E0_NS1_11comp_targetILNS1_3genE8ELNS1_11target_archE1030ELNS1_3gpuE2ELNS1_3repE0EEENS1_38merge_mergepath_config_static_selectorELNS0_4arch9wavefront6targetE0EEEvSK_.numbered_sgpr, 26
	.set _ZN7rocprim17ROCPRIM_400000_NS6detail17trampoline_kernelINS0_14default_configENS1_38merge_sort_block_merge_config_selectorImNS0_10empty_typeEEEZZNS1_27merge_sort_block_merge_implIS3_N6thrust23THRUST_200600_302600_NS6detail15normal_iteratorINS9_10device_ptrImEEEEPS5_m11less_div_10ImEEE10hipError_tT0_T1_T2_jT3_P12ihipStream_tbPNSt15iterator_traitsISJ_E10value_typeEPNSP_ISK_E10value_typeEPSL_NS1_7vsmem_tEENKUlT_SJ_SK_SL_E_clISE_PmSF_SF_EESI_SY_SJ_SK_SL_EUlSY_E0_NS1_11comp_targetILNS1_3genE8ELNS1_11target_archE1030ELNS1_3gpuE2ELNS1_3repE0EEENS1_38merge_mergepath_config_static_selectorELNS0_4arch9wavefront6targetE0EEEvSK_.num_named_barrier, 0
	.set _ZN7rocprim17ROCPRIM_400000_NS6detail17trampoline_kernelINS0_14default_configENS1_38merge_sort_block_merge_config_selectorImNS0_10empty_typeEEEZZNS1_27merge_sort_block_merge_implIS3_N6thrust23THRUST_200600_302600_NS6detail15normal_iteratorINS9_10device_ptrImEEEEPS5_m11less_div_10ImEEE10hipError_tT0_T1_T2_jT3_P12ihipStream_tbPNSt15iterator_traitsISJ_E10value_typeEPNSP_ISK_E10value_typeEPSL_NS1_7vsmem_tEENKUlT_SJ_SK_SL_E_clISE_PmSF_SF_EESI_SY_SJ_SK_SL_EUlSY_E0_NS1_11comp_targetILNS1_3genE8ELNS1_11target_archE1030ELNS1_3gpuE2ELNS1_3repE0EEENS1_38merge_mergepath_config_static_selectorELNS0_4arch9wavefront6targetE0EEEvSK_.private_seg_size, 0
	.set _ZN7rocprim17ROCPRIM_400000_NS6detail17trampoline_kernelINS0_14default_configENS1_38merge_sort_block_merge_config_selectorImNS0_10empty_typeEEEZZNS1_27merge_sort_block_merge_implIS3_N6thrust23THRUST_200600_302600_NS6detail15normal_iteratorINS9_10device_ptrImEEEEPS5_m11less_div_10ImEEE10hipError_tT0_T1_T2_jT3_P12ihipStream_tbPNSt15iterator_traitsISJ_E10value_typeEPNSP_ISK_E10value_typeEPSL_NS1_7vsmem_tEENKUlT_SJ_SK_SL_E_clISE_PmSF_SF_EESI_SY_SJ_SK_SL_EUlSY_E0_NS1_11comp_targetILNS1_3genE8ELNS1_11target_archE1030ELNS1_3gpuE2ELNS1_3repE0EEENS1_38merge_mergepath_config_static_selectorELNS0_4arch9wavefront6targetE0EEEvSK_.uses_vcc, 1
	.set _ZN7rocprim17ROCPRIM_400000_NS6detail17trampoline_kernelINS0_14default_configENS1_38merge_sort_block_merge_config_selectorImNS0_10empty_typeEEEZZNS1_27merge_sort_block_merge_implIS3_N6thrust23THRUST_200600_302600_NS6detail15normal_iteratorINS9_10device_ptrImEEEEPS5_m11less_div_10ImEEE10hipError_tT0_T1_T2_jT3_P12ihipStream_tbPNSt15iterator_traitsISJ_E10value_typeEPNSP_ISK_E10value_typeEPSL_NS1_7vsmem_tEENKUlT_SJ_SK_SL_E_clISE_PmSF_SF_EESI_SY_SJ_SK_SL_EUlSY_E0_NS1_11comp_targetILNS1_3genE8ELNS1_11target_archE1030ELNS1_3gpuE2ELNS1_3repE0EEENS1_38merge_mergepath_config_static_selectorELNS0_4arch9wavefront6targetE0EEEvSK_.uses_flat_scratch, 0
	.set _ZN7rocprim17ROCPRIM_400000_NS6detail17trampoline_kernelINS0_14default_configENS1_38merge_sort_block_merge_config_selectorImNS0_10empty_typeEEEZZNS1_27merge_sort_block_merge_implIS3_N6thrust23THRUST_200600_302600_NS6detail15normal_iteratorINS9_10device_ptrImEEEEPS5_m11less_div_10ImEEE10hipError_tT0_T1_T2_jT3_P12ihipStream_tbPNSt15iterator_traitsISJ_E10value_typeEPNSP_ISK_E10value_typeEPSL_NS1_7vsmem_tEENKUlT_SJ_SK_SL_E_clISE_PmSF_SF_EESI_SY_SJ_SK_SL_EUlSY_E0_NS1_11comp_targetILNS1_3genE8ELNS1_11target_archE1030ELNS1_3gpuE2ELNS1_3repE0EEENS1_38merge_mergepath_config_static_selectorELNS0_4arch9wavefront6targetE0EEEvSK_.has_dyn_sized_stack, 0
	.set _ZN7rocprim17ROCPRIM_400000_NS6detail17trampoline_kernelINS0_14default_configENS1_38merge_sort_block_merge_config_selectorImNS0_10empty_typeEEEZZNS1_27merge_sort_block_merge_implIS3_N6thrust23THRUST_200600_302600_NS6detail15normal_iteratorINS9_10device_ptrImEEEEPS5_m11less_div_10ImEEE10hipError_tT0_T1_T2_jT3_P12ihipStream_tbPNSt15iterator_traitsISJ_E10value_typeEPNSP_ISK_E10value_typeEPSL_NS1_7vsmem_tEENKUlT_SJ_SK_SL_E_clISE_PmSF_SF_EESI_SY_SJ_SK_SL_EUlSY_E0_NS1_11comp_targetILNS1_3genE8ELNS1_11target_archE1030ELNS1_3gpuE2ELNS1_3repE0EEENS1_38merge_mergepath_config_static_selectorELNS0_4arch9wavefront6targetE0EEEvSK_.has_recursion, 0
	.set _ZN7rocprim17ROCPRIM_400000_NS6detail17trampoline_kernelINS0_14default_configENS1_38merge_sort_block_merge_config_selectorImNS0_10empty_typeEEEZZNS1_27merge_sort_block_merge_implIS3_N6thrust23THRUST_200600_302600_NS6detail15normal_iteratorINS9_10device_ptrImEEEEPS5_m11less_div_10ImEEE10hipError_tT0_T1_T2_jT3_P12ihipStream_tbPNSt15iterator_traitsISJ_E10value_typeEPNSP_ISK_E10value_typeEPSL_NS1_7vsmem_tEENKUlT_SJ_SK_SL_E_clISE_PmSF_SF_EESI_SY_SJ_SK_SL_EUlSY_E0_NS1_11comp_targetILNS1_3genE8ELNS1_11target_archE1030ELNS1_3gpuE2ELNS1_3repE0EEENS1_38merge_mergepath_config_static_selectorELNS0_4arch9wavefront6targetE0EEEvSK_.has_indirect_call, 0
	.section	.AMDGPU.csdata,"",@progbits
; Kernel info:
; codeLenInByte = 1168
; TotalNumSgprs: 28
; NumVgprs: 14
; ScratchSize: 0
; MemoryBound: 0
; FloatMode: 240
; IeeeMode: 1
; LDSByteSize: 8208 bytes/workgroup (compile time only)
; SGPRBlocks: 0
; VGPRBlocks: 1
; NumSGPRsForWavesPerEU: 28
; NumVGPRsForWavesPerEU: 14
; Occupancy: 16
; WaveLimiterHint : 0
; COMPUTE_PGM_RSRC2:SCRATCH_EN: 0
; COMPUTE_PGM_RSRC2:USER_SGPR: 6
; COMPUTE_PGM_RSRC2:TRAP_HANDLER: 0
; COMPUTE_PGM_RSRC2:TGID_X_EN: 1
; COMPUTE_PGM_RSRC2:TGID_Y_EN: 1
; COMPUTE_PGM_RSRC2:TGID_Z_EN: 1
; COMPUTE_PGM_RSRC2:TIDIG_COMP_CNT: 0
	.section	.text._ZN7rocprim17ROCPRIM_400000_NS6detail17trampoline_kernelINS0_14default_configENS1_38merge_sort_block_merge_config_selectorImNS0_10empty_typeEEEZZNS1_27merge_sort_block_merge_implIS3_N6thrust23THRUST_200600_302600_NS6detail15normal_iteratorINS9_10device_ptrImEEEEPS5_m11less_div_10ImEEE10hipError_tT0_T1_T2_jT3_P12ihipStream_tbPNSt15iterator_traitsISJ_E10value_typeEPNSP_ISK_E10value_typeEPSL_NS1_7vsmem_tEENKUlT_SJ_SK_SL_E_clISE_PmSF_SF_EESI_SY_SJ_SK_SL_EUlSY_E1_NS1_11comp_targetILNS1_3genE0ELNS1_11target_archE4294967295ELNS1_3gpuE0ELNS1_3repE0EEENS1_36merge_oddeven_config_static_selectorELNS0_4arch9wavefront6targetE0EEEvSK_,"axG",@progbits,_ZN7rocprim17ROCPRIM_400000_NS6detail17trampoline_kernelINS0_14default_configENS1_38merge_sort_block_merge_config_selectorImNS0_10empty_typeEEEZZNS1_27merge_sort_block_merge_implIS3_N6thrust23THRUST_200600_302600_NS6detail15normal_iteratorINS9_10device_ptrImEEEEPS5_m11less_div_10ImEEE10hipError_tT0_T1_T2_jT3_P12ihipStream_tbPNSt15iterator_traitsISJ_E10value_typeEPNSP_ISK_E10value_typeEPSL_NS1_7vsmem_tEENKUlT_SJ_SK_SL_E_clISE_PmSF_SF_EESI_SY_SJ_SK_SL_EUlSY_E1_NS1_11comp_targetILNS1_3genE0ELNS1_11target_archE4294967295ELNS1_3gpuE0ELNS1_3repE0EEENS1_36merge_oddeven_config_static_selectorELNS0_4arch9wavefront6targetE0EEEvSK_,comdat
	.protected	_ZN7rocprim17ROCPRIM_400000_NS6detail17trampoline_kernelINS0_14default_configENS1_38merge_sort_block_merge_config_selectorImNS0_10empty_typeEEEZZNS1_27merge_sort_block_merge_implIS3_N6thrust23THRUST_200600_302600_NS6detail15normal_iteratorINS9_10device_ptrImEEEEPS5_m11less_div_10ImEEE10hipError_tT0_T1_T2_jT3_P12ihipStream_tbPNSt15iterator_traitsISJ_E10value_typeEPNSP_ISK_E10value_typeEPSL_NS1_7vsmem_tEENKUlT_SJ_SK_SL_E_clISE_PmSF_SF_EESI_SY_SJ_SK_SL_EUlSY_E1_NS1_11comp_targetILNS1_3genE0ELNS1_11target_archE4294967295ELNS1_3gpuE0ELNS1_3repE0EEENS1_36merge_oddeven_config_static_selectorELNS0_4arch9wavefront6targetE0EEEvSK_ ; -- Begin function _ZN7rocprim17ROCPRIM_400000_NS6detail17trampoline_kernelINS0_14default_configENS1_38merge_sort_block_merge_config_selectorImNS0_10empty_typeEEEZZNS1_27merge_sort_block_merge_implIS3_N6thrust23THRUST_200600_302600_NS6detail15normal_iteratorINS9_10device_ptrImEEEEPS5_m11less_div_10ImEEE10hipError_tT0_T1_T2_jT3_P12ihipStream_tbPNSt15iterator_traitsISJ_E10value_typeEPNSP_ISK_E10value_typeEPSL_NS1_7vsmem_tEENKUlT_SJ_SK_SL_E_clISE_PmSF_SF_EESI_SY_SJ_SK_SL_EUlSY_E1_NS1_11comp_targetILNS1_3genE0ELNS1_11target_archE4294967295ELNS1_3gpuE0ELNS1_3repE0EEENS1_36merge_oddeven_config_static_selectorELNS0_4arch9wavefront6targetE0EEEvSK_
	.globl	_ZN7rocprim17ROCPRIM_400000_NS6detail17trampoline_kernelINS0_14default_configENS1_38merge_sort_block_merge_config_selectorImNS0_10empty_typeEEEZZNS1_27merge_sort_block_merge_implIS3_N6thrust23THRUST_200600_302600_NS6detail15normal_iteratorINS9_10device_ptrImEEEEPS5_m11less_div_10ImEEE10hipError_tT0_T1_T2_jT3_P12ihipStream_tbPNSt15iterator_traitsISJ_E10value_typeEPNSP_ISK_E10value_typeEPSL_NS1_7vsmem_tEENKUlT_SJ_SK_SL_E_clISE_PmSF_SF_EESI_SY_SJ_SK_SL_EUlSY_E1_NS1_11comp_targetILNS1_3genE0ELNS1_11target_archE4294967295ELNS1_3gpuE0ELNS1_3repE0EEENS1_36merge_oddeven_config_static_selectorELNS0_4arch9wavefront6targetE0EEEvSK_
	.p2align	8
	.type	_ZN7rocprim17ROCPRIM_400000_NS6detail17trampoline_kernelINS0_14default_configENS1_38merge_sort_block_merge_config_selectorImNS0_10empty_typeEEEZZNS1_27merge_sort_block_merge_implIS3_N6thrust23THRUST_200600_302600_NS6detail15normal_iteratorINS9_10device_ptrImEEEEPS5_m11less_div_10ImEEE10hipError_tT0_T1_T2_jT3_P12ihipStream_tbPNSt15iterator_traitsISJ_E10value_typeEPNSP_ISK_E10value_typeEPSL_NS1_7vsmem_tEENKUlT_SJ_SK_SL_E_clISE_PmSF_SF_EESI_SY_SJ_SK_SL_EUlSY_E1_NS1_11comp_targetILNS1_3genE0ELNS1_11target_archE4294967295ELNS1_3gpuE0ELNS1_3repE0EEENS1_36merge_oddeven_config_static_selectorELNS0_4arch9wavefront6targetE0EEEvSK_,@function
_ZN7rocprim17ROCPRIM_400000_NS6detail17trampoline_kernelINS0_14default_configENS1_38merge_sort_block_merge_config_selectorImNS0_10empty_typeEEEZZNS1_27merge_sort_block_merge_implIS3_N6thrust23THRUST_200600_302600_NS6detail15normal_iteratorINS9_10device_ptrImEEEEPS5_m11less_div_10ImEEE10hipError_tT0_T1_T2_jT3_P12ihipStream_tbPNSt15iterator_traitsISJ_E10value_typeEPNSP_ISK_E10value_typeEPSL_NS1_7vsmem_tEENKUlT_SJ_SK_SL_E_clISE_PmSF_SF_EESI_SY_SJ_SK_SL_EUlSY_E1_NS1_11comp_targetILNS1_3genE0ELNS1_11target_archE4294967295ELNS1_3gpuE0ELNS1_3repE0EEENS1_36merge_oddeven_config_static_selectorELNS0_4arch9wavefront6targetE0EEEvSK_: ; @_ZN7rocprim17ROCPRIM_400000_NS6detail17trampoline_kernelINS0_14default_configENS1_38merge_sort_block_merge_config_selectorImNS0_10empty_typeEEEZZNS1_27merge_sort_block_merge_implIS3_N6thrust23THRUST_200600_302600_NS6detail15normal_iteratorINS9_10device_ptrImEEEEPS5_m11less_div_10ImEEE10hipError_tT0_T1_T2_jT3_P12ihipStream_tbPNSt15iterator_traitsISJ_E10value_typeEPNSP_ISK_E10value_typeEPSL_NS1_7vsmem_tEENKUlT_SJ_SK_SL_E_clISE_PmSF_SF_EESI_SY_SJ_SK_SL_EUlSY_E1_NS1_11comp_targetILNS1_3genE0ELNS1_11target_archE4294967295ELNS1_3gpuE0ELNS1_3repE0EEENS1_36merge_oddeven_config_static_selectorELNS0_4arch9wavefront6targetE0EEEvSK_
; %bb.0:
	.section	.rodata,"a",@progbits
	.p2align	6, 0x0
	.amdhsa_kernel _ZN7rocprim17ROCPRIM_400000_NS6detail17trampoline_kernelINS0_14default_configENS1_38merge_sort_block_merge_config_selectorImNS0_10empty_typeEEEZZNS1_27merge_sort_block_merge_implIS3_N6thrust23THRUST_200600_302600_NS6detail15normal_iteratorINS9_10device_ptrImEEEEPS5_m11less_div_10ImEEE10hipError_tT0_T1_T2_jT3_P12ihipStream_tbPNSt15iterator_traitsISJ_E10value_typeEPNSP_ISK_E10value_typeEPSL_NS1_7vsmem_tEENKUlT_SJ_SK_SL_E_clISE_PmSF_SF_EESI_SY_SJ_SK_SL_EUlSY_E1_NS1_11comp_targetILNS1_3genE0ELNS1_11target_archE4294967295ELNS1_3gpuE0ELNS1_3repE0EEENS1_36merge_oddeven_config_static_selectorELNS0_4arch9wavefront6targetE0EEEvSK_
		.amdhsa_group_segment_fixed_size 0
		.amdhsa_private_segment_fixed_size 0
		.amdhsa_kernarg_size 56
		.amdhsa_user_sgpr_count 6
		.amdhsa_user_sgpr_private_segment_buffer 1
		.amdhsa_user_sgpr_dispatch_ptr 0
		.amdhsa_user_sgpr_queue_ptr 0
		.amdhsa_user_sgpr_kernarg_segment_ptr 1
		.amdhsa_user_sgpr_dispatch_id 0
		.amdhsa_user_sgpr_flat_scratch_init 0
		.amdhsa_user_sgpr_private_segment_size 0
		.amdhsa_wavefront_size32 1
		.amdhsa_uses_dynamic_stack 0
		.amdhsa_system_sgpr_private_segment_wavefront_offset 0
		.amdhsa_system_sgpr_workgroup_id_x 1
		.amdhsa_system_sgpr_workgroup_id_y 0
		.amdhsa_system_sgpr_workgroup_id_z 0
		.amdhsa_system_sgpr_workgroup_info 0
		.amdhsa_system_vgpr_workitem_id 0
		.amdhsa_next_free_vgpr 1
		.amdhsa_next_free_sgpr 1
		.amdhsa_reserve_vcc 0
		.amdhsa_reserve_flat_scratch 0
		.amdhsa_float_round_mode_32 0
		.amdhsa_float_round_mode_16_64 0
		.amdhsa_float_denorm_mode_32 3
		.amdhsa_float_denorm_mode_16_64 3
		.amdhsa_dx10_clamp 1
		.amdhsa_ieee_mode 1
		.amdhsa_fp16_overflow 0
		.amdhsa_workgroup_processor_mode 1
		.amdhsa_memory_ordered 1
		.amdhsa_forward_progress 1
		.amdhsa_shared_vgpr_count 0
		.amdhsa_exception_fp_ieee_invalid_op 0
		.amdhsa_exception_fp_denorm_src 0
		.amdhsa_exception_fp_ieee_div_zero 0
		.amdhsa_exception_fp_ieee_overflow 0
		.amdhsa_exception_fp_ieee_underflow 0
		.amdhsa_exception_fp_ieee_inexact 0
		.amdhsa_exception_int_div_zero 0
	.end_amdhsa_kernel
	.section	.text._ZN7rocprim17ROCPRIM_400000_NS6detail17trampoline_kernelINS0_14default_configENS1_38merge_sort_block_merge_config_selectorImNS0_10empty_typeEEEZZNS1_27merge_sort_block_merge_implIS3_N6thrust23THRUST_200600_302600_NS6detail15normal_iteratorINS9_10device_ptrImEEEEPS5_m11less_div_10ImEEE10hipError_tT0_T1_T2_jT3_P12ihipStream_tbPNSt15iterator_traitsISJ_E10value_typeEPNSP_ISK_E10value_typeEPSL_NS1_7vsmem_tEENKUlT_SJ_SK_SL_E_clISE_PmSF_SF_EESI_SY_SJ_SK_SL_EUlSY_E1_NS1_11comp_targetILNS1_3genE0ELNS1_11target_archE4294967295ELNS1_3gpuE0ELNS1_3repE0EEENS1_36merge_oddeven_config_static_selectorELNS0_4arch9wavefront6targetE0EEEvSK_,"axG",@progbits,_ZN7rocprim17ROCPRIM_400000_NS6detail17trampoline_kernelINS0_14default_configENS1_38merge_sort_block_merge_config_selectorImNS0_10empty_typeEEEZZNS1_27merge_sort_block_merge_implIS3_N6thrust23THRUST_200600_302600_NS6detail15normal_iteratorINS9_10device_ptrImEEEEPS5_m11less_div_10ImEEE10hipError_tT0_T1_T2_jT3_P12ihipStream_tbPNSt15iterator_traitsISJ_E10value_typeEPNSP_ISK_E10value_typeEPSL_NS1_7vsmem_tEENKUlT_SJ_SK_SL_E_clISE_PmSF_SF_EESI_SY_SJ_SK_SL_EUlSY_E1_NS1_11comp_targetILNS1_3genE0ELNS1_11target_archE4294967295ELNS1_3gpuE0ELNS1_3repE0EEENS1_36merge_oddeven_config_static_selectorELNS0_4arch9wavefront6targetE0EEEvSK_,comdat
.Lfunc_end657:
	.size	_ZN7rocprim17ROCPRIM_400000_NS6detail17trampoline_kernelINS0_14default_configENS1_38merge_sort_block_merge_config_selectorImNS0_10empty_typeEEEZZNS1_27merge_sort_block_merge_implIS3_N6thrust23THRUST_200600_302600_NS6detail15normal_iteratorINS9_10device_ptrImEEEEPS5_m11less_div_10ImEEE10hipError_tT0_T1_T2_jT3_P12ihipStream_tbPNSt15iterator_traitsISJ_E10value_typeEPNSP_ISK_E10value_typeEPSL_NS1_7vsmem_tEENKUlT_SJ_SK_SL_E_clISE_PmSF_SF_EESI_SY_SJ_SK_SL_EUlSY_E1_NS1_11comp_targetILNS1_3genE0ELNS1_11target_archE4294967295ELNS1_3gpuE0ELNS1_3repE0EEENS1_36merge_oddeven_config_static_selectorELNS0_4arch9wavefront6targetE0EEEvSK_, .Lfunc_end657-_ZN7rocprim17ROCPRIM_400000_NS6detail17trampoline_kernelINS0_14default_configENS1_38merge_sort_block_merge_config_selectorImNS0_10empty_typeEEEZZNS1_27merge_sort_block_merge_implIS3_N6thrust23THRUST_200600_302600_NS6detail15normal_iteratorINS9_10device_ptrImEEEEPS5_m11less_div_10ImEEE10hipError_tT0_T1_T2_jT3_P12ihipStream_tbPNSt15iterator_traitsISJ_E10value_typeEPNSP_ISK_E10value_typeEPSL_NS1_7vsmem_tEENKUlT_SJ_SK_SL_E_clISE_PmSF_SF_EESI_SY_SJ_SK_SL_EUlSY_E1_NS1_11comp_targetILNS1_3genE0ELNS1_11target_archE4294967295ELNS1_3gpuE0ELNS1_3repE0EEENS1_36merge_oddeven_config_static_selectorELNS0_4arch9wavefront6targetE0EEEvSK_
                                        ; -- End function
	.set _ZN7rocprim17ROCPRIM_400000_NS6detail17trampoline_kernelINS0_14default_configENS1_38merge_sort_block_merge_config_selectorImNS0_10empty_typeEEEZZNS1_27merge_sort_block_merge_implIS3_N6thrust23THRUST_200600_302600_NS6detail15normal_iteratorINS9_10device_ptrImEEEEPS5_m11less_div_10ImEEE10hipError_tT0_T1_T2_jT3_P12ihipStream_tbPNSt15iterator_traitsISJ_E10value_typeEPNSP_ISK_E10value_typeEPSL_NS1_7vsmem_tEENKUlT_SJ_SK_SL_E_clISE_PmSF_SF_EESI_SY_SJ_SK_SL_EUlSY_E1_NS1_11comp_targetILNS1_3genE0ELNS1_11target_archE4294967295ELNS1_3gpuE0ELNS1_3repE0EEENS1_36merge_oddeven_config_static_selectorELNS0_4arch9wavefront6targetE0EEEvSK_.num_vgpr, 0
	.set _ZN7rocprim17ROCPRIM_400000_NS6detail17trampoline_kernelINS0_14default_configENS1_38merge_sort_block_merge_config_selectorImNS0_10empty_typeEEEZZNS1_27merge_sort_block_merge_implIS3_N6thrust23THRUST_200600_302600_NS6detail15normal_iteratorINS9_10device_ptrImEEEEPS5_m11less_div_10ImEEE10hipError_tT0_T1_T2_jT3_P12ihipStream_tbPNSt15iterator_traitsISJ_E10value_typeEPNSP_ISK_E10value_typeEPSL_NS1_7vsmem_tEENKUlT_SJ_SK_SL_E_clISE_PmSF_SF_EESI_SY_SJ_SK_SL_EUlSY_E1_NS1_11comp_targetILNS1_3genE0ELNS1_11target_archE4294967295ELNS1_3gpuE0ELNS1_3repE0EEENS1_36merge_oddeven_config_static_selectorELNS0_4arch9wavefront6targetE0EEEvSK_.num_agpr, 0
	.set _ZN7rocprim17ROCPRIM_400000_NS6detail17trampoline_kernelINS0_14default_configENS1_38merge_sort_block_merge_config_selectorImNS0_10empty_typeEEEZZNS1_27merge_sort_block_merge_implIS3_N6thrust23THRUST_200600_302600_NS6detail15normal_iteratorINS9_10device_ptrImEEEEPS5_m11less_div_10ImEEE10hipError_tT0_T1_T2_jT3_P12ihipStream_tbPNSt15iterator_traitsISJ_E10value_typeEPNSP_ISK_E10value_typeEPSL_NS1_7vsmem_tEENKUlT_SJ_SK_SL_E_clISE_PmSF_SF_EESI_SY_SJ_SK_SL_EUlSY_E1_NS1_11comp_targetILNS1_3genE0ELNS1_11target_archE4294967295ELNS1_3gpuE0ELNS1_3repE0EEENS1_36merge_oddeven_config_static_selectorELNS0_4arch9wavefront6targetE0EEEvSK_.numbered_sgpr, 0
	.set _ZN7rocprim17ROCPRIM_400000_NS6detail17trampoline_kernelINS0_14default_configENS1_38merge_sort_block_merge_config_selectorImNS0_10empty_typeEEEZZNS1_27merge_sort_block_merge_implIS3_N6thrust23THRUST_200600_302600_NS6detail15normal_iteratorINS9_10device_ptrImEEEEPS5_m11less_div_10ImEEE10hipError_tT0_T1_T2_jT3_P12ihipStream_tbPNSt15iterator_traitsISJ_E10value_typeEPNSP_ISK_E10value_typeEPSL_NS1_7vsmem_tEENKUlT_SJ_SK_SL_E_clISE_PmSF_SF_EESI_SY_SJ_SK_SL_EUlSY_E1_NS1_11comp_targetILNS1_3genE0ELNS1_11target_archE4294967295ELNS1_3gpuE0ELNS1_3repE0EEENS1_36merge_oddeven_config_static_selectorELNS0_4arch9wavefront6targetE0EEEvSK_.num_named_barrier, 0
	.set _ZN7rocprim17ROCPRIM_400000_NS6detail17trampoline_kernelINS0_14default_configENS1_38merge_sort_block_merge_config_selectorImNS0_10empty_typeEEEZZNS1_27merge_sort_block_merge_implIS3_N6thrust23THRUST_200600_302600_NS6detail15normal_iteratorINS9_10device_ptrImEEEEPS5_m11less_div_10ImEEE10hipError_tT0_T1_T2_jT3_P12ihipStream_tbPNSt15iterator_traitsISJ_E10value_typeEPNSP_ISK_E10value_typeEPSL_NS1_7vsmem_tEENKUlT_SJ_SK_SL_E_clISE_PmSF_SF_EESI_SY_SJ_SK_SL_EUlSY_E1_NS1_11comp_targetILNS1_3genE0ELNS1_11target_archE4294967295ELNS1_3gpuE0ELNS1_3repE0EEENS1_36merge_oddeven_config_static_selectorELNS0_4arch9wavefront6targetE0EEEvSK_.private_seg_size, 0
	.set _ZN7rocprim17ROCPRIM_400000_NS6detail17trampoline_kernelINS0_14default_configENS1_38merge_sort_block_merge_config_selectorImNS0_10empty_typeEEEZZNS1_27merge_sort_block_merge_implIS3_N6thrust23THRUST_200600_302600_NS6detail15normal_iteratorINS9_10device_ptrImEEEEPS5_m11less_div_10ImEEE10hipError_tT0_T1_T2_jT3_P12ihipStream_tbPNSt15iterator_traitsISJ_E10value_typeEPNSP_ISK_E10value_typeEPSL_NS1_7vsmem_tEENKUlT_SJ_SK_SL_E_clISE_PmSF_SF_EESI_SY_SJ_SK_SL_EUlSY_E1_NS1_11comp_targetILNS1_3genE0ELNS1_11target_archE4294967295ELNS1_3gpuE0ELNS1_3repE0EEENS1_36merge_oddeven_config_static_selectorELNS0_4arch9wavefront6targetE0EEEvSK_.uses_vcc, 0
	.set _ZN7rocprim17ROCPRIM_400000_NS6detail17trampoline_kernelINS0_14default_configENS1_38merge_sort_block_merge_config_selectorImNS0_10empty_typeEEEZZNS1_27merge_sort_block_merge_implIS3_N6thrust23THRUST_200600_302600_NS6detail15normal_iteratorINS9_10device_ptrImEEEEPS5_m11less_div_10ImEEE10hipError_tT0_T1_T2_jT3_P12ihipStream_tbPNSt15iterator_traitsISJ_E10value_typeEPNSP_ISK_E10value_typeEPSL_NS1_7vsmem_tEENKUlT_SJ_SK_SL_E_clISE_PmSF_SF_EESI_SY_SJ_SK_SL_EUlSY_E1_NS1_11comp_targetILNS1_3genE0ELNS1_11target_archE4294967295ELNS1_3gpuE0ELNS1_3repE0EEENS1_36merge_oddeven_config_static_selectorELNS0_4arch9wavefront6targetE0EEEvSK_.uses_flat_scratch, 0
	.set _ZN7rocprim17ROCPRIM_400000_NS6detail17trampoline_kernelINS0_14default_configENS1_38merge_sort_block_merge_config_selectorImNS0_10empty_typeEEEZZNS1_27merge_sort_block_merge_implIS3_N6thrust23THRUST_200600_302600_NS6detail15normal_iteratorINS9_10device_ptrImEEEEPS5_m11less_div_10ImEEE10hipError_tT0_T1_T2_jT3_P12ihipStream_tbPNSt15iterator_traitsISJ_E10value_typeEPNSP_ISK_E10value_typeEPSL_NS1_7vsmem_tEENKUlT_SJ_SK_SL_E_clISE_PmSF_SF_EESI_SY_SJ_SK_SL_EUlSY_E1_NS1_11comp_targetILNS1_3genE0ELNS1_11target_archE4294967295ELNS1_3gpuE0ELNS1_3repE0EEENS1_36merge_oddeven_config_static_selectorELNS0_4arch9wavefront6targetE0EEEvSK_.has_dyn_sized_stack, 0
	.set _ZN7rocprim17ROCPRIM_400000_NS6detail17trampoline_kernelINS0_14default_configENS1_38merge_sort_block_merge_config_selectorImNS0_10empty_typeEEEZZNS1_27merge_sort_block_merge_implIS3_N6thrust23THRUST_200600_302600_NS6detail15normal_iteratorINS9_10device_ptrImEEEEPS5_m11less_div_10ImEEE10hipError_tT0_T1_T2_jT3_P12ihipStream_tbPNSt15iterator_traitsISJ_E10value_typeEPNSP_ISK_E10value_typeEPSL_NS1_7vsmem_tEENKUlT_SJ_SK_SL_E_clISE_PmSF_SF_EESI_SY_SJ_SK_SL_EUlSY_E1_NS1_11comp_targetILNS1_3genE0ELNS1_11target_archE4294967295ELNS1_3gpuE0ELNS1_3repE0EEENS1_36merge_oddeven_config_static_selectorELNS0_4arch9wavefront6targetE0EEEvSK_.has_recursion, 0
	.set _ZN7rocprim17ROCPRIM_400000_NS6detail17trampoline_kernelINS0_14default_configENS1_38merge_sort_block_merge_config_selectorImNS0_10empty_typeEEEZZNS1_27merge_sort_block_merge_implIS3_N6thrust23THRUST_200600_302600_NS6detail15normal_iteratorINS9_10device_ptrImEEEEPS5_m11less_div_10ImEEE10hipError_tT0_T1_T2_jT3_P12ihipStream_tbPNSt15iterator_traitsISJ_E10value_typeEPNSP_ISK_E10value_typeEPSL_NS1_7vsmem_tEENKUlT_SJ_SK_SL_E_clISE_PmSF_SF_EESI_SY_SJ_SK_SL_EUlSY_E1_NS1_11comp_targetILNS1_3genE0ELNS1_11target_archE4294967295ELNS1_3gpuE0ELNS1_3repE0EEENS1_36merge_oddeven_config_static_selectorELNS0_4arch9wavefront6targetE0EEEvSK_.has_indirect_call, 0
	.section	.AMDGPU.csdata,"",@progbits
; Kernel info:
; codeLenInByte = 0
; TotalNumSgprs: 0
; NumVgprs: 0
; ScratchSize: 0
; MemoryBound: 0
; FloatMode: 240
; IeeeMode: 1
; LDSByteSize: 0 bytes/workgroup (compile time only)
; SGPRBlocks: 0
; VGPRBlocks: 0
; NumSGPRsForWavesPerEU: 1
; NumVGPRsForWavesPerEU: 1
; Occupancy: 16
; WaveLimiterHint : 0
; COMPUTE_PGM_RSRC2:SCRATCH_EN: 0
; COMPUTE_PGM_RSRC2:USER_SGPR: 6
; COMPUTE_PGM_RSRC2:TRAP_HANDLER: 0
; COMPUTE_PGM_RSRC2:TGID_X_EN: 1
; COMPUTE_PGM_RSRC2:TGID_Y_EN: 0
; COMPUTE_PGM_RSRC2:TGID_Z_EN: 0
; COMPUTE_PGM_RSRC2:TIDIG_COMP_CNT: 0
	.section	.text._ZN7rocprim17ROCPRIM_400000_NS6detail17trampoline_kernelINS0_14default_configENS1_38merge_sort_block_merge_config_selectorImNS0_10empty_typeEEEZZNS1_27merge_sort_block_merge_implIS3_N6thrust23THRUST_200600_302600_NS6detail15normal_iteratorINS9_10device_ptrImEEEEPS5_m11less_div_10ImEEE10hipError_tT0_T1_T2_jT3_P12ihipStream_tbPNSt15iterator_traitsISJ_E10value_typeEPNSP_ISK_E10value_typeEPSL_NS1_7vsmem_tEENKUlT_SJ_SK_SL_E_clISE_PmSF_SF_EESI_SY_SJ_SK_SL_EUlSY_E1_NS1_11comp_targetILNS1_3genE10ELNS1_11target_archE1201ELNS1_3gpuE5ELNS1_3repE0EEENS1_36merge_oddeven_config_static_selectorELNS0_4arch9wavefront6targetE0EEEvSK_,"axG",@progbits,_ZN7rocprim17ROCPRIM_400000_NS6detail17trampoline_kernelINS0_14default_configENS1_38merge_sort_block_merge_config_selectorImNS0_10empty_typeEEEZZNS1_27merge_sort_block_merge_implIS3_N6thrust23THRUST_200600_302600_NS6detail15normal_iteratorINS9_10device_ptrImEEEEPS5_m11less_div_10ImEEE10hipError_tT0_T1_T2_jT3_P12ihipStream_tbPNSt15iterator_traitsISJ_E10value_typeEPNSP_ISK_E10value_typeEPSL_NS1_7vsmem_tEENKUlT_SJ_SK_SL_E_clISE_PmSF_SF_EESI_SY_SJ_SK_SL_EUlSY_E1_NS1_11comp_targetILNS1_3genE10ELNS1_11target_archE1201ELNS1_3gpuE5ELNS1_3repE0EEENS1_36merge_oddeven_config_static_selectorELNS0_4arch9wavefront6targetE0EEEvSK_,comdat
	.protected	_ZN7rocprim17ROCPRIM_400000_NS6detail17trampoline_kernelINS0_14default_configENS1_38merge_sort_block_merge_config_selectorImNS0_10empty_typeEEEZZNS1_27merge_sort_block_merge_implIS3_N6thrust23THRUST_200600_302600_NS6detail15normal_iteratorINS9_10device_ptrImEEEEPS5_m11less_div_10ImEEE10hipError_tT0_T1_T2_jT3_P12ihipStream_tbPNSt15iterator_traitsISJ_E10value_typeEPNSP_ISK_E10value_typeEPSL_NS1_7vsmem_tEENKUlT_SJ_SK_SL_E_clISE_PmSF_SF_EESI_SY_SJ_SK_SL_EUlSY_E1_NS1_11comp_targetILNS1_3genE10ELNS1_11target_archE1201ELNS1_3gpuE5ELNS1_3repE0EEENS1_36merge_oddeven_config_static_selectorELNS0_4arch9wavefront6targetE0EEEvSK_ ; -- Begin function _ZN7rocprim17ROCPRIM_400000_NS6detail17trampoline_kernelINS0_14default_configENS1_38merge_sort_block_merge_config_selectorImNS0_10empty_typeEEEZZNS1_27merge_sort_block_merge_implIS3_N6thrust23THRUST_200600_302600_NS6detail15normal_iteratorINS9_10device_ptrImEEEEPS5_m11less_div_10ImEEE10hipError_tT0_T1_T2_jT3_P12ihipStream_tbPNSt15iterator_traitsISJ_E10value_typeEPNSP_ISK_E10value_typeEPSL_NS1_7vsmem_tEENKUlT_SJ_SK_SL_E_clISE_PmSF_SF_EESI_SY_SJ_SK_SL_EUlSY_E1_NS1_11comp_targetILNS1_3genE10ELNS1_11target_archE1201ELNS1_3gpuE5ELNS1_3repE0EEENS1_36merge_oddeven_config_static_selectorELNS0_4arch9wavefront6targetE0EEEvSK_
	.globl	_ZN7rocprim17ROCPRIM_400000_NS6detail17trampoline_kernelINS0_14default_configENS1_38merge_sort_block_merge_config_selectorImNS0_10empty_typeEEEZZNS1_27merge_sort_block_merge_implIS3_N6thrust23THRUST_200600_302600_NS6detail15normal_iteratorINS9_10device_ptrImEEEEPS5_m11less_div_10ImEEE10hipError_tT0_T1_T2_jT3_P12ihipStream_tbPNSt15iterator_traitsISJ_E10value_typeEPNSP_ISK_E10value_typeEPSL_NS1_7vsmem_tEENKUlT_SJ_SK_SL_E_clISE_PmSF_SF_EESI_SY_SJ_SK_SL_EUlSY_E1_NS1_11comp_targetILNS1_3genE10ELNS1_11target_archE1201ELNS1_3gpuE5ELNS1_3repE0EEENS1_36merge_oddeven_config_static_selectorELNS0_4arch9wavefront6targetE0EEEvSK_
	.p2align	8
	.type	_ZN7rocprim17ROCPRIM_400000_NS6detail17trampoline_kernelINS0_14default_configENS1_38merge_sort_block_merge_config_selectorImNS0_10empty_typeEEEZZNS1_27merge_sort_block_merge_implIS3_N6thrust23THRUST_200600_302600_NS6detail15normal_iteratorINS9_10device_ptrImEEEEPS5_m11less_div_10ImEEE10hipError_tT0_T1_T2_jT3_P12ihipStream_tbPNSt15iterator_traitsISJ_E10value_typeEPNSP_ISK_E10value_typeEPSL_NS1_7vsmem_tEENKUlT_SJ_SK_SL_E_clISE_PmSF_SF_EESI_SY_SJ_SK_SL_EUlSY_E1_NS1_11comp_targetILNS1_3genE10ELNS1_11target_archE1201ELNS1_3gpuE5ELNS1_3repE0EEENS1_36merge_oddeven_config_static_selectorELNS0_4arch9wavefront6targetE0EEEvSK_,@function
_ZN7rocprim17ROCPRIM_400000_NS6detail17trampoline_kernelINS0_14default_configENS1_38merge_sort_block_merge_config_selectorImNS0_10empty_typeEEEZZNS1_27merge_sort_block_merge_implIS3_N6thrust23THRUST_200600_302600_NS6detail15normal_iteratorINS9_10device_ptrImEEEEPS5_m11less_div_10ImEEE10hipError_tT0_T1_T2_jT3_P12ihipStream_tbPNSt15iterator_traitsISJ_E10value_typeEPNSP_ISK_E10value_typeEPSL_NS1_7vsmem_tEENKUlT_SJ_SK_SL_E_clISE_PmSF_SF_EESI_SY_SJ_SK_SL_EUlSY_E1_NS1_11comp_targetILNS1_3genE10ELNS1_11target_archE1201ELNS1_3gpuE5ELNS1_3repE0EEENS1_36merge_oddeven_config_static_selectorELNS0_4arch9wavefront6targetE0EEEvSK_: ; @_ZN7rocprim17ROCPRIM_400000_NS6detail17trampoline_kernelINS0_14default_configENS1_38merge_sort_block_merge_config_selectorImNS0_10empty_typeEEEZZNS1_27merge_sort_block_merge_implIS3_N6thrust23THRUST_200600_302600_NS6detail15normal_iteratorINS9_10device_ptrImEEEEPS5_m11less_div_10ImEEE10hipError_tT0_T1_T2_jT3_P12ihipStream_tbPNSt15iterator_traitsISJ_E10value_typeEPNSP_ISK_E10value_typeEPSL_NS1_7vsmem_tEENKUlT_SJ_SK_SL_E_clISE_PmSF_SF_EESI_SY_SJ_SK_SL_EUlSY_E1_NS1_11comp_targetILNS1_3genE10ELNS1_11target_archE1201ELNS1_3gpuE5ELNS1_3repE0EEENS1_36merge_oddeven_config_static_selectorELNS0_4arch9wavefront6targetE0EEEvSK_
; %bb.0:
	.section	.rodata,"a",@progbits
	.p2align	6, 0x0
	.amdhsa_kernel _ZN7rocprim17ROCPRIM_400000_NS6detail17trampoline_kernelINS0_14default_configENS1_38merge_sort_block_merge_config_selectorImNS0_10empty_typeEEEZZNS1_27merge_sort_block_merge_implIS3_N6thrust23THRUST_200600_302600_NS6detail15normal_iteratorINS9_10device_ptrImEEEEPS5_m11less_div_10ImEEE10hipError_tT0_T1_T2_jT3_P12ihipStream_tbPNSt15iterator_traitsISJ_E10value_typeEPNSP_ISK_E10value_typeEPSL_NS1_7vsmem_tEENKUlT_SJ_SK_SL_E_clISE_PmSF_SF_EESI_SY_SJ_SK_SL_EUlSY_E1_NS1_11comp_targetILNS1_3genE10ELNS1_11target_archE1201ELNS1_3gpuE5ELNS1_3repE0EEENS1_36merge_oddeven_config_static_selectorELNS0_4arch9wavefront6targetE0EEEvSK_
		.amdhsa_group_segment_fixed_size 0
		.amdhsa_private_segment_fixed_size 0
		.amdhsa_kernarg_size 56
		.amdhsa_user_sgpr_count 6
		.amdhsa_user_sgpr_private_segment_buffer 1
		.amdhsa_user_sgpr_dispatch_ptr 0
		.amdhsa_user_sgpr_queue_ptr 0
		.amdhsa_user_sgpr_kernarg_segment_ptr 1
		.amdhsa_user_sgpr_dispatch_id 0
		.amdhsa_user_sgpr_flat_scratch_init 0
		.amdhsa_user_sgpr_private_segment_size 0
		.amdhsa_wavefront_size32 1
		.amdhsa_uses_dynamic_stack 0
		.amdhsa_system_sgpr_private_segment_wavefront_offset 0
		.amdhsa_system_sgpr_workgroup_id_x 1
		.amdhsa_system_sgpr_workgroup_id_y 0
		.amdhsa_system_sgpr_workgroup_id_z 0
		.amdhsa_system_sgpr_workgroup_info 0
		.amdhsa_system_vgpr_workitem_id 0
		.amdhsa_next_free_vgpr 1
		.amdhsa_next_free_sgpr 1
		.amdhsa_reserve_vcc 0
		.amdhsa_reserve_flat_scratch 0
		.amdhsa_float_round_mode_32 0
		.amdhsa_float_round_mode_16_64 0
		.amdhsa_float_denorm_mode_32 3
		.amdhsa_float_denorm_mode_16_64 3
		.amdhsa_dx10_clamp 1
		.amdhsa_ieee_mode 1
		.amdhsa_fp16_overflow 0
		.amdhsa_workgroup_processor_mode 1
		.amdhsa_memory_ordered 1
		.amdhsa_forward_progress 1
		.amdhsa_shared_vgpr_count 0
		.amdhsa_exception_fp_ieee_invalid_op 0
		.amdhsa_exception_fp_denorm_src 0
		.amdhsa_exception_fp_ieee_div_zero 0
		.amdhsa_exception_fp_ieee_overflow 0
		.amdhsa_exception_fp_ieee_underflow 0
		.amdhsa_exception_fp_ieee_inexact 0
		.amdhsa_exception_int_div_zero 0
	.end_amdhsa_kernel
	.section	.text._ZN7rocprim17ROCPRIM_400000_NS6detail17trampoline_kernelINS0_14default_configENS1_38merge_sort_block_merge_config_selectorImNS0_10empty_typeEEEZZNS1_27merge_sort_block_merge_implIS3_N6thrust23THRUST_200600_302600_NS6detail15normal_iteratorINS9_10device_ptrImEEEEPS5_m11less_div_10ImEEE10hipError_tT0_T1_T2_jT3_P12ihipStream_tbPNSt15iterator_traitsISJ_E10value_typeEPNSP_ISK_E10value_typeEPSL_NS1_7vsmem_tEENKUlT_SJ_SK_SL_E_clISE_PmSF_SF_EESI_SY_SJ_SK_SL_EUlSY_E1_NS1_11comp_targetILNS1_3genE10ELNS1_11target_archE1201ELNS1_3gpuE5ELNS1_3repE0EEENS1_36merge_oddeven_config_static_selectorELNS0_4arch9wavefront6targetE0EEEvSK_,"axG",@progbits,_ZN7rocprim17ROCPRIM_400000_NS6detail17trampoline_kernelINS0_14default_configENS1_38merge_sort_block_merge_config_selectorImNS0_10empty_typeEEEZZNS1_27merge_sort_block_merge_implIS3_N6thrust23THRUST_200600_302600_NS6detail15normal_iteratorINS9_10device_ptrImEEEEPS5_m11less_div_10ImEEE10hipError_tT0_T1_T2_jT3_P12ihipStream_tbPNSt15iterator_traitsISJ_E10value_typeEPNSP_ISK_E10value_typeEPSL_NS1_7vsmem_tEENKUlT_SJ_SK_SL_E_clISE_PmSF_SF_EESI_SY_SJ_SK_SL_EUlSY_E1_NS1_11comp_targetILNS1_3genE10ELNS1_11target_archE1201ELNS1_3gpuE5ELNS1_3repE0EEENS1_36merge_oddeven_config_static_selectorELNS0_4arch9wavefront6targetE0EEEvSK_,comdat
.Lfunc_end658:
	.size	_ZN7rocprim17ROCPRIM_400000_NS6detail17trampoline_kernelINS0_14default_configENS1_38merge_sort_block_merge_config_selectorImNS0_10empty_typeEEEZZNS1_27merge_sort_block_merge_implIS3_N6thrust23THRUST_200600_302600_NS6detail15normal_iteratorINS9_10device_ptrImEEEEPS5_m11less_div_10ImEEE10hipError_tT0_T1_T2_jT3_P12ihipStream_tbPNSt15iterator_traitsISJ_E10value_typeEPNSP_ISK_E10value_typeEPSL_NS1_7vsmem_tEENKUlT_SJ_SK_SL_E_clISE_PmSF_SF_EESI_SY_SJ_SK_SL_EUlSY_E1_NS1_11comp_targetILNS1_3genE10ELNS1_11target_archE1201ELNS1_3gpuE5ELNS1_3repE0EEENS1_36merge_oddeven_config_static_selectorELNS0_4arch9wavefront6targetE0EEEvSK_, .Lfunc_end658-_ZN7rocprim17ROCPRIM_400000_NS6detail17trampoline_kernelINS0_14default_configENS1_38merge_sort_block_merge_config_selectorImNS0_10empty_typeEEEZZNS1_27merge_sort_block_merge_implIS3_N6thrust23THRUST_200600_302600_NS6detail15normal_iteratorINS9_10device_ptrImEEEEPS5_m11less_div_10ImEEE10hipError_tT0_T1_T2_jT3_P12ihipStream_tbPNSt15iterator_traitsISJ_E10value_typeEPNSP_ISK_E10value_typeEPSL_NS1_7vsmem_tEENKUlT_SJ_SK_SL_E_clISE_PmSF_SF_EESI_SY_SJ_SK_SL_EUlSY_E1_NS1_11comp_targetILNS1_3genE10ELNS1_11target_archE1201ELNS1_3gpuE5ELNS1_3repE0EEENS1_36merge_oddeven_config_static_selectorELNS0_4arch9wavefront6targetE0EEEvSK_
                                        ; -- End function
	.set _ZN7rocprim17ROCPRIM_400000_NS6detail17trampoline_kernelINS0_14default_configENS1_38merge_sort_block_merge_config_selectorImNS0_10empty_typeEEEZZNS1_27merge_sort_block_merge_implIS3_N6thrust23THRUST_200600_302600_NS6detail15normal_iteratorINS9_10device_ptrImEEEEPS5_m11less_div_10ImEEE10hipError_tT0_T1_T2_jT3_P12ihipStream_tbPNSt15iterator_traitsISJ_E10value_typeEPNSP_ISK_E10value_typeEPSL_NS1_7vsmem_tEENKUlT_SJ_SK_SL_E_clISE_PmSF_SF_EESI_SY_SJ_SK_SL_EUlSY_E1_NS1_11comp_targetILNS1_3genE10ELNS1_11target_archE1201ELNS1_3gpuE5ELNS1_3repE0EEENS1_36merge_oddeven_config_static_selectorELNS0_4arch9wavefront6targetE0EEEvSK_.num_vgpr, 0
	.set _ZN7rocprim17ROCPRIM_400000_NS6detail17trampoline_kernelINS0_14default_configENS1_38merge_sort_block_merge_config_selectorImNS0_10empty_typeEEEZZNS1_27merge_sort_block_merge_implIS3_N6thrust23THRUST_200600_302600_NS6detail15normal_iteratorINS9_10device_ptrImEEEEPS5_m11less_div_10ImEEE10hipError_tT0_T1_T2_jT3_P12ihipStream_tbPNSt15iterator_traitsISJ_E10value_typeEPNSP_ISK_E10value_typeEPSL_NS1_7vsmem_tEENKUlT_SJ_SK_SL_E_clISE_PmSF_SF_EESI_SY_SJ_SK_SL_EUlSY_E1_NS1_11comp_targetILNS1_3genE10ELNS1_11target_archE1201ELNS1_3gpuE5ELNS1_3repE0EEENS1_36merge_oddeven_config_static_selectorELNS0_4arch9wavefront6targetE0EEEvSK_.num_agpr, 0
	.set _ZN7rocprim17ROCPRIM_400000_NS6detail17trampoline_kernelINS0_14default_configENS1_38merge_sort_block_merge_config_selectorImNS0_10empty_typeEEEZZNS1_27merge_sort_block_merge_implIS3_N6thrust23THRUST_200600_302600_NS6detail15normal_iteratorINS9_10device_ptrImEEEEPS5_m11less_div_10ImEEE10hipError_tT0_T1_T2_jT3_P12ihipStream_tbPNSt15iterator_traitsISJ_E10value_typeEPNSP_ISK_E10value_typeEPSL_NS1_7vsmem_tEENKUlT_SJ_SK_SL_E_clISE_PmSF_SF_EESI_SY_SJ_SK_SL_EUlSY_E1_NS1_11comp_targetILNS1_3genE10ELNS1_11target_archE1201ELNS1_3gpuE5ELNS1_3repE0EEENS1_36merge_oddeven_config_static_selectorELNS0_4arch9wavefront6targetE0EEEvSK_.numbered_sgpr, 0
	.set _ZN7rocprim17ROCPRIM_400000_NS6detail17trampoline_kernelINS0_14default_configENS1_38merge_sort_block_merge_config_selectorImNS0_10empty_typeEEEZZNS1_27merge_sort_block_merge_implIS3_N6thrust23THRUST_200600_302600_NS6detail15normal_iteratorINS9_10device_ptrImEEEEPS5_m11less_div_10ImEEE10hipError_tT0_T1_T2_jT3_P12ihipStream_tbPNSt15iterator_traitsISJ_E10value_typeEPNSP_ISK_E10value_typeEPSL_NS1_7vsmem_tEENKUlT_SJ_SK_SL_E_clISE_PmSF_SF_EESI_SY_SJ_SK_SL_EUlSY_E1_NS1_11comp_targetILNS1_3genE10ELNS1_11target_archE1201ELNS1_3gpuE5ELNS1_3repE0EEENS1_36merge_oddeven_config_static_selectorELNS0_4arch9wavefront6targetE0EEEvSK_.num_named_barrier, 0
	.set _ZN7rocprim17ROCPRIM_400000_NS6detail17trampoline_kernelINS0_14default_configENS1_38merge_sort_block_merge_config_selectorImNS0_10empty_typeEEEZZNS1_27merge_sort_block_merge_implIS3_N6thrust23THRUST_200600_302600_NS6detail15normal_iteratorINS9_10device_ptrImEEEEPS5_m11less_div_10ImEEE10hipError_tT0_T1_T2_jT3_P12ihipStream_tbPNSt15iterator_traitsISJ_E10value_typeEPNSP_ISK_E10value_typeEPSL_NS1_7vsmem_tEENKUlT_SJ_SK_SL_E_clISE_PmSF_SF_EESI_SY_SJ_SK_SL_EUlSY_E1_NS1_11comp_targetILNS1_3genE10ELNS1_11target_archE1201ELNS1_3gpuE5ELNS1_3repE0EEENS1_36merge_oddeven_config_static_selectorELNS0_4arch9wavefront6targetE0EEEvSK_.private_seg_size, 0
	.set _ZN7rocprim17ROCPRIM_400000_NS6detail17trampoline_kernelINS0_14default_configENS1_38merge_sort_block_merge_config_selectorImNS0_10empty_typeEEEZZNS1_27merge_sort_block_merge_implIS3_N6thrust23THRUST_200600_302600_NS6detail15normal_iteratorINS9_10device_ptrImEEEEPS5_m11less_div_10ImEEE10hipError_tT0_T1_T2_jT3_P12ihipStream_tbPNSt15iterator_traitsISJ_E10value_typeEPNSP_ISK_E10value_typeEPSL_NS1_7vsmem_tEENKUlT_SJ_SK_SL_E_clISE_PmSF_SF_EESI_SY_SJ_SK_SL_EUlSY_E1_NS1_11comp_targetILNS1_3genE10ELNS1_11target_archE1201ELNS1_3gpuE5ELNS1_3repE0EEENS1_36merge_oddeven_config_static_selectorELNS0_4arch9wavefront6targetE0EEEvSK_.uses_vcc, 0
	.set _ZN7rocprim17ROCPRIM_400000_NS6detail17trampoline_kernelINS0_14default_configENS1_38merge_sort_block_merge_config_selectorImNS0_10empty_typeEEEZZNS1_27merge_sort_block_merge_implIS3_N6thrust23THRUST_200600_302600_NS6detail15normal_iteratorINS9_10device_ptrImEEEEPS5_m11less_div_10ImEEE10hipError_tT0_T1_T2_jT3_P12ihipStream_tbPNSt15iterator_traitsISJ_E10value_typeEPNSP_ISK_E10value_typeEPSL_NS1_7vsmem_tEENKUlT_SJ_SK_SL_E_clISE_PmSF_SF_EESI_SY_SJ_SK_SL_EUlSY_E1_NS1_11comp_targetILNS1_3genE10ELNS1_11target_archE1201ELNS1_3gpuE5ELNS1_3repE0EEENS1_36merge_oddeven_config_static_selectorELNS0_4arch9wavefront6targetE0EEEvSK_.uses_flat_scratch, 0
	.set _ZN7rocprim17ROCPRIM_400000_NS6detail17trampoline_kernelINS0_14default_configENS1_38merge_sort_block_merge_config_selectorImNS0_10empty_typeEEEZZNS1_27merge_sort_block_merge_implIS3_N6thrust23THRUST_200600_302600_NS6detail15normal_iteratorINS9_10device_ptrImEEEEPS5_m11less_div_10ImEEE10hipError_tT0_T1_T2_jT3_P12ihipStream_tbPNSt15iterator_traitsISJ_E10value_typeEPNSP_ISK_E10value_typeEPSL_NS1_7vsmem_tEENKUlT_SJ_SK_SL_E_clISE_PmSF_SF_EESI_SY_SJ_SK_SL_EUlSY_E1_NS1_11comp_targetILNS1_3genE10ELNS1_11target_archE1201ELNS1_3gpuE5ELNS1_3repE0EEENS1_36merge_oddeven_config_static_selectorELNS0_4arch9wavefront6targetE0EEEvSK_.has_dyn_sized_stack, 0
	.set _ZN7rocprim17ROCPRIM_400000_NS6detail17trampoline_kernelINS0_14default_configENS1_38merge_sort_block_merge_config_selectorImNS0_10empty_typeEEEZZNS1_27merge_sort_block_merge_implIS3_N6thrust23THRUST_200600_302600_NS6detail15normal_iteratorINS9_10device_ptrImEEEEPS5_m11less_div_10ImEEE10hipError_tT0_T1_T2_jT3_P12ihipStream_tbPNSt15iterator_traitsISJ_E10value_typeEPNSP_ISK_E10value_typeEPSL_NS1_7vsmem_tEENKUlT_SJ_SK_SL_E_clISE_PmSF_SF_EESI_SY_SJ_SK_SL_EUlSY_E1_NS1_11comp_targetILNS1_3genE10ELNS1_11target_archE1201ELNS1_3gpuE5ELNS1_3repE0EEENS1_36merge_oddeven_config_static_selectorELNS0_4arch9wavefront6targetE0EEEvSK_.has_recursion, 0
	.set _ZN7rocprim17ROCPRIM_400000_NS6detail17trampoline_kernelINS0_14default_configENS1_38merge_sort_block_merge_config_selectorImNS0_10empty_typeEEEZZNS1_27merge_sort_block_merge_implIS3_N6thrust23THRUST_200600_302600_NS6detail15normal_iteratorINS9_10device_ptrImEEEEPS5_m11less_div_10ImEEE10hipError_tT0_T1_T2_jT3_P12ihipStream_tbPNSt15iterator_traitsISJ_E10value_typeEPNSP_ISK_E10value_typeEPSL_NS1_7vsmem_tEENKUlT_SJ_SK_SL_E_clISE_PmSF_SF_EESI_SY_SJ_SK_SL_EUlSY_E1_NS1_11comp_targetILNS1_3genE10ELNS1_11target_archE1201ELNS1_3gpuE5ELNS1_3repE0EEENS1_36merge_oddeven_config_static_selectorELNS0_4arch9wavefront6targetE0EEEvSK_.has_indirect_call, 0
	.section	.AMDGPU.csdata,"",@progbits
; Kernel info:
; codeLenInByte = 0
; TotalNumSgprs: 0
; NumVgprs: 0
; ScratchSize: 0
; MemoryBound: 0
; FloatMode: 240
; IeeeMode: 1
; LDSByteSize: 0 bytes/workgroup (compile time only)
; SGPRBlocks: 0
; VGPRBlocks: 0
; NumSGPRsForWavesPerEU: 1
; NumVGPRsForWavesPerEU: 1
; Occupancy: 16
; WaveLimiterHint : 0
; COMPUTE_PGM_RSRC2:SCRATCH_EN: 0
; COMPUTE_PGM_RSRC2:USER_SGPR: 6
; COMPUTE_PGM_RSRC2:TRAP_HANDLER: 0
; COMPUTE_PGM_RSRC2:TGID_X_EN: 1
; COMPUTE_PGM_RSRC2:TGID_Y_EN: 0
; COMPUTE_PGM_RSRC2:TGID_Z_EN: 0
; COMPUTE_PGM_RSRC2:TIDIG_COMP_CNT: 0
	.section	.text._ZN7rocprim17ROCPRIM_400000_NS6detail17trampoline_kernelINS0_14default_configENS1_38merge_sort_block_merge_config_selectorImNS0_10empty_typeEEEZZNS1_27merge_sort_block_merge_implIS3_N6thrust23THRUST_200600_302600_NS6detail15normal_iteratorINS9_10device_ptrImEEEEPS5_m11less_div_10ImEEE10hipError_tT0_T1_T2_jT3_P12ihipStream_tbPNSt15iterator_traitsISJ_E10value_typeEPNSP_ISK_E10value_typeEPSL_NS1_7vsmem_tEENKUlT_SJ_SK_SL_E_clISE_PmSF_SF_EESI_SY_SJ_SK_SL_EUlSY_E1_NS1_11comp_targetILNS1_3genE5ELNS1_11target_archE942ELNS1_3gpuE9ELNS1_3repE0EEENS1_36merge_oddeven_config_static_selectorELNS0_4arch9wavefront6targetE0EEEvSK_,"axG",@progbits,_ZN7rocprim17ROCPRIM_400000_NS6detail17trampoline_kernelINS0_14default_configENS1_38merge_sort_block_merge_config_selectorImNS0_10empty_typeEEEZZNS1_27merge_sort_block_merge_implIS3_N6thrust23THRUST_200600_302600_NS6detail15normal_iteratorINS9_10device_ptrImEEEEPS5_m11less_div_10ImEEE10hipError_tT0_T1_T2_jT3_P12ihipStream_tbPNSt15iterator_traitsISJ_E10value_typeEPNSP_ISK_E10value_typeEPSL_NS1_7vsmem_tEENKUlT_SJ_SK_SL_E_clISE_PmSF_SF_EESI_SY_SJ_SK_SL_EUlSY_E1_NS1_11comp_targetILNS1_3genE5ELNS1_11target_archE942ELNS1_3gpuE9ELNS1_3repE0EEENS1_36merge_oddeven_config_static_selectorELNS0_4arch9wavefront6targetE0EEEvSK_,comdat
	.protected	_ZN7rocprim17ROCPRIM_400000_NS6detail17trampoline_kernelINS0_14default_configENS1_38merge_sort_block_merge_config_selectorImNS0_10empty_typeEEEZZNS1_27merge_sort_block_merge_implIS3_N6thrust23THRUST_200600_302600_NS6detail15normal_iteratorINS9_10device_ptrImEEEEPS5_m11less_div_10ImEEE10hipError_tT0_T1_T2_jT3_P12ihipStream_tbPNSt15iterator_traitsISJ_E10value_typeEPNSP_ISK_E10value_typeEPSL_NS1_7vsmem_tEENKUlT_SJ_SK_SL_E_clISE_PmSF_SF_EESI_SY_SJ_SK_SL_EUlSY_E1_NS1_11comp_targetILNS1_3genE5ELNS1_11target_archE942ELNS1_3gpuE9ELNS1_3repE0EEENS1_36merge_oddeven_config_static_selectorELNS0_4arch9wavefront6targetE0EEEvSK_ ; -- Begin function _ZN7rocprim17ROCPRIM_400000_NS6detail17trampoline_kernelINS0_14default_configENS1_38merge_sort_block_merge_config_selectorImNS0_10empty_typeEEEZZNS1_27merge_sort_block_merge_implIS3_N6thrust23THRUST_200600_302600_NS6detail15normal_iteratorINS9_10device_ptrImEEEEPS5_m11less_div_10ImEEE10hipError_tT0_T1_T2_jT3_P12ihipStream_tbPNSt15iterator_traitsISJ_E10value_typeEPNSP_ISK_E10value_typeEPSL_NS1_7vsmem_tEENKUlT_SJ_SK_SL_E_clISE_PmSF_SF_EESI_SY_SJ_SK_SL_EUlSY_E1_NS1_11comp_targetILNS1_3genE5ELNS1_11target_archE942ELNS1_3gpuE9ELNS1_3repE0EEENS1_36merge_oddeven_config_static_selectorELNS0_4arch9wavefront6targetE0EEEvSK_
	.globl	_ZN7rocprim17ROCPRIM_400000_NS6detail17trampoline_kernelINS0_14default_configENS1_38merge_sort_block_merge_config_selectorImNS0_10empty_typeEEEZZNS1_27merge_sort_block_merge_implIS3_N6thrust23THRUST_200600_302600_NS6detail15normal_iteratorINS9_10device_ptrImEEEEPS5_m11less_div_10ImEEE10hipError_tT0_T1_T2_jT3_P12ihipStream_tbPNSt15iterator_traitsISJ_E10value_typeEPNSP_ISK_E10value_typeEPSL_NS1_7vsmem_tEENKUlT_SJ_SK_SL_E_clISE_PmSF_SF_EESI_SY_SJ_SK_SL_EUlSY_E1_NS1_11comp_targetILNS1_3genE5ELNS1_11target_archE942ELNS1_3gpuE9ELNS1_3repE0EEENS1_36merge_oddeven_config_static_selectorELNS0_4arch9wavefront6targetE0EEEvSK_
	.p2align	8
	.type	_ZN7rocprim17ROCPRIM_400000_NS6detail17trampoline_kernelINS0_14default_configENS1_38merge_sort_block_merge_config_selectorImNS0_10empty_typeEEEZZNS1_27merge_sort_block_merge_implIS3_N6thrust23THRUST_200600_302600_NS6detail15normal_iteratorINS9_10device_ptrImEEEEPS5_m11less_div_10ImEEE10hipError_tT0_T1_T2_jT3_P12ihipStream_tbPNSt15iterator_traitsISJ_E10value_typeEPNSP_ISK_E10value_typeEPSL_NS1_7vsmem_tEENKUlT_SJ_SK_SL_E_clISE_PmSF_SF_EESI_SY_SJ_SK_SL_EUlSY_E1_NS1_11comp_targetILNS1_3genE5ELNS1_11target_archE942ELNS1_3gpuE9ELNS1_3repE0EEENS1_36merge_oddeven_config_static_selectorELNS0_4arch9wavefront6targetE0EEEvSK_,@function
_ZN7rocprim17ROCPRIM_400000_NS6detail17trampoline_kernelINS0_14default_configENS1_38merge_sort_block_merge_config_selectorImNS0_10empty_typeEEEZZNS1_27merge_sort_block_merge_implIS3_N6thrust23THRUST_200600_302600_NS6detail15normal_iteratorINS9_10device_ptrImEEEEPS5_m11less_div_10ImEEE10hipError_tT0_T1_T2_jT3_P12ihipStream_tbPNSt15iterator_traitsISJ_E10value_typeEPNSP_ISK_E10value_typeEPSL_NS1_7vsmem_tEENKUlT_SJ_SK_SL_E_clISE_PmSF_SF_EESI_SY_SJ_SK_SL_EUlSY_E1_NS1_11comp_targetILNS1_3genE5ELNS1_11target_archE942ELNS1_3gpuE9ELNS1_3repE0EEENS1_36merge_oddeven_config_static_selectorELNS0_4arch9wavefront6targetE0EEEvSK_: ; @_ZN7rocprim17ROCPRIM_400000_NS6detail17trampoline_kernelINS0_14default_configENS1_38merge_sort_block_merge_config_selectorImNS0_10empty_typeEEEZZNS1_27merge_sort_block_merge_implIS3_N6thrust23THRUST_200600_302600_NS6detail15normal_iteratorINS9_10device_ptrImEEEEPS5_m11less_div_10ImEEE10hipError_tT0_T1_T2_jT3_P12ihipStream_tbPNSt15iterator_traitsISJ_E10value_typeEPNSP_ISK_E10value_typeEPSL_NS1_7vsmem_tEENKUlT_SJ_SK_SL_E_clISE_PmSF_SF_EESI_SY_SJ_SK_SL_EUlSY_E1_NS1_11comp_targetILNS1_3genE5ELNS1_11target_archE942ELNS1_3gpuE9ELNS1_3repE0EEENS1_36merge_oddeven_config_static_selectorELNS0_4arch9wavefront6targetE0EEEvSK_
; %bb.0:
	.section	.rodata,"a",@progbits
	.p2align	6, 0x0
	.amdhsa_kernel _ZN7rocprim17ROCPRIM_400000_NS6detail17trampoline_kernelINS0_14default_configENS1_38merge_sort_block_merge_config_selectorImNS0_10empty_typeEEEZZNS1_27merge_sort_block_merge_implIS3_N6thrust23THRUST_200600_302600_NS6detail15normal_iteratorINS9_10device_ptrImEEEEPS5_m11less_div_10ImEEE10hipError_tT0_T1_T2_jT3_P12ihipStream_tbPNSt15iterator_traitsISJ_E10value_typeEPNSP_ISK_E10value_typeEPSL_NS1_7vsmem_tEENKUlT_SJ_SK_SL_E_clISE_PmSF_SF_EESI_SY_SJ_SK_SL_EUlSY_E1_NS1_11comp_targetILNS1_3genE5ELNS1_11target_archE942ELNS1_3gpuE9ELNS1_3repE0EEENS1_36merge_oddeven_config_static_selectorELNS0_4arch9wavefront6targetE0EEEvSK_
		.amdhsa_group_segment_fixed_size 0
		.amdhsa_private_segment_fixed_size 0
		.amdhsa_kernarg_size 56
		.amdhsa_user_sgpr_count 6
		.amdhsa_user_sgpr_private_segment_buffer 1
		.amdhsa_user_sgpr_dispatch_ptr 0
		.amdhsa_user_sgpr_queue_ptr 0
		.amdhsa_user_sgpr_kernarg_segment_ptr 1
		.amdhsa_user_sgpr_dispatch_id 0
		.amdhsa_user_sgpr_flat_scratch_init 0
		.amdhsa_user_sgpr_private_segment_size 0
		.amdhsa_wavefront_size32 1
		.amdhsa_uses_dynamic_stack 0
		.amdhsa_system_sgpr_private_segment_wavefront_offset 0
		.amdhsa_system_sgpr_workgroup_id_x 1
		.amdhsa_system_sgpr_workgroup_id_y 0
		.amdhsa_system_sgpr_workgroup_id_z 0
		.amdhsa_system_sgpr_workgroup_info 0
		.amdhsa_system_vgpr_workitem_id 0
		.amdhsa_next_free_vgpr 1
		.amdhsa_next_free_sgpr 1
		.amdhsa_reserve_vcc 0
		.amdhsa_reserve_flat_scratch 0
		.amdhsa_float_round_mode_32 0
		.amdhsa_float_round_mode_16_64 0
		.amdhsa_float_denorm_mode_32 3
		.amdhsa_float_denorm_mode_16_64 3
		.amdhsa_dx10_clamp 1
		.amdhsa_ieee_mode 1
		.amdhsa_fp16_overflow 0
		.amdhsa_workgroup_processor_mode 1
		.amdhsa_memory_ordered 1
		.amdhsa_forward_progress 1
		.amdhsa_shared_vgpr_count 0
		.amdhsa_exception_fp_ieee_invalid_op 0
		.amdhsa_exception_fp_denorm_src 0
		.amdhsa_exception_fp_ieee_div_zero 0
		.amdhsa_exception_fp_ieee_overflow 0
		.amdhsa_exception_fp_ieee_underflow 0
		.amdhsa_exception_fp_ieee_inexact 0
		.amdhsa_exception_int_div_zero 0
	.end_amdhsa_kernel
	.section	.text._ZN7rocprim17ROCPRIM_400000_NS6detail17trampoline_kernelINS0_14default_configENS1_38merge_sort_block_merge_config_selectorImNS0_10empty_typeEEEZZNS1_27merge_sort_block_merge_implIS3_N6thrust23THRUST_200600_302600_NS6detail15normal_iteratorINS9_10device_ptrImEEEEPS5_m11less_div_10ImEEE10hipError_tT0_T1_T2_jT3_P12ihipStream_tbPNSt15iterator_traitsISJ_E10value_typeEPNSP_ISK_E10value_typeEPSL_NS1_7vsmem_tEENKUlT_SJ_SK_SL_E_clISE_PmSF_SF_EESI_SY_SJ_SK_SL_EUlSY_E1_NS1_11comp_targetILNS1_3genE5ELNS1_11target_archE942ELNS1_3gpuE9ELNS1_3repE0EEENS1_36merge_oddeven_config_static_selectorELNS0_4arch9wavefront6targetE0EEEvSK_,"axG",@progbits,_ZN7rocprim17ROCPRIM_400000_NS6detail17trampoline_kernelINS0_14default_configENS1_38merge_sort_block_merge_config_selectorImNS0_10empty_typeEEEZZNS1_27merge_sort_block_merge_implIS3_N6thrust23THRUST_200600_302600_NS6detail15normal_iteratorINS9_10device_ptrImEEEEPS5_m11less_div_10ImEEE10hipError_tT0_T1_T2_jT3_P12ihipStream_tbPNSt15iterator_traitsISJ_E10value_typeEPNSP_ISK_E10value_typeEPSL_NS1_7vsmem_tEENKUlT_SJ_SK_SL_E_clISE_PmSF_SF_EESI_SY_SJ_SK_SL_EUlSY_E1_NS1_11comp_targetILNS1_3genE5ELNS1_11target_archE942ELNS1_3gpuE9ELNS1_3repE0EEENS1_36merge_oddeven_config_static_selectorELNS0_4arch9wavefront6targetE0EEEvSK_,comdat
.Lfunc_end659:
	.size	_ZN7rocprim17ROCPRIM_400000_NS6detail17trampoline_kernelINS0_14default_configENS1_38merge_sort_block_merge_config_selectorImNS0_10empty_typeEEEZZNS1_27merge_sort_block_merge_implIS3_N6thrust23THRUST_200600_302600_NS6detail15normal_iteratorINS9_10device_ptrImEEEEPS5_m11less_div_10ImEEE10hipError_tT0_T1_T2_jT3_P12ihipStream_tbPNSt15iterator_traitsISJ_E10value_typeEPNSP_ISK_E10value_typeEPSL_NS1_7vsmem_tEENKUlT_SJ_SK_SL_E_clISE_PmSF_SF_EESI_SY_SJ_SK_SL_EUlSY_E1_NS1_11comp_targetILNS1_3genE5ELNS1_11target_archE942ELNS1_3gpuE9ELNS1_3repE0EEENS1_36merge_oddeven_config_static_selectorELNS0_4arch9wavefront6targetE0EEEvSK_, .Lfunc_end659-_ZN7rocprim17ROCPRIM_400000_NS6detail17trampoline_kernelINS0_14default_configENS1_38merge_sort_block_merge_config_selectorImNS0_10empty_typeEEEZZNS1_27merge_sort_block_merge_implIS3_N6thrust23THRUST_200600_302600_NS6detail15normal_iteratorINS9_10device_ptrImEEEEPS5_m11less_div_10ImEEE10hipError_tT0_T1_T2_jT3_P12ihipStream_tbPNSt15iterator_traitsISJ_E10value_typeEPNSP_ISK_E10value_typeEPSL_NS1_7vsmem_tEENKUlT_SJ_SK_SL_E_clISE_PmSF_SF_EESI_SY_SJ_SK_SL_EUlSY_E1_NS1_11comp_targetILNS1_3genE5ELNS1_11target_archE942ELNS1_3gpuE9ELNS1_3repE0EEENS1_36merge_oddeven_config_static_selectorELNS0_4arch9wavefront6targetE0EEEvSK_
                                        ; -- End function
	.set _ZN7rocprim17ROCPRIM_400000_NS6detail17trampoline_kernelINS0_14default_configENS1_38merge_sort_block_merge_config_selectorImNS0_10empty_typeEEEZZNS1_27merge_sort_block_merge_implIS3_N6thrust23THRUST_200600_302600_NS6detail15normal_iteratorINS9_10device_ptrImEEEEPS5_m11less_div_10ImEEE10hipError_tT0_T1_T2_jT3_P12ihipStream_tbPNSt15iterator_traitsISJ_E10value_typeEPNSP_ISK_E10value_typeEPSL_NS1_7vsmem_tEENKUlT_SJ_SK_SL_E_clISE_PmSF_SF_EESI_SY_SJ_SK_SL_EUlSY_E1_NS1_11comp_targetILNS1_3genE5ELNS1_11target_archE942ELNS1_3gpuE9ELNS1_3repE0EEENS1_36merge_oddeven_config_static_selectorELNS0_4arch9wavefront6targetE0EEEvSK_.num_vgpr, 0
	.set _ZN7rocprim17ROCPRIM_400000_NS6detail17trampoline_kernelINS0_14default_configENS1_38merge_sort_block_merge_config_selectorImNS0_10empty_typeEEEZZNS1_27merge_sort_block_merge_implIS3_N6thrust23THRUST_200600_302600_NS6detail15normal_iteratorINS9_10device_ptrImEEEEPS5_m11less_div_10ImEEE10hipError_tT0_T1_T2_jT3_P12ihipStream_tbPNSt15iterator_traitsISJ_E10value_typeEPNSP_ISK_E10value_typeEPSL_NS1_7vsmem_tEENKUlT_SJ_SK_SL_E_clISE_PmSF_SF_EESI_SY_SJ_SK_SL_EUlSY_E1_NS1_11comp_targetILNS1_3genE5ELNS1_11target_archE942ELNS1_3gpuE9ELNS1_3repE0EEENS1_36merge_oddeven_config_static_selectorELNS0_4arch9wavefront6targetE0EEEvSK_.num_agpr, 0
	.set _ZN7rocprim17ROCPRIM_400000_NS6detail17trampoline_kernelINS0_14default_configENS1_38merge_sort_block_merge_config_selectorImNS0_10empty_typeEEEZZNS1_27merge_sort_block_merge_implIS3_N6thrust23THRUST_200600_302600_NS6detail15normal_iteratorINS9_10device_ptrImEEEEPS5_m11less_div_10ImEEE10hipError_tT0_T1_T2_jT3_P12ihipStream_tbPNSt15iterator_traitsISJ_E10value_typeEPNSP_ISK_E10value_typeEPSL_NS1_7vsmem_tEENKUlT_SJ_SK_SL_E_clISE_PmSF_SF_EESI_SY_SJ_SK_SL_EUlSY_E1_NS1_11comp_targetILNS1_3genE5ELNS1_11target_archE942ELNS1_3gpuE9ELNS1_3repE0EEENS1_36merge_oddeven_config_static_selectorELNS0_4arch9wavefront6targetE0EEEvSK_.numbered_sgpr, 0
	.set _ZN7rocprim17ROCPRIM_400000_NS6detail17trampoline_kernelINS0_14default_configENS1_38merge_sort_block_merge_config_selectorImNS0_10empty_typeEEEZZNS1_27merge_sort_block_merge_implIS3_N6thrust23THRUST_200600_302600_NS6detail15normal_iteratorINS9_10device_ptrImEEEEPS5_m11less_div_10ImEEE10hipError_tT0_T1_T2_jT3_P12ihipStream_tbPNSt15iterator_traitsISJ_E10value_typeEPNSP_ISK_E10value_typeEPSL_NS1_7vsmem_tEENKUlT_SJ_SK_SL_E_clISE_PmSF_SF_EESI_SY_SJ_SK_SL_EUlSY_E1_NS1_11comp_targetILNS1_3genE5ELNS1_11target_archE942ELNS1_3gpuE9ELNS1_3repE0EEENS1_36merge_oddeven_config_static_selectorELNS0_4arch9wavefront6targetE0EEEvSK_.num_named_barrier, 0
	.set _ZN7rocprim17ROCPRIM_400000_NS6detail17trampoline_kernelINS0_14default_configENS1_38merge_sort_block_merge_config_selectorImNS0_10empty_typeEEEZZNS1_27merge_sort_block_merge_implIS3_N6thrust23THRUST_200600_302600_NS6detail15normal_iteratorINS9_10device_ptrImEEEEPS5_m11less_div_10ImEEE10hipError_tT0_T1_T2_jT3_P12ihipStream_tbPNSt15iterator_traitsISJ_E10value_typeEPNSP_ISK_E10value_typeEPSL_NS1_7vsmem_tEENKUlT_SJ_SK_SL_E_clISE_PmSF_SF_EESI_SY_SJ_SK_SL_EUlSY_E1_NS1_11comp_targetILNS1_3genE5ELNS1_11target_archE942ELNS1_3gpuE9ELNS1_3repE0EEENS1_36merge_oddeven_config_static_selectorELNS0_4arch9wavefront6targetE0EEEvSK_.private_seg_size, 0
	.set _ZN7rocprim17ROCPRIM_400000_NS6detail17trampoline_kernelINS0_14default_configENS1_38merge_sort_block_merge_config_selectorImNS0_10empty_typeEEEZZNS1_27merge_sort_block_merge_implIS3_N6thrust23THRUST_200600_302600_NS6detail15normal_iteratorINS9_10device_ptrImEEEEPS5_m11less_div_10ImEEE10hipError_tT0_T1_T2_jT3_P12ihipStream_tbPNSt15iterator_traitsISJ_E10value_typeEPNSP_ISK_E10value_typeEPSL_NS1_7vsmem_tEENKUlT_SJ_SK_SL_E_clISE_PmSF_SF_EESI_SY_SJ_SK_SL_EUlSY_E1_NS1_11comp_targetILNS1_3genE5ELNS1_11target_archE942ELNS1_3gpuE9ELNS1_3repE0EEENS1_36merge_oddeven_config_static_selectorELNS0_4arch9wavefront6targetE0EEEvSK_.uses_vcc, 0
	.set _ZN7rocprim17ROCPRIM_400000_NS6detail17trampoline_kernelINS0_14default_configENS1_38merge_sort_block_merge_config_selectorImNS0_10empty_typeEEEZZNS1_27merge_sort_block_merge_implIS3_N6thrust23THRUST_200600_302600_NS6detail15normal_iteratorINS9_10device_ptrImEEEEPS5_m11less_div_10ImEEE10hipError_tT0_T1_T2_jT3_P12ihipStream_tbPNSt15iterator_traitsISJ_E10value_typeEPNSP_ISK_E10value_typeEPSL_NS1_7vsmem_tEENKUlT_SJ_SK_SL_E_clISE_PmSF_SF_EESI_SY_SJ_SK_SL_EUlSY_E1_NS1_11comp_targetILNS1_3genE5ELNS1_11target_archE942ELNS1_3gpuE9ELNS1_3repE0EEENS1_36merge_oddeven_config_static_selectorELNS0_4arch9wavefront6targetE0EEEvSK_.uses_flat_scratch, 0
	.set _ZN7rocprim17ROCPRIM_400000_NS6detail17trampoline_kernelINS0_14default_configENS1_38merge_sort_block_merge_config_selectorImNS0_10empty_typeEEEZZNS1_27merge_sort_block_merge_implIS3_N6thrust23THRUST_200600_302600_NS6detail15normal_iteratorINS9_10device_ptrImEEEEPS5_m11less_div_10ImEEE10hipError_tT0_T1_T2_jT3_P12ihipStream_tbPNSt15iterator_traitsISJ_E10value_typeEPNSP_ISK_E10value_typeEPSL_NS1_7vsmem_tEENKUlT_SJ_SK_SL_E_clISE_PmSF_SF_EESI_SY_SJ_SK_SL_EUlSY_E1_NS1_11comp_targetILNS1_3genE5ELNS1_11target_archE942ELNS1_3gpuE9ELNS1_3repE0EEENS1_36merge_oddeven_config_static_selectorELNS0_4arch9wavefront6targetE0EEEvSK_.has_dyn_sized_stack, 0
	.set _ZN7rocprim17ROCPRIM_400000_NS6detail17trampoline_kernelINS0_14default_configENS1_38merge_sort_block_merge_config_selectorImNS0_10empty_typeEEEZZNS1_27merge_sort_block_merge_implIS3_N6thrust23THRUST_200600_302600_NS6detail15normal_iteratorINS9_10device_ptrImEEEEPS5_m11less_div_10ImEEE10hipError_tT0_T1_T2_jT3_P12ihipStream_tbPNSt15iterator_traitsISJ_E10value_typeEPNSP_ISK_E10value_typeEPSL_NS1_7vsmem_tEENKUlT_SJ_SK_SL_E_clISE_PmSF_SF_EESI_SY_SJ_SK_SL_EUlSY_E1_NS1_11comp_targetILNS1_3genE5ELNS1_11target_archE942ELNS1_3gpuE9ELNS1_3repE0EEENS1_36merge_oddeven_config_static_selectorELNS0_4arch9wavefront6targetE0EEEvSK_.has_recursion, 0
	.set _ZN7rocprim17ROCPRIM_400000_NS6detail17trampoline_kernelINS0_14default_configENS1_38merge_sort_block_merge_config_selectorImNS0_10empty_typeEEEZZNS1_27merge_sort_block_merge_implIS3_N6thrust23THRUST_200600_302600_NS6detail15normal_iteratorINS9_10device_ptrImEEEEPS5_m11less_div_10ImEEE10hipError_tT0_T1_T2_jT3_P12ihipStream_tbPNSt15iterator_traitsISJ_E10value_typeEPNSP_ISK_E10value_typeEPSL_NS1_7vsmem_tEENKUlT_SJ_SK_SL_E_clISE_PmSF_SF_EESI_SY_SJ_SK_SL_EUlSY_E1_NS1_11comp_targetILNS1_3genE5ELNS1_11target_archE942ELNS1_3gpuE9ELNS1_3repE0EEENS1_36merge_oddeven_config_static_selectorELNS0_4arch9wavefront6targetE0EEEvSK_.has_indirect_call, 0
	.section	.AMDGPU.csdata,"",@progbits
; Kernel info:
; codeLenInByte = 0
; TotalNumSgprs: 0
; NumVgprs: 0
; ScratchSize: 0
; MemoryBound: 0
; FloatMode: 240
; IeeeMode: 1
; LDSByteSize: 0 bytes/workgroup (compile time only)
; SGPRBlocks: 0
; VGPRBlocks: 0
; NumSGPRsForWavesPerEU: 1
; NumVGPRsForWavesPerEU: 1
; Occupancy: 16
; WaveLimiterHint : 0
; COMPUTE_PGM_RSRC2:SCRATCH_EN: 0
; COMPUTE_PGM_RSRC2:USER_SGPR: 6
; COMPUTE_PGM_RSRC2:TRAP_HANDLER: 0
; COMPUTE_PGM_RSRC2:TGID_X_EN: 1
; COMPUTE_PGM_RSRC2:TGID_Y_EN: 0
; COMPUTE_PGM_RSRC2:TGID_Z_EN: 0
; COMPUTE_PGM_RSRC2:TIDIG_COMP_CNT: 0
	.section	.text._ZN7rocprim17ROCPRIM_400000_NS6detail17trampoline_kernelINS0_14default_configENS1_38merge_sort_block_merge_config_selectorImNS0_10empty_typeEEEZZNS1_27merge_sort_block_merge_implIS3_N6thrust23THRUST_200600_302600_NS6detail15normal_iteratorINS9_10device_ptrImEEEEPS5_m11less_div_10ImEEE10hipError_tT0_T1_T2_jT3_P12ihipStream_tbPNSt15iterator_traitsISJ_E10value_typeEPNSP_ISK_E10value_typeEPSL_NS1_7vsmem_tEENKUlT_SJ_SK_SL_E_clISE_PmSF_SF_EESI_SY_SJ_SK_SL_EUlSY_E1_NS1_11comp_targetILNS1_3genE4ELNS1_11target_archE910ELNS1_3gpuE8ELNS1_3repE0EEENS1_36merge_oddeven_config_static_selectorELNS0_4arch9wavefront6targetE0EEEvSK_,"axG",@progbits,_ZN7rocprim17ROCPRIM_400000_NS6detail17trampoline_kernelINS0_14default_configENS1_38merge_sort_block_merge_config_selectorImNS0_10empty_typeEEEZZNS1_27merge_sort_block_merge_implIS3_N6thrust23THRUST_200600_302600_NS6detail15normal_iteratorINS9_10device_ptrImEEEEPS5_m11less_div_10ImEEE10hipError_tT0_T1_T2_jT3_P12ihipStream_tbPNSt15iterator_traitsISJ_E10value_typeEPNSP_ISK_E10value_typeEPSL_NS1_7vsmem_tEENKUlT_SJ_SK_SL_E_clISE_PmSF_SF_EESI_SY_SJ_SK_SL_EUlSY_E1_NS1_11comp_targetILNS1_3genE4ELNS1_11target_archE910ELNS1_3gpuE8ELNS1_3repE0EEENS1_36merge_oddeven_config_static_selectorELNS0_4arch9wavefront6targetE0EEEvSK_,comdat
	.protected	_ZN7rocprim17ROCPRIM_400000_NS6detail17trampoline_kernelINS0_14default_configENS1_38merge_sort_block_merge_config_selectorImNS0_10empty_typeEEEZZNS1_27merge_sort_block_merge_implIS3_N6thrust23THRUST_200600_302600_NS6detail15normal_iteratorINS9_10device_ptrImEEEEPS5_m11less_div_10ImEEE10hipError_tT0_T1_T2_jT3_P12ihipStream_tbPNSt15iterator_traitsISJ_E10value_typeEPNSP_ISK_E10value_typeEPSL_NS1_7vsmem_tEENKUlT_SJ_SK_SL_E_clISE_PmSF_SF_EESI_SY_SJ_SK_SL_EUlSY_E1_NS1_11comp_targetILNS1_3genE4ELNS1_11target_archE910ELNS1_3gpuE8ELNS1_3repE0EEENS1_36merge_oddeven_config_static_selectorELNS0_4arch9wavefront6targetE0EEEvSK_ ; -- Begin function _ZN7rocprim17ROCPRIM_400000_NS6detail17trampoline_kernelINS0_14default_configENS1_38merge_sort_block_merge_config_selectorImNS0_10empty_typeEEEZZNS1_27merge_sort_block_merge_implIS3_N6thrust23THRUST_200600_302600_NS6detail15normal_iteratorINS9_10device_ptrImEEEEPS5_m11less_div_10ImEEE10hipError_tT0_T1_T2_jT3_P12ihipStream_tbPNSt15iterator_traitsISJ_E10value_typeEPNSP_ISK_E10value_typeEPSL_NS1_7vsmem_tEENKUlT_SJ_SK_SL_E_clISE_PmSF_SF_EESI_SY_SJ_SK_SL_EUlSY_E1_NS1_11comp_targetILNS1_3genE4ELNS1_11target_archE910ELNS1_3gpuE8ELNS1_3repE0EEENS1_36merge_oddeven_config_static_selectorELNS0_4arch9wavefront6targetE0EEEvSK_
	.globl	_ZN7rocprim17ROCPRIM_400000_NS6detail17trampoline_kernelINS0_14default_configENS1_38merge_sort_block_merge_config_selectorImNS0_10empty_typeEEEZZNS1_27merge_sort_block_merge_implIS3_N6thrust23THRUST_200600_302600_NS6detail15normal_iteratorINS9_10device_ptrImEEEEPS5_m11less_div_10ImEEE10hipError_tT0_T1_T2_jT3_P12ihipStream_tbPNSt15iterator_traitsISJ_E10value_typeEPNSP_ISK_E10value_typeEPSL_NS1_7vsmem_tEENKUlT_SJ_SK_SL_E_clISE_PmSF_SF_EESI_SY_SJ_SK_SL_EUlSY_E1_NS1_11comp_targetILNS1_3genE4ELNS1_11target_archE910ELNS1_3gpuE8ELNS1_3repE0EEENS1_36merge_oddeven_config_static_selectorELNS0_4arch9wavefront6targetE0EEEvSK_
	.p2align	8
	.type	_ZN7rocprim17ROCPRIM_400000_NS6detail17trampoline_kernelINS0_14default_configENS1_38merge_sort_block_merge_config_selectorImNS0_10empty_typeEEEZZNS1_27merge_sort_block_merge_implIS3_N6thrust23THRUST_200600_302600_NS6detail15normal_iteratorINS9_10device_ptrImEEEEPS5_m11less_div_10ImEEE10hipError_tT0_T1_T2_jT3_P12ihipStream_tbPNSt15iterator_traitsISJ_E10value_typeEPNSP_ISK_E10value_typeEPSL_NS1_7vsmem_tEENKUlT_SJ_SK_SL_E_clISE_PmSF_SF_EESI_SY_SJ_SK_SL_EUlSY_E1_NS1_11comp_targetILNS1_3genE4ELNS1_11target_archE910ELNS1_3gpuE8ELNS1_3repE0EEENS1_36merge_oddeven_config_static_selectorELNS0_4arch9wavefront6targetE0EEEvSK_,@function
_ZN7rocprim17ROCPRIM_400000_NS6detail17trampoline_kernelINS0_14default_configENS1_38merge_sort_block_merge_config_selectorImNS0_10empty_typeEEEZZNS1_27merge_sort_block_merge_implIS3_N6thrust23THRUST_200600_302600_NS6detail15normal_iteratorINS9_10device_ptrImEEEEPS5_m11less_div_10ImEEE10hipError_tT0_T1_T2_jT3_P12ihipStream_tbPNSt15iterator_traitsISJ_E10value_typeEPNSP_ISK_E10value_typeEPSL_NS1_7vsmem_tEENKUlT_SJ_SK_SL_E_clISE_PmSF_SF_EESI_SY_SJ_SK_SL_EUlSY_E1_NS1_11comp_targetILNS1_3genE4ELNS1_11target_archE910ELNS1_3gpuE8ELNS1_3repE0EEENS1_36merge_oddeven_config_static_selectorELNS0_4arch9wavefront6targetE0EEEvSK_: ; @_ZN7rocprim17ROCPRIM_400000_NS6detail17trampoline_kernelINS0_14default_configENS1_38merge_sort_block_merge_config_selectorImNS0_10empty_typeEEEZZNS1_27merge_sort_block_merge_implIS3_N6thrust23THRUST_200600_302600_NS6detail15normal_iteratorINS9_10device_ptrImEEEEPS5_m11less_div_10ImEEE10hipError_tT0_T1_T2_jT3_P12ihipStream_tbPNSt15iterator_traitsISJ_E10value_typeEPNSP_ISK_E10value_typeEPSL_NS1_7vsmem_tEENKUlT_SJ_SK_SL_E_clISE_PmSF_SF_EESI_SY_SJ_SK_SL_EUlSY_E1_NS1_11comp_targetILNS1_3genE4ELNS1_11target_archE910ELNS1_3gpuE8ELNS1_3repE0EEENS1_36merge_oddeven_config_static_selectorELNS0_4arch9wavefront6targetE0EEEvSK_
; %bb.0:
	.section	.rodata,"a",@progbits
	.p2align	6, 0x0
	.amdhsa_kernel _ZN7rocprim17ROCPRIM_400000_NS6detail17trampoline_kernelINS0_14default_configENS1_38merge_sort_block_merge_config_selectorImNS0_10empty_typeEEEZZNS1_27merge_sort_block_merge_implIS3_N6thrust23THRUST_200600_302600_NS6detail15normal_iteratorINS9_10device_ptrImEEEEPS5_m11less_div_10ImEEE10hipError_tT0_T1_T2_jT3_P12ihipStream_tbPNSt15iterator_traitsISJ_E10value_typeEPNSP_ISK_E10value_typeEPSL_NS1_7vsmem_tEENKUlT_SJ_SK_SL_E_clISE_PmSF_SF_EESI_SY_SJ_SK_SL_EUlSY_E1_NS1_11comp_targetILNS1_3genE4ELNS1_11target_archE910ELNS1_3gpuE8ELNS1_3repE0EEENS1_36merge_oddeven_config_static_selectorELNS0_4arch9wavefront6targetE0EEEvSK_
		.amdhsa_group_segment_fixed_size 0
		.amdhsa_private_segment_fixed_size 0
		.amdhsa_kernarg_size 56
		.amdhsa_user_sgpr_count 6
		.amdhsa_user_sgpr_private_segment_buffer 1
		.amdhsa_user_sgpr_dispatch_ptr 0
		.amdhsa_user_sgpr_queue_ptr 0
		.amdhsa_user_sgpr_kernarg_segment_ptr 1
		.amdhsa_user_sgpr_dispatch_id 0
		.amdhsa_user_sgpr_flat_scratch_init 0
		.amdhsa_user_sgpr_private_segment_size 0
		.amdhsa_wavefront_size32 1
		.amdhsa_uses_dynamic_stack 0
		.amdhsa_system_sgpr_private_segment_wavefront_offset 0
		.amdhsa_system_sgpr_workgroup_id_x 1
		.amdhsa_system_sgpr_workgroup_id_y 0
		.amdhsa_system_sgpr_workgroup_id_z 0
		.amdhsa_system_sgpr_workgroup_info 0
		.amdhsa_system_vgpr_workitem_id 0
		.amdhsa_next_free_vgpr 1
		.amdhsa_next_free_sgpr 1
		.amdhsa_reserve_vcc 0
		.amdhsa_reserve_flat_scratch 0
		.amdhsa_float_round_mode_32 0
		.amdhsa_float_round_mode_16_64 0
		.amdhsa_float_denorm_mode_32 3
		.amdhsa_float_denorm_mode_16_64 3
		.amdhsa_dx10_clamp 1
		.amdhsa_ieee_mode 1
		.amdhsa_fp16_overflow 0
		.amdhsa_workgroup_processor_mode 1
		.amdhsa_memory_ordered 1
		.amdhsa_forward_progress 1
		.amdhsa_shared_vgpr_count 0
		.amdhsa_exception_fp_ieee_invalid_op 0
		.amdhsa_exception_fp_denorm_src 0
		.amdhsa_exception_fp_ieee_div_zero 0
		.amdhsa_exception_fp_ieee_overflow 0
		.amdhsa_exception_fp_ieee_underflow 0
		.amdhsa_exception_fp_ieee_inexact 0
		.amdhsa_exception_int_div_zero 0
	.end_amdhsa_kernel
	.section	.text._ZN7rocprim17ROCPRIM_400000_NS6detail17trampoline_kernelINS0_14default_configENS1_38merge_sort_block_merge_config_selectorImNS0_10empty_typeEEEZZNS1_27merge_sort_block_merge_implIS3_N6thrust23THRUST_200600_302600_NS6detail15normal_iteratorINS9_10device_ptrImEEEEPS5_m11less_div_10ImEEE10hipError_tT0_T1_T2_jT3_P12ihipStream_tbPNSt15iterator_traitsISJ_E10value_typeEPNSP_ISK_E10value_typeEPSL_NS1_7vsmem_tEENKUlT_SJ_SK_SL_E_clISE_PmSF_SF_EESI_SY_SJ_SK_SL_EUlSY_E1_NS1_11comp_targetILNS1_3genE4ELNS1_11target_archE910ELNS1_3gpuE8ELNS1_3repE0EEENS1_36merge_oddeven_config_static_selectorELNS0_4arch9wavefront6targetE0EEEvSK_,"axG",@progbits,_ZN7rocprim17ROCPRIM_400000_NS6detail17trampoline_kernelINS0_14default_configENS1_38merge_sort_block_merge_config_selectorImNS0_10empty_typeEEEZZNS1_27merge_sort_block_merge_implIS3_N6thrust23THRUST_200600_302600_NS6detail15normal_iteratorINS9_10device_ptrImEEEEPS5_m11less_div_10ImEEE10hipError_tT0_T1_T2_jT3_P12ihipStream_tbPNSt15iterator_traitsISJ_E10value_typeEPNSP_ISK_E10value_typeEPSL_NS1_7vsmem_tEENKUlT_SJ_SK_SL_E_clISE_PmSF_SF_EESI_SY_SJ_SK_SL_EUlSY_E1_NS1_11comp_targetILNS1_3genE4ELNS1_11target_archE910ELNS1_3gpuE8ELNS1_3repE0EEENS1_36merge_oddeven_config_static_selectorELNS0_4arch9wavefront6targetE0EEEvSK_,comdat
.Lfunc_end660:
	.size	_ZN7rocprim17ROCPRIM_400000_NS6detail17trampoline_kernelINS0_14default_configENS1_38merge_sort_block_merge_config_selectorImNS0_10empty_typeEEEZZNS1_27merge_sort_block_merge_implIS3_N6thrust23THRUST_200600_302600_NS6detail15normal_iteratorINS9_10device_ptrImEEEEPS5_m11less_div_10ImEEE10hipError_tT0_T1_T2_jT3_P12ihipStream_tbPNSt15iterator_traitsISJ_E10value_typeEPNSP_ISK_E10value_typeEPSL_NS1_7vsmem_tEENKUlT_SJ_SK_SL_E_clISE_PmSF_SF_EESI_SY_SJ_SK_SL_EUlSY_E1_NS1_11comp_targetILNS1_3genE4ELNS1_11target_archE910ELNS1_3gpuE8ELNS1_3repE0EEENS1_36merge_oddeven_config_static_selectorELNS0_4arch9wavefront6targetE0EEEvSK_, .Lfunc_end660-_ZN7rocprim17ROCPRIM_400000_NS6detail17trampoline_kernelINS0_14default_configENS1_38merge_sort_block_merge_config_selectorImNS0_10empty_typeEEEZZNS1_27merge_sort_block_merge_implIS3_N6thrust23THRUST_200600_302600_NS6detail15normal_iteratorINS9_10device_ptrImEEEEPS5_m11less_div_10ImEEE10hipError_tT0_T1_T2_jT3_P12ihipStream_tbPNSt15iterator_traitsISJ_E10value_typeEPNSP_ISK_E10value_typeEPSL_NS1_7vsmem_tEENKUlT_SJ_SK_SL_E_clISE_PmSF_SF_EESI_SY_SJ_SK_SL_EUlSY_E1_NS1_11comp_targetILNS1_3genE4ELNS1_11target_archE910ELNS1_3gpuE8ELNS1_3repE0EEENS1_36merge_oddeven_config_static_selectorELNS0_4arch9wavefront6targetE0EEEvSK_
                                        ; -- End function
	.set _ZN7rocprim17ROCPRIM_400000_NS6detail17trampoline_kernelINS0_14default_configENS1_38merge_sort_block_merge_config_selectorImNS0_10empty_typeEEEZZNS1_27merge_sort_block_merge_implIS3_N6thrust23THRUST_200600_302600_NS6detail15normal_iteratorINS9_10device_ptrImEEEEPS5_m11less_div_10ImEEE10hipError_tT0_T1_T2_jT3_P12ihipStream_tbPNSt15iterator_traitsISJ_E10value_typeEPNSP_ISK_E10value_typeEPSL_NS1_7vsmem_tEENKUlT_SJ_SK_SL_E_clISE_PmSF_SF_EESI_SY_SJ_SK_SL_EUlSY_E1_NS1_11comp_targetILNS1_3genE4ELNS1_11target_archE910ELNS1_3gpuE8ELNS1_3repE0EEENS1_36merge_oddeven_config_static_selectorELNS0_4arch9wavefront6targetE0EEEvSK_.num_vgpr, 0
	.set _ZN7rocprim17ROCPRIM_400000_NS6detail17trampoline_kernelINS0_14default_configENS1_38merge_sort_block_merge_config_selectorImNS0_10empty_typeEEEZZNS1_27merge_sort_block_merge_implIS3_N6thrust23THRUST_200600_302600_NS6detail15normal_iteratorINS9_10device_ptrImEEEEPS5_m11less_div_10ImEEE10hipError_tT0_T1_T2_jT3_P12ihipStream_tbPNSt15iterator_traitsISJ_E10value_typeEPNSP_ISK_E10value_typeEPSL_NS1_7vsmem_tEENKUlT_SJ_SK_SL_E_clISE_PmSF_SF_EESI_SY_SJ_SK_SL_EUlSY_E1_NS1_11comp_targetILNS1_3genE4ELNS1_11target_archE910ELNS1_3gpuE8ELNS1_3repE0EEENS1_36merge_oddeven_config_static_selectorELNS0_4arch9wavefront6targetE0EEEvSK_.num_agpr, 0
	.set _ZN7rocprim17ROCPRIM_400000_NS6detail17trampoline_kernelINS0_14default_configENS1_38merge_sort_block_merge_config_selectorImNS0_10empty_typeEEEZZNS1_27merge_sort_block_merge_implIS3_N6thrust23THRUST_200600_302600_NS6detail15normal_iteratorINS9_10device_ptrImEEEEPS5_m11less_div_10ImEEE10hipError_tT0_T1_T2_jT3_P12ihipStream_tbPNSt15iterator_traitsISJ_E10value_typeEPNSP_ISK_E10value_typeEPSL_NS1_7vsmem_tEENKUlT_SJ_SK_SL_E_clISE_PmSF_SF_EESI_SY_SJ_SK_SL_EUlSY_E1_NS1_11comp_targetILNS1_3genE4ELNS1_11target_archE910ELNS1_3gpuE8ELNS1_3repE0EEENS1_36merge_oddeven_config_static_selectorELNS0_4arch9wavefront6targetE0EEEvSK_.numbered_sgpr, 0
	.set _ZN7rocprim17ROCPRIM_400000_NS6detail17trampoline_kernelINS0_14default_configENS1_38merge_sort_block_merge_config_selectorImNS0_10empty_typeEEEZZNS1_27merge_sort_block_merge_implIS3_N6thrust23THRUST_200600_302600_NS6detail15normal_iteratorINS9_10device_ptrImEEEEPS5_m11less_div_10ImEEE10hipError_tT0_T1_T2_jT3_P12ihipStream_tbPNSt15iterator_traitsISJ_E10value_typeEPNSP_ISK_E10value_typeEPSL_NS1_7vsmem_tEENKUlT_SJ_SK_SL_E_clISE_PmSF_SF_EESI_SY_SJ_SK_SL_EUlSY_E1_NS1_11comp_targetILNS1_3genE4ELNS1_11target_archE910ELNS1_3gpuE8ELNS1_3repE0EEENS1_36merge_oddeven_config_static_selectorELNS0_4arch9wavefront6targetE0EEEvSK_.num_named_barrier, 0
	.set _ZN7rocprim17ROCPRIM_400000_NS6detail17trampoline_kernelINS0_14default_configENS1_38merge_sort_block_merge_config_selectorImNS0_10empty_typeEEEZZNS1_27merge_sort_block_merge_implIS3_N6thrust23THRUST_200600_302600_NS6detail15normal_iteratorINS9_10device_ptrImEEEEPS5_m11less_div_10ImEEE10hipError_tT0_T1_T2_jT3_P12ihipStream_tbPNSt15iterator_traitsISJ_E10value_typeEPNSP_ISK_E10value_typeEPSL_NS1_7vsmem_tEENKUlT_SJ_SK_SL_E_clISE_PmSF_SF_EESI_SY_SJ_SK_SL_EUlSY_E1_NS1_11comp_targetILNS1_3genE4ELNS1_11target_archE910ELNS1_3gpuE8ELNS1_3repE0EEENS1_36merge_oddeven_config_static_selectorELNS0_4arch9wavefront6targetE0EEEvSK_.private_seg_size, 0
	.set _ZN7rocprim17ROCPRIM_400000_NS6detail17trampoline_kernelINS0_14default_configENS1_38merge_sort_block_merge_config_selectorImNS0_10empty_typeEEEZZNS1_27merge_sort_block_merge_implIS3_N6thrust23THRUST_200600_302600_NS6detail15normal_iteratorINS9_10device_ptrImEEEEPS5_m11less_div_10ImEEE10hipError_tT0_T1_T2_jT3_P12ihipStream_tbPNSt15iterator_traitsISJ_E10value_typeEPNSP_ISK_E10value_typeEPSL_NS1_7vsmem_tEENKUlT_SJ_SK_SL_E_clISE_PmSF_SF_EESI_SY_SJ_SK_SL_EUlSY_E1_NS1_11comp_targetILNS1_3genE4ELNS1_11target_archE910ELNS1_3gpuE8ELNS1_3repE0EEENS1_36merge_oddeven_config_static_selectorELNS0_4arch9wavefront6targetE0EEEvSK_.uses_vcc, 0
	.set _ZN7rocprim17ROCPRIM_400000_NS6detail17trampoline_kernelINS0_14default_configENS1_38merge_sort_block_merge_config_selectorImNS0_10empty_typeEEEZZNS1_27merge_sort_block_merge_implIS3_N6thrust23THRUST_200600_302600_NS6detail15normal_iteratorINS9_10device_ptrImEEEEPS5_m11less_div_10ImEEE10hipError_tT0_T1_T2_jT3_P12ihipStream_tbPNSt15iterator_traitsISJ_E10value_typeEPNSP_ISK_E10value_typeEPSL_NS1_7vsmem_tEENKUlT_SJ_SK_SL_E_clISE_PmSF_SF_EESI_SY_SJ_SK_SL_EUlSY_E1_NS1_11comp_targetILNS1_3genE4ELNS1_11target_archE910ELNS1_3gpuE8ELNS1_3repE0EEENS1_36merge_oddeven_config_static_selectorELNS0_4arch9wavefront6targetE0EEEvSK_.uses_flat_scratch, 0
	.set _ZN7rocprim17ROCPRIM_400000_NS6detail17trampoline_kernelINS0_14default_configENS1_38merge_sort_block_merge_config_selectorImNS0_10empty_typeEEEZZNS1_27merge_sort_block_merge_implIS3_N6thrust23THRUST_200600_302600_NS6detail15normal_iteratorINS9_10device_ptrImEEEEPS5_m11less_div_10ImEEE10hipError_tT0_T1_T2_jT3_P12ihipStream_tbPNSt15iterator_traitsISJ_E10value_typeEPNSP_ISK_E10value_typeEPSL_NS1_7vsmem_tEENKUlT_SJ_SK_SL_E_clISE_PmSF_SF_EESI_SY_SJ_SK_SL_EUlSY_E1_NS1_11comp_targetILNS1_3genE4ELNS1_11target_archE910ELNS1_3gpuE8ELNS1_3repE0EEENS1_36merge_oddeven_config_static_selectorELNS0_4arch9wavefront6targetE0EEEvSK_.has_dyn_sized_stack, 0
	.set _ZN7rocprim17ROCPRIM_400000_NS6detail17trampoline_kernelINS0_14default_configENS1_38merge_sort_block_merge_config_selectorImNS0_10empty_typeEEEZZNS1_27merge_sort_block_merge_implIS3_N6thrust23THRUST_200600_302600_NS6detail15normal_iteratorINS9_10device_ptrImEEEEPS5_m11less_div_10ImEEE10hipError_tT0_T1_T2_jT3_P12ihipStream_tbPNSt15iterator_traitsISJ_E10value_typeEPNSP_ISK_E10value_typeEPSL_NS1_7vsmem_tEENKUlT_SJ_SK_SL_E_clISE_PmSF_SF_EESI_SY_SJ_SK_SL_EUlSY_E1_NS1_11comp_targetILNS1_3genE4ELNS1_11target_archE910ELNS1_3gpuE8ELNS1_3repE0EEENS1_36merge_oddeven_config_static_selectorELNS0_4arch9wavefront6targetE0EEEvSK_.has_recursion, 0
	.set _ZN7rocprim17ROCPRIM_400000_NS6detail17trampoline_kernelINS0_14default_configENS1_38merge_sort_block_merge_config_selectorImNS0_10empty_typeEEEZZNS1_27merge_sort_block_merge_implIS3_N6thrust23THRUST_200600_302600_NS6detail15normal_iteratorINS9_10device_ptrImEEEEPS5_m11less_div_10ImEEE10hipError_tT0_T1_T2_jT3_P12ihipStream_tbPNSt15iterator_traitsISJ_E10value_typeEPNSP_ISK_E10value_typeEPSL_NS1_7vsmem_tEENKUlT_SJ_SK_SL_E_clISE_PmSF_SF_EESI_SY_SJ_SK_SL_EUlSY_E1_NS1_11comp_targetILNS1_3genE4ELNS1_11target_archE910ELNS1_3gpuE8ELNS1_3repE0EEENS1_36merge_oddeven_config_static_selectorELNS0_4arch9wavefront6targetE0EEEvSK_.has_indirect_call, 0
	.section	.AMDGPU.csdata,"",@progbits
; Kernel info:
; codeLenInByte = 0
; TotalNumSgprs: 0
; NumVgprs: 0
; ScratchSize: 0
; MemoryBound: 0
; FloatMode: 240
; IeeeMode: 1
; LDSByteSize: 0 bytes/workgroup (compile time only)
; SGPRBlocks: 0
; VGPRBlocks: 0
; NumSGPRsForWavesPerEU: 1
; NumVGPRsForWavesPerEU: 1
; Occupancy: 16
; WaveLimiterHint : 0
; COMPUTE_PGM_RSRC2:SCRATCH_EN: 0
; COMPUTE_PGM_RSRC2:USER_SGPR: 6
; COMPUTE_PGM_RSRC2:TRAP_HANDLER: 0
; COMPUTE_PGM_RSRC2:TGID_X_EN: 1
; COMPUTE_PGM_RSRC2:TGID_Y_EN: 0
; COMPUTE_PGM_RSRC2:TGID_Z_EN: 0
; COMPUTE_PGM_RSRC2:TIDIG_COMP_CNT: 0
	.section	.text._ZN7rocprim17ROCPRIM_400000_NS6detail17trampoline_kernelINS0_14default_configENS1_38merge_sort_block_merge_config_selectorImNS0_10empty_typeEEEZZNS1_27merge_sort_block_merge_implIS3_N6thrust23THRUST_200600_302600_NS6detail15normal_iteratorINS9_10device_ptrImEEEEPS5_m11less_div_10ImEEE10hipError_tT0_T1_T2_jT3_P12ihipStream_tbPNSt15iterator_traitsISJ_E10value_typeEPNSP_ISK_E10value_typeEPSL_NS1_7vsmem_tEENKUlT_SJ_SK_SL_E_clISE_PmSF_SF_EESI_SY_SJ_SK_SL_EUlSY_E1_NS1_11comp_targetILNS1_3genE3ELNS1_11target_archE908ELNS1_3gpuE7ELNS1_3repE0EEENS1_36merge_oddeven_config_static_selectorELNS0_4arch9wavefront6targetE0EEEvSK_,"axG",@progbits,_ZN7rocprim17ROCPRIM_400000_NS6detail17trampoline_kernelINS0_14default_configENS1_38merge_sort_block_merge_config_selectorImNS0_10empty_typeEEEZZNS1_27merge_sort_block_merge_implIS3_N6thrust23THRUST_200600_302600_NS6detail15normal_iteratorINS9_10device_ptrImEEEEPS5_m11less_div_10ImEEE10hipError_tT0_T1_T2_jT3_P12ihipStream_tbPNSt15iterator_traitsISJ_E10value_typeEPNSP_ISK_E10value_typeEPSL_NS1_7vsmem_tEENKUlT_SJ_SK_SL_E_clISE_PmSF_SF_EESI_SY_SJ_SK_SL_EUlSY_E1_NS1_11comp_targetILNS1_3genE3ELNS1_11target_archE908ELNS1_3gpuE7ELNS1_3repE0EEENS1_36merge_oddeven_config_static_selectorELNS0_4arch9wavefront6targetE0EEEvSK_,comdat
	.protected	_ZN7rocprim17ROCPRIM_400000_NS6detail17trampoline_kernelINS0_14default_configENS1_38merge_sort_block_merge_config_selectorImNS0_10empty_typeEEEZZNS1_27merge_sort_block_merge_implIS3_N6thrust23THRUST_200600_302600_NS6detail15normal_iteratorINS9_10device_ptrImEEEEPS5_m11less_div_10ImEEE10hipError_tT0_T1_T2_jT3_P12ihipStream_tbPNSt15iterator_traitsISJ_E10value_typeEPNSP_ISK_E10value_typeEPSL_NS1_7vsmem_tEENKUlT_SJ_SK_SL_E_clISE_PmSF_SF_EESI_SY_SJ_SK_SL_EUlSY_E1_NS1_11comp_targetILNS1_3genE3ELNS1_11target_archE908ELNS1_3gpuE7ELNS1_3repE0EEENS1_36merge_oddeven_config_static_selectorELNS0_4arch9wavefront6targetE0EEEvSK_ ; -- Begin function _ZN7rocprim17ROCPRIM_400000_NS6detail17trampoline_kernelINS0_14default_configENS1_38merge_sort_block_merge_config_selectorImNS0_10empty_typeEEEZZNS1_27merge_sort_block_merge_implIS3_N6thrust23THRUST_200600_302600_NS6detail15normal_iteratorINS9_10device_ptrImEEEEPS5_m11less_div_10ImEEE10hipError_tT0_T1_T2_jT3_P12ihipStream_tbPNSt15iterator_traitsISJ_E10value_typeEPNSP_ISK_E10value_typeEPSL_NS1_7vsmem_tEENKUlT_SJ_SK_SL_E_clISE_PmSF_SF_EESI_SY_SJ_SK_SL_EUlSY_E1_NS1_11comp_targetILNS1_3genE3ELNS1_11target_archE908ELNS1_3gpuE7ELNS1_3repE0EEENS1_36merge_oddeven_config_static_selectorELNS0_4arch9wavefront6targetE0EEEvSK_
	.globl	_ZN7rocprim17ROCPRIM_400000_NS6detail17trampoline_kernelINS0_14default_configENS1_38merge_sort_block_merge_config_selectorImNS0_10empty_typeEEEZZNS1_27merge_sort_block_merge_implIS3_N6thrust23THRUST_200600_302600_NS6detail15normal_iteratorINS9_10device_ptrImEEEEPS5_m11less_div_10ImEEE10hipError_tT0_T1_T2_jT3_P12ihipStream_tbPNSt15iterator_traitsISJ_E10value_typeEPNSP_ISK_E10value_typeEPSL_NS1_7vsmem_tEENKUlT_SJ_SK_SL_E_clISE_PmSF_SF_EESI_SY_SJ_SK_SL_EUlSY_E1_NS1_11comp_targetILNS1_3genE3ELNS1_11target_archE908ELNS1_3gpuE7ELNS1_3repE0EEENS1_36merge_oddeven_config_static_selectorELNS0_4arch9wavefront6targetE0EEEvSK_
	.p2align	8
	.type	_ZN7rocprim17ROCPRIM_400000_NS6detail17trampoline_kernelINS0_14default_configENS1_38merge_sort_block_merge_config_selectorImNS0_10empty_typeEEEZZNS1_27merge_sort_block_merge_implIS3_N6thrust23THRUST_200600_302600_NS6detail15normal_iteratorINS9_10device_ptrImEEEEPS5_m11less_div_10ImEEE10hipError_tT0_T1_T2_jT3_P12ihipStream_tbPNSt15iterator_traitsISJ_E10value_typeEPNSP_ISK_E10value_typeEPSL_NS1_7vsmem_tEENKUlT_SJ_SK_SL_E_clISE_PmSF_SF_EESI_SY_SJ_SK_SL_EUlSY_E1_NS1_11comp_targetILNS1_3genE3ELNS1_11target_archE908ELNS1_3gpuE7ELNS1_3repE0EEENS1_36merge_oddeven_config_static_selectorELNS0_4arch9wavefront6targetE0EEEvSK_,@function
_ZN7rocprim17ROCPRIM_400000_NS6detail17trampoline_kernelINS0_14default_configENS1_38merge_sort_block_merge_config_selectorImNS0_10empty_typeEEEZZNS1_27merge_sort_block_merge_implIS3_N6thrust23THRUST_200600_302600_NS6detail15normal_iteratorINS9_10device_ptrImEEEEPS5_m11less_div_10ImEEE10hipError_tT0_T1_T2_jT3_P12ihipStream_tbPNSt15iterator_traitsISJ_E10value_typeEPNSP_ISK_E10value_typeEPSL_NS1_7vsmem_tEENKUlT_SJ_SK_SL_E_clISE_PmSF_SF_EESI_SY_SJ_SK_SL_EUlSY_E1_NS1_11comp_targetILNS1_3genE3ELNS1_11target_archE908ELNS1_3gpuE7ELNS1_3repE0EEENS1_36merge_oddeven_config_static_selectorELNS0_4arch9wavefront6targetE0EEEvSK_: ; @_ZN7rocprim17ROCPRIM_400000_NS6detail17trampoline_kernelINS0_14default_configENS1_38merge_sort_block_merge_config_selectorImNS0_10empty_typeEEEZZNS1_27merge_sort_block_merge_implIS3_N6thrust23THRUST_200600_302600_NS6detail15normal_iteratorINS9_10device_ptrImEEEEPS5_m11less_div_10ImEEE10hipError_tT0_T1_T2_jT3_P12ihipStream_tbPNSt15iterator_traitsISJ_E10value_typeEPNSP_ISK_E10value_typeEPSL_NS1_7vsmem_tEENKUlT_SJ_SK_SL_E_clISE_PmSF_SF_EESI_SY_SJ_SK_SL_EUlSY_E1_NS1_11comp_targetILNS1_3genE3ELNS1_11target_archE908ELNS1_3gpuE7ELNS1_3repE0EEENS1_36merge_oddeven_config_static_selectorELNS0_4arch9wavefront6targetE0EEEvSK_
; %bb.0:
	.section	.rodata,"a",@progbits
	.p2align	6, 0x0
	.amdhsa_kernel _ZN7rocprim17ROCPRIM_400000_NS6detail17trampoline_kernelINS0_14default_configENS1_38merge_sort_block_merge_config_selectorImNS0_10empty_typeEEEZZNS1_27merge_sort_block_merge_implIS3_N6thrust23THRUST_200600_302600_NS6detail15normal_iteratorINS9_10device_ptrImEEEEPS5_m11less_div_10ImEEE10hipError_tT0_T1_T2_jT3_P12ihipStream_tbPNSt15iterator_traitsISJ_E10value_typeEPNSP_ISK_E10value_typeEPSL_NS1_7vsmem_tEENKUlT_SJ_SK_SL_E_clISE_PmSF_SF_EESI_SY_SJ_SK_SL_EUlSY_E1_NS1_11comp_targetILNS1_3genE3ELNS1_11target_archE908ELNS1_3gpuE7ELNS1_3repE0EEENS1_36merge_oddeven_config_static_selectorELNS0_4arch9wavefront6targetE0EEEvSK_
		.amdhsa_group_segment_fixed_size 0
		.amdhsa_private_segment_fixed_size 0
		.amdhsa_kernarg_size 56
		.amdhsa_user_sgpr_count 6
		.amdhsa_user_sgpr_private_segment_buffer 1
		.amdhsa_user_sgpr_dispatch_ptr 0
		.amdhsa_user_sgpr_queue_ptr 0
		.amdhsa_user_sgpr_kernarg_segment_ptr 1
		.amdhsa_user_sgpr_dispatch_id 0
		.amdhsa_user_sgpr_flat_scratch_init 0
		.amdhsa_user_sgpr_private_segment_size 0
		.amdhsa_wavefront_size32 1
		.amdhsa_uses_dynamic_stack 0
		.amdhsa_system_sgpr_private_segment_wavefront_offset 0
		.amdhsa_system_sgpr_workgroup_id_x 1
		.amdhsa_system_sgpr_workgroup_id_y 0
		.amdhsa_system_sgpr_workgroup_id_z 0
		.amdhsa_system_sgpr_workgroup_info 0
		.amdhsa_system_vgpr_workitem_id 0
		.amdhsa_next_free_vgpr 1
		.amdhsa_next_free_sgpr 1
		.amdhsa_reserve_vcc 0
		.amdhsa_reserve_flat_scratch 0
		.amdhsa_float_round_mode_32 0
		.amdhsa_float_round_mode_16_64 0
		.amdhsa_float_denorm_mode_32 3
		.amdhsa_float_denorm_mode_16_64 3
		.amdhsa_dx10_clamp 1
		.amdhsa_ieee_mode 1
		.amdhsa_fp16_overflow 0
		.amdhsa_workgroup_processor_mode 1
		.amdhsa_memory_ordered 1
		.amdhsa_forward_progress 1
		.amdhsa_shared_vgpr_count 0
		.amdhsa_exception_fp_ieee_invalid_op 0
		.amdhsa_exception_fp_denorm_src 0
		.amdhsa_exception_fp_ieee_div_zero 0
		.amdhsa_exception_fp_ieee_overflow 0
		.amdhsa_exception_fp_ieee_underflow 0
		.amdhsa_exception_fp_ieee_inexact 0
		.amdhsa_exception_int_div_zero 0
	.end_amdhsa_kernel
	.section	.text._ZN7rocprim17ROCPRIM_400000_NS6detail17trampoline_kernelINS0_14default_configENS1_38merge_sort_block_merge_config_selectorImNS0_10empty_typeEEEZZNS1_27merge_sort_block_merge_implIS3_N6thrust23THRUST_200600_302600_NS6detail15normal_iteratorINS9_10device_ptrImEEEEPS5_m11less_div_10ImEEE10hipError_tT0_T1_T2_jT3_P12ihipStream_tbPNSt15iterator_traitsISJ_E10value_typeEPNSP_ISK_E10value_typeEPSL_NS1_7vsmem_tEENKUlT_SJ_SK_SL_E_clISE_PmSF_SF_EESI_SY_SJ_SK_SL_EUlSY_E1_NS1_11comp_targetILNS1_3genE3ELNS1_11target_archE908ELNS1_3gpuE7ELNS1_3repE0EEENS1_36merge_oddeven_config_static_selectorELNS0_4arch9wavefront6targetE0EEEvSK_,"axG",@progbits,_ZN7rocprim17ROCPRIM_400000_NS6detail17trampoline_kernelINS0_14default_configENS1_38merge_sort_block_merge_config_selectorImNS0_10empty_typeEEEZZNS1_27merge_sort_block_merge_implIS3_N6thrust23THRUST_200600_302600_NS6detail15normal_iteratorINS9_10device_ptrImEEEEPS5_m11less_div_10ImEEE10hipError_tT0_T1_T2_jT3_P12ihipStream_tbPNSt15iterator_traitsISJ_E10value_typeEPNSP_ISK_E10value_typeEPSL_NS1_7vsmem_tEENKUlT_SJ_SK_SL_E_clISE_PmSF_SF_EESI_SY_SJ_SK_SL_EUlSY_E1_NS1_11comp_targetILNS1_3genE3ELNS1_11target_archE908ELNS1_3gpuE7ELNS1_3repE0EEENS1_36merge_oddeven_config_static_selectorELNS0_4arch9wavefront6targetE0EEEvSK_,comdat
.Lfunc_end661:
	.size	_ZN7rocprim17ROCPRIM_400000_NS6detail17trampoline_kernelINS0_14default_configENS1_38merge_sort_block_merge_config_selectorImNS0_10empty_typeEEEZZNS1_27merge_sort_block_merge_implIS3_N6thrust23THRUST_200600_302600_NS6detail15normal_iteratorINS9_10device_ptrImEEEEPS5_m11less_div_10ImEEE10hipError_tT0_T1_T2_jT3_P12ihipStream_tbPNSt15iterator_traitsISJ_E10value_typeEPNSP_ISK_E10value_typeEPSL_NS1_7vsmem_tEENKUlT_SJ_SK_SL_E_clISE_PmSF_SF_EESI_SY_SJ_SK_SL_EUlSY_E1_NS1_11comp_targetILNS1_3genE3ELNS1_11target_archE908ELNS1_3gpuE7ELNS1_3repE0EEENS1_36merge_oddeven_config_static_selectorELNS0_4arch9wavefront6targetE0EEEvSK_, .Lfunc_end661-_ZN7rocprim17ROCPRIM_400000_NS6detail17trampoline_kernelINS0_14default_configENS1_38merge_sort_block_merge_config_selectorImNS0_10empty_typeEEEZZNS1_27merge_sort_block_merge_implIS3_N6thrust23THRUST_200600_302600_NS6detail15normal_iteratorINS9_10device_ptrImEEEEPS5_m11less_div_10ImEEE10hipError_tT0_T1_T2_jT3_P12ihipStream_tbPNSt15iterator_traitsISJ_E10value_typeEPNSP_ISK_E10value_typeEPSL_NS1_7vsmem_tEENKUlT_SJ_SK_SL_E_clISE_PmSF_SF_EESI_SY_SJ_SK_SL_EUlSY_E1_NS1_11comp_targetILNS1_3genE3ELNS1_11target_archE908ELNS1_3gpuE7ELNS1_3repE0EEENS1_36merge_oddeven_config_static_selectorELNS0_4arch9wavefront6targetE0EEEvSK_
                                        ; -- End function
	.set _ZN7rocprim17ROCPRIM_400000_NS6detail17trampoline_kernelINS0_14default_configENS1_38merge_sort_block_merge_config_selectorImNS0_10empty_typeEEEZZNS1_27merge_sort_block_merge_implIS3_N6thrust23THRUST_200600_302600_NS6detail15normal_iteratorINS9_10device_ptrImEEEEPS5_m11less_div_10ImEEE10hipError_tT0_T1_T2_jT3_P12ihipStream_tbPNSt15iterator_traitsISJ_E10value_typeEPNSP_ISK_E10value_typeEPSL_NS1_7vsmem_tEENKUlT_SJ_SK_SL_E_clISE_PmSF_SF_EESI_SY_SJ_SK_SL_EUlSY_E1_NS1_11comp_targetILNS1_3genE3ELNS1_11target_archE908ELNS1_3gpuE7ELNS1_3repE0EEENS1_36merge_oddeven_config_static_selectorELNS0_4arch9wavefront6targetE0EEEvSK_.num_vgpr, 0
	.set _ZN7rocprim17ROCPRIM_400000_NS6detail17trampoline_kernelINS0_14default_configENS1_38merge_sort_block_merge_config_selectorImNS0_10empty_typeEEEZZNS1_27merge_sort_block_merge_implIS3_N6thrust23THRUST_200600_302600_NS6detail15normal_iteratorINS9_10device_ptrImEEEEPS5_m11less_div_10ImEEE10hipError_tT0_T1_T2_jT3_P12ihipStream_tbPNSt15iterator_traitsISJ_E10value_typeEPNSP_ISK_E10value_typeEPSL_NS1_7vsmem_tEENKUlT_SJ_SK_SL_E_clISE_PmSF_SF_EESI_SY_SJ_SK_SL_EUlSY_E1_NS1_11comp_targetILNS1_3genE3ELNS1_11target_archE908ELNS1_3gpuE7ELNS1_3repE0EEENS1_36merge_oddeven_config_static_selectorELNS0_4arch9wavefront6targetE0EEEvSK_.num_agpr, 0
	.set _ZN7rocprim17ROCPRIM_400000_NS6detail17trampoline_kernelINS0_14default_configENS1_38merge_sort_block_merge_config_selectorImNS0_10empty_typeEEEZZNS1_27merge_sort_block_merge_implIS3_N6thrust23THRUST_200600_302600_NS6detail15normal_iteratorINS9_10device_ptrImEEEEPS5_m11less_div_10ImEEE10hipError_tT0_T1_T2_jT3_P12ihipStream_tbPNSt15iterator_traitsISJ_E10value_typeEPNSP_ISK_E10value_typeEPSL_NS1_7vsmem_tEENKUlT_SJ_SK_SL_E_clISE_PmSF_SF_EESI_SY_SJ_SK_SL_EUlSY_E1_NS1_11comp_targetILNS1_3genE3ELNS1_11target_archE908ELNS1_3gpuE7ELNS1_3repE0EEENS1_36merge_oddeven_config_static_selectorELNS0_4arch9wavefront6targetE0EEEvSK_.numbered_sgpr, 0
	.set _ZN7rocprim17ROCPRIM_400000_NS6detail17trampoline_kernelINS0_14default_configENS1_38merge_sort_block_merge_config_selectorImNS0_10empty_typeEEEZZNS1_27merge_sort_block_merge_implIS3_N6thrust23THRUST_200600_302600_NS6detail15normal_iteratorINS9_10device_ptrImEEEEPS5_m11less_div_10ImEEE10hipError_tT0_T1_T2_jT3_P12ihipStream_tbPNSt15iterator_traitsISJ_E10value_typeEPNSP_ISK_E10value_typeEPSL_NS1_7vsmem_tEENKUlT_SJ_SK_SL_E_clISE_PmSF_SF_EESI_SY_SJ_SK_SL_EUlSY_E1_NS1_11comp_targetILNS1_3genE3ELNS1_11target_archE908ELNS1_3gpuE7ELNS1_3repE0EEENS1_36merge_oddeven_config_static_selectorELNS0_4arch9wavefront6targetE0EEEvSK_.num_named_barrier, 0
	.set _ZN7rocprim17ROCPRIM_400000_NS6detail17trampoline_kernelINS0_14default_configENS1_38merge_sort_block_merge_config_selectorImNS0_10empty_typeEEEZZNS1_27merge_sort_block_merge_implIS3_N6thrust23THRUST_200600_302600_NS6detail15normal_iteratorINS9_10device_ptrImEEEEPS5_m11less_div_10ImEEE10hipError_tT0_T1_T2_jT3_P12ihipStream_tbPNSt15iterator_traitsISJ_E10value_typeEPNSP_ISK_E10value_typeEPSL_NS1_7vsmem_tEENKUlT_SJ_SK_SL_E_clISE_PmSF_SF_EESI_SY_SJ_SK_SL_EUlSY_E1_NS1_11comp_targetILNS1_3genE3ELNS1_11target_archE908ELNS1_3gpuE7ELNS1_3repE0EEENS1_36merge_oddeven_config_static_selectorELNS0_4arch9wavefront6targetE0EEEvSK_.private_seg_size, 0
	.set _ZN7rocprim17ROCPRIM_400000_NS6detail17trampoline_kernelINS0_14default_configENS1_38merge_sort_block_merge_config_selectorImNS0_10empty_typeEEEZZNS1_27merge_sort_block_merge_implIS3_N6thrust23THRUST_200600_302600_NS6detail15normal_iteratorINS9_10device_ptrImEEEEPS5_m11less_div_10ImEEE10hipError_tT0_T1_T2_jT3_P12ihipStream_tbPNSt15iterator_traitsISJ_E10value_typeEPNSP_ISK_E10value_typeEPSL_NS1_7vsmem_tEENKUlT_SJ_SK_SL_E_clISE_PmSF_SF_EESI_SY_SJ_SK_SL_EUlSY_E1_NS1_11comp_targetILNS1_3genE3ELNS1_11target_archE908ELNS1_3gpuE7ELNS1_3repE0EEENS1_36merge_oddeven_config_static_selectorELNS0_4arch9wavefront6targetE0EEEvSK_.uses_vcc, 0
	.set _ZN7rocprim17ROCPRIM_400000_NS6detail17trampoline_kernelINS0_14default_configENS1_38merge_sort_block_merge_config_selectorImNS0_10empty_typeEEEZZNS1_27merge_sort_block_merge_implIS3_N6thrust23THRUST_200600_302600_NS6detail15normal_iteratorINS9_10device_ptrImEEEEPS5_m11less_div_10ImEEE10hipError_tT0_T1_T2_jT3_P12ihipStream_tbPNSt15iterator_traitsISJ_E10value_typeEPNSP_ISK_E10value_typeEPSL_NS1_7vsmem_tEENKUlT_SJ_SK_SL_E_clISE_PmSF_SF_EESI_SY_SJ_SK_SL_EUlSY_E1_NS1_11comp_targetILNS1_3genE3ELNS1_11target_archE908ELNS1_3gpuE7ELNS1_3repE0EEENS1_36merge_oddeven_config_static_selectorELNS0_4arch9wavefront6targetE0EEEvSK_.uses_flat_scratch, 0
	.set _ZN7rocprim17ROCPRIM_400000_NS6detail17trampoline_kernelINS0_14default_configENS1_38merge_sort_block_merge_config_selectorImNS0_10empty_typeEEEZZNS1_27merge_sort_block_merge_implIS3_N6thrust23THRUST_200600_302600_NS6detail15normal_iteratorINS9_10device_ptrImEEEEPS5_m11less_div_10ImEEE10hipError_tT0_T1_T2_jT3_P12ihipStream_tbPNSt15iterator_traitsISJ_E10value_typeEPNSP_ISK_E10value_typeEPSL_NS1_7vsmem_tEENKUlT_SJ_SK_SL_E_clISE_PmSF_SF_EESI_SY_SJ_SK_SL_EUlSY_E1_NS1_11comp_targetILNS1_3genE3ELNS1_11target_archE908ELNS1_3gpuE7ELNS1_3repE0EEENS1_36merge_oddeven_config_static_selectorELNS0_4arch9wavefront6targetE0EEEvSK_.has_dyn_sized_stack, 0
	.set _ZN7rocprim17ROCPRIM_400000_NS6detail17trampoline_kernelINS0_14default_configENS1_38merge_sort_block_merge_config_selectorImNS0_10empty_typeEEEZZNS1_27merge_sort_block_merge_implIS3_N6thrust23THRUST_200600_302600_NS6detail15normal_iteratorINS9_10device_ptrImEEEEPS5_m11less_div_10ImEEE10hipError_tT0_T1_T2_jT3_P12ihipStream_tbPNSt15iterator_traitsISJ_E10value_typeEPNSP_ISK_E10value_typeEPSL_NS1_7vsmem_tEENKUlT_SJ_SK_SL_E_clISE_PmSF_SF_EESI_SY_SJ_SK_SL_EUlSY_E1_NS1_11comp_targetILNS1_3genE3ELNS1_11target_archE908ELNS1_3gpuE7ELNS1_3repE0EEENS1_36merge_oddeven_config_static_selectorELNS0_4arch9wavefront6targetE0EEEvSK_.has_recursion, 0
	.set _ZN7rocprim17ROCPRIM_400000_NS6detail17trampoline_kernelINS0_14default_configENS1_38merge_sort_block_merge_config_selectorImNS0_10empty_typeEEEZZNS1_27merge_sort_block_merge_implIS3_N6thrust23THRUST_200600_302600_NS6detail15normal_iteratorINS9_10device_ptrImEEEEPS5_m11less_div_10ImEEE10hipError_tT0_T1_T2_jT3_P12ihipStream_tbPNSt15iterator_traitsISJ_E10value_typeEPNSP_ISK_E10value_typeEPSL_NS1_7vsmem_tEENKUlT_SJ_SK_SL_E_clISE_PmSF_SF_EESI_SY_SJ_SK_SL_EUlSY_E1_NS1_11comp_targetILNS1_3genE3ELNS1_11target_archE908ELNS1_3gpuE7ELNS1_3repE0EEENS1_36merge_oddeven_config_static_selectorELNS0_4arch9wavefront6targetE0EEEvSK_.has_indirect_call, 0
	.section	.AMDGPU.csdata,"",@progbits
; Kernel info:
; codeLenInByte = 0
; TotalNumSgprs: 0
; NumVgprs: 0
; ScratchSize: 0
; MemoryBound: 0
; FloatMode: 240
; IeeeMode: 1
; LDSByteSize: 0 bytes/workgroup (compile time only)
; SGPRBlocks: 0
; VGPRBlocks: 0
; NumSGPRsForWavesPerEU: 1
; NumVGPRsForWavesPerEU: 1
; Occupancy: 16
; WaveLimiterHint : 0
; COMPUTE_PGM_RSRC2:SCRATCH_EN: 0
; COMPUTE_PGM_RSRC2:USER_SGPR: 6
; COMPUTE_PGM_RSRC2:TRAP_HANDLER: 0
; COMPUTE_PGM_RSRC2:TGID_X_EN: 1
; COMPUTE_PGM_RSRC2:TGID_Y_EN: 0
; COMPUTE_PGM_RSRC2:TGID_Z_EN: 0
; COMPUTE_PGM_RSRC2:TIDIG_COMP_CNT: 0
	.section	.text._ZN7rocprim17ROCPRIM_400000_NS6detail17trampoline_kernelINS0_14default_configENS1_38merge_sort_block_merge_config_selectorImNS0_10empty_typeEEEZZNS1_27merge_sort_block_merge_implIS3_N6thrust23THRUST_200600_302600_NS6detail15normal_iteratorINS9_10device_ptrImEEEEPS5_m11less_div_10ImEEE10hipError_tT0_T1_T2_jT3_P12ihipStream_tbPNSt15iterator_traitsISJ_E10value_typeEPNSP_ISK_E10value_typeEPSL_NS1_7vsmem_tEENKUlT_SJ_SK_SL_E_clISE_PmSF_SF_EESI_SY_SJ_SK_SL_EUlSY_E1_NS1_11comp_targetILNS1_3genE2ELNS1_11target_archE906ELNS1_3gpuE6ELNS1_3repE0EEENS1_36merge_oddeven_config_static_selectorELNS0_4arch9wavefront6targetE0EEEvSK_,"axG",@progbits,_ZN7rocprim17ROCPRIM_400000_NS6detail17trampoline_kernelINS0_14default_configENS1_38merge_sort_block_merge_config_selectorImNS0_10empty_typeEEEZZNS1_27merge_sort_block_merge_implIS3_N6thrust23THRUST_200600_302600_NS6detail15normal_iteratorINS9_10device_ptrImEEEEPS5_m11less_div_10ImEEE10hipError_tT0_T1_T2_jT3_P12ihipStream_tbPNSt15iterator_traitsISJ_E10value_typeEPNSP_ISK_E10value_typeEPSL_NS1_7vsmem_tEENKUlT_SJ_SK_SL_E_clISE_PmSF_SF_EESI_SY_SJ_SK_SL_EUlSY_E1_NS1_11comp_targetILNS1_3genE2ELNS1_11target_archE906ELNS1_3gpuE6ELNS1_3repE0EEENS1_36merge_oddeven_config_static_selectorELNS0_4arch9wavefront6targetE0EEEvSK_,comdat
	.protected	_ZN7rocprim17ROCPRIM_400000_NS6detail17trampoline_kernelINS0_14default_configENS1_38merge_sort_block_merge_config_selectorImNS0_10empty_typeEEEZZNS1_27merge_sort_block_merge_implIS3_N6thrust23THRUST_200600_302600_NS6detail15normal_iteratorINS9_10device_ptrImEEEEPS5_m11less_div_10ImEEE10hipError_tT0_T1_T2_jT3_P12ihipStream_tbPNSt15iterator_traitsISJ_E10value_typeEPNSP_ISK_E10value_typeEPSL_NS1_7vsmem_tEENKUlT_SJ_SK_SL_E_clISE_PmSF_SF_EESI_SY_SJ_SK_SL_EUlSY_E1_NS1_11comp_targetILNS1_3genE2ELNS1_11target_archE906ELNS1_3gpuE6ELNS1_3repE0EEENS1_36merge_oddeven_config_static_selectorELNS0_4arch9wavefront6targetE0EEEvSK_ ; -- Begin function _ZN7rocprim17ROCPRIM_400000_NS6detail17trampoline_kernelINS0_14default_configENS1_38merge_sort_block_merge_config_selectorImNS0_10empty_typeEEEZZNS1_27merge_sort_block_merge_implIS3_N6thrust23THRUST_200600_302600_NS6detail15normal_iteratorINS9_10device_ptrImEEEEPS5_m11less_div_10ImEEE10hipError_tT0_T1_T2_jT3_P12ihipStream_tbPNSt15iterator_traitsISJ_E10value_typeEPNSP_ISK_E10value_typeEPSL_NS1_7vsmem_tEENKUlT_SJ_SK_SL_E_clISE_PmSF_SF_EESI_SY_SJ_SK_SL_EUlSY_E1_NS1_11comp_targetILNS1_3genE2ELNS1_11target_archE906ELNS1_3gpuE6ELNS1_3repE0EEENS1_36merge_oddeven_config_static_selectorELNS0_4arch9wavefront6targetE0EEEvSK_
	.globl	_ZN7rocprim17ROCPRIM_400000_NS6detail17trampoline_kernelINS0_14default_configENS1_38merge_sort_block_merge_config_selectorImNS0_10empty_typeEEEZZNS1_27merge_sort_block_merge_implIS3_N6thrust23THRUST_200600_302600_NS6detail15normal_iteratorINS9_10device_ptrImEEEEPS5_m11less_div_10ImEEE10hipError_tT0_T1_T2_jT3_P12ihipStream_tbPNSt15iterator_traitsISJ_E10value_typeEPNSP_ISK_E10value_typeEPSL_NS1_7vsmem_tEENKUlT_SJ_SK_SL_E_clISE_PmSF_SF_EESI_SY_SJ_SK_SL_EUlSY_E1_NS1_11comp_targetILNS1_3genE2ELNS1_11target_archE906ELNS1_3gpuE6ELNS1_3repE0EEENS1_36merge_oddeven_config_static_selectorELNS0_4arch9wavefront6targetE0EEEvSK_
	.p2align	8
	.type	_ZN7rocprim17ROCPRIM_400000_NS6detail17trampoline_kernelINS0_14default_configENS1_38merge_sort_block_merge_config_selectorImNS0_10empty_typeEEEZZNS1_27merge_sort_block_merge_implIS3_N6thrust23THRUST_200600_302600_NS6detail15normal_iteratorINS9_10device_ptrImEEEEPS5_m11less_div_10ImEEE10hipError_tT0_T1_T2_jT3_P12ihipStream_tbPNSt15iterator_traitsISJ_E10value_typeEPNSP_ISK_E10value_typeEPSL_NS1_7vsmem_tEENKUlT_SJ_SK_SL_E_clISE_PmSF_SF_EESI_SY_SJ_SK_SL_EUlSY_E1_NS1_11comp_targetILNS1_3genE2ELNS1_11target_archE906ELNS1_3gpuE6ELNS1_3repE0EEENS1_36merge_oddeven_config_static_selectorELNS0_4arch9wavefront6targetE0EEEvSK_,@function
_ZN7rocprim17ROCPRIM_400000_NS6detail17trampoline_kernelINS0_14default_configENS1_38merge_sort_block_merge_config_selectorImNS0_10empty_typeEEEZZNS1_27merge_sort_block_merge_implIS3_N6thrust23THRUST_200600_302600_NS6detail15normal_iteratorINS9_10device_ptrImEEEEPS5_m11less_div_10ImEEE10hipError_tT0_T1_T2_jT3_P12ihipStream_tbPNSt15iterator_traitsISJ_E10value_typeEPNSP_ISK_E10value_typeEPSL_NS1_7vsmem_tEENKUlT_SJ_SK_SL_E_clISE_PmSF_SF_EESI_SY_SJ_SK_SL_EUlSY_E1_NS1_11comp_targetILNS1_3genE2ELNS1_11target_archE906ELNS1_3gpuE6ELNS1_3repE0EEENS1_36merge_oddeven_config_static_selectorELNS0_4arch9wavefront6targetE0EEEvSK_: ; @_ZN7rocprim17ROCPRIM_400000_NS6detail17trampoline_kernelINS0_14default_configENS1_38merge_sort_block_merge_config_selectorImNS0_10empty_typeEEEZZNS1_27merge_sort_block_merge_implIS3_N6thrust23THRUST_200600_302600_NS6detail15normal_iteratorINS9_10device_ptrImEEEEPS5_m11less_div_10ImEEE10hipError_tT0_T1_T2_jT3_P12ihipStream_tbPNSt15iterator_traitsISJ_E10value_typeEPNSP_ISK_E10value_typeEPSL_NS1_7vsmem_tEENKUlT_SJ_SK_SL_E_clISE_PmSF_SF_EESI_SY_SJ_SK_SL_EUlSY_E1_NS1_11comp_targetILNS1_3genE2ELNS1_11target_archE906ELNS1_3gpuE6ELNS1_3repE0EEENS1_36merge_oddeven_config_static_selectorELNS0_4arch9wavefront6targetE0EEEvSK_
; %bb.0:
	.section	.rodata,"a",@progbits
	.p2align	6, 0x0
	.amdhsa_kernel _ZN7rocprim17ROCPRIM_400000_NS6detail17trampoline_kernelINS0_14default_configENS1_38merge_sort_block_merge_config_selectorImNS0_10empty_typeEEEZZNS1_27merge_sort_block_merge_implIS3_N6thrust23THRUST_200600_302600_NS6detail15normal_iteratorINS9_10device_ptrImEEEEPS5_m11less_div_10ImEEE10hipError_tT0_T1_T2_jT3_P12ihipStream_tbPNSt15iterator_traitsISJ_E10value_typeEPNSP_ISK_E10value_typeEPSL_NS1_7vsmem_tEENKUlT_SJ_SK_SL_E_clISE_PmSF_SF_EESI_SY_SJ_SK_SL_EUlSY_E1_NS1_11comp_targetILNS1_3genE2ELNS1_11target_archE906ELNS1_3gpuE6ELNS1_3repE0EEENS1_36merge_oddeven_config_static_selectorELNS0_4arch9wavefront6targetE0EEEvSK_
		.amdhsa_group_segment_fixed_size 0
		.amdhsa_private_segment_fixed_size 0
		.amdhsa_kernarg_size 56
		.amdhsa_user_sgpr_count 6
		.amdhsa_user_sgpr_private_segment_buffer 1
		.amdhsa_user_sgpr_dispatch_ptr 0
		.amdhsa_user_sgpr_queue_ptr 0
		.amdhsa_user_sgpr_kernarg_segment_ptr 1
		.amdhsa_user_sgpr_dispatch_id 0
		.amdhsa_user_sgpr_flat_scratch_init 0
		.amdhsa_user_sgpr_private_segment_size 0
		.amdhsa_wavefront_size32 1
		.amdhsa_uses_dynamic_stack 0
		.amdhsa_system_sgpr_private_segment_wavefront_offset 0
		.amdhsa_system_sgpr_workgroup_id_x 1
		.amdhsa_system_sgpr_workgroup_id_y 0
		.amdhsa_system_sgpr_workgroup_id_z 0
		.amdhsa_system_sgpr_workgroup_info 0
		.amdhsa_system_vgpr_workitem_id 0
		.amdhsa_next_free_vgpr 1
		.amdhsa_next_free_sgpr 1
		.amdhsa_reserve_vcc 0
		.amdhsa_reserve_flat_scratch 0
		.amdhsa_float_round_mode_32 0
		.amdhsa_float_round_mode_16_64 0
		.amdhsa_float_denorm_mode_32 3
		.amdhsa_float_denorm_mode_16_64 3
		.amdhsa_dx10_clamp 1
		.amdhsa_ieee_mode 1
		.amdhsa_fp16_overflow 0
		.amdhsa_workgroup_processor_mode 1
		.amdhsa_memory_ordered 1
		.amdhsa_forward_progress 1
		.amdhsa_shared_vgpr_count 0
		.amdhsa_exception_fp_ieee_invalid_op 0
		.amdhsa_exception_fp_denorm_src 0
		.amdhsa_exception_fp_ieee_div_zero 0
		.amdhsa_exception_fp_ieee_overflow 0
		.amdhsa_exception_fp_ieee_underflow 0
		.amdhsa_exception_fp_ieee_inexact 0
		.amdhsa_exception_int_div_zero 0
	.end_amdhsa_kernel
	.section	.text._ZN7rocprim17ROCPRIM_400000_NS6detail17trampoline_kernelINS0_14default_configENS1_38merge_sort_block_merge_config_selectorImNS0_10empty_typeEEEZZNS1_27merge_sort_block_merge_implIS3_N6thrust23THRUST_200600_302600_NS6detail15normal_iteratorINS9_10device_ptrImEEEEPS5_m11less_div_10ImEEE10hipError_tT0_T1_T2_jT3_P12ihipStream_tbPNSt15iterator_traitsISJ_E10value_typeEPNSP_ISK_E10value_typeEPSL_NS1_7vsmem_tEENKUlT_SJ_SK_SL_E_clISE_PmSF_SF_EESI_SY_SJ_SK_SL_EUlSY_E1_NS1_11comp_targetILNS1_3genE2ELNS1_11target_archE906ELNS1_3gpuE6ELNS1_3repE0EEENS1_36merge_oddeven_config_static_selectorELNS0_4arch9wavefront6targetE0EEEvSK_,"axG",@progbits,_ZN7rocprim17ROCPRIM_400000_NS6detail17trampoline_kernelINS0_14default_configENS1_38merge_sort_block_merge_config_selectorImNS0_10empty_typeEEEZZNS1_27merge_sort_block_merge_implIS3_N6thrust23THRUST_200600_302600_NS6detail15normal_iteratorINS9_10device_ptrImEEEEPS5_m11less_div_10ImEEE10hipError_tT0_T1_T2_jT3_P12ihipStream_tbPNSt15iterator_traitsISJ_E10value_typeEPNSP_ISK_E10value_typeEPSL_NS1_7vsmem_tEENKUlT_SJ_SK_SL_E_clISE_PmSF_SF_EESI_SY_SJ_SK_SL_EUlSY_E1_NS1_11comp_targetILNS1_3genE2ELNS1_11target_archE906ELNS1_3gpuE6ELNS1_3repE0EEENS1_36merge_oddeven_config_static_selectorELNS0_4arch9wavefront6targetE0EEEvSK_,comdat
.Lfunc_end662:
	.size	_ZN7rocprim17ROCPRIM_400000_NS6detail17trampoline_kernelINS0_14default_configENS1_38merge_sort_block_merge_config_selectorImNS0_10empty_typeEEEZZNS1_27merge_sort_block_merge_implIS3_N6thrust23THRUST_200600_302600_NS6detail15normal_iteratorINS9_10device_ptrImEEEEPS5_m11less_div_10ImEEE10hipError_tT0_T1_T2_jT3_P12ihipStream_tbPNSt15iterator_traitsISJ_E10value_typeEPNSP_ISK_E10value_typeEPSL_NS1_7vsmem_tEENKUlT_SJ_SK_SL_E_clISE_PmSF_SF_EESI_SY_SJ_SK_SL_EUlSY_E1_NS1_11comp_targetILNS1_3genE2ELNS1_11target_archE906ELNS1_3gpuE6ELNS1_3repE0EEENS1_36merge_oddeven_config_static_selectorELNS0_4arch9wavefront6targetE0EEEvSK_, .Lfunc_end662-_ZN7rocprim17ROCPRIM_400000_NS6detail17trampoline_kernelINS0_14default_configENS1_38merge_sort_block_merge_config_selectorImNS0_10empty_typeEEEZZNS1_27merge_sort_block_merge_implIS3_N6thrust23THRUST_200600_302600_NS6detail15normal_iteratorINS9_10device_ptrImEEEEPS5_m11less_div_10ImEEE10hipError_tT0_T1_T2_jT3_P12ihipStream_tbPNSt15iterator_traitsISJ_E10value_typeEPNSP_ISK_E10value_typeEPSL_NS1_7vsmem_tEENKUlT_SJ_SK_SL_E_clISE_PmSF_SF_EESI_SY_SJ_SK_SL_EUlSY_E1_NS1_11comp_targetILNS1_3genE2ELNS1_11target_archE906ELNS1_3gpuE6ELNS1_3repE0EEENS1_36merge_oddeven_config_static_selectorELNS0_4arch9wavefront6targetE0EEEvSK_
                                        ; -- End function
	.set _ZN7rocprim17ROCPRIM_400000_NS6detail17trampoline_kernelINS0_14default_configENS1_38merge_sort_block_merge_config_selectorImNS0_10empty_typeEEEZZNS1_27merge_sort_block_merge_implIS3_N6thrust23THRUST_200600_302600_NS6detail15normal_iteratorINS9_10device_ptrImEEEEPS5_m11less_div_10ImEEE10hipError_tT0_T1_T2_jT3_P12ihipStream_tbPNSt15iterator_traitsISJ_E10value_typeEPNSP_ISK_E10value_typeEPSL_NS1_7vsmem_tEENKUlT_SJ_SK_SL_E_clISE_PmSF_SF_EESI_SY_SJ_SK_SL_EUlSY_E1_NS1_11comp_targetILNS1_3genE2ELNS1_11target_archE906ELNS1_3gpuE6ELNS1_3repE0EEENS1_36merge_oddeven_config_static_selectorELNS0_4arch9wavefront6targetE0EEEvSK_.num_vgpr, 0
	.set _ZN7rocprim17ROCPRIM_400000_NS6detail17trampoline_kernelINS0_14default_configENS1_38merge_sort_block_merge_config_selectorImNS0_10empty_typeEEEZZNS1_27merge_sort_block_merge_implIS3_N6thrust23THRUST_200600_302600_NS6detail15normal_iteratorINS9_10device_ptrImEEEEPS5_m11less_div_10ImEEE10hipError_tT0_T1_T2_jT3_P12ihipStream_tbPNSt15iterator_traitsISJ_E10value_typeEPNSP_ISK_E10value_typeEPSL_NS1_7vsmem_tEENKUlT_SJ_SK_SL_E_clISE_PmSF_SF_EESI_SY_SJ_SK_SL_EUlSY_E1_NS1_11comp_targetILNS1_3genE2ELNS1_11target_archE906ELNS1_3gpuE6ELNS1_3repE0EEENS1_36merge_oddeven_config_static_selectorELNS0_4arch9wavefront6targetE0EEEvSK_.num_agpr, 0
	.set _ZN7rocprim17ROCPRIM_400000_NS6detail17trampoline_kernelINS0_14default_configENS1_38merge_sort_block_merge_config_selectorImNS0_10empty_typeEEEZZNS1_27merge_sort_block_merge_implIS3_N6thrust23THRUST_200600_302600_NS6detail15normal_iteratorINS9_10device_ptrImEEEEPS5_m11less_div_10ImEEE10hipError_tT0_T1_T2_jT3_P12ihipStream_tbPNSt15iterator_traitsISJ_E10value_typeEPNSP_ISK_E10value_typeEPSL_NS1_7vsmem_tEENKUlT_SJ_SK_SL_E_clISE_PmSF_SF_EESI_SY_SJ_SK_SL_EUlSY_E1_NS1_11comp_targetILNS1_3genE2ELNS1_11target_archE906ELNS1_3gpuE6ELNS1_3repE0EEENS1_36merge_oddeven_config_static_selectorELNS0_4arch9wavefront6targetE0EEEvSK_.numbered_sgpr, 0
	.set _ZN7rocprim17ROCPRIM_400000_NS6detail17trampoline_kernelINS0_14default_configENS1_38merge_sort_block_merge_config_selectorImNS0_10empty_typeEEEZZNS1_27merge_sort_block_merge_implIS3_N6thrust23THRUST_200600_302600_NS6detail15normal_iteratorINS9_10device_ptrImEEEEPS5_m11less_div_10ImEEE10hipError_tT0_T1_T2_jT3_P12ihipStream_tbPNSt15iterator_traitsISJ_E10value_typeEPNSP_ISK_E10value_typeEPSL_NS1_7vsmem_tEENKUlT_SJ_SK_SL_E_clISE_PmSF_SF_EESI_SY_SJ_SK_SL_EUlSY_E1_NS1_11comp_targetILNS1_3genE2ELNS1_11target_archE906ELNS1_3gpuE6ELNS1_3repE0EEENS1_36merge_oddeven_config_static_selectorELNS0_4arch9wavefront6targetE0EEEvSK_.num_named_barrier, 0
	.set _ZN7rocprim17ROCPRIM_400000_NS6detail17trampoline_kernelINS0_14default_configENS1_38merge_sort_block_merge_config_selectorImNS0_10empty_typeEEEZZNS1_27merge_sort_block_merge_implIS3_N6thrust23THRUST_200600_302600_NS6detail15normal_iteratorINS9_10device_ptrImEEEEPS5_m11less_div_10ImEEE10hipError_tT0_T1_T2_jT3_P12ihipStream_tbPNSt15iterator_traitsISJ_E10value_typeEPNSP_ISK_E10value_typeEPSL_NS1_7vsmem_tEENKUlT_SJ_SK_SL_E_clISE_PmSF_SF_EESI_SY_SJ_SK_SL_EUlSY_E1_NS1_11comp_targetILNS1_3genE2ELNS1_11target_archE906ELNS1_3gpuE6ELNS1_3repE0EEENS1_36merge_oddeven_config_static_selectorELNS0_4arch9wavefront6targetE0EEEvSK_.private_seg_size, 0
	.set _ZN7rocprim17ROCPRIM_400000_NS6detail17trampoline_kernelINS0_14default_configENS1_38merge_sort_block_merge_config_selectorImNS0_10empty_typeEEEZZNS1_27merge_sort_block_merge_implIS3_N6thrust23THRUST_200600_302600_NS6detail15normal_iteratorINS9_10device_ptrImEEEEPS5_m11less_div_10ImEEE10hipError_tT0_T1_T2_jT3_P12ihipStream_tbPNSt15iterator_traitsISJ_E10value_typeEPNSP_ISK_E10value_typeEPSL_NS1_7vsmem_tEENKUlT_SJ_SK_SL_E_clISE_PmSF_SF_EESI_SY_SJ_SK_SL_EUlSY_E1_NS1_11comp_targetILNS1_3genE2ELNS1_11target_archE906ELNS1_3gpuE6ELNS1_3repE0EEENS1_36merge_oddeven_config_static_selectorELNS0_4arch9wavefront6targetE0EEEvSK_.uses_vcc, 0
	.set _ZN7rocprim17ROCPRIM_400000_NS6detail17trampoline_kernelINS0_14default_configENS1_38merge_sort_block_merge_config_selectorImNS0_10empty_typeEEEZZNS1_27merge_sort_block_merge_implIS3_N6thrust23THRUST_200600_302600_NS6detail15normal_iteratorINS9_10device_ptrImEEEEPS5_m11less_div_10ImEEE10hipError_tT0_T1_T2_jT3_P12ihipStream_tbPNSt15iterator_traitsISJ_E10value_typeEPNSP_ISK_E10value_typeEPSL_NS1_7vsmem_tEENKUlT_SJ_SK_SL_E_clISE_PmSF_SF_EESI_SY_SJ_SK_SL_EUlSY_E1_NS1_11comp_targetILNS1_3genE2ELNS1_11target_archE906ELNS1_3gpuE6ELNS1_3repE0EEENS1_36merge_oddeven_config_static_selectorELNS0_4arch9wavefront6targetE0EEEvSK_.uses_flat_scratch, 0
	.set _ZN7rocprim17ROCPRIM_400000_NS6detail17trampoline_kernelINS0_14default_configENS1_38merge_sort_block_merge_config_selectorImNS0_10empty_typeEEEZZNS1_27merge_sort_block_merge_implIS3_N6thrust23THRUST_200600_302600_NS6detail15normal_iteratorINS9_10device_ptrImEEEEPS5_m11less_div_10ImEEE10hipError_tT0_T1_T2_jT3_P12ihipStream_tbPNSt15iterator_traitsISJ_E10value_typeEPNSP_ISK_E10value_typeEPSL_NS1_7vsmem_tEENKUlT_SJ_SK_SL_E_clISE_PmSF_SF_EESI_SY_SJ_SK_SL_EUlSY_E1_NS1_11comp_targetILNS1_3genE2ELNS1_11target_archE906ELNS1_3gpuE6ELNS1_3repE0EEENS1_36merge_oddeven_config_static_selectorELNS0_4arch9wavefront6targetE0EEEvSK_.has_dyn_sized_stack, 0
	.set _ZN7rocprim17ROCPRIM_400000_NS6detail17trampoline_kernelINS0_14default_configENS1_38merge_sort_block_merge_config_selectorImNS0_10empty_typeEEEZZNS1_27merge_sort_block_merge_implIS3_N6thrust23THRUST_200600_302600_NS6detail15normal_iteratorINS9_10device_ptrImEEEEPS5_m11less_div_10ImEEE10hipError_tT0_T1_T2_jT3_P12ihipStream_tbPNSt15iterator_traitsISJ_E10value_typeEPNSP_ISK_E10value_typeEPSL_NS1_7vsmem_tEENKUlT_SJ_SK_SL_E_clISE_PmSF_SF_EESI_SY_SJ_SK_SL_EUlSY_E1_NS1_11comp_targetILNS1_3genE2ELNS1_11target_archE906ELNS1_3gpuE6ELNS1_3repE0EEENS1_36merge_oddeven_config_static_selectorELNS0_4arch9wavefront6targetE0EEEvSK_.has_recursion, 0
	.set _ZN7rocprim17ROCPRIM_400000_NS6detail17trampoline_kernelINS0_14default_configENS1_38merge_sort_block_merge_config_selectorImNS0_10empty_typeEEEZZNS1_27merge_sort_block_merge_implIS3_N6thrust23THRUST_200600_302600_NS6detail15normal_iteratorINS9_10device_ptrImEEEEPS5_m11less_div_10ImEEE10hipError_tT0_T1_T2_jT3_P12ihipStream_tbPNSt15iterator_traitsISJ_E10value_typeEPNSP_ISK_E10value_typeEPSL_NS1_7vsmem_tEENKUlT_SJ_SK_SL_E_clISE_PmSF_SF_EESI_SY_SJ_SK_SL_EUlSY_E1_NS1_11comp_targetILNS1_3genE2ELNS1_11target_archE906ELNS1_3gpuE6ELNS1_3repE0EEENS1_36merge_oddeven_config_static_selectorELNS0_4arch9wavefront6targetE0EEEvSK_.has_indirect_call, 0
	.section	.AMDGPU.csdata,"",@progbits
; Kernel info:
; codeLenInByte = 0
; TotalNumSgprs: 0
; NumVgprs: 0
; ScratchSize: 0
; MemoryBound: 0
; FloatMode: 240
; IeeeMode: 1
; LDSByteSize: 0 bytes/workgroup (compile time only)
; SGPRBlocks: 0
; VGPRBlocks: 0
; NumSGPRsForWavesPerEU: 1
; NumVGPRsForWavesPerEU: 1
; Occupancy: 16
; WaveLimiterHint : 0
; COMPUTE_PGM_RSRC2:SCRATCH_EN: 0
; COMPUTE_PGM_RSRC2:USER_SGPR: 6
; COMPUTE_PGM_RSRC2:TRAP_HANDLER: 0
; COMPUTE_PGM_RSRC2:TGID_X_EN: 1
; COMPUTE_PGM_RSRC2:TGID_Y_EN: 0
; COMPUTE_PGM_RSRC2:TGID_Z_EN: 0
; COMPUTE_PGM_RSRC2:TIDIG_COMP_CNT: 0
	.section	.text._ZN7rocprim17ROCPRIM_400000_NS6detail17trampoline_kernelINS0_14default_configENS1_38merge_sort_block_merge_config_selectorImNS0_10empty_typeEEEZZNS1_27merge_sort_block_merge_implIS3_N6thrust23THRUST_200600_302600_NS6detail15normal_iteratorINS9_10device_ptrImEEEEPS5_m11less_div_10ImEEE10hipError_tT0_T1_T2_jT3_P12ihipStream_tbPNSt15iterator_traitsISJ_E10value_typeEPNSP_ISK_E10value_typeEPSL_NS1_7vsmem_tEENKUlT_SJ_SK_SL_E_clISE_PmSF_SF_EESI_SY_SJ_SK_SL_EUlSY_E1_NS1_11comp_targetILNS1_3genE9ELNS1_11target_archE1100ELNS1_3gpuE3ELNS1_3repE0EEENS1_36merge_oddeven_config_static_selectorELNS0_4arch9wavefront6targetE0EEEvSK_,"axG",@progbits,_ZN7rocprim17ROCPRIM_400000_NS6detail17trampoline_kernelINS0_14default_configENS1_38merge_sort_block_merge_config_selectorImNS0_10empty_typeEEEZZNS1_27merge_sort_block_merge_implIS3_N6thrust23THRUST_200600_302600_NS6detail15normal_iteratorINS9_10device_ptrImEEEEPS5_m11less_div_10ImEEE10hipError_tT0_T1_T2_jT3_P12ihipStream_tbPNSt15iterator_traitsISJ_E10value_typeEPNSP_ISK_E10value_typeEPSL_NS1_7vsmem_tEENKUlT_SJ_SK_SL_E_clISE_PmSF_SF_EESI_SY_SJ_SK_SL_EUlSY_E1_NS1_11comp_targetILNS1_3genE9ELNS1_11target_archE1100ELNS1_3gpuE3ELNS1_3repE0EEENS1_36merge_oddeven_config_static_selectorELNS0_4arch9wavefront6targetE0EEEvSK_,comdat
	.protected	_ZN7rocprim17ROCPRIM_400000_NS6detail17trampoline_kernelINS0_14default_configENS1_38merge_sort_block_merge_config_selectorImNS0_10empty_typeEEEZZNS1_27merge_sort_block_merge_implIS3_N6thrust23THRUST_200600_302600_NS6detail15normal_iteratorINS9_10device_ptrImEEEEPS5_m11less_div_10ImEEE10hipError_tT0_T1_T2_jT3_P12ihipStream_tbPNSt15iterator_traitsISJ_E10value_typeEPNSP_ISK_E10value_typeEPSL_NS1_7vsmem_tEENKUlT_SJ_SK_SL_E_clISE_PmSF_SF_EESI_SY_SJ_SK_SL_EUlSY_E1_NS1_11comp_targetILNS1_3genE9ELNS1_11target_archE1100ELNS1_3gpuE3ELNS1_3repE0EEENS1_36merge_oddeven_config_static_selectorELNS0_4arch9wavefront6targetE0EEEvSK_ ; -- Begin function _ZN7rocprim17ROCPRIM_400000_NS6detail17trampoline_kernelINS0_14default_configENS1_38merge_sort_block_merge_config_selectorImNS0_10empty_typeEEEZZNS1_27merge_sort_block_merge_implIS3_N6thrust23THRUST_200600_302600_NS6detail15normal_iteratorINS9_10device_ptrImEEEEPS5_m11less_div_10ImEEE10hipError_tT0_T1_T2_jT3_P12ihipStream_tbPNSt15iterator_traitsISJ_E10value_typeEPNSP_ISK_E10value_typeEPSL_NS1_7vsmem_tEENKUlT_SJ_SK_SL_E_clISE_PmSF_SF_EESI_SY_SJ_SK_SL_EUlSY_E1_NS1_11comp_targetILNS1_3genE9ELNS1_11target_archE1100ELNS1_3gpuE3ELNS1_3repE0EEENS1_36merge_oddeven_config_static_selectorELNS0_4arch9wavefront6targetE0EEEvSK_
	.globl	_ZN7rocprim17ROCPRIM_400000_NS6detail17trampoline_kernelINS0_14default_configENS1_38merge_sort_block_merge_config_selectorImNS0_10empty_typeEEEZZNS1_27merge_sort_block_merge_implIS3_N6thrust23THRUST_200600_302600_NS6detail15normal_iteratorINS9_10device_ptrImEEEEPS5_m11less_div_10ImEEE10hipError_tT0_T1_T2_jT3_P12ihipStream_tbPNSt15iterator_traitsISJ_E10value_typeEPNSP_ISK_E10value_typeEPSL_NS1_7vsmem_tEENKUlT_SJ_SK_SL_E_clISE_PmSF_SF_EESI_SY_SJ_SK_SL_EUlSY_E1_NS1_11comp_targetILNS1_3genE9ELNS1_11target_archE1100ELNS1_3gpuE3ELNS1_3repE0EEENS1_36merge_oddeven_config_static_selectorELNS0_4arch9wavefront6targetE0EEEvSK_
	.p2align	8
	.type	_ZN7rocprim17ROCPRIM_400000_NS6detail17trampoline_kernelINS0_14default_configENS1_38merge_sort_block_merge_config_selectorImNS0_10empty_typeEEEZZNS1_27merge_sort_block_merge_implIS3_N6thrust23THRUST_200600_302600_NS6detail15normal_iteratorINS9_10device_ptrImEEEEPS5_m11less_div_10ImEEE10hipError_tT0_T1_T2_jT3_P12ihipStream_tbPNSt15iterator_traitsISJ_E10value_typeEPNSP_ISK_E10value_typeEPSL_NS1_7vsmem_tEENKUlT_SJ_SK_SL_E_clISE_PmSF_SF_EESI_SY_SJ_SK_SL_EUlSY_E1_NS1_11comp_targetILNS1_3genE9ELNS1_11target_archE1100ELNS1_3gpuE3ELNS1_3repE0EEENS1_36merge_oddeven_config_static_selectorELNS0_4arch9wavefront6targetE0EEEvSK_,@function
_ZN7rocprim17ROCPRIM_400000_NS6detail17trampoline_kernelINS0_14default_configENS1_38merge_sort_block_merge_config_selectorImNS0_10empty_typeEEEZZNS1_27merge_sort_block_merge_implIS3_N6thrust23THRUST_200600_302600_NS6detail15normal_iteratorINS9_10device_ptrImEEEEPS5_m11less_div_10ImEEE10hipError_tT0_T1_T2_jT3_P12ihipStream_tbPNSt15iterator_traitsISJ_E10value_typeEPNSP_ISK_E10value_typeEPSL_NS1_7vsmem_tEENKUlT_SJ_SK_SL_E_clISE_PmSF_SF_EESI_SY_SJ_SK_SL_EUlSY_E1_NS1_11comp_targetILNS1_3genE9ELNS1_11target_archE1100ELNS1_3gpuE3ELNS1_3repE0EEENS1_36merge_oddeven_config_static_selectorELNS0_4arch9wavefront6targetE0EEEvSK_: ; @_ZN7rocprim17ROCPRIM_400000_NS6detail17trampoline_kernelINS0_14default_configENS1_38merge_sort_block_merge_config_selectorImNS0_10empty_typeEEEZZNS1_27merge_sort_block_merge_implIS3_N6thrust23THRUST_200600_302600_NS6detail15normal_iteratorINS9_10device_ptrImEEEEPS5_m11less_div_10ImEEE10hipError_tT0_T1_T2_jT3_P12ihipStream_tbPNSt15iterator_traitsISJ_E10value_typeEPNSP_ISK_E10value_typeEPSL_NS1_7vsmem_tEENKUlT_SJ_SK_SL_E_clISE_PmSF_SF_EESI_SY_SJ_SK_SL_EUlSY_E1_NS1_11comp_targetILNS1_3genE9ELNS1_11target_archE1100ELNS1_3gpuE3ELNS1_3repE0EEENS1_36merge_oddeven_config_static_selectorELNS0_4arch9wavefront6targetE0EEEvSK_
; %bb.0:
	.section	.rodata,"a",@progbits
	.p2align	6, 0x0
	.amdhsa_kernel _ZN7rocprim17ROCPRIM_400000_NS6detail17trampoline_kernelINS0_14default_configENS1_38merge_sort_block_merge_config_selectorImNS0_10empty_typeEEEZZNS1_27merge_sort_block_merge_implIS3_N6thrust23THRUST_200600_302600_NS6detail15normal_iteratorINS9_10device_ptrImEEEEPS5_m11less_div_10ImEEE10hipError_tT0_T1_T2_jT3_P12ihipStream_tbPNSt15iterator_traitsISJ_E10value_typeEPNSP_ISK_E10value_typeEPSL_NS1_7vsmem_tEENKUlT_SJ_SK_SL_E_clISE_PmSF_SF_EESI_SY_SJ_SK_SL_EUlSY_E1_NS1_11comp_targetILNS1_3genE9ELNS1_11target_archE1100ELNS1_3gpuE3ELNS1_3repE0EEENS1_36merge_oddeven_config_static_selectorELNS0_4arch9wavefront6targetE0EEEvSK_
		.amdhsa_group_segment_fixed_size 0
		.amdhsa_private_segment_fixed_size 0
		.amdhsa_kernarg_size 56
		.amdhsa_user_sgpr_count 6
		.amdhsa_user_sgpr_private_segment_buffer 1
		.amdhsa_user_sgpr_dispatch_ptr 0
		.amdhsa_user_sgpr_queue_ptr 0
		.amdhsa_user_sgpr_kernarg_segment_ptr 1
		.amdhsa_user_sgpr_dispatch_id 0
		.amdhsa_user_sgpr_flat_scratch_init 0
		.amdhsa_user_sgpr_private_segment_size 0
		.amdhsa_wavefront_size32 1
		.amdhsa_uses_dynamic_stack 0
		.amdhsa_system_sgpr_private_segment_wavefront_offset 0
		.amdhsa_system_sgpr_workgroup_id_x 1
		.amdhsa_system_sgpr_workgroup_id_y 0
		.amdhsa_system_sgpr_workgroup_id_z 0
		.amdhsa_system_sgpr_workgroup_info 0
		.amdhsa_system_vgpr_workitem_id 0
		.amdhsa_next_free_vgpr 1
		.amdhsa_next_free_sgpr 1
		.amdhsa_reserve_vcc 0
		.amdhsa_reserve_flat_scratch 0
		.amdhsa_float_round_mode_32 0
		.amdhsa_float_round_mode_16_64 0
		.amdhsa_float_denorm_mode_32 3
		.amdhsa_float_denorm_mode_16_64 3
		.amdhsa_dx10_clamp 1
		.amdhsa_ieee_mode 1
		.amdhsa_fp16_overflow 0
		.amdhsa_workgroup_processor_mode 1
		.amdhsa_memory_ordered 1
		.amdhsa_forward_progress 1
		.amdhsa_shared_vgpr_count 0
		.amdhsa_exception_fp_ieee_invalid_op 0
		.amdhsa_exception_fp_denorm_src 0
		.amdhsa_exception_fp_ieee_div_zero 0
		.amdhsa_exception_fp_ieee_overflow 0
		.amdhsa_exception_fp_ieee_underflow 0
		.amdhsa_exception_fp_ieee_inexact 0
		.amdhsa_exception_int_div_zero 0
	.end_amdhsa_kernel
	.section	.text._ZN7rocprim17ROCPRIM_400000_NS6detail17trampoline_kernelINS0_14default_configENS1_38merge_sort_block_merge_config_selectorImNS0_10empty_typeEEEZZNS1_27merge_sort_block_merge_implIS3_N6thrust23THRUST_200600_302600_NS6detail15normal_iteratorINS9_10device_ptrImEEEEPS5_m11less_div_10ImEEE10hipError_tT0_T1_T2_jT3_P12ihipStream_tbPNSt15iterator_traitsISJ_E10value_typeEPNSP_ISK_E10value_typeEPSL_NS1_7vsmem_tEENKUlT_SJ_SK_SL_E_clISE_PmSF_SF_EESI_SY_SJ_SK_SL_EUlSY_E1_NS1_11comp_targetILNS1_3genE9ELNS1_11target_archE1100ELNS1_3gpuE3ELNS1_3repE0EEENS1_36merge_oddeven_config_static_selectorELNS0_4arch9wavefront6targetE0EEEvSK_,"axG",@progbits,_ZN7rocprim17ROCPRIM_400000_NS6detail17trampoline_kernelINS0_14default_configENS1_38merge_sort_block_merge_config_selectorImNS0_10empty_typeEEEZZNS1_27merge_sort_block_merge_implIS3_N6thrust23THRUST_200600_302600_NS6detail15normal_iteratorINS9_10device_ptrImEEEEPS5_m11less_div_10ImEEE10hipError_tT0_T1_T2_jT3_P12ihipStream_tbPNSt15iterator_traitsISJ_E10value_typeEPNSP_ISK_E10value_typeEPSL_NS1_7vsmem_tEENKUlT_SJ_SK_SL_E_clISE_PmSF_SF_EESI_SY_SJ_SK_SL_EUlSY_E1_NS1_11comp_targetILNS1_3genE9ELNS1_11target_archE1100ELNS1_3gpuE3ELNS1_3repE0EEENS1_36merge_oddeven_config_static_selectorELNS0_4arch9wavefront6targetE0EEEvSK_,comdat
.Lfunc_end663:
	.size	_ZN7rocprim17ROCPRIM_400000_NS6detail17trampoline_kernelINS0_14default_configENS1_38merge_sort_block_merge_config_selectorImNS0_10empty_typeEEEZZNS1_27merge_sort_block_merge_implIS3_N6thrust23THRUST_200600_302600_NS6detail15normal_iteratorINS9_10device_ptrImEEEEPS5_m11less_div_10ImEEE10hipError_tT0_T1_T2_jT3_P12ihipStream_tbPNSt15iterator_traitsISJ_E10value_typeEPNSP_ISK_E10value_typeEPSL_NS1_7vsmem_tEENKUlT_SJ_SK_SL_E_clISE_PmSF_SF_EESI_SY_SJ_SK_SL_EUlSY_E1_NS1_11comp_targetILNS1_3genE9ELNS1_11target_archE1100ELNS1_3gpuE3ELNS1_3repE0EEENS1_36merge_oddeven_config_static_selectorELNS0_4arch9wavefront6targetE0EEEvSK_, .Lfunc_end663-_ZN7rocprim17ROCPRIM_400000_NS6detail17trampoline_kernelINS0_14default_configENS1_38merge_sort_block_merge_config_selectorImNS0_10empty_typeEEEZZNS1_27merge_sort_block_merge_implIS3_N6thrust23THRUST_200600_302600_NS6detail15normal_iteratorINS9_10device_ptrImEEEEPS5_m11less_div_10ImEEE10hipError_tT0_T1_T2_jT3_P12ihipStream_tbPNSt15iterator_traitsISJ_E10value_typeEPNSP_ISK_E10value_typeEPSL_NS1_7vsmem_tEENKUlT_SJ_SK_SL_E_clISE_PmSF_SF_EESI_SY_SJ_SK_SL_EUlSY_E1_NS1_11comp_targetILNS1_3genE9ELNS1_11target_archE1100ELNS1_3gpuE3ELNS1_3repE0EEENS1_36merge_oddeven_config_static_selectorELNS0_4arch9wavefront6targetE0EEEvSK_
                                        ; -- End function
	.set _ZN7rocprim17ROCPRIM_400000_NS6detail17trampoline_kernelINS0_14default_configENS1_38merge_sort_block_merge_config_selectorImNS0_10empty_typeEEEZZNS1_27merge_sort_block_merge_implIS3_N6thrust23THRUST_200600_302600_NS6detail15normal_iteratorINS9_10device_ptrImEEEEPS5_m11less_div_10ImEEE10hipError_tT0_T1_T2_jT3_P12ihipStream_tbPNSt15iterator_traitsISJ_E10value_typeEPNSP_ISK_E10value_typeEPSL_NS1_7vsmem_tEENKUlT_SJ_SK_SL_E_clISE_PmSF_SF_EESI_SY_SJ_SK_SL_EUlSY_E1_NS1_11comp_targetILNS1_3genE9ELNS1_11target_archE1100ELNS1_3gpuE3ELNS1_3repE0EEENS1_36merge_oddeven_config_static_selectorELNS0_4arch9wavefront6targetE0EEEvSK_.num_vgpr, 0
	.set _ZN7rocprim17ROCPRIM_400000_NS6detail17trampoline_kernelINS0_14default_configENS1_38merge_sort_block_merge_config_selectorImNS0_10empty_typeEEEZZNS1_27merge_sort_block_merge_implIS3_N6thrust23THRUST_200600_302600_NS6detail15normal_iteratorINS9_10device_ptrImEEEEPS5_m11less_div_10ImEEE10hipError_tT0_T1_T2_jT3_P12ihipStream_tbPNSt15iterator_traitsISJ_E10value_typeEPNSP_ISK_E10value_typeEPSL_NS1_7vsmem_tEENKUlT_SJ_SK_SL_E_clISE_PmSF_SF_EESI_SY_SJ_SK_SL_EUlSY_E1_NS1_11comp_targetILNS1_3genE9ELNS1_11target_archE1100ELNS1_3gpuE3ELNS1_3repE0EEENS1_36merge_oddeven_config_static_selectorELNS0_4arch9wavefront6targetE0EEEvSK_.num_agpr, 0
	.set _ZN7rocprim17ROCPRIM_400000_NS6detail17trampoline_kernelINS0_14default_configENS1_38merge_sort_block_merge_config_selectorImNS0_10empty_typeEEEZZNS1_27merge_sort_block_merge_implIS3_N6thrust23THRUST_200600_302600_NS6detail15normal_iteratorINS9_10device_ptrImEEEEPS5_m11less_div_10ImEEE10hipError_tT0_T1_T2_jT3_P12ihipStream_tbPNSt15iterator_traitsISJ_E10value_typeEPNSP_ISK_E10value_typeEPSL_NS1_7vsmem_tEENKUlT_SJ_SK_SL_E_clISE_PmSF_SF_EESI_SY_SJ_SK_SL_EUlSY_E1_NS1_11comp_targetILNS1_3genE9ELNS1_11target_archE1100ELNS1_3gpuE3ELNS1_3repE0EEENS1_36merge_oddeven_config_static_selectorELNS0_4arch9wavefront6targetE0EEEvSK_.numbered_sgpr, 0
	.set _ZN7rocprim17ROCPRIM_400000_NS6detail17trampoline_kernelINS0_14default_configENS1_38merge_sort_block_merge_config_selectorImNS0_10empty_typeEEEZZNS1_27merge_sort_block_merge_implIS3_N6thrust23THRUST_200600_302600_NS6detail15normal_iteratorINS9_10device_ptrImEEEEPS5_m11less_div_10ImEEE10hipError_tT0_T1_T2_jT3_P12ihipStream_tbPNSt15iterator_traitsISJ_E10value_typeEPNSP_ISK_E10value_typeEPSL_NS1_7vsmem_tEENKUlT_SJ_SK_SL_E_clISE_PmSF_SF_EESI_SY_SJ_SK_SL_EUlSY_E1_NS1_11comp_targetILNS1_3genE9ELNS1_11target_archE1100ELNS1_3gpuE3ELNS1_3repE0EEENS1_36merge_oddeven_config_static_selectorELNS0_4arch9wavefront6targetE0EEEvSK_.num_named_barrier, 0
	.set _ZN7rocprim17ROCPRIM_400000_NS6detail17trampoline_kernelINS0_14default_configENS1_38merge_sort_block_merge_config_selectorImNS0_10empty_typeEEEZZNS1_27merge_sort_block_merge_implIS3_N6thrust23THRUST_200600_302600_NS6detail15normal_iteratorINS9_10device_ptrImEEEEPS5_m11less_div_10ImEEE10hipError_tT0_T1_T2_jT3_P12ihipStream_tbPNSt15iterator_traitsISJ_E10value_typeEPNSP_ISK_E10value_typeEPSL_NS1_7vsmem_tEENKUlT_SJ_SK_SL_E_clISE_PmSF_SF_EESI_SY_SJ_SK_SL_EUlSY_E1_NS1_11comp_targetILNS1_3genE9ELNS1_11target_archE1100ELNS1_3gpuE3ELNS1_3repE0EEENS1_36merge_oddeven_config_static_selectorELNS0_4arch9wavefront6targetE0EEEvSK_.private_seg_size, 0
	.set _ZN7rocprim17ROCPRIM_400000_NS6detail17trampoline_kernelINS0_14default_configENS1_38merge_sort_block_merge_config_selectorImNS0_10empty_typeEEEZZNS1_27merge_sort_block_merge_implIS3_N6thrust23THRUST_200600_302600_NS6detail15normal_iteratorINS9_10device_ptrImEEEEPS5_m11less_div_10ImEEE10hipError_tT0_T1_T2_jT3_P12ihipStream_tbPNSt15iterator_traitsISJ_E10value_typeEPNSP_ISK_E10value_typeEPSL_NS1_7vsmem_tEENKUlT_SJ_SK_SL_E_clISE_PmSF_SF_EESI_SY_SJ_SK_SL_EUlSY_E1_NS1_11comp_targetILNS1_3genE9ELNS1_11target_archE1100ELNS1_3gpuE3ELNS1_3repE0EEENS1_36merge_oddeven_config_static_selectorELNS0_4arch9wavefront6targetE0EEEvSK_.uses_vcc, 0
	.set _ZN7rocprim17ROCPRIM_400000_NS6detail17trampoline_kernelINS0_14default_configENS1_38merge_sort_block_merge_config_selectorImNS0_10empty_typeEEEZZNS1_27merge_sort_block_merge_implIS3_N6thrust23THRUST_200600_302600_NS6detail15normal_iteratorINS9_10device_ptrImEEEEPS5_m11less_div_10ImEEE10hipError_tT0_T1_T2_jT3_P12ihipStream_tbPNSt15iterator_traitsISJ_E10value_typeEPNSP_ISK_E10value_typeEPSL_NS1_7vsmem_tEENKUlT_SJ_SK_SL_E_clISE_PmSF_SF_EESI_SY_SJ_SK_SL_EUlSY_E1_NS1_11comp_targetILNS1_3genE9ELNS1_11target_archE1100ELNS1_3gpuE3ELNS1_3repE0EEENS1_36merge_oddeven_config_static_selectorELNS0_4arch9wavefront6targetE0EEEvSK_.uses_flat_scratch, 0
	.set _ZN7rocprim17ROCPRIM_400000_NS6detail17trampoline_kernelINS0_14default_configENS1_38merge_sort_block_merge_config_selectorImNS0_10empty_typeEEEZZNS1_27merge_sort_block_merge_implIS3_N6thrust23THRUST_200600_302600_NS6detail15normal_iteratorINS9_10device_ptrImEEEEPS5_m11less_div_10ImEEE10hipError_tT0_T1_T2_jT3_P12ihipStream_tbPNSt15iterator_traitsISJ_E10value_typeEPNSP_ISK_E10value_typeEPSL_NS1_7vsmem_tEENKUlT_SJ_SK_SL_E_clISE_PmSF_SF_EESI_SY_SJ_SK_SL_EUlSY_E1_NS1_11comp_targetILNS1_3genE9ELNS1_11target_archE1100ELNS1_3gpuE3ELNS1_3repE0EEENS1_36merge_oddeven_config_static_selectorELNS0_4arch9wavefront6targetE0EEEvSK_.has_dyn_sized_stack, 0
	.set _ZN7rocprim17ROCPRIM_400000_NS6detail17trampoline_kernelINS0_14default_configENS1_38merge_sort_block_merge_config_selectorImNS0_10empty_typeEEEZZNS1_27merge_sort_block_merge_implIS3_N6thrust23THRUST_200600_302600_NS6detail15normal_iteratorINS9_10device_ptrImEEEEPS5_m11less_div_10ImEEE10hipError_tT0_T1_T2_jT3_P12ihipStream_tbPNSt15iterator_traitsISJ_E10value_typeEPNSP_ISK_E10value_typeEPSL_NS1_7vsmem_tEENKUlT_SJ_SK_SL_E_clISE_PmSF_SF_EESI_SY_SJ_SK_SL_EUlSY_E1_NS1_11comp_targetILNS1_3genE9ELNS1_11target_archE1100ELNS1_3gpuE3ELNS1_3repE0EEENS1_36merge_oddeven_config_static_selectorELNS0_4arch9wavefront6targetE0EEEvSK_.has_recursion, 0
	.set _ZN7rocprim17ROCPRIM_400000_NS6detail17trampoline_kernelINS0_14default_configENS1_38merge_sort_block_merge_config_selectorImNS0_10empty_typeEEEZZNS1_27merge_sort_block_merge_implIS3_N6thrust23THRUST_200600_302600_NS6detail15normal_iteratorINS9_10device_ptrImEEEEPS5_m11less_div_10ImEEE10hipError_tT0_T1_T2_jT3_P12ihipStream_tbPNSt15iterator_traitsISJ_E10value_typeEPNSP_ISK_E10value_typeEPSL_NS1_7vsmem_tEENKUlT_SJ_SK_SL_E_clISE_PmSF_SF_EESI_SY_SJ_SK_SL_EUlSY_E1_NS1_11comp_targetILNS1_3genE9ELNS1_11target_archE1100ELNS1_3gpuE3ELNS1_3repE0EEENS1_36merge_oddeven_config_static_selectorELNS0_4arch9wavefront6targetE0EEEvSK_.has_indirect_call, 0
	.section	.AMDGPU.csdata,"",@progbits
; Kernel info:
; codeLenInByte = 0
; TotalNumSgprs: 0
; NumVgprs: 0
; ScratchSize: 0
; MemoryBound: 0
; FloatMode: 240
; IeeeMode: 1
; LDSByteSize: 0 bytes/workgroup (compile time only)
; SGPRBlocks: 0
; VGPRBlocks: 0
; NumSGPRsForWavesPerEU: 1
; NumVGPRsForWavesPerEU: 1
; Occupancy: 16
; WaveLimiterHint : 0
; COMPUTE_PGM_RSRC2:SCRATCH_EN: 0
; COMPUTE_PGM_RSRC2:USER_SGPR: 6
; COMPUTE_PGM_RSRC2:TRAP_HANDLER: 0
; COMPUTE_PGM_RSRC2:TGID_X_EN: 1
; COMPUTE_PGM_RSRC2:TGID_Y_EN: 0
; COMPUTE_PGM_RSRC2:TGID_Z_EN: 0
; COMPUTE_PGM_RSRC2:TIDIG_COMP_CNT: 0
	.section	.text._ZN7rocprim17ROCPRIM_400000_NS6detail17trampoline_kernelINS0_14default_configENS1_38merge_sort_block_merge_config_selectorImNS0_10empty_typeEEEZZNS1_27merge_sort_block_merge_implIS3_N6thrust23THRUST_200600_302600_NS6detail15normal_iteratorINS9_10device_ptrImEEEEPS5_m11less_div_10ImEEE10hipError_tT0_T1_T2_jT3_P12ihipStream_tbPNSt15iterator_traitsISJ_E10value_typeEPNSP_ISK_E10value_typeEPSL_NS1_7vsmem_tEENKUlT_SJ_SK_SL_E_clISE_PmSF_SF_EESI_SY_SJ_SK_SL_EUlSY_E1_NS1_11comp_targetILNS1_3genE8ELNS1_11target_archE1030ELNS1_3gpuE2ELNS1_3repE0EEENS1_36merge_oddeven_config_static_selectorELNS0_4arch9wavefront6targetE0EEEvSK_,"axG",@progbits,_ZN7rocprim17ROCPRIM_400000_NS6detail17trampoline_kernelINS0_14default_configENS1_38merge_sort_block_merge_config_selectorImNS0_10empty_typeEEEZZNS1_27merge_sort_block_merge_implIS3_N6thrust23THRUST_200600_302600_NS6detail15normal_iteratorINS9_10device_ptrImEEEEPS5_m11less_div_10ImEEE10hipError_tT0_T1_T2_jT3_P12ihipStream_tbPNSt15iterator_traitsISJ_E10value_typeEPNSP_ISK_E10value_typeEPSL_NS1_7vsmem_tEENKUlT_SJ_SK_SL_E_clISE_PmSF_SF_EESI_SY_SJ_SK_SL_EUlSY_E1_NS1_11comp_targetILNS1_3genE8ELNS1_11target_archE1030ELNS1_3gpuE2ELNS1_3repE0EEENS1_36merge_oddeven_config_static_selectorELNS0_4arch9wavefront6targetE0EEEvSK_,comdat
	.protected	_ZN7rocprim17ROCPRIM_400000_NS6detail17trampoline_kernelINS0_14default_configENS1_38merge_sort_block_merge_config_selectorImNS0_10empty_typeEEEZZNS1_27merge_sort_block_merge_implIS3_N6thrust23THRUST_200600_302600_NS6detail15normal_iteratorINS9_10device_ptrImEEEEPS5_m11less_div_10ImEEE10hipError_tT0_T1_T2_jT3_P12ihipStream_tbPNSt15iterator_traitsISJ_E10value_typeEPNSP_ISK_E10value_typeEPSL_NS1_7vsmem_tEENKUlT_SJ_SK_SL_E_clISE_PmSF_SF_EESI_SY_SJ_SK_SL_EUlSY_E1_NS1_11comp_targetILNS1_3genE8ELNS1_11target_archE1030ELNS1_3gpuE2ELNS1_3repE0EEENS1_36merge_oddeven_config_static_selectorELNS0_4arch9wavefront6targetE0EEEvSK_ ; -- Begin function _ZN7rocprim17ROCPRIM_400000_NS6detail17trampoline_kernelINS0_14default_configENS1_38merge_sort_block_merge_config_selectorImNS0_10empty_typeEEEZZNS1_27merge_sort_block_merge_implIS3_N6thrust23THRUST_200600_302600_NS6detail15normal_iteratorINS9_10device_ptrImEEEEPS5_m11less_div_10ImEEE10hipError_tT0_T1_T2_jT3_P12ihipStream_tbPNSt15iterator_traitsISJ_E10value_typeEPNSP_ISK_E10value_typeEPSL_NS1_7vsmem_tEENKUlT_SJ_SK_SL_E_clISE_PmSF_SF_EESI_SY_SJ_SK_SL_EUlSY_E1_NS1_11comp_targetILNS1_3genE8ELNS1_11target_archE1030ELNS1_3gpuE2ELNS1_3repE0EEENS1_36merge_oddeven_config_static_selectorELNS0_4arch9wavefront6targetE0EEEvSK_
	.globl	_ZN7rocprim17ROCPRIM_400000_NS6detail17trampoline_kernelINS0_14default_configENS1_38merge_sort_block_merge_config_selectorImNS0_10empty_typeEEEZZNS1_27merge_sort_block_merge_implIS3_N6thrust23THRUST_200600_302600_NS6detail15normal_iteratorINS9_10device_ptrImEEEEPS5_m11less_div_10ImEEE10hipError_tT0_T1_T2_jT3_P12ihipStream_tbPNSt15iterator_traitsISJ_E10value_typeEPNSP_ISK_E10value_typeEPSL_NS1_7vsmem_tEENKUlT_SJ_SK_SL_E_clISE_PmSF_SF_EESI_SY_SJ_SK_SL_EUlSY_E1_NS1_11comp_targetILNS1_3genE8ELNS1_11target_archE1030ELNS1_3gpuE2ELNS1_3repE0EEENS1_36merge_oddeven_config_static_selectorELNS0_4arch9wavefront6targetE0EEEvSK_
	.p2align	8
	.type	_ZN7rocprim17ROCPRIM_400000_NS6detail17trampoline_kernelINS0_14default_configENS1_38merge_sort_block_merge_config_selectorImNS0_10empty_typeEEEZZNS1_27merge_sort_block_merge_implIS3_N6thrust23THRUST_200600_302600_NS6detail15normal_iteratorINS9_10device_ptrImEEEEPS5_m11less_div_10ImEEE10hipError_tT0_T1_T2_jT3_P12ihipStream_tbPNSt15iterator_traitsISJ_E10value_typeEPNSP_ISK_E10value_typeEPSL_NS1_7vsmem_tEENKUlT_SJ_SK_SL_E_clISE_PmSF_SF_EESI_SY_SJ_SK_SL_EUlSY_E1_NS1_11comp_targetILNS1_3genE8ELNS1_11target_archE1030ELNS1_3gpuE2ELNS1_3repE0EEENS1_36merge_oddeven_config_static_selectorELNS0_4arch9wavefront6targetE0EEEvSK_,@function
_ZN7rocprim17ROCPRIM_400000_NS6detail17trampoline_kernelINS0_14default_configENS1_38merge_sort_block_merge_config_selectorImNS0_10empty_typeEEEZZNS1_27merge_sort_block_merge_implIS3_N6thrust23THRUST_200600_302600_NS6detail15normal_iteratorINS9_10device_ptrImEEEEPS5_m11less_div_10ImEEE10hipError_tT0_T1_T2_jT3_P12ihipStream_tbPNSt15iterator_traitsISJ_E10value_typeEPNSP_ISK_E10value_typeEPSL_NS1_7vsmem_tEENKUlT_SJ_SK_SL_E_clISE_PmSF_SF_EESI_SY_SJ_SK_SL_EUlSY_E1_NS1_11comp_targetILNS1_3genE8ELNS1_11target_archE1030ELNS1_3gpuE2ELNS1_3repE0EEENS1_36merge_oddeven_config_static_selectorELNS0_4arch9wavefront6targetE0EEEvSK_: ; @_ZN7rocprim17ROCPRIM_400000_NS6detail17trampoline_kernelINS0_14default_configENS1_38merge_sort_block_merge_config_selectorImNS0_10empty_typeEEEZZNS1_27merge_sort_block_merge_implIS3_N6thrust23THRUST_200600_302600_NS6detail15normal_iteratorINS9_10device_ptrImEEEEPS5_m11less_div_10ImEEE10hipError_tT0_T1_T2_jT3_P12ihipStream_tbPNSt15iterator_traitsISJ_E10value_typeEPNSP_ISK_E10value_typeEPSL_NS1_7vsmem_tEENKUlT_SJ_SK_SL_E_clISE_PmSF_SF_EESI_SY_SJ_SK_SL_EUlSY_E1_NS1_11comp_targetILNS1_3genE8ELNS1_11target_archE1030ELNS1_3gpuE2ELNS1_3repE0EEENS1_36merge_oddeven_config_static_selectorELNS0_4arch9wavefront6targetE0EEEvSK_
; %bb.0:
	s_load_dword s7, s[4:5], 0x20
	s_waitcnt lgkmcnt(0)
	s_lshr_b32 s0, s7, 8
	s_cmp_lg_u32 s6, s0
	s_cselect_b32 s13, -1, 0
	s_cmp_eq_u32 s6, s0
	s_cselect_b32 s12, -1, 0
	s_lshl_b32 s2, s6, 8
	s_sub_i32 s0, s7, s2
	v_cmp_gt_u32_e64 s1, s0, v0
	s_or_b32 s0, s13, s1
	s_and_saveexec_b32 s3, s0
	s_cbranch_execz .LBB664_20
; %bb.1:
	s_load_dwordx4 s[8:11], s[4:5], 0x0
	s_mov_b32 s3, 0
	v_lshlrev_b32_e32 v1, 3, v0
	s_lshl_b64 s[14:15], s[2:3], 3
	s_load_dword s5, s[4:5], 0x28
	v_add_nc_u32_e32 v3, s2, v0
	s_waitcnt lgkmcnt(0)
	s_add_u32 s14, s8, s14
	s_addc_u32 s15, s9, s15
	global_load_dwordx2 v[1:2], v1, s[14:15]
	s_lshr_b32 s0, s5, 8
	s_sub_i32 s4, 0, s0
	s_and_b32 s4, s6, s4
	s_and_b32 s0, s4, s0
	s_lshl_b32 s6, s4, 8
	s_sub_i32 s4, 0, s5
	s_cmp_eq_u32 s0, 0
	s_cselect_b32 s0, -1, 0
	s_and_b32 s14, s0, exec_lo
	s_cselect_b32 s4, s5, s4
	s_add_i32 s4, s4, s6
	s_cmp_lt_u32 s4, s7
	s_cbranch_scc1 .LBB664_3
; %bb.2:
	v_cmp_gt_u32_e32 vcc_lo, s7, v3
	s_or_b32 s3, vcc_lo, s13
	s_and_b32 s3, s3, exec_lo
	s_cbranch_execz .LBB664_4
	s_branch .LBB664_18
.LBB664_3:
.LBB664_4:
	s_waitcnt vmcnt(0)
	v_mul_hi_i32 v0, 0x66666667, v1
	s_min_u32 s2, s4, s7
	s_and_b32 vcc_lo, exec_lo, s12
	s_add_i32 s13, s6, s2
	s_min_u32 s6, s6, s2
	v_subrev_nc_u32_e32 v3, s13, v3
	s_add_i32 s5, s2, s5
	s_min_u32 s5, s5, s7
	v_lshrrev_b32_e32 v4, 31, v0
	v_ashrrev_i32_e32 v5, 2, v0
	v_add_nc_u32_e32 v0, s6, v3
	v_add_nc_u32_e32 v5, v5, v4
	s_cbranch_vccz .LBB664_12
; %bb.5:
                                        ; implicit-def: $vgpr3
	s_and_saveexec_b32 s6, s1
	s_cbranch_execz .LBB664_11
; %bb.6:
	v_mov_b32_e32 v6, s2
	s_cmp_ge_u32 s4, s5
	s_cbranch_scc1 .LBB664_10
; %bb.7:
	v_mov_b32_e32 v7, s5
	v_mov_b32_e32 v6, s2
	;; [unrolled: 1-line block ×3, first 2 shown]
	s_mov_b32 s1, 0
	s_inst_prefetch 0x1
	.p2align	6
.LBB664_8:                              ; =>This Inner Loop Header: Depth=1
	v_add_nc_u32_e32 v3, v6, v7
	v_lshrrev_b32_e32 v3, 1, v3
	v_lshlrev_b64 v[8:9], 3, v[3:4]
	v_add_co_u32 v8, vcc_lo, s8, v8
	v_add_co_ci_u32_e64 v9, null, s9, v9, vcc_lo
	global_load_dword v8, v[8:9], off
	s_waitcnt vmcnt(0)
	v_mul_hi_i32 v8, 0x66666667, v8
	v_lshrrev_b32_e32 v9, 31, v8
	v_ashrrev_i32_e32 v8, 2, v8
	v_add_nc_u32_e32 v8, v8, v9
	v_cmp_lt_i32_e32 vcc_lo, v8, v5
	v_cndmask_b32_e64 v9, 0, 1, vcc_lo
	v_cmp_ge_i32_e32 vcc_lo, v5, v8
	v_cndmask_b32_e64 v8, 0, 1, vcc_lo
	v_cndmask_b32_e64 v8, v8, v9, s0
	v_add_nc_u32_e32 v9, 1, v3
	v_and_b32_e32 v8, 1, v8
	v_cmp_eq_u32_e32 vcc_lo, 1, v8
	v_cndmask_b32_e32 v7, v3, v7, vcc_lo
	v_cndmask_b32_e32 v6, v6, v9, vcc_lo
	v_cmp_ge_u32_e32 vcc_lo, v6, v7
	s_or_b32 s1, vcc_lo, s1
	s_andn2_b32 exec_lo, exec_lo, s1
	s_cbranch_execnz .LBB664_8
; %bb.9:
	s_inst_prefetch 0x2
	s_or_b32 exec_lo, exec_lo, s1
.LBB664_10:
	v_add_nc_u32_e32 v3, v6, v0
	s_or_b32 s3, s3, exec_lo
.LBB664_11:
	s_or_b32 exec_lo, exec_lo, s6
	s_branch .LBB664_18
.LBB664_12:
                                        ; implicit-def: $vgpr3
	s_cbranch_execz .LBB664_18
; %bb.13:
	v_mov_b32_e32 v6, s2
	s_cmp_ge_u32 s4, s5
	s_cbranch_scc1 .LBB664_17
; %bb.14:
	v_mov_b32_e32 v7, s5
	v_mov_b32_e32 v6, s2
	;; [unrolled: 1-line block ×3, first 2 shown]
	s_mov_b32 s1, 0
	s_inst_prefetch 0x1
	.p2align	6
.LBB664_15:                             ; =>This Inner Loop Header: Depth=1
	v_add_nc_u32_e32 v3, v6, v7
	v_lshrrev_b32_e32 v3, 1, v3
	v_lshlrev_b64 v[8:9], 3, v[3:4]
	v_add_co_u32 v8, vcc_lo, s8, v8
	v_add_co_ci_u32_e64 v9, null, s9, v9, vcc_lo
	global_load_dword v8, v[8:9], off
	s_waitcnt vmcnt(0)
	v_mul_hi_i32 v8, 0x66666667, v8
	v_lshrrev_b32_e32 v9, 31, v8
	v_ashrrev_i32_e32 v8, 2, v8
	v_add_nc_u32_e32 v8, v8, v9
	v_cmp_lt_i32_e32 vcc_lo, v8, v5
	v_cndmask_b32_e64 v9, 0, 1, vcc_lo
	v_cmp_ge_i32_e32 vcc_lo, v5, v8
	v_cndmask_b32_e64 v8, 0, 1, vcc_lo
	v_cndmask_b32_e64 v8, v8, v9, s0
	v_add_nc_u32_e32 v9, 1, v3
	v_and_b32_e32 v8, 1, v8
	v_cmp_eq_u32_e32 vcc_lo, 1, v8
	v_cndmask_b32_e32 v7, v3, v7, vcc_lo
	v_cndmask_b32_e32 v6, v6, v9, vcc_lo
	v_cmp_ge_u32_e32 vcc_lo, v6, v7
	s_or_b32 s1, vcc_lo, s1
	s_andn2_b32 exec_lo, exec_lo, s1
	s_cbranch_execnz .LBB664_15
; %bb.16:
	s_inst_prefetch 0x2
	s_or_b32 exec_lo, exec_lo, s1
.LBB664_17:
	v_add_nc_u32_e32 v3, v6, v0
	s_mov_b32 s3, -1
.LBB664_18:
	s_and_b32 exec_lo, exec_lo, s3
	s_cbranch_execz .LBB664_20
; %bb.19:
	v_mov_b32_e32 v4, 0
	v_lshlrev_b64 v[3:4], 3, v[3:4]
	v_add_co_u32 v3, vcc_lo, s10, v3
	v_add_co_ci_u32_e64 v4, null, s11, v4, vcc_lo
	s_waitcnt vmcnt(0)
	global_store_dwordx2 v[3:4], v[1:2], off
.LBB664_20:
	s_endpgm
	.section	.rodata,"a",@progbits
	.p2align	6, 0x0
	.amdhsa_kernel _ZN7rocprim17ROCPRIM_400000_NS6detail17trampoline_kernelINS0_14default_configENS1_38merge_sort_block_merge_config_selectorImNS0_10empty_typeEEEZZNS1_27merge_sort_block_merge_implIS3_N6thrust23THRUST_200600_302600_NS6detail15normal_iteratorINS9_10device_ptrImEEEEPS5_m11less_div_10ImEEE10hipError_tT0_T1_T2_jT3_P12ihipStream_tbPNSt15iterator_traitsISJ_E10value_typeEPNSP_ISK_E10value_typeEPSL_NS1_7vsmem_tEENKUlT_SJ_SK_SL_E_clISE_PmSF_SF_EESI_SY_SJ_SK_SL_EUlSY_E1_NS1_11comp_targetILNS1_3genE8ELNS1_11target_archE1030ELNS1_3gpuE2ELNS1_3repE0EEENS1_36merge_oddeven_config_static_selectorELNS0_4arch9wavefront6targetE0EEEvSK_
		.amdhsa_group_segment_fixed_size 0
		.amdhsa_private_segment_fixed_size 0
		.amdhsa_kernarg_size 56
		.amdhsa_user_sgpr_count 6
		.amdhsa_user_sgpr_private_segment_buffer 1
		.amdhsa_user_sgpr_dispatch_ptr 0
		.amdhsa_user_sgpr_queue_ptr 0
		.amdhsa_user_sgpr_kernarg_segment_ptr 1
		.amdhsa_user_sgpr_dispatch_id 0
		.amdhsa_user_sgpr_flat_scratch_init 0
		.amdhsa_user_sgpr_private_segment_size 0
		.amdhsa_wavefront_size32 1
		.amdhsa_uses_dynamic_stack 0
		.amdhsa_system_sgpr_private_segment_wavefront_offset 0
		.amdhsa_system_sgpr_workgroup_id_x 1
		.amdhsa_system_sgpr_workgroup_id_y 0
		.amdhsa_system_sgpr_workgroup_id_z 0
		.amdhsa_system_sgpr_workgroup_info 0
		.amdhsa_system_vgpr_workitem_id 0
		.amdhsa_next_free_vgpr 10
		.amdhsa_next_free_sgpr 16
		.amdhsa_reserve_vcc 1
		.amdhsa_reserve_flat_scratch 0
		.amdhsa_float_round_mode_32 0
		.amdhsa_float_round_mode_16_64 0
		.amdhsa_float_denorm_mode_32 3
		.amdhsa_float_denorm_mode_16_64 3
		.amdhsa_dx10_clamp 1
		.amdhsa_ieee_mode 1
		.amdhsa_fp16_overflow 0
		.amdhsa_workgroup_processor_mode 1
		.amdhsa_memory_ordered 1
		.amdhsa_forward_progress 1
		.amdhsa_shared_vgpr_count 0
		.amdhsa_exception_fp_ieee_invalid_op 0
		.amdhsa_exception_fp_denorm_src 0
		.amdhsa_exception_fp_ieee_div_zero 0
		.amdhsa_exception_fp_ieee_overflow 0
		.amdhsa_exception_fp_ieee_underflow 0
		.amdhsa_exception_fp_ieee_inexact 0
		.amdhsa_exception_int_div_zero 0
	.end_amdhsa_kernel
	.section	.text._ZN7rocprim17ROCPRIM_400000_NS6detail17trampoline_kernelINS0_14default_configENS1_38merge_sort_block_merge_config_selectorImNS0_10empty_typeEEEZZNS1_27merge_sort_block_merge_implIS3_N6thrust23THRUST_200600_302600_NS6detail15normal_iteratorINS9_10device_ptrImEEEEPS5_m11less_div_10ImEEE10hipError_tT0_T1_T2_jT3_P12ihipStream_tbPNSt15iterator_traitsISJ_E10value_typeEPNSP_ISK_E10value_typeEPSL_NS1_7vsmem_tEENKUlT_SJ_SK_SL_E_clISE_PmSF_SF_EESI_SY_SJ_SK_SL_EUlSY_E1_NS1_11comp_targetILNS1_3genE8ELNS1_11target_archE1030ELNS1_3gpuE2ELNS1_3repE0EEENS1_36merge_oddeven_config_static_selectorELNS0_4arch9wavefront6targetE0EEEvSK_,"axG",@progbits,_ZN7rocprim17ROCPRIM_400000_NS6detail17trampoline_kernelINS0_14default_configENS1_38merge_sort_block_merge_config_selectorImNS0_10empty_typeEEEZZNS1_27merge_sort_block_merge_implIS3_N6thrust23THRUST_200600_302600_NS6detail15normal_iteratorINS9_10device_ptrImEEEEPS5_m11less_div_10ImEEE10hipError_tT0_T1_T2_jT3_P12ihipStream_tbPNSt15iterator_traitsISJ_E10value_typeEPNSP_ISK_E10value_typeEPSL_NS1_7vsmem_tEENKUlT_SJ_SK_SL_E_clISE_PmSF_SF_EESI_SY_SJ_SK_SL_EUlSY_E1_NS1_11comp_targetILNS1_3genE8ELNS1_11target_archE1030ELNS1_3gpuE2ELNS1_3repE0EEENS1_36merge_oddeven_config_static_selectorELNS0_4arch9wavefront6targetE0EEEvSK_,comdat
.Lfunc_end664:
	.size	_ZN7rocprim17ROCPRIM_400000_NS6detail17trampoline_kernelINS0_14default_configENS1_38merge_sort_block_merge_config_selectorImNS0_10empty_typeEEEZZNS1_27merge_sort_block_merge_implIS3_N6thrust23THRUST_200600_302600_NS6detail15normal_iteratorINS9_10device_ptrImEEEEPS5_m11less_div_10ImEEE10hipError_tT0_T1_T2_jT3_P12ihipStream_tbPNSt15iterator_traitsISJ_E10value_typeEPNSP_ISK_E10value_typeEPSL_NS1_7vsmem_tEENKUlT_SJ_SK_SL_E_clISE_PmSF_SF_EESI_SY_SJ_SK_SL_EUlSY_E1_NS1_11comp_targetILNS1_3genE8ELNS1_11target_archE1030ELNS1_3gpuE2ELNS1_3repE0EEENS1_36merge_oddeven_config_static_selectorELNS0_4arch9wavefront6targetE0EEEvSK_, .Lfunc_end664-_ZN7rocprim17ROCPRIM_400000_NS6detail17trampoline_kernelINS0_14default_configENS1_38merge_sort_block_merge_config_selectorImNS0_10empty_typeEEEZZNS1_27merge_sort_block_merge_implIS3_N6thrust23THRUST_200600_302600_NS6detail15normal_iteratorINS9_10device_ptrImEEEEPS5_m11less_div_10ImEEE10hipError_tT0_T1_T2_jT3_P12ihipStream_tbPNSt15iterator_traitsISJ_E10value_typeEPNSP_ISK_E10value_typeEPSL_NS1_7vsmem_tEENKUlT_SJ_SK_SL_E_clISE_PmSF_SF_EESI_SY_SJ_SK_SL_EUlSY_E1_NS1_11comp_targetILNS1_3genE8ELNS1_11target_archE1030ELNS1_3gpuE2ELNS1_3repE0EEENS1_36merge_oddeven_config_static_selectorELNS0_4arch9wavefront6targetE0EEEvSK_
                                        ; -- End function
	.set _ZN7rocprim17ROCPRIM_400000_NS6detail17trampoline_kernelINS0_14default_configENS1_38merge_sort_block_merge_config_selectorImNS0_10empty_typeEEEZZNS1_27merge_sort_block_merge_implIS3_N6thrust23THRUST_200600_302600_NS6detail15normal_iteratorINS9_10device_ptrImEEEEPS5_m11less_div_10ImEEE10hipError_tT0_T1_T2_jT3_P12ihipStream_tbPNSt15iterator_traitsISJ_E10value_typeEPNSP_ISK_E10value_typeEPSL_NS1_7vsmem_tEENKUlT_SJ_SK_SL_E_clISE_PmSF_SF_EESI_SY_SJ_SK_SL_EUlSY_E1_NS1_11comp_targetILNS1_3genE8ELNS1_11target_archE1030ELNS1_3gpuE2ELNS1_3repE0EEENS1_36merge_oddeven_config_static_selectorELNS0_4arch9wavefront6targetE0EEEvSK_.num_vgpr, 10
	.set _ZN7rocprim17ROCPRIM_400000_NS6detail17trampoline_kernelINS0_14default_configENS1_38merge_sort_block_merge_config_selectorImNS0_10empty_typeEEEZZNS1_27merge_sort_block_merge_implIS3_N6thrust23THRUST_200600_302600_NS6detail15normal_iteratorINS9_10device_ptrImEEEEPS5_m11less_div_10ImEEE10hipError_tT0_T1_T2_jT3_P12ihipStream_tbPNSt15iterator_traitsISJ_E10value_typeEPNSP_ISK_E10value_typeEPSL_NS1_7vsmem_tEENKUlT_SJ_SK_SL_E_clISE_PmSF_SF_EESI_SY_SJ_SK_SL_EUlSY_E1_NS1_11comp_targetILNS1_3genE8ELNS1_11target_archE1030ELNS1_3gpuE2ELNS1_3repE0EEENS1_36merge_oddeven_config_static_selectorELNS0_4arch9wavefront6targetE0EEEvSK_.num_agpr, 0
	.set _ZN7rocprim17ROCPRIM_400000_NS6detail17trampoline_kernelINS0_14default_configENS1_38merge_sort_block_merge_config_selectorImNS0_10empty_typeEEEZZNS1_27merge_sort_block_merge_implIS3_N6thrust23THRUST_200600_302600_NS6detail15normal_iteratorINS9_10device_ptrImEEEEPS5_m11less_div_10ImEEE10hipError_tT0_T1_T2_jT3_P12ihipStream_tbPNSt15iterator_traitsISJ_E10value_typeEPNSP_ISK_E10value_typeEPSL_NS1_7vsmem_tEENKUlT_SJ_SK_SL_E_clISE_PmSF_SF_EESI_SY_SJ_SK_SL_EUlSY_E1_NS1_11comp_targetILNS1_3genE8ELNS1_11target_archE1030ELNS1_3gpuE2ELNS1_3repE0EEENS1_36merge_oddeven_config_static_selectorELNS0_4arch9wavefront6targetE0EEEvSK_.numbered_sgpr, 16
	.set _ZN7rocprim17ROCPRIM_400000_NS6detail17trampoline_kernelINS0_14default_configENS1_38merge_sort_block_merge_config_selectorImNS0_10empty_typeEEEZZNS1_27merge_sort_block_merge_implIS3_N6thrust23THRUST_200600_302600_NS6detail15normal_iteratorINS9_10device_ptrImEEEEPS5_m11less_div_10ImEEE10hipError_tT0_T1_T2_jT3_P12ihipStream_tbPNSt15iterator_traitsISJ_E10value_typeEPNSP_ISK_E10value_typeEPSL_NS1_7vsmem_tEENKUlT_SJ_SK_SL_E_clISE_PmSF_SF_EESI_SY_SJ_SK_SL_EUlSY_E1_NS1_11comp_targetILNS1_3genE8ELNS1_11target_archE1030ELNS1_3gpuE2ELNS1_3repE0EEENS1_36merge_oddeven_config_static_selectorELNS0_4arch9wavefront6targetE0EEEvSK_.num_named_barrier, 0
	.set _ZN7rocprim17ROCPRIM_400000_NS6detail17trampoline_kernelINS0_14default_configENS1_38merge_sort_block_merge_config_selectorImNS0_10empty_typeEEEZZNS1_27merge_sort_block_merge_implIS3_N6thrust23THRUST_200600_302600_NS6detail15normal_iteratorINS9_10device_ptrImEEEEPS5_m11less_div_10ImEEE10hipError_tT0_T1_T2_jT3_P12ihipStream_tbPNSt15iterator_traitsISJ_E10value_typeEPNSP_ISK_E10value_typeEPSL_NS1_7vsmem_tEENKUlT_SJ_SK_SL_E_clISE_PmSF_SF_EESI_SY_SJ_SK_SL_EUlSY_E1_NS1_11comp_targetILNS1_3genE8ELNS1_11target_archE1030ELNS1_3gpuE2ELNS1_3repE0EEENS1_36merge_oddeven_config_static_selectorELNS0_4arch9wavefront6targetE0EEEvSK_.private_seg_size, 0
	.set _ZN7rocprim17ROCPRIM_400000_NS6detail17trampoline_kernelINS0_14default_configENS1_38merge_sort_block_merge_config_selectorImNS0_10empty_typeEEEZZNS1_27merge_sort_block_merge_implIS3_N6thrust23THRUST_200600_302600_NS6detail15normal_iteratorINS9_10device_ptrImEEEEPS5_m11less_div_10ImEEE10hipError_tT0_T1_T2_jT3_P12ihipStream_tbPNSt15iterator_traitsISJ_E10value_typeEPNSP_ISK_E10value_typeEPSL_NS1_7vsmem_tEENKUlT_SJ_SK_SL_E_clISE_PmSF_SF_EESI_SY_SJ_SK_SL_EUlSY_E1_NS1_11comp_targetILNS1_3genE8ELNS1_11target_archE1030ELNS1_3gpuE2ELNS1_3repE0EEENS1_36merge_oddeven_config_static_selectorELNS0_4arch9wavefront6targetE0EEEvSK_.uses_vcc, 1
	.set _ZN7rocprim17ROCPRIM_400000_NS6detail17trampoline_kernelINS0_14default_configENS1_38merge_sort_block_merge_config_selectorImNS0_10empty_typeEEEZZNS1_27merge_sort_block_merge_implIS3_N6thrust23THRUST_200600_302600_NS6detail15normal_iteratorINS9_10device_ptrImEEEEPS5_m11less_div_10ImEEE10hipError_tT0_T1_T2_jT3_P12ihipStream_tbPNSt15iterator_traitsISJ_E10value_typeEPNSP_ISK_E10value_typeEPSL_NS1_7vsmem_tEENKUlT_SJ_SK_SL_E_clISE_PmSF_SF_EESI_SY_SJ_SK_SL_EUlSY_E1_NS1_11comp_targetILNS1_3genE8ELNS1_11target_archE1030ELNS1_3gpuE2ELNS1_3repE0EEENS1_36merge_oddeven_config_static_selectorELNS0_4arch9wavefront6targetE0EEEvSK_.uses_flat_scratch, 0
	.set _ZN7rocprim17ROCPRIM_400000_NS6detail17trampoline_kernelINS0_14default_configENS1_38merge_sort_block_merge_config_selectorImNS0_10empty_typeEEEZZNS1_27merge_sort_block_merge_implIS3_N6thrust23THRUST_200600_302600_NS6detail15normal_iteratorINS9_10device_ptrImEEEEPS5_m11less_div_10ImEEE10hipError_tT0_T1_T2_jT3_P12ihipStream_tbPNSt15iterator_traitsISJ_E10value_typeEPNSP_ISK_E10value_typeEPSL_NS1_7vsmem_tEENKUlT_SJ_SK_SL_E_clISE_PmSF_SF_EESI_SY_SJ_SK_SL_EUlSY_E1_NS1_11comp_targetILNS1_3genE8ELNS1_11target_archE1030ELNS1_3gpuE2ELNS1_3repE0EEENS1_36merge_oddeven_config_static_selectorELNS0_4arch9wavefront6targetE0EEEvSK_.has_dyn_sized_stack, 0
	.set _ZN7rocprim17ROCPRIM_400000_NS6detail17trampoline_kernelINS0_14default_configENS1_38merge_sort_block_merge_config_selectorImNS0_10empty_typeEEEZZNS1_27merge_sort_block_merge_implIS3_N6thrust23THRUST_200600_302600_NS6detail15normal_iteratorINS9_10device_ptrImEEEEPS5_m11less_div_10ImEEE10hipError_tT0_T1_T2_jT3_P12ihipStream_tbPNSt15iterator_traitsISJ_E10value_typeEPNSP_ISK_E10value_typeEPSL_NS1_7vsmem_tEENKUlT_SJ_SK_SL_E_clISE_PmSF_SF_EESI_SY_SJ_SK_SL_EUlSY_E1_NS1_11comp_targetILNS1_3genE8ELNS1_11target_archE1030ELNS1_3gpuE2ELNS1_3repE0EEENS1_36merge_oddeven_config_static_selectorELNS0_4arch9wavefront6targetE0EEEvSK_.has_recursion, 0
	.set _ZN7rocprim17ROCPRIM_400000_NS6detail17trampoline_kernelINS0_14default_configENS1_38merge_sort_block_merge_config_selectorImNS0_10empty_typeEEEZZNS1_27merge_sort_block_merge_implIS3_N6thrust23THRUST_200600_302600_NS6detail15normal_iteratorINS9_10device_ptrImEEEEPS5_m11less_div_10ImEEE10hipError_tT0_T1_T2_jT3_P12ihipStream_tbPNSt15iterator_traitsISJ_E10value_typeEPNSP_ISK_E10value_typeEPSL_NS1_7vsmem_tEENKUlT_SJ_SK_SL_E_clISE_PmSF_SF_EESI_SY_SJ_SK_SL_EUlSY_E1_NS1_11comp_targetILNS1_3genE8ELNS1_11target_archE1030ELNS1_3gpuE2ELNS1_3repE0EEENS1_36merge_oddeven_config_static_selectorELNS0_4arch9wavefront6targetE0EEEvSK_.has_indirect_call, 0
	.section	.AMDGPU.csdata,"",@progbits
; Kernel info:
; codeLenInByte = 780
; TotalNumSgprs: 18
; NumVgprs: 10
; ScratchSize: 0
; MemoryBound: 0
; FloatMode: 240
; IeeeMode: 1
; LDSByteSize: 0 bytes/workgroup (compile time only)
; SGPRBlocks: 0
; VGPRBlocks: 1
; NumSGPRsForWavesPerEU: 18
; NumVGPRsForWavesPerEU: 10
; Occupancy: 16
; WaveLimiterHint : 0
; COMPUTE_PGM_RSRC2:SCRATCH_EN: 0
; COMPUTE_PGM_RSRC2:USER_SGPR: 6
; COMPUTE_PGM_RSRC2:TRAP_HANDLER: 0
; COMPUTE_PGM_RSRC2:TGID_X_EN: 1
; COMPUTE_PGM_RSRC2:TGID_Y_EN: 0
; COMPUTE_PGM_RSRC2:TGID_Z_EN: 0
; COMPUTE_PGM_RSRC2:TIDIG_COMP_CNT: 0
	.section	.text._ZN7rocprim17ROCPRIM_400000_NS6detail17trampoline_kernelINS0_14default_configENS1_25transform_config_selectorImLb0EEEZNS1_14transform_implILb0ES3_S5_PmN6thrust23THRUST_200600_302600_NS6detail15normal_iteratorINS9_10device_ptrImEEEENS0_8identityImEEEE10hipError_tT2_T3_mT4_P12ihipStream_tbEUlT_E_NS1_11comp_targetILNS1_3genE0ELNS1_11target_archE4294967295ELNS1_3gpuE0ELNS1_3repE0EEENS1_30default_config_static_selectorELNS0_4arch9wavefront6targetE0EEEvT1_,"axG",@progbits,_ZN7rocprim17ROCPRIM_400000_NS6detail17trampoline_kernelINS0_14default_configENS1_25transform_config_selectorImLb0EEEZNS1_14transform_implILb0ES3_S5_PmN6thrust23THRUST_200600_302600_NS6detail15normal_iteratorINS9_10device_ptrImEEEENS0_8identityImEEEE10hipError_tT2_T3_mT4_P12ihipStream_tbEUlT_E_NS1_11comp_targetILNS1_3genE0ELNS1_11target_archE4294967295ELNS1_3gpuE0ELNS1_3repE0EEENS1_30default_config_static_selectorELNS0_4arch9wavefront6targetE0EEEvT1_,comdat
	.protected	_ZN7rocprim17ROCPRIM_400000_NS6detail17trampoline_kernelINS0_14default_configENS1_25transform_config_selectorImLb0EEEZNS1_14transform_implILb0ES3_S5_PmN6thrust23THRUST_200600_302600_NS6detail15normal_iteratorINS9_10device_ptrImEEEENS0_8identityImEEEE10hipError_tT2_T3_mT4_P12ihipStream_tbEUlT_E_NS1_11comp_targetILNS1_3genE0ELNS1_11target_archE4294967295ELNS1_3gpuE0ELNS1_3repE0EEENS1_30default_config_static_selectorELNS0_4arch9wavefront6targetE0EEEvT1_ ; -- Begin function _ZN7rocprim17ROCPRIM_400000_NS6detail17trampoline_kernelINS0_14default_configENS1_25transform_config_selectorImLb0EEEZNS1_14transform_implILb0ES3_S5_PmN6thrust23THRUST_200600_302600_NS6detail15normal_iteratorINS9_10device_ptrImEEEENS0_8identityImEEEE10hipError_tT2_T3_mT4_P12ihipStream_tbEUlT_E_NS1_11comp_targetILNS1_3genE0ELNS1_11target_archE4294967295ELNS1_3gpuE0ELNS1_3repE0EEENS1_30default_config_static_selectorELNS0_4arch9wavefront6targetE0EEEvT1_
	.globl	_ZN7rocprim17ROCPRIM_400000_NS6detail17trampoline_kernelINS0_14default_configENS1_25transform_config_selectorImLb0EEEZNS1_14transform_implILb0ES3_S5_PmN6thrust23THRUST_200600_302600_NS6detail15normal_iteratorINS9_10device_ptrImEEEENS0_8identityImEEEE10hipError_tT2_T3_mT4_P12ihipStream_tbEUlT_E_NS1_11comp_targetILNS1_3genE0ELNS1_11target_archE4294967295ELNS1_3gpuE0ELNS1_3repE0EEENS1_30default_config_static_selectorELNS0_4arch9wavefront6targetE0EEEvT1_
	.p2align	8
	.type	_ZN7rocprim17ROCPRIM_400000_NS6detail17trampoline_kernelINS0_14default_configENS1_25transform_config_selectorImLb0EEEZNS1_14transform_implILb0ES3_S5_PmN6thrust23THRUST_200600_302600_NS6detail15normal_iteratorINS9_10device_ptrImEEEENS0_8identityImEEEE10hipError_tT2_T3_mT4_P12ihipStream_tbEUlT_E_NS1_11comp_targetILNS1_3genE0ELNS1_11target_archE4294967295ELNS1_3gpuE0ELNS1_3repE0EEENS1_30default_config_static_selectorELNS0_4arch9wavefront6targetE0EEEvT1_,@function
_ZN7rocprim17ROCPRIM_400000_NS6detail17trampoline_kernelINS0_14default_configENS1_25transform_config_selectorImLb0EEEZNS1_14transform_implILb0ES3_S5_PmN6thrust23THRUST_200600_302600_NS6detail15normal_iteratorINS9_10device_ptrImEEEENS0_8identityImEEEE10hipError_tT2_T3_mT4_P12ihipStream_tbEUlT_E_NS1_11comp_targetILNS1_3genE0ELNS1_11target_archE4294967295ELNS1_3gpuE0ELNS1_3repE0EEENS1_30default_config_static_selectorELNS0_4arch9wavefront6targetE0EEEvT1_: ; @_ZN7rocprim17ROCPRIM_400000_NS6detail17trampoline_kernelINS0_14default_configENS1_25transform_config_selectorImLb0EEEZNS1_14transform_implILb0ES3_S5_PmN6thrust23THRUST_200600_302600_NS6detail15normal_iteratorINS9_10device_ptrImEEEENS0_8identityImEEEE10hipError_tT2_T3_mT4_P12ihipStream_tbEUlT_E_NS1_11comp_targetILNS1_3genE0ELNS1_11target_archE4294967295ELNS1_3gpuE0ELNS1_3repE0EEENS1_30default_config_static_selectorELNS0_4arch9wavefront6targetE0EEEvT1_
; %bb.0:
	.section	.rodata,"a",@progbits
	.p2align	6, 0x0
	.amdhsa_kernel _ZN7rocprim17ROCPRIM_400000_NS6detail17trampoline_kernelINS0_14default_configENS1_25transform_config_selectorImLb0EEEZNS1_14transform_implILb0ES3_S5_PmN6thrust23THRUST_200600_302600_NS6detail15normal_iteratorINS9_10device_ptrImEEEENS0_8identityImEEEE10hipError_tT2_T3_mT4_P12ihipStream_tbEUlT_E_NS1_11comp_targetILNS1_3genE0ELNS1_11target_archE4294967295ELNS1_3gpuE0ELNS1_3repE0EEENS1_30default_config_static_selectorELNS0_4arch9wavefront6targetE0EEEvT1_
		.amdhsa_group_segment_fixed_size 0
		.amdhsa_private_segment_fixed_size 0
		.amdhsa_kernarg_size 40
		.amdhsa_user_sgpr_count 6
		.amdhsa_user_sgpr_private_segment_buffer 1
		.amdhsa_user_sgpr_dispatch_ptr 0
		.amdhsa_user_sgpr_queue_ptr 0
		.amdhsa_user_sgpr_kernarg_segment_ptr 1
		.amdhsa_user_sgpr_dispatch_id 0
		.amdhsa_user_sgpr_flat_scratch_init 0
		.amdhsa_user_sgpr_private_segment_size 0
		.amdhsa_wavefront_size32 1
		.amdhsa_uses_dynamic_stack 0
		.amdhsa_system_sgpr_private_segment_wavefront_offset 0
		.amdhsa_system_sgpr_workgroup_id_x 1
		.amdhsa_system_sgpr_workgroup_id_y 0
		.amdhsa_system_sgpr_workgroup_id_z 0
		.amdhsa_system_sgpr_workgroup_info 0
		.amdhsa_system_vgpr_workitem_id 0
		.amdhsa_next_free_vgpr 1
		.amdhsa_next_free_sgpr 1
		.amdhsa_reserve_vcc 0
		.amdhsa_reserve_flat_scratch 0
		.amdhsa_float_round_mode_32 0
		.amdhsa_float_round_mode_16_64 0
		.amdhsa_float_denorm_mode_32 3
		.amdhsa_float_denorm_mode_16_64 3
		.amdhsa_dx10_clamp 1
		.amdhsa_ieee_mode 1
		.amdhsa_fp16_overflow 0
		.amdhsa_workgroup_processor_mode 1
		.amdhsa_memory_ordered 1
		.amdhsa_forward_progress 1
		.amdhsa_shared_vgpr_count 0
		.amdhsa_exception_fp_ieee_invalid_op 0
		.amdhsa_exception_fp_denorm_src 0
		.amdhsa_exception_fp_ieee_div_zero 0
		.amdhsa_exception_fp_ieee_overflow 0
		.amdhsa_exception_fp_ieee_underflow 0
		.amdhsa_exception_fp_ieee_inexact 0
		.amdhsa_exception_int_div_zero 0
	.end_amdhsa_kernel
	.section	.text._ZN7rocprim17ROCPRIM_400000_NS6detail17trampoline_kernelINS0_14default_configENS1_25transform_config_selectorImLb0EEEZNS1_14transform_implILb0ES3_S5_PmN6thrust23THRUST_200600_302600_NS6detail15normal_iteratorINS9_10device_ptrImEEEENS0_8identityImEEEE10hipError_tT2_T3_mT4_P12ihipStream_tbEUlT_E_NS1_11comp_targetILNS1_3genE0ELNS1_11target_archE4294967295ELNS1_3gpuE0ELNS1_3repE0EEENS1_30default_config_static_selectorELNS0_4arch9wavefront6targetE0EEEvT1_,"axG",@progbits,_ZN7rocprim17ROCPRIM_400000_NS6detail17trampoline_kernelINS0_14default_configENS1_25transform_config_selectorImLb0EEEZNS1_14transform_implILb0ES3_S5_PmN6thrust23THRUST_200600_302600_NS6detail15normal_iteratorINS9_10device_ptrImEEEENS0_8identityImEEEE10hipError_tT2_T3_mT4_P12ihipStream_tbEUlT_E_NS1_11comp_targetILNS1_3genE0ELNS1_11target_archE4294967295ELNS1_3gpuE0ELNS1_3repE0EEENS1_30default_config_static_selectorELNS0_4arch9wavefront6targetE0EEEvT1_,comdat
.Lfunc_end665:
	.size	_ZN7rocprim17ROCPRIM_400000_NS6detail17trampoline_kernelINS0_14default_configENS1_25transform_config_selectorImLb0EEEZNS1_14transform_implILb0ES3_S5_PmN6thrust23THRUST_200600_302600_NS6detail15normal_iteratorINS9_10device_ptrImEEEENS0_8identityImEEEE10hipError_tT2_T3_mT4_P12ihipStream_tbEUlT_E_NS1_11comp_targetILNS1_3genE0ELNS1_11target_archE4294967295ELNS1_3gpuE0ELNS1_3repE0EEENS1_30default_config_static_selectorELNS0_4arch9wavefront6targetE0EEEvT1_, .Lfunc_end665-_ZN7rocprim17ROCPRIM_400000_NS6detail17trampoline_kernelINS0_14default_configENS1_25transform_config_selectorImLb0EEEZNS1_14transform_implILb0ES3_S5_PmN6thrust23THRUST_200600_302600_NS6detail15normal_iteratorINS9_10device_ptrImEEEENS0_8identityImEEEE10hipError_tT2_T3_mT4_P12ihipStream_tbEUlT_E_NS1_11comp_targetILNS1_3genE0ELNS1_11target_archE4294967295ELNS1_3gpuE0ELNS1_3repE0EEENS1_30default_config_static_selectorELNS0_4arch9wavefront6targetE0EEEvT1_
                                        ; -- End function
	.set _ZN7rocprim17ROCPRIM_400000_NS6detail17trampoline_kernelINS0_14default_configENS1_25transform_config_selectorImLb0EEEZNS1_14transform_implILb0ES3_S5_PmN6thrust23THRUST_200600_302600_NS6detail15normal_iteratorINS9_10device_ptrImEEEENS0_8identityImEEEE10hipError_tT2_T3_mT4_P12ihipStream_tbEUlT_E_NS1_11comp_targetILNS1_3genE0ELNS1_11target_archE4294967295ELNS1_3gpuE0ELNS1_3repE0EEENS1_30default_config_static_selectorELNS0_4arch9wavefront6targetE0EEEvT1_.num_vgpr, 0
	.set _ZN7rocprim17ROCPRIM_400000_NS6detail17trampoline_kernelINS0_14default_configENS1_25transform_config_selectorImLb0EEEZNS1_14transform_implILb0ES3_S5_PmN6thrust23THRUST_200600_302600_NS6detail15normal_iteratorINS9_10device_ptrImEEEENS0_8identityImEEEE10hipError_tT2_T3_mT4_P12ihipStream_tbEUlT_E_NS1_11comp_targetILNS1_3genE0ELNS1_11target_archE4294967295ELNS1_3gpuE0ELNS1_3repE0EEENS1_30default_config_static_selectorELNS0_4arch9wavefront6targetE0EEEvT1_.num_agpr, 0
	.set _ZN7rocprim17ROCPRIM_400000_NS6detail17trampoline_kernelINS0_14default_configENS1_25transform_config_selectorImLb0EEEZNS1_14transform_implILb0ES3_S5_PmN6thrust23THRUST_200600_302600_NS6detail15normal_iteratorINS9_10device_ptrImEEEENS0_8identityImEEEE10hipError_tT2_T3_mT4_P12ihipStream_tbEUlT_E_NS1_11comp_targetILNS1_3genE0ELNS1_11target_archE4294967295ELNS1_3gpuE0ELNS1_3repE0EEENS1_30default_config_static_selectorELNS0_4arch9wavefront6targetE0EEEvT1_.numbered_sgpr, 0
	.set _ZN7rocprim17ROCPRIM_400000_NS6detail17trampoline_kernelINS0_14default_configENS1_25transform_config_selectorImLb0EEEZNS1_14transform_implILb0ES3_S5_PmN6thrust23THRUST_200600_302600_NS6detail15normal_iteratorINS9_10device_ptrImEEEENS0_8identityImEEEE10hipError_tT2_T3_mT4_P12ihipStream_tbEUlT_E_NS1_11comp_targetILNS1_3genE0ELNS1_11target_archE4294967295ELNS1_3gpuE0ELNS1_3repE0EEENS1_30default_config_static_selectorELNS0_4arch9wavefront6targetE0EEEvT1_.num_named_barrier, 0
	.set _ZN7rocprim17ROCPRIM_400000_NS6detail17trampoline_kernelINS0_14default_configENS1_25transform_config_selectorImLb0EEEZNS1_14transform_implILb0ES3_S5_PmN6thrust23THRUST_200600_302600_NS6detail15normal_iteratorINS9_10device_ptrImEEEENS0_8identityImEEEE10hipError_tT2_T3_mT4_P12ihipStream_tbEUlT_E_NS1_11comp_targetILNS1_3genE0ELNS1_11target_archE4294967295ELNS1_3gpuE0ELNS1_3repE0EEENS1_30default_config_static_selectorELNS0_4arch9wavefront6targetE0EEEvT1_.private_seg_size, 0
	.set _ZN7rocprim17ROCPRIM_400000_NS6detail17trampoline_kernelINS0_14default_configENS1_25transform_config_selectorImLb0EEEZNS1_14transform_implILb0ES3_S5_PmN6thrust23THRUST_200600_302600_NS6detail15normal_iteratorINS9_10device_ptrImEEEENS0_8identityImEEEE10hipError_tT2_T3_mT4_P12ihipStream_tbEUlT_E_NS1_11comp_targetILNS1_3genE0ELNS1_11target_archE4294967295ELNS1_3gpuE0ELNS1_3repE0EEENS1_30default_config_static_selectorELNS0_4arch9wavefront6targetE0EEEvT1_.uses_vcc, 0
	.set _ZN7rocprim17ROCPRIM_400000_NS6detail17trampoline_kernelINS0_14default_configENS1_25transform_config_selectorImLb0EEEZNS1_14transform_implILb0ES3_S5_PmN6thrust23THRUST_200600_302600_NS6detail15normal_iteratorINS9_10device_ptrImEEEENS0_8identityImEEEE10hipError_tT2_T3_mT4_P12ihipStream_tbEUlT_E_NS1_11comp_targetILNS1_3genE0ELNS1_11target_archE4294967295ELNS1_3gpuE0ELNS1_3repE0EEENS1_30default_config_static_selectorELNS0_4arch9wavefront6targetE0EEEvT1_.uses_flat_scratch, 0
	.set _ZN7rocprim17ROCPRIM_400000_NS6detail17trampoline_kernelINS0_14default_configENS1_25transform_config_selectorImLb0EEEZNS1_14transform_implILb0ES3_S5_PmN6thrust23THRUST_200600_302600_NS6detail15normal_iteratorINS9_10device_ptrImEEEENS0_8identityImEEEE10hipError_tT2_T3_mT4_P12ihipStream_tbEUlT_E_NS1_11comp_targetILNS1_3genE0ELNS1_11target_archE4294967295ELNS1_3gpuE0ELNS1_3repE0EEENS1_30default_config_static_selectorELNS0_4arch9wavefront6targetE0EEEvT1_.has_dyn_sized_stack, 0
	.set _ZN7rocprim17ROCPRIM_400000_NS6detail17trampoline_kernelINS0_14default_configENS1_25transform_config_selectorImLb0EEEZNS1_14transform_implILb0ES3_S5_PmN6thrust23THRUST_200600_302600_NS6detail15normal_iteratorINS9_10device_ptrImEEEENS0_8identityImEEEE10hipError_tT2_T3_mT4_P12ihipStream_tbEUlT_E_NS1_11comp_targetILNS1_3genE0ELNS1_11target_archE4294967295ELNS1_3gpuE0ELNS1_3repE0EEENS1_30default_config_static_selectorELNS0_4arch9wavefront6targetE0EEEvT1_.has_recursion, 0
	.set _ZN7rocprim17ROCPRIM_400000_NS6detail17trampoline_kernelINS0_14default_configENS1_25transform_config_selectorImLb0EEEZNS1_14transform_implILb0ES3_S5_PmN6thrust23THRUST_200600_302600_NS6detail15normal_iteratorINS9_10device_ptrImEEEENS0_8identityImEEEE10hipError_tT2_T3_mT4_P12ihipStream_tbEUlT_E_NS1_11comp_targetILNS1_3genE0ELNS1_11target_archE4294967295ELNS1_3gpuE0ELNS1_3repE0EEENS1_30default_config_static_selectorELNS0_4arch9wavefront6targetE0EEEvT1_.has_indirect_call, 0
	.section	.AMDGPU.csdata,"",@progbits
; Kernel info:
; codeLenInByte = 0
; TotalNumSgprs: 0
; NumVgprs: 0
; ScratchSize: 0
; MemoryBound: 0
; FloatMode: 240
; IeeeMode: 1
; LDSByteSize: 0 bytes/workgroup (compile time only)
; SGPRBlocks: 0
; VGPRBlocks: 0
; NumSGPRsForWavesPerEU: 1
; NumVGPRsForWavesPerEU: 1
; Occupancy: 16
; WaveLimiterHint : 0
; COMPUTE_PGM_RSRC2:SCRATCH_EN: 0
; COMPUTE_PGM_RSRC2:USER_SGPR: 6
; COMPUTE_PGM_RSRC2:TRAP_HANDLER: 0
; COMPUTE_PGM_RSRC2:TGID_X_EN: 1
; COMPUTE_PGM_RSRC2:TGID_Y_EN: 0
; COMPUTE_PGM_RSRC2:TGID_Z_EN: 0
; COMPUTE_PGM_RSRC2:TIDIG_COMP_CNT: 0
	.section	.text._ZN7rocprim17ROCPRIM_400000_NS6detail17trampoline_kernelINS0_14default_configENS1_25transform_config_selectorImLb0EEEZNS1_14transform_implILb0ES3_S5_PmN6thrust23THRUST_200600_302600_NS6detail15normal_iteratorINS9_10device_ptrImEEEENS0_8identityImEEEE10hipError_tT2_T3_mT4_P12ihipStream_tbEUlT_E_NS1_11comp_targetILNS1_3genE5ELNS1_11target_archE942ELNS1_3gpuE9ELNS1_3repE0EEENS1_30default_config_static_selectorELNS0_4arch9wavefront6targetE0EEEvT1_,"axG",@progbits,_ZN7rocprim17ROCPRIM_400000_NS6detail17trampoline_kernelINS0_14default_configENS1_25transform_config_selectorImLb0EEEZNS1_14transform_implILb0ES3_S5_PmN6thrust23THRUST_200600_302600_NS6detail15normal_iteratorINS9_10device_ptrImEEEENS0_8identityImEEEE10hipError_tT2_T3_mT4_P12ihipStream_tbEUlT_E_NS1_11comp_targetILNS1_3genE5ELNS1_11target_archE942ELNS1_3gpuE9ELNS1_3repE0EEENS1_30default_config_static_selectorELNS0_4arch9wavefront6targetE0EEEvT1_,comdat
	.protected	_ZN7rocprim17ROCPRIM_400000_NS6detail17trampoline_kernelINS0_14default_configENS1_25transform_config_selectorImLb0EEEZNS1_14transform_implILb0ES3_S5_PmN6thrust23THRUST_200600_302600_NS6detail15normal_iteratorINS9_10device_ptrImEEEENS0_8identityImEEEE10hipError_tT2_T3_mT4_P12ihipStream_tbEUlT_E_NS1_11comp_targetILNS1_3genE5ELNS1_11target_archE942ELNS1_3gpuE9ELNS1_3repE0EEENS1_30default_config_static_selectorELNS0_4arch9wavefront6targetE0EEEvT1_ ; -- Begin function _ZN7rocprim17ROCPRIM_400000_NS6detail17trampoline_kernelINS0_14default_configENS1_25transform_config_selectorImLb0EEEZNS1_14transform_implILb0ES3_S5_PmN6thrust23THRUST_200600_302600_NS6detail15normal_iteratorINS9_10device_ptrImEEEENS0_8identityImEEEE10hipError_tT2_T3_mT4_P12ihipStream_tbEUlT_E_NS1_11comp_targetILNS1_3genE5ELNS1_11target_archE942ELNS1_3gpuE9ELNS1_3repE0EEENS1_30default_config_static_selectorELNS0_4arch9wavefront6targetE0EEEvT1_
	.globl	_ZN7rocprim17ROCPRIM_400000_NS6detail17trampoline_kernelINS0_14default_configENS1_25transform_config_selectorImLb0EEEZNS1_14transform_implILb0ES3_S5_PmN6thrust23THRUST_200600_302600_NS6detail15normal_iteratorINS9_10device_ptrImEEEENS0_8identityImEEEE10hipError_tT2_T3_mT4_P12ihipStream_tbEUlT_E_NS1_11comp_targetILNS1_3genE5ELNS1_11target_archE942ELNS1_3gpuE9ELNS1_3repE0EEENS1_30default_config_static_selectorELNS0_4arch9wavefront6targetE0EEEvT1_
	.p2align	8
	.type	_ZN7rocprim17ROCPRIM_400000_NS6detail17trampoline_kernelINS0_14default_configENS1_25transform_config_selectorImLb0EEEZNS1_14transform_implILb0ES3_S5_PmN6thrust23THRUST_200600_302600_NS6detail15normal_iteratorINS9_10device_ptrImEEEENS0_8identityImEEEE10hipError_tT2_T3_mT4_P12ihipStream_tbEUlT_E_NS1_11comp_targetILNS1_3genE5ELNS1_11target_archE942ELNS1_3gpuE9ELNS1_3repE0EEENS1_30default_config_static_selectorELNS0_4arch9wavefront6targetE0EEEvT1_,@function
_ZN7rocprim17ROCPRIM_400000_NS6detail17trampoline_kernelINS0_14default_configENS1_25transform_config_selectorImLb0EEEZNS1_14transform_implILb0ES3_S5_PmN6thrust23THRUST_200600_302600_NS6detail15normal_iteratorINS9_10device_ptrImEEEENS0_8identityImEEEE10hipError_tT2_T3_mT4_P12ihipStream_tbEUlT_E_NS1_11comp_targetILNS1_3genE5ELNS1_11target_archE942ELNS1_3gpuE9ELNS1_3repE0EEENS1_30default_config_static_selectorELNS0_4arch9wavefront6targetE0EEEvT1_: ; @_ZN7rocprim17ROCPRIM_400000_NS6detail17trampoline_kernelINS0_14default_configENS1_25transform_config_selectorImLb0EEEZNS1_14transform_implILb0ES3_S5_PmN6thrust23THRUST_200600_302600_NS6detail15normal_iteratorINS9_10device_ptrImEEEENS0_8identityImEEEE10hipError_tT2_T3_mT4_P12ihipStream_tbEUlT_E_NS1_11comp_targetILNS1_3genE5ELNS1_11target_archE942ELNS1_3gpuE9ELNS1_3repE0EEENS1_30default_config_static_selectorELNS0_4arch9wavefront6targetE0EEEvT1_
; %bb.0:
	.section	.rodata,"a",@progbits
	.p2align	6, 0x0
	.amdhsa_kernel _ZN7rocprim17ROCPRIM_400000_NS6detail17trampoline_kernelINS0_14default_configENS1_25transform_config_selectorImLb0EEEZNS1_14transform_implILb0ES3_S5_PmN6thrust23THRUST_200600_302600_NS6detail15normal_iteratorINS9_10device_ptrImEEEENS0_8identityImEEEE10hipError_tT2_T3_mT4_P12ihipStream_tbEUlT_E_NS1_11comp_targetILNS1_3genE5ELNS1_11target_archE942ELNS1_3gpuE9ELNS1_3repE0EEENS1_30default_config_static_selectorELNS0_4arch9wavefront6targetE0EEEvT1_
		.amdhsa_group_segment_fixed_size 0
		.amdhsa_private_segment_fixed_size 0
		.amdhsa_kernarg_size 40
		.amdhsa_user_sgpr_count 6
		.amdhsa_user_sgpr_private_segment_buffer 1
		.amdhsa_user_sgpr_dispatch_ptr 0
		.amdhsa_user_sgpr_queue_ptr 0
		.amdhsa_user_sgpr_kernarg_segment_ptr 1
		.amdhsa_user_sgpr_dispatch_id 0
		.amdhsa_user_sgpr_flat_scratch_init 0
		.amdhsa_user_sgpr_private_segment_size 0
		.amdhsa_wavefront_size32 1
		.amdhsa_uses_dynamic_stack 0
		.amdhsa_system_sgpr_private_segment_wavefront_offset 0
		.amdhsa_system_sgpr_workgroup_id_x 1
		.amdhsa_system_sgpr_workgroup_id_y 0
		.amdhsa_system_sgpr_workgroup_id_z 0
		.amdhsa_system_sgpr_workgroup_info 0
		.amdhsa_system_vgpr_workitem_id 0
		.amdhsa_next_free_vgpr 1
		.amdhsa_next_free_sgpr 1
		.amdhsa_reserve_vcc 0
		.amdhsa_reserve_flat_scratch 0
		.amdhsa_float_round_mode_32 0
		.amdhsa_float_round_mode_16_64 0
		.amdhsa_float_denorm_mode_32 3
		.amdhsa_float_denorm_mode_16_64 3
		.amdhsa_dx10_clamp 1
		.amdhsa_ieee_mode 1
		.amdhsa_fp16_overflow 0
		.amdhsa_workgroup_processor_mode 1
		.amdhsa_memory_ordered 1
		.amdhsa_forward_progress 1
		.amdhsa_shared_vgpr_count 0
		.amdhsa_exception_fp_ieee_invalid_op 0
		.amdhsa_exception_fp_denorm_src 0
		.amdhsa_exception_fp_ieee_div_zero 0
		.amdhsa_exception_fp_ieee_overflow 0
		.amdhsa_exception_fp_ieee_underflow 0
		.amdhsa_exception_fp_ieee_inexact 0
		.amdhsa_exception_int_div_zero 0
	.end_amdhsa_kernel
	.section	.text._ZN7rocprim17ROCPRIM_400000_NS6detail17trampoline_kernelINS0_14default_configENS1_25transform_config_selectorImLb0EEEZNS1_14transform_implILb0ES3_S5_PmN6thrust23THRUST_200600_302600_NS6detail15normal_iteratorINS9_10device_ptrImEEEENS0_8identityImEEEE10hipError_tT2_T3_mT4_P12ihipStream_tbEUlT_E_NS1_11comp_targetILNS1_3genE5ELNS1_11target_archE942ELNS1_3gpuE9ELNS1_3repE0EEENS1_30default_config_static_selectorELNS0_4arch9wavefront6targetE0EEEvT1_,"axG",@progbits,_ZN7rocprim17ROCPRIM_400000_NS6detail17trampoline_kernelINS0_14default_configENS1_25transform_config_selectorImLb0EEEZNS1_14transform_implILb0ES3_S5_PmN6thrust23THRUST_200600_302600_NS6detail15normal_iteratorINS9_10device_ptrImEEEENS0_8identityImEEEE10hipError_tT2_T3_mT4_P12ihipStream_tbEUlT_E_NS1_11comp_targetILNS1_3genE5ELNS1_11target_archE942ELNS1_3gpuE9ELNS1_3repE0EEENS1_30default_config_static_selectorELNS0_4arch9wavefront6targetE0EEEvT1_,comdat
.Lfunc_end666:
	.size	_ZN7rocprim17ROCPRIM_400000_NS6detail17trampoline_kernelINS0_14default_configENS1_25transform_config_selectorImLb0EEEZNS1_14transform_implILb0ES3_S5_PmN6thrust23THRUST_200600_302600_NS6detail15normal_iteratorINS9_10device_ptrImEEEENS0_8identityImEEEE10hipError_tT2_T3_mT4_P12ihipStream_tbEUlT_E_NS1_11comp_targetILNS1_3genE5ELNS1_11target_archE942ELNS1_3gpuE9ELNS1_3repE0EEENS1_30default_config_static_selectorELNS0_4arch9wavefront6targetE0EEEvT1_, .Lfunc_end666-_ZN7rocprim17ROCPRIM_400000_NS6detail17trampoline_kernelINS0_14default_configENS1_25transform_config_selectorImLb0EEEZNS1_14transform_implILb0ES3_S5_PmN6thrust23THRUST_200600_302600_NS6detail15normal_iteratorINS9_10device_ptrImEEEENS0_8identityImEEEE10hipError_tT2_T3_mT4_P12ihipStream_tbEUlT_E_NS1_11comp_targetILNS1_3genE5ELNS1_11target_archE942ELNS1_3gpuE9ELNS1_3repE0EEENS1_30default_config_static_selectorELNS0_4arch9wavefront6targetE0EEEvT1_
                                        ; -- End function
	.set _ZN7rocprim17ROCPRIM_400000_NS6detail17trampoline_kernelINS0_14default_configENS1_25transform_config_selectorImLb0EEEZNS1_14transform_implILb0ES3_S5_PmN6thrust23THRUST_200600_302600_NS6detail15normal_iteratorINS9_10device_ptrImEEEENS0_8identityImEEEE10hipError_tT2_T3_mT4_P12ihipStream_tbEUlT_E_NS1_11comp_targetILNS1_3genE5ELNS1_11target_archE942ELNS1_3gpuE9ELNS1_3repE0EEENS1_30default_config_static_selectorELNS0_4arch9wavefront6targetE0EEEvT1_.num_vgpr, 0
	.set _ZN7rocprim17ROCPRIM_400000_NS6detail17trampoline_kernelINS0_14default_configENS1_25transform_config_selectorImLb0EEEZNS1_14transform_implILb0ES3_S5_PmN6thrust23THRUST_200600_302600_NS6detail15normal_iteratorINS9_10device_ptrImEEEENS0_8identityImEEEE10hipError_tT2_T3_mT4_P12ihipStream_tbEUlT_E_NS1_11comp_targetILNS1_3genE5ELNS1_11target_archE942ELNS1_3gpuE9ELNS1_3repE0EEENS1_30default_config_static_selectorELNS0_4arch9wavefront6targetE0EEEvT1_.num_agpr, 0
	.set _ZN7rocprim17ROCPRIM_400000_NS6detail17trampoline_kernelINS0_14default_configENS1_25transform_config_selectorImLb0EEEZNS1_14transform_implILb0ES3_S5_PmN6thrust23THRUST_200600_302600_NS6detail15normal_iteratorINS9_10device_ptrImEEEENS0_8identityImEEEE10hipError_tT2_T3_mT4_P12ihipStream_tbEUlT_E_NS1_11comp_targetILNS1_3genE5ELNS1_11target_archE942ELNS1_3gpuE9ELNS1_3repE0EEENS1_30default_config_static_selectorELNS0_4arch9wavefront6targetE0EEEvT1_.numbered_sgpr, 0
	.set _ZN7rocprim17ROCPRIM_400000_NS6detail17trampoline_kernelINS0_14default_configENS1_25transform_config_selectorImLb0EEEZNS1_14transform_implILb0ES3_S5_PmN6thrust23THRUST_200600_302600_NS6detail15normal_iteratorINS9_10device_ptrImEEEENS0_8identityImEEEE10hipError_tT2_T3_mT4_P12ihipStream_tbEUlT_E_NS1_11comp_targetILNS1_3genE5ELNS1_11target_archE942ELNS1_3gpuE9ELNS1_3repE0EEENS1_30default_config_static_selectorELNS0_4arch9wavefront6targetE0EEEvT1_.num_named_barrier, 0
	.set _ZN7rocprim17ROCPRIM_400000_NS6detail17trampoline_kernelINS0_14default_configENS1_25transform_config_selectorImLb0EEEZNS1_14transform_implILb0ES3_S5_PmN6thrust23THRUST_200600_302600_NS6detail15normal_iteratorINS9_10device_ptrImEEEENS0_8identityImEEEE10hipError_tT2_T3_mT4_P12ihipStream_tbEUlT_E_NS1_11comp_targetILNS1_3genE5ELNS1_11target_archE942ELNS1_3gpuE9ELNS1_3repE0EEENS1_30default_config_static_selectorELNS0_4arch9wavefront6targetE0EEEvT1_.private_seg_size, 0
	.set _ZN7rocprim17ROCPRIM_400000_NS6detail17trampoline_kernelINS0_14default_configENS1_25transform_config_selectorImLb0EEEZNS1_14transform_implILb0ES3_S5_PmN6thrust23THRUST_200600_302600_NS6detail15normal_iteratorINS9_10device_ptrImEEEENS0_8identityImEEEE10hipError_tT2_T3_mT4_P12ihipStream_tbEUlT_E_NS1_11comp_targetILNS1_3genE5ELNS1_11target_archE942ELNS1_3gpuE9ELNS1_3repE0EEENS1_30default_config_static_selectorELNS0_4arch9wavefront6targetE0EEEvT1_.uses_vcc, 0
	.set _ZN7rocprim17ROCPRIM_400000_NS6detail17trampoline_kernelINS0_14default_configENS1_25transform_config_selectorImLb0EEEZNS1_14transform_implILb0ES3_S5_PmN6thrust23THRUST_200600_302600_NS6detail15normal_iteratorINS9_10device_ptrImEEEENS0_8identityImEEEE10hipError_tT2_T3_mT4_P12ihipStream_tbEUlT_E_NS1_11comp_targetILNS1_3genE5ELNS1_11target_archE942ELNS1_3gpuE9ELNS1_3repE0EEENS1_30default_config_static_selectorELNS0_4arch9wavefront6targetE0EEEvT1_.uses_flat_scratch, 0
	.set _ZN7rocprim17ROCPRIM_400000_NS6detail17trampoline_kernelINS0_14default_configENS1_25transform_config_selectorImLb0EEEZNS1_14transform_implILb0ES3_S5_PmN6thrust23THRUST_200600_302600_NS6detail15normal_iteratorINS9_10device_ptrImEEEENS0_8identityImEEEE10hipError_tT2_T3_mT4_P12ihipStream_tbEUlT_E_NS1_11comp_targetILNS1_3genE5ELNS1_11target_archE942ELNS1_3gpuE9ELNS1_3repE0EEENS1_30default_config_static_selectorELNS0_4arch9wavefront6targetE0EEEvT1_.has_dyn_sized_stack, 0
	.set _ZN7rocprim17ROCPRIM_400000_NS6detail17trampoline_kernelINS0_14default_configENS1_25transform_config_selectorImLb0EEEZNS1_14transform_implILb0ES3_S5_PmN6thrust23THRUST_200600_302600_NS6detail15normal_iteratorINS9_10device_ptrImEEEENS0_8identityImEEEE10hipError_tT2_T3_mT4_P12ihipStream_tbEUlT_E_NS1_11comp_targetILNS1_3genE5ELNS1_11target_archE942ELNS1_3gpuE9ELNS1_3repE0EEENS1_30default_config_static_selectorELNS0_4arch9wavefront6targetE0EEEvT1_.has_recursion, 0
	.set _ZN7rocprim17ROCPRIM_400000_NS6detail17trampoline_kernelINS0_14default_configENS1_25transform_config_selectorImLb0EEEZNS1_14transform_implILb0ES3_S5_PmN6thrust23THRUST_200600_302600_NS6detail15normal_iteratorINS9_10device_ptrImEEEENS0_8identityImEEEE10hipError_tT2_T3_mT4_P12ihipStream_tbEUlT_E_NS1_11comp_targetILNS1_3genE5ELNS1_11target_archE942ELNS1_3gpuE9ELNS1_3repE0EEENS1_30default_config_static_selectorELNS0_4arch9wavefront6targetE0EEEvT1_.has_indirect_call, 0
	.section	.AMDGPU.csdata,"",@progbits
; Kernel info:
; codeLenInByte = 0
; TotalNumSgprs: 0
; NumVgprs: 0
; ScratchSize: 0
; MemoryBound: 0
; FloatMode: 240
; IeeeMode: 1
; LDSByteSize: 0 bytes/workgroup (compile time only)
; SGPRBlocks: 0
; VGPRBlocks: 0
; NumSGPRsForWavesPerEU: 1
; NumVGPRsForWavesPerEU: 1
; Occupancy: 16
; WaveLimiterHint : 0
; COMPUTE_PGM_RSRC2:SCRATCH_EN: 0
; COMPUTE_PGM_RSRC2:USER_SGPR: 6
; COMPUTE_PGM_RSRC2:TRAP_HANDLER: 0
; COMPUTE_PGM_RSRC2:TGID_X_EN: 1
; COMPUTE_PGM_RSRC2:TGID_Y_EN: 0
; COMPUTE_PGM_RSRC2:TGID_Z_EN: 0
; COMPUTE_PGM_RSRC2:TIDIG_COMP_CNT: 0
	.section	.text._ZN7rocprim17ROCPRIM_400000_NS6detail17trampoline_kernelINS0_14default_configENS1_25transform_config_selectorImLb0EEEZNS1_14transform_implILb0ES3_S5_PmN6thrust23THRUST_200600_302600_NS6detail15normal_iteratorINS9_10device_ptrImEEEENS0_8identityImEEEE10hipError_tT2_T3_mT4_P12ihipStream_tbEUlT_E_NS1_11comp_targetILNS1_3genE4ELNS1_11target_archE910ELNS1_3gpuE8ELNS1_3repE0EEENS1_30default_config_static_selectorELNS0_4arch9wavefront6targetE0EEEvT1_,"axG",@progbits,_ZN7rocprim17ROCPRIM_400000_NS6detail17trampoline_kernelINS0_14default_configENS1_25transform_config_selectorImLb0EEEZNS1_14transform_implILb0ES3_S5_PmN6thrust23THRUST_200600_302600_NS6detail15normal_iteratorINS9_10device_ptrImEEEENS0_8identityImEEEE10hipError_tT2_T3_mT4_P12ihipStream_tbEUlT_E_NS1_11comp_targetILNS1_3genE4ELNS1_11target_archE910ELNS1_3gpuE8ELNS1_3repE0EEENS1_30default_config_static_selectorELNS0_4arch9wavefront6targetE0EEEvT1_,comdat
	.protected	_ZN7rocprim17ROCPRIM_400000_NS6detail17trampoline_kernelINS0_14default_configENS1_25transform_config_selectorImLb0EEEZNS1_14transform_implILb0ES3_S5_PmN6thrust23THRUST_200600_302600_NS6detail15normal_iteratorINS9_10device_ptrImEEEENS0_8identityImEEEE10hipError_tT2_T3_mT4_P12ihipStream_tbEUlT_E_NS1_11comp_targetILNS1_3genE4ELNS1_11target_archE910ELNS1_3gpuE8ELNS1_3repE0EEENS1_30default_config_static_selectorELNS0_4arch9wavefront6targetE0EEEvT1_ ; -- Begin function _ZN7rocprim17ROCPRIM_400000_NS6detail17trampoline_kernelINS0_14default_configENS1_25transform_config_selectorImLb0EEEZNS1_14transform_implILb0ES3_S5_PmN6thrust23THRUST_200600_302600_NS6detail15normal_iteratorINS9_10device_ptrImEEEENS0_8identityImEEEE10hipError_tT2_T3_mT4_P12ihipStream_tbEUlT_E_NS1_11comp_targetILNS1_3genE4ELNS1_11target_archE910ELNS1_3gpuE8ELNS1_3repE0EEENS1_30default_config_static_selectorELNS0_4arch9wavefront6targetE0EEEvT1_
	.globl	_ZN7rocprim17ROCPRIM_400000_NS6detail17trampoline_kernelINS0_14default_configENS1_25transform_config_selectorImLb0EEEZNS1_14transform_implILb0ES3_S5_PmN6thrust23THRUST_200600_302600_NS6detail15normal_iteratorINS9_10device_ptrImEEEENS0_8identityImEEEE10hipError_tT2_T3_mT4_P12ihipStream_tbEUlT_E_NS1_11comp_targetILNS1_3genE4ELNS1_11target_archE910ELNS1_3gpuE8ELNS1_3repE0EEENS1_30default_config_static_selectorELNS0_4arch9wavefront6targetE0EEEvT1_
	.p2align	8
	.type	_ZN7rocprim17ROCPRIM_400000_NS6detail17trampoline_kernelINS0_14default_configENS1_25transform_config_selectorImLb0EEEZNS1_14transform_implILb0ES3_S5_PmN6thrust23THRUST_200600_302600_NS6detail15normal_iteratorINS9_10device_ptrImEEEENS0_8identityImEEEE10hipError_tT2_T3_mT4_P12ihipStream_tbEUlT_E_NS1_11comp_targetILNS1_3genE4ELNS1_11target_archE910ELNS1_3gpuE8ELNS1_3repE0EEENS1_30default_config_static_selectorELNS0_4arch9wavefront6targetE0EEEvT1_,@function
_ZN7rocprim17ROCPRIM_400000_NS6detail17trampoline_kernelINS0_14default_configENS1_25transform_config_selectorImLb0EEEZNS1_14transform_implILb0ES3_S5_PmN6thrust23THRUST_200600_302600_NS6detail15normal_iteratorINS9_10device_ptrImEEEENS0_8identityImEEEE10hipError_tT2_T3_mT4_P12ihipStream_tbEUlT_E_NS1_11comp_targetILNS1_3genE4ELNS1_11target_archE910ELNS1_3gpuE8ELNS1_3repE0EEENS1_30default_config_static_selectorELNS0_4arch9wavefront6targetE0EEEvT1_: ; @_ZN7rocprim17ROCPRIM_400000_NS6detail17trampoline_kernelINS0_14default_configENS1_25transform_config_selectorImLb0EEEZNS1_14transform_implILb0ES3_S5_PmN6thrust23THRUST_200600_302600_NS6detail15normal_iteratorINS9_10device_ptrImEEEENS0_8identityImEEEE10hipError_tT2_T3_mT4_P12ihipStream_tbEUlT_E_NS1_11comp_targetILNS1_3genE4ELNS1_11target_archE910ELNS1_3gpuE8ELNS1_3repE0EEENS1_30default_config_static_selectorELNS0_4arch9wavefront6targetE0EEEvT1_
; %bb.0:
	.section	.rodata,"a",@progbits
	.p2align	6, 0x0
	.amdhsa_kernel _ZN7rocprim17ROCPRIM_400000_NS6detail17trampoline_kernelINS0_14default_configENS1_25transform_config_selectorImLb0EEEZNS1_14transform_implILb0ES3_S5_PmN6thrust23THRUST_200600_302600_NS6detail15normal_iteratorINS9_10device_ptrImEEEENS0_8identityImEEEE10hipError_tT2_T3_mT4_P12ihipStream_tbEUlT_E_NS1_11comp_targetILNS1_3genE4ELNS1_11target_archE910ELNS1_3gpuE8ELNS1_3repE0EEENS1_30default_config_static_selectorELNS0_4arch9wavefront6targetE0EEEvT1_
		.amdhsa_group_segment_fixed_size 0
		.amdhsa_private_segment_fixed_size 0
		.amdhsa_kernarg_size 40
		.amdhsa_user_sgpr_count 6
		.amdhsa_user_sgpr_private_segment_buffer 1
		.amdhsa_user_sgpr_dispatch_ptr 0
		.amdhsa_user_sgpr_queue_ptr 0
		.amdhsa_user_sgpr_kernarg_segment_ptr 1
		.amdhsa_user_sgpr_dispatch_id 0
		.amdhsa_user_sgpr_flat_scratch_init 0
		.amdhsa_user_sgpr_private_segment_size 0
		.amdhsa_wavefront_size32 1
		.amdhsa_uses_dynamic_stack 0
		.amdhsa_system_sgpr_private_segment_wavefront_offset 0
		.amdhsa_system_sgpr_workgroup_id_x 1
		.amdhsa_system_sgpr_workgroup_id_y 0
		.amdhsa_system_sgpr_workgroup_id_z 0
		.amdhsa_system_sgpr_workgroup_info 0
		.amdhsa_system_vgpr_workitem_id 0
		.amdhsa_next_free_vgpr 1
		.amdhsa_next_free_sgpr 1
		.amdhsa_reserve_vcc 0
		.amdhsa_reserve_flat_scratch 0
		.amdhsa_float_round_mode_32 0
		.amdhsa_float_round_mode_16_64 0
		.amdhsa_float_denorm_mode_32 3
		.amdhsa_float_denorm_mode_16_64 3
		.amdhsa_dx10_clamp 1
		.amdhsa_ieee_mode 1
		.amdhsa_fp16_overflow 0
		.amdhsa_workgroup_processor_mode 1
		.amdhsa_memory_ordered 1
		.amdhsa_forward_progress 1
		.amdhsa_shared_vgpr_count 0
		.amdhsa_exception_fp_ieee_invalid_op 0
		.amdhsa_exception_fp_denorm_src 0
		.amdhsa_exception_fp_ieee_div_zero 0
		.amdhsa_exception_fp_ieee_overflow 0
		.amdhsa_exception_fp_ieee_underflow 0
		.amdhsa_exception_fp_ieee_inexact 0
		.amdhsa_exception_int_div_zero 0
	.end_amdhsa_kernel
	.section	.text._ZN7rocprim17ROCPRIM_400000_NS6detail17trampoline_kernelINS0_14default_configENS1_25transform_config_selectorImLb0EEEZNS1_14transform_implILb0ES3_S5_PmN6thrust23THRUST_200600_302600_NS6detail15normal_iteratorINS9_10device_ptrImEEEENS0_8identityImEEEE10hipError_tT2_T3_mT4_P12ihipStream_tbEUlT_E_NS1_11comp_targetILNS1_3genE4ELNS1_11target_archE910ELNS1_3gpuE8ELNS1_3repE0EEENS1_30default_config_static_selectorELNS0_4arch9wavefront6targetE0EEEvT1_,"axG",@progbits,_ZN7rocprim17ROCPRIM_400000_NS6detail17trampoline_kernelINS0_14default_configENS1_25transform_config_selectorImLb0EEEZNS1_14transform_implILb0ES3_S5_PmN6thrust23THRUST_200600_302600_NS6detail15normal_iteratorINS9_10device_ptrImEEEENS0_8identityImEEEE10hipError_tT2_T3_mT4_P12ihipStream_tbEUlT_E_NS1_11comp_targetILNS1_3genE4ELNS1_11target_archE910ELNS1_3gpuE8ELNS1_3repE0EEENS1_30default_config_static_selectorELNS0_4arch9wavefront6targetE0EEEvT1_,comdat
.Lfunc_end667:
	.size	_ZN7rocprim17ROCPRIM_400000_NS6detail17trampoline_kernelINS0_14default_configENS1_25transform_config_selectorImLb0EEEZNS1_14transform_implILb0ES3_S5_PmN6thrust23THRUST_200600_302600_NS6detail15normal_iteratorINS9_10device_ptrImEEEENS0_8identityImEEEE10hipError_tT2_T3_mT4_P12ihipStream_tbEUlT_E_NS1_11comp_targetILNS1_3genE4ELNS1_11target_archE910ELNS1_3gpuE8ELNS1_3repE0EEENS1_30default_config_static_selectorELNS0_4arch9wavefront6targetE0EEEvT1_, .Lfunc_end667-_ZN7rocprim17ROCPRIM_400000_NS6detail17trampoline_kernelINS0_14default_configENS1_25transform_config_selectorImLb0EEEZNS1_14transform_implILb0ES3_S5_PmN6thrust23THRUST_200600_302600_NS6detail15normal_iteratorINS9_10device_ptrImEEEENS0_8identityImEEEE10hipError_tT2_T3_mT4_P12ihipStream_tbEUlT_E_NS1_11comp_targetILNS1_3genE4ELNS1_11target_archE910ELNS1_3gpuE8ELNS1_3repE0EEENS1_30default_config_static_selectorELNS0_4arch9wavefront6targetE0EEEvT1_
                                        ; -- End function
	.set _ZN7rocprim17ROCPRIM_400000_NS6detail17trampoline_kernelINS0_14default_configENS1_25transform_config_selectorImLb0EEEZNS1_14transform_implILb0ES3_S5_PmN6thrust23THRUST_200600_302600_NS6detail15normal_iteratorINS9_10device_ptrImEEEENS0_8identityImEEEE10hipError_tT2_T3_mT4_P12ihipStream_tbEUlT_E_NS1_11comp_targetILNS1_3genE4ELNS1_11target_archE910ELNS1_3gpuE8ELNS1_3repE0EEENS1_30default_config_static_selectorELNS0_4arch9wavefront6targetE0EEEvT1_.num_vgpr, 0
	.set _ZN7rocprim17ROCPRIM_400000_NS6detail17trampoline_kernelINS0_14default_configENS1_25transform_config_selectorImLb0EEEZNS1_14transform_implILb0ES3_S5_PmN6thrust23THRUST_200600_302600_NS6detail15normal_iteratorINS9_10device_ptrImEEEENS0_8identityImEEEE10hipError_tT2_T3_mT4_P12ihipStream_tbEUlT_E_NS1_11comp_targetILNS1_3genE4ELNS1_11target_archE910ELNS1_3gpuE8ELNS1_3repE0EEENS1_30default_config_static_selectorELNS0_4arch9wavefront6targetE0EEEvT1_.num_agpr, 0
	.set _ZN7rocprim17ROCPRIM_400000_NS6detail17trampoline_kernelINS0_14default_configENS1_25transform_config_selectorImLb0EEEZNS1_14transform_implILb0ES3_S5_PmN6thrust23THRUST_200600_302600_NS6detail15normal_iteratorINS9_10device_ptrImEEEENS0_8identityImEEEE10hipError_tT2_T3_mT4_P12ihipStream_tbEUlT_E_NS1_11comp_targetILNS1_3genE4ELNS1_11target_archE910ELNS1_3gpuE8ELNS1_3repE0EEENS1_30default_config_static_selectorELNS0_4arch9wavefront6targetE0EEEvT1_.numbered_sgpr, 0
	.set _ZN7rocprim17ROCPRIM_400000_NS6detail17trampoline_kernelINS0_14default_configENS1_25transform_config_selectorImLb0EEEZNS1_14transform_implILb0ES3_S5_PmN6thrust23THRUST_200600_302600_NS6detail15normal_iteratorINS9_10device_ptrImEEEENS0_8identityImEEEE10hipError_tT2_T3_mT4_P12ihipStream_tbEUlT_E_NS1_11comp_targetILNS1_3genE4ELNS1_11target_archE910ELNS1_3gpuE8ELNS1_3repE0EEENS1_30default_config_static_selectorELNS0_4arch9wavefront6targetE0EEEvT1_.num_named_barrier, 0
	.set _ZN7rocprim17ROCPRIM_400000_NS6detail17trampoline_kernelINS0_14default_configENS1_25transform_config_selectorImLb0EEEZNS1_14transform_implILb0ES3_S5_PmN6thrust23THRUST_200600_302600_NS6detail15normal_iteratorINS9_10device_ptrImEEEENS0_8identityImEEEE10hipError_tT2_T3_mT4_P12ihipStream_tbEUlT_E_NS1_11comp_targetILNS1_3genE4ELNS1_11target_archE910ELNS1_3gpuE8ELNS1_3repE0EEENS1_30default_config_static_selectorELNS0_4arch9wavefront6targetE0EEEvT1_.private_seg_size, 0
	.set _ZN7rocprim17ROCPRIM_400000_NS6detail17trampoline_kernelINS0_14default_configENS1_25transform_config_selectorImLb0EEEZNS1_14transform_implILb0ES3_S5_PmN6thrust23THRUST_200600_302600_NS6detail15normal_iteratorINS9_10device_ptrImEEEENS0_8identityImEEEE10hipError_tT2_T3_mT4_P12ihipStream_tbEUlT_E_NS1_11comp_targetILNS1_3genE4ELNS1_11target_archE910ELNS1_3gpuE8ELNS1_3repE0EEENS1_30default_config_static_selectorELNS0_4arch9wavefront6targetE0EEEvT1_.uses_vcc, 0
	.set _ZN7rocprim17ROCPRIM_400000_NS6detail17trampoline_kernelINS0_14default_configENS1_25transform_config_selectorImLb0EEEZNS1_14transform_implILb0ES3_S5_PmN6thrust23THRUST_200600_302600_NS6detail15normal_iteratorINS9_10device_ptrImEEEENS0_8identityImEEEE10hipError_tT2_T3_mT4_P12ihipStream_tbEUlT_E_NS1_11comp_targetILNS1_3genE4ELNS1_11target_archE910ELNS1_3gpuE8ELNS1_3repE0EEENS1_30default_config_static_selectorELNS0_4arch9wavefront6targetE0EEEvT1_.uses_flat_scratch, 0
	.set _ZN7rocprim17ROCPRIM_400000_NS6detail17trampoline_kernelINS0_14default_configENS1_25transform_config_selectorImLb0EEEZNS1_14transform_implILb0ES3_S5_PmN6thrust23THRUST_200600_302600_NS6detail15normal_iteratorINS9_10device_ptrImEEEENS0_8identityImEEEE10hipError_tT2_T3_mT4_P12ihipStream_tbEUlT_E_NS1_11comp_targetILNS1_3genE4ELNS1_11target_archE910ELNS1_3gpuE8ELNS1_3repE0EEENS1_30default_config_static_selectorELNS0_4arch9wavefront6targetE0EEEvT1_.has_dyn_sized_stack, 0
	.set _ZN7rocprim17ROCPRIM_400000_NS6detail17trampoline_kernelINS0_14default_configENS1_25transform_config_selectorImLb0EEEZNS1_14transform_implILb0ES3_S5_PmN6thrust23THRUST_200600_302600_NS6detail15normal_iteratorINS9_10device_ptrImEEEENS0_8identityImEEEE10hipError_tT2_T3_mT4_P12ihipStream_tbEUlT_E_NS1_11comp_targetILNS1_3genE4ELNS1_11target_archE910ELNS1_3gpuE8ELNS1_3repE0EEENS1_30default_config_static_selectorELNS0_4arch9wavefront6targetE0EEEvT1_.has_recursion, 0
	.set _ZN7rocprim17ROCPRIM_400000_NS6detail17trampoline_kernelINS0_14default_configENS1_25transform_config_selectorImLb0EEEZNS1_14transform_implILb0ES3_S5_PmN6thrust23THRUST_200600_302600_NS6detail15normal_iteratorINS9_10device_ptrImEEEENS0_8identityImEEEE10hipError_tT2_T3_mT4_P12ihipStream_tbEUlT_E_NS1_11comp_targetILNS1_3genE4ELNS1_11target_archE910ELNS1_3gpuE8ELNS1_3repE0EEENS1_30default_config_static_selectorELNS0_4arch9wavefront6targetE0EEEvT1_.has_indirect_call, 0
	.section	.AMDGPU.csdata,"",@progbits
; Kernel info:
; codeLenInByte = 0
; TotalNumSgprs: 0
; NumVgprs: 0
; ScratchSize: 0
; MemoryBound: 0
; FloatMode: 240
; IeeeMode: 1
; LDSByteSize: 0 bytes/workgroup (compile time only)
; SGPRBlocks: 0
; VGPRBlocks: 0
; NumSGPRsForWavesPerEU: 1
; NumVGPRsForWavesPerEU: 1
; Occupancy: 16
; WaveLimiterHint : 0
; COMPUTE_PGM_RSRC2:SCRATCH_EN: 0
; COMPUTE_PGM_RSRC2:USER_SGPR: 6
; COMPUTE_PGM_RSRC2:TRAP_HANDLER: 0
; COMPUTE_PGM_RSRC2:TGID_X_EN: 1
; COMPUTE_PGM_RSRC2:TGID_Y_EN: 0
; COMPUTE_PGM_RSRC2:TGID_Z_EN: 0
; COMPUTE_PGM_RSRC2:TIDIG_COMP_CNT: 0
	.section	.text._ZN7rocprim17ROCPRIM_400000_NS6detail17trampoline_kernelINS0_14default_configENS1_25transform_config_selectorImLb0EEEZNS1_14transform_implILb0ES3_S5_PmN6thrust23THRUST_200600_302600_NS6detail15normal_iteratorINS9_10device_ptrImEEEENS0_8identityImEEEE10hipError_tT2_T3_mT4_P12ihipStream_tbEUlT_E_NS1_11comp_targetILNS1_3genE3ELNS1_11target_archE908ELNS1_3gpuE7ELNS1_3repE0EEENS1_30default_config_static_selectorELNS0_4arch9wavefront6targetE0EEEvT1_,"axG",@progbits,_ZN7rocprim17ROCPRIM_400000_NS6detail17trampoline_kernelINS0_14default_configENS1_25transform_config_selectorImLb0EEEZNS1_14transform_implILb0ES3_S5_PmN6thrust23THRUST_200600_302600_NS6detail15normal_iteratorINS9_10device_ptrImEEEENS0_8identityImEEEE10hipError_tT2_T3_mT4_P12ihipStream_tbEUlT_E_NS1_11comp_targetILNS1_3genE3ELNS1_11target_archE908ELNS1_3gpuE7ELNS1_3repE0EEENS1_30default_config_static_selectorELNS0_4arch9wavefront6targetE0EEEvT1_,comdat
	.protected	_ZN7rocprim17ROCPRIM_400000_NS6detail17trampoline_kernelINS0_14default_configENS1_25transform_config_selectorImLb0EEEZNS1_14transform_implILb0ES3_S5_PmN6thrust23THRUST_200600_302600_NS6detail15normal_iteratorINS9_10device_ptrImEEEENS0_8identityImEEEE10hipError_tT2_T3_mT4_P12ihipStream_tbEUlT_E_NS1_11comp_targetILNS1_3genE3ELNS1_11target_archE908ELNS1_3gpuE7ELNS1_3repE0EEENS1_30default_config_static_selectorELNS0_4arch9wavefront6targetE0EEEvT1_ ; -- Begin function _ZN7rocprim17ROCPRIM_400000_NS6detail17trampoline_kernelINS0_14default_configENS1_25transform_config_selectorImLb0EEEZNS1_14transform_implILb0ES3_S5_PmN6thrust23THRUST_200600_302600_NS6detail15normal_iteratorINS9_10device_ptrImEEEENS0_8identityImEEEE10hipError_tT2_T3_mT4_P12ihipStream_tbEUlT_E_NS1_11comp_targetILNS1_3genE3ELNS1_11target_archE908ELNS1_3gpuE7ELNS1_3repE0EEENS1_30default_config_static_selectorELNS0_4arch9wavefront6targetE0EEEvT1_
	.globl	_ZN7rocprim17ROCPRIM_400000_NS6detail17trampoline_kernelINS0_14default_configENS1_25transform_config_selectorImLb0EEEZNS1_14transform_implILb0ES3_S5_PmN6thrust23THRUST_200600_302600_NS6detail15normal_iteratorINS9_10device_ptrImEEEENS0_8identityImEEEE10hipError_tT2_T3_mT4_P12ihipStream_tbEUlT_E_NS1_11comp_targetILNS1_3genE3ELNS1_11target_archE908ELNS1_3gpuE7ELNS1_3repE0EEENS1_30default_config_static_selectorELNS0_4arch9wavefront6targetE0EEEvT1_
	.p2align	8
	.type	_ZN7rocprim17ROCPRIM_400000_NS6detail17trampoline_kernelINS0_14default_configENS1_25transform_config_selectorImLb0EEEZNS1_14transform_implILb0ES3_S5_PmN6thrust23THRUST_200600_302600_NS6detail15normal_iteratorINS9_10device_ptrImEEEENS0_8identityImEEEE10hipError_tT2_T3_mT4_P12ihipStream_tbEUlT_E_NS1_11comp_targetILNS1_3genE3ELNS1_11target_archE908ELNS1_3gpuE7ELNS1_3repE0EEENS1_30default_config_static_selectorELNS0_4arch9wavefront6targetE0EEEvT1_,@function
_ZN7rocprim17ROCPRIM_400000_NS6detail17trampoline_kernelINS0_14default_configENS1_25transform_config_selectorImLb0EEEZNS1_14transform_implILb0ES3_S5_PmN6thrust23THRUST_200600_302600_NS6detail15normal_iteratorINS9_10device_ptrImEEEENS0_8identityImEEEE10hipError_tT2_T3_mT4_P12ihipStream_tbEUlT_E_NS1_11comp_targetILNS1_3genE3ELNS1_11target_archE908ELNS1_3gpuE7ELNS1_3repE0EEENS1_30default_config_static_selectorELNS0_4arch9wavefront6targetE0EEEvT1_: ; @_ZN7rocprim17ROCPRIM_400000_NS6detail17trampoline_kernelINS0_14default_configENS1_25transform_config_selectorImLb0EEEZNS1_14transform_implILb0ES3_S5_PmN6thrust23THRUST_200600_302600_NS6detail15normal_iteratorINS9_10device_ptrImEEEENS0_8identityImEEEE10hipError_tT2_T3_mT4_P12ihipStream_tbEUlT_E_NS1_11comp_targetILNS1_3genE3ELNS1_11target_archE908ELNS1_3gpuE7ELNS1_3repE0EEENS1_30default_config_static_selectorELNS0_4arch9wavefront6targetE0EEEvT1_
; %bb.0:
	.section	.rodata,"a",@progbits
	.p2align	6, 0x0
	.amdhsa_kernel _ZN7rocprim17ROCPRIM_400000_NS6detail17trampoline_kernelINS0_14default_configENS1_25transform_config_selectorImLb0EEEZNS1_14transform_implILb0ES3_S5_PmN6thrust23THRUST_200600_302600_NS6detail15normal_iteratorINS9_10device_ptrImEEEENS0_8identityImEEEE10hipError_tT2_T3_mT4_P12ihipStream_tbEUlT_E_NS1_11comp_targetILNS1_3genE3ELNS1_11target_archE908ELNS1_3gpuE7ELNS1_3repE0EEENS1_30default_config_static_selectorELNS0_4arch9wavefront6targetE0EEEvT1_
		.amdhsa_group_segment_fixed_size 0
		.amdhsa_private_segment_fixed_size 0
		.amdhsa_kernarg_size 40
		.amdhsa_user_sgpr_count 6
		.amdhsa_user_sgpr_private_segment_buffer 1
		.amdhsa_user_sgpr_dispatch_ptr 0
		.amdhsa_user_sgpr_queue_ptr 0
		.amdhsa_user_sgpr_kernarg_segment_ptr 1
		.amdhsa_user_sgpr_dispatch_id 0
		.amdhsa_user_sgpr_flat_scratch_init 0
		.amdhsa_user_sgpr_private_segment_size 0
		.amdhsa_wavefront_size32 1
		.amdhsa_uses_dynamic_stack 0
		.amdhsa_system_sgpr_private_segment_wavefront_offset 0
		.amdhsa_system_sgpr_workgroup_id_x 1
		.amdhsa_system_sgpr_workgroup_id_y 0
		.amdhsa_system_sgpr_workgroup_id_z 0
		.amdhsa_system_sgpr_workgroup_info 0
		.amdhsa_system_vgpr_workitem_id 0
		.amdhsa_next_free_vgpr 1
		.amdhsa_next_free_sgpr 1
		.amdhsa_reserve_vcc 0
		.amdhsa_reserve_flat_scratch 0
		.amdhsa_float_round_mode_32 0
		.amdhsa_float_round_mode_16_64 0
		.amdhsa_float_denorm_mode_32 3
		.amdhsa_float_denorm_mode_16_64 3
		.amdhsa_dx10_clamp 1
		.amdhsa_ieee_mode 1
		.amdhsa_fp16_overflow 0
		.amdhsa_workgroup_processor_mode 1
		.amdhsa_memory_ordered 1
		.amdhsa_forward_progress 1
		.amdhsa_shared_vgpr_count 0
		.amdhsa_exception_fp_ieee_invalid_op 0
		.amdhsa_exception_fp_denorm_src 0
		.amdhsa_exception_fp_ieee_div_zero 0
		.amdhsa_exception_fp_ieee_overflow 0
		.amdhsa_exception_fp_ieee_underflow 0
		.amdhsa_exception_fp_ieee_inexact 0
		.amdhsa_exception_int_div_zero 0
	.end_amdhsa_kernel
	.section	.text._ZN7rocprim17ROCPRIM_400000_NS6detail17trampoline_kernelINS0_14default_configENS1_25transform_config_selectorImLb0EEEZNS1_14transform_implILb0ES3_S5_PmN6thrust23THRUST_200600_302600_NS6detail15normal_iteratorINS9_10device_ptrImEEEENS0_8identityImEEEE10hipError_tT2_T3_mT4_P12ihipStream_tbEUlT_E_NS1_11comp_targetILNS1_3genE3ELNS1_11target_archE908ELNS1_3gpuE7ELNS1_3repE0EEENS1_30default_config_static_selectorELNS0_4arch9wavefront6targetE0EEEvT1_,"axG",@progbits,_ZN7rocprim17ROCPRIM_400000_NS6detail17trampoline_kernelINS0_14default_configENS1_25transform_config_selectorImLb0EEEZNS1_14transform_implILb0ES3_S5_PmN6thrust23THRUST_200600_302600_NS6detail15normal_iteratorINS9_10device_ptrImEEEENS0_8identityImEEEE10hipError_tT2_T3_mT4_P12ihipStream_tbEUlT_E_NS1_11comp_targetILNS1_3genE3ELNS1_11target_archE908ELNS1_3gpuE7ELNS1_3repE0EEENS1_30default_config_static_selectorELNS0_4arch9wavefront6targetE0EEEvT1_,comdat
.Lfunc_end668:
	.size	_ZN7rocprim17ROCPRIM_400000_NS6detail17trampoline_kernelINS0_14default_configENS1_25transform_config_selectorImLb0EEEZNS1_14transform_implILb0ES3_S5_PmN6thrust23THRUST_200600_302600_NS6detail15normal_iteratorINS9_10device_ptrImEEEENS0_8identityImEEEE10hipError_tT2_T3_mT4_P12ihipStream_tbEUlT_E_NS1_11comp_targetILNS1_3genE3ELNS1_11target_archE908ELNS1_3gpuE7ELNS1_3repE0EEENS1_30default_config_static_selectorELNS0_4arch9wavefront6targetE0EEEvT1_, .Lfunc_end668-_ZN7rocprim17ROCPRIM_400000_NS6detail17trampoline_kernelINS0_14default_configENS1_25transform_config_selectorImLb0EEEZNS1_14transform_implILb0ES3_S5_PmN6thrust23THRUST_200600_302600_NS6detail15normal_iteratorINS9_10device_ptrImEEEENS0_8identityImEEEE10hipError_tT2_T3_mT4_P12ihipStream_tbEUlT_E_NS1_11comp_targetILNS1_3genE3ELNS1_11target_archE908ELNS1_3gpuE7ELNS1_3repE0EEENS1_30default_config_static_selectorELNS0_4arch9wavefront6targetE0EEEvT1_
                                        ; -- End function
	.set _ZN7rocprim17ROCPRIM_400000_NS6detail17trampoline_kernelINS0_14default_configENS1_25transform_config_selectorImLb0EEEZNS1_14transform_implILb0ES3_S5_PmN6thrust23THRUST_200600_302600_NS6detail15normal_iteratorINS9_10device_ptrImEEEENS0_8identityImEEEE10hipError_tT2_T3_mT4_P12ihipStream_tbEUlT_E_NS1_11comp_targetILNS1_3genE3ELNS1_11target_archE908ELNS1_3gpuE7ELNS1_3repE0EEENS1_30default_config_static_selectorELNS0_4arch9wavefront6targetE0EEEvT1_.num_vgpr, 0
	.set _ZN7rocprim17ROCPRIM_400000_NS6detail17trampoline_kernelINS0_14default_configENS1_25transform_config_selectorImLb0EEEZNS1_14transform_implILb0ES3_S5_PmN6thrust23THRUST_200600_302600_NS6detail15normal_iteratorINS9_10device_ptrImEEEENS0_8identityImEEEE10hipError_tT2_T3_mT4_P12ihipStream_tbEUlT_E_NS1_11comp_targetILNS1_3genE3ELNS1_11target_archE908ELNS1_3gpuE7ELNS1_3repE0EEENS1_30default_config_static_selectorELNS0_4arch9wavefront6targetE0EEEvT1_.num_agpr, 0
	.set _ZN7rocprim17ROCPRIM_400000_NS6detail17trampoline_kernelINS0_14default_configENS1_25transform_config_selectorImLb0EEEZNS1_14transform_implILb0ES3_S5_PmN6thrust23THRUST_200600_302600_NS6detail15normal_iteratorINS9_10device_ptrImEEEENS0_8identityImEEEE10hipError_tT2_T3_mT4_P12ihipStream_tbEUlT_E_NS1_11comp_targetILNS1_3genE3ELNS1_11target_archE908ELNS1_3gpuE7ELNS1_3repE0EEENS1_30default_config_static_selectorELNS0_4arch9wavefront6targetE0EEEvT1_.numbered_sgpr, 0
	.set _ZN7rocprim17ROCPRIM_400000_NS6detail17trampoline_kernelINS0_14default_configENS1_25transform_config_selectorImLb0EEEZNS1_14transform_implILb0ES3_S5_PmN6thrust23THRUST_200600_302600_NS6detail15normal_iteratorINS9_10device_ptrImEEEENS0_8identityImEEEE10hipError_tT2_T3_mT4_P12ihipStream_tbEUlT_E_NS1_11comp_targetILNS1_3genE3ELNS1_11target_archE908ELNS1_3gpuE7ELNS1_3repE0EEENS1_30default_config_static_selectorELNS0_4arch9wavefront6targetE0EEEvT1_.num_named_barrier, 0
	.set _ZN7rocprim17ROCPRIM_400000_NS6detail17trampoline_kernelINS0_14default_configENS1_25transform_config_selectorImLb0EEEZNS1_14transform_implILb0ES3_S5_PmN6thrust23THRUST_200600_302600_NS6detail15normal_iteratorINS9_10device_ptrImEEEENS0_8identityImEEEE10hipError_tT2_T3_mT4_P12ihipStream_tbEUlT_E_NS1_11comp_targetILNS1_3genE3ELNS1_11target_archE908ELNS1_3gpuE7ELNS1_3repE0EEENS1_30default_config_static_selectorELNS0_4arch9wavefront6targetE0EEEvT1_.private_seg_size, 0
	.set _ZN7rocprim17ROCPRIM_400000_NS6detail17trampoline_kernelINS0_14default_configENS1_25transform_config_selectorImLb0EEEZNS1_14transform_implILb0ES3_S5_PmN6thrust23THRUST_200600_302600_NS6detail15normal_iteratorINS9_10device_ptrImEEEENS0_8identityImEEEE10hipError_tT2_T3_mT4_P12ihipStream_tbEUlT_E_NS1_11comp_targetILNS1_3genE3ELNS1_11target_archE908ELNS1_3gpuE7ELNS1_3repE0EEENS1_30default_config_static_selectorELNS0_4arch9wavefront6targetE0EEEvT1_.uses_vcc, 0
	.set _ZN7rocprim17ROCPRIM_400000_NS6detail17trampoline_kernelINS0_14default_configENS1_25transform_config_selectorImLb0EEEZNS1_14transform_implILb0ES3_S5_PmN6thrust23THRUST_200600_302600_NS6detail15normal_iteratorINS9_10device_ptrImEEEENS0_8identityImEEEE10hipError_tT2_T3_mT4_P12ihipStream_tbEUlT_E_NS1_11comp_targetILNS1_3genE3ELNS1_11target_archE908ELNS1_3gpuE7ELNS1_3repE0EEENS1_30default_config_static_selectorELNS0_4arch9wavefront6targetE0EEEvT1_.uses_flat_scratch, 0
	.set _ZN7rocprim17ROCPRIM_400000_NS6detail17trampoline_kernelINS0_14default_configENS1_25transform_config_selectorImLb0EEEZNS1_14transform_implILb0ES3_S5_PmN6thrust23THRUST_200600_302600_NS6detail15normal_iteratorINS9_10device_ptrImEEEENS0_8identityImEEEE10hipError_tT2_T3_mT4_P12ihipStream_tbEUlT_E_NS1_11comp_targetILNS1_3genE3ELNS1_11target_archE908ELNS1_3gpuE7ELNS1_3repE0EEENS1_30default_config_static_selectorELNS0_4arch9wavefront6targetE0EEEvT1_.has_dyn_sized_stack, 0
	.set _ZN7rocprim17ROCPRIM_400000_NS6detail17trampoline_kernelINS0_14default_configENS1_25transform_config_selectorImLb0EEEZNS1_14transform_implILb0ES3_S5_PmN6thrust23THRUST_200600_302600_NS6detail15normal_iteratorINS9_10device_ptrImEEEENS0_8identityImEEEE10hipError_tT2_T3_mT4_P12ihipStream_tbEUlT_E_NS1_11comp_targetILNS1_3genE3ELNS1_11target_archE908ELNS1_3gpuE7ELNS1_3repE0EEENS1_30default_config_static_selectorELNS0_4arch9wavefront6targetE0EEEvT1_.has_recursion, 0
	.set _ZN7rocprim17ROCPRIM_400000_NS6detail17trampoline_kernelINS0_14default_configENS1_25transform_config_selectorImLb0EEEZNS1_14transform_implILb0ES3_S5_PmN6thrust23THRUST_200600_302600_NS6detail15normal_iteratorINS9_10device_ptrImEEEENS0_8identityImEEEE10hipError_tT2_T3_mT4_P12ihipStream_tbEUlT_E_NS1_11comp_targetILNS1_3genE3ELNS1_11target_archE908ELNS1_3gpuE7ELNS1_3repE0EEENS1_30default_config_static_selectorELNS0_4arch9wavefront6targetE0EEEvT1_.has_indirect_call, 0
	.section	.AMDGPU.csdata,"",@progbits
; Kernel info:
; codeLenInByte = 0
; TotalNumSgprs: 0
; NumVgprs: 0
; ScratchSize: 0
; MemoryBound: 0
; FloatMode: 240
; IeeeMode: 1
; LDSByteSize: 0 bytes/workgroup (compile time only)
; SGPRBlocks: 0
; VGPRBlocks: 0
; NumSGPRsForWavesPerEU: 1
; NumVGPRsForWavesPerEU: 1
; Occupancy: 16
; WaveLimiterHint : 0
; COMPUTE_PGM_RSRC2:SCRATCH_EN: 0
; COMPUTE_PGM_RSRC2:USER_SGPR: 6
; COMPUTE_PGM_RSRC2:TRAP_HANDLER: 0
; COMPUTE_PGM_RSRC2:TGID_X_EN: 1
; COMPUTE_PGM_RSRC2:TGID_Y_EN: 0
; COMPUTE_PGM_RSRC2:TGID_Z_EN: 0
; COMPUTE_PGM_RSRC2:TIDIG_COMP_CNT: 0
	.section	.text._ZN7rocprim17ROCPRIM_400000_NS6detail17trampoline_kernelINS0_14default_configENS1_25transform_config_selectorImLb0EEEZNS1_14transform_implILb0ES3_S5_PmN6thrust23THRUST_200600_302600_NS6detail15normal_iteratorINS9_10device_ptrImEEEENS0_8identityImEEEE10hipError_tT2_T3_mT4_P12ihipStream_tbEUlT_E_NS1_11comp_targetILNS1_3genE2ELNS1_11target_archE906ELNS1_3gpuE6ELNS1_3repE0EEENS1_30default_config_static_selectorELNS0_4arch9wavefront6targetE0EEEvT1_,"axG",@progbits,_ZN7rocprim17ROCPRIM_400000_NS6detail17trampoline_kernelINS0_14default_configENS1_25transform_config_selectorImLb0EEEZNS1_14transform_implILb0ES3_S5_PmN6thrust23THRUST_200600_302600_NS6detail15normal_iteratorINS9_10device_ptrImEEEENS0_8identityImEEEE10hipError_tT2_T3_mT4_P12ihipStream_tbEUlT_E_NS1_11comp_targetILNS1_3genE2ELNS1_11target_archE906ELNS1_3gpuE6ELNS1_3repE0EEENS1_30default_config_static_selectorELNS0_4arch9wavefront6targetE0EEEvT1_,comdat
	.protected	_ZN7rocprim17ROCPRIM_400000_NS6detail17trampoline_kernelINS0_14default_configENS1_25transform_config_selectorImLb0EEEZNS1_14transform_implILb0ES3_S5_PmN6thrust23THRUST_200600_302600_NS6detail15normal_iteratorINS9_10device_ptrImEEEENS0_8identityImEEEE10hipError_tT2_T3_mT4_P12ihipStream_tbEUlT_E_NS1_11comp_targetILNS1_3genE2ELNS1_11target_archE906ELNS1_3gpuE6ELNS1_3repE0EEENS1_30default_config_static_selectorELNS0_4arch9wavefront6targetE0EEEvT1_ ; -- Begin function _ZN7rocprim17ROCPRIM_400000_NS6detail17trampoline_kernelINS0_14default_configENS1_25transform_config_selectorImLb0EEEZNS1_14transform_implILb0ES3_S5_PmN6thrust23THRUST_200600_302600_NS6detail15normal_iteratorINS9_10device_ptrImEEEENS0_8identityImEEEE10hipError_tT2_T3_mT4_P12ihipStream_tbEUlT_E_NS1_11comp_targetILNS1_3genE2ELNS1_11target_archE906ELNS1_3gpuE6ELNS1_3repE0EEENS1_30default_config_static_selectorELNS0_4arch9wavefront6targetE0EEEvT1_
	.globl	_ZN7rocprim17ROCPRIM_400000_NS6detail17trampoline_kernelINS0_14default_configENS1_25transform_config_selectorImLb0EEEZNS1_14transform_implILb0ES3_S5_PmN6thrust23THRUST_200600_302600_NS6detail15normal_iteratorINS9_10device_ptrImEEEENS0_8identityImEEEE10hipError_tT2_T3_mT4_P12ihipStream_tbEUlT_E_NS1_11comp_targetILNS1_3genE2ELNS1_11target_archE906ELNS1_3gpuE6ELNS1_3repE0EEENS1_30default_config_static_selectorELNS0_4arch9wavefront6targetE0EEEvT1_
	.p2align	8
	.type	_ZN7rocprim17ROCPRIM_400000_NS6detail17trampoline_kernelINS0_14default_configENS1_25transform_config_selectorImLb0EEEZNS1_14transform_implILb0ES3_S5_PmN6thrust23THRUST_200600_302600_NS6detail15normal_iteratorINS9_10device_ptrImEEEENS0_8identityImEEEE10hipError_tT2_T3_mT4_P12ihipStream_tbEUlT_E_NS1_11comp_targetILNS1_3genE2ELNS1_11target_archE906ELNS1_3gpuE6ELNS1_3repE0EEENS1_30default_config_static_selectorELNS0_4arch9wavefront6targetE0EEEvT1_,@function
_ZN7rocprim17ROCPRIM_400000_NS6detail17trampoline_kernelINS0_14default_configENS1_25transform_config_selectorImLb0EEEZNS1_14transform_implILb0ES3_S5_PmN6thrust23THRUST_200600_302600_NS6detail15normal_iteratorINS9_10device_ptrImEEEENS0_8identityImEEEE10hipError_tT2_T3_mT4_P12ihipStream_tbEUlT_E_NS1_11comp_targetILNS1_3genE2ELNS1_11target_archE906ELNS1_3gpuE6ELNS1_3repE0EEENS1_30default_config_static_selectorELNS0_4arch9wavefront6targetE0EEEvT1_: ; @_ZN7rocprim17ROCPRIM_400000_NS6detail17trampoline_kernelINS0_14default_configENS1_25transform_config_selectorImLb0EEEZNS1_14transform_implILb0ES3_S5_PmN6thrust23THRUST_200600_302600_NS6detail15normal_iteratorINS9_10device_ptrImEEEENS0_8identityImEEEE10hipError_tT2_T3_mT4_P12ihipStream_tbEUlT_E_NS1_11comp_targetILNS1_3genE2ELNS1_11target_archE906ELNS1_3gpuE6ELNS1_3repE0EEENS1_30default_config_static_selectorELNS0_4arch9wavefront6targetE0EEEvT1_
; %bb.0:
	.section	.rodata,"a",@progbits
	.p2align	6, 0x0
	.amdhsa_kernel _ZN7rocprim17ROCPRIM_400000_NS6detail17trampoline_kernelINS0_14default_configENS1_25transform_config_selectorImLb0EEEZNS1_14transform_implILb0ES3_S5_PmN6thrust23THRUST_200600_302600_NS6detail15normal_iteratorINS9_10device_ptrImEEEENS0_8identityImEEEE10hipError_tT2_T3_mT4_P12ihipStream_tbEUlT_E_NS1_11comp_targetILNS1_3genE2ELNS1_11target_archE906ELNS1_3gpuE6ELNS1_3repE0EEENS1_30default_config_static_selectorELNS0_4arch9wavefront6targetE0EEEvT1_
		.amdhsa_group_segment_fixed_size 0
		.amdhsa_private_segment_fixed_size 0
		.amdhsa_kernarg_size 40
		.amdhsa_user_sgpr_count 6
		.amdhsa_user_sgpr_private_segment_buffer 1
		.amdhsa_user_sgpr_dispatch_ptr 0
		.amdhsa_user_sgpr_queue_ptr 0
		.amdhsa_user_sgpr_kernarg_segment_ptr 1
		.amdhsa_user_sgpr_dispatch_id 0
		.amdhsa_user_sgpr_flat_scratch_init 0
		.amdhsa_user_sgpr_private_segment_size 0
		.amdhsa_wavefront_size32 1
		.amdhsa_uses_dynamic_stack 0
		.amdhsa_system_sgpr_private_segment_wavefront_offset 0
		.amdhsa_system_sgpr_workgroup_id_x 1
		.amdhsa_system_sgpr_workgroup_id_y 0
		.amdhsa_system_sgpr_workgroup_id_z 0
		.amdhsa_system_sgpr_workgroup_info 0
		.amdhsa_system_vgpr_workitem_id 0
		.amdhsa_next_free_vgpr 1
		.amdhsa_next_free_sgpr 1
		.amdhsa_reserve_vcc 0
		.amdhsa_reserve_flat_scratch 0
		.amdhsa_float_round_mode_32 0
		.amdhsa_float_round_mode_16_64 0
		.amdhsa_float_denorm_mode_32 3
		.amdhsa_float_denorm_mode_16_64 3
		.amdhsa_dx10_clamp 1
		.amdhsa_ieee_mode 1
		.amdhsa_fp16_overflow 0
		.amdhsa_workgroup_processor_mode 1
		.amdhsa_memory_ordered 1
		.amdhsa_forward_progress 1
		.amdhsa_shared_vgpr_count 0
		.amdhsa_exception_fp_ieee_invalid_op 0
		.amdhsa_exception_fp_denorm_src 0
		.amdhsa_exception_fp_ieee_div_zero 0
		.amdhsa_exception_fp_ieee_overflow 0
		.amdhsa_exception_fp_ieee_underflow 0
		.amdhsa_exception_fp_ieee_inexact 0
		.amdhsa_exception_int_div_zero 0
	.end_amdhsa_kernel
	.section	.text._ZN7rocprim17ROCPRIM_400000_NS6detail17trampoline_kernelINS0_14default_configENS1_25transform_config_selectorImLb0EEEZNS1_14transform_implILb0ES3_S5_PmN6thrust23THRUST_200600_302600_NS6detail15normal_iteratorINS9_10device_ptrImEEEENS0_8identityImEEEE10hipError_tT2_T3_mT4_P12ihipStream_tbEUlT_E_NS1_11comp_targetILNS1_3genE2ELNS1_11target_archE906ELNS1_3gpuE6ELNS1_3repE0EEENS1_30default_config_static_selectorELNS0_4arch9wavefront6targetE0EEEvT1_,"axG",@progbits,_ZN7rocprim17ROCPRIM_400000_NS6detail17trampoline_kernelINS0_14default_configENS1_25transform_config_selectorImLb0EEEZNS1_14transform_implILb0ES3_S5_PmN6thrust23THRUST_200600_302600_NS6detail15normal_iteratorINS9_10device_ptrImEEEENS0_8identityImEEEE10hipError_tT2_T3_mT4_P12ihipStream_tbEUlT_E_NS1_11comp_targetILNS1_3genE2ELNS1_11target_archE906ELNS1_3gpuE6ELNS1_3repE0EEENS1_30default_config_static_selectorELNS0_4arch9wavefront6targetE0EEEvT1_,comdat
.Lfunc_end669:
	.size	_ZN7rocprim17ROCPRIM_400000_NS6detail17trampoline_kernelINS0_14default_configENS1_25transform_config_selectorImLb0EEEZNS1_14transform_implILb0ES3_S5_PmN6thrust23THRUST_200600_302600_NS6detail15normal_iteratorINS9_10device_ptrImEEEENS0_8identityImEEEE10hipError_tT2_T3_mT4_P12ihipStream_tbEUlT_E_NS1_11comp_targetILNS1_3genE2ELNS1_11target_archE906ELNS1_3gpuE6ELNS1_3repE0EEENS1_30default_config_static_selectorELNS0_4arch9wavefront6targetE0EEEvT1_, .Lfunc_end669-_ZN7rocprim17ROCPRIM_400000_NS6detail17trampoline_kernelINS0_14default_configENS1_25transform_config_selectorImLb0EEEZNS1_14transform_implILb0ES3_S5_PmN6thrust23THRUST_200600_302600_NS6detail15normal_iteratorINS9_10device_ptrImEEEENS0_8identityImEEEE10hipError_tT2_T3_mT4_P12ihipStream_tbEUlT_E_NS1_11comp_targetILNS1_3genE2ELNS1_11target_archE906ELNS1_3gpuE6ELNS1_3repE0EEENS1_30default_config_static_selectorELNS0_4arch9wavefront6targetE0EEEvT1_
                                        ; -- End function
	.set _ZN7rocprim17ROCPRIM_400000_NS6detail17trampoline_kernelINS0_14default_configENS1_25transform_config_selectorImLb0EEEZNS1_14transform_implILb0ES3_S5_PmN6thrust23THRUST_200600_302600_NS6detail15normal_iteratorINS9_10device_ptrImEEEENS0_8identityImEEEE10hipError_tT2_T3_mT4_P12ihipStream_tbEUlT_E_NS1_11comp_targetILNS1_3genE2ELNS1_11target_archE906ELNS1_3gpuE6ELNS1_3repE0EEENS1_30default_config_static_selectorELNS0_4arch9wavefront6targetE0EEEvT1_.num_vgpr, 0
	.set _ZN7rocprim17ROCPRIM_400000_NS6detail17trampoline_kernelINS0_14default_configENS1_25transform_config_selectorImLb0EEEZNS1_14transform_implILb0ES3_S5_PmN6thrust23THRUST_200600_302600_NS6detail15normal_iteratorINS9_10device_ptrImEEEENS0_8identityImEEEE10hipError_tT2_T3_mT4_P12ihipStream_tbEUlT_E_NS1_11comp_targetILNS1_3genE2ELNS1_11target_archE906ELNS1_3gpuE6ELNS1_3repE0EEENS1_30default_config_static_selectorELNS0_4arch9wavefront6targetE0EEEvT1_.num_agpr, 0
	.set _ZN7rocprim17ROCPRIM_400000_NS6detail17trampoline_kernelINS0_14default_configENS1_25transform_config_selectorImLb0EEEZNS1_14transform_implILb0ES3_S5_PmN6thrust23THRUST_200600_302600_NS6detail15normal_iteratorINS9_10device_ptrImEEEENS0_8identityImEEEE10hipError_tT2_T3_mT4_P12ihipStream_tbEUlT_E_NS1_11comp_targetILNS1_3genE2ELNS1_11target_archE906ELNS1_3gpuE6ELNS1_3repE0EEENS1_30default_config_static_selectorELNS0_4arch9wavefront6targetE0EEEvT1_.numbered_sgpr, 0
	.set _ZN7rocprim17ROCPRIM_400000_NS6detail17trampoline_kernelINS0_14default_configENS1_25transform_config_selectorImLb0EEEZNS1_14transform_implILb0ES3_S5_PmN6thrust23THRUST_200600_302600_NS6detail15normal_iteratorINS9_10device_ptrImEEEENS0_8identityImEEEE10hipError_tT2_T3_mT4_P12ihipStream_tbEUlT_E_NS1_11comp_targetILNS1_3genE2ELNS1_11target_archE906ELNS1_3gpuE6ELNS1_3repE0EEENS1_30default_config_static_selectorELNS0_4arch9wavefront6targetE0EEEvT1_.num_named_barrier, 0
	.set _ZN7rocprim17ROCPRIM_400000_NS6detail17trampoline_kernelINS0_14default_configENS1_25transform_config_selectorImLb0EEEZNS1_14transform_implILb0ES3_S5_PmN6thrust23THRUST_200600_302600_NS6detail15normal_iteratorINS9_10device_ptrImEEEENS0_8identityImEEEE10hipError_tT2_T3_mT4_P12ihipStream_tbEUlT_E_NS1_11comp_targetILNS1_3genE2ELNS1_11target_archE906ELNS1_3gpuE6ELNS1_3repE0EEENS1_30default_config_static_selectorELNS0_4arch9wavefront6targetE0EEEvT1_.private_seg_size, 0
	.set _ZN7rocprim17ROCPRIM_400000_NS6detail17trampoline_kernelINS0_14default_configENS1_25transform_config_selectorImLb0EEEZNS1_14transform_implILb0ES3_S5_PmN6thrust23THRUST_200600_302600_NS6detail15normal_iteratorINS9_10device_ptrImEEEENS0_8identityImEEEE10hipError_tT2_T3_mT4_P12ihipStream_tbEUlT_E_NS1_11comp_targetILNS1_3genE2ELNS1_11target_archE906ELNS1_3gpuE6ELNS1_3repE0EEENS1_30default_config_static_selectorELNS0_4arch9wavefront6targetE0EEEvT1_.uses_vcc, 0
	.set _ZN7rocprim17ROCPRIM_400000_NS6detail17trampoline_kernelINS0_14default_configENS1_25transform_config_selectorImLb0EEEZNS1_14transform_implILb0ES3_S5_PmN6thrust23THRUST_200600_302600_NS6detail15normal_iteratorINS9_10device_ptrImEEEENS0_8identityImEEEE10hipError_tT2_T3_mT4_P12ihipStream_tbEUlT_E_NS1_11comp_targetILNS1_3genE2ELNS1_11target_archE906ELNS1_3gpuE6ELNS1_3repE0EEENS1_30default_config_static_selectorELNS0_4arch9wavefront6targetE0EEEvT1_.uses_flat_scratch, 0
	.set _ZN7rocprim17ROCPRIM_400000_NS6detail17trampoline_kernelINS0_14default_configENS1_25transform_config_selectorImLb0EEEZNS1_14transform_implILb0ES3_S5_PmN6thrust23THRUST_200600_302600_NS6detail15normal_iteratorINS9_10device_ptrImEEEENS0_8identityImEEEE10hipError_tT2_T3_mT4_P12ihipStream_tbEUlT_E_NS1_11comp_targetILNS1_3genE2ELNS1_11target_archE906ELNS1_3gpuE6ELNS1_3repE0EEENS1_30default_config_static_selectorELNS0_4arch9wavefront6targetE0EEEvT1_.has_dyn_sized_stack, 0
	.set _ZN7rocprim17ROCPRIM_400000_NS6detail17trampoline_kernelINS0_14default_configENS1_25transform_config_selectorImLb0EEEZNS1_14transform_implILb0ES3_S5_PmN6thrust23THRUST_200600_302600_NS6detail15normal_iteratorINS9_10device_ptrImEEEENS0_8identityImEEEE10hipError_tT2_T3_mT4_P12ihipStream_tbEUlT_E_NS1_11comp_targetILNS1_3genE2ELNS1_11target_archE906ELNS1_3gpuE6ELNS1_3repE0EEENS1_30default_config_static_selectorELNS0_4arch9wavefront6targetE0EEEvT1_.has_recursion, 0
	.set _ZN7rocprim17ROCPRIM_400000_NS6detail17trampoline_kernelINS0_14default_configENS1_25transform_config_selectorImLb0EEEZNS1_14transform_implILb0ES3_S5_PmN6thrust23THRUST_200600_302600_NS6detail15normal_iteratorINS9_10device_ptrImEEEENS0_8identityImEEEE10hipError_tT2_T3_mT4_P12ihipStream_tbEUlT_E_NS1_11comp_targetILNS1_3genE2ELNS1_11target_archE906ELNS1_3gpuE6ELNS1_3repE0EEENS1_30default_config_static_selectorELNS0_4arch9wavefront6targetE0EEEvT1_.has_indirect_call, 0
	.section	.AMDGPU.csdata,"",@progbits
; Kernel info:
; codeLenInByte = 0
; TotalNumSgprs: 0
; NumVgprs: 0
; ScratchSize: 0
; MemoryBound: 0
; FloatMode: 240
; IeeeMode: 1
; LDSByteSize: 0 bytes/workgroup (compile time only)
; SGPRBlocks: 0
; VGPRBlocks: 0
; NumSGPRsForWavesPerEU: 1
; NumVGPRsForWavesPerEU: 1
; Occupancy: 16
; WaveLimiterHint : 0
; COMPUTE_PGM_RSRC2:SCRATCH_EN: 0
; COMPUTE_PGM_RSRC2:USER_SGPR: 6
; COMPUTE_PGM_RSRC2:TRAP_HANDLER: 0
; COMPUTE_PGM_RSRC2:TGID_X_EN: 1
; COMPUTE_PGM_RSRC2:TGID_Y_EN: 0
; COMPUTE_PGM_RSRC2:TGID_Z_EN: 0
; COMPUTE_PGM_RSRC2:TIDIG_COMP_CNT: 0
	.section	.text._ZN7rocprim17ROCPRIM_400000_NS6detail17trampoline_kernelINS0_14default_configENS1_25transform_config_selectorImLb0EEEZNS1_14transform_implILb0ES3_S5_PmN6thrust23THRUST_200600_302600_NS6detail15normal_iteratorINS9_10device_ptrImEEEENS0_8identityImEEEE10hipError_tT2_T3_mT4_P12ihipStream_tbEUlT_E_NS1_11comp_targetILNS1_3genE10ELNS1_11target_archE1201ELNS1_3gpuE5ELNS1_3repE0EEENS1_30default_config_static_selectorELNS0_4arch9wavefront6targetE0EEEvT1_,"axG",@progbits,_ZN7rocprim17ROCPRIM_400000_NS6detail17trampoline_kernelINS0_14default_configENS1_25transform_config_selectorImLb0EEEZNS1_14transform_implILb0ES3_S5_PmN6thrust23THRUST_200600_302600_NS6detail15normal_iteratorINS9_10device_ptrImEEEENS0_8identityImEEEE10hipError_tT2_T3_mT4_P12ihipStream_tbEUlT_E_NS1_11comp_targetILNS1_3genE10ELNS1_11target_archE1201ELNS1_3gpuE5ELNS1_3repE0EEENS1_30default_config_static_selectorELNS0_4arch9wavefront6targetE0EEEvT1_,comdat
	.protected	_ZN7rocprim17ROCPRIM_400000_NS6detail17trampoline_kernelINS0_14default_configENS1_25transform_config_selectorImLb0EEEZNS1_14transform_implILb0ES3_S5_PmN6thrust23THRUST_200600_302600_NS6detail15normal_iteratorINS9_10device_ptrImEEEENS0_8identityImEEEE10hipError_tT2_T3_mT4_P12ihipStream_tbEUlT_E_NS1_11comp_targetILNS1_3genE10ELNS1_11target_archE1201ELNS1_3gpuE5ELNS1_3repE0EEENS1_30default_config_static_selectorELNS0_4arch9wavefront6targetE0EEEvT1_ ; -- Begin function _ZN7rocprim17ROCPRIM_400000_NS6detail17trampoline_kernelINS0_14default_configENS1_25transform_config_selectorImLb0EEEZNS1_14transform_implILb0ES3_S5_PmN6thrust23THRUST_200600_302600_NS6detail15normal_iteratorINS9_10device_ptrImEEEENS0_8identityImEEEE10hipError_tT2_T3_mT4_P12ihipStream_tbEUlT_E_NS1_11comp_targetILNS1_3genE10ELNS1_11target_archE1201ELNS1_3gpuE5ELNS1_3repE0EEENS1_30default_config_static_selectorELNS0_4arch9wavefront6targetE0EEEvT1_
	.globl	_ZN7rocprim17ROCPRIM_400000_NS6detail17trampoline_kernelINS0_14default_configENS1_25transform_config_selectorImLb0EEEZNS1_14transform_implILb0ES3_S5_PmN6thrust23THRUST_200600_302600_NS6detail15normal_iteratorINS9_10device_ptrImEEEENS0_8identityImEEEE10hipError_tT2_T3_mT4_P12ihipStream_tbEUlT_E_NS1_11comp_targetILNS1_3genE10ELNS1_11target_archE1201ELNS1_3gpuE5ELNS1_3repE0EEENS1_30default_config_static_selectorELNS0_4arch9wavefront6targetE0EEEvT1_
	.p2align	8
	.type	_ZN7rocprim17ROCPRIM_400000_NS6detail17trampoline_kernelINS0_14default_configENS1_25transform_config_selectorImLb0EEEZNS1_14transform_implILb0ES3_S5_PmN6thrust23THRUST_200600_302600_NS6detail15normal_iteratorINS9_10device_ptrImEEEENS0_8identityImEEEE10hipError_tT2_T3_mT4_P12ihipStream_tbEUlT_E_NS1_11comp_targetILNS1_3genE10ELNS1_11target_archE1201ELNS1_3gpuE5ELNS1_3repE0EEENS1_30default_config_static_selectorELNS0_4arch9wavefront6targetE0EEEvT1_,@function
_ZN7rocprim17ROCPRIM_400000_NS6detail17trampoline_kernelINS0_14default_configENS1_25transform_config_selectorImLb0EEEZNS1_14transform_implILb0ES3_S5_PmN6thrust23THRUST_200600_302600_NS6detail15normal_iteratorINS9_10device_ptrImEEEENS0_8identityImEEEE10hipError_tT2_T3_mT4_P12ihipStream_tbEUlT_E_NS1_11comp_targetILNS1_3genE10ELNS1_11target_archE1201ELNS1_3gpuE5ELNS1_3repE0EEENS1_30default_config_static_selectorELNS0_4arch9wavefront6targetE0EEEvT1_: ; @_ZN7rocprim17ROCPRIM_400000_NS6detail17trampoline_kernelINS0_14default_configENS1_25transform_config_selectorImLb0EEEZNS1_14transform_implILb0ES3_S5_PmN6thrust23THRUST_200600_302600_NS6detail15normal_iteratorINS9_10device_ptrImEEEENS0_8identityImEEEE10hipError_tT2_T3_mT4_P12ihipStream_tbEUlT_E_NS1_11comp_targetILNS1_3genE10ELNS1_11target_archE1201ELNS1_3gpuE5ELNS1_3repE0EEENS1_30default_config_static_selectorELNS0_4arch9wavefront6targetE0EEEvT1_
; %bb.0:
	.section	.rodata,"a",@progbits
	.p2align	6, 0x0
	.amdhsa_kernel _ZN7rocprim17ROCPRIM_400000_NS6detail17trampoline_kernelINS0_14default_configENS1_25transform_config_selectorImLb0EEEZNS1_14transform_implILb0ES3_S5_PmN6thrust23THRUST_200600_302600_NS6detail15normal_iteratorINS9_10device_ptrImEEEENS0_8identityImEEEE10hipError_tT2_T3_mT4_P12ihipStream_tbEUlT_E_NS1_11comp_targetILNS1_3genE10ELNS1_11target_archE1201ELNS1_3gpuE5ELNS1_3repE0EEENS1_30default_config_static_selectorELNS0_4arch9wavefront6targetE0EEEvT1_
		.amdhsa_group_segment_fixed_size 0
		.amdhsa_private_segment_fixed_size 0
		.amdhsa_kernarg_size 40
		.amdhsa_user_sgpr_count 6
		.amdhsa_user_sgpr_private_segment_buffer 1
		.amdhsa_user_sgpr_dispatch_ptr 0
		.amdhsa_user_sgpr_queue_ptr 0
		.amdhsa_user_sgpr_kernarg_segment_ptr 1
		.amdhsa_user_sgpr_dispatch_id 0
		.amdhsa_user_sgpr_flat_scratch_init 0
		.amdhsa_user_sgpr_private_segment_size 0
		.amdhsa_wavefront_size32 1
		.amdhsa_uses_dynamic_stack 0
		.amdhsa_system_sgpr_private_segment_wavefront_offset 0
		.amdhsa_system_sgpr_workgroup_id_x 1
		.amdhsa_system_sgpr_workgroup_id_y 0
		.amdhsa_system_sgpr_workgroup_id_z 0
		.amdhsa_system_sgpr_workgroup_info 0
		.amdhsa_system_vgpr_workitem_id 0
		.amdhsa_next_free_vgpr 1
		.amdhsa_next_free_sgpr 1
		.amdhsa_reserve_vcc 0
		.amdhsa_reserve_flat_scratch 0
		.amdhsa_float_round_mode_32 0
		.amdhsa_float_round_mode_16_64 0
		.amdhsa_float_denorm_mode_32 3
		.amdhsa_float_denorm_mode_16_64 3
		.amdhsa_dx10_clamp 1
		.amdhsa_ieee_mode 1
		.amdhsa_fp16_overflow 0
		.amdhsa_workgroup_processor_mode 1
		.amdhsa_memory_ordered 1
		.amdhsa_forward_progress 1
		.amdhsa_shared_vgpr_count 0
		.amdhsa_exception_fp_ieee_invalid_op 0
		.amdhsa_exception_fp_denorm_src 0
		.amdhsa_exception_fp_ieee_div_zero 0
		.amdhsa_exception_fp_ieee_overflow 0
		.amdhsa_exception_fp_ieee_underflow 0
		.amdhsa_exception_fp_ieee_inexact 0
		.amdhsa_exception_int_div_zero 0
	.end_amdhsa_kernel
	.section	.text._ZN7rocprim17ROCPRIM_400000_NS6detail17trampoline_kernelINS0_14default_configENS1_25transform_config_selectorImLb0EEEZNS1_14transform_implILb0ES3_S5_PmN6thrust23THRUST_200600_302600_NS6detail15normal_iteratorINS9_10device_ptrImEEEENS0_8identityImEEEE10hipError_tT2_T3_mT4_P12ihipStream_tbEUlT_E_NS1_11comp_targetILNS1_3genE10ELNS1_11target_archE1201ELNS1_3gpuE5ELNS1_3repE0EEENS1_30default_config_static_selectorELNS0_4arch9wavefront6targetE0EEEvT1_,"axG",@progbits,_ZN7rocprim17ROCPRIM_400000_NS6detail17trampoline_kernelINS0_14default_configENS1_25transform_config_selectorImLb0EEEZNS1_14transform_implILb0ES3_S5_PmN6thrust23THRUST_200600_302600_NS6detail15normal_iteratorINS9_10device_ptrImEEEENS0_8identityImEEEE10hipError_tT2_T3_mT4_P12ihipStream_tbEUlT_E_NS1_11comp_targetILNS1_3genE10ELNS1_11target_archE1201ELNS1_3gpuE5ELNS1_3repE0EEENS1_30default_config_static_selectorELNS0_4arch9wavefront6targetE0EEEvT1_,comdat
.Lfunc_end670:
	.size	_ZN7rocprim17ROCPRIM_400000_NS6detail17trampoline_kernelINS0_14default_configENS1_25transform_config_selectorImLb0EEEZNS1_14transform_implILb0ES3_S5_PmN6thrust23THRUST_200600_302600_NS6detail15normal_iteratorINS9_10device_ptrImEEEENS0_8identityImEEEE10hipError_tT2_T3_mT4_P12ihipStream_tbEUlT_E_NS1_11comp_targetILNS1_3genE10ELNS1_11target_archE1201ELNS1_3gpuE5ELNS1_3repE0EEENS1_30default_config_static_selectorELNS0_4arch9wavefront6targetE0EEEvT1_, .Lfunc_end670-_ZN7rocprim17ROCPRIM_400000_NS6detail17trampoline_kernelINS0_14default_configENS1_25transform_config_selectorImLb0EEEZNS1_14transform_implILb0ES3_S5_PmN6thrust23THRUST_200600_302600_NS6detail15normal_iteratorINS9_10device_ptrImEEEENS0_8identityImEEEE10hipError_tT2_T3_mT4_P12ihipStream_tbEUlT_E_NS1_11comp_targetILNS1_3genE10ELNS1_11target_archE1201ELNS1_3gpuE5ELNS1_3repE0EEENS1_30default_config_static_selectorELNS0_4arch9wavefront6targetE0EEEvT1_
                                        ; -- End function
	.set _ZN7rocprim17ROCPRIM_400000_NS6detail17trampoline_kernelINS0_14default_configENS1_25transform_config_selectorImLb0EEEZNS1_14transform_implILb0ES3_S5_PmN6thrust23THRUST_200600_302600_NS6detail15normal_iteratorINS9_10device_ptrImEEEENS0_8identityImEEEE10hipError_tT2_T3_mT4_P12ihipStream_tbEUlT_E_NS1_11comp_targetILNS1_3genE10ELNS1_11target_archE1201ELNS1_3gpuE5ELNS1_3repE0EEENS1_30default_config_static_selectorELNS0_4arch9wavefront6targetE0EEEvT1_.num_vgpr, 0
	.set _ZN7rocprim17ROCPRIM_400000_NS6detail17trampoline_kernelINS0_14default_configENS1_25transform_config_selectorImLb0EEEZNS1_14transform_implILb0ES3_S5_PmN6thrust23THRUST_200600_302600_NS6detail15normal_iteratorINS9_10device_ptrImEEEENS0_8identityImEEEE10hipError_tT2_T3_mT4_P12ihipStream_tbEUlT_E_NS1_11comp_targetILNS1_3genE10ELNS1_11target_archE1201ELNS1_3gpuE5ELNS1_3repE0EEENS1_30default_config_static_selectorELNS0_4arch9wavefront6targetE0EEEvT1_.num_agpr, 0
	.set _ZN7rocprim17ROCPRIM_400000_NS6detail17trampoline_kernelINS0_14default_configENS1_25transform_config_selectorImLb0EEEZNS1_14transform_implILb0ES3_S5_PmN6thrust23THRUST_200600_302600_NS6detail15normal_iteratorINS9_10device_ptrImEEEENS0_8identityImEEEE10hipError_tT2_T3_mT4_P12ihipStream_tbEUlT_E_NS1_11comp_targetILNS1_3genE10ELNS1_11target_archE1201ELNS1_3gpuE5ELNS1_3repE0EEENS1_30default_config_static_selectorELNS0_4arch9wavefront6targetE0EEEvT1_.numbered_sgpr, 0
	.set _ZN7rocprim17ROCPRIM_400000_NS6detail17trampoline_kernelINS0_14default_configENS1_25transform_config_selectorImLb0EEEZNS1_14transform_implILb0ES3_S5_PmN6thrust23THRUST_200600_302600_NS6detail15normal_iteratorINS9_10device_ptrImEEEENS0_8identityImEEEE10hipError_tT2_T3_mT4_P12ihipStream_tbEUlT_E_NS1_11comp_targetILNS1_3genE10ELNS1_11target_archE1201ELNS1_3gpuE5ELNS1_3repE0EEENS1_30default_config_static_selectorELNS0_4arch9wavefront6targetE0EEEvT1_.num_named_barrier, 0
	.set _ZN7rocprim17ROCPRIM_400000_NS6detail17trampoline_kernelINS0_14default_configENS1_25transform_config_selectorImLb0EEEZNS1_14transform_implILb0ES3_S5_PmN6thrust23THRUST_200600_302600_NS6detail15normal_iteratorINS9_10device_ptrImEEEENS0_8identityImEEEE10hipError_tT2_T3_mT4_P12ihipStream_tbEUlT_E_NS1_11comp_targetILNS1_3genE10ELNS1_11target_archE1201ELNS1_3gpuE5ELNS1_3repE0EEENS1_30default_config_static_selectorELNS0_4arch9wavefront6targetE0EEEvT1_.private_seg_size, 0
	.set _ZN7rocprim17ROCPRIM_400000_NS6detail17trampoline_kernelINS0_14default_configENS1_25transform_config_selectorImLb0EEEZNS1_14transform_implILb0ES3_S5_PmN6thrust23THRUST_200600_302600_NS6detail15normal_iteratorINS9_10device_ptrImEEEENS0_8identityImEEEE10hipError_tT2_T3_mT4_P12ihipStream_tbEUlT_E_NS1_11comp_targetILNS1_3genE10ELNS1_11target_archE1201ELNS1_3gpuE5ELNS1_3repE0EEENS1_30default_config_static_selectorELNS0_4arch9wavefront6targetE0EEEvT1_.uses_vcc, 0
	.set _ZN7rocprim17ROCPRIM_400000_NS6detail17trampoline_kernelINS0_14default_configENS1_25transform_config_selectorImLb0EEEZNS1_14transform_implILb0ES3_S5_PmN6thrust23THRUST_200600_302600_NS6detail15normal_iteratorINS9_10device_ptrImEEEENS0_8identityImEEEE10hipError_tT2_T3_mT4_P12ihipStream_tbEUlT_E_NS1_11comp_targetILNS1_3genE10ELNS1_11target_archE1201ELNS1_3gpuE5ELNS1_3repE0EEENS1_30default_config_static_selectorELNS0_4arch9wavefront6targetE0EEEvT1_.uses_flat_scratch, 0
	.set _ZN7rocprim17ROCPRIM_400000_NS6detail17trampoline_kernelINS0_14default_configENS1_25transform_config_selectorImLb0EEEZNS1_14transform_implILb0ES3_S5_PmN6thrust23THRUST_200600_302600_NS6detail15normal_iteratorINS9_10device_ptrImEEEENS0_8identityImEEEE10hipError_tT2_T3_mT4_P12ihipStream_tbEUlT_E_NS1_11comp_targetILNS1_3genE10ELNS1_11target_archE1201ELNS1_3gpuE5ELNS1_3repE0EEENS1_30default_config_static_selectorELNS0_4arch9wavefront6targetE0EEEvT1_.has_dyn_sized_stack, 0
	.set _ZN7rocprim17ROCPRIM_400000_NS6detail17trampoline_kernelINS0_14default_configENS1_25transform_config_selectorImLb0EEEZNS1_14transform_implILb0ES3_S5_PmN6thrust23THRUST_200600_302600_NS6detail15normal_iteratorINS9_10device_ptrImEEEENS0_8identityImEEEE10hipError_tT2_T3_mT4_P12ihipStream_tbEUlT_E_NS1_11comp_targetILNS1_3genE10ELNS1_11target_archE1201ELNS1_3gpuE5ELNS1_3repE0EEENS1_30default_config_static_selectorELNS0_4arch9wavefront6targetE0EEEvT1_.has_recursion, 0
	.set _ZN7rocprim17ROCPRIM_400000_NS6detail17trampoline_kernelINS0_14default_configENS1_25transform_config_selectorImLb0EEEZNS1_14transform_implILb0ES3_S5_PmN6thrust23THRUST_200600_302600_NS6detail15normal_iteratorINS9_10device_ptrImEEEENS0_8identityImEEEE10hipError_tT2_T3_mT4_P12ihipStream_tbEUlT_E_NS1_11comp_targetILNS1_3genE10ELNS1_11target_archE1201ELNS1_3gpuE5ELNS1_3repE0EEENS1_30default_config_static_selectorELNS0_4arch9wavefront6targetE0EEEvT1_.has_indirect_call, 0
	.section	.AMDGPU.csdata,"",@progbits
; Kernel info:
; codeLenInByte = 0
; TotalNumSgprs: 0
; NumVgprs: 0
; ScratchSize: 0
; MemoryBound: 0
; FloatMode: 240
; IeeeMode: 1
; LDSByteSize: 0 bytes/workgroup (compile time only)
; SGPRBlocks: 0
; VGPRBlocks: 0
; NumSGPRsForWavesPerEU: 1
; NumVGPRsForWavesPerEU: 1
; Occupancy: 16
; WaveLimiterHint : 0
; COMPUTE_PGM_RSRC2:SCRATCH_EN: 0
; COMPUTE_PGM_RSRC2:USER_SGPR: 6
; COMPUTE_PGM_RSRC2:TRAP_HANDLER: 0
; COMPUTE_PGM_RSRC2:TGID_X_EN: 1
; COMPUTE_PGM_RSRC2:TGID_Y_EN: 0
; COMPUTE_PGM_RSRC2:TGID_Z_EN: 0
; COMPUTE_PGM_RSRC2:TIDIG_COMP_CNT: 0
	.section	.text._ZN7rocprim17ROCPRIM_400000_NS6detail17trampoline_kernelINS0_14default_configENS1_25transform_config_selectorImLb0EEEZNS1_14transform_implILb0ES3_S5_PmN6thrust23THRUST_200600_302600_NS6detail15normal_iteratorINS9_10device_ptrImEEEENS0_8identityImEEEE10hipError_tT2_T3_mT4_P12ihipStream_tbEUlT_E_NS1_11comp_targetILNS1_3genE10ELNS1_11target_archE1200ELNS1_3gpuE4ELNS1_3repE0EEENS1_30default_config_static_selectorELNS0_4arch9wavefront6targetE0EEEvT1_,"axG",@progbits,_ZN7rocprim17ROCPRIM_400000_NS6detail17trampoline_kernelINS0_14default_configENS1_25transform_config_selectorImLb0EEEZNS1_14transform_implILb0ES3_S5_PmN6thrust23THRUST_200600_302600_NS6detail15normal_iteratorINS9_10device_ptrImEEEENS0_8identityImEEEE10hipError_tT2_T3_mT4_P12ihipStream_tbEUlT_E_NS1_11comp_targetILNS1_3genE10ELNS1_11target_archE1200ELNS1_3gpuE4ELNS1_3repE0EEENS1_30default_config_static_selectorELNS0_4arch9wavefront6targetE0EEEvT1_,comdat
	.protected	_ZN7rocprim17ROCPRIM_400000_NS6detail17trampoline_kernelINS0_14default_configENS1_25transform_config_selectorImLb0EEEZNS1_14transform_implILb0ES3_S5_PmN6thrust23THRUST_200600_302600_NS6detail15normal_iteratorINS9_10device_ptrImEEEENS0_8identityImEEEE10hipError_tT2_T3_mT4_P12ihipStream_tbEUlT_E_NS1_11comp_targetILNS1_3genE10ELNS1_11target_archE1200ELNS1_3gpuE4ELNS1_3repE0EEENS1_30default_config_static_selectorELNS0_4arch9wavefront6targetE0EEEvT1_ ; -- Begin function _ZN7rocprim17ROCPRIM_400000_NS6detail17trampoline_kernelINS0_14default_configENS1_25transform_config_selectorImLb0EEEZNS1_14transform_implILb0ES3_S5_PmN6thrust23THRUST_200600_302600_NS6detail15normal_iteratorINS9_10device_ptrImEEEENS0_8identityImEEEE10hipError_tT2_T3_mT4_P12ihipStream_tbEUlT_E_NS1_11comp_targetILNS1_3genE10ELNS1_11target_archE1200ELNS1_3gpuE4ELNS1_3repE0EEENS1_30default_config_static_selectorELNS0_4arch9wavefront6targetE0EEEvT1_
	.globl	_ZN7rocprim17ROCPRIM_400000_NS6detail17trampoline_kernelINS0_14default_configENS1_25transform_config_selectorImLb0EEEZNS1_14transform_implILb0ES3_S5_PmN6thrust23THRUST_200600_302600_NS6detail15normal_iteratorINS9_10device_ptrImEEEENS0_8identityImEEEE10hipError_tT2_T3_mT4_P12ihipStream_tbEUlT_E_NS1_11comp_targetILNS1_3genE10ELNS1_11target_archE1200ELNS1_3gpuE4ELNS1_3repE0EEENS1_30default_config_static_selectorELNS0_4arch9wavefront6targetE0EEEvT1_
	.p2align	8
	.type	_ZN7rocprim17ROCPRIM_400000_NS6detail17trampoline_kernelINS0_14default_configENS1_25transform_config_selectorImLb0EEEZNS1_14transform_implILb0ES3_S5_PmN6thrust23THRUST_200600_302600_NS6detail15normal_iteratorINS9_10device_ptrImEEEENS0_8identityImEEEE10hipError_tT2_T3_mT4_P12ihipStream_tbEUlT_E_NS1_11comp_targetILNS1_3genE10ELNS1_11target_archE1200ELNS1_3gpuE4ELNS1_3repE0EEENS1_30default_config_static_selectorELNS0_4arch9wavefront6targetE0EEEvT1_,@function
_ZN7rocprim17ROCPRIM_400000_NS6detail17trampoline_kernelINS0_14default_configENS1_25transform_config_selectorImLb0EEEZNS1_14transform_implILb0ES3_S5_PmN6thrust23THRUST_200600_302600_NS6detail15normal_iteratorINS9_10device_ptrImEEEENS0_8identityImEEEE10hipError_tT2_T3_mT4_P12ihipStream_tbEUlT_E_NS1_11comp_targetILNS1_3genE10ELNS1_11target_archE1200ELNS1_3gpuE4ELNS1_3repE0EEENS1_30default_config_static_selectorELNS0_4arch9wavefront6targetE0EEEvT1_: ; @_ZN7rocprim17ROCPRIM_400000_NS6detail17trampoline_kernelINS0_14default_configENS1_25transform_config_selectorImLb0EEEZNS1_14transform_implILb0ES3_S5_PmN6thrust23THRUST_200600_302600_NS6detail15normal_iteratorINS9_10device_ptrImEEEENS0_8identityImEEEE10hipError_tT2_T3_mT4_P12ihipStream_tbEUlT_E_NS1_11comp_targetILNS1_3genE10ELNS1_11target_archE1200ELNS1_3gpuE4ELNS1_3repE0EEENS1_30default_config_static_selectorELNS0_4arch9wavefront6targetE0EEEvT1_
; %bb.0:
	.section	.rodata,"a",@progbits
	.p2align	6, 0x0
	.amdhsa_kernel _ZN7rocprim17ROCPRIM_400000_NS6detail17trampoline_kernelINS0_14default_configENS1_25transform_config_selectorImLb0EEEZNS1_14transform_implILb0ES3_S5_PmN6thrust23THRUST_200600_302600_NS6detail15normal_iteratorINS9_10device_ptrImEEEENS0_8identityImEEEE10hipError_tT2_T3_mT4_P12ihipStream_tbEUlT_E_NS1_11comp_targetILNS1_3genE10ELNS1_11target_archE1200ELNS1_3gpuE4ELNS1_3repE0EEENS1_30default_config_static_selectorELNS0_4arch9wavefront6targetE0EEEvT1_
		.amdhsa_group_segment_fixed_size 0
		.amdhsa_private_segment_fixed_size 0
		.amdhsa_kernarg_size 40
		.amdhsa_user_sgpr_count 6
		.amdhsa_user_sgpr_private_segment_buffer 1
		.amdhsa_user_sgpr_dispatch_ptr 0
		.amdhsa_user_sgpr_queue_ptr 0
		.amdhsa_user_sgpr_kernarg_segment_ptr 1
		.amdhsa_user_sgpr_dispatch_id 0
		.amdhsa_user_sgpr_flat_scratch_init 0
		.amdhsa_user_sgpr_private_segment_size 0
		.amdhsa_wavefront_size32 1
		.amdhsa_uses_dynamic_stack 0
		.amdhsa_system_sgpr_private_segment_wavefront_offset 0
		.amdhsa_system_sgpr_workgroup_id_x 1
		.amdhsa_system_sgpr_workgroup_id_y 0
		.amdhsa_system_sgpr_workgroup_id_z 0
		.amdhsa_system_sgpr_workgroup_info 0
		.amdhsa_system_vgpr_workitem_id 0
		.amdhsa_next_free_vgpr 1
		.amdhsa_next_free_sgpr 1
		.amdhsa_reserve_vcc 0
		.amdhsa_reserve_flat_scratch 0
		.amdhsa_float_round_mode_32 0
		.amdhsa_float_round_mode_16_64 0
		.amdhsa_float_denorm_mode_32 3
		.amdhsa_float_denorm_mode_16_64 3
		.amdhsa_dx10_clamp 1
		.amdhsa_ieee_mode 1
		.amdhsa_fp16_overflow 0
		.amdhsa_workgroup_processor_mode 1
		.amdhsa_memory_ordered 1
		.amdhsa_forward_progress 1
		.amdhsa_shared_vgpr_count 0
		.amdhsa_exception_fp_ieee_invalid_op 0
		.amdhsa_exception_fp_denorm_src 0
		.amdhsa_exception_fp_ieee_div_zero 0
		.amdhsa_exception_fp_ieee_overflow 0
		.amdhsa_exception_fp_ieee_underflow 0
		.amdhsa_exception_fp_ieee_inexact 0
		.amdhsa_exception_int_div_zero 0
	.end_amdhsa_kernel
	.section	.text._ZN7rocprim17ROCPRIM_400000_NS6detail17trampoline_kernelINS0_14default_configENS1_25transform_config_selectorImLb0EEEZNS1_14transform_implILb0ES3_S5_PmN6thrust23THRUST_200600_302600_NS6detail15normal_iteratorINS9_10device_ptrImEEEENS0_8identityImEEEE10hipError_tT2_T3_mT4_P12ihipStream_tbEUlT_E_NS1_11comp_targetILNS1_3genE10ELNS1_11target_archE1200ELNS1_3gpuE4ELNS1_3repE0EEENS1_30default_config_static_selectorELNS0_4arch9wavefront6targetE0EEEvT1_,"axG",@progbits,_ZN7rocprim17ROCPRIM_400000_NS6detail17trampoline_kernelINS0_14default_configENS1_25transform_config_selectorImLb0EEEZNS1_14transform_implILb0ES3_S5_PmN6thrust23THRUST_200600_302600_NS6detail15normal_iteratorINS9_10device_ptrImEEEENS0_8identityImEEEE10hipError_tT2_T3_mT4_P12ihipStream_tbEUlT_E_NS1_11comp_targetILNS1_3genE10ELNS1_11target_archE1200ELNS1_3gpuE4ELNS1_3repE0EEENS1_30default_config_static_selectorELNS0_4arch9wavefront6targetE0EEEvT1_,comdat
.Lfunc_end671:
	.size	_ZN7rocprim17ROCPRIM_400000_NS6detail17trampoline_kernelINS0_14default_configENS1_25transform_config_selectorImLb0EEEZNS1_14transform_implILb0ES3_S5_PmN6thrust23THRUST_200600_302600_NS6detail15normal_iteratorINS9_10device_ptrImEEEENS0_8identityImEEEE10hipError_tT2_T3_mT4_P12ihipStream_tbEUlT_E_NS1_11comp_targetILNS1_3genE10ELNS1_11target_archE1200ELNS1_3gpuE4ELNS1_3repE0EEENS1_30default_config_static_selectorELNS0_4arch9wavefront6targetE0EEEvT1_, .Lfunc_end671-_ZN7rocprim17ROCPRIM_400000_NS6detail17trampoline_kernelINS0_14default_configENS1_25transform_config_selectorImLb0EEEZNS1_14transform_implILb0ES3_S5_PmN6thrust23THRUST_200600_302600_NS6detail15normal_iteratorINS9_10device_ptrImEEEENS0_8identityImEEEE10hipError_tT2_T3_mT4_P12ihipStream_tbEUlT_E_NS1_11comp_targetILNS1_3genE10ELNS1_11target_archE1200ELNS1_3gpuE4ELNS1_3repE0EEENS1_30default_config_static_selectorELNS0_4arch9wavefront6targetE0EEEvT1_
                                        ; -- End function
	.set _ZN7rocprim17ROCPRIM_400000_NS6detail17trampoline_kernelINS0_14default_configENS1_25transform_config_selectorImLb0EEEZNS1_14transform_implILb0ES3_S5_PmN6thrust23THRUST_200600_302600_NS6detail15normal_iteratorINS9_10device_ptrImEEEENS0_8identityImEEEE10hipError_tT2_T3_mT4_P12ihipStream_tbEUlT_E_NS1_11comp_targetILNS1_3genE10ELNS1_11target_archE1200ELNS1_3gpuE4ELNS1_3repE0EEENS1_30default_config_static_selectorELNS0_4arch9wavefront6targetE0EEEvT1_.num_vgpr, 0
	.set _ZN7rocprim17ROCPRIM_400000_NS6detail17trampoline_kernelINS0_14default_configENS1_25transform_config_selectorImLb0EEEZNS1_14transform_implILb0ES3_S5_PmN6thrust23THRUST_200600_302600_NS6detail15normal_iteratorINS9_10device_ptrImEEEENS0_8identityImEEEE10hipError_tT2_T3_mT4_P12ihipStream_tbEUlT_E_NS1_11comp_targetILNS1_3genE10ELNS1_11target_archE1200ELNS1_3gpuE4ELNS1_3repE0EEENS1_30default_config_static_selectorELNS0_4arch9wavefront6targetE0EEEvT1_.num_agpr, 0
	.set _ZN7rocprim17ROCPRIM_400000_NS6detail17trampoline_kernelINS0_14default_configENS1_25transform_config_selectorImLb0EEEZNS1_14transform_implILb0ES3_S5_PmN6thrust23THRUST_200600_302600_NS6detail15normal_iteratorINS9_10device_ptrImEEEENS0_8identityImEEEE10hipError_tT2_T3_mT4_P12ihipStream_tbEUlT_E_NS1_11comp_targetILNS1_3genE10ELNS1_11target_archE1200ELNS1_3gpuE4ELNS1_3repE0EEENS1_30default_config_static_selectorELNS0_4arch9wavefront6targetE0EEEvT1_.numbered_sgpr, 0
	.set _ZN7rocprim17ROCPRIM_400000_NS6detail17trampoline_kernelINS0_14default_configENS1_25transform_config_selectorImLb0EEEZNS1_14transform_implILb0ES3_S5_PmN6thrust23THRUST_200600_302600_NS6detail15normal_iteratorINS9_10device_ptrImEEEENS0_8identityImEEEE10hipError_tT2_T3_mT4_P12ihipStream_tbEUlT_E_NS1_11comp_targetILNS1_3genE10ELNS1_11target_archE1200ELNS1_3gpuE4ELNS1_3repE0EEENS1_30default_config_static_selectorELNS0_4arch9wavefront6targetE0EEEvT1_.num_named_barrier, 0
	.set _ZN7rocprim17ROCPRIM_400000_NS6detail17trampoline_kernelINS0_14default_configENS1_25transform_config_selectorImLb0EEEZNS1_14transform_implILb0ES3_S5_PmN6thrust23THRUST_200600_302600_NS6detail15normal_iteratorINS9_10device_ptrImEEEENS0_8identityImEEEE10hipError_tT2_T3_mT4_P12ihipStream_tbEUlT_E_NS1_11comp_targetILNS1_3genE10ELNS1_11target_archE1200ELNS1_3gpuE4ELNS1_3repE0EEENS1_30default_config_static_selectorELNS0_4arch9wavefront6targetE0EEEvT1_.private_seg_size, 0
	.set _ZN7rocprim17ROCPRIM_400000_NS6detail17trampoline_kernelINS0_14default_configENS1_25transform_config_selectorImLb0EEEZNS1_14transform_implILb0ES3_S5_PmN6thrust23THRUST_200600_302600_NS6detail15normal_iteratorINS9_10device_ptrImEEEENS0_8identityImEEEE10hipError_tT2_T3_mT4_P12ihipStream_tbEUlT_E_NS1_11comp_targetILNS1_3genE10ELNS1_11target_archE1200ELNS1_3gpuE4ELNS1_3repE0EEENS1_30default_config_static_selectorELNS0_4arch9wavefront6targetE0EEEvT1_.uses_vcc, 0
	.set _ZN7rocprim17ROCPRIM_400000_NS6detail17trampoline_kernelINS0_14default_configENS1_25transform_config_selectorImLb0EEEZNS1_14transform_implILb0ES3_S5_PmN6thrust23THRUST_200600_302600_NS6detail15normal_iteratorINS9_10device_ptrImEEEENS0_8identityImEEEE10hipError_tT2_T3_mT4_P12ihipStream_tbEUlT_E_NS1_11comp_targetILNS1_3genE10ELNS1_11target_archE1200ELNS1_3gpuE4ELNS1_3repE0EEENS1_30default_config_static_selectorELNS0_4arch9wavefront6targetE0EEEvT1_.uses_flat_scratch, 0
	.set _ZN7rocprim17ROCPRIM_400000_NS6detail17trampoline_kernelINS0_14default_configENS1_25transform_config_selectorImLb0EEEZNS1_14transform_implILb0ES3_S5_PmN6thrust23THRUST_200600_302600_NS6detail15normal_iteratorINS9_10device_ptrImEEEENS0_8identityImEEEE10hipError_tT2_T3_mT4_P12ihipStream_tbEUlT_E_NS1_11comp_targetILNS1_3genE10ELNS1_11target_archE1200ELNS1_3gpuE4ELNS1_3repE0EEENS1_30default_config_static_selectorELNS0_4arch9wavefront6targetE0EEEvT1_.has_dyn_sized_stack, 0
	.set _ZN7rocprim17ROCPRIM_400000_NS6detail17trampoline_kernelINS0_14default_configENS1_25transform_config_selectorImLb0EEEZNS1_14transform_implILb0ES3_S5_PmN6thrust23THRUST_200600_302600_NS6detail15normal_iteratorINS9_10device_ptrImEEEENS0_8identityImEEEE10hipError_tT2_T3_mT4_P12ihipStream_tbEUlT_E_NS1_11comp_targetILNS1_3genE10ELNS1_11target_archE1200ELNS1_3gpuE4ELNS1_3repE0EEENS1_30default_config_static_selectorELNS0_4arch9wavefront6targetE0EEEvT1_.has_recursion, 0
	.set _ZN7rocprim17ROCPRIM_400000_NS6detail17trampoline_kernelINS0_14default_configENS1_25transform_config_selectorImLb0EEEZNS1_14transform_implILb0ES3_S5_PmN6thrust23THRUST_200600_302600_NS6detail15normal_iteratorINS9_10device_ptrImEEEENS0_8identityImEEEE10hipError_tT2_T3_mT4_P12ihipStream_tbEUlT_E_NS1_11comp_targetILNS1_3genE10ELNS1_11target_archE1200ELNS1_3gpuE4ELNS1_3repE0EEENS1_30default_config_static_selectorELNS0_4arch9wavefront6targetE0EEEvT1_.has_indirect_call, 0
	.section	.AMDGPU.csdata,"",@progbits
; Kernel info:
; codeLenInByte = 0
; TotalNumSgprs: 0
; NumVgprs: 0
; ScratchSize: 0
; MemoryBound: 0
; FloatMode: 240
; IeeeMode: 1
; LDSByteSize: 0 bytes/workgroup (compile time only)
; SGPRBlocks: 0
; VGPRBlocks: 0
; NumSGPRsForWavesPerEU: 1
; NumVGPRsForWavesPerEU: 1
; Occupancy: 16
; WaveLimiterHint : 0
; COMPUTE_PGM_RSRC2:SCRATCH_EN: 0
; COMPUTE_PGM_RSRC2:USER_SGPR: 6
; COMPUTE_PGM_RSRC2:TRAP_HANDLER: 0
; COMPUTE_PGM_RSRC2:TGID_X_EN: 1
; COMPUTE_PGM_RSRC2:TGID_Y_EN: 0
; COMPUTE_PGM_RSRC2:TGID_Z_EN: 0
; COMPUTE_PGM_RSRC2:TIDIG_COMP_CNT: 0
	.section	.text._ZN7rocprim17ROCPRIM_400000_NS6detail17trampoline_kernelINS0_14default_configENS1_25transform_config_selectorImLb0EEEZNS1_14transform_implILb0ES3_S5_PmN6thrust23THRUST_200600_302600_NS6detail15normal_iteratorINS9_10device_ptrImEEEENS0_8identityImEEEE10hipError_tT2_T3_mT4_P12ihipStream_tbEUlT_E_NS1_11comp_targetILNS1_3genE9ELNS1_11target_archE1100ELNS1_3gpuE3ELNS1_3repE0EEENS1_30default_config_static_selectorELNS0_4arch9wavefront6targetE0EEEvT1_,"axG",@progbits,_ZN7rocprim17ROCPRIM_400000_NS6detail17trampoline_kernelINS0_14default_configENS1_25transform_config_selectorImLb0EEEZNS1_14transform_implILb0ES3_S5_PmN6thrust23THRUST_200600_302600_NS6detail15normal_iteratorINS9_10device_ptrImEEEENS0_8identityImEEEE10hipError_tT2_T3_mT4_P12ihipStream_tbEUlT_E_NS1_11comp_targetILNS1_3genE9ELNS1_11target_archE1100ELNS1_3gpuE3ELNS1_3repE0EEENS1_30default_config_static_selectorELNS0_4arch9wavefront6targetE0EEEvT1_,comdat
	.protected	_ZN7rocprim17ROCPRIM_400000_NS6detail17trampoline_kernelINS0_14default_configENS1_25transform_config_selectorImLb0EEEZNS1_14transform_implILb0ES3_S5_PmN6thrust23THRUST_200600_302600_NS6detail15normal_iteratorINS9_10device_ptrImEEEENS0_8identityImEEEE10hipError_tT2_T3_mT4_P12ihipStream_tbEUlT_E_NS1_11comp_targetILNS1_3genE9ELNS1_11target_archE1100ELNS1_3gpuE3ELNS1_3repE0EEENS1_30default_config_static_selectorELNS0_4arch9wavefront6targetE0EEEvT1_ ; -- Begin function _ZN7rocprim17ROCPRIM_400000_NS6detail17trampoline_kernelINS0_14default_configENS1_25transform_config_selectorImLb0EEEZNS1_14transform_implILb0ES3_S5_PmN6thrust23THRUST_200600_302600_NS6detail15normal_iteratorINS9_10device_ptrImEEEENS0_8identityImEEEE10hipError_tT2_T3_mT4_P12ihipStream_tbEUlT_E_NS1_11comp_targetILNS1_3genE9ELNS1_11target_archE1100ELNS1_3gpuE3ELNS1_3repE0EEENS1_30default_config_static_selectorELNS0_4arch9wavefront6targetE0EEEvT1_
	.globl	_ZN7rocprim17ROCPRIM_400000_NS6detail17trampoline_kernelINS0_14default_configENS1_25transform_config_selectorImLb0EEEZNS1_14transform_implILb0ES3_S5_PmN6thrust23THRUST_200600_302600_NS6detail15normal_iteratorINS9_10device_ptrImEEEENS0_8identityImEEEE10hipError_tT2_T3_mT4_P12ihipStream_tbEUlT_E_NS1_11comp_targetILNS1_3genE9ELNS1_11target_archE1100ELNS1_3gpuE3ELNS1_3repE0EEENS1_30default_config_static_selectorELNS0_4arch9wavefront6targetE0EEEvT1_
	.p2align	8
	.type	_ZN7rocprim17ROCPRIM_400000_NS6detail17trampoline_kernelINS0_14default_configENS1_25transform_config_selectorImLb0EEEZNS1_14transform_implILb0ES3_S5_PmN6thrust23THRUST_200600_302600_NS6detail15normal_iteratorINS9_10device_ptrImEEEENS0_8identityImEEEE10hipError_tT2_T3_mT4_P12ihipStream_tbEUlT_E_NS1_11comp_targetILNS1_3genE9ELNS1_11target_archE1100ELNS1_3gpuE3ELNS1_3repE0EEENS1_30default_config_static_selectorELNS0_4arch9wavefront6targetE0EEEvT1_,@function
_ZN7rocprim17ROCPRIM_400000_NS6detail17trampoline_kernelINS0_14default_configENS1_25transform_config_selectorImLb0EEEZNS1_14transform_implILb0ES3_S5_PmN6thrust23THRUST_200600_302600_NS6detail15normal_iteratorINS9_10device_ptrImEEEENS0_8identityImEEEE10hipError_tT2_T3_mT4_P12ihipStream_tbEUlT_E_NS1_11comp_targetILNS1_3genE9ELNS1_11target_archE1100ELNS1_3gpuE3ELNS1_3repE0EEENS1_30default_config_static_selectorELNS0_4arch9wavefront6targetE0EEEvT1_: ; @_ZN7rocprim17ROCPRIM_400000_NS6detail17trampoline_kernelINS0_14default_configENS1_25transform_config_selectorImLb0EEEZNS1_14transform_implILb0ES3_S5_PmN6thrust23THRUST_200600_302600_NS6detail15normal_iteratorINS9_10device_ptrImEEEENS0_8identityImEEEE10hipError_tT2_T3_mT4_P12ihipStream_tbEUlT_E_NS1_11comp_targetILNS1_3genE9ELNS1_11target_archE1100ELNS1_3gpuE3ELNS1_3repE0EEENS1_30default_config_static_selectorELNS0_4arch9wavefront6targetE0EEEvT1_
; %bb.0:
	.section	.rodata,"a",@progbits
	.p2align	6, 0x0
	.amdhsa_kernel _ZN7rocprim17ROCPRIM_400000_NS6detail17trampoline_kernelINS0_14default_configENS1_25transform_config_selectorImLb0EEEZNS1_14transform_implILb0ES3_S5_PmN6thrust23THRUST_200600_302600_NS6detail15normal_iteratorINS9_10device_ptrImEEEENS0_8identityImEEEE10hipError_tT2_T3_mT4_P12ihipStream_tbEUlT_E_NS1_11comp_targetILNS1_3genE9ELNS1_11target_archE1100ELNS1_3gpuE3ELNS1_3repE0EEENS1_30default_config_static_selectorELNS0_4arch9wavefront6targetE0EEEvT1_
		.amdhsa_group_segment_fixed_size 0
		.amdhsa_private_segment_fixed_size 0
		.amdhsa_kernarg_size 40
		.amdhsa_user_sgpr_count 6
		.amdhsa_user_sgpr_private_segment_buffer 1
		.amdhsa_user_sgpr_dispatch_ptr 0
		.amdhsa_user_sgpr_queue_ptr 0
		.amdhsa_user_sgpr_kernarg_segment_ptr 1
		.amdhsa_user_sgpr_dispatch_id 0
		.amdhsa_user_sgpr_flat_scratch_init 0
		.amdhsa_user_sgpr_private_segment_size 0
		.amdhsa_wavefront_size32 1
		.amdhsa_uses_dynamic_stack 0
		.amdhsa_system_sgpr_private_segment_wavefront_offset 0
		.amdhsa_system_sgpr_workgroup_id_x 1
		.amdhsa_system_sgpr_workgroup_id_y 0
		.amdhsa_system_sgpr_workgroup_id_z 0
		.amdhsa_system_sgpr_workgroup_info 0
		.amdhsa_system_vgpr_workitem_id 0
		.amdhsa_next_free_vgpr 1
		.amdhsa_next_free_sgpr 1
		.amdhsa_reserve_vcc 0
		.amdhsa_reserve_flat_scratch 0
		.amdhsa_float_round_mode_32 0
		.amdhsa_float_round_mode_16_64 0
		.amdhsa_float_denorm_mode_32 3
		.amdhsa_float_denorm_mode_16_64 3
		.amdhsa_dx10_clamp 1
		.amdhsa_ieee_mode 1
		.amdhsa_fp16_overflow 0
		.amdhsa_workgroup_processor_mode 1
		.amdhsa_memory_ordered 1
		.amdhsa_forward_progress 1
		.amdhsa_shared_vgpr_count 0
		.amdhsa_exception_fp_ieee_invalid_op 0
		.amdhsa_exception_fp_denorm_src 0
		.amdhsa_exception_fp_ieee_div_zero 0
		.amdhsa_exception_fp_ieee_overflow 0
		.amdhsa_exception_fp_ieee_underflow 0
		.amdhsa_exception_fp_ieee_inexact 0
		.amdhsa_exception_int_div_zero 0
	.end_amdhsa_kernel
	.section	.text._ZN7rocprim17ROCPRIM_400000_NS6detail17trampoline_kernelINS0_14default_configENS1_25transform_config_selectorImLb0EEEZNS1_14transform_implILb0ES3_S5_PmN6thrust23THRUST_200600_302600_NS6detail15normal_iteratorINS9_10device_ptrImEEEENS0_8identityImEEEE10hipError_tT2_T3_mT4_P12ihipStream_tbEUlT_E_NS1_11comp_targetILNS1_3genE9ELNS1_11target_archE1100ELNS1_3gpuE3ELNS1_3repE0EEENS1_30default_config_static_selectorELNS0_4arch9wavefront6targetE0EEEvT1_,"axG",@progbits,_ZN7rocprim17ROCPRIM_400000_NS6detail17trampoline_kernelINS0_14default_configENS1_25transform_config_selectorImLb0EEEZNS1_14transform_implILb0ES3_S5_PmN6thrust23THRUST_200600_302600_NS6detail15normal_iteratorINS9_10device_ptrImEEEENS0_8identityImEEEE10hipError_tT2_T3_mT4_P12ihipStream_tbEUlT_E_NS1_11comp_targetILNS1_3genE9ELNS1_11target_archE1100ELNS1_3gpuE3ELNS1_3repE0EEENS1_30default_config_static_selectorELNS0_4arch9wavefront6targetE0EEEvT1_,comdat
.Lfunc_end672:
	.size	_ZN7rocprim17ROCPRIM_400000_NS6detail17trampoline_kernelINS0_14default_configENS1_25transform_config_selectorImLb0EEEZNS1_14transform_implILb0ES3_S5_PmN6thrust23THRUST_200600_302600_NS6detail15normal_iteratorINS9_10device_ptrImEEEENS0_8identityImEEEE10hipError_tT2_T3_mT4_P12ihipStream_tbEUlT_E_NS1_11comp_targetILNS1_3genE9ELNS1_11target_archE1100ELNS1_3gpuE3ELNS1_3repE0EEENS1_30default_config_static_selectorELNS0_4arch9wavefront6targetE0EEEvT1_, .Lfunc_end672-_ZN7rocprim17ROCPRIM_400000_NS6detail17trampoline_kernelINS0_14default_configENS1_25transform_config_selectorImLb0EEEZNS1_14transform_implILb0ES3_S5_PmN6thrust23THRUST_200600_302600_NS6detail15normal_iteratorINS9_10device_ptrImEEEENS0_8identityImEEEE10hipError_tT2_T3_mT4_P12ihipStream_tbEUlT_E_NS1_11comp_targetILNS1_3genE9ELNS1_11target_archE1100ELNS1_3gpuE3ELNS1_3repE0EEENS1_30default_config_static_selectorELNS0_4arch9wavefront6targetE0EEEvT1_
                                        ; -- End function
	.set _ZN7rocprim17ROCPRIM_400000_NS6detail17trampoline_kernelINS0_14default_configENS1_25transform_config_selectorImLb0EEEZNS1_14transform_implILb0ES3_S5_PmN6thrust23THRUST_200600_302600_NS6detail15normal_iteratorINS9_10device_ptrImEEEENS0_8identityImEEEE10hipError_tT2_T3_mT4_P12ihipStream_tbEUlT_E_NS1_11comp_targetILNS1_3genE9ELNS1_11target_archE1100ELNS1_3gpuE3ELNS1_3repE0EEENS1_30default_config_static_selectorELNS0_4arch9wavefront6targetE0EEEvT1_.num_vgpr, 0
	.set _ZN7rocprim17ROCPRIM_400000_NS6detail17trampoline_kernelINS0_14default_configENS1_25transform_config_selectorImLb0EEEZNS1_14transform_implILb0ES3_S5_PmN6thrust23THRUST_200600_302600_NS6detail15normal_iteratorINS9_10device_ptrImEEEENS0_8identityImEEEE10hipError_tT2_T3_mT4_P12ihipStream_tbEUlT_E_NS1_11comp_targetILNS1_3genE9ELNS1_11target_archE1100ELNS1_3gpuE3ELNS1_3repE0EEENS1_30default_config_static_selectorELNS0_4arch9wavefront6targetE0EEEvT1_.num_agpr, 0
	.set _ZN7rocprim17ROCPRIM_400000_NS6detail17trampoline_kernelINS0_14default_configENS1_25transform_config_selectorImLb0EEEZNS1_14transform_implILb0ES3_S5_PmN6thrust23THRUST_200600_302600_NS6detail15normal_iteratorINS9_10device_ptrImEEEENS0_8identityImEEEE10hipError_tT2_T3_mT4_P12ihipStream_tbEUlT_E_NS1_11comp_targetILNS1_3genE9ELNS1_11target_archE1100ELNS1_3gpuE3ELNS1_3repE0EEENS1_30default_config_static_selectorELNS0_4arch9wavefront6targetE0EEEvT1_.numbered_sgpr, 0
	.set _ZN7rocprim17ROCPRIM_400000_NS6detail17trampoline_kernelINS0_14default_configENS1_25transform_config_selectorImLb0EEEZNS1_14transform_implILb0ES3_S5_PmN6thrust23THRUST_200600_302600_NS6detail15normal_iteratorINS9_10device_ptrImEEEENS0_8identityImEEEE10hipError_tT2_T3_mT4_P12ihipStream_tbEUlT_E_NS1_11comp_targetILNS1_3genE9ELNS1_11target_archE1100ELNS1_3gpuE3ELNS1_3repE0EEENS1_30default_config_static_selectorELNS0_4arch9wavefront6targetE0EEEvT1_.num_named_barrier, 0
	.set _ZN7rocprim17ROCPRIM_400000_NS6detail17trampoline_kernelINS0_14default_configENS1_25transform_config_selectorImLb0EEEZNS1_14transform_implILb0ES3_S5_PmN6thrust23THRUST_200600_302600_NS6detail15normal_iteratorINS9_10device_ptrImEEEENS0_8identityImEEEE10hipError_tT2_T3_mT4_P12ihipStream_tbEUlT_E_NS1_11comp_targetILNS1_3genE9ELNS1_11target_archE1100ELNS1_3gpuE3ELNS1_3repE0EEENS1_30default_config_static_selectorELNS0_4arch9wavefront6targetE0EEEvT1_.private_seg_size, 0
	.set _ZN7rocprim17ROCPRIM_400000_NS6detail17trampoline_kernelINS0_14default_configENS1_25transform_config_selectorImLb0EEEZNS1_14transform_implILb0ES3_S5_PmN6thrust23THRUST_200600_302600_NS6detail15normal_iteratorINS9_10device_ptrImEEEENS0_8identityImEEEE10hipError_tT2_T3_mT4_P12ihipStream_tbEUlT_E_NS1_11comp_targetILNS1_3genE9ELNS1_11target_archE1100ELNS1_3gpuE3ELNS1_3repE0EEENS1_30default_config_static_selectorELNS0_4arch9wavefront6targetE0EEEvT1_.uses_vcc, 0
	.set _ZN7rocprim17ROCPRIM_400000_NS6detail17trampoline_kernelINS0_14default_configENS1_25transform_config_selectorImLb0EEEZNS1_14transform_implILb0ES3_S5_PmN6thrust23THRUST_200600_302600_NS6detail15normal_iteratorINS9_10device_ptrImEEEENS0_8identityImEEEE10hipError_tT2_T3_mT4_P12ihipStream_tbEUlT_E_NS1_11comp_targetILNS1_3genE9ELNS1_11target_archE1100ELNS1_3gpuE3ELNS1_3repE0EEENS1_30default_config_static_selectorELNS0_4arch9wavefront6targetE0EEEvT1_.uses_flat_scratch, 0
	.set _ZN7rocprim17ROCPRIM_400000_NS6detail17trampoline_kernelINS0_14default_configENS1_25transform_config_selectorImLb0EEEZNS1_14transform_implILb0ES3_S5_PmN6thrust23THRUST_200600_302600_NS6detail15normal_iteratorINS9_10device_ptrImEEEENS0_8identityImEEEE10hipError_tT2_T3_mT4_P12ihipStream_tbEUlT_E_NS1_11comp_targetILNS1_3genE9ELNS1_11target_archE1100ELNS1_3gpuE3ELNS1_3repE0EEENS1_30default_config_static_selectorELNS0_4arch9wavefront6targetE0EEEvT1_.has_dyn_sized_stack, 0
	.set _ZN7rocprim17ROCPRIM_400000_NS6detail17trampoline_kernelINS0_14default_configENS1_25transform_config_selectorImLb0EEEZNS1_14transform_implILb0ES3_S5_PmN6thrust23THRUST_200600_302600_NS6detail15normal_iteratorINS9_10device_ptrImEEEENS0_8identityImEEEE10hipError_tT2_T3_mT4_P12ihipStream_tbEUlT_E_NS1_11comp_targetILNS1_3genE9ELNS1_11target_archE1100ELNS1_3gpuE3ELNS1_3repE0EEENS1_30default_config_static_selectorELNS0_4arch9wavefront6targetE0EEEvT1_.has_recursion, 0
	.set _ZN7rocprim17ROCPRIM_400000_NS6detail17trampoline_kernelINS0_14default_configENS1_25transform_config_selectorImLb0EEEZNS1_14transform_implILb0ES3_S5_PmN6thrust23THRUST_200600_302600_NS6detail15normal_iteratorINS9_10device_ptrImEEEENS0_8identityImEEEE10hipError_tT2_T3_mT4_P12ihipStream_tbEUlT_E_NS1_11comp_targetILNS1_3genE9ELNS1_11target_archE1100ELNS1_3gpuE3ELNS1_3repE0EEENS1_30default_config_static_selectorELNS0_4arch9wavefront6targetE0EEEvT1_.has_indirect_call, 0
	.section	.AMDGPU.csdata,"",@progbits
; Kernel info:
; codeLenInByte = 0
; TotalNumSgprs: 0
; NumVgprs: 0
; ScratchSize: 0
; MemoryBound: 0
; FloatMode: 240
; IeeeMode: 1
; LDSByteSize: 0 bytes/workgroup (compile time only)
; SGPRBlocks: 0
; VGPRBlocks: 0
; NumSGPRsForWavesPerEU: 1
; NumVGPRsForWavesPerEU: 1
; Occupancy: 16
; WaveLimiterHint : 0
; COMPUTE_PGM_RSRC2:SCRATCH_EN: 0
; COMPUTE_PGM_RSRC2:USER_SGPR: 6
; COMPUTE_PGM_RSRC2:TRAP_HANDLER: 0
; COMPUTE_PGM_RSRC2:TGID_X_EN: 1
; COMPUTE_PGM_RSRC2:TGID_Y_EN: 0
; COMPUTE_PGM_RSRC2:TGID_Z_EN: 0
; COMPUTE_PGM_RSRC2:TIDIG_COMP_CNT: 0
	.section	.text._ZN7rocprim17ROCPRIM_400000_NS6detail17trampoline_kernelINS0_14default_configENS1_25transform_config_selectorImLb0EEEZNS1_14transform_implILb0ES3_S5_PmN6thrust23THRUST_200600_302600_NS6detail15normal_iteratorINS9_10device_ptrImEEEENS0_8identityImEEEE10hipError_tT2_T3_mT4_P12ihipStream_tbEUlT_E_NS1_11comp_targetILNS1_3genE8ELNS1_11target_archE1030ELNS1_3gpuE2ELNS1_3repE0EEENS1_30default_config_static_selectorELNS0_4arch9wavefront6targetE0EEEvT1_,"axG",@progbits,_ZN7rocprim17ROCPRIM_400000_NS6detail17trampoline_kernelINS0_14default_configENS1_25transform_config_selectorImLb0EEEZNS1_14transform_implILb0ES3_S5_PmN6thrust23THRUST_200600_302600_NS6detail15normal_iteratorINS9_10device_ptrImEEEENS0_8identityImEEEE10hipError_tT2_T3_mT4_P12ihipStream_tbEUlT_E_NS1_11comp_targetILNS1_3genE8ELNS1_11target_archE1030ELNS1_3gpuE2ELNS1_3repE0EEENS1_30default_config_static_selectorELNS0_4arch9wavefront6targetE0EEEvT1_,comdat
	.protected	_ZN7rocprim17ROCPRIM_400000_NS6detail17trampoline_kernelINS0_14default_configENS1_25transform_config_selectorImLb0EEEZNS1_14transform_implILb0ES3_S5_PmN6thrust23THRUST_200600_302600_NS6detail15normal_iteratorINS9_10device_ptrImEEEENS0_8identityImEEEE10hipError_tT2_T3_mT4_P12ihipStream_tbEUlT_E_NS1_11comp_targetILNS1_3genE8ELNS1_11target_archE1030ELNS1_3gpuE2ELNS1_3repE0EEENS1_30default_config_static_selectorELNS0_4arch9wavefront6targetE0EEEvT1_ ; -- Begin function _ZN7rocprim17ROCPRIM_400000_NS6detail17trampoline_kernelINS0_14default_configENS1_25transform_config_selectorImLb0EEEZNS1_14transform_implILb0ES3_S5_PmN6thrust23THRUST_200600_302600_NS6detail15normal_iteratorINS9_10device_ptrImEEEENS0_8identityImEEEE10hipError_tT2_T3_mT4_P12ihipStream_tbEUlT_E_NS1_11comp_targetILNS1_3genE8ELNS1_11target_archE1030ELNS1_3gpuE2ELNS1_3repE0EEENS1_30default_config_static_selectorELNS0_4arch9wavefront6targetE0EEEvT1_
	.globl	_ZN7rocprim17ROCPRIM_400000_NS6detail17trampoline_kernelINS0_14default_configENS1_25transform_config_selectorImLb0EEEZNS1_14transform_implILb0ES3_S5_PmN6thrust23THRUST_200600_302600_NS6detail15normal_iteratorINS9_10device_ptrImEEEENS0_8identityImEEEE10hipError_tT2_T3_mT4_P12ihipStream_tbEUlT_E_NS1_11comp_targetILNS1_3genE8ELNS1_11target_archE1030ELNS1_3gpuE2ELNS1_3repE0EEENS1_30default_config_static_selectorELNS0_4arch9wavefront6targetE0EEEvT1_
	.p2align	8
	.type	_ZN7rocprim17ROCPRIM_400000_NS6detail17trampoline_kernelINS0_14default_configENS1_25transform_config_selectorImLb0EEEZNS1_14transform_implILb0ES3_S5_PmN6thrust23THRUST_200600_302600_NS6detail15normal_iteratorINS9_10device_ptrImEEEENS0_8identityImEEEE10hipError_tT2_T3_mT4_P12ihipStream_tbEUlT_E_NS1_11comp_targetILNS1_3genE8ELNS1_11target_archE1030ELNS1_3gpuE2ELNS1_3repE0EEENS1_30default_config_static_selectorELNS0_4arch9wavefront6targetE0EEEvT1_,@function
_ZN7rocprim17ROCPRIM_400000_NS6detail17trampoline_kernelINS0_14default_configENS1_25transform_config_selectorImLb0EEEZNS1_14transform_implILb0ES3_S5_PmN6thrust23THRUST_200600_302600_NS6detail15normal_iteratorINS9_10device_ptrImEEEENS0_8identityImEEEE10hipError_tT2_T3_mT4_P12ihipStream_tbEUlT_E_NS1_11comp_targetILNS1_3genE8ELNS1_11target_archE1030ELNS1_3gpuE2ELNS1_3repE0EEENS1_30default_config_static_selectorELNS0_4arch9wavefront6targetE0EEEvT1_: ; @_ZN7rocprim17ROCPRIM_400000_NS6detail17trampoline_kernelINS0_14default_configENS1_25transform_config_selectorImLb0EEEZNS1_14transform_implILb0ES3_S5_PmN6thrust23THRUST_200600_302600_NS6detail15normal_iteratorINS9_10device_ptrImEEEENS0_8identityImEEEE10hipError_tT2_T3_mT4_P12ihipStream_tbEUlT_E_NS1_11comp_targetILNS1_3genE8ELNS1_11target_archE1030ELNS1_3gpuE2ELNS1_3repE0EEENS1_30default_config_static_selectorELNS0_4arch9wavefront6targetE0EEEvT1_
; %bb.0:
	s_clause 0x1
	s_load_dwordx8 s[8:15], s[4:5], 0x0
	s_load_dword s4, s[4:5], 0x28
	s_mov_b32 s1, 0
	v_lshlrev_b32_e32 v7, 3, v0
	s_waitcnt lgkmcnt(0)
	s_lshl_b64 s[2:3], s[10:11], 3
	s_add_u32 s5, s8, s2
	s_addc_u32 s9, s9, s3
	s_add_u32 s7, s14, s2
	s_addc_u32 s8, s15, s3
	s_lshl_b32 s0, s6, 10
	s_add_i32 s10, s4, -1
	s_lshl_b64 s[2:3], s[0:1], 3
	s_add_u32 s4, s5, s2
	s_addc_u32 s5, s9, s3
	s_cmp_lg_u32 s6, s10
	s_mov_b32 s6, -1
	s_cbranch_scc0 .LBB673_2
; %bb.1:
	v_add_co_u32 v1, s1, s4, v7
	v_add_co_ci_u32_e64 v2, null, s5, 0, s1
	s_add_u32 s1, s7, s2
	v_add_co_u32 v1, vcc_lo, 0x1000, v1
	v_add_co_ci_u32_e64 v2, null, 0, v2, vcc_lo
	s_addc_u32 s6, s8, s3
	s_clause 0x1
	global_load_dwordx2 v[3:4], v7, s[4:5]
	global_load_dwordx2 v[5:6], v[1:2], off
	v_add_co_u32 v1, s1, s1, v7
	v_add_co_ci_u32_e64 v2, null, s6, 0, s1
	s_mov_b32 s1, -1
	s_waitcnt vmcnt(1)
	flat_store_dwordx2 v[1:2], v[3:4]
	s_cbranch_execz .LBB673_3
	s_branch .LBB673_12
.LBB673_2:
                                        ; implicit-def: $vgpr5_vgpr6
                                        ; implicit-def: $vgpr1_vgpr2
	s_andn2_b32 vcc_lo, exec_lo, s6
	s_cbranch_vccnz .LBB673_12
.LBB673_3:
	v_mov_b32_e32 v1, 0
	s_sub_i32 s0, s12, s0
	v_cmp_gt_u32_e32 vcc_lo, s0, v0
	v_mov_b32_e32 v2, v1
	v_mov_b32_e32 v3, v1
	;; [unrolled: 1-line block ×3, first 2 shown]
	s_and_saveexec_b32 s6, vcc_lo
	s_cbranch_execz .LBB673_5
; %bb.4:
	global_load_dwordx2 v[2:3], v7, s[4:5]
	s_waitcnt vmcnt(1)
	v_mov_b32_e32 v5, v1
	v_mov_b32_e32 v4, v1
	s_waitcnt vmcnt(0)
	v_mov_b32_e32 v1, v2
	v_mov_b32_e32 v2, v3
	;; [unrolled: 1-line block ×4, first 2 shown]
.LBB673_5:
	s_or_b32 exec_lo, exec_lo, s6
	v_or_b32_e32 v0, 0x200, v0
	v_cmp_gt_u32_e64 s0, s0, v0
	s_and_saveexec_b32 s6, s0
	s_cbranch_execz .LBB673_7
; %bb.6:
	v_lshlrev_b32_e32 v0, 3, v0
	global_load_dwordx2 v[3:4], v0, s[4:5]
.LBB673_7:
	s_or_b32 exec_lo, exec_lo, s6
	s_add_u32 s2, s7, s2
	s_waitcnt vmcnt(0)
	v_cndmask_b32_e32 v5, 0, v1, vcc_lo
	s_addc_u32 s3, s8, s3
	v_add_co_u32 v1, s2, s2, v7
	v_cndmask_b32_e32 v6, 0, v2, vcc_lo
	v_add_co_ci_u32_e64 v2, null, s3, 0, s2
	s_and_saveexec_b32 s2, vcc_lo
	s_cbranch_execz .LBB673_9
; %bb.8:
	flat_store_dwordx2 v[1:2], v[5:6]
.LBB673_9:
	s_or_b32 exec_lo, exec_lo, s2
                                        ; implicit-def: $vgpr5_vgpr6
	s_and_saveexec_b32 s2, s0
; %bb.10:
	v_cndmask_b32_e64 v6, 0, v4, s0
	v_cndmask_b32_e64 v5, 0, v3, s0
	s_or_b32 s1, s1, exec_lo
; %bb.11:
	s_or_b32 exec_lo, exec_lo, s2
.LBB673_12:
	s_and_saveexec_b32 s0, s1
	s_cbranch_execnz .LBB673_14
; %bb.13:
	s_endpgm
.LBB673_14:
	v_add_co_u32 v0, vcc_lo, 0x1000, v1
	v_add_co_ci_u32_e64 v1, null, 0, v2, vcc_lo
	s_waitcnt vmcnt(0)
	flat_store_dwordx2 v[0:1], v[5:6]
	s_endpgm
	.section	.rodata,"a",@progbits
	.p2align	6, 0x0
	.amdhsa_kernel _ZN7rocprim17ROCPRIM_400000_NS6detail17trampoline_kernelINS0_14default_configENS1_25transform_config_selectorImLb0EEEZNS1_14transform_implILb0ES3_S5_PmN6thrust23THRUST_200600_302600_NS6detail15normal_iteratorINS9_10device_ptrImEEEENS0_8identityImEEEE10hipError_tT2_T3_mT4_P12ihipStream_tbEUlT_E_NS1_11comp_targetILNS1_3genE8ELNS1_11target_archE1030ELNS1_3gpuE2ELNS1_3repE0EEENS1_30default_config_static_selectorELNS0_4arch9wavefront6targetE0EEEvT1_
		.amdhsa_group_segment_fixed_size 0
		.amdhsa_private_segment_fixed_size 0
		.amdhsa_kernarg_size 296
		.amdhsa_user_sgpr_count 6
		.amdhsa_user_sgpr_private_segment_buffer 1
		.amdhsa_user_sgpr_dispatch_ptr 0
		.amdhsa_user_sgpr_queue_ptr 0
		.amdhsa_user_sgpr_kernarg_segment_ptr 1
		.amdhsa_user_sgpr_dispatch_id 0
		.amdhsa_user_sgpr_flat_scratch_init 0
		.amdhsa_user_sgpr_private_segment_size 0
		.amdhsa_wavefront_size32 1
		.amdhsa_uses_dynamic_stack 0
		.amdhsa_system_sgpr_private_segment_wavefront_offset 0
		.amdhsa_system_sgpr_workgroup_id_x 1
		.amdhsa_system_sgpr_workgroup_id_y 0
		.amdhsa_system_sgpr_workgroup_id_z 0
		.amdhsa_system_sgpr_workgroup_info 0
		.amdhsa_system_vgpr_workitem_id 0
		.amdhsa_next_free_vgpr 8
		.amdhsa_next_free_sgpr 16
		.amdhsa_reserve_vcc 1
		.amdhsa_reserve_flat_scratch 0
		.amdhsa_float_round_mode_32 0
		.amdhsa_float_round_mode_16_64 0
		.amdhsa_float_denorm_mode_32 3
		.amdhsa_float_denorm_mode_16_64 3
		.amdhsa_dx10_clamp 1
		.amdhsa_ieee_mode 1
		.amdhsa_fp16_overflow 0
		.amdhsa_workgroup_processor_mode 1
		.amdhsa_memory_ordered 1
		.amdhsa_forward_progress 1
		.amdhsa_shared_vgpr_count 0
		.amdhsa_exception_fp_ieee_invalid_op 0
		.amdhsa_exception_fp_denorm_src 0
		.amdhsa_exception_fp_ieee_div_zero 0
		.amdhsa_exception_fp_ieee_overflow 0
		.amdhsa_exception_fp_ieee_underflow 0
		.amdhsa_exception_fp_ieee_inexact 0
		.amdhsa_exception_int_div_zero 0
	.end_amdhsa_kernel
	.section	.text._ZN7rocprim17ROCPRIM_400000_NS6detail17trampoline_kernelINS0_14default_configENS1_25transform_config_selectorImLb0EEEZNS1_14transform_implILb0ES3_S5_PmN6thrust23THRUST_200600_302600_NS6detail15normal_iteratorINS9_10device_ptrImEEEENS0_8identityImEEEE10hipError_tT2_T3_mT4_P12ihipStream_tbEUlT_E_NS1_11comp_targetILNS1_3genE8ELNS1_11target_archE1030ELNS1_3gpuE2ELNS1_3repE0EEENS1_30default_config_static_selectorELNS0_4arch9wavefront6targetE0EEEvT1_,"axG",@progbits,_ZN7rocprim17ROCPRIM_400000_NS6detail17trampoline_kernelINS0_14default_configENS1_25transform_config_selectorImLb0EEEZNS1_14transform_implILb0ES3_S5_PmN6thrust23THRUST_200600_302600_NS6detail15normal_iteratorINS9_10device_ptrImEEEENS0_8identityImEEEE10hipError_tT2_T3_mT4_P12ihipStream_tbEUlT_E_NS1_11comp_targetILNS1_3genE8ELNS1_11target_archE1030ELNS1_3gpuE2ELNS1_3repE0EEENS1_30default_config_static_selectorELNS0_4arch9wavefront6targetE0EEEvT1_,comdat
.Lfunc_end673:
	.size	_ZN7rocprim17ROCPRIM_400000_NS6detail17trampoline_kernelINS0_14default_configENS1_25transform_config_selectorImLb0EEEZNS1_14transform_implILb0ES3_S5_PmN6thrust23THRUST_200600_302600_NS6detail15normal_iteratorINS9_10device_ptrImEEEENS0_8identityImEEEE10hipError_tT2_T3_mT4_P12ihipStream_tbEUlT_E_NS1_11comp_targetILNS1_3genE8ELNS1_11target_archE1030ELNS1_3gpuE2ELNS1_3repE0EEENS1_30default_config_static_selectorELNS0_4arch9wavefront6targetE0EEEvT1_, .Lfunc_end673-_ZN7rocprim17ROCPRIM_400000_NS6detail17trampoline_kernelINS0_14default_configENS1_25transform_config_selectorImLb0EEEZNS1_14transform_implILb0ES3_S5_PmN6thrust23THRUST_200600_302600_NS6detail15normal_iteratorINS9_10device_ptrImEEEENS0_8identityImEEEE10hipError_tT2_T3_mT4_P12ihipStream_tbEUlT_E_NS1_11comp_targetILNS1_3genE8ELNS1_11target_archE1030ELNS1_3gpuE2ELNS1_3repE0EEENS1_30default_config_static_selectorELNS0_4arch9wavefront6targetE0EEEvT1_
                                        ; -- End function
	.set _ZN7rocprim17ROCPRIM_400000_NS6detail17trampoline_kernelINS0_14default_configENS1_25transform_config_selectorImLb0EEEZNS1_14transform_implILb0ES3_S5_PmN6thrust23THRUST_200600_302600_NS6detail15normal_iteratorINS9_10device_ptrImEEEENS0_8identityImEEEE10hipError_tT2_T3_mT4_P12ihipStream_tbEUlT_E_NS1_11comp_targetILNS1_3genE8ELNS1_11target_archE1030ELNS1_3gpuE2ELNS1_3repE0EEENS1_30default_config_static_selectorELNS0_4arch9wavefront6targetE0EEEvT1_.num_vgpr, 8
	.set _ZN7rocprim17ROCPRIM_400000_NS6detail17trampoline_kernelINS0_14default_configENS1_25transform_config_selectorImLb0EEEZNS1_14transform_implILb0ES3_S5_PmN6thrust23THRUST_200600_302600_NS6detail15normal_iteratorINS9_10device_ptrImEEEENS0_8identityImEEEE10hipError_tT2_T3_mT4_P12ihipStream_tbEUlT_E_NS1_11comp_targetILNS1_3genE8ELNS1_11target_archE1030ELNS1_3gpuE2ELNS1_3repE0EEENS1_30default_config_static_selectorELNS0_4arch9wavefront6targetE0EEEvT1_.num_agpr, 0
	.set _ZN7rocprim17ROCPRIM_400000_NS6detail17trampoline_kernelINS0_14default_configENS1_25transform_config_selectorImLb0EEEZNS1_14transform_implILb0ES3_S5_PmN6thrust23THRUST_200600_302600_NS6detail15normal_iteratorINS9_10device_ptrImEEEENS0_8identityImEEEE10hipError_tT2_T3_mT4_P12ihipStream_tbEUlT_E_NS1_11comp_targetILNS1_3genE8ELNS1_11target_archE1030ELNS1_3gpuE2ELNS1_3repE0EEENS1_30default_config_static_selectorELNS0_4arch9wavefront6targetE0EEEvT1_.numbered_sgpr, 16
	.set _ZN7rocprim17ROCPRIM_400000_NS6detail17trampoline_kernelINS0_14default_configENS1_25transform_config_selectorImLb0EEEZNS1_14transform_implILb0ES3_S5_PmN6thrust23THRUST_200600_302600_NS6detail15normal_iteratorINS9_10device_ptrImEEEENS0_8identityImEEEE10hipError_tT2_T3_mT4_P12ihipStream_tbEUlT_E_NS1_11comp_targetILNS1_3genE8ELNS1_11target_archE1030ELNS1_3gpuE2ELNS1_3repE0EEENS1_30default_config_static_selectorELNS0_4arch9wavefront6targetE0EEEvT1_.num_named_barrier, 0
	.set _ZN7rocprim17ROCPRIM_400000_NS6detail17trampoline_kernelINS0_14default_configENS1_25transform_config_selectorImLb0EEEZNS1_14transform_implILb0ES3_S5_PmN6thrust23THRUST_200600_302600_NS6detail15normal_iteratorINS9_10device_ptrImEEEENS0_8identityImEEEE10hipError_tT2_T3_mT4_P12ihipStream_tbEUlT_E_NS1_11comp_targetILNS1_3genE8ELNS1_11target_archE1030ELNS1_3gpuE2ELNS1_3repE0EEENS1_30default_config_static_selectorELNS0_4arch9wavefront6targetE0EEEvT1_.private_seg_size, 0
	.set _ZN7rocprim17ROCPRIM_400000_NS6detail17trampoline_kernelINS0_14default_configENS1_25transform_config_selectorImLb0EEEZNS1_14transform_implILb0ES3_S5_PmN6thrust23THRUST_200600_302600_NS6detail15normal_iteratorINS9_10device_ptrImEEEENS0_8identityImEEEE10hipError_tT2_T3_mT4_P12ihipStream_tbEUlT_E_NS1_11comp_targetILNS1_3genE8ELNS1_11target_archE1030ELNS1_3gpuE2ELNS1_3repE0EEENS1_30default_config_static_selectorELNS0_4arch9wavefront6targetE0EEEvT1_.uses_vcc, 1
	.set _ZN7rocprim17ROCPRIM_400000_NS6detail17trampoline_kernelINS0_14default_configENS1_25transform_config_selectorImLb0EEEZNS1_14transform_implILb0ES3_S5_PmN6thrust23THRUST_200600_302600_NS6detail15normal_iteratorINS9_10device_ptrImEEEENS0_8identityImEEEE10hipError_tT2_T3_mT4_P12ihipStream_tbEUlT_E_NS1_11comp_targetILNS1_3genE8ELNS1_11target_archE1030ELNS1_3gpuE2ELNS1_3repE0EEENS1_30default_config_static_selectorELNS0_4arch9wavefront6targetE0EEEvT1_.uses_flat_scratch, 0
	.set _ZN7rocprim17ROCPRIM_400000_NS6detail17trampoline_kernelINS0_14default_configENS1_25transform_config_selectorImLb0EEEZNS1_14transform_implILb0ES3_S5_PmN6thrust23THRUST_200600_302600_NS6detail15normal_iteratorINS9_10device_ptrImEEEENS0_8identityImEEEE10hipError_tT2_T3_mT4_P12ihipStream_tbEUlT_E_NS1_11comp_targetILNS1_3genE8ELNS1_11target_archE1030ELNS1_3gpuE2ELNS1_3repE0EEENS1_30default_config_static_selectorELNS0_4arch9wavefront6targetE0EEEvT1_.has_dyn_sized_stack, 0
	.set _ZN7rocprim17ROCPRIM_400000_NS6detail17trampoline_kernelINS0_14default_configENS1_25transform_config_selectorImLb0EEEZNS1_14transform_implILb0ES3_S5_PmN6thrust23THRUST_200600_302600_NS6detail15normal_iteratorINS9_10device_ptrImEEEENS0_8identityImEEEE10hipError_tT2_T3_mT4_P12ihipStream_tbEUlT_E_NS1_11comp_targetILNS1_3genE8ELNS1_11target_archE1030ELNS1_3gpuE2ELNS1_3repE0EEENS1_30default_config_static_selectorELNS0_4arch9wavefront6targetE0EEEvT1_.has_recursion, 0
	.set _ZN7rocprim17ROCPRIM_400000_NS6detail17trampoline_kernelINS0_14default_configENS1_25transform_config_selectorImLb0EEEZNS1_14transform_implILb0ES3_S5_PmN6thrust23THRUST_200600_302600_NS6detail15normal_iteratorINS9_10device_ptrImEEEENS0_8identityImEEEE10hipError_tT2_T3_mT4_P12ihipStream_tbEUlT_E_NS1_11comp_targetILNS1_3genE8ELNS1_11target_archE1030ELNS1_3gpuE2ELNS1_3repE0EEENS1_30default_config_static_selectorELNS0_4arch9wavefront6targetE0EEEvT1_.has_indirect_call, 0
	.section	.AMDGPU.csdata,"",@progbits
; Kernel info:
; codeLenInByte = 444
; TotalNumSgprs: 18
; NumVgprs: 8
; ScratchSize: 0
; MemoryBound: 0
; FloatMode: 240
; IeeeMode: 1
; LDSByteSize: 0 bytes/workgroup (compile time only)
; SGPRBlocks: 0
; VGPRBlocks: 0
; NumSGPRsForWavesPerEU: 18
; NumVGPRsForWavesPerEU: 8
; Occupancy: 16
; WaveLimiterHint : 1
; COMPUTE_PGM_RSRC2:SCRATCH_EN: 0
; COMPUTE_PGM_RSRC2:USER_SGPR: 6
; COMPUTE_PGM_RSRC2:TRAP_HANDLER: 0
; COMPUTE_PGM_RSRC2:TGID_X_EN: 1
; COMPUTE_PGM_RSRC2:TGID_Y_EN: 0
; COMPUTE_PGM_RSRC2:TGID_Z_EN: 0
; COMPUTE_PGM_RSRC2:TIDIG_COMP_CNT: 0
	.section	.text._ZN7rocprim17ROCPRIM_400000_NS6detail44device_merge_sort_compile_time_verifier_archINS1_11comp_targetILNS1_3genE0ELNS1_11target_archE4294967295ELNS1_3gpuE0ELNS1_3repE0EEES8_NS0_14default_configES9_NS1_37merge_sort_block_sort_config_selectorIhNS0_10empty_typeEEENS1_38merge_sort_block_merge_config_selectorIhSB_EEEEvv,"axG",@progbits,_ZN7rocprim17ROCPRIM_400000_NS6detail44device_merge_sort_compile_time_verifier_archINS1_11comp_targetILNS1_3genE0ELNS1_11target_archE4294967295ELNS1_3gpuE0ELNS1_3repE0EEES8_NS0_14default_configES9_NS1_37merge_sort_block_sort_config_selectorIhNS0_10empty_typeEEENS1_38merge_sort_block_merge_config_selectorIhSB_EEEEvv,comdat
	.protected	_ZN7rocprim17ROCPRIM_400000_NS6detail44device_merge_sort_compile_time_verifier_archINS1_11comp_targetILNS1_3genE0ELNS1_11target_archE4294967295ELNS1_3gpuE0ELNS1_3repE0EEES8_NS0_14default_configES9_NS1_37merge_sort_block_sort_config_selectorIhNS0_10empty_typeEEENS1_38merge_sort_block_merge_config_selectorIhSB_EEEEvv ; -- Begin function _ZN7rocprim17ROCPRIM_400000_NS6detail44device_merge_sort_compile_time_verifier_archINS1_11comp_targetILNS1_3genE0ELNS1_11target_archE4294967295ELNS1_3gpuE0ELNS1_3repE0EEES8_NS0_14default_configES9_NS1_37merge_sort_block_sort_config_selectorIhNS0_10empty_typeEEENS1_38merge_sort_block_merge_config_selectorIhSB_EEEEvv
	.globl	_ZN7rocprim17ROCPRIM_400000_NS6detail44device_merge_sort_compile_time_verifier_archINS1_11comp_targetILNS1_3genE0ELNS1_11target_archE4294967295ELNS1_3gpuE0ELNS1_3repE0EEES8_NS0_14default_configES9_NS1_37merge_sort_block_sort_config_selectorIhNS0_10empty_typeEEENS1_38merge_sort_block_merge_config_selectorIhSB_EEEEvv
	.p2align	8
	.type	_ZN7rocprim17ROCPRIM_400000_NS6detail44device_merge_sort_compile_time_verifier_archINS1_11comp_targetILNS1_3genE0ELNS1_11target_archE4294967295ELNS1_3gpuE0ELNS1_3repE0EEES8_NS0_14default_configES9_NS1_37merge_sort_block_sort_config_selectorIhNS0_10empty_typeEEENS1_38merge_sort_block_merge_config_selectorIhSB_EEEEvv,@function
_ZN7rocprim17ROCPRIM_400000_NS6detail44device_merge_sort_compile_time_verifier_archINS1_11comp_targetILNS1_3genE0ELNS1_11target_archE4294967295ELNS1_3gpuE0ELNS1_3repE0EEES8_NS0_14default_configES9_NS1_37merge_sort_block_sort_config_selectorIhNS0_10empty_typeEEENS1_38merge_sort_block_merge_config_selectorIhSB_EEEEvv: ; @_ZN7rocprim17ROCPRIM_400000_NS6detail44device_merge_sort_compile_time_verifier_archINS1_11comp_targetILNS1_3genE0ELNS1_11target_archE4294967295ELNS1_3gpuE0ELNS1_3repE0EEES8_NS0_14default_configES9_NS1_37merge_sort_block_sort_config_selectorIhNS0_10empty_typeEEENS1_38merge_sort_block_merge_config_selectorIhSB_EEEEvv
; %bb.0:
	s_endpgm
	.section	.rodata,"a",@progbits
	.p2align	6, 0x0
	.amdhsa_kernel _ZN7rocprim17ROCPRIM_400000_NS6detail44device_merge_sort_compile_time_verifier_archINS1_11comp_targetILNS1_3genE0ELNS1_11target_archE4294967295ELNS1_3gpuE0ELNS1_3repE0EEES8_NS0_14default_configES9_NS1_37merge_sort_block_sort_config_selectorIhNS0_10empty_typeEEENS1_38merge_sort_block_merge_config_selectorIhSB_EEEEvv
		.amdhsa_group_segment_fixed_size 0
		.amdhsa_private_segment_fixed_size 0
		.amdhsa_kernarg_size 0
		.amdhsa_user_sgpr_count 4
		.amdhsa_user_sgpr_private_segment_buffer 1
		.amdhsa_user_sgpr_dispatch_ptr 0
		.amdhsa_user_sgpr_queue_ptr 0
		.amdhsa_user_sgpr_kernarg_segment_ptr 0
		.amdhsa_user_sgpr_dispatch_id 0
		.amdhsa_user_sgpr_flat_scratch_init 0
		.amdhsa_user_sgpr_private_segment_size 0
		.amdhsa_wavefront_size32 1
		.amdhsa_uses_dynamic_stack 0
		.amdhsa_system_sgpr_private_segment_wavefront_offset 0
		.amdhsa_system_sgpr_workgroup_id_x 1
		.amdhsa_system_sgpr_workgroup_id_y 0
		.amdhsa_system_sgpr_workgroup_id_z 0
		.amdhsa_system_sgpr_workgroup_info 0
		.amdhsa_system_vgpr_workitem_id 0
		.amdhsa_next_free_vgpr 1
		.amdhsa_next_free_sgpr 1
		.amdhsa_reserve_vcc 0
		.amdhsa_reserve_flat_scratch 0
		.amdhsa_float_round_mode_32 0
		.amdhsa_float_round_mode_16_64 0
		.amdhsa_float_denorm_mode_32 3
		.amdhsa_float_denorm_mode_16_64 3
		.amdhsa_dx10_clamp 1
		.amdhsa_ieee_mode 1
		.amdhsa_fp16_overflow 0
		.amdhsa_workgroup_processor_mode 1
		.amdhsa_memory_ordered 1
		.amdhsa_forward_progress 1
		.amdhsa_shared_vgpr_count 0
		.amdhsa_exception_fp_ieee_invalid_op 0
		.amdhsa_exception_fp_denorm_src 0
		.amdhsa_exception_fp_ieee_div_zero 0
		.amdhsa_exception_fp_ieee_overflow 0
		.amdhsa_exception_fp_ieee_underflow 0
		.amdhsa_exception_fp_ieee_inexact 0
		.amdhsa_exception_int_div_zero 0
	.end_amdhsa_kernel
	.section	.text._ZN7rocprim17ROCPRIM_400000_NS6detail44device_merge_sort_compile_time_verifier_archINS1_11comp_targetILNS1_3genE0ELNS1_11target_archE4294967295ELNS1_3gpuE0ELNS1_3repE0EEES8_NS0_14default_configES9_NS1_37merge_sort_block_sort_config_selectorIhNS0_10empty_typeEEENS1_38merge_sort_block_merge_config_selectorIhSB_EEEEvv,"axG",@progbits,_ZN7rocprim17ROCPRIM_400000_NS6detail44device_merge_sort_compile_time_verifier_archINS1_11comp_targetILNS1_3genE0ELNS1_11target_archE4294967295ELNS1_3gpuE0ELNS1_3repE0EEES8_NS0_14default_configES9_NS1_37merge_sort_block_sort_config_selectorIhNS0_10empty_typeEEENS1_38merge_sort_block_merge_config_selectorIhSB_EEEEvv,comdat
.Lfunc_end674:
	.size	_ZN7rocprim17ROCPRIM_400000_NS6detail44device_merge_sort_compile_time_verifier_archINS1_11comp_targetILNS1_3genE0ELNS1_11target_archE4294967295ELNS1_3gpuE0ELNS1_3repE0EEES8_NS0_14default_configES9_NS1_37merge_sort_block_sort_config_selectorIhNS0_10empty_typeEEENS1_38merge_sort_block_merge_config_selectorIhSB_EEEEvv, .Lfunc_end674-_ZN7rocprim17ROCPRIM_400000_NS6detail44device_merge_sort_compile_time_verifier_archINS1_11comp_targetILNS1_3genE0ELNS1_11target_archE4294967295ELNS1_3gpuE0ELNS1_3repE0EEES8_NS0_14default_configES9_NS1_37merge_sort_block_sort_config_selectorIhNS0_10empty_typeEEENS1_38merge_sort_block_merge_config_selectorIhSB_EEEEvv
                                        ; -- End function
	.set _ZN7rocprim17ROCPRIM_400000_NS6detail44device_merge_sort_compile_time_verifier_archINS1_11comp_targetILNS1_3genE0ELNS1_11target_archE4294967295ELNS1_3gpuE0ELNS1_3repE0EEES8_NS0_14default_configES9_NS1_37merge_sort_block_sort_config_selectorIhNS0_10empty_typeEEENS1_38merge_sort_block_merge_config_selectorIhSB_EEEEvv.num_vgpr, 0
	.set _ZN7rocprim17ROCPRIM_400000_NS6detail44device_merge_sort_compile_time_verifier_archINS1_11comp_targetILNS1_3genE0ELNS1_11target_archE4294967295ELNS1_3gpuE0ELNS1_3repE0EEES8_NS0_14default_configES9_NS1_37merge_sort_block_sort_config_selectorIhNS0_10empty_typeEEENS1_38merge_sort_block_merge_config_selectorIhSB_EEEEvv.num_agpr, 0
	.set _ZN7rocprim17ROCPRIM_400000_NS6detail44device_merge_sort_compile_time_verifier_archINS1_11comp_targetILNS1_3genE0ELNS1_11target_archE4294967295ELNS1_3gpuE0ELNS1_3repE0EEES8_NS0_14default_configES9_NS1_37merge_sort_block_sort_config_selectorIhNS0_10empty_typeEEENS1_38merge_sort_block_merge_config_selectorIhSB_EEEEvv.numbered_sgpr, 0
	.set _ZN7rocprim17ROCPRIM_400000_NS6detail44device_merge_sort_compile_time_verifier_archINS1_11comp_targetILNS1_3genE0ELNS1_11target_archE4294967295ELNS1_3gpuE0ELNS1_3repE0EEES8_NS0_14default_configES9_NS1_37merge_sort_block_sort_config_selectorIhNS0_10empty_typeEEENS1_38merge_sort_block_merge_config_selectorIhSB_EEEEvv.num_named_barrier, 0
	.set _ZN7rocprim17ROCPRIM_400000_NS6detail44device_merge_sort_compile_time_verifier_archINS1_11comp_targetILNS1_3genE0ELNS1_11target_archE4294967295ELNS1_3gpuE0ELNS1_3repE0EEES8_NS0_14default_configES9_NS1_37merge_sort_block_sort_config_selectorIhNS0_10empty_typeEEENS1_38merge_sort_block_merge_config_selectorIhSB_EEEEvv.private_seg_size, 0
	.set _ZN7rocprim17ROCPRIM_400000_NS6detail44device_merge_sort_compile_time_verifier_archINS1_11comp_targetILNS1_3genE0ELNS1_11target_archE4294967295ELNS1_3gpuE0ELNS1_3repE0EEES8_NS0_14default_configES9_NS1_37merge_sort_block_sort_config_selectorIhNS0_10empty_typeEEENS1_38merge_sort_block_merge_config_selectorIhSB_EEEEvv.uses_vcc, 0
	.set _ZN7rocprim17ROCPRIM_400000_NS6detail44device_merge_sort_compile_time_verifier_archINS1_11comp_targetILNS1_3genE0ELNS1_11target_archE4294967295ELNS1_3gpuE0ELNS1_3repE0EEES8_NS0_14default_configES9_NS1_37merge_sort_block_sort_config_selectorIhNS0_10empty_typeEEENS1_38merge_sort_block_merge_config_selectorIhSB_EEEEvv.uses_flat_scratch, 0
	.set _ZN7rocprim17ROCPRIM_400000_NS6detail44device_merge_sort_compile_time_verifier_archINS1_11comp_targetILNS1_3genE0ELNS1_11target_archE4294967295ELNS1_3gpuE0ELNS1_3repE0EEES8_NS0_14default_configES9_NS1_37merge_sort_block_sort_config_selectorIhNS0_10empty_typeEEENS1_38merge_sort_block_merge_config_selectorIhSB_EEEEvv.has_dyn_sized_stack, 0
	.set _ZN7rocprim17ROCPRIM_400000_NS6detail44device_merge_sort_compile_time_verifier_archINS1_11comp_targetILNS1_3genE0ELNS1_11target_archE4294967295ELNS1_3gpuE0ELNS1_3repE0EEES8_NS0_14default_configES9_NS1_37merge_sort_block_sort_config_selectorIhNS0_10empty_typeEEENS1_38merge_sort_block_merge_config_selectorIhSB_EEEEvv.has_recursion, 0
	.set _ZN7rocprim17ROCPRIM_400000_NS6detail44device_merge_sort_compile_time_verifier_archINS1_11comp_targetILNS1_3genE0ELNS1_11target_archE4294967295ELNS1_3gpuE0ELNS1_3repE0EEES8_NS0_14default_configES9_NS1_37merge_sort_block_sort_config_selectorIhNS0_10empty_typeEEENS1_38merge_sort_block_merge_config_selectorIhSB_EEEEvv.has_indirect_call, 0
	.section	.AMDGPU.csdata,"",@progbits
; Kernel info:
; codeLenInByte = 4
; TotalNumSgprs: 0
; NumVgprs: 0
; ScratchSize: 0
; MemoryBound: 0
; FloatMode: 240
; IeeeMode: 1
; LDSByteSize: 0 bytes/workgroup (compile time only)
; SGPRBlocks: 0
; VGPRBlocks: 0
; NumSGPRsForWavesPerEU: 1
; NumVGPRsForWavesPerEU: 1
; Occupancy: 16
; WaveLimiterHint : 0
; COMPUTE_PGM_RSRC2:SCRATCH_EN: 0
; COMPUTE_PGM_RSRC2:USER_SGPR: 4
; COMPUTE_PGM_RSRC2:TRAP_HANDLER: 0
; COMPUTE_PGM_RSRC2:TGID_X_EN: 1
; COMPUTE_PGM_RSRC2:TGID_Y_EN: 0
; COMPUTE_PGM_RSRC2:TGID_Z_EN: 0
; COMPUTE_PGM_RSRC2:TIDIG_COMP_CNT: 0
	.section	.text._ZN7rocprim17ROCPRIM_400000_NS6detail44device_merge_sort_compile_time_verifier_archINS1_11comp_targetILNS1_3genE5ELNS1_11target_archE942ELNS1_3gpuE9ELNS1_3repE0EEES8_NS0_14default_configES9_NS1_37merge_sort_block_sort_config_selectorIhNS0_10empty_typeEEENS1_38merge_sort_block_merge_config_selectorIhSB_EEEEvv,"axG",@progbits,_ZN7rocprim17ROCPRIM_400000_NS6detail44device_merge_sort_compile_time_verifier_archINS1_11comp_targetILNS1_3genE5ELNS1_11target_archE942ELNS1_3gpuE9ELNS1_3repE0EEES8_NS0_14default_configES9_NS1_37merge_sort_block_sort_config_selectorIhNS0_10empty_typeEEENS1_38merge_sort_block_merge_config_selectorIhSB_EEEEvv,comdat
	.protected	_ZN7rocprim17ROCPRIM_400000_NS6detail44device_merge_sort_compile_time_verifier_archINS1_11comp_targetILNS1_3genE5ELNS1_11target_archE942ELNS1_3gpuE9ELNS1_3repE0EEES8_NS0_14default_configES9_NS1_37merge_sort_block_sort_config_selectorIhNS0_10empty_typeEEENS1_38merge_sort_block_merge_config_selectorIhSB_EEEEvv ; -- Begin function _ZN7rocprim17ROCPRIM_400000_NS6detail44device_merge_sort_compile_time_verifier_archINS1_11comp_targetILNS1_3genE5ELNS1_11target_archE942ELNS1_3gpuE9ELNS1_3repE0EEES8_NS0_14default_configES9_NS1_37merge_sort_block_sort_config_selectorIhNS0_10empty_typeEEENS1_38merge_sort_block_merge_config_selectorIhSB_EEEEvv
	.globl	_ZN7rocprim17ROCPRIM_400000_NS6detail44device_merge_sort_compile_time_verifier_archINS1_11comp_targetILNS1_3genE5ELNS1_11target_archE942ELNS1_3gpuE9ELNS1_3repE0EEES8_NS0_14default_configES9_NS1_37merge_sort_block_sort_config_selectorIhNS0_10empty_typeEEENS1_38merge_sort_block_merge_config_selectorIhSB_EEEEvv
	.p2align	8
	.type	_ZN7rocprim17ROCPRIM_400000_NS6detail44device_merge_sort_compile_time_verifier_archINS1_11comp_targetILNS1_3genE5ELNS1_11target_archE942ELNS1_3gpuE9ELNS1_3repE0EEES8_NS0_14default_configES9_NS1_37merge_sort_block_sort_config_selectorIhNS0_10empty_typeEEENS1_38merge_sort_block_merge_config_selectorIhSB_EEEEvv,@function
_ZN7rocprim17ROCPRIM_400000_NS6detail44device_merge_sort_compile_time_verifier_archINS1_11comp_targetILNS1_3genE5ELNS1_11target_archE942ELNS1_3gpuE9ELNS1_3repE0EEES8_NS0_14default_configES9_NS1_37merge_sort_block_sort_config_selectorIhNS0_10empty_typeEEENS1_38merge_sort_block_merge_config_selectorIhSB_EEEEvv: ; @_ZN7rocprim17ROCPRIM_400000_NS6detail44device_merge_sort_compile_time_verifier_archINS1_11comp_targetILNS1_3genE5ELNS1_11target_archE942ELNS1_3gpuE9ELNS1_3repE0EEES8_NS0_14default_configES9_NS1_37merge_sort_block_sort_config_selectorIhNS0_10empty_typeEEENS1_38merge_sort_block_merge_config_selectorIhSB_EEEEvv
; %bb.0:
	s_endpgm
	.section	.rodata,"a",@progbits
	.p2align	6, 0x0
	.amdhsa_kernel _ZN7rocprim17ROCPRIM_400000_NS6detail44device_merge_sort_compile_time_verifier_archINS1_11comp_targetILNS1_3genE5ELNS1_11target_archE942ELNS1_3gpuE9ELNS1_3repE0EEES8_NS0_14default_configES9_NS1_37merge_sort_block_sort_config_selectorIhNS0_10empty_typeEEENS1_38merge_sort_block_merge_config_selectorIhSB_EEEEvv
		.amdhsa_group_segment_fixed_size 0
		.amdhsa_private_segment_fixed_size 0
		.amdhsa_kernarg_size 0
		.amdhsa_user_sgpr_count 4
		.amdhsa_user_sgpr_private_segment_buffer 1
		.amdhsa_user_sgpr_dispatch_ptr 0
		.amdhsa_user_sgpr_queue_ptr 0
		.amdhsa_user_sgpr_kernarg_segment_ptr 0
		.amdhsa_user_sgpr_dispatch_id 0
		.amdhsa_user_sgpr_flat_scratch_init 0
		.amdhsa_user_sgpr_private_segment_size 0
		.amdhsa_wavefront_size32 1
		.amdhsa_uses_dynamic_stack 0
		.amdhsa_system_sgpr_private_segment_wavefront_offset 0
		.amdhsa_system_sgpr_workgroup_id_x 1
		.amdhsa_system_sgpr_workgroup_id_y 0
		.amdhsa_system_sgpr_workgroup_id_z 0
		.amdhsa_system_sgpr_workgroup_info 0
		.amdhsa_system_vgpr_workitem_id 0
		.amdhsa_next_free_vgpr 1
		.amdhsa_next_free_sgpr 1
		.amdhsa_reserve_vcc 0
		.amdhsa_reserve_flat_scratch 0
		.amdhsa_float_round_mode_32 0
		.amdhsa_float_round_mode_16_64 0
		.amdhsa_float_denorm_mode_32 3
		.amdhsa_float_denorm_mode_16_64 3
		.amdhsa_dx10_clamp 1
		.amdhsa_ieee_mode 1
		.amdhsa_fp16_overflow 0
		.amdhsa_workgroup_processor_mode 1
		.amdhsa_memory_ordered 1
		.amdhsa_forward_progress 1
		.amdhsa_shared_vgpr_count 0
		.amdhsa_exception_fp_ieee_invalid_op 0
		.amdhsa_exception_fp_denorm_src 0
		.amdhsa_exception_fp_ieee_div_zero 0
		.amdhsa_exception_fp_ieee_overflow 0
		.amdhsa_exception_fp_ieee_underflow 0
		.amdhsa_exception_fp_ieee_inexact 0
		.amdhsa_exception_int_div_zero 0
	.end_amdhsa_kernel
	.section	.text._ZN7rocprim17ROCPRIM_400000_NS6detail44device_merge_sort_compile_time_verifier_archINS1_11comp_targetILNS1_3genE5ELNS1_11target_archE942ELNS1_3gpuE9ELNS1_3repE0EEES8_NS0_14default_configES9_NS1_37merge_sort_block_sort_config_selectorIhNS0_10empty_typeEEENS1_38merge_sort_block_merge_config_selectorIhSB_EEEEvv,"axG",@progbits,_ZN7rocprim17ROCPRIM_400000_NS6detail44device_merge_sort_compile_time_verifier_archINS1_11comp_targetILNS1_3genE5ELNS1_11target_archE942ELNS1_3gpuE9ELNS1_3repE0EEES8_NS0_14default_configES9_NS1_37merge_sort_block_sort_config_selectorIhNS0_10empty_typeEEENS1_38merge_sort_block_merge_config_selectorIhSB_EEEEvv,comdat
.Lfunc_end675:
	.size	_ZN7rocprim17ROCPRIM_400000_NS6detail44device_merge_sort_compile_time_verifier_archINS1_11comp_targetILNS1_3genE5ELNS1_11target_archE942ELNS1_3gpuE9ELNS1_3repE0EEES8_NS0_14default_configES9_NS1_37merge_sort_block_sort_config_selectorIhNS0_10empty_typeEEENS1_38merge_sort_block_merge_config_selectorIhSB_EEEEvv, .Lfunc_end675-_ZN7rocprim17ROCPRIM_400000_NS6detail44device_merge_sort_compile_time_verifier_archINS1_11comp_targetILNS1_3genE5ELNS1_11target_archE942ELNS1_3gpuE9ELNS1_3repE0EEES8_NS0_14default_configES9_NS1_37merge_sort_block_sort_config_selectorIhNS0_10empty_typeEEENS1_38merge_sort_block_merge_config_selectorIhSB_EEEEvv
                                        ; -- End function
	.set _ZN7rocprim17ROCPRIM_400000_NS6detail44device_merge_sort_compile_time_verifier_archINS1_11comp_targetILNS1_3genE5ELNS1_11target_archE942ELNS1_3gpuE9ELNS1_3repE0EEES8_NS0_14default_configES9_NS1_37merge_sort_block_sort_config_selectorIhNS0_10empty_typeEEENS1_38merge_sort_block_merge_config_selectorIhSB_EEEEvv.num_vgpr, 0
	.set _ZN7rocprim17ROCPRIM_400000_NS6detail44device_merge_sort_compile_time_verifier_archINS1_11comp_targetILNS1_3genE5ELNS1_11target_archE942ELNS1_3gpuE9ELNS1_3repE0EEES8_NS0_14default_configES9_NS1_37merge_sort_block_sort_config_selectorIhNS0_10empty_typeEEENS1_38merge_sort_block_merge_config_selectorIhSB_EEEEvv.num_agpr, 0
	.set _ZN7rocprim17ROCPRIM_400000_NS6detail44device_merge_sort_compile_time_verifier_archINS1_11comp_targetILNS1_3genE5ELNS1_11target_archE942ELNS1_3gpuE9ELNS1_3repE0EEES8_NS0_14default_configES9_NS1_37merge_sort_block_sort_config_selectorIhNS0_10empty_typeEEENS1_38merge_sort_block_merge_config_selectorIhSB_EEEEvv.numbered_sgpr, 0
	.set _ZN7rocprim17ROCPRIM_400000_NS6detail44device_merge_sort_compile_time_verifier_archINS1_11comp_targetILNS1_3genE5ELNS1_11target_archE942ELNS1_3gpuE9ELNS1_3repE0EEES8_NS0_14default_configES9_NS1_37merge_sort_block_sort_config_selectorIhNS0_10empty_typeEEENS1_38merge_sort_block_merge_config_selectorIhSB_EEEEvv.num_named_barrier, 0
	.set _ZN7rocprim17ROCPRIM_400000_NS6detail44device_merge_sort_compile_time_verifier_archINS1_11comp_targetILNS1_3genE5ELNS1_11target_archE942ELNS1_3gpuE9ELNS1_3repE0EEES8_NS0_14default_configES9_NS1_37merge_sort_block_sort_config_selectorIhNS0_10empty_typeEEENS1_38merge_sort_block_merge_config_selectorIhSB_EEEEvv.private_seg_size, 0
	.set _ZN7rocprim17ROCPRIM_400000_NS6detail44device_merge_sort_compile_time_verifier_archINS1_11comp_targetILNS1_3genE5ELNS1_11target_archE942ELNS1_3gpuE9ELNS1_3repE0EEES8_NS0_14default_configES9_NS1_37merge_sort_block_sort_config_selectorIhNS0_10empty_typeEEENS1_38merge_sort_block_merge_config_selectorIhSB_EEEEvv.uses_vcc, 0
	.set _ZN7rocprim17ROCPRIM_400000_NS6detail44device_merge_sort_compile_time_verifier_archINS1_11comp_targetILNS1_3genE5ELNS1_11target_archE942ELNS1_3gpuE9ELNS1_3repE0EEES8_NS0_14default_configES9_NS1_37merge_sort_block_sort_config_selectorIhNS0_10empty_typeEEENS1_38merge_sort_block_merge_config_selectorIhSB_EEEEvv.uses_flat_scratch, 0
	.set _ZN7rocprim17ROCPRIM_400000_NS6detail44device_merge_sort_compile_time_verifier_archINS1_11comp_targetILNS1_3genE5ELNS1_11target_archE942ELNS1_3gpuE9ELNS1_3repE0EEES8_NS0_14default_configES9_NS1_37merge_sort_block_sort_config_selectorIhNS0_10empty_typeEEENS1_38merge_sort_block_merge_config_selectorIhSB_EEEEvv.has_dyn_sized_stack, 0
	.set _ZN7rocprim17ROCPRIM_400000_NS6detail44device_merge_sort_compile_time_verifier_archINS1_11comp_targetILNS1_3genE5ELNS1_11target_archE942ELNS1_3gpuE9ELNS1_3repE0EEES8_NS0_14default_configES9_NS1_37merge_sort_block_sort_config_selectorIhNS0_10empty_typeEEENS1_38merge_sort_block_merge_config_selectorIhSB_EEEEvv.has_recursion, 0
	.set _ZN7rocprim17ROCPRIM_400000_NS6detail44device_merge_sort_compile_time_verifier_archINS1_11comp_targetILNS1_3genE5ELNS1_11target_archE942ELNS1_3gpuE9ELNS1_3repE0EEES8_NS0_14default_configES9_NS1_37merge_sort_block_sort_config_selectorIhNS0_10empty_typeEEENS1_38merge_sort_block_merge_config_selectorIhSB_EEEEvv.has_indirect_call, 0
	.section	.AMDGPU.csdata,"",@progbits
; Kernel info:
; codeLenInByte = 4
; TotalNumSgprs: 0
; NumVgprs: 0
; ScratchSize: 0
; MemoryBound: 0
; FloatMode: 240
; IeeeMode: 1
; LDSByteSize: 0 bytes/workgroup (compile time only)
; SGPRBlocks: 0
; VGPRBlocks: 0
; NumSGPRsForWavesPerEU: 1
; NumVGPRsForWavesPerEU: 1
; Occupancy: 16
; WaveLimiterHint : 0
; COMPUTE_PGM_RSRC2:SCRATCH_EN: 0
; COMPUTE_PGM_RSRC2:USER_SGPR: 4
; COMPUTE_PGM_RSRC2:TRAP_HANDLER: 0
; COMPUTE_PGM_RSRC2:TGID_X_EN: 1
; COMPUTE_PGM_RSRC2:TGID_Y_EN: 0
; COMPUTE_PGM_RSRC2:TGID_Z_EN: 0
; COMPUTE_PGM_RSRC2:TIDIG_COMP_CNT: 0
	.section	.text._ZN7rocprim17ROCPRIM_400000_NS6detail44device_merge_sort_compile_time_verifier_archINS1_11comp_targetILNS1_3genE4ELNS1_11target_archE910ELNS1_3gpuE8ELNS1_3repE0EEES8_NS0_14default_configES9_NS1_37merge_sort_block_sort_config_selectorIhNS0_10empty_typeEEENS1_38merge_sort_block_merge_config_selectorIhSB_EEEEvv,"axG",@progbits,_ZN7rocprim17ROCPRIM_400000_NS6detail44device_merge_sort_compile_time_verifier_archINS1_11comp_targetILNS1_3genE4ELNS1_11target_archE910ELNS1_3gpuE8ELNS1_3repE0EEES8_NS0_14default_configES9_NS1_37merge_sort_block_sort_config_selectorIhNS0_10empty_typeEEENS1_38merge_sort_block_merge_config_selectorIhSB_EEEEvv,comdat
	.protected	_ZN7rocprim17ROCPRIM_400000_NS6detail44device_merge_sort_compile_time_verifier_archINS1_11comp_targetILNS1_3genE4ELNS1_11target_archE910ELNS1_3gpuE8ELNS1_3repE0EEES8_NS0_14default_configES9_NS1_37merge_sort_block_sort_config_selectorIhNS0_10empty_typeEEENS1_38merge_sort_block_merge_config_selectorIhSB_EEEEvv ; -- Begin function _ZN7rocprim17ROCPRIM_400000_NS6detail44device_merge_sort_compile_time_verifier_archINS1_11comp_targetILNS1_3genE4ELNS1_11target_archE910ELNS1_3gpuE8ELNS1_3repE0EEES8_NS0_14default_configES9_NS1_37merge_sort_block_sort_config_selectorIhNS0_10empty_typeEEENS1_38merge_sort_block_merge_config_selectorIhSB_EEEEvv
	.globl	_ZN7rocprim17ROCPRIM_400000_NS6detail44device_merge_sort_compile_time_verifier_archINS1_11comp_targetILNS1_3genE4ELNS1_11target_archE910ELNS1_3gpuE8ELNS1_3repE0EEES8_NS0_14default_configES9_NS1_37merge_sort_block_sort_config_selectorIhNS0_10empty_typeEEENS1_38merge_sort_block_merge_config_selectorIhSB_EEEEvv
	.p2align	8
	.type	_ZN7rocprim17ROCPRIM_400000_NS6detail44device_merge_sort_compile_time_verifier_archINS1_11comp_targetILNS1_3genE4ELNS1_11target_archE910ELNS1_3gpuE8ELNS1_3repE0EEES8_NS0_14default_configES9_NS1_37merge_sort_block_sort_config_selectorIhNS0_10empty_typeEEENS1_38merge_sort_block_merge_config_selectorIhSB_EEEEvv,@function
_ZN7rocprim17ROCPRIM_400000_NS6detail44device_merge_sort_compile_time_verifier_archINS1_11comp_targetILNS1_3genE4ELNS1_11target_archE910ELNS1_3gpuE8ELNS1_3repE0EEES8_NS0_14default_configES9_NS1_37merge_sort_block_sort_config_selectorIhNS0_10empty_typeEEENS1_38merge_sort_block_merge_config_selectorIhSB_EEEEvv: ; @_ZN7rocprim17ROCPRIM_400000_NS6detail44device_merge_sort_compile_time_verifier_archINS1_11comp_targetILNS1_3genE4ELNS1_11target_archE910ELNS1_3gpuE8ELNS1_3repE0EEES8_NS0_14default_configES9_NS1_37merge_sort_block_sort_config_selectorIhNS0_10empty_typeEEENS1_38merge_sort_block_merge_config_selectorIhSB_EEEEvv
; %bb.0:
	s_endpgm
	.section	.rodata,"a",@progbits
	.p2align	6, 0x0
	.amdhsa_kernel _ZN7rocprim17ROCPRIM_400000_NS6detail44device_merge_sort_compile_time_verifier_archINS1_11comp_targetILNS1_3genE4ELNS1_11target_archE910ELNS1_3gpuE8ELNS1_3repE0EEES8_NS0_14default_configES9_NS1_37merge_sort_block_sort_config_selectorIhNS0_10empty_typeEEENS1_38merge_sort_block_merge_config_selectorIhSB_EEEEvv
		.amdhsa_group_segment_fixed_size 0
		.amdhsa_private_segment_fixed_size 0
		.amdhsa_kernarg_size 0
		.amdhsa_user_sgpr_count 4
		.amdhsa_user_sgpr_private_segment_buffer 1
		.amdhsa_user_sgpr_dispatch_ptr 0
		.amdhsa_user_sgpr_queue_ptr 0
		.amdhsa_user_sgpr_kernarg_segment_ptr 0
		.amdhsa_user_sgpr_dispatch_id 0
		.amdhsa_user_sgpr_flat_scratch_init 0
		.amdhsa_user_sgpr_private_segment_size 0
		.amdhsa_wavefront_size32 1
		.amdhsa_uses_dynamic_stack 0
		.amdhsa_system_sgpr_private_segment_wavefront_offset 0
		.amdhsa_system_sgpr_workgroup_id_x 1
		.amdhsa_system_sgpr_workgroup_id_y 0
		.amdhsa_system_sgpr_workgroup_id_z 0
		.amdhsa_system_sgpr_workgroup_info 0
		.amdhsa_system_vgpr_workitem_id 0
		.amdhsa_next_free_vgpr 1
		.amdhsa_next_free_sgpr 1
		.amdhsa_reserve_vcc 0
		.amdhsa_reserve_flat_scratch 0
		.amdhsa_float_round_mode_32 0
		.amdhsa_float_round_mode_16_64 0
		.amdhsa_float_denorm_mode_32 3
		.amdhsa_float_denorm_mode_16_64 3
		.amdhsa_dx10_clamp 1
		.amdhsa_ieee_mode 1
		.amdhsa_fp16_overflow 0
		.amdhsa_workgroup_processor_mode 1
		.amdhsa_memory_ordered 1
		.amdhsa_forward_progress 1
		.amdhsa_shared_vgpr_count 0
		.amdhsa_exception_fp_ieee_invalid_op 0
		.amdhsa_exception_fp_denorm_src 0
		.amdhsa_exception_fp_ieee_div_zero 0
		.amdhsa_exception_fp_ieee_overflow 0
		.amdhsa_exception_fp_ieee_underflow 0
		.amdhsa_exception_fp_ieee_inexact 0
		.amdhsa_exception_int_div_zero 0
	.end_amdhsa_kernel
	.section	.text._ZN7rocprim17ROCPRIM_400000_NS6detail44device_merge_sort_compile_time_verifier_archINS1_11comp_targetILNS1_3genE4ELNS1_11target_archE910ELNS1_3gpuE8ELNS1_3repE0EEES8_NS0_14default_configES9_NS1_37merge_sort_block_sort_config_selectorIhNS0_10empty_typeEEENS1_38merge_sort_block_merge_config_selectorIhSB_EEEEvv,"axG",@progbits,_ZN7rocprim17ROCPRIM_400000_NS6detail44device_merge_sort_compile_time_verifier_archINS1_11comp_targetILNS1_3genE4ELNS1_11target_archE910ELNS1_3gpuE8ELNS1_3repE0EEES8_NS0_14default_configES9_NS1_37merge_sort_block_sort_config_selectorIhNS0_10empty_typeEEENS1_38merge_sort_block_merge_config_selectorIhSB_EEEEvv,comdat
.Lfunc_end676:
	.size	_ZN7rocprim17ROCPRIM_400000_NS6detail44device_merge_sort_compile_time_verifier_archINS1_11comp_targetILNS1_3genE4ELNS1_11target_archE910ELNS1_3gpuE8ELNS1_3repE0EEES8_NS0_14default_configES9_NS1_37merge_sort_block_sort_config_selectorIhNS0_10empty_typeEEENS1_38merge_sort_block_merge_config_selectorIhSB_EEEEvv, .Lfunc_end676-_ZN7rocprim17ROCPRIM_400000_NS6detail44device_merge_sort_compile_time_verifier_archINS1_11comp_targetILNS1_3genE4ELNS1_11target_archE910ELNS1_3gpuE8ELNS1_3repE0EEES8_NS0_14default_configES9_NS1_37merge_sort_block_sort_config_selectorIhNS0_10empty_typeEEENS1_38merge_sort_block_merge_config_selectorIhSB_EEEEvv
                                        ; -- End function
	.set _ZN7rocprim17ROCPRIM_400000_NS6detail44device_merge_sort_compile_time_verifier_archINS1_11comp_targetILNS1_3genE4ELNS1_11target_archE910ELNS1_3gpuE8ELNS1_3repE0EEES8_NS0_14default_configES9_NS1_37merge_sort_block_sort_config_selectorIhNS0_10empty_typeEEENS1_38merge_sort_block_merge_config_selectorIhSB_EEEEvv.num_vgpr, 0
	.set _ZN7rocprim17ROCPRIM_400000_NS6detail44device_merge_sort_compile_time_verifier_archINS1_11comp_targetILNS1_3genE4ELNS1_11target_archE910ELNS1_3gpuE8ELNS1_3repE0EEES8_NS0_14default_configES9_NS1_37merge_sort_block_sort_config_selectorIhNS0_10empty_typeEEENS1_38merge_sort_block_merge_config_selectorIhSB_EEEEvv.num_agpr, 0
	.set _ZN7rocprim17ROCPRIM_400000_NS6detail44device_merge_sort_compile_time_verifier_archINS1_11comp_targetILNS1_3genE4ELNS1_11target_archE910ELNS1_3gpuE8ELNS1_3repE0EEES8_NS0_14default_configES9_NS1_37merge_sort_block_sort_config_selectorIhNS0_10empty_typeEEENS1_38merge_sort_block_merge_config_selectorIhSB_EEEEvv.numbered_sgpr, 0
	.set _ZN7rocprim17ROCPRIM_400000_NS6detail44device_merge_sort_compile_time_verifier_archINS1_11comp_targetILNS1_3genE4ELNS1_11target_archE910ELNS1_3gpuE8ELNS1_3repE0EEES8_NS0_14default_configES9_NS1_37merge_sort_block_sort_config_selectorIhNS0_10empty_typeEEENS1_38merge_sort_block_merge_config_selectorIhSB_EEEEvv.num_named_barrier, 0
	.set _ZN7rocprim17ROCPRIM_400000_NS6detail44device_merge_sort_compile_time_verifier_archINS1_11comp_targetILNS1_3genE4ELNS1_11target_archE910ELNS1_3gpuE8ELNS1_3repE0EEES8_NS0_14default_configES9_NS1_37merge_sort_block_sort_config_selectorIhNS0_10empty_typeEEENS1_38merge_sort_block_merge_config_selectorIhSB_EEEEvv.private_seg_size, 0
	.set _ZN7rocprim17ROCPRIM_400000_NS6detail44device_merge_sort_compile_time_verifier_archINS1_11comp_targetILNS1_3genE4ELNS1_11target_archE910ELNS1_3gpuE8ELNS1_3repE0EEES8_NS0_14default_configES9_NS1_37merge_sort_block_sort_config_selectorIhNS0_10empty_typeEEENS1_38merge_sort_block_merge_config_selectorIhSB_EEEEvv.uses_vcc, 0
	.set _ZN7rocprim17ROCPRIM_400000_NS6detail44device_merge_sort_compile_time_verifier_archINS1_11comp_targetILNS1_3genE4ELNS1_11target_archE910ELNS1_3gpuE8ELNS1_3repE0EEES8_NS0_14default_configES9_NS1_37merge_sort_block_sort_config_selectorIhNS0_10empty_typeEEENS1_38merge_sort_block_merge_config_selectorIhSB_EEEEvv.uses_flat_scratch, 0
	.set _ZN7rocprim17ROCPRIM_400000_NS6detail44device_merge_sort_compile_time_verifier_archINS1_11comp_targetILNS1_3genE4ELNS1_11target_archE910ELNS1_3gpuE8ELNS1_3repE0EEES8_NS0_14default_configES9_NS1_37merge_sort_block_sort_config_selectorIhNS0_10empty_typeEEENS1_38merge_sort_block_merge_config_selectorIhSB_EEEEvv.has_dyn_sized_stack, 0
	.set _ZN7rocprim17ROCPRIM_400000_NS6detail44device_merge_sort_compile_time_verifier_archINS1_11comp_targetILNS1_3genE4ELNS1_11target_archE910ELNS1_3gpuE8ELNS1_3repE0EEES8_NS0_14default_configES9_NS1_37merge_sort_block_sort_config_selectorIhNS0_10empty_typeEEENS1_38merge_sort_block_merge_config_selectorIhSB_EEEEvv.has_recursion, 0
	.set _ZN7rocprim17ROCPRIM_400000_NS6detail44device_merge_sort_compile_time_verifier_archINS1_11comp_targetILNS1_3genE4ELNS1_11target_archE910ELNS1_3gpuE8ELNS1_3repE0EEES8_NS0_14default_configES9_NS1_37merge_sort_block_sort_config_selectorIhNS0_10empty_typeEEENS1_38merge_sort_block_merge_config_selectorIhSB_EEEEvv.has_indirect_call, 0
	.section	.AMDGPU.csdata,"",@progbits
; Kernel info:
; codeLenInByte = 4
; TotalNumSgprs: 0
; NumVgprs: 0
; ScratchSize: 0
; MemoryBound: 0
; FloatMode: 240
; IeeeMode: 1
; LDSByteSize: 0 bytes/workgroup (compile time only)
; SGPRBlocks: 0
; VGPRBlocks: 0
; NumSGPRsForWavesPerEU: 1
; NumVGPRsForWavesPerEU: 1
; Occupancy: 16
; WaveLimiterHint : 0
; COMPUTE_PGM_RSRC2:SCRATCH_EN: 0
; COMPUTE_PGM_RSRC2:USER_SGPR: 4
; COMPUTE_PGM_RSRC2:TRAP_HANDLER: 0
; COMPUTE_PGM_RSRC2:TGID_X_EN: 1
; COMPUTE_PGM_RSRC2:TGID_Y_EN: 0
; COMPUTE_PGM_RSRC2:TGID_Z_EN: 0
; COMPUTE_PGM_RSRC2:TIDIG_COMP_CNT: 0
	.section	.text._ZN7rocprim17ROCPRIM_400000_NS6detail44device_merge_sort_compile_time_verifier_archINS1_11comp_targetILNS1_3genE3ELNS1_11target_archE908ELNS1_3gpuE7ELNS1_3repE0EEES8_NS0_14default_configES9_NS1_37merge_sort_block_sort_config_selectorIhNS0_10empty_typeEEENS1_38merge_sort_block_merge_config_selectorIhSB_EEEEvv,"axG",@progbits,_ZN7rocprim17ROCPRIM_400000_NS6detail44device_merge_sort_compile_time_verifier_archINS1_11comp_targetILNS1_3genE3ELNS1_11target_archE908ELNS1_3gpuE7ELNS1_3repE0EEES8_NS0_14default_configES9_NS1_37merge_sort_block_sort_config_selectorIhNS0_10empty_typeEEENS1_38merge_sort_block_merge_config_selectorIhSB_EEEEvv,comdat
	.protected	_ZN7rocprim17ROCPRIM_400000_NS6detail44device_merge_sort_compile_time_verifier_archINS1_11comp_targetILNS1_3genE3ELNS1_11target_archE908ELNS1_3gpuE7ELNS1_3repE0EEES8_NS0_14default_configES9_NS1_37merge_sort_block_sort_config_selectorIhNS0_10empty_typeEEENS1_38merge_sort_block_merge_config_selectorIhSB_EEEEvv ; -- Begin function _ZN7rocprim17ROCPRIM_400000_NS6detail44device_merge_sort_compile_time_verifier_archINS1_11comp_targetILNS1_3genE3ELNS1_11target_archE908ELNS1_3gpuE7ELNS1_3repE0EEES8_NS0_14default_configES9_NS1_37merge_sort_block_sort_config_selectorIhNS0_10empty_typeEEENS1_38merge_sort_block_merge_config_selectorIhSB_EEEEvv
	.globl	_ZN7rocprim17ROCPRIM_400000_NS6detail44device_merge_sort_compile_time_verifier_archINS1_11comp_targetILNS1_3genE3ELNS1_11target_archE908ELNS1_3gpuE7ELNS1_3repE0EEES8_NS0_14default_configES9_NS1_37merge_sort_block_sort_config_selectorIhNS0_10empty_typeEEENS1_38merge_sort_block_merge_config_selectorIhSB_EEEEvv
	.p2align	8
	.type	_ZN7rocprim17ROCPRIM_400000_NS6detail44device_merge_sort_compile_time_verifier_archINS1_11comp_targetILNS1_3genE3ELNS1_11target_archE908ELNS1_3gpuE7ELNS1_3repE0EEES8_NS0_14default_configES9_NS1_37merge_sort_block_sort_config_selectorIhNS0_10empty_typeEEENS1_38merge_sort_block_merge_config_selectorIhSB_EEEEvv,@function
_ZN7rocprim17ROCPRIM_400000_NS6detail44device_merge_sort_compile_time_verifier_archINS1_11comp_targetILNS1_3genE3ELNS1_11target_archE908ELNS1_3gpuE7ELNS1_3repE0EEES8_NS0_14default_configES9_NS1_37merge_sort_block_sort_config_selectorIhNS0_10empty_typeEEENS1_38merge_sort_block_merge_config_selectorIhSB_EEEEvv: ; @_ZN7rocprim17ROCPRIM_400000_NS6detail44device_merge_sort_compile_time_verifier_archINS1_11comp_targetILNS1_3genE3ELNS1_11target_archE908ELNS1_3gpuE7ELNS1_3repE0EEES8_NS0_14default_configES9_NS1_37merge_sort_block_sort_config_selectorIhNS0_10empty_typeEEENS1_38merge_sort_block_merge_config_selectorIhSB_EEEEvv
; %bb.0:
	s_endpgm
	.section	.rodata,"a",@progbits
	.p2align	6, 0x0
	.amdhsa_kernel _ZN7rocprim17ROCPRIM_400000_NS6detail44device_merge_sort_compile_time_verifier_archINS1_11comp_targetILNS1_3genE3ELNS1_11target_archE908ELNS1_3gpuE7ELNS1_3repE0EEES8_NS0_14default_configES9_NS1_37merge_sort_block_sort_config_selectorIhNS0_10empty_typeEEENS1_38merge_sort_block_merge_config_selectorIhSB_EEEEvv
		.amdhsa_group_segment_fixed_size 0
		.amdhsa_private_segment_fixed_size 0
		.amdhsa_kernarg_size 0
		.amdhsa_user_sgpr_count 4
		.amdhsa_user_sgpr_private_segment_buffer 1
		.amdhsa_user_sgpr_dispatch_ptr 0
		.amdhsa_user_sgpr_queue_ptr 0
		.amdhsa_user_sgpr_kernarg_segment_ptr 0
		.amdhsa_user_sgpr_dispatch_id 0
		.amdhsa_user_sgpr_flat_scratch_init 0
		.amdhsa_user_sgpr_private_segment_size 0
		.amdhsa_wavefront_size32 1
		.amdhsa_uses_dynamic_stack 0
		.amdhsa_system_sgpr_private_segment_wavefront_offset 0
		.amdhsa_system_sgpr_workgroup_id_x 1
		.amdhsa_system_sgpr_workgroup_id_y 0
		.amdhsa_system_sgpr_workgroup_id_z 0
		.amdhsa_system_sgpr_workgroup_info 0
		.amdhsa_system_vgpr_workitem_id 0
		.amdhsa_next_free_vgpr 1
		.amdhsa_next_free_sgpr 1
		.amdhsa_reserve_vcc 0
		.amdhsa_reserve_flat_scratch 0
		.amdhsa_float_round_mode_32 0
		.amdhsa_float_round_mode_16_64 0
		.amdhsa_float_denorm_mode_32 3
		.amdhsa_float_denorm_mode_16_64 3
		.amdhsa_dx10_clamp 1
		.amdhsa_ieee_mode 1
		.amdhsa_fp16_overflow 0
		.amdhsa_workgroup_processor_mode 1
		.amdhsa_memory_ordered 1
		.amdhsa_forward_progress 1
		.amdhsa_shared_vgpr_count 0
		.amdhsa_exception_fp_ieee_invalid_op 0
		.amdhsa_exception_fp_denorm_src 0
		.amdhsa_exception_fp_ieee_div_zero 0
		.amdhsa_exception_fp_ieee_overflow 0
		.amdhsa_exception_fp_ieee_underflow 0
		.amdhsa_exception_fp_ieee_inexact 0
		.amdhsa_exception_int_div_zero 0
	.end_amdhsa_kernel
	.section	.text._ZN7rocprim17ROCPRIM_400000_NS6detail44device_merge_sort_compile_time_verifier_archINS1_11comp_targetILNS1_3genE3ELNS1_11target_archE908ELNS1_3gpuE7ELNS1_3repE0EEES8_NS0_14default_configES9_NS1_37merge_sort_block_sort_config_selectorIhNS0_10empty_typeEEENS1_38merge_sort_block_merge_config_selectorIhSB_EEEEvv,"axG",@progbits,_ZN7rocprim17ROCPRIM_400000_NS6detail44device_merge_sort_compile_time_verifier_archINS1_11comp_targetILNS1_3genE3ELNS1_11target_archE908ELNS1_3gpuE7ELNS1_3repE0EEES8_NS0_14default_configES9_NS1_37merge_sort_block_sort_config_selectorIhNS0_10empty_typeEEENS1_38merge_sort_block_merge_config_selectorIhSB_EEEEvv,comdat
.Lfunc_end677:
	.size	_ZN7rocprim17ROCPRIM_400000_NS6detail44device_merge_sort_compile_time_verifier_archINS1_11comp_targetILNS1_3genE3ELNS1_11target_archE908ELNS1_3gpuE7ELNS1_3repE0EEES8_NS0_14default_configES9_NS1_37merge_sort_block_sort_config_selectorIhNS0_10empty_typeEEENS1_38merge_sort_block_merge_config_selectorIhSB_EEEEvv, .Lfunc_end677-_ZN7rocprim17ROCPRIM_400000_NS6detail44device_merge_sort_compile_time_verifier_archINS1_11comp_targetILNS1_3genE3ELNS1_11target_archE908ELNS1_3gpuE7ELNS1_3repE0EEES8_NS0_14default_configES9_NS1_37merge_sort_block_sort_config_selectorIhNS0_10empty_typeEEENS1_38merge_sort_block_merge_config_selectorIhSB_EEEEvv
                                        ; -- End function
	.set _ZN7rocprim17ROCPRIM_400000_NS6detail44device_merge_sort_compile_time_verifier_archINS1_11comp_targetILNS1_3genE3ELNS1_11target_archE908ELNS1_3gpuE7ELNS1_3repE0EEES8_NS0_14default_configES9_NS1_37merge_sort_block_sort_config_selectorIhNS0_10empty_typeEEENS1_38merge_sort_block_merge_config_selectorIhSB_EEEEvv.num_vgpr, 0
	.set _ZN7rocprim17ROCPRIM_400000_NS6detail44device_merge_sort_compile_time_verifier_archINS1_11comp_targetILNS1_3genE3ELNS1_11target_archE908ELNS1_3gpuE7ELNS1_3repE0EEES8_NS0_14default_configES9_NS1_37merge_sort_block_sort_config_selectorIhNS0_10empty_typeEEENS1_38merge_sort_block_merge_config_selectorIhSB_EEEEvv.num_agpr, 0
	.set _ZN7rocprim17ROCPRIM_400000_NS6detail44device_merge_sort_compile_time_verifier_archINS1_11comp_targetILNS1_3genE3ELNS1_11target_archE908ELNS1_3gpuE7ELNS1_3repE0EEES8_NS0_14default_configES9_NS1_37merge_sort_block_sort_config_selectorIhNS0_10empty_typeEEENS1_38merge_sort_block_merge_config_selectorIhSB_EEEEvv.numbered_sgpr, 0
	.set _ZN7rocprim17ROCPRIM_400000_NS6detail44device_merge_sort_compile_time_verifier_archINS1_11comp_targetILNS1_3genE3ELNS1_11target_archE908ELNS1_3gpuE7ELNS1_3repE0EEES8_NS0_14default_configES9_NS1_37merge_sort_block_sort_config_selectorIhNS0_10empty_typeEEENS1_38merge_sort_block_merge_config_selectorIhSB_EEEEvv.num_named_barrier, 0
	.set _ZN7rocprim17ROCPRIM_400000_NS6detail44device_merge_sort_compile_time_verifier_archINS1_11comp_targetILNS1_3genE3ELNS1_11target_archE908ELNS1_3gpuE7ELNS1_3repE0EEES8_NS0_14default_configES9_NS1_37merge_sort_block_sort_config_selectorIhNS0_10empty_typeEEENS1_38merge_sort_block_merge_config_selectorIhSB_EEEEvv.private_seg_size, 0
	.set _ZN7rocprim17ROCPRIM_400000_NS6detail44device_merge_sort_compile_time_verifier_archINS1_11comp_targetILNS1_3genE3ELNS1_11target_archE908ELNS1_3gpuE7ELNS1_3repE0EEES8_NS0_14default_configES9_NS1_37merge_sort_block_sort_config_selectorIhNS0_10empty_typeEEENS1_38merge_sort_block_merge_config_selectorIhSB_EEEEvv.uses_vcc, 0
	.set _ZN7rocprim17ROCPRIM_400000_NS6detail44device_merge_sort_compile_time_verifier_archINS1_11comp_targetILNS1_3genE3ELNS1_11target_archE908ELNS1_3gpuE7ELNS1_3repE0EEES8_NS0_14default_configES9_NS1_37merge_sort_block_sort_config_selectorIhNS0_10empty_typeEEENS1_38merge_sort_block_merge_config_selectorIhSB_EEEEvv.uses_flat_scratch, 0
	.set _ZN7rocprim17ROCPRIM_400000_NS6detail44device_merge_sort_compile_time_verifier_archINS1_11comp_targetILNS1_3genE3ELNS1_11target_archE908ELNS1_3gpuE7ELNS1_3repE0EEES8_NS0_14default_configES9_NS1_37merge_sort_block_sort_config_selectorIhNS0_10empty_typeEEENS1_38merge_sort_block_merge_config_selectorIhSB_EEEEvv.has_dyn_sized_stack, 0
	.set _ZN7rocprim17ROCPRIM_400000_NS6detail44device_merge_sort_compile_time_verifier_archINS1_11comp_targetILNS1_3genE3ELNS1_11target_archE908ELNS1_3gpuE7ELNS1_3repE0EEES8_NS0_14default_configES9_NS1_37merge_sort_block_sort_config_selectorIhNS0_10empty_typeEEENS1_38merge_sort_block_merge_config_selectorIhSB_EEEEvv.has_recursion, 0
	.set _ZN7rocprim17ROCPRIM_400000_NS6detail44device_merge_sort_compile_time_verifier_archINS1_11comp_targetILNS1_3genE3ELNS1_11target_archE908ELNS1_3gpuE7ELNS1_3repE0EEES8_NS0_14default_configES9_NS1_37merge_sort_block_sort_config_selectorIhNS0_10empty_typeEEENS1_38merge_sort_block_merge_config_selectorIhSB_EEEEvv.has_indirect_call, 0
	.section	.AMDGPU.csdata,"",@progbits
; Kernel info:
; codeLenInByte = 4
; TotalNumSgprs: 0
; NumVgprs: 0
; ScratchSize: 0
; MemoryBound: 0
; FloatMode: 240
; IeeeMode: 1
; LDSByteSize: 0 bytes/workgroup (compile time only)
; SGPRBlocks: 0
; VGPRBlocks: 0
; NumSGPRsForWavesPerEU: 1
; NumVGPRsForWavesPerEU: 1
; Occupancy: 16
; WaveLimiterHint : 0
; COMPUTE_PGM_RSRC2:SCRATCH_EN: 0
; COMPUTE_PGM_RSRC2:USER_SGPR: 4
; COMPUTE_PGM_RSRC2:TRAP_HANDLER: 0
; COMPUTE_PGM_RSRC2:TGID_X_EN: 1
; COMPUTE_PGM_RSRC2:TGID_Y_EN: 0
; COMPUTE_PGM_RSRC2:TGID_Z_EN: 0
; COMPUTE_PGM_RSRC2:TIDIG_COMP_CNT: 0
	.section	.text._ZN7rocprim17ROCPRIM_400000_NS6detail44device_merge_sort_compile_time_verifier_archINS1_11comp_targetILNS1_3genE2ELNS1_11target_archE906ELNS1_3gpuE6ELNS1_3repE0EEES8_NS0_14default_configES9_NS1_37merge_sort_block_sort_config_selectorIhNS0_10empty_typeEEENS1_38merge_sort_block_merge_config_selectorIhSB_EEEEvv,"axG",@progbits,_ZN7rocprim17ROCPRIM_400000_NS6detail44device_merge_sort_compile_time_verifier_archINS1_11comp_targetILNS1_3genE2ELNS1_11target_archE906ELNS1_3gpuE6ELNS1_3repE0EEES8_NS0_14default_configES9_NS1_37merge_sort_block_sort_config_selectorIhNS0_10empty_typeEEENS1_38merge_sort_block_merge_config_selectorIhSB_EEEEvv,comdat
	.protected	_ZN7rocprim17ROCPRIM_400000_NS6detail44device_merge_sort_compile_time_verifier_archINS1_11comp_targetILNS1_3genE2ELNS1_11target_archE906ELNS1_3gpuE6ELNS1_3repE0EEES8_NS0_14default_configES9_NS1_37merge_sort_block_sort_config_selectorIhNS0_10empty_typeEEENS1_38merge_sort_block_merge_config_selectorIhSB_EEEEvv ; -- Begin function _ZN7rocprim17ROCPRIM_400000_NS6detail44device_merge_sort_compile_time_verifier_archINS1_11comp_targetILNS1_3genE2ELNS1_11target_archE906ELNS1_3gpuE6ELNS1_3repE0EEES8_NS0_14default_configES9_NS1_37merge_sort_block_sort_config_selectorIhNS0_10empty_typeEEENS1_38merge_sort_block_merge_config_selectorIhSB_EEEEvv
	.globl	_ZN7rocprim17ROCPRIM_400000_NS6detail44device_merge_sort_compile_time_verifier_archINS1_11comp_targetILNS1_3genE2ELNS1_11target_archE906ELNS1_3gpuE6ELNS1_3repE0EEES8_NS0_14default_configES9_NS1_37merge_sort_block_sort_config_selectorIhNS0_10empty_typeEEENS1_38merge_sort_block_merge_config_selectorIhSB_EEEEvv
	.p2align	8
	.type	_ZN7rocprim17ROCPRIM_400000_NS6detail44device_merge_sort_compile_time_verifier_archINS1_11comp_targetILNS1_3genE2ELNS1_11target_archE906ELNS1_3gpuE6ELNS1_3repE0EEES8_NS0_14default_configES9_NS1_37merge_sort_block_sort_config_selectorIhNS0_10empty_typeEEENS1_38merge_sort_block_merge_config_selectorIhSB_EEEEvv,@function
_ZN7rocprim17ROCPRIM_400000_NS6detail44device_merge_sort_compile_time_verifier_archINS1_11comp_targetILNS1_3genE2ELNS1_11target_archE906ELNS1_3gpuE6ELNS1_3repE0EEES8_NS0_14default_configES9_NS1_37merge_sort_block_sort_config_selectorIhNS0_10empty_typeEEENS1_38merge_sort_block_merge_config_selectorIhSB_EEEEvv: ; @_ZN7rocprim17ROCPRIM_400000_NS6detail44device_merge_sort_compile_time_verifier_archINS1_11comp_targetILNS1_3genE2ELNS1_11target_archE906ELNS1_3gpuE6ELNS1_3repE0EEES8_NS0_14default_configES9_NS1_37merge_sort_block_sort_config_selectorIhNS0_10empty_typeEEENS1_38merge_sort_block_merge_config_selectorIhSB_EEEEvv
; %bb.0:
	s_endpgm
	.section	.rodata,"a",@progbits
	.p2align	6, 0x0
	.amdhsa_kernel _ZN7rocprim17ROCPRIM_400000_NS6detail44device_merge_sort_compile_time_verifier_archINS1_11comp_targetILNS1_3genE2ELNS1_11target_archE906ELNS1_3gpuE6ELNS1_3repE0EEES8_NS0_14default_configES9_NS1_37merge_sort_block_sort_config_selectorIhNS0_10empty_typeEEENS1_38merge_sort_block_merge_config_selectorIhSB_EEEEvv
		.amdhsa_group_segment_fixed_size 0
		.amdhsa_private_segment_fixed_size 0
		.amdhsa_kernarg_size 0
		.amdhsa_user_sgpr_count 4
		.amdhsa_user_sgpr_private_segment_buffer 1
		.amdhsa_user_sgpr_dispatch_ptr 0
		.amdhsa_user_sgpr_queue_ptr 0
		.amdhsa_user_sgpr_kernarg_segment_ptr 0
		.amdhsa_user_sgpr_dispatch_id 0
		.amdhsa_user_sgpr_flat_scratch_init 0
		.amdhsa_user_sgpr_private_segment_size 0
		.amdhsa_wavefront_size32 1
		.amdhsa_uses_dynamic_stack 0
		.amdhsa_system_sgpr_private_segment_wavefront_offset 0
		.amdhsa_system_sgpr_workgroup_id_x 1
		.amdhsa_system_sgpr_workgroup_id_y 0
		.amdhsa_system_sgpr_workgroup_id_z 0
		.amdhsa_system_sgpr_workgroup_info 0
		.amdhsa_system_vgpr_workitem_id 0
		.amdhsa_next_free_vgpr 1
		.amdhsa_next_free_sgpr 1
		.amdhsa_reserve_vcc 0
		.amdhsa_reserve_flat_scratch 0
		.amdhsa_float_round_mode_32 0
		.amdhsa_float_round_mode_16_64 0
		.amdhsa_float_denorm_mode_32 3
		.amdhsa_float_denorm_mode_16_64 3
		.amdhsa_dx10_clamp 1
		.amdhsa_ieee_mode 1
		.amdhsa_fp16_overflow 0
		.amdhsa_workgroup_processor_mode 1
		.amdhsa_memory_ordered 1
		.amdhsa_forward_progress 1
		.amdhsa_shared_vgpr_count 0
		.amdhsa_exception_fp_ieee_invalid_op 0
		.amdhsa_exception_fp_denorm_src 0
		.amdhsa_exception_fp_ieee_div_zero 0
		.amdhsa_exception_fp_ieee_overflow 0
		.amdhsa_exception_fp_ieee_underflow 0
		.amdhsa_exception_fp_ieee_inexact 0
		.amdhsa_exception_int_div_zero 0
	.end_amdhsa_kernel
	.section	.text._ZN7rocprim17ROCPRIM_400000_NS6detail44device_merge_sort_compile_time_verifier_archINS1_11comp_targetILNS1_3genE2ELNS1_11target_archE906ELNS1_3gpuE6ELNS1_3repE0EEES8_NS0_14default_configES9_NS1_37merge_sort_block_sort_config_selectorIhNS0_10empty_typeEEENS1_38merge_sort_block_merge_config_selectorIhSB_EEEEvv,"axG",@progbits,_ZN7rocprim17ROCPRIM_400000_NS6detail44device_merge_sort_compile_time_verifier_archINS1_11comp_targetILNS1_3genE2ELNS1_11target_archE906ELNS1_3gpuE6ELNS1_3repE0EEES8_NS0_14default_configES9_NS1_37merge_sort_block_sort_config_selectorIhNS0_10empty_typeEEENS1_38merge_sort_block_merge_config_selectorIhSB_EEEEvv,comdat
.Lfunc_end678:
	.size	_ZN7rocprim17ROCPRIM_400000_NS6detail44device_merge_sort_compile_time_verifier_archINS1_11comp_targetILNS1_3genE2ELNS1_11target_archE906ELNS1_3gpuE6ELNS1_3repE0EEES8_NS0_14default_configES9_NS1_37merge_sort_block_sort_config_selectorIhNS0_10empty_typeEEENS1_38merge_sort_block_merge_config_selectorIhSB_EEEEvv, .Lfunc_end678-_ZN7rocprim17ROCPRIM_400000_NS6detail44device_merge_sort_compile_time_verifier_archINS1_11comp_targetILNS1_3genE2ELNS1_11target_archE906ELNS1_3gpuE6ELNS1_3repE0EEES8_NS0_14default_configES9_NS1_37merge_sort_block_sort_config_selectorIhNS0_10empty_typeEEENS1_38merge_sort_block_merge_config_selectorIhSB_EEEEvv
                                        ; -- End function
	.set _ZN7rocprim17ROCPRIM_400000_NS6detail44device_merge_sort_compile_time_verifier_archINS1_11comp_targetILNS1_3genE2ELNS1_11target_archE906ELNS1_3gpuE6ELNS1_3repE0EEES8_NS0_14default_configES9_NS1_37merge_sort_block_sort_config_selectorIhNS0_10empty_typeEEENS1_38merge_sort_block_merge_config_selectorIhSB_EEEEvv.num_vgpr, 0
	.set _ZN7rocprim17ROCPRIM_400000_NS6detail44device_merge_sort_compile_time_verifier_archINS1_11comp_targetILNS1_3genE2ELNS1_11target_archE906ELNS1_3gpuE6ELNS1_3repE0EEES8_NS0_14default_configES9_NS1_37merge_sort_block_sort_config_selectorIhNS0_10empty_typeEEENS1_38merge_sort_block_merge_config_selectorIhSB_EEEEvv.num_agpr, 0
	.set _ZN7rocprim17ROCPRIM_400000_NS6detail44device_merge_sort_compile_time_verifier_archINS1_11comp_targetILNS1_3genE2ELNS1_11target_archE906ELNS1_3gpuE6ELNS1_3repE0EEES8_NS0_14default_configES9_NS1_37merge_sort_block_sort_config_selectorIhNS0_10empty_typeEEENS1_38merge_sort_block_merge_config_selectorIhSB_EEEEvv.numbered_sgpr, 0
	.set _ZN7rocprim17ROCPRIM_400000_NS6detail44device_merge_sort_compile_time_verifier_archINS1_11comp_targetILNS1_3genE2ELNS1_11target_archE906ELNS1_3gpuE6ELNS1_3repE0EEES8_NS0_14default_configES9_NS1_37merge_sort_block_sort_config_selectorIhNS0_10empty_typeEEENS1_38merge_sort_block_merge_config_selectorIhSB_EEEEvv.num_named_barrier, 0
	.set _ZN7rocprim17ROCPRIM_400000_NS6detail44device_merge_sort_compile_time_verifier_archINS1_11comp_targetILNS1_3genE2ELNS1_11target_archE906ELNS1_3gpuE6ELNS1_3repE0EEES8_NS0_14default_configES9_NS1_37merge_sort_block_sort_config_selectorIhNS0_10empty_typeEEENS1_38merge_sort_block_merge_config_selectorIhSB_EEEEvv.private_seg_size, 0
	.set _ZN7rocprim17ROCPRIM_400000_NS6detail44device_merge_sort_compile_time_verifier_archINS1_11comp_targetILNS1_3genE2ELNS1_11target_archE906ELNS1_3gpuE6ELNS1_3repE0EEES8_NS0_14default_configES9_NS1_37merge_sort_block_sort_config_selectorIhNS0_10empty_typeEEENS1_38merge_sort_block_merge_config_selectorIhSB_EEEEvv.uses_vcc, 0
	.set _ZN7rocprim17ROCPRIM_400000_NS6detail44device_merge_sort_compile_time_verifier_archINS1_11comp_targetILNS1_3genE2ELNS1_11target_archE906ELNS1_3gpuE6ELNS1_3repE0EEES8_NS0_14default_configES9_NS1_37merge_sort_block_sort_config_selectorIhNS0_10empty_typeEEENS1_38merge_sort_block_merge_config_selectorIhSB_EEEEvv.uses_flat_scratch, 0
	.set _ZN7rocprim17ROCPRIM_400000_NS6detail44device_merge_sort_compile_time_verifier_archINS1_11comp_targetILNS1_3genE2ELNS1_11target_archE906ELNS1_3gpuE6ELNS1_3repE0EEES8_NS0_14default_configES9_NS1_37merge_sort_block_sort_config_selectorIhNS0_10empty_typeEEENS1_38merge_sort_block_merge_config_selectorIhSB_EEEEvv.has_dyn_sized_stack, 0
	.set _ZN7rocprim17ROCPRIM_400000_NS6detail44device_merge_sort_compile_time_verifier_archINS1_11comp_targetILNS1_3genE2ELNS1_11target_archE906ELNS1_3gpuE6ELNS1_3repE0EEES8_NS0_14default_configES9_NS1_37merge_sort_block_sort_config_selectorIhNS0_10empty_typeEEENS1_38merge_sort_block_merge_config_selectorIhSB_EEEEvv.has_recursion, 0
	.set _ZN7rocprim17ROCPRIM_400000_NS6detail44device_merge_sort_compile_time_verifier_archINS1_11comp_targetILNS1_3genE2ELNS1_11target_archE906ELNS1_3gpuE6ELNS1_3repE0EEES8_NS0_14default_configES9_NS1_37merge_sort_block_sort_config_selectorIhNS0_10empty_typeEEENS1_38merge_sort_block_merge_config_selectorIhSB_EEEEvv.has_indirect_call, 0
	.section	.AMDGPU.csdata,"",@progbits
; Kernel info:
; codeLenInByte = 4
; TotalNumSgprs: 0
; NumVgprs: 0
; ScratchSize: 0
; MemoryBound: 0
; FloatMode: 240
; IeeeMode: 1
; LDSByteSize: 0 bytes/workgroup (compile time only)
; SGPRBlocks: 0
; VGPRBlocks: 0
; NumSGPRsForWavesPerEU: 1
; NumVGPRsForWavesPerEU: 1
; Occupancy: 16
; WaveLimiterHint : 0
; COMPUTE_PGM_RSRC2:SCRATCH_EN: 0
; COMPUTE_PGM_RSRC2:USER_SGPR: 4
; COMPUTE_PGM_RSRC2:TRAP_HANDLER: 0
; COMPUTE_PGM_RSRC2:TGID_X_EN: 1
; COMPUTE_PGM_RSRC2:TGID_Y_EN: 0
; COMPUTE_PGM_RSRC2:TGID_Z_EN: 0
; COMPUTE_PGM_RSRC2:TIDIG_COMP_CNT: 0
	.section	.text._ZN7rocprim17ROCPRIM_400000_NS6detail44device_merge_sort_compile_time_verifier_archINS1_11comp_targetILNS1_3genE10ELNS1_11target_archE1201ELNS1_3gpuE5ELNS1_3repE0EEES8_NS0_14default_configES9_NS1_37merge_sort_block_sort_config_selectorIhNS0_10empty_typeEEENS1_38merge_sort_block_merge_config_selectorIhSB_EEEEvv,"axG",@progbits,_ZN7rocprim17ROCPRIM_400000_NS6detail44device_merge_sort_compile_time_verifier_archINS1_11comp_targetILNS1_3genE10ELNS1_11target_archE1201ELNS1_3gpuE5ELNS1_3repE0EEES8_NS0_14default_configES9_NS1_37merge_sort_block_sort_config_selectorIhNS0_10empty_typeEEENS1_38merge_sort_block_merge_config_selectorIhSB_EEEEvv,comdat
	.protected	_ZN7rocprim17ROCPRIM_400000_NS6detail44device_merge_sort_compile_time_verifier_archINS1_11comp_targetILNS1_3genE10ELNS1_11target_archE1201ELNS1_3gpuE5ELNS1_3repE0EEES8_NS0_14default_configES9_NS1_37merge_sort_block_sort_config_selectorIhNS0_10empty_typeEEENS1_38merge_sort_block_merge_config_selectorIhSB_EEEEvv ; -- Begin function _ZN7rocprim17ROCPRIM_400000_NS6detail44device_merge_sort_compile_time_verifier_archINS1_11comp_targetILNS1_3genE10ELNS1_11target_archE1201ELNS1_3gpuE5ELNS1_3repE0EEES8_NS0_14default_configES9_NS1_37merge_sort_block_sort_config_selectorIhNS0_10empty_typeEEENS1_38merge_sort_block_merge_config_selectorIhSB_EEEEvv
	.globl	_ZN7rocprim17ROCPRIM_400000_NS6detail44device_merge_sort_compile_time_verifier_archINS1_11comp_targetILNS1_3genE10ELNS1_11target_archE1201ELNS1_3gpuE5ELNS1_3repE0EEES8_NS0_14default_configES9_NS1_37merge_sort_block_sort_config_selectorIhNS0_10empty_typeEEENS1_38merge_sort_block_merge_config_selectorIhSB_EEEEvv
	.p2align	8
	.type	_ZN7rocprim17ROCPRIM_400000_NS6detail44device_merge_sort_compile_time_verifier_archINS1_11comp_targetILNS1_3genE10ELNS1_11target_archE1201ELNS1_3gpuE5ELNS1_3repE0EEES8_NS0_14default_configES9_NS1_37merge_sort_block_sort_config_selectorIhNS0_10empty_typeEEENS1_38merge_sort_block_merge_config_selectorIhSB_EEEEvv,@function
_ZN7rocprim17ROCPRIM_400000_NS6detail44device_merge_sort_compile_time_verifier_archINS1_11comp_targetILNS1_3genE10ELNS1_11target_archE1201ELNS1_3gpuE5ELNS1_3repE0EEES8_NS0_14default_configES9_NS1_37merge_sort_block_sort_config_selectorIhNS0_10empty_typeEEENS1_38merge_sort_block_merge_config_selectorIhSB_EEEEvv: ; @_ZN7rocprim17ROCPRIM_400000_NS6detail44device_merge_sort_compile_time_verifier_archINS1_11comp_targetILNS1_3genE10ELNS1_11target_archE1201ELNS1_3gpuE5ELNS1_3repE0EEES8_NS0_14default_configES9_NS1_37merge_sort_block_sort_config_selectorIhNS0_10empty_typeEEENS1_38merge_sort_block_merge_config_selectorIhSB_EEEEvv
; %bb.0:
	s_endpgm
	.section	.rodata,"a",@progbits
	.p2align	6, 0x0
	.amdhsa_kernel _ZN7rocprim17ROCPRIM_400000_NS6detail44device_merge_sort_compile_time_verifier_archINS1_11comp_targetILNS1_3genE10ELNS1_11target_archE1201ELNS1_3gpuE5ELNS1_3repE0EEES8_NS0_14default_configES9_NS1_37merge_sort_block_sort_config_selectorIhNS0_10empty_typeEEENS1_38merge_sort_block_merge_config_selectorIhSB_EEEEvv
		.amdhsa_group_segment_fixed_size 0
		.amdhsa_private_segment_fixed_size 0
		.amdhsa_kernarg_size 0
		.amdhsa_user_sgpr_count 4
		.amdhsa_user_sgpr_private_segment_buffer 1
		.amdhsa_user_sgpr_dispatch_ptr 0
		.amdhsa_user_sgpr_queue_ptr 0
		.amdhsa_user_sgpr_kernarg_segment_ptr 0
		.amdhsa_user_sgpr_dispatch_id 0
		.amdhsa_user_sgpr_flat_scratch_init 0
		.amdhsa_user_sgpr_private_segment_size 0
		.amdhsa_wavefront_size32 1
		.amdhsa_uses_dynamic_stack 0
		.amdhsa_system_sgpr_private_segment_wavefront_offset 0
		.amdhsa_system_sgpr_workgroup_id_x 1
		.amdhsa_system_sgpr_workgroup_id_y 0
		.amdhsa_system_sgpr_workgroup_id_z 0
		.amdhsa_system_sgpr_workgroup_info 0
		.amdhsa_system_vgpr_workitem_id 0
		.amdhsa_next_free_vgpr 1
		.amdhsa_next_free_sgpr 1
		.amdhsa_reserve_vcc 0
		.amdhsa_reserve_flat_scratch 0
		.amdhsa_float_round_mode_32 0
		.amdhsa_float_round_mode_16_64 0
		.amdhsa_float_denorm_mode_32 3
		.amdhsa_float_denorm_mode_16_64 3
		.amdhsa_dx10_clamp 1
		.amdhsa_ieee_mode 1
		.amdhsa_fp16_overflow 0
		.amdhsa_workgroup_processor_mode 1
		.amdhsa_memory_ordered 1
		.amdhsa_forward_progress 1
		.amdhsa_shared_vgpr_count 0
		.amdhsa_exception_fp_ieee_invalid_op 0
		.amdhsa_exception_fp_denorm_src 0
		.amdhsa_exception_fp_ieee_div_zero 0
		.amdhsa_exception_fp_ieee_overflow 0
		.amdhsa_exception_fp_ieee_underflow 0
		.amdhsa_exception_fp_ieee_inexact 0
		.amdhsa_exception_int_div_zero 0
	.end_amdhsa_kernel
	.section	.text._ZN7rocprim17ROCPRIM_400000_NS6detail44device_merge_sort_compile_time_verifier_archINS1_11comp_targetILNS1_3genE10ELNS1_11target_archE1201ELNS1_3gpuE5ELNS1_3repE0EEES8_NS0_14default_configES9_NS1_37merge_sort_block_sort_config_selectorIhNS0_10empty_typeEEENS1_38merge_sort_block_merge_config_selectorIhSB_EEEEvv,"axG",@progbits,_ZN7rocprim17ROCPRIM_400000_NS6detail44device_merge_sort_compile_time_verifier_archINS1_11comp_targetILNS1_3genE10ELNS1_11target_archE1201ELNS1_3gpuE5ELNS1_3repE0EEES8_NS0_14default_configES9_NS1_37merge_sort_block_sort_config_selectorIhNS0_10empty_typeEEENS1_38merge_sort_block_merge_config_selectorIhSB_EEEEvv,comdat
.Lfunc_end679:
	.size	_ZN7rocprim17ROCPRIM_400000_NS6detail44device_merge_sort_compile_time_verifier_archINS1_11comp_targetILNS1_3genE10ELNS1_11target_archE1201ELNS1_3gpuE5ELNS1_3repE0EEES8_NS0_14default_configES9_NS1_37merge_sort_block_sort_config_selectorIhNS0_10empty_typeEEENS1_38merge_sort_block_merge_config_selectorIhSB_EEEEvv, .Lfunc_end679-_ZN7rocprim17ROCPRIM_400000_NS6detail44device_merge_sort_compile_time_verifier_archINS1_11comp_targetILNS1_3genE10ELNS1_11target_archE1201ELNS1_3gpuE5ELNS1_3repE0EEES8_NS0_14default_configES9_NS1_37merge_sort_block_sort_config_selectorIhNS0_10empty_typeEEENS1_38merge_sort_block_merge_config_selectorIhSB_EEEEvv
                                        ; -- End function
	.set _ZN7rocprim17ROCPRIM_400000_NS6detail44device_merge_sort_compile_time_verifier_archINS1_11comp_targetILNS1_3genE10ELNS1_11target_archE1201ELNS1_3gpuE5ELNS1_3repE0EEES8_NS0_14default_configES9_NS1_37merge_sort_block_sort_config_selectorIhNS0_10empty_typeEEENS1_38merge_sort_block_merge_config_selectorIhSB_EEEEvv.num_vgpr, 0
	.set _ZN7rocprim17ROCPRIM_400000_NS6detail44device_merge_sort_compile_time_verifier_archINS1_11comp_targetILNS1_3genE10ELNS1_11target_archE1201ELNS1_3gpuE5ELNS1_3repE0EEES8_NS0_14default_configES9_NS1_37merge_sort_block_sort_config_selectorIhNS0_10empty_typeEEENS1_38merge_sort_block_merge_config_selectorIhSB_EEEEvv.num_agpr, 0
	.set _ZN7rocprim17ROCPRIM_400000_NS6detail44device_merge_sort_compile_time_verifier_archINS1_11comp_targetILNS1_3genE10ELNS1_11target_archE1201ELNS1_3gpuE5ELNS1_3repE0EEES8_NS0_14default_configES9_NS1_37merge_sort_block_sort_config_selectorIhNS0_10empty_typeEEENS1_38merge_sort_block_merge_config_selectorIhSB_EEEEvv.numbered_sgpr, 0
	.set _ZN7rocprim17ROCPRIM_400000_NS6detail44device_merge_sort_compile_time_verifier_archINS1_11comp_targetILNS1_3genE10ELNS1_11target_archE1201ELNS1_3gpuE5ELNS1_3repE0EEES8_NS0_14default_configES9_NS1_37merge_sort_block_sort_config_selectorIhNS0_10empty_typeEEENS1_38merge_sort_block_merge_config_selectorIhSB_EEEEvv.num_named_barrier, 0
	.set _ZN7rocprim17ROCPRIM_400000_NS6detail44device_merge_sort_compile_time_verifier_archINS1_11comp_targetILNS1_3genE10ELNS1_11target_archE1201ELNS1_3gpuE5ELNS1_3repE0EEES8_NS0_14default_configES9_NS1_37merge_sort_block_sort_config_selectorIhNS0_10empty_typeEEENS1_38merge_sort_block_merge_config_selectorIhSB_EEEEvv.private_seg_size, 0
	.set _ZN7rocprim17ROCPRIM_400000_NS6detail44device_merge_sort_compile_time_verifier_archINS1_11comp_targetILNS1_3genE10ELNS1_11target_archE1201ELNS1_3gpuE5ELNS1_3repE0EEES8_NS0_14default_configES9_NS1_37merge_sort_block_sort_config_selectorIhNS0_10empty_typeEEENS1_38merge_sort_block_merge_config_selectorIhSB_EEEEvv.uses_vcc, 0
	.set _ZN7rocprim17ROCPRIM_400000_NS6detail44device_merge_sort_compile_time_verifier_archINS1_11comp_targetILNS1_3genE10ELNS1_11target_archE1201ELNS1_3gpuE5ELNS1_3repE0EEES8_NS0_14default_configES9_NS1_37merge_sort_block_sort_config_selectorIhNS0_10empty_typeEEENS1_38merge_sort_block_merge_config_selectorIhSB_EEEEvv.uses_flat_scratch, 0
	.set _ZN7rocprim17ROCPRIM_400000_NS6detail44device_merge_sort_compile_time_verifier_archINS1_11comp_targetILNS1_3genE10ELNS1_11target_archE1201ELNS1_3gpuE5ELNS1_3repE0EEES8_NS0_14default_configES9_NS1_37merge_sort_block_sort_config_selectorIhNS0_10empty_typeEEENS1_38merge_sort_block_merge_config_selectorIhSB_EEEEvv.has_dyn_sized_stack, 0
	.set _ZN7rocprim17ROCPRIM_400000_NS6detail44device_merge_sort_compile_time_verifier_archINS1_11comp_targetILNS1_3genE10ELNS1_11target_archE1201ELNS1_3gpuE5ELNS1_3repE0EEES8_NS0_14default_configES9_NS1_37merge_sort_block_sort_config_selectorIhNS0_10empty_typeEEENS1_38merge_sort_block_merge_config_selectorIhSB_EEEEvv.has_recursion, 0
	.set _ZN7rocprim17ROCPRIM_400000_NS6detail44device_merge_sort_compile_time_verifier_archINS1_11comp_targetILNS1_3genE10ELNS1_11target_archE1201ELNS1_3gpuE5ELNS1_3repE0EEES8_NS0_14default_configES9_NS1_37merge_sort_block_sort_config_selectorIhNS0_10empty_typeEEENS1_38merge_sort_block_merge_config_selectorIhSB_EEEEvv.has_indirect_call, 0
	.section	.AMDGPU.csdata,"",@progbits
; Kernel info:
; codeLenInByte = 4
; TotalNumSgprs: 0
; NumVgprs: 0
; ScratchSize: 0
; MemoryBound: 0
; FloatMode: 240
; IeeeMode: 1
; LDSByteSize: 0 bytes/workgroup (compile time only)
; SGPRBlocks: 0
; VGPRBlocks: 0
; NumSGPRsForWavesPerEU: 1
; NumVGPRsForWavesPerEU: 1
; Occupancy: 16
; WaveLimiterHint : 0
; COMPUTE_PGM_RSRC2:SCRATCH_EN: 0
; COMPUTE_PGM_RSRC2:USER_SGPR: 4
; COMPUTE_PGM_RSRC2:TRAP_HANDLER: 0
; COMPUTE_PGM_RSRC2:TGID_X_EN: 1
; COMPUTE_PGM_RSRC2:TGID_Y_EN: 0
; COMPUTE_PGM_RSRC2:TGID_Z_EN: 0
; COMPUTE_PGM_RSRC2:TIDIG_COMP_CNT: 0
	.section	.text._ZN7rocprim17ROCPRIM_400000_NS6detail44device_merge_sort_compile_time_verifier_archINS1_11comp_targetILNS1_3genE10ELNS1_11target_archE1200ELNS1_3gpuE4ELNS1_3repE0EEENS3_ILS4_10ELS5_1201ELS6_5ELS7_0EEENS0_14default_configESA_NS1_37merge_sort_block_sort_config_selectorIhNS0_10empty_typeEEENS1_38merge_sort_block_merge_config_selectorIhSC_EEEEvv,"axG",@progbits,_ZN7rocprim17ROCPRIM_400000_NS6detail44device_merge_sort_compile_time_verifier_archINS1_11comp_targetILNS1_3genE10ELNS1_11target_archE1200ELNS1_3gpuE4ELNS1_3repE0EEENS3_ILS4_10ELS5_1201ELS6_5ELS7_0EEENS0_14default_configESA_NS1_37merge_sort_block_sort_config_selectorIhNS0_10empty_typeEEENS1_38merge_sort_block_merge_config_selectorIhSC_EEEEvv,comdat
	.protected	_ZN7rocprim17ROCPRIM_400000_NS6detail44device_merge_sort_compile_time_verifier_archINS1_11comp_targetILNS1_3genE10ELNS1_11target_archE1200ELNS1_3gpuE4ELNS1_3repE0EEENS3_ILS4_10ELS5_1201ELS6_5ELS7_0EEENS0_14default_configESA_NS1_37merge_sort_block_sort_config_selectorIhNS0_10empty_typeEEENS1_38merge_sort_block_merge_config_selectorIhSC_EEEEvv ; -- Begin function _ZN7rocprim17ROCPRIM_400000_NS6detail44device_merge_sort_compile_time_verifier_archINS1_11comp_targetILNS1_3genE10ELNS1_11target_archE1200ELNS1_3gpuE4ELNS1_3repE0EEENS3_ILS4_10ELS5_1201ELS6_5ELS7_0EEENS0_14default_configESA_NS1_37merge_sort_block_sort_config_selectorIhNS0_10empty_typeEEENS1_38merge_sort_block_merge_config_selectorIhSC_EEEEvv
	.globl	_ZN7rocprim17ROCPRIM_400000_NS6detail44device_merge_sort_compile_time_verifier_archINS1_11comp_targetILNS1_3genE10ELNS1_11target_archE1200ELNS1_3gpuE4ELNS1_3repE0EEENS3_ILS4_10ELS5_1201ELS6_5ELS7_0EEENS0_14default_configESA_NS1_37merge_sort_block_sort_config_selectorIhNS0_10empty_typeEEENS1_38merge_sort_block_merge_config_selectorIhSC_EEEEvv
	.p2align	8
	.type	_ZN7rocprim17ROCPRIM_400000_NS6detail44device_merge_sort_compile_time_verifier_archINS1_11comp_targetILNS1_3genE10ELNS1_11target_archE1200ELNS1_3gpuE4ELNS1_3repE0EEENS3_ILS4_10ELS5_1201ELS6_5ELS7_0EEENS0_14default_configESA_NS1_37merge_sort_block_sort_config_selectorIhNS0_10empty_typeEEENS1_38merge_sort_block_merge_config_selectorIhSC_EEEEvv,@function
_ZN7rocprim17ROCPRIM_400000_NS6detail44device_merge_sort_compile_time_verifier_archINS1_11comp_targetILNS1_3genE10ELNS1_11target_archE1200ELNS1_3gpuE4ELNS1_3repE0EEENS3_ILS4_10ELS5_1201ELS6_5ELS7_0EEENS0_14default_configESA_NS1_37merge_sort_block_sort_config_selectorIhNS0_10empty_typeEEENS1_38merge_sort_block_merge_config_selectorIhSC_EEEEvv: ; @_ZN7rocprim17ROCPRIM_400000_NS6detail44device_merge_sort_compile_time_verifier_archINS1_11comp_targetILNS1_3genE10ELNS1_11target_archE1200ELNS1_3gpuE4ELNS1_3repE0EEENS3_ILS4_10ELS5_1201ELS6_5ELS7_0EEENS0_14default_configESA_NS1_37merge_sort_block_sort_config_selectorIhNS0_10empty_typeEEENS1_38merge_sort_block_merge_config_selectorIhSC_EEEEvv
; %bb.0:
	s_endpgm
	.section	.rodata,"a",@progbits
	.p2align	6, 0x0
	.amdhsa_kernel _ZN7rocprim17ROCPRIM_400000_NS6detail44device_merge_sort_compile_time_verifier_archINS1_11comp_targetILNS1_3genE10ELNS1_11target_archE1200ELNS1_3gpuE4ELNS1_3repE0EEENS3_ILS4_10ELS5_1201ELS6_5ELS7_0EEENS0_14default_configESA_NS1_37merge_sort_block_sort_config_selectorIhNS0_10empty_typeEEENS1_38merge_sort_block_merge_config_selectorIhSC_EEEEvv
		.amdhsa_group_segment_fixed_size 0
		.amdhsa_private_segment_fixed_size 0
		.amdhsa_kernarg_size 0
		.amdhsa_user_sgpr_count 4
		.amdhsa_user_sgpr_private_segment_buffer 1
		.amdhsa_user_sgpr_dispatch_ptr 0
		.amdhsa_user_sgpr_queue_ptr 0
		.amdhsa_user_sgpr_kernarg_segment_ptr 0
		.amdhsa_user_sgpr_dispatch_id 0
		.amdhsa_user_sgpr_flat_scratch_init 0
		.amdhsa_user_sgpr_private_segment_size 0
		.amdhsa_wavefront_size32 1
		.amdhsa_uses_dynamic_stack 0
		.amdhsa_system_sgpr_private_segment_wavefront_offset 0
		.amdhsa_system_sgpr_workgroup_id_x 1
		.amdhsa_system_sgpr_workgroup_id_y 0
		.amdhsa_system_sgpr_workgroup_id_z 0
		.amdhsa_system_sgpr_workgroup_info 0
		.amdhsa_system_vgpr_workitem_id 0
		.amdhsa_next_free_vgpr 1
		.amdhsa_next_free_sgpr 1
		.amdhsa_reserve_vcc 0
		.amdhsa_reserve_flat_scratch 0
		.amdhsa_float_round_mode_32 0
		.amdhsa_float_round_mode_16_64 0
		.amdhsa_float_denorm_mode_32 3
		.amdhsa_float_denorm_mode_16_64 3
		.amdhsa_dx10_clamp 1
		.amdhsa_ieee_mode 1
		.amdhsa_fp16_overflow 0
		.amdhsa_workgroup_processor_mode 1
		.amdhsa_memory_ordered 1
		.amdhsa_forward_progress 1
		.amdhsa_shared_vgpr_count 0
		.amdhsa_exception_fp_ieee_invalid_op 0
		.amdhsa_exception_fp_denorm_src 0
		.amdhsa_exception_fp_ieee_div_zero 0
		.amdhsa_exception_fp_ieee_overflow 0
		.amdhsa_exception_fp_ieee_underflow 0
		.amdhsa_exception_fp_ieee_inexact 0
		.amdhsa_exception_int_div_zero 0
	.end_amdhsa_kernel
	.section	.text._ZN7rocprim17ROCPRIM_400000_NS6detail44device_merge_sort_compile_time_verifier_archINS1_11comp_targetILNS1_3genE10ELNS1_11target_archE1200ELNS1_3gpuE4ELNS1_3repE0EEENS3_ILS4_10ELS5_1201ELS6_5ELS7_0EEENS0_14default_configESA_NS1_37merge_sort_block_sort_config_selectorIhNS0_10empty_typeEEENS1_38merge_sort_block_merge_config_selectorIhSC_EEEEvv,"axG",@progbits,_ZN7rocprim17ROCPRIM_400000_NS6detail44device_merge_sort_compile_time_verifier_archINS1_11comp_targetILNS1_3genE10ELNS1_11target_archE1200ELNS1_3gpuE4ELNS1_3repE0EEENS3_ILS4_10ELS5_1201ELS6_5ELS7_0EEENS0_14default_configESA_NS1_37merge_sort_block_sort_config_selectorIhNS0_10empty_typeEEENS1_38merge_sort_block_merge_config_selectorIhSC_EEEEvv,comdat
.Lfunc_end680:
	.size	_ZN7rocprim17ROCPRIM_400000_NS6detail44device_merge_sort_compile_time_verifier_archINS1_11comp_targetILNS1_3genE10ELNS1_11target_archE1200ELNS1_3gpuE4ELNS1_3repE0EEENS3_ILS4_10ELS5_1201ELS6_5ELS7_0EEENS0_14default_configESA_NS1_37merge_sort_block_sort_config_selectorIhNS0_10empty_typeEEENS1_38merge_sort_block_merge_config_selectorIhSC_EEEEvv, .Lfunc_end680-_ZN7rocprim17ROCPRIM_400000_NS6detail44device_merge_sort_compile_time_verifier_archINS1_11comp_targetILNS1_3genE10ELNS1_11target_archE1200ELNS1_3gpuE4ELNS1_3repE0EEENS3_ILS4_10ELS5_1201ELS6_5ELS7_0EEENS0_14default_configESA_NS1_37merge_sort_block_sort_config_selectorIhNS0_10empty_typeEEENS1_38merge_sort_block_merge_config_selectorIhSC_EEEEvv
                                        ; -- End function
	.set _ZN7rocprim17ROCPRIM_400000_NS6detail44device_merge_sort_compile_time_verifier_archINS1_11comp_targetILNS1_3genE10ELNS1_11target_archE1200ELNS1_3gpuE4ELNS1_3repE0EEENS3_ILS4_10ELS5_1201ELS6_5ELS7_0EEENS0_14default_configESA_NS1_37merge_sort_block_sort_config_selectorIhNS0_10empty_typeEEENS1_38merge_sort_block_merge_config_selectorIhSC_EEEEvv.num_vgpr, 0
	.set _ZN7rocprim17ROCPRIM_400000_NS6detail44device_merge_sort_compile_time_verifier_archINS1_11comp_targetILNS1_3genE10ELNS1_11target_archE1200ELNS1_3gpuE4ELNS1_3repE0EEENS3_ILS4_10ELS5_1201ELS6_5ELS7_0EEENS0_14default_configESA_NS1_37merge_sort_block_sort_config_selectorIhNS0_10empty_typeEEENS1_38merge_sort_block_merge_config_selectorIhSC_EEEEvv.num_agpr, 0
	.set _ZN7rocprim17ROCPRIM_400000_NS6detail44device_merge_sort_compile_time_verifier_archINS1_11comp_targetILNS1_3genE10ELNS1_11target_archE1200ELNS1_3gpuE4ELNS1_3repE0EEENS3_ILS4_10ELS5_1201ELS6_5ELS7_0EEENS0_14default_configESA_NS1_37merge_sort_block_sort_config_selectorIhNS0_10empty_typeEEENS1_38merge_sort_block_merge_config_selectorIhSC_EEEEvv.numbered_sgpr, 0
	.set _ZN7rocprim17ROCPRIM_400000_NS6detail44device_merge_sort_compile_time_verifier_archINS1_11comp_targetILNS1_3genE10ELNS1_11target_archE1200ELNS1_3gpuE4ELNS1_3repE0EEENS3_ILS4_10ELS5_1201ELS6_5ELS7_0EEENS0_14default_configESA_NS1_37merge_sort_block_sort_config_selectorIhNS0_10empty_typeEEENS1_38merge_sort_block_merge_config_selectorIhSC_EEEEvv.num_named_barrier, 0
	.set _ZN7rocprim17ROCPRIM_400000_NS6detail44device_merge_sort_compile_time_verifier_archINS1_11comp_targetILNS1_3genE10ELNS1_11target_archE1200ELNS1_3gpuE4ELNS1_3repE0EEENS3_ILS4_10ELS5_1201ELS6_5ELS7_0EEENS0_14default_configESA_NS1_37merge_sort_block_sort_config_selectorIhNS0_10empty_typeEEENS1_38merge_sort_block_merge_config_selectorIhSC_EEEEvv.private_seg_size, 0
	.set _ZN7rocprim17ROCPRIM_400000_NS6detail44device_merge_sort_compile_time_verifier_archINS1_11comp_targetILNS1_3genE10ELNS1_11target_archE1200ELNS1_3gpuE4ELNS1_3repE0EEENS3_ILS4_10ELS5_1201ELS6_5ELS7_0EEENS0_14default_configESA_NS1_37merge_sort_block_sort_config_selectorIhNS0_10empty_typeEEENS1_38merge_sort_block_merge_config_selectorIhSC_EEEEvv.uses_vcc, 0
	.set _ZN7rocprim17ROCPRIM_400000_NS6detail44device_merge_sort_compile_time_verifier_archINS1_11comp_targetILNS1_3genE10ELNS1_11target_archE1200ELNS1_3gpuE4ELNS1_3repE0EEENS3_ILS4_10ELS5_1201ELS6_5ELS7_0EEENS0_14default_configESA_NS1_37merge_sort_block_sort_config_selectorIhNS0_10empty_typeEEENS1_38merge_sort_block_merge_config_selectorIhSC_EEEEvv.uses_flat_scratch, 0
	.set _ZN7rocprim17ROCPRIM_400000_NS6detail44device_merge_sort_compile_time_verifier_archINS1_11comp_targetILNS1_3genE10ELNS1_11target_archE1200ELNS1_3gpuE4ELNS1_3repE0EEENS3_ILS4_10ELS5_1201ELS6_5ELS7_0EEENS0_14default_configESA_NS1_37merge_sort_block_sort_config_selectorIhNS0_10empty_typeEEENS1_38merge_sort_block_merge_config_selectorIhSC_EEEEvv.has_dyn_sized_stack, 0
	.set _ZN7rocprim17ROCPRIM_400000_NS6detail44device_merge_sort_compile_time_verifier_archINS1_11comp_targetILNS1_3genE10ELNS1_11target_archE1200ELNS1_3gpuE4ELNS1_3repE0EEENS3_ILS4_10ELS5_1201ELS6_5ELS7_0EEENS0_14default_configESA_NS1_37merge_sort_block_sort_config_selectorIhNS0_10empty_typeEEENS1_38merge_sort_block_merge_config_selectorIhSC_EEEEvv.has_recursion, 0
	.set _ZN7rocprim17ROCPRIM_400000_NS6detail44device_merge_sort_compile_time_verifier_archINS1_11comp_targetILNS1_3genE10ELNS1_11target_archE1200ELNS1_3gpuE4ELNS1_3repE0EEENS3_ILS4_10ELS5_1201ELS6_5ELS7_0EEENS0_14default_configESA_NS1_37merge_sort_block_sort_config_selectorIhNS0_10empty_typeEEENS1_38merge_sort_block_merge_config_selectorIhSC_EEEEvv.has_indirect_call, 0
	.section	.AMDGPU.csdata,"",@progbits
; Kernel info:
; codeLenInByte = 4
; TotalNumSgprs: 0
; NumVgprs: 0
; ScratchSize: 0
; MemoryBound: 0
; FloatMode: 240
; IeeeMode: 1
; LDSByteSize: 0 bytes/workgroup (compile time only)
; SGPRBlocks: 0
; VGPRBlocks: 0
; NumSGPRsForWavesPerEU: 1
; NumVGPRsForWavesPerEU: 1
; Occupancy: 16
; WaveLimiterHint : 0
; COMPUTE_PGM_RSRC2:SCRATCH_EN: 0
; COMPUTE_PGM_RSRC2:USER_SGPR: 4
; COMPUTE_PGM_RSRC2:TRAP_HANDLER: 0
; COMPUTE_PGM_RSRC2:TGID_X_EN: 1
; COMPUTE_PGM_RSRC2:TGID_Y_EN: 0
; COMPUTE_PGM_RSRC2:TGID_Z_EN: 0
; COMPUTE_PGM_RSRC2:TIDIG_COMP_CNT: 0
	.section	.text._ZN7rocprim17ROCPRIM_400000_NS6detail44device_merge_sort_compile_time_verifier_archINS1_11comp_targetILNS1_3genE9ELNS1_11target_archE1100ELNS1_3gpuE3ELNS1_3repE0EEES8_NS0_14default_configES9_NS1_37merge_sort_block_sort_config_selectorIhNS0_10empty_typeEEENS1_38merge_sort_block_merge_config_selectorIhSB_EEEEvv,"axG",@progbits,_ZN7rocprim17ROCPRIM_400000_NS6detail44device_merge_sort_compile_time_verifier_archINS1_11comp_targetILNS1_3genE9ELNS1_11target_archE1100ELNS1_3gpuE3ELNS1_3repE0EEES8_NS0_14default_configES9_NS1_37merge_sort_block_sort_config_selectorIhNS0_10empty_typeEEENS1_38merge_sort_block_merge_config_selectorIhSB_EEEEvv,comdat
	.protected	_ZN7rocprim17ROCPRIM_400000_NS6detail44device_merge_sort_compile_time_verifier_archINS1_11comp_targetILNS1_3genE9ELNS1_11target_archE1100ELNS1_3gpuE3ELNS1_3repE0EEES8_NS0_14default_configES9_NS1_37merge_sort_block_sort_config_selectorIhNS0_10empty_typeEEENS1_38merge_sort_block_merge_config_selectorIhSB_EEEEvv ; -- Begin function _ZN7rocprim17ROCPRIM_400000_NS6detail44device_merge_sort_compile_time_verifier_archINS1_11comp_targetILNS1_3genE9ELNS1_11target_archE1100ELNS1_3gpuE3ELNS1_3repE0EEES8_NS0_14default_configES9_NS1_37merge_sort_block_sort_config_selectorIhNS0_10empty_typeEEENS1_38merge_sort_block_merge_config_selectorIhSB_EEEEvv
	.globl	_ZN7rocprim17ROCPRIM_400000_NS6detail44device_merge_sort_compile_time_verifier_archINS1_11comp_targetILNS1_3genE9ELNS1_11target_archE1100ELNS1_3gpuE3ELNS1_3repE0EEES8_NS0_14default_configES9_NS1_37merge_sort_block_sort_config_selectorIhNS0_10empty_typeEEENS1_38merge_sort_block_merge_config_selectorIhSB_EEEEvv
	.p2align	8
	.type	_ZN7rocprim17ROCPRIM_400000_NS6detail44device_merge_sort_compile_time_verifier_archINS1_11comp_targetILNS1_3genE9ELNS1_11target_archE1100ELNS1_3gpuE3ELNS1_3repE0EEES8_NS0_14default_configES9_NS1_37merge_sort_block_sort_config_selectorIhNS0_10empty_typeEEENS1_38merge_sort_block_merge_config_selectorIhSB_EEEEvv,@function
_ZN7rocprim17ROCPRIM_400000_NS6detail44device_merge_sort_compile_time_verifier_archINS1_11comp_targetILNS1_3genE9ELNS1_11target_archE1100ELNS1_3gpuE3ELNS1_3repE0EEES8_NS0_14default_configES9_NS1_37merge_sort_block_sort_config_selectorIhNS0_10empty_typeEEENS1_38merge_sort_block_merge_config_selectorIhSB_EEEEvv: ; @_ZN7rocprim17ROCPRIM_400000_NS6detail44device_merge_sort_compile_time_verifier_archINS1_11comp_targetILNS1_3genE9ELNS1_11target_archE1100ELNS1_3gpuE3ELNS1_3repE0EEES8_NS0_14default_configES9_NS1_37merge_sort_block_sort_config_selectorIhNS0_10empty_typeEEENS1_38merge_sort_block_merge_config_selectorIhSB_EEEEvv
; %bb.0:
	s_endpgm
	.section	.rodata,"a",@progbits
	.p2align	6, 0x0
	.amdhsa_kernel _ZN7rocprim17ROCPRIM_400000_NS6detail44device_merge_sort_compile_time_verifier_archINS1_11comp_targetILNS1_3genE9ELNS1_11target_archE1100ELNS1_3gpuE3ELNS1_3repE0EEES8_NS0_14default_configES9_NS1_37merge_sort_block_sort_config_selectorIhNS0_10empty_typeEEENS1_38merge_sort_block_merge_config_selectorIhSB_EEEEvv
		.amdhsa_group_segment_fixed_size 0
		.amdhsa_private_segment_fixed_size 0
		.amdhsa_kernarg_size 0
		.amdhsa_user_sgpr_count 4
		.amdhsa_user_sgpr_private_segment_buffer 1
		.amdhsa_user_sgpr_dispatch_ptr 0
		.amdhsa_user_sgpr_queue_ptr 0
		.amdhsa_user_sgpr_kernarg_segment_ptr 0
		.amdhsa_user_sgpr_dispatch_id 0
		.amdhsa_user_sgpr_flat_scratch_init 0
		.amdhsa_user_sgpr_private_segment_size 0
		.amdhsa_wavefront_size32 1
		.amdhsa_uses_dynamic_stack 0
		.amdhsa_system_sgpr_private_segment_wavefront_offset 0
		.amdhsa_system_sgpr_workgroup_id_x 1
		.amdhsa_system_sgpr_workgroup_id_y 0
		.amdhsa_system_sgpr_workgroup_id_z 0
		.amdhsa_system_sgpr_workgroup_info 0
		.amdhsa_system_vgpr_workitem_id 0
		.amdhsa_next_free_vgpr 1
		.amdhsa_next_free_sgpr 1
		.amdhsa_reserve_vcc 0
		.amdhsa_reserve_flat_scratch 0
		.amdhsa_float_round_mode_32 0
		.amdhsa_float_round_mode_16_64 0
		.amdhsa_float_denorm_mode_32 3
		.amdhsa_float_denorm_mode_16_64 3
		.amdhsa_dx10_clamp 1
		.amdhsa_ieee_mode 1
		.amdhsa_fp16_overflow 0
		.amdhsa_workgroup_processor_mode 1
		.amdhsa_memory_ordered 1
		.amdhsa_forward_progress 1
		.amdhsa_shared_vgpr_count 0
		.amdhsa_exception_fp_ieee_invalid_op 0
		.amdhsa_exception_fp_denorm_src 0
		.amdhsa_exception_fp_ieee_div_zero 0
		.amdhsa_exception_fp_ieee_overflow 0
		.amdhsa_exception_fp_ieee_underflow 0
		.amdhsa_exception_fp_ieee_inexact 0
		.amdhsa_exception_int_div_zero 0
	.end_amdhsa_kernel
	.section	.text._ZN7rocprim17ROCPRIM_400000_NS6detail44device_merge_sort_compile_time_verifier_archINS1_11comp_targetILNS1_3genE9ELNS1_11target_archE1100ELNS1_3gpuE3ELNS1_3repE0EEES8_NS0_14default_configES9_NS1_37merge_sort_block_sort_config_selectorIhNS0_10empty_typeEEENS1_38merge_sort_block_merge_config_selectorIhSB_EEEEvv,"axG",@progbits,_ZN7rocprim17ROCPRIM_400000_NS6detail44device_merge_sort_compile_time_verifier_archINS1_11comp_targetILNS1_3genE9ELNS1_11target_archE1100ELNS1_3gpuE3ELNS1_3repE0EEES8_NS0_14default_configES9_NS1_37merge_sort_block_sort_config_selectorIhNS0_10empty_typeEEENS1_38merge_sort_block_merge_config_selectorIhSB_EEEEvv,comdat
.Lfunc_end681:
	.size	_ZN7rocprim17ROCPRIM_400000_NS6detail44device_merge_sort_compile_time_verifier_archINS1_11comp_targetILNS1_3genE9ELNS1_11target_archE1100ELNS1_3gpuE3ELNS1_3repE0EEES8_NS0_14default_configES9_NS1_37merge_sort_block_sort_config_selectorIhNS0_10empty_typeEEENS1_38merge_sort_block_merge_config_selectorIhSB_EEEEvv, .Lfunc_end681-_ZN7rocprim17ROCPRIM_400000_NS6detail44device_merge_sort_compile_time_verifier_archINS1_11comp_targetILNS1_3genE9ELNS1_11target_archE1100ELNS1_3gpuE3ELNS1_3repE0EEES8_NS0_14default_configES9_NS1_37merge_sort_block_sort_config_selectorIhNS0_10empty_typeEEENS1_38merge_sort_block_merge_config_selectorIhSB_EEEEvv
                                        ; -- End function
	.set _ZN7rocprim17ROCPRIM_400000_NS6detail44device_merge_sort_compile_time_verifier_archINS1_11comp_targetILNS1_3genE9ELNS1_11target_archE1100ELNS1_3gpuE3ELNS1_3repE0EEES8_NS0_14default_configES9_NS1_37merge_sort_block_sort_config_selectorIhNS0_10empty_typeEEENS1_38merge_sort_block_merge_config_selectorIhSB_EEEEvv.num_vgpr, 0
	.set _ZN7rocprim17ROCPRIM_400000_NS6detail44device_merge_sort_compile_time_verifier_archINS1_11comp_targetILNS1_3genE9ELNS1_11target_archE1100ELNS1_3gpuE3ELNS1_3repE0EEES8_NS0_14default_configES9_NS1_37merge_sort_block_sort_config_selectorIhNS0_10empty_typeEEENS1_38merge_sort_block_merge_config_selectorIhSB_EEEEvv.num_agpr, 0
	.set _ZN7rocprim17ROCPRIM_400000_NS6detail44device_merge_sort_compile_time_verifier_archINS1_11comp_targetILNS1_3genE9ELNS1_11target_archE1100ELNS1_3gpuE3ELNS1_3repE0EEES8_NS0_14default_configES9_NS1_37merge_sort_block_sort_config_selectorIhNS0_10empty_typeEEENS1_38merge_sort_block_merge_config_selectorIhSB_EEEEvv.numbered_sgpr, 0
	.set _ZN7rocprim17ROCPRIM_400000_NS6detail44device_merge_sort_compile_time_verifier_archINS1_11comp_targetILNS1_3genE9ELNS1_11target_archE1100ELNS1_3gpuE3ELNS1_3repE0EEES8_NS0_14default_configES9_NS1_37merge_sort_block_sort_config_selectorIhNS0_10empty_typeEEENS1_38merge_sort_block_merge_config_selectorIhSB_EEEEvv.num_named_barrier, 0
	.set _ZN7rocprim17ROCPRIM_400000_NS6detail44device_merge_sort_compile_time_verifier_archINS1_11comp_targetILNS1_3genE9ELNS1_11target_archE1100ELNS1_3gpuE3ELNS1_3repE0EEES8_NS0_14default_configES9_NS1_37merge_sort_block_sort_config_selectorIhNS0_10empty_typeEEENS1_38merge_sort_block_merge_config_selectorIhSB_EEEEvv.private_seg_size, 0
	.set _ZN7rocprim17ROCPRIM_400000_NS6detail44device_merge_sort_compile_time_verifier_archINS1_11comp_targetILNS1_3genE9ELNS1_11target_archE1100ELNS1_3gpuE3ELNS1_3repE0EEES8_NS0_14default_configES9_NS1_37merge_sort_block_sort_config_selectorIhNS0_10empty_typeEEENS1_38merge_sort_block_merge_config_selectorIhSB_EEEEvv.uses_vcc, 0
	.set _ZN7rocprim17ROCPRIM_400000_NS6detail44device_merge_sort_compile_time_verifier_archINS1_11comp_targetILNS1_3genE9ELNS1_11target_archE1100ELNS1_3gpuE3ELNS1_3repE0EEES8_NS0_14default_configES9_NS1_37merge_sort_block_sort_config_selectorIhNS0_10empty_typeEEENS1_38merge_sort_block_merge_config_selectorIhSB_EEEEvv.uses_flat_scratch, 0
	.set _ZN7rocprim17ROCPRIM_400000_NS6detail44device_merge_sort_compile_time_verifier_archINS1_11comp_targetILNS1_3genE9ELNS1_11target_archE1100ELNS1_3gpuE3ELNS1_3repE0EEES8_NS0_14default_configES9_NS1_37merge_sort_block_sort_config_selectorIhNS0_10empty_typeEEENS1_38merge_sort_block_merge_config_selectorIhSB_EEEEvv.has_dyn_sized_stack, 0
	.set _ZN7rocprim17ROCPRIM_400000_NS6detail44device_merge_sort_compile_time_verifier_archINS1_11comp_targetILNS1_3genE9ELNS1_11target_archE1100ELNS1_3gpuE3ELNS1_3repE0EEES8_NS0_14default_configES9_NS1_37merge_sort_block_sort_config_selectorIhNS0_10empty_typeEEENS1_38merge_sort_block_merge_config_selectorIhSB_EEEEvv.has_recursion, 0
	.set _ZN7rocprim17ROCPRIM_400000_NS6detail44device_merge_sort_compile_time_verifier_archINS1_11comp_targetILNS1_3genE9ELNS1_11target_archE1100ELNS1_3gpuE3ELNS1_3repE0EEES8_NS0_14default_configES9_NS1_37merge_sort_block_sort_config_selectorIhNS0_10empty_typeEEENS1_38merge_sort_block_merge_config_selectorIhSB_EEEEvv.has_indirect_call, 0
	.section	.AMDGPU.csdata,"",@progbits
; Kernel info:
; codeLenInByte = 4
; TotalNumSgprs: 0
; NumVgprs: 0
; ScratchSize: 0
; MemoryBound: 0
; FloatMode: 240
; IeeeMode: 1
; LDSByteSize: 0 bytes/workgroup (compile time only)
; SGPRBlocks: 0
; VGPRBlocks: 0
; NumSGPRsForWavesPerEU: 1
; NumVGPRsForWavesPerEU: 1
; Occupancy: 16
; WaveLimiterHint : 0
; COMPUTE_PGM_RSRC2:SCRATCH_EN: 0
; COMPUTE_PGM_RSRC2:USER_SGPR: 4
; COMPUTE_PGM_RSRC2:TRAP_HANDLER: 0
; COMPUTE_PGM_RSRC2:TGID_X_EN: 1
; COMPUTE_PGM_RSRC2:TGID_Y_EN: 0
; COMPUTE_PGM_RSRC2:TGID_Z_EN: 0
; COMPUTE_PGM_RSRC2:TIDIG_COMP_CNT: 0
	.section	.text._ZN7rocprim17ROCPRIM_400000_NS6detail44device_merge_sort_compile_time_verifier_archINS1_11comp_targetILNS1_3genE8ELNS1_11target_archE1030ELNS1_3gpuE2ELNS1_3repE0EEES8_NS0_14default_configES9_NS1_37merge_sort_block_sort_config_selectorIhNS0_10empty_typeEEENS1_38merge_sort_block_merge_config_selectorIhSB_EEEEvv,"axG",@progbits,_ZN7rocprim17ROCPRIM_400000_NS6detail44device_merge_sort_compile_time_verifier_archINS1_11comp_targetILNS1_3genE8ELNS1_11target_archE1030ELNS1_3gpuE2ELNS1_3repE0EEES8_NS0_14default_configES9_NS1_37merge_sort_block_sort_config_selectorIhNS0_10empty_typeEEENS1_38merge_sort_block_merge_config_selectorIhSB_EEEEvv,comdat
	.protected	_ZN7rocprim17ROCPRIM_400000_NS6detail44device_merge_sort_compile_time_verifier_archINS1_11comp_targetILNS1_3genE8ELNS1_11target_archE1030ELNS1_3gpuE2ELNS1_3repE0EEES8_NS0_14default_configES9_NS1_37merge_sort_block_sort_config_selectorIhNS0_10empty_typeEEENS1_38merge_sort_block_merge_config_selectorIhSB_EEEEvv ; -- Begin function _ZN7rocprim17ROCPRIM_400000_NS6detail44device_merge_sort_compile_time_verifier_archINS1_11comp_targetILNS1_3genE8ELNS1_11target_archE1030ELNS1_3gpuE2ELNS1_3repE0EEES8_NS0_14default_configES9_NS1_37merge_sort_block_sort_config_selectorIhNS0_10empty_typeEEENS1_38merge_sort_block_merge_config_selectorIhSB_EEEEvv
	.globl	_ZN7rocprim17ROCPRIM_400000_NS6detail44device_merge_sort_compile_time_verifier_archINS1_11comp_targetILNS1_3genE8ELNS1_11target_archE1030ELNS1_3gpuE2ELNS1_3repE0EEES8_NS0_14default_configES9_NS1_37merge_sort_block_sort_config_selectorIhNS0_10empty_typeEEENS1_38merge_sort_block_merge_config_selectorIhSB_EEEEvv
	.p2align	8
	.type	_ZN7rocprim17ROCPRIM_400000_NS6detail44device_merge_sort_compile_time_verifier_archINS1_11comp_targetILNS1_3genE8ELNS1_11target_archE1030ELNS1_3gpuE2ELNS1_3repE0EEES8_NS0_14default_configES9_NS1_37merge_sort_block_sort_config_selectorIhNS0_10empty_typeEEENS1_38merge_sort_block_merge_config_selectorIhSB_EEEEvv,@function
_ZN7rocprim17ROCPRIM_400000_NS6detail44device_merge_sort_compile_time_verifier_archINS1_11comp_targetILNS1_3genE8ELNS1_11target_archE1030ELNS1_3gpuE2ELNS1_3repE0EEES8_NS0_14default_configES9_NS1_37merge_sort_block_sort_config_selectorIhNS0_10empty_typeEEENS1_38merge_sort_block_merge_config_selectorIhSB_EEEEvv: ; @_ZN7rocprim17ROCPRIM_400000_NS6detail44device_merge_sort_compile_time_verifier_archINS1_11comp_targetILNS1_3genE8ELNS1_11target_archE1030ELNS1_3gpuE2ELNS1_3repE0EEES8_NS0_14default_configES9_NS1_37merge_sort_block_sort_config_selectorIhNS0_10empty_typeEEENS1_38merge_sort_block_merge_config_selectorIhSB_EEEEvv
; %bb.0:
	s_endpgm
	.section	.rodata,"a",@progbits
	.p2align	6, 0x0
	.amdhsa_kernel _ZN7rocprim17ROCPRIM_400000_NS6detail44device_merge_sort_compile_time_verifier_archINS1_11comp_targetILNS1_3genE8ELNS1_11target_archE1030ELNS1_3gpuE2ELNS1_3repE0EEES8_NS0_14default_configES9_NS1_37merge_sort_block_sort_config_selectorIhNS0_10empty_typeEEENS1_38merge_sort_block_merge_config_selectorIhSB_EEEEvv
		.amdhsa_group_segment_fixed_size 0
		.amdhsa_private_segment_fixed_size 0
		.amdhsa_kernarg_size 0
		.amdhsa_user_sgpr_count 4
		.amdhsa_user_sgpr_private_segment_buffer 1
		.amdhsa_user_sgpr_dispatch_ptr 0
		.amdhsa_user_sgpr_queue_ptr 0
		.amdhsa_user_sgpr_kernarg_segment_ptr 0
		.amdhsa_user_sgpr_dispatch_id 0
		.amdhsa_user_sgpr_flat_scratch_init 0
		.amdhsa_user_sgpr_private_segment_size 0
		.amdhsa_wavefront_size32 1
		.amdhsa_uses_dynamic_stack 0
		.amdhsa_system_sgpr_private_segment_wavefront_offset 0
		.amdhsa_system_sgpr_workgroup_id_x 1
		.amdhsa_system_sgpr_workgroup_id_y 0
		.amdhsa_system_sgpr_workgroup_id_z 0
		.amdhsa_system_sgpr_workgroup_info 0
		.amdhsa_system_vgpr_workitem_id 0
		.amdhsa_next_free_vgpr 1
		.amdhsa_next_free_sgpr 1
		.amdhsa_reserve_vcc 0
		.amdhsa_reserve_flat_scratch 0
		.amdhsa_float_round_mode_32 0
		.amdhsa_float_round_mode_16_64 0
		.amdhsa_float_denorm_mode_32 3
		.amdhsa_float_denorm_mode_16_64 3
		.amdhsa_dx10_clamp 1
		.amdhsa_ieee_mode 1
		.amdhsa_fp16_overflow 0
		.amdhsa_workgroup_processor_mode 1
		.amdhsa_memory_ordered 1
		.amdhsa_forward_progress 1
		.amdhsa_shared_vgpr_count 0
		.amdhsa_exception_fp_ieee_invalid_op 0
		.amdhsa_exception_fp_denorm_src 0
		.amdhsa_exception_fp_ieee_div_zero 0
		.amdhsa_exception_fp_ieee_overflow 0
		.amdhsa_exception_fp_ieee_underflow 0
		.amdhsa_exception_fp_ieee_inexact 0
		.amdhsa_exception_int_div_zero 0
	.end_amdhsa_kernel
	.section	.text._ZN7rocprim17ROCPRIM_400000_NS6detail44device_merge_sort_compile_time_verifier_archINS1_11comp_targetILNS1_3genE8ELNS1_11target_archE1030ELNS1_3gpuE2ELNS1_3repE0EEES8_NS0_14default_configES9_NS1_37merge_sort_block_sort_config_selectorIhNS0_10empty_typeEEENS1_38merge_sort_block_merge_config_selectorIhSB_EEEEvv,"axG",@progbits,_ZN7rocprim17ROCPRIM_400000_NS6detail44device_merge_sort_compile_time_verifier_archINS1_11comp_targetILNS1_3genE8ELNS1_11target_archE1030ELNS1_3gpuE2ELNS1_3repE0EEES8_NS0_14default_configES9_NS1_37merge_sort_block_sort_config_selectorIhNS0_10empty_typeEEENS1_38merge_sort_block_merge_config_selectorIhSB_EEEEvv,comdat
.Lfunc_end682:
	.size	_ZN7rocprim17ROCPRIM_400000_NS6detail44device_merge_sort_compile_time_verifier_archINS1_11comp_targetILNS1_3genE8ELNS1_11target_archE1030ELNS1_3gpuE2ELNS1_3repE0EEES8_NS0_14default_configES9_NS1_37merge_sort_block_sort_config_selectorIhNS0_10empty_typeEEENS1_38merge_sort_block_merge_config_selectorIhSB_EEEEvv, .Lfunc_end682-_ZN7rocprim17ROCPRIM_400000_NS6detail44device_merge_sort_compile_time_verifier_archINS1_11comp_targetILNS1_3genE8ELNS1_11target_archE1030ELNS1_3gpuE2ELNS1_3repE0EEES8_NS0_14default_configES9_NS1_37merge_sort_block_sort_config_selectorIhNS0_10empty_typeEEENS1_38merge_sort_block_merge_config_selectorIhSB_EEEEvv
                                        ; -- End function
	.set _ZN7rocprim17ROCPRIM_400000_NS6detail44device_merge_sort_compile_time_verifier_archINS1_11comp_targetILNS1_3genE8ELNS1_11target_archE1030ELNS1_3gpuE2ELNS1_3repE0EEES8_NS0_14default_configES9_NS1_37merge_sort_block_sort_config_selectorIhNS0_10empty_typeEEENS1_38merge_sort_block_merge_config_selectorIhSB_EEEEvv.num_vgpr, 0
	.set _ZN7rocprim17ROCPRIM_400000_NS6detail44device_merge_sort_compile_time_verifier_archINS1_11comp_targetILNS1_3genE8ELNS1_11target_archE1030ELNS1_3gpuE2ELNS1_3repE0EEES8_NS0_14default_configES9_NS1_37merge_sort_block_sort_config_selectorIhNS0_10empty_typeEEENS1_38merge_sort_block_merge_config_selectorIhSB_EEEEvv.num_agpr, 0
	.set _ZN7rocprim17ROCPRIM_400000_NS6detail44device_merge_sort_compile_time_verifier_archINS1_11comp_targetILNS1_3genE8ELNS1_11target_archE1030ELNS1_3gpuE2ELNS1_3repE0EEES8_NS0_14default_configES9_NS1_37merge_sort_block_sort_config_selectorIhNS0_10empty_typeEEENS1_38merge_sort_block_merge_config_selectorIhSB_EEEEvv.numbered_sgpr, 0
	.set _ZN7rocprim17ROCPRIM_400000_NS6detail44device_merge_sort_compile_time_verifier_archINS1_11comp_targetILNS1_3genE8ELNS1_11target_archE1030ELNS1_3gpuE2ELNS1_3repE0EEES8_NS0_14default_configES9_NS1_37merge_sort_block_sort_config_selectorIhNS0_10empty_typeEEENS1_38merge_sort_block_merge_config_selectorIhSB_EEEEvv.num_named_barrier, 0
	.set _ZN7rocprim17ROCPRIM_400000_NS6detail44device_merge_sort_compile_time_verifier_archINS1_11comp_targetILNS1_3genE8ELNS1_11target_archE1030ELNS1_3gpuE2ELNS1_3repE0EEES8_NS0_14default_configES9_NS1_37merge_sort_block_sort_config_selectorIhNS0_10empty_typeEEENS1_38merge_sort_block_merge_config_selectorIhSB_EEEEvv.private_seg_size, 0
	.set _ZN7rocprim17ROCPRIM_400000_NS6detail44device_merge_sort_compile_time_verifier_archINS1_11comp_targetILNS1_3genE8ELNS1_11target_archE1030ELNS1_3gpuE2ELNS1_3repE0EEES8_NS0_14default_configES9_NS1_37merge_sort_block_sort_config_selectorIhNS0_10empty_typeEEENS1_38merge_sort_block_merge_config_selectorIhSB_EEEEvv.uses_vcc, 0
	.set _ZN7rocprim17ROCPRIM_400000_NS6detail44device_merge_sort_compile_time_verifier_archINS1_11comp_targetILNS1_3genE8ELNS1_11target_archE1030ELNS1_3gpuE2ELNS1_3repE0EEES8_NS0_14default_configES9_NS1_37merge_sort_block_sort_config_selectorIhNS0_10empty_typeEEENS1_38merge_sort_block_merge_config_selectorIhSB_EEEEvv.uses_flat_scratch, 0
	.set _ZN7rocprim17ROCPRIM_400000_NS6detail44device_merge_sort_compile_time_verifier_archINS1_11comp_targetILNS1_3genE8ELNS1_11target_archE1030ELNS1_3gpuE2ELNS1_3repE0EEES8_NS0_14default_configES9_NS1_37merge_sort_block_sort_config_selectorIhNS0_10empty_typeEEENS1_38merge_sort_block_merge_config_selectorIhSB_EEEEvv.has_dyn_sized_stack, 0
	.set _ZN7rocprim17ROCPRIM_400000_NS6detail44device_merge_sort_compile_time_verifier_archINS1_11comp_targetILNS1_3genE8ELNS1_11target_archE1030ELNS1_3gpuE2ELNS1_3repE0EEES8_NS0_14default_configES9_NS1_37merge_sort_block_sort_config_selectorIhNS0_10empty_typeEEENS1_38merge_sort_block_merge_config_selectorIhSB_EEEEvv.has_recursion, 0
	.set _ZN7rocprim17ROCPRIM_400000_NS6detail44device_merge_sort_compile_time_verifier_archINS1_11comp_targetILNS1_3genE8ELNS1_11target_archE1030ELNS1_3gpuE2ELNS1_3repE0EEES8_NS0_14default_configES9_NS1_37merge_sort_block_sort_config_selectorIhNS0_10empty_typeEEENS1_38merge_sort_block_merge_config_selectorIhSB_EEEEvv.has_indirect_call, 0
	.section	.AMDGPU.csdata,"",@progbits
; Kernel info:
; codeLenInByte = 4
; TotalNumSgprs: 0
; NumVgprs: 0
; ScratchSize: 0
; MemoryBound: 0
; FloatMode: 240
; IeeeMode: 1
; LDSByteSize: 0 bytes/workgroup (compile time only)
; SGPRBlocks: 0
; VGPRBlocks: 0
; NumSGPRsForWavesPerEU: 1
; NumVGPRsForWavesPerEU: 1
; Occupancy: 16
; WaveLimiterHint : 0
; COMPUTE_PGM_RSRC2:SCRATCH_EN: 0
; COMPUTE_PGM_RSRC2:USER_SGPR: 4
; COMPUTE_PGM_RSRC2:TRAP_HANDLER: 0
; COMPUTE_PGM_RSRC2:TGID_X_EN: 1
; COMPUTE_PGM_RSRC2:TGID_Y_EN: 0
; COMPUTE_PGM_RSRC2:TGID_Z_EN: 0
; COMPUTE_PGM_RSRC2:TIDIG_COMP_CNT: 0
	.section	.text._ZN7rocprim17ROCPRIM_400000_NS6detail17trampoline_kernelINS0_14default_configENS1_37merge_sort_block_sort_config_selectorIhNS0_10empty_typeEEEZNS1_21merge_sort_block_sortIS3_N6thrust23THRUST_200600_302600_NS6detail15normal_iteratorINS9_10device_ptrIhEEEESE_PS5_SF_11less_div_10IhEEE10hipError_tT0_T1_T2_T3_mRjT4_P12ihipStream_tbNS1_7vsmem_tEEUlT_E_NS1_11comp_targetILNS1_3genE0ELNS1_11target_archE4294967295ELNS1_3gpuE0ELNS1_3repE0EEENS1_30default_config_static_selectorELNS0_4arch9wavefront6targetE0EEEvSK_,"axG",@progbits,_ZN7rocprim17ROCPRIM_400000_NS6detail17trampoline_kernelINS0_14default_configENS1_37merge_sort_block_sort_config_selectorIhNS0_10empty_typeEEEZNS1_21merge_sort_block_sortIS3_N6thrust23THRUST_200600_302600_NS6detail15normal_iteratorINS9_10device_ptrIhEEEESE_PS5_SF_11less_div_10IhEEE10hipError_tT0_T1_T2_T3_mRjT4_P12ihipStream_tbNS1_7vsmem_tEEUlT_E_NS1_11comp_targetILNS1_3genE0ELNS1_11target_archE4294967295ELNS1_3gpuE0ELNS1_3repE0EEENS1_30default_config_static_selectorELNS0_4arch9wavefront6targetE0EEEvSK_,comdat
	.protected	_ZN7rocprim17ROCPRIM_400000_NS6detail17trampoline_kernelINS0_14default_configENS1_37merge_sort_block_sort_config_selectorIhNS0_10empty_typeEEEZNS1_21merge_sort_block_sortIS3_N6thrust23THRUST_200600_302600_NS6detail15normal_iteratorINS9_10device_ptrIhEEEESE_PS5_SF_11less_div_10IhEEE10hipError_tT0_T1_T2_T3_mRjT4_P12ihipStream_tbNS1_7vsmem_tEEUlT_E_NS1_11comp_targetILNS1_3genE0ELNS1_11target_archE4294967295ELNS1_3gpuE0ELNS1_3repE0EEENS1_30default_config_static_selectorELNS0_4arch9wavefront6targetE0EEEvSK_ ; -- Begin function _ZN7rocprim17ROCPRIM_400000_NS6detail17trampoline_kernelINS0_14default_configENS1_37merge_sort_block_sort_config_selectorIhNS0_10empty_typeEEEZNS1_21merge_sort_block_sortIS3_N6thrust23THRUST_200600_302600_NS6detail15normal_iteratorINS9_10device_ptrIhEEEESE_PS5_SF_11less_div_10IhEEE10hipError_tT0_T1_T2_T3_mRjT4_P12ihipStream_tbNS1_7vsmem_tEEUlT_E_NS1_11comp_targetILNS1_3genE0ELNS1_11target_archE4294967295ELNS1_3gpuE0ELNS1_3repE0EEENS1_30default_config_static_selectorELNS0_4arch9wavefront6targetE0EEEvSK_
	.globl	_ZN7rocprim17ROCPRIM_400000_NS6detail17trampoline_kernelINS0_14default_configENS1_37merge_sort_block_sort_config_selectorIhNS0_10empty_typeEEEZNS1_21merge_sort_block_sortIS3_N6thrust23THRUST_200600_302600_NS6detail15normal_iteratorINS9_10device_ptrIhEEEESE_PS5_SF_11less_div_10IhEEE10hipError_tT0_T1_T2_T3_mRjT4_P12ihipStream_tbNS1_7vsmem_tEEUlT_E_NS1_11comp_targetILNS1_3genE0ELNS1_11target_archE4294967295ELNS1_3gpuE0ELNS1_3repE0EEENS1_30default_config_static_selectorELNS0_4arch9wavefront6targetE0EEEvSK_
	.p2align	8
	.type	_ZN7rocprim17ROCPRIM_400000_NS6detail17trampoline_kernelINS0_14default_configENS1_37merge_sort_block_sort_config_selectorIhNS0_10empty_typeEEEZNS1_21merge_sort_block_sortIS3_N6thrust23THRUST_200600_302600_NS6detail15normal_iteratorINS9_10device_ptrIhEEEESE_PS5_SF_11less_div_10IhEEE10hipError_tT0_T1_T2_T3_mRjT4_P12ihipStream_tbNS1_7vsmem_tEEUlT_E_NS1_11comp_targetILNS1_3genE0ELNS1_11target_archE4294967295ELNS1_3gpuE0ELNS1_3repE0EEENS1_30default_config_static_selectorELNS0_4arch9wavefront6targetE0EEEvSK_,@function
_ZN7rocprim17ROCPRIM_400000_NS6detail17trampoline_kernelINS0_14default_configENS1_37merge_sort_block_sort_config_selectorIhNS0_10empty_typeEEEZNS1_21merge_sort_block_sortIS3_N6thrust23THRUST_200600_302600_NS6detail15normal_iteratorINS9_10device_ptrIhEEEESE_PS5_SF_11less_div_10IhEEE10hipError_tT0_T1_T2_T3_mRjT4_P12ihipStream_tbNS1_7vsmem_tEEUlT_E_NS1_11comp_targetILNS1_3genE0ELNS1_11target_archE4294967295ELNS1_3gpuE0ELNS1_3repE0EEENS1_30default_config_static_selectorELNS0_4arch9wavefront6targetE0EEEvSK_: ; @_ZN7rocprim17ROCPRIM_400000_NS6detail17trampoline_kernelINS0_14default_configENS1_37merge_sort_block_sort_config_selectorIhNS0_10empty_typeEEEZNS1_21merge_sort_block_sortIS3_N6thrust23THRUST_200600_302600_NS6detail15normal_iteratorINS9_10device_ptrIhEEEESE_PS5_SF_11less_div_10IhEEE10hipError_tT0_T1_T2_T3_mRjT4_P12ihipStream_tbNS1_7vsmem_tEEUlT_E_NS1_11comp_targetILNS1_3genE0ELNS1_11target_archE4294967295ELNS1_3gpuE0ELNS1_3repE0EEENS1_30default_config_static_selectorELNS0_4arch9wavefront6targetE0EEEvSK_
; %bb.0:
	.section	.rodata,"a",@progbits
	.p2align	6, 0x0
	.amdhsa_kernel _ZN7rocprim17ROCPRIM_400000_NS6detail17trampoline_kernelINS0_14default_configENS1_37merge_sort_block_sort_config_selectorIhNS0_10empty_typeEEEZNS1_21merge_sort_block_sortIS3_N6thrust23THRUST_200600_302600_NS6detail15normal_iteratorINS9_10device_ptrIhEEEESE_PS5_SF_11less_div_10IhEEE10hipError_tT0_T1_T2_T3_mRjT4_P12ihipStream_tbNS1_7vsmem_tEEUlT_E_NS1_11comp_targetILNS1_3genE0ELNS1_11target_archE4294967295ELNS1_3gpuE0ELNS1_3repE0EEENS1_30default_config_static_selectorELNS0_4arch9wavefront6targetE0EEEvSK_
		.amdhsa_group_segment_fixed_size 0
		.amdhsa_private_segment_fixed_size 0
		.amdhsa_kernarg_size 64
		.amdhsa_user_sgpr_count 6
		.amdhsa_user_sgpr_private_segment_buffer 1
		.amdhsa_user_sgpr_dispatch_ptr 0
		.amdhsa_user_sgpr_queue_ptr 0
		.amdhsa_user_sgpr_kernarg_segment_ptr 1
		.amdhsa_user_sgpr_dispatch_id 0
		.amdhsa_user_sgpr_flat_scratch_init 0
		.amdhsa_user_sgpr_private_segment_size 0
		.amdhsa_wavefront_size32 1
		.amdhsa_uses_dynamic_stack 0
		.amdhsa_system_sgpr_private_segment_wavefront_offset 0
		.amdhsa_system_sgpr_workgroup_id_x 1
		.amdhsa_system_sgpr_workgroup_id_y 0
		.amdhsa_system_sgpr_workgroup_id_z 0
		.amdhsa_system_sgpr_workgroup_info 0
		.amdhsa_system_vgpr_workitem_id 0
		.amdhsa_next_free_vgpr 1
		.amdhsa_next_free_sgpr 1
		.amdhsa_reserve_vcc 0
		.amdhsa_reserve_flat_scratch 0
		.amdhsa_float_round_mode_32 0
		.amdhsa_float_round_mode_16_64 0
		.amdhsa_float_denorm_mode_32 3
		.amdhsa_float_denorm_mode_16_64 3
		.amdhsa_dx10_clamp 1
		.amdhsa_ieee_mode 1
		.amdhsa_fp16_overflow 0
		.amdhsa_workgroup_processor_mode 1
		.amdhsa_memory_ordered 1
		.amdhsa_forward_progress 1
		.amdhsa_shared_vgpr_count 0
		.amdhsa_exception_fp_ieee_invalid_op 0
		.amdhsa_exception_fp_denorm_src 0
		.amdhsa_exception_fp_ieee_div_zero 0
		.amdhsa_exception_fp_ieee_overflow 0
		.amdhsa_exception_fp_ieee_underflow 0
		.amdhsa_exception_fp_ieee_inexact 0
		.amdhsa_exception_int_div_zero 0
	.end_amdhsa_kernel
	.section	.text._ZN7rocprim17ROCPRIM_400000_NS6detail17trampoline_kernelINS0_14default_configENS1_37merge_sort_block_sort_config_selectorIhNS0_10empty_typeEEEZNS1_21merge_sort_block_sortIS3_N6thrust23THRUST_200600_302600_NS6detail15normal_iteratorINS9_10device_ptrIhEEEESE_PS5_SF_11less_div_10IhEEE10hipError_tT0_T1_T2_T3_mRjT4_P12ihipStream_tbNS1_7vsmem_tEEUlT_E_NS1_11comp_targetILNS1_3genE0ELNS1_11target_archE4294967295ELNS1_3gpuE0ELNS1_3repE0EEENS1_30default_config_static_selectorELNS0_4arch9wavefront6targetE0EEEvSK_,"axG",@progbits,_ZN7rocprim17ROCPRIM_400000_NS6detail17trampoline_kernelINS0_14default_configENS1_37merge_sort_block_sort_config_selectorIhNS0_10empty_typeEEEZNS1_21merge_sort_block_sortIS3_N6thrust23THRUST_200600_302600_NS6detail15normal_iteratorINS9_10device_ptrIhEEEESE_PS5_SF_11less_div_10IhEEE10hipError_tT0_T1_T2_T3_mRjT4_P12ihipStream_tbNS1_7vsmem_tEEUlT_E_NS1_11comp_targetILNS1_3genE0ELNS1_11target_archE4294967295ELNS1_3gpuE0ELNS1_3repE0EEENS1_30default_config_static_selectorELNS0_4arch9wavefront6targetE0EEEvSK_,comdat
.Lfunc_end683:
	.size	_ZN7rocprim17ROCPRIM_400000_NS6detail17trampoline_kernelINS0_14default_configENS1_37merge_sort_block_sort_config_selectorIhNS0_10empty_typeEEEZNS1_21merge_sort_block_sortIS3_N6thrust23THRUST_200600_302600_NS6detail15normal_iteratorINS9_10device_ptrIhEEEESE_PS5_SF_11less_div_10IhEEE10hipError_tT0_T1_T2_T3_mRjT4_P12ihipStream_tbNS1_7vsmem_tEEUlT_E_NS1_11comp_targetILNS1_3genE0ELNS1_11target_archE4294967295ELNS1_3gpuE0ELNS1_3repE0EEENS1_30default_config_static_selectorELNS0_4arch9wavefront6targetE0EEEvSK_, .Lfunc_end683-_ZN7rocprim17ROCPRIM_400000_NS6detail17trampoline_kernelINS0_14default_configENS1_37merge_sort_block_sort_config_selectorIhNS0_10empty_typeEEEZNS1_21merge_sort_block_sortIS3_N6thrust23THRUST_200600_302600_NS6detail15normal_iteratorINS9_10device_ptrIhEEEESE_PS5_SF_11less_div_10IhEEE10hipError_tT0_T1_T2_T3_mRjT4_P12ihipStream_tbNS1_7vsmem_tEEUlT_E_NS1_11comp_targetILNS1_3genE0ELNS1_11target_archE4294967295ELNS1_3gpuE0ELNS1_3repE0EEENS1_30default_config_static_selectorELNS0_4arch9wavefront6targetE0EEEvSK_
                                        ; -- End function
	.set _ZN7rocprim17ROCPRIM_400000_NS6detail17trampoline_kernelINS0_14default_configENS1_37merge_sort_block_sort_config_selectorIhNS0_10empty_typeEEEZNS1_21merge_sort_block_sortIS3_N6thrust23THRUST_200600_302600_NS6detail15normal_iteratorINS9_10device_ptrIhEEEESE_PS5_SF_11less_div_10IhEEE10hipError_tT0_T1_T2_T3_mRjT4_P12ihipStream_tbNS1_7vsmem_tEEUlT_E_NS1_11comp_targetILNS1_3genE0ELNS1_11target_archE4294967295ELNS1_3gpuE0ELNS1_3repE0EEENS1_30default_config_static_selectorELNS0_4arch9wavefront6targetE0EEEvSK_.num_vgpr, 0
	.set _ZN7rocprim17ROCPRIM_400000_NS6detail17trampoline_kernelINS0_14default_configENS1_37merge_sort_block_sort_config_selectorIhNS0_10empty_typeEEEZNS1_21merge_sort_block_sortIS3_N6thrust23THRUST_200600_302600_NS6detail15normal_iteratorINS9_10device_ptrIhEEEESE_PS5_SF_11less_div_10IhEEE10hipError_tT0_T1_T2_T3_mRjT4_P12ihipStream_tbNS1_7vsmem_tEEUlT_E_NS1_11comp_targetILNS1_3genE0ELNS1_11target_archE4294967295ELNS1_3gpuE0ELNS1_3repE0EEENS1_30default_config_static_selectorELNS0_4arch9wavefront6targetE0EEEvSK_.num_agpr, 0
	.set _ZN7rocprim17ROCPRIM_400000_NS6detail17trampoline_kernelINS0_14default_configENS1_37merge_sort_block_sort_config_selectorIhNS0_10empty_typeEEEZNS1_21merge_sort_block_sortIS3_N6thrust23THRUST_200600_302600_NS6detail15normal_iteratorINS9_10device_ptrIhEEEESE_PS5_SF_11less_div_10IhEEE10hipError_tT0_T1_T2_T3_mRjT4_P12ihipStream_tbNS1_7vsmem_tEEUlT_E_NS1_11comp_targetILNS1_3genE0ELNS1_11target_archE4294967295ELNS1_3gpuE0ELNS1_3repE0EEENS1_30default_config_static_selectorELNS0_4arch9wavefront6targetE0EEEvSK_.numbered_sgpr, 0
	.set _ZN7rocprim17ROCPRIM_400000_NS6detail17trampoline_kernelINS0_14default_configENS1_37merge_sort_block_sort_config_selectorIhNS0_10empty_typeEEEZNS1_21merge_sort_block_sortIS3_N6thrust23THRUST_200600_302600_NS6detail15normal_iteratorINS9_10device_ptrIhEEEESE_PS5_SF_11less_div_10IhEEE10hipError_tT0_T1_T2_T3_mRjT4_P12ihipStream_tbNS1_7vsmem_tEEUlT_E_NS1_11comp_targetILNS1_3genE0ELNS1_11target_archE4294967295ELNS1_3gpuE0ELNS1_3repE0EEENS1_30default_config_static_selectorELNS0_4arch9wavefront6targetE0EEEvSK_.num_named_barrier, 0
	.set _ZN7rocprim17ROCPRIM_400000_NS6detail17trampoline_kernelINS0_14default_configENS1_37merge_sort_block_sort_config_selectorIhNS0_10empty_typeEEEZNS1_21merge_sort_block_sortIS3_N6thrust23THRUST_200600_302600_NS6detail15normal_iteratorINS9_10device_ptrIhEEEESE_PS5_SF_11less_div_10IhEEE10hipError_tT0_T1_T2_T3_mRjT4_P12ihipStream_tbNS1_7vsmem_tEEUlT_E_NS1_11comp_targetILNS1_3genE0ELNS1_11target_archE4294967295ELNS1_3gpuE0ELNS1_3repE0EEENS1_30default_config_static_selectorELNS0_4arch9wavefront6targetE0EEEvSK_.private_seg_size, 0
	.set _ZN7rocprim17ROCPRIM_400000_NS6detail17trampoline_kernelINS0_14default_configENS1_37merge_sort_block_sort_config_selectorIhNS0_10empty_typeEEEZNS1_21merge_sort_block_sortIS3_N6thrust23THRUST_200600_302600_NS6detail15normal_iteratorINS9_10device_ptrIhEEEESE_PS5_SF_11less_div_10IhEEE10hipError_tT0_T1_T2_T3_mRjT4_P12ihipStream_tbNS1_7vsmem_tEEUlT_E_NS1_11comp_targetILNS1_3genE0ELNS1_11target_archE4294967295ELNS1_3gpuE0ELNS1_3repE0EEENS1_30default_config_static_selectorELNS0_4arch9wavefront6targetE0EEEvSK_.uses_vcc, 0
	.set _ZN7rocprim17ROCPRIM_400000_NS6detail17trampoline_kernelINS0_14default_configENS1_37merge_sort_block_sort_config_selectorIhNS0_10empty_typeEEEZNS1_21merge_sort_block_sortIS3_N6thrust23THRUST_200600_302600_NS6detail15normal_iteratorINS9_10device_ptrIhEEEESE_PS5_SF_11less_div_10IhEEE10hipError_tT0_T1_T2_T3_mRjT4_P12ihipStream_tbNS1_7vsmem_tEEUlT_E_NS1_11comp_targetILNS1_3genE0ELNS1_11target_archE4294967295ELNS1_3gpuE0ELNS1_3repE0EEENS1_30default_config_static_selectorELNS0_4arch9wavefront6targetE0EEEvSK_.uses_flat_scratch, 0
	.set _ZN7rocprim17ROCPRIM_400000_NS6detail17trampoline_kernelINS0_14default_configENS1_37merge_sort_block_sort_config_selectorIhNS0_10empty_typeEEEZNS1_21merge_sort_block_sortIS3_N6thrust23THRUST_200600_302600_NS6detail15normal_iteratorINS9_10device_ptrIhEEEESE_PS5_SF_11less_div_10IhEEE10hipError_tT0_T1_T2_T3_mRjT4_P12ihipStream_tbNS1_7vsmem_tEEUlT_E_NS1_11comp_targetILNS1_3genE0ELNS1_11target_archE4294967295ELNS1_3gpuE0ELNS1_3repE0EEENS1_30default_config_static_selectorELNS0_4arch9wavefront6targetE0EEEvSK_.has_dyn_sized_stack, 0
	.set _ZN7rocprim17ROCPRIM_400000_NS6detail17trampoline_kernelINS0_14default_configENS1_37merge_sort_block_sort_config_selectorIhNS0_10empty_typeEEEZNS1_21merge_sort_block_sortIS3_N6thrust23THRUST_200600_302600_NS6detail15normal_iteratorINS9_10device_ptrIhEEEESE_PS5_SF_11less_div_10IhEEE10hipError_tT0_T1_T2_T3_mRjT4_P12ihipStream_tbNS1_7vsmem_tEEUlT_E_NS1_11comp_targetILNS1_3genE0ELNS1_11target_archE4294967295ELNS1_3gpuE0ELNS1_3repE0EEENS1_30default_config_static_selectorELNS0_4arch9wavefront6targetE0EEEvSK_.has_recursion, 0
	.set _ZN7rocprim17ROCPRIM_400000_NS6detail17trampoline_kernelINS0_14default_configENS1_37merge_sort_block_sort_config_selectorIhNS0_10empty_typeEEEZNS1_21merge_sort_block_sortIS3_N6thrust23THRUST_200600_302600_NS6detail15normal_iteratorINS9_10device_ptrIhEEEESE_PS5_SF_11less_div_10IhEEE10hipError_tT0_T1_T2_T3_mRjT4_P12ihipStream_tbNS1_7vsmem_tEEUlT_E_NS1_11comp_targetILNS1_3genE0ELNS1_11target_archE4294967295ELNS1_3gpuE0ELNS1_3repE0EEENS1_30default_config_static_selectorELNS0_4arch9wavefront6targetE0EEEvSK_.has_indirect_call, 0
	.section	.AMDGPU.csdata,"",@progbits
; Kernel info:
; codeLenInByte = 0
; TotalNumSgprs: 0
; NumVgprs: 0
; ScratchSize: 0
; MemoryBound: 0
; FloatMode: 240
; IeeeMode: 1
; LDSByteSize: 0 bytes/workgroup (compile time only)
; SGPRBlocks: 0
; VGPRBlocks: 0
; NumSGPRsForWavesPerEU: 1
; NumVGPRsForWavesPerEU: 1
; Occupancy: 16
; WaveLimiterHint : 0
; COMPUTE_PGM_RSRC2:SCRATCH_EN: 0
; COMPUTE_PGM_RSRC2:USER_SGPR: 6
; COMPUTE_PGM_RSRC2:TRAP_HANDLER: 0
; COMPUTE_PGM_RSRC2:TGID_X_EN: 1
; COMPUTE_PGM_RSRC2:TGID_Y_EN: 0
; COMPUTE_PGM_RSRC2:TGID_Z_EN: 0
; COMPUTE_PGM_RSRC2:TIDIG_COMP_CNT: 0
	.section	.text._ZN7rocprim17ROCPRIM_400000_NS6detail17trampoline_kernelINS0_14default_configENS1_37merge_sort_block_sort_config_selectorIhNS0_10empty_typeEEEZNS1_21merge_sort_block_sortIS3_N6thrust23THRUST_200600_302600_NS6detail15normal_iteratorINS9_10device_ptrIhEEEESE_PS5_SF_11less_div_10IhEEE10hipError_tT0_T1_T2_T3_mRjT4_P12ihipStream_tbNS1_7vsmem_tEEUlT_E_NS1_11comp_targetILNS1_3genE5ELNS1_11target_archE942ELNS1_3gpuE9ELNS1_3repE0EEENS1_30default_config_static_selectorELNS0_4arch9wavefront6targetE0EEEvSK_,"axG",@progbits,_ZN7rocprim17ROCPRIM_400000_NS6detail17trampoline_kernelINS0_14default_configENS1_37merge_sort_block_sort_config_selectorIhNS0_10empty_typeEEEZNS1_21merge_sort_block_sortIS3_N6thrust23THRUST_200600_302600_NS6detail15normal_iteratorINS9_10device_ptrIhEEEESE_PS5_SF_11less_div_10IhEEE10hipError_tT0_T1_T2_T3_mRjT4_P12ihipStream_tbNS1_7vsmem_tEEUlT_E_NS1_11comp_targetILNS1_3genE5ELNS1_11target_archE942ELNS1_3gpuE9ELNS1_3repE0EEENS1_30default_config_static_selectorELNS0_4arch9wavefront6targetE0EEEvSK_,comdat
	.protected	_ZN7rocprim17ROCPRIM_400000_NS6detail17trampoline_kernelINS0_14default_configENS1_37merge_sort_block_sort_config_selectorIhNS0_10empty_typeEEEZNS1_21merge_sort_block_sortIS3_N6thrust23THRUST_200600_302600_NS6detail15normal_iteratorINS9_10device_ptrIhEEEESE_PS5_SF_11less_div_10IhEEE10hipError_tT0_T1_T2_T3_mRjT4_P12ihipStream_tbNS1_7vsmem_tEEUlT_E_NS1_11comp_targetILNS1_3genE5ELNS1_11target_archE942ELNS1_3gpuE9ELNS1_3repE0EEENS1_30default_config_static_selectorELNS0_4arch9wavefront6targetE0EEEvSK_ ; -- Begin function _ZN7rocprim17ROCPRIM_400000_NS6detail17trampoline_kernelINS0_14default_configENS1_37merge_sort_block_sort_config_selectorIhNS0_10empty_typeEEEZNS1_21merge_sort_block_sortIS3_N6thrust23THRUST_200600_302600_NS6detail15normal_iteratorINS9_10device_ptrIhEEEESE_PS5_SF_11less_div_10IhEEE10hipError_tT0_T1_T2_T3_mRjT4_P12ihipStream_tbNS1_7vsmem_tEEUlT_E_NS1_11comp_targetILNS1_3genE5ELNS1_11target_archE942ELNS1_3gpuE9ELNS1_3repE0EEENS1_30default_config_static_selectorELNS0_4arch9wavefront6targetE0EEEvSK_
	.globl	_ZN7rocprim17ROCPRIM_400000_NS6detail17trampoline_kernelINS0_14default_configENS1_37merge_sort_block_sort_config_selectorIhNS0_10empty_typeEEEZNS1_21merge_sort_block_sortIS3_N6thrust23THRUST_200600_302600_NS6detail15normal_iteratorINS9_10device_ptrIhEEEESE_PS5_SF_11less_div_10IhEEE10hipError_tT0_T1_T2_T3_mRjT4_P12ihipStream_tbNS1_7vsmem_tEEUlT_E_NS1_11comp_targetILNS1_3genE5ELNS1_11target_archE942ELNS1_3gpuE9ELNS1_3repE0EEENS1_30default_config_static_selectorELNS0_4arch9wavefront6targetE0EEEvSK_
	.p2align	8
	.type	_ZN7rocprim17ROCPRIM_400000_NS6detail17trampoline_kernelINS0_14default_configENS1_37merge_sort_block_sort_config_selectorIhNS0_10empty_typeEEEZNS1_21merge_sort_block_sortIS3_N6thrust23THRUST_200600_302600_NS6detail15normal_iteratorINS9_10device_ptrIhEEEESE_PS5_SF_11less_div_10IhEEE10hipError_tT0_T1_T2_T3_mRjT4_P12ihipStream_tbNS1_7vsmem_tEEUlT_E_NS1_11comp_targetILNS1_3genE5ELNS1_11target_archE942ELNS1_3gpuE9ELNS1_3repE0EEENS1_30default_config_static_selectorELNS0_4arch9wavefront6targetE0EEEvSK_,@function
_ZN7rocprim17ROCPRIM_400000_NS6detail17trampoline_kernelINS0_14default_configENS1_37merge_sort_block_sort_config_selectorIhNS0_10empty_typeEEEZNS1_21merge_sort_block_sortIS3_N6thrust23THRUST_200600_302600_NS6detail15normal_iteratorINS9_10device_ptrIhEEEESE_PS5_SF_11less_div_10IhEEE10hipError_tT0_T1_T2_T3_mRjT4_P12ihipStream_tbNS1_7vsmem_tEEUlT_E_NS1_11comp_targetILNS1_3genE5ELNS1_11target_archE942ELNS1_3gpuE9ELNS1_3repE0EEENS1_30default_config_static_selectorELNS0_4arch9wavefront6targetE0EEEvSK_: ; @_ZN7rocprim17ROCPRIM_400000_NS6detail17trampoline_kernelINS0_14default_configENS1_37merge_sort_block_sort_config_selectorIhNS0_10empty_typeEEEZNS1_21merge_sort_block_sortIS3_N6thrust23THRUST_200600_302600_NS6detail15normal_iteratorINS9_10device_ptrIhEEEESE_PS5_SF_11less_div_10IhEEE10hipError_tT0_T1_T2_T3_mRjT4_P12ihipStream_tbNS1_7vsmem_tEEUlT_E_NS1_11comp_targetILNS1_3genE5ELNS1_11target_archE942ELNS1_3gpuE9ELNS1_3repE0EEENS1_30default_config_static_selectorELNS0_4arch9wavefront6targetE0EEEvSK_
; %bb.0:
	.section	.rodata,"a",@progbits
	.p2align	6, 0x0
	.amdhsa_kernel _ZN7rocprim17ROCPRIM_400000_NS6detail17trampoline_kernelINS0_14default_configENS1_37merge_sort_block_sort_config_selectorIhNS0_10empty_typeEEEZNS1_21merge_sort_block_sortIS3_N6thrust23THRUST_200600_302600_NS6detail15normal_iteratorINS9_10device_ptrIhEEEESE_PS5_SF_11less_div_10IhEEE10hipError_tT0_T1_T2_T3_mRjT4_P12ihipStream_tbNS1_7vsmem_tEEUlT_E_NS1_11comp_targetILNS1_3genE5ELNS1_11target_archE942ELNS1_3gpuE9ELNS1_3repE0EEENS1_30default_config_static_selectorELNS0_4arch9wavefront6targetE0EEEvSK_
		.amdhsa_group_segment_fixed_size 0
		.amdhsa_private_segment_fixed_size 0
		.amdhsa_kernarg_size 64
		.amdhsa_user_sgpr_count 6
		.amdhsa_user_sgpr_private_segment_buffer 1
		.amdhsa_user_sgpr_dispatch_ptr 0
		.amdhsa_user_sgpr_queue_ptr 0
		.amdhsa_user_sgpr_kernarg_segment_ptr 1
		.amdhsa_user_sgpr_dispatch_id 0
		.amdhsa_user_sgpr_flat_scratch_init 0
		.amdhsa_user_sgpr_private_segment_size 0
		.amdhsa_wavefront_size32 1
		.amdhsa_uses_dynamic_stack 0
		.amdhsa_system_sgpr_private_segment_wavefront_offset 0
		.amdhsa_system_sgpr_workgroup_id_x 1
		.amdhsa_system_sgpr_workgroup_id_y 0
		.amdhsa_system_sgpr_workgroup_id_z 0
		.amdhsa_system_sgpr_workgroup_info 0
		.amdhsa_system_vgpr_workitem_id 0
		.amdhsa_next_free_vgpr 1
		.amdhsa_next_free_sgpr 1
		.amdhsa_reserve_vcc 0
		.amdhsa_reserve_flat_scratch 0
		.amdhsa_float_round_mode_32 0
		.amdhsa_float_round_mode_16_64 0
		.amdhsa_float_denorm_mode_32 3
		.amdhsa_float_denorm_mode_16_64 3
		.amdhsa_dx10_clamp 1
		.amdhsa_ieee_mode 1
		.amdhsa_fp16_overflow 0
		.amdhsa_workgroup_processor_mode 1
		.amdhsa_memory_ordered 1
		.amdhsa_forward_progress 1
		.amdhsa_shared_vgpr_count 0
		.amdhsa_exception_fp_ieee_invalid_op 0
		.amdhsa_exception_fp_denorm_src 0
		.amdhsa_exception_fp_ieee_div_zero 0
		.amdhsa_exception_fp_ieee_overflow 0
		.amdhsa_exception_fp_ieee_underflow 0
		.amdhsa_exception_fp_ieee_inexact 0
		.amdhsa_exception_int_div_zero 0
	.end_amdhsa_kernel
	.section	.text._ZN7rocprim17ROCPRIM_400000_NS6detail17trampoline_kernelINS0_14default_configENS1_37merge_sort_block_sort_config_selectorIhNS0_10empty_typeEEEZNS1_21merge_sort_block_sortIS3_N6thrust23THRUST_200600_302600_NS6detail15normal_iteratorINS9_10device_ptrIhEEEESE_PS5_SF_11less_div_10IhEEE10hipError_tT0_T1_T2_T3_mRjT4_P12ihipStream_tbNS1_7vsmem_tEEUlT_E_NS1_11comp_targetILNS1_3genE5ELNS1_11target_archE942ELNS1_3gpuE9ELNS1_3repE0EEENS1_30default_config_static_selectorELNS0_4arch9wavefront6targetE0EEEvSK_,"axG",@progbits,_ZN7rocprim17ROCPRIM_400000_NS6detail17trampoline_kernelINS0_14default_configENS1_37merge_sort_block_sort_config_selectorIhNS0_10empty_typeEEEZNS1_21merge_sort_block_sortIS3_N6thrust23THRUST_200600_302600_NS6detail15normal_iteratorINS9_10device_ptrIhEEEESE_PS5_SF_11less_div_10IhEEE10hipError_tT0_T1_T2_T3_mRjT4_P12ihipStream_tbNS1_7vsmem_tEEUlT_E_NS1_11comp_targetILNS1_3genE5ELNS1_11target_archE942ELNS1_3gpuE9ELNS1_3repE0EEENS1_30default_config_static_selectorELNS0_4arch9wavefront6targetE0EEEvSK_,comdat
.Lfunc_end684:
	.size	_ZN7rocprim17ROCPRIM_400000_NS6detail17trampoline_kernelINS0_14default_configENS1_37merge_sort_block_sort_config_selectorIhNS0_10empty_typeEEEZNS1_21merge_sort_block_sortIS3_N6thrust23THRUST_200600_302600_NS6detail15normal_iteratorINS9_10device_ptrIhEEEESE_PS5_SF_11less_div_10IhEEE10hipError_tT0_T1_T2_T3_mRjT4_P12ihipStream_tbNS1_7vsmem_tEEUlT_E_NS1_11comp_targetILNS1_3genE5ELNS1_11target_archE942ELNS1_3gpuE9ELNS1_3repE0EEENS1_30default_config_static_selectorELNS0_4arch9wavefront6targetE0EEEvSK_, .Lfunc_end684-_ZN7rocprim17ROCPRIM_400000_NS6detail17trampoline_kernelINS0_14default_configENS1_37merge_sort_block_sort_config_selectorIhNS0_10empty_typeEEEZNS1_21merge_sort_block_sortIS3_N6thrust23THRUST_200600_302600_NS6detail15normal_iteratorINS9_10device_ptrIhEEEESE_PS5_SF_11less_div_10IhEEE10hipError_tT0_T1_T2_T3_mRjT4_P12ihipStream_tbNS1_7vsmem_tEEUlT_E_NS1_11comp_targetILNS1_3genE5ELNS1_11target_archE942ELNS1_3gpuE9ELNS1_3repE0EEENS1_30default_config_static_selectorELNS0_4arch9wavefront6targetE0EEEvSK_
                                        ; -- End function
	.set _ZN7rocprim17ROCPRIM_400000_NS6detail17trampoline_kernelINS0_14default_configENS1_37merge_sort_block_sort_config_selectorIhNS0_10empty_typeEEEZNS1_21merge_sort_block_sortIS3_N6thrust23THRUST_200600_302600_NS6detail15normal_iteratorINS9_10device_ptrIhEEEESE_PS5_SF_11less_div_10IhEEE10hipError_tT0_T1_T2_T3_mRjT4_P12ihipStream_tbNS1_7vsmem_tEEUlT_E_NS1_11comp_targetILNS1_3genE5ELNS1_11target_archE942ELNS1_3gpuE9ELNS1_3repE0EEENS1_30default_config_static_selectorELNS0_4arch9wavefront6targetE0EEEvSK_.num_vgpr, 0
	.set _ZN7rocprim17ROCPRIM_400000_NS6detail17trampoline_kernelINS0_14default_configENS1_37merge_sort_block_sort_config_selectorIhNS0_10empty_typeEEEZNS1_21merge_sort_block_sortIS3_N6thrust23THRUST_200600_302600_NS6detail15normal_iteratorINS9_10device_ptrIhEEEESE_PS5_SF_11less_div_10IhEEE10hipError_tT0_T1_T2_T3_mRjT4_P12ihipStream_tbNS1_7vsmem_tEEUlT_E_NS1_11comp_targetILNS1_3genE5ELNS1_11target_archE942ELNS1_3gpuE9ELNS1_3repE0EEENS1_30default_config_static_selectorELNS0_4arch9wavefront6targetE0EEEvSK_.num_agpr, 0
	.set _ZN7rocprim17ROCPRIM_400000_NS6detail17trampoline_kernelINS0_14default_configENS1_37merge_sort_block_sort_config_selectorIhNS0_10empty_typeEEEZNS1_21merge_sort_block_sortIS3_N6thrust23THRUST_200600_302600_NS6detail15normal_iteratorINS9_10device_ptrIhEEEESE_PS5_SF_11less_div_10IhEEE10hipError_tT0_T1_T2_T3_mRjT4_P12ihipStream_tbNS1_7vsmem_tEEUlT_E_NS1_11comp_targetILNS1_3genE5ELNS1_11target_archE942ELNS1_3gpuE9ELNS1_3repE0EEENS1_30default_config_static_selectorELNS0_4arch9wavefront6targetE0EEEvSK_.numbered_sgpr, 0
	.set _ZN7rocprim17ROCPRIM_400000_NS6detail17trampoline_kernelINS0_14default_configENS1_37merge_sort_block_sort_config_selectorIhNS0_10empty_typeEEEZNS1_21merge_sort_block_sortIS3_N6thrust23THRUST_200600_302600_NS6detail15normal_iteratorINS9_10device_ptrIhEEEESE_PS5_SF_11less_div_10IhEEE10hipError_tT0_T1_T2_T3_mRjT4_P12ihipStream_tbNS1_7vsmem_tEEUlT_E_NS1_11comp_targetILNS1_3genE5ELNS1_11target_archE942ELNS1_3gpuE9ELNS1_3repE0EEENS1_30default_config_static_selectorELNS0_4arch9wavefront6targetE0EEEvSK_.num_named_barrier, 0
	.set _ZN7rocprim17ROCPRIM_400000_NS6detail17trampoline_kernelINS0_14default_configENS1_37merge_sort_block_sort_config_selectorIhNS0_10empty_typeEEEZNS1_21merge_sort_block_sortIS3_N6thrust23THRUST_200600_302600_NS6detail15normal_iteratorINS9_10device_ptrIhEEEESE_PS5_SF_11less_div_10IhEEE10hipError_tT0_T1_T2_T3_mRjT4_P12ihipStream_tbNS1_7vsmem_tEEUlT_E_NS1_11comp_targetILNS1_3genE5ELNS1_11target_archE942ELNS1_3gpuE9ELNS1_3repE0EEENS1_30default_config_static_selectorELNS0_4arch9wavefront6targetE0EEEvSK_.private_seg_size, 0
	.set _ZN7rocprim17ROCPRIM_400000_NS6detail17trampoline_kernelINS0_14default_configENS1_37merge_sort_block_sort_config_selectorIhNS0_10empty_typeEEEZNS1_21merge_sort_block_sortIS3_N6thrust23THRUST_200600_302600_NS6detail15normal_iteratorINS9_10device_ptrIhEEEESE_PS5_SF_11less_div_10IhEEE10hipError_tT0_T1_T2_T3_mRjT4_P12ihipStream_tbNS1_7vsmem_tEEUlT_E_NS1_11comp_targetILNS1_3genE5ELNS1_11target_archE942ELNS1_3gpuE9ELNS1_3repE0EEENS1_30default_config_static_selectorELNS0_4arch9wavefront6targetE0EEEvSK_.uses_vcc, 0
	.set _ZN7rocprim17ROCPRIM_400000_NS6detail17trampoline_kernelINS0_14default_configENS1_37merge_sort_block_sort_config_selectorIhNS0_10empty_typeEEEZNS1_21merge_sort_block_sortIS3_N6thrust23THRUST_200600_302600_NS6detail15normal_iteratorINS9_10device_ptrIhEEEESE_PS5_SF_11less_div_10IhEEE10hipError_tT0_T1_T2_T3_mRjT4_P12ihipStream_tbNS1_7vsmem_tEEUlT_E_NS1_11comp_targetILNS1_3genE5ELNS1_11target_archE942ELNS1_3gpuE9ELNS1_3repE0EEENS1_30default_config_static_selectorELNS0_4arch9wavefront6targetE0EEEvSK_.uses_flat_scratch, 0
	.set _ZN7rocprim17ROCPRIM_400000_NS6detail17trampoline_kernelINS0_14default_configENS1_37merge_sort_block_sort_config_selectorIhNS0_10empty_typeEEEZNS1_21merge_sort_block_sortIS3_N6thrust23THRUST_200600_302600_NS6detail15normal_iteratorINS9_10device_ptrIhEEEESE_PS5_SF_11less_div_10IhEEE10hipError_tT0_T1_T2_T3_mRjT4_P12ihipStream_tbNS1_7vsmem_tEEUlT_E_NS1_11comp_targetILNS1_3genE5ELNS1_11target_archE942ELNS1_3gpuE9ELNS1_3repE0EEENS1_30default_config_static_selectorELNS0_4arch9wavefront6targetE0EEEvSK_.has_dyn_sized_stack, 0
	.set _ZN7rocprim17ROCPRIM_400000_NS6detail17trampoline_kernelINS0_14default_configENS1_37merge_sort_block_sort_config_selectorIhNS0_10empty_typeEEEZNS1_21merge_sort_block_sortIS3_N6thrust23THRUST_200600_302600_NS6detail15normal_iteratorINS9_10device_ptrIhEEEESE_PS5_SF_11less_div_10IhEEE10hipError_tT0_T1_T2_T3_mRjT4_P12ihipStream_tbNS1_7vsmem_tEEUlT_E_NS1_11comp_targetILNS1_3genE5ELNS1_11target_archE942ELNS1_3gpuE9ELNS1_3repE0EEENS1_30default_config_static_selectorELNS0_4arch9wavefront6targetE0EEEvSK_.has_recursion, 0
	.set _ZN7rocprim17ROCPRIM_400000_NS6detail17trampoline_kernelINS0_14default_configENS1_37merge_sort_block_sort_config_selectorIhNS0_10empty_typeEEEZNS1_21merge_sort_block_sortIS3_N6thrust23THRUST_200600_302600_NS6detail15normal_iteratorINS9_10device_ptrIhEEEESE_PS5_SF_11less_div_10IhEEE10hipError_tT0_T1_T2_T3_mRjT4_P12ihipStream_tbNS1_7vsmem_tEEUlT_E_NS1_11comp_targetILNS1_3genE5ELNS1_11target_archE942ELNS1_3gpuE9ELNS1_3repE0EEENS1_30default_config_static_selectorELNS0_4arch9wavefront6targetE0EEEvSK_.has_indirect_call, 0
	.section	.AMDGPU.csdata,"",@progbits
; Kernel info:
; codeLenInByte = 0
; TotalNumSgprs: 0
; NumVgprs: 0
; ScratchSize: 0
; MemoryBound: 0
; FloatMode: 240
; IeeeMode: 1
; LDSByteSize: 0 bytes/workgroup (compile time only)
; SGPRBlocks: 0
; VGPRBlocks: 0
; NumSGPRsForWavesPerEU: 1
; NumVGPRsForWavesPerEU: 1
; Occupancy: 16
; WaveLimiterHint : 0
; COMPUTE_PGM_RSRC2:SCRATCH_EN: 0
; COMPUTE_PGM_RSRC2:USER_SGPR: 6
; COMPUTE_PGM_RSRC2:TRAP_HANDLER: 0
; COMPUTE_PGM_RSRC2:TGID_X_EN: 1
; COMPUTE_PGM_RSRC2:TGID_Y_EN: 0
; COMPUTE_PGM_RSRC2:TGID_Z_EN: 0
; COMPUTE_PGM_RSRC2:TIDIG_COMP_CNT: 0
	.section	.text._ZN7rocprim17ROCPRIM_400000_NS6detail17trampoline_kernelINS0_14default_configENS1_37merge_sort_block_sort_config_selectorIhNS0_10empty_typeEEEZNS1_21merge_sort_block_sortIS3_N6thrust23THRUST_200600_302600_NS6detail15normal_iteratorINS9_10device_ptrIhEEEESE_PS5_SF_11less_div_10IhEEE10hipError_tT0_T1_T2_T3_mRjT4_P12ihipStream_tbNS1_7vsmem_tEEUlT_E_NS1_11comp_targetILNS1_3genE4ELNS1_11target_archE910ELNS1_3gpuE8ELNS1_3repE0EEENS1_30default_config_static_selectorELNS0_4arch9wavefront6targetE0EEEvSK_,"axG",@progbits,_ZN7rocprim17ROCPRIM_400000_NS6detail17trampoline_kernelINS0_14default_configENS1_37merge_sort_block_sort_config_selectorIhNS0_10empty_typeEEEZNS1_21merge_sort_block_sortIS3_N6thrust23THRUST_200600_302600_NS6detail15normal_iteratorINS9_10device_ptrIhEEEESE_PS5_SF_11less_div_10IhEEE10hipError_tT0_T1_T2_T3_mRjT4_P12ihipStream_tbNS1_7vsmem_tEEUlT_E_NS1_11comp_targetILNS1_3genE4ELNS1_11target_archE910ELNS1_3gpuE8ELNS1_3repE0EEENS1_30default_config_static_selectorELNS0_4arch9wavefront6targetE0EEEvSK_,comdat
	.protected	_ZN7rocprim17ROCPRIM_400000_NS6detail17trampoline_kernelINS0_14default_configENS1_37merge_sort_block_sort_config_selectorIhNS0_10empty_typeEEEZNS1_21merge_sort_block_sortIS3_N6thrust23THRUST_200600_302600_NS6detail15normal_iteratorINS9_10device_ptrIhEEEESE_PS5_SF_11less_div_10IhEEE10hipError_tT0_T1_T2_T3_mRjT4_P12ihipStream_tbNS1_7vsmem_tEEUlT_E_NS1_11comp_targetILNS1_3genE4ELNS1_11target_archE910ELNS1_3gpuE8ELNS1_3repE0EEENS1_30default_config_static_selectorELNS0_4arch9wavefront6targetE0EEEvSK_ ; -- Begin function _ZN7rocprim17ROCPRIM_400000_NS6detail17trampoline_kernelINS0_14default_configENS1_37merge_sort_block_sort_config_selectorIhNS0_10empty_typeEEEZNS1_21merge_sort_block_sortIS3_N6thrust23THRUST_200600_302600_NS6detail15normal_iteratorINS9_10device_ptrIhEEEESE_PS5_SF_11less_div_10IhEEE10hipError_tT0_T1_T2_T3_mRjT4_P12ihipStream_tbNS1_7vsmem_tEEUlT_E_NS1_11comp_targetILNS1_3genE4ELNS1_11target_archE910ELNS1_3gpuE8ELNS1_3repE0EEENS1_30default_config_static_selectorELNS0_4arch9wavefront6targetE0EEEvSK_
	.globl	_ZN7rocprim17ROCPRIM_400000_NS6detail17trampoline_kernelINS0_14default_configENS1_37merge_sort_block_sort_config_selectorIhNS0_10empty_typeEEEZNS1_21merge_sort_block_sortIS3_N6thrust23THRUST_200600_302600_NS6detail15normal_iteratorINS9_10device_ptrIhEEEESE_PS5_SF_11less_div_10IhEEE10hipError_tT0_T1_T2_T3_mRjT4_P12ihipStream_tbNS1_7vsmem_tEEUlT_E_NS1_11comp_targetILNS1_3genE4ELNS1_11target_archE910ELNS1_3gpuE8ELNS1_3repE0EEENS1_30default_config_static_selectorELNS0_4arch9wavefront6targetE0EEEvSK_
	.p2align	8
	.type	_ZN7rocprim17ROCPRIM_400000_NS6detail17trampoline_kernelINS0_14default_configENS1_37merge_sort_block_sort_config_selectorIhNS0_10empty_typeEEEZNS1_21merge_sort_block_sortIS3_N6thrust23THRUST_200600_302600_NS6detail15normal_iteratorINS9_10device_ptrIhEEEESE_PS5_SF_11less_div_10IhEEE10hipError_tT0_T1_T2_T3_mRjT4_P12ihipStream_tbNS1_7vsmem_tEEUlT_E_NS1_11comp_targetILNS1_3genE4ELNS1_11target_archE910ELNS1_3gpuE8ELNS1_3repE0EEENS1_30default_config_static_selectorELNS0_4arch9wavefront6targetE0EEEvSK_,@function
_ZN7rocprim17ROCPRIM_400000_NS6detail17trampoline_kernelINS0_14default_configENS1_37merge_sort_block_sort_config_selectorIhNS0_10empty_typeEEEZNS1_21merge_sort_block_sortIS3_N6thrust23THRUST_200600_302600_NS6detail15normal_iteratorINS9_10device_ptrIhEEEESE_PS5_SF_11less_div_10IhEEE10hipError_tT0_T1_T2_T3_mRjT4_P12ihipStream_tbNS1_7vsmem_tEEUlT_E_NS1_11comp_targetILNS1_3genE4ELNS1_11target_archE910ELNS1_3gpuE8ELNS1_3repE0EEENS1_30default_config_static_selectorELNS0_4arch9wavefront6targetE0EEEvSK_: ; @_ZN7rocprim17ROCPRIM_400000_NS6detail17trampoline_kernelINS0_14default_configENS1_37merge_sort_block_sort_config_selectorIhNS0_10empty_typeEEEZNS1_21merge_sort_block_sortIS3_N6thrust23THRUST_200600_302600_NS6detail15normal_iteratorINS9_10device_ptrIhEEEESE_PS5_SF_11less_div_10IhEEE10hipError_tT0_T1_T2_T3_mRjT4_P12ihipStream_tbNS1_7vsmem_tEEUlT_E_NS1_11comp_targetILNS1_3genE4ELNS1_11target_archE910ELNS1_3gpuE8ELNS1_3repE0EEENS1_30default_config_static_selectorELNS0_4arch9wavefront6targetE0EEEvSK_
; %bb.0:
	.section	.rodata,"a",@progbits
	.p2align	6, 0x0
	.amdhsa_kernel _ZN7rocprim17ROCPRIM_400000_NS6detail17trampoline_kernelINS0_14default_configENS1_37merge_sort_block_sort_config_selectorIhNS0_10empty_typeEEEZNS1_21merge_sort_block_sortIS3_N6thrust23THRUST_200600_302600_NS6detail15normal_iteratorINS9_10device_ptrIhEEEESE_PS5_SF_11less_div_10IhEEE10hipError_tT0_T1_T2_T3_mRjT4_P12ihipStream_tbNS1_7vsmem_tEEUlT_E_NS1_11comp_targetILNS1_3genE4ELNS1_11target_archE910ELNS1_3gpuE8ELNS1_3repE0EEENS1_30default_config_static_selectorELNS0_4arch9wavefront6targetE0EEEvSK_
		.amdhsa_group_segment_fixed_size 0
		.amdhsa_private_segment_fixed_size 0
		.amdhsa_kernarg_size 64
		.amdhsa_user_sgpr_count 6
		.amdhsa_user_sgpr_private_segment_buffer 1
		.amdhsa_user_sgpr_dispatch_ptr 0
		.amdhsa_user_sgpr_queue_ptr 0
		.amdhsa_user_sgpr_kernarg_segment_ptr 1
		.amdhsa_user_sgpr_dispatch_id 0
		.amdhsa_user_sgpr_flat_scratch_init 0
		.amdhsa_user_sgpr_private_segment_size 0
		.amdhsa_wavefront_size32 1
		.amdhsa_uses_dynamic_stack 0
		.amdhsa_system_sgpr_private_segment_wavefront_offset 0
		.amdhsa_system_sgpr_workgroup_id_x 1
		.amdhsa_system_sgpr_workgroup_id_y 0
		.amdhsa_system_sgpr_workgroup_id_z 0
		.amdhsa_system_sgpr_workgroup_info 0
		.amdhsa_system_vgpr_workitem_id 0
		.amdhsa_next_free_vgpr 1
		.amdhsa_next_free_sgpr 1
		.amdhsa_reserve_vcc 0
		.amdhsa_reserve_flat_scratch 0
		.amdhsa_float_round_mode_32 0
		.amdhsa_float_round_mode_16_64 0
		.amdhsa_float_denorm_mode_32 3
		.amdhsa_float_denorm_mode_16_64 3
		.amdhsa_dx10_clamp 1
		.amdhsa_ieee_mode 1
		.amdhsa_fp16_overflow 0
		.amdhsa_workgroup_processor_mode 1
		.amdhsa_memory_ordered 1
		.amdhsa_forward_progress 1
		.amdhsa_shared_vgpr_count 0
		.amdhsa_exception_fp_ieee_invalid_op 0
		.amdhsa_exception_fp_denorm_src 0
		.amdhsa_exception_fp_ieee_div_zero 0
		.amdhsa_exception_fp_ieee_overflow 0
		.amdhsa_exception_fp_ieee_underflow 0
		.amdhsa_exception_fp_ieee_inexact 0
		.amdhsa_exception_int_div_zero 0
	.end_amdhsa_kernel
	.section	.text._ZN7rocprim17ROCPRIM_400000_NS6detail17trampoline_kernelINS0_14default_configENS1_37merge_sort_block_sort_config_selectorIhNS0_10empty_typeEEEZNS1_21merge_sort_block_sortIS3_N6thrust23THRUST_200600_302600_NS6detail15normal_iteratorINS9_10device_ptrIhEEEESE_PS5_SF_11less_div_10IhEEE10hipError_tT0_T1_T2_T3_mRjT4_P12ihipStream_tbNS1_7vsmem_tEEUlT_E_NS1_11comp_targetILNS1_3genE4ELNS1_11target_archE910ELNS1_3gpuE8ELNS1_3repE0EEENS1_30default_config_static_selectorELNS0_4arch9wavefront6targetE0EEEvSK_,"axG",@progbits,_ZN7rocprim17ROCPRIM_400000_NS6detail17trampoline_kernelINS0_14default_configENS1_37merge_sort_block_sort_config_selectorIhNS0_10empty_typeEEEZNS1_21merge_sort_block_sortIS3_N6thrust23THRUST_200600_302600_NS6detail15normal_iteratorINS9_10device_ptrIhEEEESE_PS5_SF_11less_div_10IhEEE10hipError_tT0_T1_T2_T3_mRjT4_P12ihipStream_tbNS1_7vsmem_tEEUlT_E_NS1_11comp_targetILNS1_3genE4ELNS1_11target_archE910ELNS1_3gpuE8ELNS1_3repE0EEENS1_30default_config_static_selectorELNS0_4arch9wavefront6targetE0EEEvSK_,comdat
.Lfunc_end685:
	.size	_ZN7rocprim17ROCPRIM_400000_NS6detail17trampoline_kernelINS0_14default_configENS1_37merge_sort_block_sort_config_selectorIhNS0_10empty_typeEEEZNS1_21merge_sort_block_sortIS3_N6thrust23THRUST_200600_302600_NS6detail15normal_iteratorINS9_10device_ptrIhEEEESE_PS5_SF_11less_div_10IhEEE10hipError_tT0_T1_T2_T3_mRjT4_P12ihipStream_tbNS1_7vsmem_tEEUlT_E_NS1_11comp_targetILNS1_3genE4ELNS1_11target_archE910ELNS1_3gpuE8ELNS1_3repE0EEENS1_30default_config_static_selectorELNS0_4arch9wavefront6targetE0EEEvSK_, .Lfunc_end685-_ZN7rocprim17ROCPRIM_400000_NS6detail17trampoline_kernelINS0_14default_configENS1_37merge_sort_block_sort_config_selectorIhNS0_10empty_typeEEEZNS1_21merge_sort_block_sortIS3_N6thrust23THRUST_200600_302600_NS6detail15normal_iteratorINS9_10device_ptrIhEEEESE_PS5_SF_11less_div_10IhEEE10hipError_tT0_T1_T2_T3_mRjT4_P12ihipStream_tbNS1_7vsmem_tEEUlT_E_NS1_11comp_targetILNS1_3genE4ELNS1_11target_archE910ELNS1_3gpuE8ELNS1_3repE0EEENS1_30default_config_static_selectorELNS0_4arch9wavefront6targetE0EEEvSK_
                                        ; -- End function
	.set _ZN7rocprim17ROCPRIM_400000_NS6detail17trampoline_kernelINS0_14default_configENS1_37merge_sort_block_sort_config_selectorIhNS0_10empty_typeEEEZNS1_21merge_sort_block_sortIS3_N6thrust23THRUST_200600_302600_NS6detail15normal_iteratorINS9_10device_ptrIhEEEESE_PS5_SF_11less_div_10IhEEE10hipError_tT0_T1_T2_T3_mRjT4_P12ihipStream_tbNS1_7vsmem_tEEUlT_E_NS1_11comp_targetILNS1_3genE4ELNS1_11target_archE910ELNS1_3gpuE8ELNS1_3repE0EEENS1_30default_config_static_selectorELNS0_4arch9wavefront6targetE0EEEvSK_.num_vgpr, 0
	.set _ZN7rocprim17ROCPRIM_400000_NS6detail17trampoline_kernelINS0_14default_configENS1_37merge_sort_block_sort_config_selectorIhNS0_10empty_typeEEEZNS1_21merge_sort_block_sortIS3_N6thrust23THRUST_200600_302600_NS6detail15normal_iteratorINS9_10device_ptrIhEEEESE_PS5_SF_11less_div_10IhEEE10hipError_tT0_T1_T2_T3_mRjT4_P12ihipStream_tbNS1_7vsmem_tEEUlT_E_NS1_11comp_targetILNS1_3genE4ELNS1_11target_archE910ELNS1_3gpuE8ELNS1_3repE0EEENS1_30default_config_static_selectorELNS0_4arch9wavefront6targetE0EEEvSK_.num_agpr, 0
	.set _ZN7rocprim17ROCPRIM_400000_NS6detail17trampoline_kernelINS0_14default_configENS1_37merge_sort_block_sort_config_selectorIhNS0_10empty_typeEEEZNS1_21merge_sort_block_sortIS3_N6thrust23THRUST_200600_302600_NS6detail15normal_iteratorINS9_10device_ptrIhEEEESE_PS5_SF_11less_div_10IhEEE10hipError_tT0_T1_T2_T3_mRjT4_P12ihipStream_tbNS1_7vsmem_tEEUlT_E_NS1_11comp_targetILNS1_3genE4ELNS1_11target_archE910ELNS1_3gpuE8ELNS1_3repE0EEENS1_30default_config_static_selectorELNS0_4arch9wavefront6targetE0EEEvSK_.numbered_sgpr, 0
	.set _ZN7rocprim17ROCPRIM_400000_NS6detail17trampoline_kernelINS0_14default_configENS1_37merge_sort_block_sort_config_selectorIhNS0_10empty_typeEEEZNS1_21merge_sort_block_sortIS3_N6thrust23THRUST_200600_302600_NS6detail15normal_iteratorINS9_10device_ptrIhEEEESE_PS5_SF_11less_div_10IhEEE10hipError_tT0_T1_T2_T3_mRjT4_P12ihipStream_tbNS1_7vsmem_tEEUlT_E_NS1_11comp_targetILNS1_3genE4ELNS1_11target_archE910ELNS1_3gpuE8ELNS1_3repE0EEENS1_30default_config_static_selectorELNS0_4arch9wavefront6targetE0EEEvSK_.num_named_barrier, 0
	.set _ZN7rocprim17ROCPRIM_400000_NS6detail17trampoline_kernelINS0_14default_configENS1_37merge_sort_block_sort_config_selectorIhNS0_10empty_typeEEEZNS1_21merge_sort_block_sortIS3_N6thrust23THRUST_200600_302600_NS6detail15normal_iteratorINS9_10device_ptrIhEEEESE_PS5_SF_11less_div_10IhEEE10hipError_tT0_T1_T2_T3_mRjT4_P12ihipStream_tbNS1_7vsmem_tEEUlT_E_NS1_11comp_targetILNS1_3genE4ELNS1_11target_archE910ELNS1_3gpuE8ELNS1_3repE0EEENS1_30default_config_static_selectorELNS0_4arch9wavefront6targetE0EEEvSK_.private_seg_size, 0
	.set _ZN7rocprim17ROCPRIM_400000_NS6detail17trampoline_kernelINS0_14default_configENS1_37merge_sort_block_sort_config_selectorIhNS0_10empty_typeEEEZNS1_21merge_sort_block_sortIS3_N6thrust23THRUST_200600_302600_NS6detail15normal_iteratorINS9_10device_ptrIhEEEESE_PS5_SF_11less_div_10IhEEE10hipError_tT0_T1_T2_T3_mRjT4_P12ihipStream_tbNS1_7vsmem_tEEUlT_E_NS1_11comp_targetILNS1_3genE4ELNS1_11target_archE910ELNS1_3gpuE8ELNS1_3repE0EEENS1_30default_config_static_selectorELNS0_4arch9wavefront6targetE0EEEvSK_.uses_vcc, 0
	.set _ZN7rocprim17ROCPRIM_400000_NS6detail17trampoline_kernelINS0_14default_configENS1_37merge_sort_block_sort_config_selectorIhNS0_10empty_typeEEEZNS1_21merge_sort_block_sortIS3_N6thrust23THRUST_200600_302600_NS6detail15normal_iteratorINS9_10device_ptrIhEEEESE_PS5_SF_11less_div_10IhEEE10hipError_tT0_T1_T2_T3_mRjT4_P12ihipStream_tbNS1_7vsmem_tEEUlT_E_NS1_11comp_targetILNS1_3genE4ELNS1_11target_archE910ELNS1_3gpuE8ELNS1_3repE0EEENS1_30default_config_static_selectorELNS0_4arch9wavefront6targetE0EEEvSK_.uses_flat_scratch, 0
	.set _ZN7rocprim17ROCPRIM_400000_NS6detail17trampoline_kernelINS0_14default_configENS1_37merge_sort_block_sort_config_selectorIhNS0_10empty_typeEEEZNS1_21merge_sort_block_sortIS3_N6thrust23THRUST_200600_302600_NS6detail15normal_iteratorINS9_10device_ptrIhEEEESE_PS5_SF_11less_div_10IhEEE10hipError_tT0_T1_T2_T3_mRjT4_P12ihipStream_tbNS1_7vsmem_tEEUlT_E_NS1_11comp_targetILNS1_3genE4ELNS1_11target_archE910ELNS1_3gpuE8ELNS1_3repE0EEENS1_30default_config_static_selectorELNS0_4arch9wavefront6targetE0EEEvSK_.has_dyn_sized_stack, 0
	.set _ZN7rocprim17ROCPRIM_400000_NS6detail17trampoline_kernelINS0_14default_configENS1_37merge_sort_block_sort_config_selectorIhNS0_10empty_typeEEEZNS1_21merge_sort_block_sortIS3_N6thrust23THRUST_200600_302600_NS6detail15normal_iteratorINS9_10device_ptrIhEEEESE_PS5_SF_11less_div_10IhEEE10hipError_tT0_T1_T2_T3_mRjT4_P12ihipStream_tbNS1_7vsmem_tEEUlT_E_NS1_11comp_targetILNS1_3genE4ELNS1_11target_archE910ELNS1_3gpuE8ELNS1_3repE0EEENS1_30default_config_static_selectorELNS0_4arch9wavefront6targetE0EEEvSK_.has_recursion, 0
	.set _ZN7rocprim17ROCPRIM_400000_NS6detail17trampoline_kernelINS0_14default_configENS1_37merge_sort_block_sort_config_selectorIhNS0_10empty_typeEEEZNS1_21merge_sort_block_sortIS3_N6thrust23THRUST_200600_302600_NS6detail15normal_iteratorINS9_10device_ptrIhEEEESE_PS5_SF_11less_div_10IhEEE10hipError_tT0_T1_T2_T3_mRjT4_P12ihipStream_tbNS1_7vsmem_tEEUlT_E_NS1_11comp_targetILNS1_3genE4ELNS1_11target_archE910ELNS1_3gpuE8ELNS1_3repE0EEENS1_30default_config_static_selectorELNS0_4arch9wavefront6targetE0EEEvSK_.has_indirect_call, 0
	.section	.AMDGPU.csdata,"",@progbits
; Kernel info:
; codeLenInByte = 0
; TotalNumSgprs: 0
; NumVgprs: 0
; ScratchSize: 0
; MemoryBound: 0
; FloatMode: 240
; IeeeMode: 1
; LDSByteSize: 0 bytes/workgroup (compile time only)
; SGPRBlocks: 0
; VGPRBlocks: 0
; NumSGPRsForWavesPerEU: 1
; NumVGPRsForWavesPerEU: 1
; Occupancy: 16
; WaveLimiterHint : 0
; COMPUTE_PGM_RSRC2:SCRATCH_EN: 0
; COMPUTE_PGM_RSRC2:USER_SGPR: 6
; COMPUTE_PGM_RSRC2:TRAP_HANDLER: 0
; COMPUTE_PGM_RSRC2:TGID_X_EN: 1
; COMPUTE_PGM_RSRC2:TGID_Y_EN: 0
; COMPUTE_PGM_RSRC2:TGID_Z_EN: 0
; COMPUTE_PGM_RSRC2:TIDIG_COMP_CNT: 0
	.section	.text._ZN7rocprim17ROCPRIM_400000_NS6detail17trampoline_kernelINS0_14default_configENS1_37merge_sort_block_sort_config_selectorIhNS0_10empty_typeEEEZNS1_21merge_sort_block_sortIS3_N6thrust23THRUST_200600_302600_NS6detail15normal_iteratorINS9_10device_ptrIhEEEESE_PS5_SF_11less_div_10IhEEE10hipError_tT0_T1_T2_T3_mRjT4_P12ihipStream_tbNS1_7vsmem_tEEUlT_E_NS1_11comp_targetILNS1_3genE3ELNS1_11target_archE908ELNS1_3gpuE7ELNS1_3repE0EEENS1_30default_config_static_selectorELNS0_4arch9wavefront6targetE0EEEvSK_,"axG",@progbits,_ZN7rocprim17ROCPRIM_400000_NS6detail17trampoline_kernelINS0_14default_configENS1_37merge_sort_block_sort_config_selectorIhNS0_10empty_typeEEEZNS1_21merge_sort_block_sortIS3_N6thrust23THRUST_200600_302600_NS6detail15normal_iteratorINS9_10device_ptrIhEEEESE_PS5_SF_11less_div_10IhEEE10hipError_tT0_T1_T2_T3_mRjT4_P12ihipStream_tbNS1_7vsmem_tEEUlT_E_NS1_11comp_targetILNS1_3genE3ELNS1_11target_archE908ELNS1_3gpuE7ELNS1_3repE0EEENS1_30default_config_static_selectorELNS0_4arch9wavefront6targetE0EEEvSK_,comdat
	.protected	_ZN7rocprim17ROCPRIM_400000_NS6detail17trampoline_kernelINS0_14default_configENS1_37merge_sort_block_sort_config_selectorIhNS0_10empty_typeEEEZNS1_21merge_sort_block_sortIS3_N6thrust23THRUST_200600_302600_NS6detail15normal_iteratorINS9_10device_ptrIhEEEESE_PS5_SF_11less_div_10IhEEE10hipError_tT0_T1_T2_T3_mRjT4_P12ihipStream_tbNS1_7vsmem_tEEUlT_E_NS1_11comp_targetILNS1_3genE3ELNS1_11target_archE908ELNS1_3gpuE7ELNS1_3repE0EEENS1_30default_config_static_selectorELNS0_4arch9wavefront6targetE0EEEvSK_ ; -- Begin function _ZN7rocprim17ROCPRIM_400000_NS6detail17trampoline_kernelINS0_14default_configENS1_37merge_sort_block_sort_config_selectorIhNS0_10empty_typeEEEZNS1_21merge_sort_block_sortIS3_N6thrust23THRUST_200600_302600_NS6detail15normal_iteratorINS9_10device_ptrIhEEEESE_PS5_SF_11less_div_10IhEEE10hipError_tT0_T1_T2_T3_mRjT4_P12ihipStream_tbNS1_7vsmem_tEEUlT_E_NS1_11comp_targetILNS1_3genE3ELNS1_11target_archE908ELNS1_3gpuE7ELNS1_3repE0EEENS1_30default_config_static_selectorELNS0_4arch9wavefront6targetE0EEEvSK_
	.globl	_ZN7rocprim17ROCPRIM_400000_NS6detail17trampoline_kernelINS0_14default_configENS1_37merge_sort_block_sort_config_selectorIhNS0_10empty_typeEEEZNS1_21merge_sort_block_sortIS3_N6thrust23THRUST_200600_302600_NS6detail15normal_iteratorINS9_10device_ptrIhEEEESE_PS5_SF_11less_div_10IhEEE10hipError_tT0_T1_T2_T3_mRjT4_P12ihipStream_tbNS1_7vsmem_tEEUlT_E_NS1_11comp_targetILNS1_3genE3ELNS1_11target_archE908ELNS1_3gpuE7ELNS1_3repE0EEENS1_30default_config_static_selectorELNS0_4arch9wavefront6targetE0EEEvSK_
	.p2align	8
	.type	_ZN7rocprim17ROCPRIM_400000_NS6detail17trampoline_kernelINS0_14default_configENS1_37merge_sort_block_sort_config_selectorIhNS0_10empty_typeEEEZNS1_21merge_sort_block_sortIS3_N6thrust23THRUST_200600_302600_NS6detail15normal_iteratorINS9_10device_ptrIhEEEESE_PS5_SF_11less_div_10IhEEE10hipError_tT0_T1_T2_T3_mRjT4_P12ihipStream_tbNS1_7vsmem_tEEUlT_E_NS1_11comp_targetILNS1_3genE3ELNS1_11target_archE908ELNS1_3gpuE7ELNS1_3repE0EEENS1_30default_config_static_selectorELNS0_4arch9wavefront6targetE0EEEvSK_,@function
_ZN7rocprim17ROCPRIM_400000_NS6detail17trampoline_kernelINS0_14default_configENS1_37merge_sort_block_sort_config_selectorIhNS0_10empty_typeEEEZNS1_21merge_sort_block_sortIS3_N6thrust23THRUST_200600_302600_NS6detail15normal_iteratorINS9_10device_ptrIhEEEESE_PS5_SF_11less_div_10IhEEE10hipError_tT0_T1_T2_T3_mRjT4_P12ihipStream_tbNS1_7vsmem_tEEUlT_E_NS1_11comp_targetILNS1_3genE3ELNS1_11target_archE908ELNS1_3gpuE7ELNS1_3repE0EEENS1_30default_config_static_selectorELNS0_4arch9wavefront6targetE0EEEvSK_: ; @_ZN7rocprim17ROCPRIM_400000_NS6detail17trampoline_kernelINS0_14default_configENS1_37merge_sort_block_sort_config_selectorIhNS0_10empty_typeEEEZNS1_21merge_sort_block_sortIS3_N6thrust23THRUST_200600_302600_NS6detail15normal_iteratorINS9_10device_ptrIhEEEESE_PS5_SF_11less_div_10IhEEE10hipError_tT0_T1_T2_T3_mRjT4_P12ihipStream_tbNS1_7vsmem_tEEUlT_E_NS1_11comp_targetILNS1_3genE3ELNS1_11target_archE908ELNS1_3gpuE7ELNS1_3repE0EEENS1_30default_config_static_selectorELNS0_4arch9wavefront6targetE0EEEvSK_
; %bb.0:
	.section	.rodata,"a",@progbits
	.p2align	6, 0x0
	.amdhsa_kernel _ZN7rocprim17ROCPRIM_400000_NS6detail17trampoline_kernelINS0_14default_configENS1_37merge_sort_block_sort_config_selectorIhNS0_10empty_typeEEEZNS1_21merge_sort_block_sortIS3_N6thrust23THRUST_200600_302600_NS6detail15normal_iteratorINS9_10device_ptrIhEEEESE_PS5_SF_11less_div_10IhEEE10hipError_tT0_T1_T2_T3_mRjT4_P12ihipStream_tbNS1_7vsmem_tEEUlT_E_NS1_11comp_targetILNS1_3genE3ELNS1_11target_archE908ELNS1_3gpuE7ELNS1_3repE0EEENS1_30default_config_static_selectorELNS0_4arch9wavefront6targetE0EEEvSK_
		.amdhsa_group_segment_fixed_size 0
		.amdhsa_private_segment_fixed_size 0
		.amdhsa_kernarg_size 64
		.amdhsa_user_sgpr_count 6
		.amdhsa_user_sgpr_private_segment_buffer 1
		.amdhsa_user_sgpr_dispatch_ptr 0
		.amdhsa_user_sgpr_queue_ptr 0
		.amdhsa_user_sgpr_kernarg_segment_ptr 1
		.amdhsa_user_sgpr_dispatch_id 0
		.amdhsa_user_sgpr_flat_scratch_init 0
		.amdhsa_user_sgpr_private_segment_size 0
		.amdhsa_wavefront_size32 1
		.amdhsa_uses_dynamic_stack 0
		.amdhsa_system_sgpr_private_segment_wavefront_offset 0
		.amdhsa_system_sgpr_workgroup_id_x 1
		.amdhsa_system_sgpr_workgroup_id_y 0
		.amdhsa_system_sgpr_workgroup_id_z 0
		.amdhsa_system_sgpr_workgroup_info 0
		.amdhsa_system_vgpr_workitem_id 0
		.amdhsa_next_free_vgpr 1
		.amdhsa_next_free_sgpr 1
		.amdhsa_reserve_vcc 0
		.amdhsa_reserve_flat_scratch 0
		.amdhsa_float_round_mode_32 0
		.amdhsa_float_round_mode_16_64 0
		.amdhsa_float_denorm_mode_32 3
		.amdhsa_float_denorm_mode_16_64 3
		.amdhsa_dx10_clamp 1
		.amdhsa_ieee_mode 1
		.amdhsa_fp16_overflow 0
		.amdhsa_workgroup_processor_mode 1
		.amdhsa_memory_ordered 1
		.amdhsa_forward_progress 1
		.amdhsa_shared_vgpr_count 0
		.amdhsa_exception_fp_ieee_invalid_op 0
		.amdhsa_exception_fp_denorm_src 0
		.amdhsa_exception_fp_ieee_div_zero 0
		.amdhsa_exception_fp_ieee_overflow 0
		.amdhsa_exception_fp_ieee_underflow 0
		.amdhsa_exception_fp_ieee_inexact 0
		.amdhsa_exception_int_div_zero 0
	.end_amdhsa_kernel
	.section	.text._ZN7rocprim17ROCPRIM_400000_NS6detail17trampoline_kernelINS0_14default_configENS1_37merge_sort_block_sort_config_selectorIhNS0_10empty_typeEEEZNS1_21merge_sort_block_sortIS3_N6thrust23THRUST_200600_302600_NS6detail15normal_iteratorINS9_10device_ptrIhEEEESE_PS5_SF_11less_div_10IhEEE10hipError_tT0_T1_T2_T3_mRjT4_P12ihipStream_tbNS1_7vsmem_tEEUlT_E_NS1_11comp_targetILNS1_3genE3ELNS1_11target_archE908ELNS1_3gpuE7ELNS1_3repE0EEENS1_30default_config_static_selectorELNS0_4arch9wavefront6targetE0EEEvSK_,"axG",@progbits,_ZN7rocprim17ROCPRIM_400000_NS6detail17trampoline_kernelINS0_14default_configENS1_37merge_sort_block_sort_config_selectorIhNS0_10empty_typeEEEZNS1_21merge_sort_block_sortIS3_N6thrust23THRUST_200600_302600_NS6detail15normal_iteratorINS9_10device_ptrIhEEEESE_PS5_SF_11less_div_10IhEEE10hipError_tT0_T1_T2_T3_mRjT4_P12ihipStream_tbNS1_7vsmem_tEEUlT_E_NS1_11comp_targetILNS1_3genE3ELNS1_11target_archE908ELNS1_3gpuE7ELNS1_3repE0EEENS1_30default_config_static_selectorELNS0_4arch9wavefront6targetE0EEEvSK_,comdat
.Lfunc_end686:
	.size	_ZN7rocprim17ROCPRIM_400000_NS6detail17trampoline_kernelINS0_14default_configENS1_37merge_sort_block_sort_config_selectorIhNS0_10empty_typeEEEZNS1_21merge_sort_block_sortIS3_N6thrust23THRUST_200600_302600_NS6detail15normal_iteratorINS9_10device_ptrIhEEEESE_PS5_SF_11less_div_10IhEEE10hipError_tT0_T1_T2_T3_mRjT4_P12ihipStream_tbNS1_7vsmem_tEEUlT_E_NS1_11comp_targetILNS1_3genE3ELNS1_11target_archE908ELNS1_3gpuE7ELNS1_3repE0EEENS1_30default_config_static_selectorELNS0_4arch9wavefront6targetE0EEEvSK_, .Lfunc_end686-_ZN7rocprim17ROCPRIM_400000_NS6detail17trampoline_kernelINS0_14default_configENS1_37merge_sort_block_sort_config_selectorIhNS0_10empty_typeEEEZNS1_21merge_sort_block_sortIS3_N6thrust23THRUST_200600_302600_NS6detail15normal_iteratorINS9_10device_ptrIhEEEESE_PS5_SF_11less_div_10IhEEE10hipError_tT0_T1_T2_T3_mRjT4_P12ihipStream_tbNS1_7vsmem_tEEUlT_E_NS1_11comp_targetILNS1_3genE3ELNS1_11target_archE908ELNS1_3gpuE7ELNS1_3repE0EEENS1_30default_config_static_selectorELNS0_4arch9wavefront6targetE0EEEvSK_
                                        ; -- End function
	.set _ZN7rocprim17ROCPRIM_400000_NS6detail17trampoline_kernelINS0_14default_configENS1_37merge_sort_block_sort_config_selectorIhNS0_10empty_typeEEEZNS1_21merge_sort_block_sortIS3_N6thrust23THRUST_200600_302600_NS6detail15normal_iteratorINS9_10device_ptrIhEEEESE_PS5_SF_11less_div_10IhEEE10hipError_tT0_T1_T2_T3_mRjT4_P12ihipStream_tbNS1_7vsmem_tEEUlT_E_NS1_11comp_targetILNS1_3genE3ELNS1_11target_archE908ELNS1_3gpuE7ELNS1_3repE0EEENS1_30default_config_static_selectorELNS0_4arch9wavefront6targetE0EEEvSK_.num_vgpr, 0
	.set _ZN7rocprim17ROCPRIM_400000_NS6detail17trampoline_kernelINS0_14default_configENS1_37merge_sort_block_sort_config_selectorIhNS0_10empty_typeEEEZNS1_21merge_sort_block_sortIS3_N6thrust23THRUST_200600_302600_NS6detail15normal_iteratorINS9_10device_ptrIhEEEESE_PS5_SF_11less_div_10IhEEE10hipError_tT0_T1_T2_T3_mRjT4_P12ihipStream_tbNS1_7vsmem_tEEUlT_E_NS1_11comp_targetILNS1_3genE3ELNS1_11target_archE908ELNS1_3gpuE7ELNS1_3repE0EEENS1_30default_config_static_selectorELNS0_4arch9wavefront6targetE0EEEvSK_.num_agpr, 0
	.set _ZN7rocprim17ROCPRIM_400000_NS6detail17trampoline_kernelINS0_14default_configENS1_37merge_sort_block_sort_config_selectorIhNS0_10empty_typeEEEZNS1_21merge_sort_block_sortIS3_N6thrust23THRUST_200600_302600_NS6detail15normal_iteratorINS9_10device_ptrIhEEEESE_PS5_SF_11less_div_10IhEEE10hipError_tT0_T1_T2_T3_mRjT4_P12ihipStream_tbNS1_7vsmem_tEEUlT_E_NS1_11comp_targetILNS1_3genE3ELNS1_11target_archE908ELNS1_3gpuE7ELNS1_3repE0EEENS1_30default_config_static_selectorELNS0_4arch9wavefront6targetE0EEEvSK_.numbered_sgpr, 0
	.set _ZN7rocprim17ROCPRIM_400000_NS6detail17trampoline_kernelINS0_14default_configENS1_37merge_sort_block_sort_config_selectorIhNS0_10empty_typeEEEZNS1_21merge_sort_block_sortIS3_N6thrust23THRUST_200600_302600_NS6detail15normal_iteratorINS9_10device_ptrIhEEEESE_PS5_SF_11less_div_10IhEEE10hipError_tT0_T1_T2_T3_mRjT4_P12ihipStream_tbNS1_7vsmem_tEEUlT_E_NS1_11comp_targetILNS1_3genE3ELNS1_11target_archE908ELNS1_3gpuE7ELNS1_3repE0EEENS1_30default_config_static_selectorELNS0_4arch9wavefront6targetE0EEEvSK_.num_named_barrier, 0
	.set _ZN7rocprim17ROCPRIM_400000_NS6detail17trampoline_kernelINS0_14default_configENS1_37merge_sort_block_sort_config_selectorIhNS0_10empty_typeEEEZNS1_21merge_sort_block_sortIS3_N6thrust23THRUST_200600_302600_NS6detail15normal_iteratorINS9_10device_ptrIhEEEESE_PS5_SF_11less_div_10IhEEE10hipError_tT0_T1_T2_T3_mRjT4_P12ihipStream_tbNS1_7vsmem_tEEUlT_E_NS1_11comp_targetILNS1_3genE3ELNS1_11target_archE908ELNS1_3gpuE7ELNS1_3repE0EEENS1_30default_config_static_selectorELNS0_4arch9wavefront6targetE0EEEvSK_.private_seg_size, 0
	.set _ZN7rocprim17ROCPRIM_400000_NS6detail17trampoline_kernelINS0_14default_configENS1_37merge_sort_block_sort_config_selectorIhNS0_10empty_typeEEEZNS1_21merge_sort_block_sortIS3_N6thrust23THRUST_200600_302600_NS6detail15normal_iteratorINS9_10device_ptrIhEEEESE_PS5_SF_11less_div_10IhEEE10hipError_tT0_T1_T2_T3_mRjT4_P12ihipStream_tbNS1_7vsmem_tEEUlT_E_NS1_11comp_targetILNS1_3genE3ELNS1_11target_archE908ELNS1_3gpuE7ELNS1_3repE0EEENS1_30default_config_static_selectorELNS0_4arch9wavefront6targetE0EEEvSK_.uses_vcc, 0
	.set _ZN7rocprim17ROCPRIM_400000_NS6detail17trampoline_kernelINS0_14default_configENS1_37merge_sort_block_sort_config_selectorIhNS0_10empty_typeEEEZNS1_21merge_sort_block_sortIS3_N6thrust23THRUST_200600_302600_NS6detail15normal_iteratorINS9_10device_ptrIhEEEESE_PS5_SF_11less_div_10IhEEE10hipError_tT0_T1_T2_T3_mRjT4_P12ihipStream_tbNS1_7vsmem_tEEUlT_E_NS1_11comp_targetILNS1_3genE3ELNS1_11target_archE908ELNS1_3gpuE7ELNS1_3repE0EEENS1_30default_config_static_selectorELNS0_4arch9wavefront6targetE0EEEvSK_.uses_flat_scratch, 0
	.set _ZN7rocprim17ROCPRIM_400000_NS6detail17trampoline_kernelINS0_14default_configENS1_37merge_sort_block_sort_config_selectorIhNS0_10empty_typeEEEZNS1_21merge_sort_block_sortIS3_N6thrust23THRUST_200600_302600_NS6detail15normal_iteratorINS9_10device_ptrIhEEEESE_PS5_SF_11less_div_10IhEEE10hipError_tT0_T1_T2_T3_mRjT4_P12ihipStream_tbNS1_7vsmem_tEEUlT_E_NS1_11comp_targetILNS1_3genE3ELNS1_11target_archE908ELNS1_3gpuE7ELNS1_3repE0EEENS1_30default_config_static_selectorELNS0_4arch9wavefront6targetE0EEEvSK_.has_dyn_sized_stack, 0
	.set _ZN7rocprim17ROCPRIM_400000_NS6detail17trampoline_kernelINS0_14default_configENS1_37merge_sort_block_sort_config_selectorIhNS0_10empty_typeEEEZNS1_21merge_sort_block_sortIS3_N6thrust23THRUST_200600_302600_NS6detail15normal_iteratorINS9_10device_ptrIhEEEESE_PS5_SF_11less_div_10IhEEE10hipError_tT0_T1_T2_T3_mRjT4_P12ihipStream_tbNS1_7vsmem_tEEUlT_E_NS1_11comp_targetILNS1_3genE3ELNS1_11target_archE908ELNS1_3gpuE7ELNS1_3repE0EEENS1_30default_config_static_selectorELNS0_4arch9wavefront6targetE0EEEvSK_.has_recursion, 0
	.set _ZN7rocprim17ROCPRIM_400000_NS6detail17trampoline_kernelINS0_14default_configENS1_37merge_sort_block_sort_config_selectorIhNS0_10empty_typeEEEZNS1_21merge_sort_block_sortIS3_N6thrust23THRUST_200600_302600_NS6detail15normal_iteratorINS9_10device_ptrIhEEEESE_PS5_SF_11less_div_10IhEEE10hipError_tT0_T1_T2_T3_mRjT4_P12ihipStream_tbNS1_7vsmem_tEEUlT_E_NS1_11comp_targetILNS1_3genE3ELNS1_11target_archE908ELNS1_3gpuE7ELNS1_3repE0EEENS1_30default_config_static_selectorELNS0_4arch9wavefront6targetE0EEEvSK_.has_indirect_call, 0
	.section	.AMDGPU.csdata,"",@progbits
; Kernel info:
; codeLenInByte = 0
; TotalNumSgprs: 0
; NumVgprs: 0
; ScratchSize: 0
; MemoryBound: 0
; FloatMode: 240
; IeeeMode: 1
; LDSByteSize: 0 bytes/workgroup (compile time only)
; SGPRBlocks: 0
; VGPRBlocks: 0
; NumSGPRsForWavesPerEU: 1
; NumVGPRsForWavesPerEU: 1
; Occupancy: 16
; WaveLimiterHint : 0
; COMPUTE_PGM_RSRC2:SCRATCH_EN: 0
; COMPUTE_PGM_RSRC2:USER_SGPR: 6
; COMPUTE_PGM_RSRC2:TRAP_HANDLER: 0
; COMPUTE_PGM_RSRC2:TGID_X_EN: 1
; COMPUTE_PGM_RSRC2:TGID_Y_EN: 0
; COMPUTE_PGM_RSRC2:TGID_Z_EN: 0
; COMPUTE_PGM_RSRC2:TIDIG_COMP_CNT: 0
	.section	.text._ZN7rocprim17ROCPRIM_400000_NS6detail17trampoline_kernelINS0_14default_configENS1_37merge_sort_block_sort_config_selectorIhNS0_10empty_typeEEEZNS1_21merge_sort_block_sortIS3_N6thrust23THRUST_200600_302600_NS6detail15normal_iteratorINS9_10device_ptrIhEEEESE_PS5_SF_11less_div_10IhEEE10hipError_tT0_T1_T2_T3_mRjT4_P12ihipStream_tbNS1_7vsmem_tEEUlT_E_NS1_11comp_targetILNS1_3genE2ELNS1_11target_archE906ELNS1_3gpuE6ELNS1_3repE0EEENS1_30default_config_static_selectorELNS0_4arch9wavefront6targetE0EEEvSK_,"axG",@progbits,_ZN7rocprim17ROCPRIM_400000_NS6detail17trampoline_kernelINS0_14default_configENS1_37merge_sort_block_sort_config_selectorIhNS0_10empty_typeEEEZNS1_21merge_sort_block_sortIS3_N6thrust23THRUST_200600_302600_NS6detail15normal_iteratorINS9_10device_ptrIhEEEESE_PS5_SF_11less_div_10IhEEE10hipError_tT0_T1_T2_T3_mRjT4_P12ihipStream_tbNS1_7vsmem_tEEUlT_E_NS1_11comp_targetILNS1_3genE2ELNS1_11target_archE906ELNS1_3gpuE6ELNS1_3repE0EEENS1_30default_config_static_selectorELNS0_4arch9wavefront6targetE0EEEvSK_,comdat
	.protected	_ZN7rocprim17ROCPRIM_400000_NS6detail17trampoline_kernelINS0_14default_configENS1_37merge_sort_block_sort_config_selectorIhNS0_10empty_typeEEEZNS1_21merge_sort_block_sortIS3_N6thrust23THRUST_200600_302600_NS6detail15normal_iteratorINS9_10device_ptrIhEEEESE_PS5_SF_11less_div_10IhEEE10hipError_tT0_T1_T2_T3_mRjT4_P12ihipStream_tbNS1_7vsmem_tEEUlT_E_NS1_11comp_targetILNS1_3genE2ELNS1_11target_archE906ELNS1_3gpuE6ELNS1_3repE0EEENS1_30default_config_static_selectorELNS0_4arch9wavefront6targetE0EEEvSK_ ; -- Begin function _ZN7rocprim17ROCPRIM_400000_NS6detail17trampoline_kernelINS0_14default_configENS1_37merge_sort_block_sort_config_selectorIhNS0_10empty_typeEEEZNS1_21merge_sort_block_sortIS3_N6thrust23THRUST_200600_302600_NS6detail15normal_iteratorINS9_10device_ptrIhEEEESE_PS5_SF_11less_div_10IhEEE10hipError_tT0_T1_T2_T3_mRjT4_P12ihipStream_tbNS1_7vsmem_tEEUlT_E_NS1_11comp_targetILNS1_3genE2ELNS1_11target_archE906ELNS1_3gpuE6ELNS1_3repE0EEENS1_30default_config_static_selectorELNS0_4arch9wavefront6targetE0EEEvSK_
	.globl	_ZN7rocprim17ROCPRIM_400000_NS6detail17trampoline_kernelINS0_14default_configENS1_37merge_sort_block_sort_config_selectorIhNS0_10empty_typeEEEZNS1_21merge_sort_block_sortIS3_N6thrust23THRUST_200600_302600_NS6detail15normal_iteratorINS9_10device_ptrIhEEEESE_PS5_SF_11less_div_10IhEEE10hipError_tT0_T1_T2_T3_mRjT4_P12ihipStream_tbNS1_7vsmem_tEEUlT_E_NS1_11comp_targetILNS1_3genE2ELNS1_11target_archE906ELNS1_3gpuE6ELNS1_3repE0EEENS1_30default_config_static_selectorELNS0_4arch9wavefront6targetE0EEEvSK_
	.p2align	8
	.type	_ZN7rocprim17ROCPRIM_400000_NS6detail17trampoline_kernelINS0_14default_configENS1_37merge_sort_block_sort_config_selectorIhNS0_10empty_typeEEEZNS1_21merge_sort_block_sortIS3_N6thrust23THRUST_200600_302600_NS6detail15normal_iteratorINS9_10device_ptrIhEEEESE_PS5_SF_11less_div_10IhEEE10hipError_tT0_T1_T2_T3_mRjT4_P12ihipStream_tbNS1_7vsmem_tEEUlT_E_NS1_11comp_targetILNS1_3genE2ELNS1_11target_archE906ELNS1_3gpuE6ELNS1_3repE0EEENS1_30default_config_static_selectorELNS0_4arch9wavefront6targetE0EEEvSK_,@function
_ZN7rocprim17ROCPRIM_400000_NS6detail17trampoline_kernelINS0_14default_configENS1_37merge_sort_block_sort_config_selectorIhNS0_10empty_typeEEEZNS1_21merge_sort_block_sortIS3_N6thrust23THRUST_200600_302600_NS6detail15normal_iteratorINS9_10device_ptrIhEEEESE_PS5_SF_11less_div_10IhEEE10hipError_tT0_T1_T2_T3_mRjT4_P12ihipStream_tbNS1_7vsmem_tEEUlT_E_NS1_11comp_targetILNS1_3genE2ELNS1_11target_archE906ELNS1_3gpuE6ELNS1_3repE0EEENS1_30default_config_static_selectorELNS0_4arch9wavefront6targetE0EEEvSK_: ; @_ZN7rocprim17ROCPRIM_400000_NS6detail17trampoline_kernelINS0_14default_configENS1_37merge_sort_block_sort_config_selectorIhNS0_10empty_typeEEEZNS1_21merge_sort_block_sortIS3_N6thrust23THRUST_200600_302600_NS6detail15normal_iteratorINS9_10device_ptrIhEEEESE_PS5_SF_11less_div_10IhEEE10hipError_tT0_T1_T2_T3_mRjT4_P12ihipStream_tbNS1_7vsmem_tEEUlT_E_NS1_11comp_targetILNS1_3genE2ELNS1_11target_archE906ELNS1_3gpuE6ELNS1_3repE0EEENS1_30default_config_static_selectorELNS0_4arch9wavefront6targetE0EEEvSK_
; %bb.0:
	.section	.rodata,"a",@progbits
	.p2align	6, 0x0
	.amdhsa_kernel _ZN7rocprim17ROCPRIM_400000_NS6detail17trampoline_kernelINS0_14default_configENS1_37merge_sort_block_sort_config_selectorIhNS0_10empty_typeEEEZNS1_21merge_sort_block_sortIS3_N6thrust23THRUST_200600_302600_NS6detail15normal_iteratorINS9_10device_ptrIhEEEESE_PS5_SF_11less_div_10IhEEE10hipError_tT0_T1_T2_T3_mRjT4_P12ihipStream_tbNS1_7vsmem_tEEUlT_E_NS1_11comp_targetILNS1_3genE2ELNS1_11target_archE906ELNS1_3gpuE6ELNS1_3repE0EEENS1_30default_config_static_selectorELNS0_4arch9wavefront6targetE0EEEvSK_
		.amdhsa_group_segment_fixed_size 0
		.amdhsa_private_segment_fixed_size 0
		.amdhsa_kernarg_size 64
		.amdhsa_user_sgpr_count 6
		.amdhsa_user_sgpr_private_segment_buffer 1
		.amdhsa_user_sgpr_dispatch_ptr 0
		.amdhsa_user_sgpr_queue_ptr 0
		.amdhsa_user_sgpr_kernarg_segment_ptr 1
		.amdhsa_user_sgpr_dispatch_id 0
		.amdhsa_user_sgpr_flat_scratch_init 0
		.amdhsa_user_sgpr_private_segment_size 0
		.amdhsa_wavefront_size32 1
		.amdhsa_uses_dynamic_stack 0
		.amdhsa_system_sgpr_private_segment_wavefront_offset 0
		.amdhsa_system_sgpr_workgroup_id_x 1
		.amdhsa_system_sgpr_workgroup_id_y 0
		.amdhsa_system_sgpr_workgroup_id_z 0
		.amdhsa_system_sgpr_workgroup_info 0
		.amdhsa_system_vgpr_workitem_id 0
		.amdhsa_next_free_vgpr 1
		.amdhsa_next_free_sgpr 1
		.amdhsa_reserve_vcc 0
		.amdhsa_reserve_flat_scratch 0
		.amdhsa_float_round_mode_32 0
		.amdhsa_float_round_mode_16_64 0
		.amdhsa_float_denorm_mode_32 3
		.amdhsa_float_denorm_mode_16_64 3
		.amdhsa_dx10_clamp 1
		.amdhsa_ieee_mode 1
		.amdhsa_fp16_overflow 0
		.amdhsa_workgroup_processor_mode 1
		.amdhsa_memory_ordered 1
		.amdhsa_forward_progress 1
		.amdhsa_shared_vgpr_count 0
		.amdhsa_exception_fp_ieee_invalid_op 0
		.amdhsa_exception_fp_denorm_src 0
		.amdhsa_exception_fp_ieee_div_zero 0
		.amdhsa_exception_fp_ieee_overflow 0
		.amdhsa_exception_fp_ieee_underflow 0
		.amdhsa_exception_fp_ieee_inexact 0
		.amdhsa_exception_int_div_zero 0
	.end_amdhsa_kernel
	.section	.text._ZN7rocprim17ROCPRIM_400000_NS6detail17trampoline_kernelINS0_14default_configENS1_37merge_sort_block_sort_config_selectorIhNS0_10empty_typeEEEZNS1_21merge_sort_block_sortIS3_N6thrust23THRUST_200600_302600_NS6detail15normal_iteratorINS9_10device_ptrIhEEEESE_PS5_SF_11less_div_10IhEEE10hipError_tT0_T1_T2_T3_mRjT4_P12ihipStream_tbNS1_7vsmem_tEEUlT_E_NS1_11comp_targetILNS1_3genE2ELNS1_11target_archE906ELNS1_3gpuE6ELNS1_3repE0EEENS1_30default_config_static_selectorELNS0_4arch9wavefront6targetE0EEEvSK_,"axG",@progbits,_ZN7rocprim17ROCPRIM_400000_NS6detail17trampoline_kernelINS0_14default_configENS1_37merge_sort_block_sort_config_selectorIhNS0_10empty_typeEEEZNS1_21merge_sort_block_sortIS3_N6thrust23THRUST_200600_302600_NS6detail15normal_iteratorINS9_10device_ptrIhEEEESE_PS5_SF_11less_div_10IhEEE10hipError_tT0_T1_T2_T3_mRjT4_P12ihipStream_tbNS1_7vsmem_tEEUlT_E_NS1_11comp_targetILNS1_3genE2ELNS1_11target_archE906ELNS1_3gpuE6ELNS1_3repE0EEENS1_30default_config_static_selectorELNS0_4arch9wavefront6targetE0EEEvSK_,comdat
.Lfunc_end687:
	.size	_ZN7rocprim17ROCPRIM_400000_NS6detail17trampoline_kernelINS0_14default_configENS1_37merge_sort_block_sort_config_selectorIhNS0_10empty_typeEEEZNS1_21merge_sort_block_sortIS3_N6thrust23THRUST_200600_302600_NS6detail15normal_iteratorINS9_10device_ptrIhEEEESE_PS5_SF_11less_div_10IhEEE10hipError_tT0_T1_T2_T3_mRjT4_P12ihipStream_tbNS1_7vsmem_tEEUlT_E_NS1_11comp_targetILNS1_3genE2ELNS1_11target_archE906ELNS1_3gpuE6ELNS1_3repE0EEENS1_30default_config_static_selectorELNS0_4arch9wavefront6targetE0EEEvSK_, .Lfunc_end687-_ZN7rocprim17ROCPRIM_400000_NS6detail17trampoline_kernelINS0_14default_configENS1_37merge_sort_block_sort_config_selectorIhNS0_10empty_typeEEEZNS1_21merge_sort_block_sortIS3_N6thrust23THRUST_200600_302600_NS6detail15normal_iteratorINS9_10device_ptrIhEEEESE_PS5_SF_11less_div_10IhEEE10hipError_tT0_T1_T2_T3_mRjT4_P12ihipStream_tbNS1_7vsmem_tEEUlT_E_NS1_11comp_targetILNS1_3genE2ELNS1_11target_archE906ELNS1_3gpuE6ELNS1_3repE0EEENS1_30default_config_static_selectorELNS0_4arch9wavefront6targetE0EEEvSK_
                                        ; -- End function
	.set _ZN7rocprim17ROCPRIM_400000_NS6detail17trampoline_kernelINS0_14default_configENS1_37merge_sort_block_sort_config_selectorIhNS0_10empty_typeEEEZNS1_21merge_sort_block_sortIS3_N6thrust23THRUST_200600_302600_NS6detail15normal_iteratorINS9_10device_ptrIhEEEESE_PS5_SF_11less_div_10IhEEE10hipError_tT0_T1_T2_T3_mRjT4_P12ihipStream_tbNS1_7vsmem_tEEUlT_E_NS1_11comp_targetILNS1_3genE2ELNS1_11target_archE906ELNS1_3gpuE6ELNS1_3repE0EEENS1_30default_config_static_selectorELNS0_4arch9wavefront6targetE0EEEvSK_.num_vgpr, 0
	.set _ZN7rocprim17ROCPRIM_400000_NS6detail17trampoline_kernelINS0_14default_configENS1_37merge_sort_block_sort_config_selectorIhNS0_10empty_typeEEEZNS1_21merge_sort_block_sortIS3_N6thrust23THRUST_200600_302600_NS6detail15normal_iteratorINS9_10device_ptrIhEEEESE_PS5_SF_11less_div_10IhEEE10hipError_tT0_T1_T2_T3_mRjT4_P12ihipStream_tbNS1_7vsmem_tEEUlT_E_NS1_11comp_targetILNS1_3genE2ELNS1_11target_archE906ELNS1_3gpuE6ELNS1_3repE0EEENS1_30default_config_static_selectorELNS0_4arch9wavefront6targetE0EEEvSK_.num_agpr, 0
	.set _ZN7rocprim17ROCPRIM_400000_NS6detail17trampoline_kernelINS0_14default_configENS1_37merge_sort_block_sort_config_selectorIhNS0_10empty_typeEEEZNS1_21merge_sort_block_sortIS3_N6thrust23THRUST_200600_302600_NS6detail15normal_iteratorINS9_10device_ptrIhEEEESE_PS5_SF_11less_div_10IhEEE10hipError_tT0_T1_T2_T3_mRjT4_P12ihipStream_tbNS1_7vsmem_tEEUlT_E_NS1_11comp_targetILNS1_3genE2ELNS1_11target_archE906ELNS1_3gpuE6ELNS1_3repE0EEENS1_30default_config_static_selectorELNS0_4arch9wavefront6targetE0EEEvSK_.numbered_sgpr, 0
	.set _ZN7rocprim17ROCPRIM_400000_NS6detail17trampoline_kernelINS0_14default_configENS1_37merge_sort_block_sort_config_selectorIhNS0_10empty_typeEEEZNS1_21merge_sort_block_sortIS3_N6thrust23THRUST_200600_302600_NS6detail15normal_iteratorINS9_10device_ptrIhEEEESE_PS5_SF_11less_div_10IhEEE10hipError_tT0_T1_T2_T3_mRjT4_P12ihipStream_tbNS1_7vsmem_tEEUlT_E_NS1_11comp_targetILNS1_3genE2ELNS1_11target_archE906ELNS1_3gpuE6ELNS1_3repE0EEENS1_30default_config_static_selectorELNS0_4arch9wavefront6targetE0EEEvSK_.num_named_barrier, 0
	.set _ZN7rocprim17ROCPRIM_400000_NS6detail17trampoline_kernelINS0_14default_configENS1_37merge_sort_block_sort_config_selectorIhNS0_10empty_typeEEEZNS1_21merge_sort_block_sortIS3_N6thrust23THRUST_200600_302600_NS6detail15normal_iteratorINS9_10device_ptrIhEEEESE_PS5_SF_11less_div_10IhEEE10hipError_tT0_T1_T2_T3_mRjT4_P12ihipStream_tbNS1_7vsmem_tEEUlT_E_NS1_11comp_targetILNS1_3genE2ELNS1_11target_archE906ELNS1_3gpuE6ELNS1_3repE0EEENS1_30default_config_static_selectorELNS0_4arch9wavefront6targetE0EEEvSK_.private_seg_size, 0
	.set _ZN7rocprim17ROCPRIM_400000_NS6detail17trampoline_kernelINS0_14default_configENS1_37merge_sort_block_sort_config_selectorIhNS0_10empty_typeEEEZNS1_21merge_sort_block_sortIS3_N6thrust23THRUST_200600_302600_NS6detail15normal_iteratorINS9_10device_ptrIhEEEESE_PS5_SF_11less_div_10IhEEE10hipError_tT0_T1_T2_T3_mRjT4_P12ihipStream_tbNS1_7vsmem_tEEUlT_E_NS1_11comp_targetILNS1_3genE2ELNS1_11target_archE906ELNS1_3gpuE6ELNS1_3repE0EEENS1_30default_config_static_selectorELNS0_4arch9wavefront6targetE0EEEvSK_.uses_vcc, 0
	.set _ZN7rocprim17ROCPRIM_400000_NS6detail17trampoline_kernelINS0_14default_configENS1_37merge_sort_block_sort_config_selectorIhNS0_10empty_typeEEEZNS1_21merge_sort_block_sortIS3_N6thrust23THRUST_200600_302600_NS6detail15normal_iteratorINS9_10device_ptrIhEEEESE_PS5_SF_11less_div_10IhEEE10hipError_tT0_T1_T2_T3_mRjT4_P12ihipStream_tbNS1_7vsmem_tEEUlT_E_NS1_11comp_targetILNS1_3genE2ELNS1_11target_archE906ELNS1_3gpuE6ELNS1_3repE0EEENS1_30default_config_static_selectorELNS0_4arch9wavefront6targetE0EEEvSK_.uses_flat_scratch, 0
	.set _ZN7rocprim17ROCPRIM_400000_NS6detail17trampoline_kernelINS0_14default_configENS1_37merge_sort_block_sort_config_selectorIhNS0_10empty_typeEEEZNS1_21merge_sort_block_sortIS3_N6thrust23THRUST_200600_302600_NS6detail15normal_iteratorINS9_10device_ptrIhEEEESE_PS5_SF_11less_div_10IhEEE10hipError_tT0_T1_T2_T3_mRjT4_P12ihipStream_tbNS1_7vsmem_tEEUlT_E_NS1_11comp_targetILNS1_3genE2ELNS1_11target_archE906ELNS1_3gpuE6ELNS1_3repE0EEENS1_30default_config_static_selectorELNS0_4arch9wavefront6targetE0EEEvSK_.has_dyn_sized_stack, 0
	.set _ZN7rocprim17ROCPRIM_400000_NS6detail17trampoline_kernelINS0_14default_configENS1_37merge_sort_block_sort_config_selectorIhNS0_10empty_typeEEEZNS1_21merge_sort_block_sortIS3_N6thrust23THRUST_200600_302600_NS6detail15normal_iteratorINS9_10device_ptrIhEEEESE_PS5_SF_11less_div_10IhEEE10hipError_tT0_T1_T2_T3_mRjT4_P12ihipStream_tbNS1_7vsmem_tEEUlT_E_NS1_11comp_targetILNS1_3genE2ELNS1_11target_archE906ELNS1_3gpuE6ELNS1_3repE0EEENS1_30default_config_static_selectorELNS0_4arch9wavefront6targetE0EEEvSK_.has_recursion, 0
	.set _ZN7rocprim17ROCPRIM_400000_NS6detail17trampoline_kernelINS0_14default_configENS1_37merge_sort_block_sort_config_selectorIhNS0_10empty_typeEEEZNS1_21merge_sort_block_sortIS3_N6thrust23THRUST_200600_302600_NS6detail15normal_iteratorINS9_10device_ptrIhEEEESE_PS5_SF_11less_div_10IhEEE10hipError_tT0_T1_T2_T3_mRjT4_P12ihipStream_tbNS1_7vsmem_tEEUlT_E_NS1_11comp_targetILNS1_3genE2ELNS1_11target_archE906ELNS1_3gpuE6ELNS1_3repE0EEENS1_30default_config_static_selectorELNS0_4arch9wavefront6targetE0EEEvSK_.has_indirect_call, 0
	.section	.AMDGPU.csdata,"",@progbits
; Kernel info:
; codeLenInByte = 0
; TotalNumSgprs: 0
; NumVgprs: 0
; ScratchSize: 0
; MemoryBound: 0
; FloatMode: 240
; IeeeMode: 1
; LDSByteSize: 0 bytes/workgroup (compile time only)
; SGPRBlocks: 0
; VGPRBlocks: 0
; NumSGPRsForWavesPerEU: 1
; NumVGPRsForWavesPerEU: 1
; Occupancy: 16
; WaveLimiterHint : 0
; COMPUTE_PGM_RSRC2:SCRATCH_EN: 0
; COMPUTE_PGM_RSRC2:USER_SGPR: 6
; COMPUTE_PGM_RSRC2:TRAP_HANDLER: 0
; COMPUTE_PGM_RSRC2:TGID_X_EN: 1
; COMPUTE_PGM_RSRC2:TGID_Y_EN: 0
; COMPUTE_PGM_RSRC2:TGID_Z_EN: 0
; COMPUTE_PGM_RSRC2:TIDIG_COMP_CNT: 0
	.section	.text._ZN7rocprim17ROCPRIM_400000_NS6detail17trampoline_kernelINS0_14default_configENS1_37merge_sort_block_sort_config_selectorIhNS0_10empty_typeEEEZNS1_21merge_sort_block_sortIS3_N6thrust23THRUST_200600_302600_NS6detail15normal_iteratorINS9_10device_ptrIhEEEESE_PS5_SF_11less_div_10IhEEE10hipError_tT0_T1_T2_T3_mRjT4_P12ihipStream_tbNS1_7vsmem_tEEUlT_E_NS1_11comp_targetILNS1_3genE10ELNS1_11target_archE1201ELNS1_3gpuE5ELNS1_3repE0EEENS1_30default_config_static_selectorELNS0_4arch9wavefront6targetE0EEEvSK_,"axG",@progbits,_ZN7rocprim17ROCPRIM_400000_NS6detail17trampoline_kernelINS0_14default_configENS1_37merge_sort_block_sort_config_selectorIhNS0_10empty_typeEEEZNS1_21merge_sort_block_sortIS3_N6thrust23THRUST_200600_302600_NS6detail15normal_iteratorINS9_10device_ptrIhEEEESE_PS5_SF_11less_div_10IhEEE10hipError_tT0_T1_T2_T3_mRjT4_P12ihipStream_tbNS1_7vsmem_tEEUlT_E_NS1_11comp_targetILNS1_3genE10ELNS1_11target_archE1201ELNS1_3gpuE5ELNS1_3repE0EEENS1_30default_config_static_selectorELNS0_4arch9wavefront6targetE0EEEvSK_,comdat
	.protected	_ZN7rocprim17ROCPRIM_400000_NS6detail17trampoline_kernelINS0_14default_configENS1_37merge_sort_block_sort_config_selectorIhNS0_10empty_typeEEEZNS1_21merge_sort_block_sortIS3_N6thrust23THRUST_200600_302600_NS6detail15normal_iteratorINS9_10device_ptrIhEEEESE_PS5_SF_11less_div_10IhEEE10hipError_tT0_T1_T2_T3_mRjT4_P12ihipStream_tbNS1_7vsmem_tEEUlT_E_NS1_11comp_targetILNS1_3genE10ELNS1_11target_archE1201ELNS1_3gpuE5ELNS1_3repE0EEENS1_30default_config_static_selectorELNS0_4arch9wavefront6targetE0EEEvSK_ ; -- Begin function _ZN7rocprim17ROCPRIM_400000_NS6detail17trampoline_kernelINS0_14default_configENS1_37merge_sort_block_sort_config_selectorIhNS0_10empty_typeEEEZNS1_21merge_sort_block_sortIS3_N6thrust23THRUST_200600_302600_NS6detail15normal_iteratorINS9_10device_ptrIhEEEESE_PS5_SF_11less_div_10IhEEE10hipError_tT0_T1_T2_T3_mRjT4_P12ihipStream_tbNS1_7vsmem_tEEUlT_E_NS1_11comp_targetILNS1_3genE10ELNS1_11target_archE1201ELNS1_3gpuE5ELNS1_3repE0EEENS1_30default_config_static_selectorELNS0_4arch9wavefront6targetE0EEEvSK_
	.globl	_ZN7rocprim17ROCPRIM_400000_NS6detail17trampoline_kernelINS0_14default_configENS1_37merge_sort_block_sort_config_selectorIhNS0_10empty_typeEEEZNS1_21merge_sort_block_sortIS3_N6thrust23THRUST_200600_302600_NS6detail15normal_iteratorINS9_10device_ptrIhEEEESE_PS5_SF_11less_div_10IhEEE10hipError_tT0_T1_T2_T3_mRjT4_P12ihipStream_tbNS1_7vsmem_tEEUlT_E_NS1_11comp_targetILNS1_3genE10ELNS1_11target_archE1201ELNS1_3gpuE5ELNS1_3repE0EEENS1_30default_config_static_selectorELNS0_4arch9wavefront6targetE0EEEvSK_
	.p2align	8
	.type	_ZN7rocprim17ROCPRIM_400000_NS6detail17trampoline_kernelINS0_14default_configENS1_37merge_sort_block_sort_config_selectorIhNS0_10empty_typeEEEZNS1_21merge_sort_block_sortIS3_N6thrust23THRUST_200600_302600_NS6detail15normal_iteratorINS9_10device_ptrIhEEEESE_PS5_SF_11less_div_10IhEEE10hipError_tT0_T1_T2_T3_mRjT4_P12ihipStream_tbNS1_7vsmem_tEEUlT_E_NS1_11comp_targetILNS1_3genE10ELNS1_11target_archE1201ELNS1_3gpuE5ELNS1_3repE0EEENS1_30default_config_static_selectorELNS0_4arch9wavefront6targetE0EEEvSK_,@function
_ZN7rocprim17ROCPRIM_400000_NS6detail17trampoline_kernelINS0_14default_configENS1_37merge_sort_block_sort_config_selectorIhNS0_10empty_typeEEEZNS1_21merge_sort_block_sortIS3_N6thrust23THRUST_200600_302600_NS6detail15normal_iteratorINS9_10device_ptrIhEEEESE_PS5_SF_11less_div_10IhEEE10hipError_tT0_T1_T2_T3_mRjT4_P12ihipStream_tbNS1_7vsmem_tEEUlT_E_NS1_11comp_targetILNS1_3genE10ELNS1_11target_archE1201ELNS1_3gpuE5ELNS1_3repE0EEENS1_30default_config_static_selectorELNS0_4arch9wavefront6targetE0EEEvSK_: ; @_ZN7rocprim17ROCPRIM_400000_NS6detail17trampoline_kernelINS0_14default_configENS1_37merge_sort_block_sort_config_selectorIhNS0_10empty_typeEEEZNS1_21merge_sort_block_sortIS3_N6thrust23THRUST_200600_302600_NS6detail15normal_iteratorINS9_10device_ptrIhEEEESE_PS5_SF_11less_div_10IhEEE10hipError_tT0_T1_T2_T3_mRjT4_P12ihipStream_tbNS1_7vsmem_tEEUlT_E_NS1_11comp_targetILNS1_3genE10ELNS1_11target_archE1201ELNS1_3gpuE5ELNS1_3repE0EEENS1_30default_config_static_selectorELNS0_4arch9wavefront6targetE0EEEvSK_
; %bb.0:
	.section	.rodata,"a",@progbits
	.p2align	6, 0x0
	.amdhsa_kernel _ZN7rocprim17ROCPRIM_400000_NS6detail17trampoline_kernelINS0_14default_configENS1_37merge_sort_block_sort_config_selectorIhNS0_10empty_typeEEEZNS1_21merge_sort_block_sortIS3_N6thrust23THRUST_200600_302600_NS6detail15normal_iteratorINS9_10device_ptrIhEEEESE_PS5_SF_11less_div_10IhEEE10hipError_tT0_T1_T2_T3_mRjT4_P12ihipStream_tbNS1_7vsmem_tEEUlT_E_NS1_11comp_targetILNS1_3genE10ELNS1_11target_archE1201ELNS1_3gpuE5ELNS1_3repE0EEENS1_30default_config_static_selectorELNS0_4arch9wavefront6targetE0EEEvSK_
		.amdhsa_group_segment_fixed_size 0
		.amdhsa_private_segment_fixed_size 0
		.amdhsa_kernarg_size 64
		.amdhsa_user_sgpr_count 6
		.amdhsa_user_sgpr_private_segment_buffer 1
		.amdhsa_user_sgpr_dispatch_ptr 0
		.amdhsa_user_sgpr_queue_ptr 0
		.amdhsa_user_sgpr_kernarg_segment_ptr 1
		.amdhsa_user_sgpr_dispatch_id 0
		.amdhsa_user_sgpr_flat_scratch_init 0
		.amdhsa_user_sgpr_private_segment_size 0
		.amdhsa_wavefront_size32 1
		.amdhsa_uses_dynamic_stack 0
		.amdhsa_system_sgpr_private_segment_wavefront_offset 0
		.amdhsa_system_sgpr_workgroup_id_x 1
		.amdhsa_system_sgpr_workgroup_id_y 0
		.amdhsa_system_sgpr_workgroup_id_z 0
		.amdhsa_system_sgpr_workgroup_info 0
		.amdhsa_system_vgpr_workitem_id 0
		.amdhsa_next_free_vgpr 1
		.amdhsa_next_free_sgpr 1
		.amdhsa_reserve_vcc 0
		.amdhsa_reserve_flat_scratch 0
		.amdhsa_float_round_mode_32 0
		.amdhsa_float_round_mode_16_64 0
		.amdhsa_float_denorm_mode_32 3
		.amdhsa_float_denorm_mode_16_64 3
		.amdhsa_dx10_clamp 1
		.amdhsa_ieee_mode 1
		.amdhsa_fp16_overflow 0
		.amdhsa_workgroup_processor_mode 1
		.amdhsa_memory_ordered 1
		.amdhsa_forward_progress 1
		.amdhsa_shared_vgpr_count 0
		.amdhsa_exception_fp_ieee_invalid_op 0
		.amdhsa_exception_fp_denorm_src 0
		.amdhsa_exception_fp_ieee_div_zero 0
		.amdhsa_exception_fp_ieee_overflow 0
		.amdhsa_exception_fp_ieee_underflow 0
		.amdhsa_exception_fp_ieee_inexact 0
		.amdhsa_exception_int_div_zero 0
	.end_amdhsa_kernel
	.section	.text._ZN7rocprim17ROCPRIM_400000_NS6detail17trampoline_kernelINS0_14default_configENS1_37merge_sort_block_sort_config_selectorIhNS0_10empty_typeEEEZNS1_21merge_sort_block_sortIS3_N6thrust23THRUST_200600_302600_NS6detail15normal_iteratorINS9_10device_ptrIhEEEESE_PS5_SF_11less_div_10IhEEE10hipError_tT0_T1_T2_T3_mRjT4_P12ihipStream_tbNS1_7vsmem_tEEUlT_E_NS1_11comp_targetILNS1_3genE10ELNS1_11target_archE1201ELNS1_3gpuE5ELNS1_3repE0EEENS1_30default_config_static_selectorELNS0_4arch9wavefront6targetE0EEEvSK_,"axG",@progbits,_ZN7rocprim17ROCPRIM_400000_NS6detail17trampoline_kernelINS0_14default_configENS1_37merge_sort_block_sort_config_selectorIhNS0_10empty_typeEEEZNS1_21merge_sort_block_sortIS3_N6thrust23THRUST_200600_302600_NS6detail15normal_iteratorINS9_10device_ptrIhEEEESE_PS5_SF_11less_div_10IhEEE10hipError_tT0_T1_T2_T3_mRjT4_P12ihipStream_tbNS1_7vsmem_tEEUlT_E_NS1_11comp_targetILNS1_3genE10ELNS1_11target_archE1201ELNS1_3gpuE5ELNS1_3repE0EEENS1_30default_config_static_selectorELNS0_4arch9wavefront6targetE0EEEvSK_,comdat
.Lfunc_end688:
	.size	_ZN7rocprim17ROCPRIM_400000_NS6detail17trampoline_kernelINS0_14default_configENS1_37merge_sort_block_sort_config_selectorIhNS0_10empty_typeEEEZNS1_21merge_sort_block_sortIS3_N6thrust23THRUST_200600_302600_NS6detail15normal_iteratorINS9_10device_ptrIhEEEESE_PS5_SF_11less_div_10IhEEE10hipError_tT0_T1_T2_T3_mRjT4_P12ihipStream_tbNS1_7vsmem_tEEUlT_E_NS1_11comp_targetILNS1_3genE10ELNS1_11target_archE1201ELNS1_3gpuE5ELNS1_3repE0EEENS1_30default_config_static_selectorELNS0_4arch9wavefront6targetE0EEEvSK_, .Lfunc_end688-_ZN7rocprim17ROCPRIM_400000_NS6detail17trampoline_kernelINS0_14default_configENS1_37merge_sort_block_sort_config_selectorIhNS0_10empty_typeEEEZNS1_21merge_sort_block_sortIS3_N6thrust23THRUST_200600_302600_NS6detail15normal_iteratorINS9_10device_ptrIhEEEESE_PS5_SF_11less_div_10IhEEE10hipError_tT0_T1_T2_T3_mRjT4_P12ihipStream_tbNS1_7vsmem_tEEUlT_E_NS1_11comp_targetILNS1_3genE10ELNS1_11target_archE1201ELNS1_3gpuE5ELNS1_3repE0EEENS1_30default_config_static_selectorELNS0_4arch9wavefront6targetE0EEEvSK_
                                        ; -- End function
	.set _ZN7rocprim17ROCPRIM_400000_NS6detail17trampoline_kernelINS0_14default_configENS1_37merge_sort_block_sort_config_selectorIhNS0_10empty_typeEEEZNS1_21merge_sort_block_sortIS3_N6thrust23THRUST_200600_302600_NS6detail15normal_iteratorINS9_10device_ptrIhEEEESE_PS5_SF_11less_div_10IhEEE10hipError_tT0_T1_T2_T3_mRjT4_P12ihipStream_tbNS1_7vsmem_tEEUlT_E_NS1_11comp_targetILNS1_3genE10ELNS1_11target_archE1201ELNS1_3gpuE5ELNS1_3repE0EEENS1_30default_config_static_selectorELNS0_4arch9wavefront6targetE0EEEvSK_.num_vgpr, 0
	.set _ZN7rocprim17ROCPRIM_400000_NS6detail17trampoline_kernelINS0_14default_configENS1_37merge_sort_block_sort_config_selectorIhNS0_10empty_typeEEEZNS1_21merge_sort_block_sortIS3_N6thrust23THRUST_200600_302600_NS6detail15normal_iteratorINS9_10device_ptrIhEEEESE_PS5_SF_11less_div_10IhEEE10hipError_tT0_T1_T2_T3_mRjT4_P12ihipStream_tbNS1_7vsmem_tEEUlT_E_NS1_11comp_targetILNS1_3genE10ELNS1_11target_archE1201ELNS1_3gpuE5ELNS1_3repE0EEENS1_30default_config_static_selectorELNS0_4arch9wavefront6targetE0EEEvSK_.num_agpr, 0
	.set _ZN7rocprim17ROCPRIM_400000_NS6detail17trampoline_kernelINS0_14default_configENS1_37merge_sort_block_sort_config_selectorIhNS0_10empty_typeEEEZNS1_21merge_sort_block_sortIS3_N6thrust23THRUST_200600_302600_NS6detail15normal_iteratorINS9_10device_ptrIhEEEESE_PS5_SF_11less_div_10IhEEE10hipError_tT0_T1_T2_T3_mRjT4_P12ihipStream_tbNS1_7vsmem_tEEUlT_E_NS1_11comp_targetILNS1_3genE10ELNS1_11target_archE1201ELNS1_3gpuE5ELNS1_3repE0EEENS1_30default_config_static_selectorELNS0_4arch9wavefront6targetE0EEEvSK_.numbered_sgpr, 0
	.set _ZN7rocprim17ROCPRIM_400000_NS6detail17trampoline_kernelINS0_14default_configENS1_37merge_sort_block_sort_config_selectorIhNS0_10empty_typeEEEZNS1_21merge_sort_block_sortIS3_N6thrust23THRUST_200600_302600_NS6detail15normal_iteratorINS9_10device_ptrIhEEEESE_PS5_SF_11less_div_10IhEEE10hipError_tT0_T1_T2_T3_mRjT4_P12ihipStream_tbNS1_7vsmem_tEEUlT_E_NS1_11comp_targetILNS1_3genE10ELNS1_11target_archE1201ELNS1_3gpuE5ELNS1_3repE0EEENS1_30default_config_static_selectorELNS0_4arch9wavefront6targetE0EEEvSK_.num_named_barrier, 0
	.set _ZN7rocprim17ROCPRIM_400000_NS6detail17trampoline_kernelINS0_14default_configENS1_37merge_sort_block_sort_config_selectorIhNS0_10empty_typeEEEZNS1_21merge_sort_block_sortIS3_N6thrust23THRUST_200600_302600_NS6detail15normal_iteratorINS9_10device_ptrIhEEEESE_PS5_SF_11less_div_10IhEEE10hipError_tT0_T1_T2_T3_mRjT4_P12ihipStream_tbNS1_7vsmem_tEEUlT_E_NS1_11comp_targetILNS1_3genE10ELNS1_11target_archE1201ELNS1_3gpuE5ELNS1_3repE0EEENS1_30default_config_static_selectorELNS0_4arch9wavefront6targetE0EEEvSK_.private_seg_size, 0
	.set _ZN7rocprim17ROCPRIM_400000_NS6detail17trampoline_kernelINS0_14default_configENS1_37merge_sort_block_sort_config_selectorIhNS0_10empty_typeEEEZNS1_21merge_sort_block_sortIS3_N6thrust23THRUST_200600_302600_NS6detail15normal_iteratorINS9_10device_ptrIhEEEESE_PS5_SF_11less_div_10IhEEE10hipError_tT0_T1_T2_T3_mRjT4_P12ihipStream_tbNS1_7vsmem_tEEUlT_E_NS1_11comp_targetILNS1_3genE10ELNS1_11target_archE1201ELNS1_3gpuE5ELNS1_3repE0EEENS1_30default_config_static_selectorELNS0_4arch9wavefront6targetE0EEEvSK_.uses_vcc, 0
	.set _ZN7rocprim17ROCPRIM_400000_NS6detail17trampoline_kernelINS0_14default_configENS1_37merge_sort_block_sort_config_selectorIhNS0_10empty_typeEEEZNS1_21merge_sort_block_sortIS3_N6thrust23THRUST_200600_302600_NS6detail15normal_iteratorINS9_10device_ptrIhEEEESE_PS5_SF_11less_div_10IhEEE10hipError_tT0_T1_T2_T3_mRjT4_P12ihipStream_tbNS1_7vsmem_tEEUlT_E_NS1_11comp_targetILNS1_3genE10ELNS1_11target_archE1201ELNS1_3gpuE5ELNS1_3repE0EEENS1_30default_config_static_selectorELNS0_4arch9wavefront6targetE0EEEvSK_.uses_flat_scratch, 0
	.set _ZN7rocprim17ROCPRIM_400000_NS6detail17trampoline_kernelINS0_14default_configENS1_37merge_sort_block_sort_config_selectorIhNS0_10empty_typeEEEZNS1_21merge_sort_block_sortIS3_N6thrust23THRUST_200600_302600_NS6detail15normal_iteratorINS9_10device_ptrIhEEEESE_PS5_SF_11less_div_10IhEEE10hipError_tT0_T1_T2_T3_mRjT4_P12ihipStream_tbNS1_7vsmem_tEEUlT_E_NS1_11comp_targetILNS1_3genE10ELNS1_11target_archE1201ELNS1_3gpuE5ELNS1_3repE0EEENS1_30default_config_static_selectorELNS0_4arch9wavefront6targetE0EEEvSK_.has_dyn_sized_stack, 0
	.set _ZN7rocprim17ROCPRIM_400000_NS6detail17trampoline_kernelINS0_14default_configENS1_37merge_sort_block_sort_config_selectorIhNS0_10empty_typeEEEZNS1_21merge_sort_block_sortIS3_N6thrust23THRUST_200600_302600_NS6detail15normal_iteratorINS9_10device_ptrIhEEEESE_PS5_SF_11less_div_10IhEEE10hipError_tT0_T1_T2_T3_mRjT4_P12ihipStream_tbNS1_7vsmem_tEEUlT_E_NS1_11comp_targetILNS1_3genE10ELNS1_11target_archE1201ELNS1_3gpuE5ELNS1_3repE0EEENS1_30default_config_static_selectorELNS0_4arch9wavefront6targetE0EEEvSK_.has_recursion, 0
	.set _ZN7rocprim17ROCPRIM_400000_NS6detail17trampoline_kernelINS0_14default_configENS1_37merge_sort_block_sort_config_selectorIhNS0_10empty_typeEEEZNS1_21merge_sort_block_sortIS3_N6thrust23THRUST_200600_302600_NS6detail15normal_iteratorINS9_10device_ptrIhEEEESE_PS5_SF_11less_div_10IhEEE10hipError_tT0_T1_T2_T3_mRjT4_P12ihipStream_tbNS1_7vsmem_tEEUlT_E_NS1_11comp_targetILNS1_3genE10ELNS1_11target_archE1201ELNS1_3gpuE5ELNS1_3repE0EEENS1_30default_config_static_selectorELNS0_4arch9wavefront6targetE0EEEvSK_.has_indirect_call, 0
	.section	.AMDGPU.csdata,"",@progbits
; Kernel info:
; codeLenInByte = 0
; TotalNumSgprs: 0
; NumVgprs: 0
; ScratchSize: 0
; MemoryBound: 0
; FloatMode: 240
; IeeeMode: 1
; LDSByteSize: 0 bytes/workgroup (compile time only)
; SGPRBlocks: 0
; VGPRBlocks: 0
; NumSGPRsForWavesPerEU: 1
; NumVGPRsForWavesPerEU: 1
; Occupancy: 16
; WaveLimiterHint : 0
; COMPUTE_PGM_RSRC2:SCRATCH_EN: 0
; COMPUTE_PGM_RSRC2:USER_SGPR: 6
; COMPUTE_PGM_RSRC2:TRAP_HANDLER: 0
; COMPUTE_PGM_RSRC2:TGID_X_EN: 1
; COMPUTE_PGM_RSRC2:TGID_Y_EN: 0
; COMPUTE_PGM_RSRC2:TGID_Z_EN: 0
; COMPUTE_PGM_RSRC2:TIDIG_COMP_CNT: 0
	.section	.text._ZN7rocprim17ROCPRIM_400000_NS6detail17trampoline_kernelINS0_14default_configENS1_37merge_sort_block_sort_config_selectorIhNS0_10empty_typeEEEZNS1_21merge_sort_block_sortIS3_N6thrust23THRUST_200600_302600_NS6detail15normal_iteratorINS9_10device_ptrIhEEEESE_PS5_SF_11less_div_10IhEEE10hipError_tT0_T1_T2_T3_mRjT4_P12ihipStream_tbNS1_7vsmem_tEEUlT_E_NS1_11comp_targetILNS1_3genE10ELNS1_11target_archE1200ELNS1_3gpuE4ELNS1_3repE0EEENS1_30default_config_static_selectorELNS0_4arch9wavefront6targetE0EEEvSK_,"axG",@progbits,_ZN7rocprim17ROCPRIM_400000_NS6detail17trampoline_kernelINS0_14default_configENS1_37merge_sort_block_sort_config_selectorIhNS0_10empty_typeEEEZNS1_21merge_sort_block_sortIS3_N6thrust23THRUST_200600_302600_NS6detail15normal_iteratorINS9_10device_ptrIhEEEESE_PS5_SF_11less_div_10IhEEE10hipError_tT0_T1_T2_T3_mRjT4_P12ihipStream_tbNS1_7vsmem_tEEUlT_E_NS1_11comp_targetILNS1_3genE10ELNS1_11target_archE1200ELNS1_3gpuE4ELNS1_3repE0EEENS1_30default_config_static_selectorELNS0_4arch9wavefront6targetE0EEEvSK_,comdat
	.protected	_ZN7rocprim17ROCPRIM_400000_NS6detail17trampoline_kernelINS0_14default_configENS1_37merge_sort_block_sort_config_selectorIhNS0_10empty_typeEEEZNS1_21merge_sort_block_sortIS3_N6thrust23THRUST_200600_302600_NS6detail15normal_iteratorINS9_10device_ptrIhEEEESE_PS5_SF_11less_div_10IhEEE10hipError_tT0_T1_T2_T3_mRjT4_P12ihipStream_tbNS1_7vsmem_tEEUlT_E_NS1_11comp_targetILNS1_3genE10ELNS1_11target_archE1200ELNS1_3gpuE4ELNS1_3repE0EEENS1_30default_config_static_selectorELNS0_4arch9wavefront6targetE0EEEvSK_ ; -- Begin function _ZN7rocprim17ROCPRIM_400000_NS6detail17trampoline_kernelINS0_14default_configENS1_37merge_sort_block_sort_config_selectorIhNS0_10empty_typeEEEZNS1_21merge_sort_block_sortIS3_N6thrust23THRUST_200600_302600_NS6detail15normal_iteratorINS9_10device_ptrIhEEEESE_PS5_SF_11less_div_10IhEEE10hipError_tT0_T1_T2_T3_mRjT4_P12ihipStream_tbNS1_7vsmem_tEEUlT_E_NS1_11comp_targetILNS1_3genE10ELNS1_11target_archE1200ELNS1_3gpuE4ELNS1_3repE0EEENS1_30default_config_static_selectorELNS0_4arch9wavefront6targetE0EEEvSK_
	.globl	_ZN7rocprim17ROCPRIM_400000_NS6detail17trampoline_kernelINS0_14default_configENS1_37merge_sort_block_sort_config_selectorIhNS0_10empty_typeEEEZNS1_21merge_sort_block_sortIS3_N6thrust23THRUST_200600_302600_NS6detail15normal_iteratorINS9_10device_ptrIhEEEESE_PS5_SF_11less_div_10IhEEE10hipError_tT0_T1_T2_T3_mRjT4_P12ihipStream_tbNS1_7vsmem_tEEUlT_E_NS1_11comp_targetILNS1_3genE10ELNS1_11target_archE1200ELNS1_3gpuE4ELNS1_3repE0EEENS1_30default_config_static_selectorELNS0_4arch9wavefront6targetE0EEEvSK_
	.p2align	8
	.type	_ZN7rocprim17ROCPRIM_400000_NS6detail17trampoline_kernelINS0_14default_configENS1_37merge_sort_block_sort_config_selectorIhNS0_10empty_typeEEEZNS1_21merge_sort_block_sortIS3_N6thrust23THRUST_200600_302600_NS6detail15normal_iteratorINS9_10device_ptrIhEEEESE_PS5_SF_11less_div_10IhEEE10hipError_tT0_T1_T2_T3_mRjT4_P12ihipStream_tbNS1_7vsmem_tEEUlT_E_NS1_11comp_targetILNS1_3genE10ELNS1_11target_archE1200ELNS1_3gpuE4ELNS1_3repE0EEENS1_30default_config_static_selectorELNS0_4arch9wavefront6targetE0EEEvSK_,@function
_ZN7rocprim17ROCPRIM_400000_NS6detail17trampoline_kernelINS0_14default_configENS1_37merge_sort_block_sort_config_selectorIhNS0_10empty_typeEEEZNS1_21merge_sort_block_sortIS3_N6thrust23THRUST_200600_302600_NS6detail15normal_iteratorINS9_10device_ptrIhEEEESE_PS5_SF_11less_div_10IhEEE10hipError_tT0_T1_T2_T3_mRjT4_P12ihipStream_tbNS1_7vsmem_tEEUlT_E_NS1_11comp_targetILNS1_3genE10ELNS1_11target_archE1200ELNS1_3gpuE4ELNS1_3repE0EEENS1_30default_config_static_selectorELNS0_4arch9wavefront6targetE0EEEvSK_: ; @_ZN7rocprim17ROCPRIM_400000_NS6detail17trampoline_kernelINS0_14default_configENS1_37merge_sort_block_sort_config_selectorIhNS0_10empty_typeEEEZNS1_21merge_sort_block_sortIS3_N6thrust23THRUST_200600_302600_NS6detail15normal_iteratorINS9_10device_ptrIhEEEESE_PS5_SF_11less_div_10IhEEE10hipError_tT0_T1_T2_T3_mRjT4_P12ihipStream_tbNS1_7vsmem_tEEUlT_E_NS1_11comp_targetILNS1_3genE10ELNS1_11target_archE1200ELNS1_3gpuE4ELNS1_3repE0EEENS1_30default_config_static_selectorELNS0_4arch9wavefront6targetE0EEEvSK_
; %bb.0:
	.section	.rodata,"a",@progbits
	.p2align	6, 0x0
	.amdhsa_kernel _ZN7rocprim17ROCPRIM_400000_NS6detail17trampoline_kernelINS0_14default_configENS1_37merge_sort_block_sort_config_selectorIhNS0_10empty_typeEEEZNS1_21merge_sort_block_sortIS3_N6thrust23THRUST_200600_302600_NS6detail15normal_iteratorINS9_10device_ptrIhEEEESE_PS5_SF_11less_div_10IhEEE10hipError_tT0_T1_T2_T3_mRjT4_P12ihipStream_tbNS1_7vsmem_tEEUlT_E_NS1_11comp_targetILNS1_3genE10ELNS1_11target_archE1200ELNS1_3gpuE4ELNS1_3repE0EEENS1_30default_config_static_selectorELNS0_4arch9wavefront6targetE0EEEvSK_
		.amdhsa_group_segment_fixed_size 0
		.amdhsa_private_segment_fixed_size 0
		.amdhsa_kernarg_size 64
		.amdhsa_user_sgpr_count 6
		.amdhsa_user_sgpr_private_segment_buffer 1
		.amdhsa_user_sgpr_dispatch_ptr 0
		.amdhsa_user_sgpr_queue_ptr 0
		.amdhsa_user_sgpr_kernarg_segment_ptr 1
		.amdhsa_user_sgpr_dispatch_id 0
		.amdhsa_user_sgpr_flat_scratch_init 0
		.amdhsa_user_sgpr_private_segment_size 0
		.amdhsa_wavefront_size32 1
		.amdhsa_uses_dynamic_stack 0
		.amdhsa_system_sgpr_private_segment_wavefront_offset 0
		.amdhsa_system_sgpr_workgroup_id_x 1
		.amdhsa_system_sgpr_workgroup_id_y 0
		.amdhsa_system_sgpr_workgroup_id_z 0
		.amdhsa_system_sgpr_workgroup_info 0
		.amdhsa_system_vgpr_workitem_id 0
		.amdhsa_next_free_vgpr 1
		.amdhsa_next_free_sgpr 1
		.amdhsa_reserve_vcc 0
		.amdhsa_reserve_flat_scratch 0
		.amdhsa_float_round_mode_32 0
		.amdhsa_float_round_mode_16_64 0
		.amdhsa_float_denorm_mode_32 3
		.amdhsa_float_denorm_mode_16_64 3
		.amdhsa_dx10_clamp 1
		.amdhsa_ieee_mode 1
		.amdhsa_fp16_overflow 0
		.amdhsa_workgroup_processor_mode 1
		.amdhsa_memory_ordered 1
		.amdhsa_forward_progress 1
		.amdhsa_shared_vgpr_count 0
		.amdhsa_exception_fp_ieee_invalid_op 0
		.amdhsa_exception_fp_denorm_src 0
		.amdhsa_exception_fp_ieee_div_zero 0
		.amdhsa_exception_fp_ieee_overflow 0
		.amdhsa_exception_fp_ieee_underflow 0
		.amdhsa_exception_fp_ieee_inexact 0
		.amdhsa_exception_int_div_zero 0
	.end_amdhsa_kernel
	.section	.text._ZN7rocprim17ROCPRIM_400000_NS6detail17trampoline_kernelINS0_14default_configENS1_37merge_sort_block_sort_config_selectorIhNS0_10empty_typeEEEZNS1_21merge_sort_block_sortIS3_N6thrust23THRUST_200600_302600_NS6detail15normal_iteratorINS9_10device_ptrIhEEEESE_PS5_SF_11less_div_10IhEEE10hipError_tT0_T1_T2_T3_mRjT4_P12ihipStream_tbNS1_7vsmem_tEEUlT_E_NS1_11comp_targetILNS1_3genE10ELNS1_11target_archE1200ELNS1_3gpuE4ELNS1_3repE0EEENS1_30default_config_static_selectorELNS0_4arch9wavefront6targetE0EEEvSK_,"axG",@progbits,_ZN7rocprim17ROCPRIM_400000_NS6detail17trampoline_kernelINS0_14default_configENS1_37merge_sort_block_sort_config_selectorIhNS0_10empty_typeEEEZNS1_21merge_sort_block_sortIS3_N6thrust23THRUST_200600_302600_NS6detail15normal_iteratorINS9_10device_ptrIhEEEESE_PS5_SF_11less_div_10IhEEE10hipError_tT0_T1_T2_T3_mRjT4_P12ihipStream_tbNS1_7vsmem_tEEUlT_E_NS1_11comp_targetILNS1_3genE10ELNS1_11target_archE1200ELNS1_3gpuE4ELNS1_3repE0EEENS1_30default_config_static_selectorELNS0_4arch9wavefront6targetE0EEEvSK_,comdat
.Lfunc_end689:
	.size	_ZN7rocprim17ROCPRIM_400000_NS6detail17trampoline_kernelINS0_14default_configENS1_37merge_sort_block_sort_config_selectorIhNS0_10empty_typeEEEZNS1_21merge_sort_block_sortIS3_N6thrust23THRUST_200600_302600_NS6detail15normal_iteratorINS9_10device_ptrIhEEEESE_PS5_SF_11less_div_10IhEEE10hipError_tT0_T1_T2_T3_mRjT4_P12ihipStream_tbNS1_7vsmem_tEEUlT_E_NS1_11comp_targetILNS1_3genE10ELNS1_11target_archE1200ELNS1_3gpuE4ELNS1_3repE0EEENS1_30default_config_static_selectorELNS0_4arch9wavefront6targetE0EEEvSK_, .Lfunc_end689-_ZN7rocprim17ROCPRIM_400000_NS6detail17trampoline_kernelINS0_14default_configENS1_37merge_sort_block_sort_config_selectorIhNS0_10empty_typeEEEZNS1_21merge_sort_block_sortIS3_N6thrust23THRUST_200600_302600_NS6detail15normal_iteratorINS9_10device_ptrIhEEEESE_PS5_SF_11less_div_10IhEEE10hipError_tT0_T1_T2_T3_mRjT4_P12ihipStream_tbNS1_7vsmem_tEEUlT_E_NS1_11comp_targetILNS1_3genE10ELNS1_11target_archE1200ELNS1_3gpuE4ELNS1_3repE0EEENS1_30default_config_static_selectorELNS0_4arch9wavefront6targetE0EEEvSK_
                                        ; -- End function
	.set _ZN7rocprim17ROCPRIM_400000_NS6detail17trampoline_kernelINS0_14default_configENS1_37merge_sort_block_sort_config_selectorIhNS0_10empty_typeEEEZNS1_21merge_sort_block_sortIS3_N6thrust23THRUST_200600_302600_NS6detail15normal_iteratorINS9_10device_ptrIhEEEESE_PS5_SF_11less_div_10IhEEE10hipError_tT0_T1_T2_T3_mRjT4_P12ihipStream_tbNS1_7vsmem_tEEUlT_E_NS1_11comp_targetILNS1_3genE10ELNS1_11target_archE1200ELNS1_3gpuE4ELNS1_3repE0EEENS1_30default_config_static_selectorELNS0_4arch9wavefront6targetE0EEEvSK_.num_vgpr, 0
	.set _ZN7rocprim17ROCPRIM_400000_NS6detail17trampoline_kernelINS0_14default_configENS1_37merge_sort_block_sort_config_selectorIhNS0_10empty_typeEEEZNS1_21merge_sort_block_sortIS3_N6thrust23THRUST_200600_302600_NS6detail15normal_iteratorINS9_10device_ptrIhEEEESE_PS5_SF_11less_div_10IhEEE10hipError_tT0_T1_T2_T3_mRjT4_P12ihipStream_tbNS1_7vsmem_tEEUlT_E_NS1_11comp_targetILNS1_3genE10ELNS1_11target_archE1200ELNS1_3gpuE4ELNS1_3repE0EEENS1_30default_config_static_selectorELNS0_4arch9wavefront6targetE0EEEvSK_.num_agpr, 0
	.set _ZN7rocprim17ROCPRIM_400000_NS6detail17trampoline_kernelINS0_14default_configENS1_37merge_sort_block_sort_config_selectorIhNS0_10empty_typeEEEZNS1_21merge_sort_block_sortIS3_N6thrust23THRUST_200600_302600_NS6detail15normal_iteratorINS9_10device_ptrIhEEEESE_PS5_SF_11less_div_10IhEEE10hipError_tT0_T1_T2_T3_mRjT4_P12ihipStream_tbNS1_7vsmem_tEEUlT_E_NS1_11comp_targetILNS1_3genE10ELNS1_11target_archE1200ELNS1_3gpuE4ELNS1_3repE0EEENS1_30default_config_static_selectorELNS0_4arch9wavefront6targetE0EEEvSK_.numbered_sgpr, 0
	.set _ZN7rocprim17ROCPRIM_400000_NS6detail17trampoline_kernelINS0_14default_configENS1_37merge_sort_block_sort_config_selectorIhNS0_10empty_typeEEEZNS1_21merge_sort_block_sortIS3_N6thrust23THRUST_200600_302600_NS6detail15normal_iteratorINS9_10device_ptrIhEEEESE_PS5_SF_11less_div_10IhEEE10hipError_tT0_T1_T2_T3_mRjT4_P12ihipStream_tbNS1_7vsmem_tEEUlT_E_NS1_11comp_targetILNS1_3genE10ELNS1_11target_archE1200ELNS1_3gpuE4ELNS1_3repE0EEENS1_30default_config_static_selectorELNS0_4arch9wavefront6targetE0EEEvSK_.num_named_barrier, 0
	.set _ZN7rocprim17ROCPRIM_400000_NS6detail17trampoline_kernelINS0_14default_configENS1_37merge_sort_block_sort_config_selectorIhNS0_10empty_typeEEEZNS1_21merge_sort_block_sortIS3_N6thrust23THRUST_200600_302600_NS6detail15normal_iteratorINS9_10device_ptrIhEEEESE_PS5_SF_11less_div_10IhEEE10hipError_tT0_T1_T2_T3_mRjT4_P12ihipStream_tbNS1_7vsmem_tEEUlT_E_NS1_11comp_targetILNS1_3genE10ELNS1_11target_archE1200ELNS1_3gpuE4ELNS1_3repE0EEENS1_30default_config_static_selectorELNS0_4arch9wavefront6targetE0EEEvSK_.private_seg_size, 0
	.set _ZN7rocprim17ROCPRIM_400000_NS6detail17trampoline_kernelINS0_14default_configENS1_37merge_sort_block_sort_config_selectorIhNS0_10empty_typeEEEZNS1_21merge_sort_block_sortIS3_N6thrust23THRUST_200600_302600_NS6detail15normal_iteratorINS9_10device_ptrIhEEEESE_PS5_SF_11less_div_10IhEEE10hipError_tT0_T1_T2_T3_mRjT4_P12ihipStream_tbNS1_7vsmem_tEEUlT_E_NS1_11comp_targetILNS1_3genE10ELNS1_11target_archE1200ELNS1_3gpuE4ELNS1_3repE0EEENS1_30default_config_static_selectorELNS0_4arch9wavefront6targetE0EEEvSK_.uses_vcc, 0
	.set _ZN7rocprim17ROCPRIM_400000_NS6detail17trampoline_kernelINS0_14default_configENS1_37merge_sort_block_sort_config_selectorIhNS0_10empty_typeEEEZNS1_21merge_sort_block_sortIS3_N6thrust23THRUST_200600_302600_NS6detail15normal_iteratorINS9_10device_ptrIhEEEESE_PS5_SF_11less_div_10IhEEE10hipError_tT0_T1_T2_T3_mRjT4_P12ihipStream_tbNS1_7vsmem_tEEUlT_E_NS1_11comp_targetILNS1_3genE10ELNS1_11target_archE1200ELNS1_3gpuE4ELNS1_3repE0EEENS1_30default_config_static_selectorELNS0_4arch9wavefront6targetE0EEEvSK_.uses_flat_scratch, 0
	.set _ZN7rocprim17ROCPRIM_400000_NS6detail17trampoline_kernelINS0_14default_configENS1_37merge_sort_block_sort_config_selectorIhNS0_10empty_typeEEEZNS1_21merge_sort_block_sortIS3_N6thrust23THRUST_200600_302600_NS6detail15normal_iteratorINS9_10device_ptrIhEEEESE_PS5_SF_11less_div_10IhEEE10hipError_tT0_T1_T2_T3_mRjT4_P12ihipStream_tbNS1_7vsmem_tEEUlT_E_NS1_11comp_targetILNS1_3genE10ELNS1_11target_archE1200ELNS1_3gpuE4ELNS1_3repE0EEENS1_30default_config_static_selectorELNS0_4arch9wavefront6targetE0EEEvSK_.has_dyn_sized_stack, 0
	.set _ZN7rocprim17ROCPRIM_400000_NS6detail17trampoline_kernelINS0_14default_configENS1_37merge_sort_block_sort_config_selectorIhNS0_10empty_typeEEEZNS1_21merge_sort_block_sortIS3_N6thrust23THRUST_200600_302600_NS6detail15normal_iteratorINS9_10device_ptrIhEEEESE_PS5_SF_11less_div_10IhEEE10hipError_tT0_T1_T2_T3_mRjT4_P12ihipStream_tbNS1_7vsmem_tEEUlT_E_NS1_11comp_targetILNS1_3genE10ELNS1_11target_archE1200ELNS1_3gpuE4ELNS1_3repE0EEENS1_30default_config_static_selectorELNS0_4arch9wavefront6targetE0EEEvSK_.has_recursion, 0
	.set _ZN7rocprim17ROCPRIM_400000_NS6detail17trampoline_kernelINS0_14default_configENS1_37merge_sort_block_sort_config_selectorIhNS0_10empty_typeEEEZNS1_21merge_sort_block_sortIS3_N6thrust23THRUST_200600_302600_NS6detail15normal_iteratorINS9_10device_ptrIhEEEESE_PS5_SF_11less_div_10IhEEE10hipError_tT0_T1_T2_T3_mRjT4_P12ihipStream_tbNS1_7vsmem_tEEUlT_E_NS1_11comp_targetILNS1_3genE10ELNS1_11target_archE1200ELNS1_3gpuE4ELNS1_3repE0EEENS1_30default_config_static_selectorELNS0_4arch9wavefront6targetE0EEEvSK_.has_indirect_call, 0
	.section	.AMDGPU.csdata,"",@progbits
; Kernel info:
; codeLenInByte = 0
; TotalNumSgprs: 0
; NumVgprs: 0
; ScratchSize: 0
; MemoryBound: 0
; FloatMode: 240
; IeeeMode: 1
; LDSByteSize: 0 bytes/workgroup (compile time only)
; SGPRBlocks: 0
; VGPRBlocks: 0
; NumSGPRsForWavesPerEU: 1
; NumVGPRsForWavesPerEU: 1
; Occupancy: 16
; WaveLimiterHint : 0
; COMPUTE_PGM_RSRC2:SCRATCH_EN: 0
; COMPUTE_PGM_RSRC2:USER_SGPR: 6
; COMPUTE_PGM_RSRC2:TRAP_HANDLER: 0
; COMPUTE_PGM_RSRC2:TGID_X_EN: 1
; COMPUTE_PGM_RSRC2:TGID_Y_EN: 0
; COMPUTE_PGM_RSRC2:TGID_Z_EN: 0
; COMPUTE_PGM_RSRC2:TIDIG_COMP_CNT: 0
	.section	.text._ZN7rocprim17ROCPRIM_400000_NS6detail17trampoline_kernelINS0_14default_configENS1_37merge_sort_block_sort_config_selectorIhNS0_10empty_typeEEEZNS1_21merge_sort_block_sortIS3_N6thrust23THRUST_200600_302600_NS6detail15normal_iteratorINS9_10device_ptrIhEEEESE_PS5_SF_11less_div_10IhEEE10hipError_tT0_T1_T2_T3_mRjT4_P12ihipStream_tbNS1_7vsmem_tEEUlT_E_NS1_11comp_targetILNS1_3genE9ELNS1_11target_archE1100ELNS1_3gpuE3ELNS1_3repE0EEENS1_30default_config_static_selectorELNS0_4arch9wavefront6targetE0EEEvSK_,"axG",@progbits,_ZN7rocprim17ROCPRIM_400000_NS6detail17trampoline_kernelINS0_14default_configENS1_37merge_sort_block_sort_config_selectorIhNS0_10empty_typeEEEZNS1_21merge_sort_block_sortIS3_N6thrust23THRUST_200600_302600_NS6detail15normal_iteratorINS9_10device_ptrIhEEEESE_PS5_SF_11less_div_10IhEEE10hipError_tT0_T1_T2_T3_mRjT4_P12ihipStream_tbNS1_7vsmem_tEEUlT_E_NS1_11comp_targetILNS1_3genE9ELNS1_11target_archE1100ELNS1_3gpuE3ELNS1_3repE0EEENS1_30default_config_static_selectorELNS0_4arch9wavefront6targetE0EEEvSK_,comdat
	.protected	_ZN7rocprim17ROCPRIM_400000_NS6detail17trampoline_kernelINS0_14default_configENS1_37merge_sort_block_sort_config_selectorIhNS0_10empty_typeEEEZNS1_21merge_sort_block_sortIS3_N6thrust23THRUST_200600_302600_NS6detail15normal_iteratorINS9_10device_ptrIhEEEESE_PS5_SF_11less_div_10IhEEE10hipError_tT0_T1_T2_T3_mRjT4_P12ihipStream_tbNS1_7vsmem_tEEUlT_E_NS1_11comp_targetILNS1_3genE9ELNS1_11target_archE1100ELNS1_3gpuE3ELNS1_3repE0EEENS1_30default_config_static_selectorELNS0_4arch9wavefront6targetE0EEEvSK_ ; -- Begin function _ZN7rocprim17ROCPRIM_400000_NS6detail17trampoline_kernelINS0_14default_configENS1_37merge_sort_block_sort_config_selectorIhNS0_10empty_typeEEEZNS1_21merge_sort_block_sortIS3_N6thrust23THRUST_200600_302600_NS6detail15normal_iteratorINS9_10device_ptrIhEEEESE_PS5_SF_11less_div_10IhEEE10hipError_tT0_T1_T2_T3_mRjT4_P12ihipStream_tbNS1_7vsmem_tEEUlT_E_NS1_11comp_targetILNS1_3genE9ELNS1_11target_archE1100ELNS1_3gpuE3ELNS1_3repE0EEENS1_30default_config_static_selectorELNS0_4arch9wavefront6targetE0EEEvSK_
	.globl	_ZN7rocprim17ROCPRIM_400000_NS6detail17trampoline_kernelINS0_14default_configENS1_37merge_sort_block_sort_config_selectorIhNS0_10empty_typeEEEZNS1_21merge_sort_block_sortIS3_N6thrust23THRUST_200600_302600_NS6detail15normal_iteratorINS9_10device_ptrIhEEEESE_PS5_SF_11less_div_10IhEEE10hipError_tT0_T1_T2_T3_mRjT4_P12ihipStream_tbNS1_7vsmem_tEEUlT_E_NS1_11comp_targetILNS1_3genE9ELNS1_11target_archE1100ELNS1_3gpuE3ELNS1_3repE0EEENS1_30default_config_static_selectorELNS0_4arch9wavefront6targetE0EEEvSK_
	.p2align	8
	.type	_ZN7rocprim17ROCPRIM_400000_NS6detail17trampoline_kernelINS0_14default_configENS1_37merge_sort_block_sort_config_selectorIhNS0_10empty_typeEEEZNS1_21merge_sort_block_sortIS3_N6thrust23THRUST_200600_302600_NS6detail15normal_iteratorINS9_10device_ptrIhEEEESE_PS5_SF_11less_div_10IhEEE10hipError_tT0_T1_T2_T3_mRjT4_P12ihipStream_tbNS1_7vsmem_tEEUlT_E_NS1_11comp_targetILNS1_3genE9ELNS1_11target_archE1100ELNS1_3gpuE3ELNS1_3repE0EEENS1_30default_config_static_selectorELNS0_4arch9wavefront6targetE0EEEvSK_,@function
_ZN7rocprim17ROCPRIM_400000_NS6detail17trampoline_kernelINS0_14default_configENS1_37merge_sort_block_sort_config_selectorIhNS0_10empty_typeEEEZNS1_21merge_sort_block_sortIS3_N6thrust23THRUST_200600_302600_NS6detail15normal_iteratorINS9_10device_ptrIhEEEESE_PS5_SF_11less_div_10IhEEE10hipError_tT0_T1_T2_T3_mRjT4_P12ihipStream_tbNS1_7vsmem_tEEUlT_E_NS1_11comp_targetILNS1_3genE9ELNS1_11target_archE1100ELNS1_3gpuE3ELNS1_3repE0EEENS1_30default_config_static_selectorELNS0_4arch9wavefront6targetE0EEEvSK_: ; @_ZN7rocprim17ROCPRIM_400000_NS6detail17trampoline_kernelINS0_14default_configENS1_37merge_sort_block_sort_config_selectorIhNS0_10empty_typeEEEZNS1_21merge_sort_block_sortIS3_N6thrust23THRUST_200600_302600_NS6detail15normal_iteratorINS9_10device_ptrIhEEEESE_PS5_SF_11less_div_10IhEEE10hipError_tT0_T1_T2_T3_mRjT4_P12ihipStream_tbNS1_7vsmem_tEEUlT_E_NS1_11comp_targetILNS1_3genE9ELNS1_11target_archE1100ELNS1_3gpuE3ELNS1_3repE0EEENS1_30default_config_static_selectorELNS0_4arch9wavefront6targetE0EEEvSK_
; %bb.0:
	.section	.rodata,"a",@progbits
	.p2align	6, 0x0
	.amdhsa_kernel _ZN7rocprim17ROCPRIM_400000_NS6detail17trampoline_kernelINS0_14default_configENS1_37merge_sort_block_sort_config_selectorIhNS0_10empty_typeEEEZNS1_21merge_sort_block_sortIS3_N6thrust23THRUST_200600_302600_NS6detail15normal_iteratorINS9_10device_ptrIhEEEESE_PS5_SF_11less_div_10IhEEE10hipError_tT0_T1_T2_T3_mRjT4_P12ihipStream_tbNS1_7vsmem_tEEUlT_E_NS1_11comp_targetILNS1_3genE9ELNS1_11target_archE1100ELNS1_3gpuE3ELNS1_3repE0EEENS1_30default_config_static_selectorELNS0_4arch9wavefront6targetE0EEEvSK_
		.amdhsa_group_segment_fixed_size 0
		.amdhsa_private_segment_fixed_size 0
		.amdhsa_kernarg_size 64
		.amdhsa_user_sgpr_count 6
		.amdhsa_user_sgpr_private_segment_buffer 1
		.amdhsa_user_sgpr_dispatch_ptr 0
		.amdhsa_user_sgpr_queue_ptr 0
		.amdhsa_user_sgpr_kernarg_segment_ptr 1
		.amdhsa_user_sgpr_dispatch_id 0
		.amdhsa_user_sgpr_flat_scratch_init 0
		.amdhsa_user_sgpr_private_segment_size 0
		.amdhsa_wavefront_size32 1
		.amdhsa_uses_dynamic_stack 0
		.amdhsa_system_sgpr_private_segment_wavefront_offset 0
		.amdhsa_system_sgpr_workgroup_id_x 1
		.amdhsa_system_sgpr_workgroup_id_y 0
		.amdhsa_system_sgpr_workgroup_id_z 0
		.amdhsa_system_sgpr_workgroup_info 0
		.amdhsa_system_vgpr_workitem_id 0
		.amdhsa_next_free_vgpr 1
		.amdhsa_next_free_sgpr 1
		.amdhsa_reserve_vcc 0
		.amdhsa_reserve_flat_scratch 0
		.amdhsa_float_round_mode_32 0
		.amdhsa_float_round_mode_16_64 0
		.amdhsa_float_denorm_mode_32 3
		.amdhsa_float_denorm_mode_16_64 3
		.amdhsa_dx10_clamp 1
		.amdhsa_ieee_mode 1
		.amdhsa_fp16_overflow 0
		.amdhsa_workgroup_processor_mode 1
		.amdhsa_memory_ordered 1
		.amdhsa_forward_progress 1
		.amdhsa_shared_vgpr_count 0
		.amdhsa_exception_fp_ieee_invalid_op 0
		.amdhsa_exception_fp_denorm_src 0
		.amdhsa_exception_fp_ieee_div_zero 0
		.amdhsa_exception_fp_ieee_overflow 0
		.amdhsa_exception_fp_ieee_underflow 0
		.amdhsa_exception_fp_ieee_inexact 0
		.amdhsa_exception_int_div_zero 0
	.end_amdhsa_kernel
	.section	.text._ZN7rocprim17ROCPRIM_400000_NS6detail17trampoline_kernelINS0_14default_configENS1_37merge_sort_block_sort_config_selectorIhNS0_10empty_typeEEEZNS1_21merge_sort_block_sortIS3_N6thrust23THRUST_200600_302600_NS6detail15normal_iteratorINS9_10device_ptrIhEEEESE_PS5_SF_11less_div_10IhEEE10hipError_tT0_T1_T2_T3_mRjT4_P12ihipStream_tbNS1_7vsmem_tEEUlT_E_NS1_11comp_targetILNS1_3genE9ELNS1_11target_archE1100ELNS1_3gpuE3ELNS1_3repE0EEENS1_30default_config_static_selectorELNS0_4arch9wavefront6targetE0EEEvSK_,"axG",@progbits,_ZN7rocprim17ROCPRIM_400000_NS6detail17trampoline_kernelINS0_14default_configENS1_37merge_sort_block_sort_config_selectorIhNS0_10empty_typeEEEZNS1_21merge_sort_block_sortIS3_N6thrust23THRUST_200600_302600_NS6detail15normal_iteratorINS9_10device_ptrIhEEEESE_PS5_SF_11less_div_10IhEEE10hipError_tT0_T1_T2_T3_mRjT4_P12ihipStream_tbNS1_7vsmem_tEEUlT_E_NS1_11comp_targetILNS1_3genE9ELNS1_11target_archE1100ELNS1_3gpuE3ELNS1_3repE0EEENS1_30default_config_static_selectorELNS0_4arch9wavefront6targetE0EEEvSK_,comdat
.Lfunc_end690:
	.size	_ZN7rocprim17ROCPRIM_400000_NS6detail17trampoline_kernelINS0_14default_configENS1_37merge_sort_block_sort_config_selectorIhNS0_10empty_typeEEEZNS1_21merge_sort_block_sortIS3_N6thrust23THRUST_200600_302600_NS6detail15normal_iteratorINS9_10device_ptrIhEEEESE_PS5_SF_11less_div_10IhEEE10hipError_tT0_T1_T2_T3_mRjT4_P12ihipStream_tbNS1_7vsmem_tEEUlT_E_NS1_11comp_targetILNS1_3genE9ELNS1_11target_archE1100ELNS1_3gpuE3ELNS1_3repE0EEENS1_30default_config_static_selectorELNS0_4arch9wavefront6targetE0EEEvSK_, .Lfunc_end690-_ZN7rocprim17ROCPRIM_400000_NS6detail17trampoline_kernelINS0_14default_configENS1_37merge_sort_block_sort_config_selectorIhNS0_10empty_typeEEEZNS1_21merge_sort_block_sortIS3_N6thrust23THRUST_200600_302600_NS6detail15normal_iteratorINS9_10device_ptrIhEEEESE_PS5_SF_11less_div_10IhEEE10hipError_tT0_T1_T2_T3_mRjT4_P12ihipStream_tbNS1_7vsmem_tEEUlT_E_NS1_11comp_targetILNS1_3genE9ELNS1_11target_archE1100ELNS1_3gpuE3ELNS1_3repE0EEENS1_30default_config_static_selectorELNS0_4arch9wavefront6targetE0EEEvSK_
                                        ; -- End function
	.set _ZN7rocprim17ROCPRIM_400000_NS6detail17trampoline_kernelINS0_14default_configENS1_37merge_sort_block_sort_config_selectorIhNS0_10empty_typeEEEZNS1_21merge_sort_block_sortIS3_N6thrust23THRUST_200600_302600_NS6detail15normal_iteratorINS9_10device_ptrIhEEEESE_PS5_SF_11less_div_10IhEEE10hipError_tT0_T1_T2_T3_mRjT4_P12ihipStream_tbNS1_7vsmem_tEEUlT_E_NS1_11comp_targetILNS1_3genE9ELNS1_11target_archE1100ELNS1_3gpuE3ELNS1_3repE0EEENS1_30default_config_static_selectorELNS0_4arch9wavefront6targetE0EEEvSK_.num_vgpr, 0
	.set _ZN7rocprim17ROCPRIM_400000_NS6detail17trampoline_kernelINS0_14default_configENS1_37merge_sort_block_sort_config_selectorIhNS0_10empty_typeEEEZNS1_21merge_sort_block_sortIS3_N6thrust23THRUST_200600_302600_NS6detail15normal_iteratorINS9_10device_ptrIhEEEESE_PS5_SF_11less_div_10IhEEE10hipError_tT0_T1_T2_T3_mRjT4_P12ihipStream_tbNS1_7vsmem_tEEUlT_E_NS1_11comp_targetILNS1_3genE9ELNS1_11target_archE1100ELNS1_3gpuE3ELNS1_3repE0EEENS1_30default_config_static_selectorELNS0_4arch9wavefront6targetE0EEEvSK_.num_agpr, 0
	.set _ZN7rocprim17ROCPRIM_400000_NS6detail17trampoline_kernelINS0_14default_configENS1_37merge_sort_block_sort_config_selectorIhNS0_10empty_typeEEEZNS1_21merge_sort_block_sortIS3_N6thrust23THRUST_200600_302600_NS6detail15normal_iteratorINS9_10device_ptrIhEEEESE_PS5_SF_11less_div_10IhEEE10hipError_tT0_T1_T2_T3_mRjT4_P12ihipStream_tbNS1_7vsmem_tEEUlT_E_NS1_11comp_targetILNS1_3genE9ELNS1_11target_archE1100ELNS1_3gpuE3ELNS1_3repE0EEENS1_30default_config_static_selectorELNS0_4arch9wavefront6targetE0EEEvSK_.numbered_sgpr, 0
	.set _ZN7rocprim17ROCPRIM_400000_NS6detail17trampoline_kernelINS0_14default_configENS1_37merge_sort_block_sort_config_selectorIhNS0_10empty_typeEEEZNS1_21merge_sort_block_sortIS3_N6thrust23THRUST_200600_302600_NS6detail15normal_iteratorINS9_10device_ptrIhEEEESE_PS5_SF_11less_div_10IhEEE10hipError_tT0_T1_T2_T3_mRjT4_P12ihipStream_tbNS1_7vsmem_tEEUlT_E_NS1_11comp_targetILNS1_3genE9ELNS1_11target_archE1100ELNS1_3gpuE3ELNS1_3repE0EEENS1_30default_config_static_selectorELNS0_4arch9wavefront6targetE0EEEvSK_.num_named_barrier, 0
	.set _ZN7rocprim17ROCPRIM_400000_NS6detail17trampoline_kernelINS0_14default_configENS1_37merge_sort_block_sort_config_selectorIhNS0_10empty_typeEEEZNS1_21merge_sort_block_sortIS3_N6thrust23THRUST_200600_302600_NS6detail15normal_iteratorINS9_10device_ptrIhEEEESE_PS5_SF_11less_div_10IhEEE10hipError_tT0_T1_T2_T3_mRjT4_P12ihipStream_tbNS1_7vsmem_tEEUlT_E_NS1_11comp_targetILNS1_3genE9ELNS1_11target_archE1100ELNS1_3gpuE3ELNS1_3repE0EEENS1_30default_config_static_selectorELNS0_4arch9wavefront6targetE0EEEvSK_.private_seg_size, 0
	.set _ZN7rocprim17ROCPRIM_400000_NS6detail17trampoline_kernelINS0_14default_configENS1_37merge_sort_block_sort_config_selectorIhNS0_10empty_typeEEEZNS1_21merge_sort_block_sortIS3_N6thrust23THRUST_200600_302600_NS6detail15normal_iteratorINS9_10device_ptrIhEEEESE_PS5_SF_11less_div_10IhEEE10hipError_tT0_T1_T2_T3_mRjT4_P12ihipStream_tbNS1_7vsmem_tEEUlT_E_NS1_11comp_targetILNS1_3genE9ELNS1_11target_archE1100ELNS1_3gpuE3ELNS1_3repE0EEENS1_30default_config_static_selectorELNS0_4arch9wavefront6targetE0EEEvSK_.uses_vcc, 0
	.set _ZN7rocprim17ROCPRIM_400000_NS6detail17trampoline_kernelINS0_14default_configENS1_37merge_sort_block_sort_config_selectorIhNS0_10empty_typeEEEZNS1_21merge_sort_block_sortIS3_N6thrust23THRUST_200600_302600_NS6detail15normal_iteratorINS9_10device_ptrIhEEEESE_PS5_SF_11less_div_10IhEEE10hipError_tT0_T1_T2_T3_mRjT4_P12ihipStream_tbNS1_7vsmem_tEEUlT_E_NS1_11comp_targetILNS1_3genE9ELNS1_11target_archE1100ELNS1_3gpuE3ELNS1_3repE0EEENS1_30default_config_static_selectorELNS0_4arch9wavefront6targetE0EEEvSK_.uses_flat_scratch, 0
	.set _ZN7rocprim17ROCPRIM_400000_NS6detail17trampoline_kernelINS0_14default_configENS1_37merge_sort_block_sort_config_selectorIhNS0_10empty_typeEEEZNS1_21merge_sort_block_sortIS3_N6thrust23THRUST_200600_302600_NS6detail15normal_iteratorINS9_10device_ptrIhEEEESE_PS5_SF_11less_div_10IhEEE10hipError_tT0_T1_T2_T3_mRjT4_P12ihipStream_tbNS1_7vsmem_tEEUlT_E_NS1_11comp_targetILNS1_3genE9ELNS1_11target_archE1100ELNS1_3gpuE3ELNS1_3repE0EEENS1_30default_config_static_selectorELNS0_4arch9wavefront6targetE0EEEvSK_.has_dyn_sized_stack, 0
	.set _ZN7rocprim17ROCPRIM_400000_NS6detail17trampoline_kernelINS0_14default_configENS1_37merge_sort_block_sort_config_selectorIhNS0_10empty_typeEEEZNS1_21merge_sort_block_sortIS3_N6thrust23THRUST_200600_302600_NS6detail15normal_iteratorINS9_10device_ptrIhEEEESE_PS5_SF_11less_div_10IhEEE10hipError_tT0_T1_T2_T3_mRjT4_P12ihipStream_tbNS1_7vsmem_tEEUlT_E_NS1_11comp_targetILNS1_3genE9ELNS1_11target_archE1100ELNS1_3gpuE3ELNS1_3repE0EEENS1_30default_config_static_selectorELNS0_4arch9wavefront6targetE0EEEvSK_.has_recursion, 0
	.set _ZN7rocprim17ROCPRIM_400000_NS6detail17trampoline_kernelINS0_14default_configENS1_37merge_sort_block_sort_config_selectorIhNS0_10empty_typeEEEZNS1_21merge_sort_block_sortIS3_N6thrust23THRUST_200600_302600_NS6detail15normal_iteratorINS9_10device_ptrIhEEEESE_PS5_SF_11less_div_10IhEEE10hipError_tT0_T1_T2_T3_mRjT4_P12ihipStream_tbNS1_7vsmem_tEEUlT_E_NS1_11comp_targetILNS1_3genE9ELNS1_11target_archE1100ELNS1_3gpuE3ELNS1_3repE0EEENS1_30default_config_static_selectorELNS0_4arch9wavefront6targetE0EEEvSK_.has_indirect_call, 0
	.section	.AMDGPU.csdata,"",@progbits
; Kernel info:
; codeLenInByte = 0
; TotalNumSgprs: 0
; NumVgprs: 0
; ScratchSize: 0
; MemoryBound: 0
; FloatMode: 240
; IeeeMode: 1
; LDSByteSize: 0 bytes/workgroup (compile time only)
; SGPRBlocks: 0
; VGPRBlocks: 0
; NumSGPRsForWavesPerEU: 1
; NumVGPRsForWavesPerEU: 1
; Occupancy: 16
; WaveLimiterHint : 0
; COMPUTE_PGM_RSRC2:SCRATCH_EN: 0
; COMPUTE_PGM_RSRC2:USER_SGPR: 6
; COMPUTE_PGM_RSRC2:TRAP_HANDLER: 0
; COMPUTE_PGM_RSRC2:TGID_X_EN: 1
; COMPUTE_PGM_RSRC2:TGID_Y_EN: 0
; COMPUTE_PGM_RSRC2:TGID_Z_EN: 0
; COMPUTE_PGM_RSRC2:TIDIG_COMP_CNT: 0
	.text
	.p2align	2                               ; -- Begin function _ZN7rocprim17ROCPRIM_400000_NS6detail15block_sort_implIhNS0_10empty_typeELj256ELj32ELNS0_4arch9wavefront6targetE0EvE4sortIN6thrust23THRUST_200600_302600_NS6detail15normal_iteratorINSA_10device_ptrIhEEEESF_PS3_SG_11less_div_10IhEEEvjbT_T0_T1_T2_T3_RNS7_12storage_typeE
	.type	_ZN7rocprim17ROCPRIM_400000_NS6detail15block_sort_implIhNS0_10empty_typeELj256ELj32ELNS0_4arch9wavefront6targetE0EvE4sortIN6thrust23THRUST_200600_302600_NS6detail15normal_iteratorINSA_10device_ptrIhEEEESF_PS3_SG_11less_div_10IhEEEvjbT_T0_T1_T2_T3_RNS7_12storage_typeE,@function
_ZN7rocprim17ROCPRIM_400000_NS6detail15block_sort_implIhNS0_10empty_typeELj256ELj32ELNS0_4arch9wavefront6targetE0EvE4sortIN6thrust23THRUST_200600_302600_NS6detail15normal_iteratorINSA_10device_ptrIhEEEESF_PS3_SG_11less_div_10IhEEEvjbT_T0_T1_T2_T3_RNS7_12storage_typeE: ; @_ZN7rocprim17ROCPRIM_400000_NS6detail15block_sort_implIhNS0_10empty_typeELj256ELj32ELNS0_4arch9wavefront6targetE0EvE4sortIN6thrust23THRUST_200600_302600_NS6detail15normal_iteratorINSA_10device_ptrIhEEEESF_PS3_SG_11less_div_10IhEEEvjbT_T0_T1_T2_T3_RNS7_12storage_typeE
; %bb.0:
	s_waitcnt vmcnt(0) expcnt(0) lgkmcnt(0)
	s_or_saveexec_b32 s4, -1
	buffer_store_dword v40, off, s[0:3], s32 ; 4-byte Folded Spill
	s_mov_b32 exec_lo, s4
	v_writelane_b32 v40, s34, 0
	v_writelane_b32 v40, s35, 1
	;; [unrolled: 1-line block ×12, first 2 shown]
	v_and_b32_e32 v1, 1, v1
	v_and_b32_e32 v17, 0x3ff, v31
	v_bfe_u32 v14, v31, 20, 10
	s_mov_b32 s37, 0
                                        ; implicit-def: $vgpr6
	v_cmp_ne_u32_e32 vcc_lo, 1, v1
	v_bfe_u32 v1, v31, 10, 10
	v_lshrrev_b32_e32 v24, 5, v17
	v_add_nc_u32_e32 v25, 0x100, v17
	v_add_nc_u32_e32 v21, 0x200, v17
	v_add_nc_u32_e32 v20, 0x300, v17
	v_or_b32_e32 v19, 0x400, v17
	v_add_nc_u32_e32 v23, 0x500, v17
	v_add_nc_u32_e32 v22, 0x600, v17
	v_add_nc_u32_e32 v29, 0x700, v17
	v_or_b32_e32 v28, 0x800, v17
	;; [unrolled: 4-line block ×7, first 2 shown]
	v_add_nc_u32_e32 v65, 0x1d00, v17
	v_add_nc_u32_e32 v64, 0x1e00, v17
	;; [unrolled: 1-line block ×3, first 2 shown]
	v_lshlrev_b32_e32 v18, 5, v17
	v_and_b32_e32 v16, 0x3fc, v17
	s_and_saveexec_b32 s4, vcc_lo
	s_xor_b32 s19, exec_lo, s4
                                        ; implicit-def: $vgpr15
	s_cbranch_execnz .LBB691_5
; %bb.1:
	s_andn2_saveexec_b32 s38, s19
	s_cbranch_execnz .LBB691_693
.LBB691_2:
	s_or_b32 exec_lo, exec_lo, s38
	s_and_saveexec_b32 s4, s37
	s_cbranch_execz .LBB691_4
.LBB691_3:
	v_add_co_u32 v0, vcc_lo, v4, v17
	v_add_co_ci_u32_e64 v1, null, v5, v15, vcc_lo
	v_add_co_u32 v0, vcc_lo, 0x1800, v0
	v_add_co_ci_u32_e64 v1, null, 0, v1, vcc_lo
	s_waitcnt lgkmcnt(0)
	flat_store_byte v[0:1], v6 offset:1792
.LBB691_4:
	s_or_b32 exec_lo, exec_lo, s4
	v_readlane_b32 s30, v40, 10
	v_readlane_b32 s31, v40, 11
	;; [unrolled: 1-line block ×12, first 2 shown]
	s_or_saveexec_b32 s4, -1
	buffer_load_dword v40, off, s[0:3], s32 ; 4-byte Folded Reload
	s_mov_b32 exec_lo, s4
	s_waitcnt vmcnt(0) lgkmcnt(0)
	s_setpc_b64 s[30:31]
.LBB691_5:
	v_add_co_u32 v2, vcc_lo, v2, v17
	v_add_co_ci_u32_e64 v3, null, 0, v3, vcc_lo
	v_lshrrev_b32_e32 v21, 5, v21
	v_add_co_u32 v6, vcc_lo, 0x800, v2
	v_add_co_ci_u32_e64 v7, null, 0, v3, vcc_lo
	s_clause 0xf
	flat_load_ubyte v0, v[2:3]
	flat_load_ubyte v8, v[2:3] offset:256
	flat_load_ubyte v9, v[2:3] offset:512
	;; [unrolled: 1-line block ×7, first 2 shown]
	flat_load_ubyte v67, v[6:7]
	flat_load_ubyte v68, v[6:7] offset:256
	flat_load_ubyte v69, v[6:7] offset:512
	;; [unrolled: 1-line block ×7, first 2 shown]
	v_add_co_u32 v6, vcc_lo, 0x1000, v2
	v_add_co_ci_u32_e64 v7, null, 0, v3, vcc_lo
	v_add_co_u32 v2, vcc_lo, 0x1800, v2
	v_add_co_ci_u32_e64 v3, null, 0, v3, vcc_lo
	s_clause 0xf
	flat_load_ubyte v83, v[6:7]
	flat_load_ubyte v84, v[6:7] offset:256
	flat_load_ubyte v85, v[6:7] offset:512
	;; [unrolled: 1-line block ×7, first 2 shown]
	flat_load_ubyte v7, v[2:3]
	flat_load_ubyte v98, v[2:3] offset:256
	flat_load_ubyte v99, v[2:3] offset:512
	;; [unrolled: 1-line block ×7, first 2 shown]
	v_and_b32_e32 v3, 28, v24
	v_lshrrev_b32_e32 v24, 5, v25
	v_lshrrev_b32_e32 v20, 5, v20
	;; [unrolled: 1-line block ×30, first 2 shown]
	v_add_nc_u32_e32 v19, v16, v18
	v_add_nc_u32_e32 v16, v3, v17
	v_and_b32_e32 v3, 60, v24
	v_and_b32_e32 v21, 60, v21
	v_and_b32_e32 v20, 60, v20
	v_and_b32_e32 v24, 60, v25
	v_and_b32_e32 v23, 0x7c, v23
	v_and_b32_e32 v22, 0x7c, v22
	v_and_b32_e32 v25, 0x7c, v29
	v_and_b32_e32 v112, 0x5c, v28
	v_and_b32_e32 v27, 0x7c, v27
	v_and_b32_e32 v26, 0x7c, v26
	v_and_b32_e32 v113, 0x7c, v33
	v_and_b32_e32 v114, 0x7c, v32
	v_and_b32_e32 v115, 0xfc, v31
	v_and_b32_e32 v116, 0xfc, v30
	v_and_b32_e32 v117, 0xfc, v37
	v_and_b32_e32 v118, 0x9c, v36
	v_and_b32_e32 v119, 0xbc, v35
	v_and_b32_e32 v128, 0xbc, v34
	v_and_b32_e32 v129, 0xbc, v49
	v_and_b32_e32 v130, 0xbc, v48
	v_and_b32_e32 v131, 0xfc, v39
	v_and_b32_e32 v132, 0xfc, v38
	v_and_b32_e32 v66, 0xfc, v66
	v_and_b32_e32 v133, 0xdc, v53
	v_and_b32_e32 v134, 0xfc, v51
	v_and_b32_e32 v135, 0xfc, v50
	v_and_b32_e32 v144, 0xfc, v52
	v_and_b32_e32 v145, 0xfc, v54
	v_and_b32_e32 v146, 0x1fc, v65
	v_and_b32_e32 v147, 0x1fc, v64
	v_and_b32_e32 v148, 0x1fc, v55
	v_add_nc_u32_e32 v28, v3, v17
	v_add_nc_u32_e32 v29, v21, v17
	;; [unrolled: 1-line block ×31, first 2 shown]
	s_mov_b32 s20, exec_lo
	s_waitcnt vmcnt(31) lgkmcnt(31)
	ds_write_b8 v16, v0
	s_waitcnt vmcnt(30) lgkmcnt(31)
	ds_write_b8 v28, v8 offset:256
	s_waitcnt vmcnt(29) lgkmcnt(31)
	ds_write_b8 v29, v9 offset:512
	;; [unrolled: 2-line block ×31, first 2 shown]
	s_waitcnt lgkmcnt(0)
	s_waitcnt_vscnt null, 0x0
	s_barrier
	buffer_gl0_inv
	ds_read_u8 v67, v19
	ds_read_b128 v[10:13], v19 offset:1
	ds_read_b96 v[68:70], v19 offset:17
	ds_read_u8 v0, v19 offset:29
	ds_read_u16 v2, v19 offset:30
	s_waitcnt lgkmcnt(0)
	s_barrier
	buffer_gl0_inv
	s_load_dwordx2 s[4:5], s[8:9], 0x0
	v_mov_b32_e32 v15, 0
	v_perm_b32 v8, v11, v12, 0x2010007
	v_perm_b32 v9, v12, v13, 0x2010007
	;; [unrolled: 1-line block ×3, first 2 shown]
	v_lshlrev_b32_e32 v12, 16, v2
	v_perm_b32 v2, v69, v70, 0x2010007
	s_waitcnt lgkmcnt(0)
	s_cmp_lt_u32 s13, s5
	s_cselect_b32 s5, 14, 20
	s_add_u32 s6, s8, s5
	s_addc_u32 s7, s9, 0
	s_cmp_lt_u32 s12, s4
	global_load_ushort v3, v15, s[6:7]
	s_cselect_b32 s4, 12, 18
	s_add_u32 s4, s8, s4
	s_addc_u32 s5, s9, 0
	global_load_ushort v6, v15, s[4:5]
	s_waitcnt vmcnt(1)
	v_mad_u32_u24 v1, v14, v3, v1
	v_perm_b32 v3, v70, v0, 0xc0c0007
	v_perm_b32 v0, v13, v68, 0x2010007
	s_waitcnt vmcnt(0)
	v_mul_lo_u32 v1, v1, v6
	v_perm_b32 v6, v67, v10, 0x2010004
	v_or_b32_e32 v3, v3, v12
	v_add_lshl_u32 v11, v1, v17, 5
	v_perm_b32 v1, v68, v69, 0x2010007
	v_cmpx_gt_u32_e32 0x2000, v11
	s_cbranch_execz .LBB691_9
; %bb.6:
	v_and_b32_e32 v12, 0xff, v10
	v_mul_lo_u16 v13, 0xcd, v67
	v_perm_b32 v14, v10, v67, 0xc0c0004
	v_lshrrev_b32_e32 v80, 8, v7
	v_and_b32_e32 v68, 0xff, v7
	v_mul_lo_u16 v12, 0xcd, v12
	v_lshrrev_b16 v13, 11, v13
	v_and_or_b32 v14, 0xffff0000, v6, v14
	v_lshrrev_b32_e32 v84, 8, v8
	v_perm_b32 v70, v8, v8, 0x7060405
	v_lshrrev_b16 v12, 11, v12
	v_perm_b32 v99, v9, v9, 0x7060405
	v_and_b32_e32 v101, 0xff, v0
	v_and_b32_e32 v81, 0xff, v84
	v_perm_b32 v83, v0, v0, 0x7060405
	v_cmp_lt_u16_e32 vcc_lo, v12, v13
	v_and_b32_e32 v13, 0xff, v80
	v_perm_b32 v12, v7, v7, 0x7060405
	v_mul_lo_u16 v81, 0xcd, v81
	v_and_b32_e32 v113, 0xff, v1
	v_cndmask_b32_e32 v6, v6, v14, vcc_lo
	v_mul_lo_u16 v14, 0xcd, v68
	v_mul_lo_u16 v13, 0xcd, v13
	v_lshrrev_b16 v81, 11, v81
	v_mul_lo_u16 v113, 0xcd, v113
	v_lshrrev_b64 v[68:69], 24, v[6:7]
	v_lshrrev_b32_e32 v71, 16, v6
	v_lshrrev_b16 v14, 11, v14
	v_lshrrev_b16 v13, 11, v13
	v_and_b32_e32 v69, 0xff, v8
	v_lshrrev_b16 v113, 11, v113
	v_and_b32_e32 v85, 0xff, v71
	v_and_b32_e32 v86, 0xff, v68
	v_cmp_lt_u16_e64 s4, v13, v14
	v_perm_b32 v87, 0, v71, 0xc0c0001
	v_mul_lo_u16 v69, 0xcd, v69
	v_mul_lo_u16 v85, 0xcd, v85
	v_mul_lo_u16 v86, 0xcd, v86
	v_cndmask_b32_e64 v96, v7, v12, s4
	v_lshlrev_b32_e32 v13, 16, v87
	v_cndmask_b32_e32 v12, v67, v10, vcc_lo
	v_lshrrev_b16 v14, 11, v85
	v_lshrrev_b16 v85, 11, v86
	v_lshrrev_b32_e32 v86, 16, v96
	v_and_or_b32 v13, 0xffff, v6, v13
	v_lshrrev_b16 v69, 11, v69
	v_cndmask_b32_e64 v98, v7, v80, s4
	v_cmp_lt_u16_e64 s5, v85, v14
	v_cndmask_b32_e32 v14, v10, v67, vcc_lo
	v_lshrrev_b32_e32 v10, 24, v96
	v_and_b32_e32 v67, 0xff, v86
	v_cmp_lt_u16_e32 vcc_lo, v81, v69
	v_cndmask_b32_e64 v85, v6, v13, s5
	v_cndmask_b32_e64 v13, v68, v71, s5
	;; [unrolled: 1-line block ×3, first 2 shown]
	v_mul_lo_u16 v71, 0xcd, v10
	v_mul_lo_u16 v67, 0xcd, v67
	v_cndmask_b32_e32 v70, v8, v70, vcc_lo
	v_cndmask_b32_e64 v6, v80, v7, s4
	v_perm_b32 v97, v96, v96, 0x6070504
	v_lshrrev_b16 v87, 11, v71
	v_lshrrev_b16 v67, 11, v67
	v_mov_b32_e32 v71, v9
	v_and_b32_e32 v69, 0xff, v9
	v_perm_b32 v115, v1, v1, 0x7060405
	v_and_b32_e32 v117, 0xff, v2
	v_cmp_lt_u16_e64 s5, v87, v67
	v_lshrrev_b32_e32 v87, 8, v9
	v_lshrrev_b64 v[80:81], 24, v[70:71]
	v_lshrrev_b32_e32 v71, 16, v70
	v_mul_lo_u16 v69, 0xcd, v69
	v_cndmask_b32_e64 v96, v96, v97, s5
	v_and_b32_e32 v67, 0xff, v87
	v_cndmask_b32_e64 v7, v10, v86, s5
	v_cndmask_b32_e64 v86, v86, v10, s5
	v_and_b32_e32 v10, 0xff, v80
	v_and_b32_e32 v97, 0xff, v71
	v_mul_lo_u16 v67, 0xcd, v67
	v_perm_b32 v81, 0, v71, 0xc0c0001
	v_lshrrev_b16 v69, 11, v69
	v_mul_lo_u16 v10, 0xcd, v10
	v_mul_lo_u16 v97, 0xcd, v97
	v_lshrrev_b16 v67, 11, v67
	v_lshlrev_b32_e32 v81, 16, v81
	v_perm_b32 v82, v2, v2, 0x7060405
	v_lshrrev_b16 v10, 11, v10
	v_lshrrev_b16 v97, 11, v97
	v_cmp_lt_u16_e64 s4, v67, v69
	v_cndmask_b32_e32 v67, v84, v8, vcc_lo
	v_and_or_b32 v81, 0xffff, v70, v81
	v_cndmask_b32_e32 v69, v8, v84, vcc_lo
	v_cmp_lt_u16_e32 vcc_lo, v10, v97
	v_cndmask_b32_e64 v99, v9, v99, s4
	v_lshrrev_b32_e32 v97, 8, v0
	v_lshrrev_b32_e32 v129, 8, v3
	v_and_b32_e32 v130, 0xff, v3
	v_cndmask_b32_e32 v100, v70, v81, vcc_lo
	v_lshrrev_b32_e32 v84, 16, v99
	v_and_b32_e32 v70, 0xff, v97
	v_lshrrev_b32_e32 v81, 24, v99
	v_cndmask_b32_e32 v8, v80, v71, vcc_lo
	v_cndmask_b32_e32 v71, v71, v80, vcc_lo
	v_and_b32_e32 v10, 0xff, v84
	v_mul_lo_u16 v70, 0xcd, v70
	v_mul_lo_u16 v80, 0xcd, v101
	;; [unrolled: 1-line block ×5, first 2 shown]
	v_lshrrev_b16 v103, 11, v70
	v_lshrrev_b16 v80, 11, v80
	;; [unrolled: 1-line block ×3, first 2 shown]
	v_cndmask_b32_e64 v70, v87, v9, s4
	v_lshrrev_b16 v10, 11, v10
	v_cndmask_b32_e64 v87, v9, v87, s4
	v_cmp_lt_u16_e64 s4, v103, v80
	v_perm_b32 v102, v99, v99, 0x6070504
	v_and_b32_e32 v131, 0xff, v69
	v_cmp_lt_u16_e32 vcc_lo, v101, v10
	v_mov_b32_e32 v10, v1
	v_cndmask_b32_e64 v9, v0, v83, s4
	v_lshrrev_b32_e32 v101, 8, v1
	v_and_b32_e32 v132, 0xff, v7
	v_cndmask_b32_e32 v99, v99, v102, vcc_lo
	v_cndmask_b32_e32 v102, v81, v84, vcc_lo
	;; [unrolled: 1-line block ×3, first 2 shown]
	v_lshrrev_b64 v[80:81], 24, v[9:10]
	v_lshrrev_b32_e32 v103, 16, v9
	v_and_b32_e32 v112, 0xff, v101
	v_cndmask_b32_e64 v81, v97, v0, s4
	v_cndmask_b32_e64 v97, v0, v97, s4
	v_perm_b32 v83, v7, v100, 0x3020104
	v_and_b32_e32 v0, 0xff, v80
	v_mul_lo_u16 v112, 0xcd, v112
	v_and_b32_e32 v114, 0xff, v103
	v_perm_b32 v10, 0, v103, 0xc0c0001
	v_perm_b32 v135, v8, v99, 0x3020104
	v_mul_lo_u16 v0, 0xcd, v0
	v_lshrrev_b16 v112, 11, v112
	v_mul_lo_u16 v114, 0xcd, v114
	v_lshlrev_b32_e32 v10, 16, v10
	v_and_b32_e32 v144, 0xff, v70
	v_lshrrev_b16 v0, 11, v0
	v_cmp_lt_u16_e32 vcc_lo, v112, v113
	v_lshrrev_b32_e32 v113, 8, v2
	v_lshrrev_b16 v114, 11, v114
	v_and_or_b32 v10, 0xffff, v9, v10
	v_and_b32_e32 v145, 0xff, v84
	v_cndmask_b32_e32 v112, v1, v115, vcc_lo
	v_and_b32_e32 v116, 0xff, v113
	v_cmp_lt_u16_e64 s4, v0, v114
	v_lshlrev_b16 v146, 8, v84
	v_lshlrev_b16 v147, 8, v98
	v_lshrrev_b32_e32 v115, 16, v112
	v_lshrrev_b32_e32 v118, 24, v112
	v_cndmask_b32_e64 v114, v9, v10, s4
	v_mul_lo_u16 v9, 0xcd, v116
	v_mul_lo_u16 v10, 0xcd, v117
	v_and_b32_e32 v0, 0xff, v115
	v_cndmask_b32_e64 v116, v80, v103, s4
	v_mul_lo_u16 v117, 0xcd, v118
	v_lshrrev_b16 v9, 11, v9
	v_lshrrev_b16 v10, 11, v10
	v_mul_lo_u16 v0, 0xcd, v0
	v_cndmask_b32_e64 v80, v103, v80, s4
	v_lshrrev_b16 v117, 11, v117
	v_cndmask_b32_e32 v103, v101, v1, vcc_lo
	v_cmp_lt_u16_e64 s4, v9, v10
	v_lshrrev_b16 v0, 11, v0
	v_mov_b32_e32 v10, v3
	v_cndmask_b32_e32 v101, v1, v101, vcc_lo
	v_cndmask_b32_e64 v9, v2, v82, s4
	v_cmp_lt_u16_e32 vcc_lo, v117, v0
	v_cndmask_b32_e64 v128, v113, v2, s4
	v_cndmask_b32_e64 v2, v2, v113, s4
	v_perm_b32 v82, v112, v112, 0x6070504
	v_lshrrev_b64 v[0:1], 24, v[9:10]
	v_lshrrev_b32_e32 v117, 16, v9
	v_cndmask_b32_e32 v119, v118, v115, vcc_lo
	v_cndmask_b32_e32 v115, v115, v118, vcc_lo
	;; [unrolled: 1-line block ×3, first 2 shown]
	v_perm_b32 v112, v102, v114, 0x3020104
	v_and_b32_e32 v10, 0xff, v0
	v_and_b32_e32 v118, 0xff, v117
	v_perm_b32 v1, 0, v117, 0xc0c0001
	v_mul_lo_u16 v10, 0xcd, v10
	v_mul_lo_u16 v113, 0xcd, v118
	v_lshlrev_b32_e32 v1, 16, v1
	v_and_b32_e32 v118, 0xff, v129
	v_lshrrev_b16 v10, 11, v10
	v_lshrrev_b16 v113, 11, v113
	v_and_or_b32 v1, 0xffff, v9, v1
	v_mul_lo_u16 v118, 0xcd, v118
	v_cmp_lt_u16_e32 vcc_lo, v10, v113
	v_lshrrev_b16 v10, 11, v130
	v_mul_lo_u16 v113, 0xcd, v131
	v_perm_b32 v130, v3, v3, 0x7060405
	v_cndmask_b32_e32 v9, v9, v1, vcc_lo
	v_lshrrev_b16 v1, 11, v118
	v_mul_lo_u16 v118, 0xcd, v132
	v_cndmask_b32_e32 v131, v0, v117, vcc_lo
	v_cmp_lt_u16_e64 s4, v1, v10
	v_lshrrev_b16 v1, 11, v113
	v_lshrrev_b16 v10, 11, v118
	v_cndmask_b32_e32 v113, v117, v0, vcc_lo
	v_and_b32_e32 v118, 0xff, v71
	v_cndmask_b32_e64 v0, v3, v130, s4
	v_cndmask_b32_e64 v117, v129, v3, s4
	v_cmp_lt_u16_e32 vcc_lo, v1, v10
	v_cndmask_b32_e64 v3, v3, v129, s4
	v_lshlrev_b16 v1, 8, v71
	v_and_b32_e32 v129, 0xff, v67
	v_mul_lo_u16 v118, 0xcd, v118
	v_cndmask_b32_e32 v10, v100, v83, vcc_lo
	v_lshrrev_b32_e32 v100, 16, v0
	v_lshrrev_b32_e32 v83, 24, v0
	v_mul_lo_u16 v129, 0xcd, v129
	v_lshrrev_b16 v118, 11, v118
	v_or_b32_sdwa v1, v10, v1 dst_sel:DWORD dst_unused:UNUSED_PAD src0_sel:BYTE_0 src1_sel:DWORD
	v_and_b32_e32 v132, 0xff, v100
	v_perm_b32 v133, v67, v10, 0xc0c0304
	v_lshrrev_b16 v129, 11, v129
	v_mul_lo_u16 v130, 0xcd, v83
	v_and_b32_e32 v1, 0xffff, v1
	v_mul_lo_u16 v132, 0xcd, v132
	v_perm_b32 v134, v0, v0, 0x6070504
	v_cmp_lt_u16_e64 s4, v118, v129
	v_lshrrev_b16 v130, 11, v130
	v_lshl_or_b32 v133, v133, 16, v1
	v_lshrrev_b16 v132, 11, v132
	v_and_b32_e32 v129, 0xff, v8
	v_mov_b32_e32 v1, 0xff
	v_cndmask_b32_e64 v118, v10, v133, s4
	v_and_b32_e32 v10, 0xff, v87
	v_cmp_lt_u16_e64 s6, v130, v132
	v_mul_lo_u16 v129, 0xcd, v129
	v_lshlrev_b16 v132, 8, v87
	v_and_b32_e32 v133, 0xff, v68
	v_mul_lo_u16 v10, 0xcd, v10
	v_cndmask_b32_e64 v130, v0, v134, s6
	v_and_b32_sdwa v0, v118, v1 dst_sel:DWORD dst_unused:UNUSED_PAD src0_sel:WORD_1 src1_sel:DWORD
	v_lshrrev_b16 v129, 11, v129
	v_perm_b32 v134, v119, v9, 0x3020104
	v_lshrrev_b16 v10, 11, v10
	v_or_b32_sdwa v0, v0, v132 dst_sel:WORD_1 dst_unused:UNUSED_PAD src0_sel:DWORD src1_sel:DWORD
	v_mul_lo_u16 v132, 0xcd, v133
	v_lshlrev_b16 v133, 8, v68
	v_cmp_lt_u16_e64 s5, v10, v129
	v_and_b32_e32 v129, 0xff, v14
	v_and_or_b32 v0, 0xffff, v118, v0
	v_mov_b32_e32 v10, 0xffffff00
	v_or_b32_sdwa v133, v85, v133 dst_sel:DWORD dst_unused:UNUSED_PAD src0_sel:BYTE_0 src1_sel:DWORD
	v_cndmask_b32_e64 v99, v99, v135, s5
	v_mul_lo_u16 v129, 0xcd, v129
	v_cndmask_b32_e64 v118, v118, v0, s5
	v_lshrrev_b16 v0, 11, v132
	v_and_b32_e32 v132, 0xffff, v133
	v_perm_b32 v133, v14, v85, 0xc0c0304
	v_and_b32_sdwa v135, v99, v10 dst_sel:DWORD dst_unused:UNUSED_PAD src0_sel:WORD_1 src1_sel:DWORD
	v_lshrrev_b16 v129, 11, v129
	v_lshl_or_b32 v132, v133, 16, v132
	v_or_b32_sdwa v133, v144, v135 dst_sel:WORD_1 dst_unused:UNUSED_PAD src0_sel:DWORD src1_sel:DWORD
	v_mul_lo_u16 v135, 0xcd, v145
	v_mul_lo_u16 v144, 0xcd, v144
	v_cmp_lt_u16_e64 s7, v0, v129
	v_or_b32_sdwa v145, v99, v146 dst_sel:DWORD dst_unused:UNUSED_PAD src0_sel:BYTE_0 src1_sel:DWORD
	v_cndmask_b32_e64 v0, v83, v100, s6
	v_lshrrev_b16 v129, 11, v135
	v_and_b32_e32 v135, 0xff, v98
	v_cndmask_b32_e64 v85, v85, v132, s7
	v_lshrrev_b16 v132, 11, v144
	v_or_b32_sdwa v133, v145, v133 dst_sel:DWORD dst_unused:UNUSED_PAD src0_sel:WORD_0 src1_sel:DWORD
	v_lshlrev_b16 v146, 8, v97
	v_cndmask_b32_e64 v83, v100, v83, s6
	v_and_b32_sdwa v144, v85, v1 dst_sel:DWORD dst_unused:UNUSED_PAD src0_sel:WORD_1 src1_sel:DWORD
	v_cmp_lt_u16_e64 s10, v129, v132
	v_and_b32_e32 v129, 0xff, v97
	v_mul_lo_u16 v132, 0xcd, v135
	v_and_b32_e32 v135, 0xff, v13
	v_or_b32_sdwa v144, v144, v147 dst_sel:WORD_1 dst_unused:UNUSED_PAD src0_sel:DWORD src1_sel:DWORD
	v_cndmask_b32_e64 v99, v99, v133, s10
	v_and_b32_e32 v133, 0xff, v102
	v_mul_lo_u16 v129, 0xcd, v129
	v_mul_lo_u16 v135, 0xcd, v135
	v_lshrrev_b16 v132, 11, v132
	v_and_b32_sdwa v145, v99, v1 dst_sel:DWORD dst_unused:UNUSED_PAD src0_sel:WORD_1 src1_sel:DWORD
	v_mul_lo_u16 v133, 0xcd, v133
	v_lshrrev_b16 v129, 11, v129
	v_lshrrev_b16 v135, 11, v135
	v_lshlrev_b16 v148, 8, v83
	v_or_b32_sdwa v145, v145, v146 dst_sel:WORD_1 dst_unused:UNUSED_PAD src0_sel:DWORD src1_sel:DWORD
	v_lshrrev_b16 v133, 11, v133
	v_lshlrev_b16 v146, 8, v101
	v_cmp_lt_u16_e64 s14, v132, v135
	v_and_b32_e32 v132, 0xff, v81
	v_and_b32_e32 v135, 0xff, v6
	v_cmp_lt_u16_e64 s11, v129, v133
	v_perm_b32 v129, v13, v96, 0x3020104
	v_and_or_b32 v133, 0xffff, v85, v144
	v_mul_lo_u16 v132, 0xcd, v132
	v_and_b32_e32 v144, 0xff, v86
	v_cndmask_b32_e64 v112, v114, v112, s11
	v_lshlrev_b16 v114, 8, v80
	v_cndmask_b32_e64 v96, v96, v129, s14
	v_and_b32_e32 v129, 0xff, v80
	v_cndmask_b32_e64 v85, v85, v133, s14
	v_perm_b32 v133, v81, v112, 0xc0c0304
	v_or_b32_sdwa v114, v112, v114 dst_sel:DWORD dst_unused:UNUSED_PAD src0_sel:BYTE_0 src1_sel:DWORD
	v_lshrrev_b16 v132, 11, v132
	v_mul_lo_u16 v129, 0xcd, v129
	v_and_b32_sdwa v100, v96, v10 dst_sel:DWORD dst_unused:UNUSED_PAD src0_sel:WORD_1 src1_sel:DWORD
	v_mul_lo_u16 v144, 0xcd, v144
	v_and_b32_e32 v114, 0xffff, v114
	v_and_or_b32 v145, 0xffff, v99, v145
	v_lshrrev_b16 v129, 11, v129
	v_or_b32_sdwa v100, v135, v100 dst_sel:WORD_1 dst_unused:UNUSED_PAD src0_sel:DWORD src1_sel:DWORD
	v_mul_lo_u16 v135, 0xcd, v135
	v_lshl_or_b32 v114, v133, 16, v114
	v_cndmask_b32_e64 v99, v99, v145, s11
	v_cmp_lt_u16_e64 s6, v129, v132
	v_and_b32_e32 v132, 0xff, v116
	v_lshrrev_b16 v129, 11, v144
	v_lshlrev_b16 v144, 8, v86
	v_lshrrev_b16 v135, 11, v135
	v_cndmask_b32_e64 v112, v112, v114, s6
	v_and_b32_e32 v114, 0xff, v101
	v_mul_lo_u16 v132, 0xcd, v132
	v_or_b32_sdwa v144, v96, v144 dst_sel:DWORD dst_unused:UNUSED_PAD src0_sel:BYTE_0 src1_sel:DWORD
	v_cndmask_b32_e64 v133, v68, v14, s7
	v_and_b32_sdwa v145, v112, v1 dst_sel:DWORD dst_unused:UNUSED_PAD src0_sel:WORD_1 src1_sel:DWORD
	v_mul_lo_u16 v114, 0xcd, v114
	v_lshrrev_b16 v132, 11, v132
	v_or_b32_sdwa v100, v144, v100 dst_sel:DWORD dst_unused:UNUSED_PAD src0_sel:WORD_0 src1_sel:DWORD
	v_perm_b32 v144, v116, v82, 0x3020104
	v_or_b32_sdwa v145, v145, v146 dst_sel:WORD_1 dst_unused:UNUSED_PAD src0_sel:DWORD src1_sel:DWORD
	v_lshrrev_b16 v114, 11, v114
	v_cndmask_b32_e64 v14, v14, v68, s7
	v_cmp_lt_u16_e64 s7, v129, v135
	v_and_b32_e32 v129, 0xff, v103
	v_and_or_b32 v145, 0xffff, v112, v145
	v_cmp_lt_u16_e64 s15, v114, v132
	v_and_b32_e32 v132, 0xff, v115
	v_cndmask_b32_e64 v68, v96, v100, s7
	v_cndmask_b32_e64 v100, v98, v13, s14
	;; [unrolled: 1-line block ×5, first 2 shown]
	v_and_b32_sdwa v98, v68, v1 dst_sel:DWORD dst_unused:UNUSED_PAD src0_sel:WORD_1 src1_sel:DWORD
	v_lshlrev_b16 v112, 8, v69
	v_lshlrev_b16 v144, 8, v115
	v_and_b32_sdwa v114, v82, v10 dst_sel:DWORD dst_unused:UNUSED_PAD src0_sel:WORD_1 src1_sel:DWORD
	v_cndmask_b32_e64 v135, v86, v6, s7
	v_lshlrev_b16 v145, 8, v12
	v_or_b32_sdwa v98, v98, v112 dst_sel:WORD_1 dst_unused:UNUSED_PAD src0_sel:DWORD src1_sel:DWORD
	v_cndmask_b32_e64 v86, v6, v86, s7
	v_or_b32_sdwa v112, v129, v114 dst_sel:WORD_1 dst_unused:UNUSED_PAD src0_sel:DWORD src1_sel:DWORD
	v_mul_lo_u16 v114, 0xcd, v132
	v_mul_lo_u16 v129, 0xcd, v129
	v_or_b32_sdwa v132, v82, v144 dst_sel:DWORD dst_unused:UNUSED_PAD src0_sel:BYTE_0 src1_sel:DWORD
	v_and_b32_e32 v144, 0xff, v14
	v_and_or_b32 v6, 0xffff, v68, v98
	v_lshrrev_b16 v114, 11, v114
	v_lshrrev_b16 v129, 11, v129
	v_or_b32_sdwa v112, v132, v112 dst_sel:DWORD dst_unused:UNUSED_PAD src0_sel:WORD_0 src1_sel:DWORD
	v_or_b32_e32 v98, v144, v145
	v_cndmask_b32_e32 v132, v69, v7, vcc_lo
	v_cndmask_b32_e32 v7, v7, v69, vcc_lo
	v_cmp_lt_u16_e64 s7, v114, v129
	v_cndmask_b32_e32 v114, v68, v6, vcc_lo
	v_and_b32_e32 v6, 0xff, v119
	v_and_b32_e32 v68, 0xffff, v98
	v_lshlrev_b16 v129, 8, v2
	v_cndmask_b32_e64 v82, v82, v112, s7
	v_and_b32_e32 v112, 0xff, v2
	v_mul_lo_u16 v6, 0xcd, v6
	v_cndmask_b32_e64 v147, v101, v116, s15
	v_cndmask_b32_e64 v101, v116, v101, s15
	v_and_b32_sdwa v98, v82, v1 dst_sel:DWORD dst_unused:UNUSED_PAD src0_sel:WORD_1 src1_sel:DWORD
	v_mul_lo_u16 v112, 0xcd, v112
	v_lshrrev_b16 v6, 11, v6
	v_perm_b32 v116, v131, v130, 0x3020104
	v_and_or_b32 v68, 0xffff0000, v85, v68
	v_or_b32_sdwa v98, v98, v129 dst_sel:WORD_1 dst_unused:UNUSED_PAD src0_sel:DWORD src1_sel:DWORD
	v_lshrrev_b16 v112, 11, v112
	v_cndmask_b32_e64 v129, v67, v71, s4
	v_cndmask_b32_e64 v71, v71, v67, s4
	v_lshlrev_b16 v150, 8, v100
	v_and_or_b32 v67, 0xffff, v82, v98
	v_cmp_lt_u16_e32 vcc_lo, v112, v6
	v_and_b32_e32 v69, 0xff, v129
	v_lshlrev_b16 v6, 8, v132
	v_cndmask_b32_e64 v98, v87, v8, s5
	v_cndmask_b32_e64 v87, v8, v87, s5
	v_cndmask_b32_e32 v82, v82, v67, vcc_lo
	v_cndmask_b32_e32 v9, v9, v134, vcc_lo
	v_lshlrev_b16 v67, 8, v113
	v_or_b32_e32 v6, v69, v6
	v_and_b32_e32 v8, 0xff, v113
	v_and_b32_e32 v112, 0xff, v128
	v_cndmask_b32_e64 v134, v84, v70, s10
	v_or_b32_sdwa v67, v9, v67 dst_sel:DWORD dst_unused:UNUSED_PAD src0_sel:BYTE_0 src1_sel:DWORD
	v_and_b32_e32 v6, 0xffff, v6
	v_mul_lo_u16 v8, 0xcd, v8
	v_mul_lo_u16 v112, 0xcd, v112
	v_perm_b32 v145, v128, v9, 0xc0c0304
	v_and_b32_e32 v67, 0xffff, v67
	v_cndmask_b32_e64 v70, v70, v84, s10
	v_and_or_b32 v84, 0xffff0000, v118, v6
	v_lshrrev_b16 v6, 11, v8
	v_lshrrev_b16 v8, 11, v112
	v_lshl_or_b32 v67, v145, 16, v67
	v_cndmask_b32_e64 v112, v97, v102, s11
	v_cndmask_b32_e64 v97, v102, v97, s11
	;; [unrolled: 1-line block ×3, first 2 shown]
	v_cmp_lt_u16_e64 s4, v6, v8
	v_and_b32_e32 v8, 0xff, v3
	v_lshlrev_b16 v145, 8, v3
	v_cndmask_b32_e64 v80, v80, v81, s6
	v_and_b32_e32 v81, 0xff, v102
	v_cndmask_b32_e64 v6, v9, v67, s4
	v_and_b32_e32 v9, 0xff, v131
	v_mul_lo_u16 v8, 0xcd, v8
	v_lshlrev_b16 v146, 8, v112
	v_mul_lo_u16 v69, 0xcd, v69
	v_and_b32_sdwa v67, v6, v1 dst_sel:DWORD dst_unused:UNUSED_PAD src0_sel:WORD_1 src1_sel:DWORD
	v_mul_lo_u16 v9, 0xcd, v9
	v_lshrrev_b16 v8, 11, v8
	v_or_b32_sdwa v67, v67, v145 dst_sel:WORD_1 dst_unused:UNUSED_PAD src0_sel:DWORD src1_sel:DWORD
	v_lshrrev_b16 v9, 11, v9
	v_or_b32_e32 v145, v81, v146
	v_cndmask_b32_e64 v146, v128, v113, s4
	v_cndmask_b32_e64 v113, v113, v128, s4
	v_and_or_b32 v67, 0xffff, v6, v67
	v_cmp_lt_u16_e64 s5, v8, v9
	v_and_b32_e32 v8, 0xffff, v145
	v_cndmask_b32_e64 v145, v115, v103, s7
	v_cndmask_b32_e64 v103, v103, v115, s7
	v_and_b32_e32 v9, 0xff, v83
	v_cndmask_b32_e64 v115, v6, v67, s5
	v_cndmask_b32_e64 v6, v130, v116, s5
	v_and_or_b32 v116, 0xffff0000, v96, v8
	v_cndmask_b32_e32 v130, v2, v119, vcc_lo
	v_cndmask_b32_e32 v119, v119, v2, vcc_lo
	v_and_b32_e32 v8, 0xff, v117
	v_and_b32_sdwa v2, v6, v10 dst_sel:DWORD dst_unused:UNUSED_PAD src0_sel:WORD_1 src1_sel:DWORD
	v_mul_lo_u16 v9, 0xcd, v9
	v_and_b32_e32 v128, 0xff, v146
	v_lshlrev_b16 v67, 8, v130
	v_cndmask_b32_e64 v149, v3, v131, s5
	v_or_b32_sdwa v2, v8, v2 dst_sel:WORD_1 dst_unused:UNUSED_PAD src0_sel:DWORD src1_sel:DWORD
	v_mul_lo_u16 v8, 0xcd, v8
	v_lshrrev_b16 v9, 11, v9
	v_or_b32_sdwa v148, v6, v148 dst_sel:DWORD dst_unused:UNUSED_PAD src0_sel:BYTE_0 src1_sel:DWORD
	v_cndmask_b32_e64 v131, v131, v3, s5
	v_and_b32_e32 v3, 0xff, v12
	v_lshrrev_b16 v8, 11, v8
	v_or_b32_e32 v67, v128, v67
	v_or_b32_sdwa v2, v148, v2 dst_sel:DWORD dst_unused:UNUSED_PAD src0_sel:WORD_0 src1_sel:DWORD
	v_mul_lo_u16 v81, 0xcd, v81
	v_mul_lo_u16 v3, 0xcd, v3
	v_cmp_lt_u16_e32 vcc_lo, v9, v8
	v_mul_lo_u16 v8, 0xcd, v144
	v_and_b32_e32 v67, 0xffff, v67
	v_lshrrev_b16 v81, 11, v81
	v_lshrrev_b16 v3, 11, v3
	v_cndmask_b32_e32 v144, v6, v2, vcc_lo
	v_lshrrev_b16 v2, 11, v8
	v_and_or_b32 v148, 0xffff0000, v115, v67
	v_cndmask_b32_e32 v9, v83, v117, vcc_lo
	v_cndmask_b32_e32 v83, v117, v83, vcc_lo
	v_and_b32_e32 v6, 0xff, v13
	v_and_b32_e32 v8, 0xff, v133
	v_lshlrev_b16 v67, 8, v133
	v_cmp_lt_u16_e32 vcc_lo, v2, v3
	v_and_b32_e32 v117, 0xff, v86
	v_mul_lo_u16 v8, 0xcd, v8
	v_cndmask_b32_e32 v3, v85, v68, vcc_lo
	v_mul_lo_u16 v68, 0xcd, v6
	v_or_b32_sdwa v6, v6, v67 dst_sel:WORD_1 dst_unused:UNUSED_PAD src0_sel:DWORD src1_sel:DWORD
	v_or_b32_e32 v67, v117, v150
	v_cndmask_b32_e32 v2, v12, v14, vcc_lo
	v_lshrrev_b16 v8, 11, v8
	v_lshrrev_b16 v68, 11, v68
	v_and_or_b32 v85, 0xffff, v3, v6
	v_cndmask_b32_e32 v6, v14, v12, vcc_lo
	v_and_b32_e32 v12, 0xff, v100
	v_and_b32_e32 v67, 0xffff, v67
	v_cmp_lt_u16_e32 vcc_lo, v68, v8
	v_mul_lo_u16 v14, 0xcd, v117
	v_and_b32_e32 v117, 0xff, v135
	v_mul_lo_u16 v12, 0xcd, v12
	v_cndmask_b32_e32 v85, v3, v85, vcc_lo
	v_and_or_b32 v3, 0xffff0000, v114, v67
	v_and_b32_e32 v67, 0xff, v7
	v_lshrrev_b16 v14, 11, v14
	v_lshrrev_b16 v12, 11, v12
	v_cndmask_b32_e32 v8, v13, v133, vcc_lo
	v_cndmask_b32_e32 v68, v133, v13, vcc_lo
	v_mul_lo_u16 v13, 0xcd, v67
	v_mul_lo_u16 v117, 0xcd, v117
	v_lshlrev_b16 v133, 8, v135
	v_cmp_lt_u16_e32 vcc_lo, v14, v12
	v_and_b32_e32 v14, 0xff, v132
	v_lshrrev_b16 v13, 11, v13
	v_or_b32_sdwa v67, v67, v133 dst_sel:WORD_1 dst_unused:UNUSED_PAD src0_sel:DWORD src1_sel:DWORD
	v_cndmask_b32_e32 v3, v114, v3, vcc_lo
	v_lshrrev_b16 v114, 11, v117
	v_mul_lo_u16 v14, 0xcd, v14
	v_cndmask_b32_e32 v12, v86, v100, vcc_lo
	v_cndmask_b32_e32 v86, v100, v86, vcc_lo
	v_and_or_b32 v67, 0xffff, v3, v67
	v_cmp_lt_u16_e64 s4, v13, v114
	v_lshrrev_b16 v13, 11, v69
	v_lshrrev_b16 v14, 11, v14
	v_lshlrev_b16 v114, 8, v71
	v_and_b32_e32 v117, 0xff, v70
	v_cndmask_b32_e64 v100, v3, v67, s4
	v_and_b32_e32 v67, 0xff, v87
	v_cmp_lt_u16_e32 vcc_lo, v13, v14
	v_and_b32_e32 v13, 0xff, v71
	v_cndmask_b32_e64 v3, v7, v135, s4
	v_cndmask_b32_e64 v69, v135, v7, s4
	v_or_b32_sdwa v114, v67, v114 dst_sel:WORD_1 dst_unused:UNUSED_PAD src0_sel:DWORD src1_sel:DWORD
	v_cndmask_b32_e32 v7, v118, v84, vcc_lo
	v_mul_lo_u16 v84, 0xcd, v67
	v_mul_lo_u16 v13, 0xcd, v13
	v_lshlrev_b16 v118, 8, v98
	v_cndmask_b32_e32 v14, v129, v132, vcc_lo
	v_cndmask_b32_e32 v67, v132, v129, vcc_lo
	v_lshrrev_b16 v84, 11, v84
	v_lshrrev_b16 v13, 11, v13
	v_and_b32_e32 v129, 0xff, v98
	v_or_b32_e32 v118, v117, v118
	v_and_or_b32 v114, 0xffff, v7, v114
	v_cmp_lt_u16_e32 vcc_lo, v84, v13
	v_mul_lo_u16 v84, 0xcd, v117
	v_mul_lo_u16 v117, 0xcd, v129
	v_and_b32_e32 v118, 0xffff, v118
	v_lshlrev_b16 v129, 8, v134
	v_cndmask_b32_e32 v7, v7, v114, vcc_lo
	v_lshrrev_b16 v84, 11, v84
	v_lshrrev_b16 v117, 11, v117
	v_and_or_b32 v114, 0xffff0000, v99, v118
	v_cndmask_b32_e32 v13, v87, v71, vcc_lo
	v_cndmask_b32_e32 v71, v71, v87, vcc_lo
	v_and_b32_e32 v87, 0xff, v97
	v_cmp_lt_u16_e32 vcc_lo, v84, v117
	v_and_b32_e32 v118, 0xff, v134
	v_cndmask_b32_e32 v84, v99, v114, vcc_lo
	v_and_b32_e32 v99, 0xff, v112
	v_mul_lo_u16 v114, 0xcd, v87
	v_mul_lo_u16 v117, 0xcd, v118
	v_cndmask_b32_e32 v118, v70, v98, vcc_lo
	v_cndmask_b32_e32 v70, v98, v70, vcc_lo
	v_mul_lo_u16 v99, 0xcd, v99
	v_lshrrev_b16 v114, 11, v114
	v_lshrrev_b16 v117, 11, v117
	v_or_b32_sdwa v87, v87, v129 dst_sel:WORD_1 dst_unused:UNUSED_PAD src0_sel:DWORD src1_sel:DWORD
	v_lshlrev_b16 v129, 8, v147
	v_lshrrev_b16 v99, 11, v99
	v_cmp_lt_u16_e64 s4, v114, v117
	v_and_b32_e32 v114, 0xff, v80
	v_and_b32_e32 v117, 0xff, v103
	v_cmp_lt_u16_e32 vcc_lo, v81, v99
	v_and_b32_e32 v99, 0xff, v101
	v_and_or_b32 v87, 0xffff, v84, v87
	v_mul_lo_u16 v114, 0xcd, v114
	v_perm_b32 v81, v3, v7, 0x3020104
	v_cndmask_b32_e32 v96, v96, v116, vcc_lo
	v_lshlrev_b16 v116, 8, v80
	v_mul_lo_u16 v132, 0xcd, v99
	v_lshrrev_b16 v114, 11, v114
	v_cndmask_b32_e32 v98, v102, v112, vcc_lo
	v_cndmask_b32_e32 v102, v112, v102, vcc_lo
	v_or_b32_sdwa v99, v99, v116 dst_sel:WORD_1 dst_unused:UNUSED_PAD src0_sel:DWORD src1_sel:DWORD
	v_lshrrev_b16 v116, 11, v132
	v_or_b32_e32 v112, v117, v129
	v_and_b32_e32 v129, 0xff, v147
	v_mul_lo_u16 v117, 0xcd, v117
	v_and_or_b32 v99, 0xffff, v96, v99
	v_cmp_lt_u16_e32 vcc_lo, v116, v114
	v_and_b32_e32 v112, 0xffff, v112
	v_and_b32_e32 v116, 0xff, v119
	v_lshrrev_b16 v114, 11, v117
	v_and_b32_e32 v117, 0xff, v145
	v_cndmask_b32_e32 v96, v96, v99, vcc_lo
	v_mul_lo_u16 v99, 0xcd, v129
	v_cndmask_b32_e64 v84, v84, v87, s4
	v_cndmask_b32_e64 v87, v97, v134, s4
	;; [unrolled: 1-line block ×3, first 2 shown]
	v_and_or_b32 v112, 0xffff0000, v82, v112
	v_lshrrev_b16 v99, 11, v99
	v_lshlrev_b16 v132, 8, v145
	v_mul_lo_u16 v133, 0xcd, v116
	v_mul_lo_u16 v117, 0xcd, v117
	v_cndmask_b32_e32 v129, v101, v80, vcc_lo
	v_cmp_lt_u16_e64 s4, v114, v99
	v_or_b32_sdwa v99, v116, v132 dst_sel:WORD_1 dst_unused:UNUSED_PAD src0_sel:DWORD src1_sel:DWORD
	v_cndmask_b32_e32 v80, v80, v101, vcc_lo
	v_lshrrev_b16 v101, 11, v133
	v_and_b32_e32 v116, 0xff, v130
	v_cndmask_b32_e64 v82, v82, v112, s4
	v_lshrrev_b16 v112, 11, v117
	v_and_b32_e32 v117, 0xff, v131
	v_lshlrev_b16 v132, 8, v113
	v_cndmask_b32_e64 v114, v103, v147, s4
	v_and_or_b32 v99, 0xffff, v82, v99
	v_cmp_lt_u16_e32 vcc_lo, v101, v112
	v_mul_lo_u16 v101, 0xcd, v128
	v_and_b32_e32 v128, 0xff, v113
	v_mul_lo_u16 v133, 0xcd, v117
	v_cndmask_b32_e64 v103, v147, v103, s4
	v_cndmask_b32_e32 v82, v82, v99, vcc_lo
	v_mul_lo_u16 v99, 0xcd, v116
	v_lshrrev_b16 v101, 11, v101
	v_cndmask_b32_e32 v116, v119, v145, vcc_lo
	v_cndmask_b32_e32 v119, v145, v119, vcc_lo
	v_lshlrev_b16 v145, 8, v9
	v_lshrrev_b16 v99, 11, v99
	v_perm_b32 v112, v87, v96, 0x3020104
	v_lshlrev_b16 v147, 8, v86
	v_cmp_lt_u16_e32 vcc_lo, v101, v99
	v_mul_lo_u16 v101, 0xcd, v128
	v_and_b32_e32 v128, 0xff, v83
	v_cndmask_b32_e32 v99, v115, v148, vcc_lo
	v_or_b32_sdwa v115, v117, v132 dst_sel:WORD_1 dst_unused:UNUSED_PAD src0_sel:DWORD src1_sel:DWORD
	v_lshrrev_b16 v117, 11, v133
	v_lshrrev_b16 v101, 11, v101
	v_cndmask_b32_e32 v133, v146, v130, vcc_lo
	v_cndmask_b32_e32 v130, v130, v146, vcc_lo
	v_and_or_b32 v115, 0xffff, v99, v115
	v_lshlrev_b16 v132, 8, v149
	v_cmp_lt_u16_e32 vcc_lo, v117, v101
	v_and_b32_e32 v117, 0xff, v3
	v_and_b32_e32 v101, 0xff, v149
	v_lshlrev_b16 v146, 8, v97
	v_or_b32_e32 v132, v128, v132
	v_cndmask_b32_e32 v99, v99, v115, vcc_lo
	v_and_b32_e32 v115, 0xff, v67
	v_mul_lo_u16 v117, 0xcd, v117
	v_mul_lo_u16 v128, 0xcd, v128
	;; [unrolled: 1-line block ×3, first 2 shown]
	v_cndmask_b32_e32 v134, v131, v113, vcc_lo
	v_mul_lo_u16 v115, 0xcd, v115
	v_lshrrev_b16 v117, 11, v117
	v_lshrrev_b16 v128, 11, v128
	v_lshrrev_b16 v101, 11, v101
	v_cndmask_b32_e32 v113, v113, v131, vcc_lo
	v_lshrrev_b16 v115, 11, v115
	v_and_b32_e32 v131, 0xff, v14
	v_and_b32_e32 v132, 0xffff, v132
	v_cmp_lt_u16_e64 s4, v128, v101
	v_and_b32_e32 v128, 0xff, v71
	v_cmp_lt_u16_e32 vcc_lo, v115, v117
	v_mul_lo_u16 v131, 0xcd, v131
	v_and_or_b32 v132, 0xffff0000, v144, v132
	v_cndmask_b32_e64 v115, v83, v149, s4
	v_mul_lo_u16 v128, 0xcd, v128
	v_cndmask_b32_e32 v7, v7, v81, vcc_lo
	v_lshlrev_b16 v81, 8, v71
	v_lshrrev_b16 v131, 11, v131
	v_cndmask_b32_e64 v101, v144, v132, s4
	v_lshrrev_b16 v128, 11, v128
	v_perm_b32 v135, v14, v7, 0xc0c0304
	v_or_b32_sdwa v81, v7, v81 dst_sel:DWORD dst_unused:UNUSED_PAD src0_sel:BYTE_0 src1_sel:DWORD
	v_and_b32_e32 v117, 0xff, v0
	v_cndmask_b32_e64 v83, v149, v83, s4
	v_and_b32_e32 v144, 0xff, v9
	v_cmp_lt_u16_e64 s4, v128, v131
	v_and_b32_e32 v81, 0xffff, v81
	v_mul_lo_u16 v132, 0xcd, v117
	v_and_b32_e32 v128, 0xff, v13
	v_or_b32_sdwa v117, v117, v145 dst_sel:WORD_1 dst_unused:UNUSED_PAD src0_sel:DWORD src1_sel:DWORD
	v_and_b32_e32 v145, 0xff, v97
	v_lshl_or_b32 v81, v135, 16, v81
	v_mul_lo_u16 v135, 0xcd, v144
	v_lshrrev_b16 v132, 11, v132
	v_mul_lo_u16 v128, 0xcd, v128
	v_lshlrev_b16 v144, 8, v70
	v_cndmask_b32_e64 v7, v7, v81, s4
	v_and_b32_e32 v81, 0xff, v70
	v_lshrrev_b16 v131, 11, v135
	v_lshrrev_b16 v128, 11, v128
	v_and_or_b32 v117, 0xffff, v101, v117
	v_and_b32_sdwa v135, v7, v1 dst_sel:DWORD dst_unused:UNUSED_PAD src0_sel:WORD_1 src1_sel:DWORD
	v_mul_lo_u16 v81, 0xcd, v81
	v_cmp_lt_u16_e64 s6, v132, v131
	v_and_b32_e32 v132, 0xff, v68
	v_or_b32_sdwa v131, v135, v144 dst_sel:WORD_1 dst_unused:UNUSED_PAD src0_sel:DWORD src1_sel:DWORD
	v_lshrrev_b16 v81, 11, v81
	v_lshlrev_b16 v135, 8, v68
	v_perm_b32 v144, v13, v84, 0x3020104
	v_cndmask_b32_e64 v101, v101, v117, s6
	v_and_or_b32 v131, 0xffff, v7, v131
	v_cmp_lt_u16_e64 s5, v81, v128
	v_mul_lo_u16 v81, 0xcd, v132
	v_and_b32_e32 v128, 0xff, v6
	v_or_b32_sdwa v132, v85, v135 dst_sel:DWORD dst_unused:UNUSED_PAD src0_sel:BYTE_0 src1_sel:DWORD
	v_perm_b32 v117, v116, v99, 0x3020104
	v_cndmask_b32_e64 v131, v7, v131, s5
	v_cndmask_b32_e64 v84, v84, v144, s5
	v_lshrrev_b16 v7, 11, v81
	v_mul_lo_u16 v81, 0xcd, v128
	v_and_b32_e32 v128, 0xffff, v132
	v_perm_b32 v132, v6, v85, 0xc0c0304
	v_and_b32_sdwa v135, v84, v10 dst_sel:DWORD dst_unused:UNUSED_PAD src0_sel:WORD_1 src1_sel:DWORD
	v_and_b32_e32 v144, 0xff, v118
	v_lshrrev_b16 v81, 11, v81
	v_lshl_or_b32 v128, v132, 16, v128
	v_or_b32_sdwa v132, v144, v135 dst_sel:WORD_1 dst_unused:UNUSED_PAD src0_sel:DWORD src1_sel:DWORD
	v_mul_lo_u16 v135, 0xcd, v145
	v_mul_lo_u16 v144, 0xcd, v144
	v_cmp_lt_u16_e64 s7, v7, v81
	v_or_b32_sdwa v145, v84, v146 dst_sel:DWORD dst_unused:UNUSED_PAD src0_sel:BYTE_0 src1_sel:DWORD
	v_lshlrev_b16 v146, 8, v102
	v_cndmask_b32_e64 v7, v0, v9, s6
	v_cndmask_b32_e64 v0, v9, v0, s6
	;; [unrolled: 1-line block ×3, first 2 shown]
	v_lshrrev_b16 v85, 11, v135
	v_lshrrev_b16 v128, 11, v144
	v_or_b32_sdwa v132, v145, v132 dst_sel:DWORD dst_unused:UNUSED_PAD src0_sel:WORD_0 src1_sel:DWORD
	v_and_b32_e32 v135, 0xff, v86
	v_and_b32_sdwa v144, v81, v1 dst_sel:DWORD dst_unused:UNUSED_PAD src0_sel:WORD_1 src1_sel:DWORD
	v_lshlrev_b16 v148, 8, v0
	v_cmp_lt_u16_e64 s10, v85, v128
	v_and_b32_e32 v85, 0xff, v102
	v_mul_lo_u16 v128, 0xcd, v135
	v_and_b32_e32 v135, 0xff, v8
	v_or_b32_sdwa v144, v144, v147 dst_sel:WORD_1 dst_unused:UNUSED_PAD src0_sel:DWORD src1_sel:DWORD
	v_cndmask_b32_e64 v84, v84, v132, s10
	v_and_b32_e32 v132, 0xff, v87
	v_mul_lo_u16 v85, 0xcd, v85
	v_mul_lo_u16 v135, 0xcd, v135
	v_lshrrev_b16 v128, 11, v128
	v_and_b32_sdwa v145, v84, v1 dst_sel:DWORD dst_unused:UNUSED_PAD src0_sel:WORD_1 src1_sel:DWORD
	v_mul_lo_u16 v132, 0xcd, v132
	v_lshrrev_b16 v85, 11, v85
	v_lshrrev_b16 v135, 11, v135
	v_or_b32_sdwa v145, v145, v146 dst_sel:WORD_1 dst_unused:UNUSED_PAD src0_sel:DWORD src1_sel:DWORD
	v_lshrrev_b16 v132, 11, v132
	v_lshlrev_b16 v146, 8, v103
	v_cmp_lt_u16_e64 s14, v128, v135
	v_and_b32_e32 v128, 0xff, v98
	v_and_b32_e32 v135, 0xff, v12
	v_cmp_lt_u16_e64 s11, v85, v132
	v_perm_b32 v85, v8, v100, 0x3020104
	v_and_or_b32 v132, 0xffff, v81, v144
	v_mul_lo_u16 v128, 0xcd, v128
	v_and_b32_e32 v144, 0xff, v69
	v_cndmask_b32_e64 v96, v96, v112, s11
	v_lshlrev_b16 v112, 8, v80
	v_cndmask_b32_e64 v85, v100, v85, s14
	v_and_b32_e32 v100, 0xff, v80
	v_cndmask_b32_e64 v81, v81, v132, s14
	v_perm_b32 v132, v98, v96, 0xc0c0304
	v_or_b32_sdwa v112, v96, v112 dst_sel:DWORD dst_unused:UNUSED_PAD src0_sel:BYTE_0 src1_sel:DWORD
	v_lshrrev_b16 v128, 11, v128
	v_mul_lo_u16 v100, 0xcd, v100
	v_and_b32_sdwa v9, v85, v10 dst_sel:DWORD dst_unused:UNUSED_PAD src0_sel:WORD_1 src1_sel:DWORD
	v_mul_lo_u16 v144, 0xcd, v144
	v_and_b32_e32 v112, 0xffff, v112
	v_and_or_b32 v145, 0xffff, v84, v145
	v_lshrrev_b16 v100, 11, v100
	v_or_b32_sdwa v9, v135, v9 dst_sel:WORD_1 dst_unused:UNUSED_PAD src0_sel:DWORD src1_sel:DWORD
	v_mul_lo_u16 v135, 0xcd, v135
	v_lshl_or_b32 v112, v132, 16, v112
	v_cndmask_b32_e64 v84, v84, v145, s11
	v_cmp_lt_u16_e64 s6, v100, v128
	v_and_b32_e32 v100, 0xff, v103
	v_and_b32_e32 v128, 0xff, v129
	v_lshrrev_b16 v135, 11, v135
	v_cndmask_b32_e64 v132, v68, v6, s7
	v_cndmask_b32_e64 v96, v96, v112, s6
	v_lshrrev_b16 v112, 11, v144
	v_lshlrev_b16 v144, 8, v69
	v_mul_lo_u16 v100, 0xcd, v100
	v_mul_lo_u16 v128, 0xcd, v128
	v_and_b32_sdwa v145, v96, v1 dst_sel:DWORD dst_unused:UNUSED_PAD src0_sel:WORD_1 src1_sel:DWORD
	v_cndmask_b32_e64 v6, v6, v68, s7
	v_or_b32_sdwa v144, v85, v144 dst_sel:DWORD dst_unused:UNUSED_PAD src0_sel:BYTE_0 src1_sel:DWORD
	v_lshrrev_b16 v100, 11, v100
	v_lshrrev_b16 v128, 11, v128
	v_or_b32_sdwa v145, v145, v146 dst_sel:WORD_1 dst_unused:UNUSED_PAD src0_sel:DWORD src1_sel:DWORD
	v_cmp_lt_u16_e64 s7, v112, v135
	v_or_b32_sdwa v9, v144, v9 dst_sel:DWORD dst_unused:UNUSED_PAD src0_sel:WORD_0 src1_sel:DWORD
	v_perm_b32 v144, v129, v82, 0x3020104
	v_cmp_lt_u16_e64 s15, v100, v128
	v_and_or_b32 v145, 0xffff, v96, v145
	v_and_b32_e32 v112, 0xff, v114
	v_cndmask_b32_e64 v9, v85, v9, s7
	v_cndmask_b32_e64 v85, v86, v8, s14
	;; [unrolled: 1-line block ×5, first 2 shown]
	v_and_b32_sdwa v86, v9, v1 dst_sel:DWORD dst_unused:UNUSED_PAD src0_sel:WORD_1 src1_sel:DWORD
	v_lshlrev_b16 v96, 8, v67
	v_and_b32_sdwa v100, v82, v10 dst_sel:DWORD dst_unused:UNUSED_PAD src0_sel:WORD_1 src1_sel:DWORD
	v_and_b32_e32 v128, 0xff, v119
	v_lshlrev_b16 v144, 8, v119
	v_cndmask_b32_e64 v135, v69, v12, s7
	v_or_b32_sdwa v86, v86, v96 dst_sel:WORD_1 dst_unused:UNUSED_PAD src0_sel:DWORD src1_sel:DWORD
	v_or_b32_sdwa v96, v112, v100 dst_sel:WORD_1 dst_unused:UNUSED_PAD src0_sel:DWORD src1_sel:DWORD
	v_mul_lo_u16 v100, 0xcd, v128
	v_mul_lo_u16 v112, 0xcd, v112
	v_or_b32_sdwa v128, v82, v144 dst_sel:DWORD dst_unused:UNUSED_PAD src0_sel:BYTE_0 src1_sel:DWORD
	v_cndmask_b32_e64 v12, v12, v69, s7
	v_and_or_b32 v69, 0xffff, v9, v86
	v_lshrrev_b16 v100, 11, v100
	v_lshrrev_b16 v112, 11, v112
	v_or_b32_sdwa v96, v128, v96 dst_sel:DWORD dst_unused:UNUSED_PAD src0_sel:WORD_0 src1_sel:DWORD
	v_cndmask_b32_e32 v128, v67, v3, vcc_lo
	v_cndmask_b32_e32 v9, v9, v69, vcc_lo
	v_and_b32_e32 v69, 0xff, v116
	v_cmp_lt_u16_e64 s7, v100, v112
	v_lshlrev_b16 v112, 8, v130
	v_cndmask_b32_e32 v67, v3, v67, vcc_lo
	v_and_b32_e32 v144, 0xff, v6
	v_mul_lo_u16 v69, 0xcd, v69
	v_cndmask_b32_e64 v82, v82, v96, s7
	v_and_b32_e32 v96, 0xff, v130
	v_lshlrev_b16 v145, 8, v2
	v_cndmask_b32_e64 v147, v103, v129, s15
	v_lshrrev_b16 v69, 11, v69
	v_and_b32_sdwa v100, v82, v1 dst_sel:DWORD dst_unused:UNUSED_PAD src0_sel:WORD_1 src1_sel:DWORD
	v_mul_lo_u16 v96, 0xcd, v96
	v_or_b32_e32 v86, v144, v145
	v_cndmask_b32_e64 v103, v129, v103, s15
	v_perm_b32 v129, v134, v101, 0x3020104
	v_or_b32_sdwa v100, v100, v112 dst_sel:WORD_1 dst_unused:UNUSED_PAD src0_sel:DWORD src1_sel:DWORD
	v_lshrrev_b16 v96, 11, v96
	v_cndmask_b32_e64 v112, v14, v71, s4
	v_cndmask_b32_e64 v14, v71, v14, s4
	v_mul_lo_u16 v144, 0xcd, v144
	v_and_or_b32 v3, 0xffff, v82, v100
	v_cmp_lt_u16_e32 vcc_lo, v96, v69
	v_and_b32_e32 v71, 0xff, v112
	v_lshlrev_b16 v96, 8, v128
	v_cndmask_b32_e64 v69, v70, v13, s5
	v_cndmask_b32_e64 v13, v13, v70, s5
	v_cndmask_b32_e32 v82, v82, v3, vcc_lo
	v_cndmask_b32_e32 v3, v99, v117, vcc_lo
	v_lshlrev_b16 v99, 8, v113
	v_or_b32_e32 v70, v71, v96
	v_and_b32_e32 v96, 0xff, v113
	v_and_b32_e32 v100, 0xff, v133
	v_perm_b32 v145, v133, v3, 0xc0c0304
	v_or_b32_sdwa v99, v3, v99 dst_sel:DWORD dst_unused:UNUSED_PAD src0_sel:BYTE_0 src1_sel:DWORD
	v_cndmask_b32_e64 v117, v97, v118, s10
	v_mul_lo_u16 v96, 0xcd, v96
	v_mul_lo_u16 v100, 0xcd, v100
	v_cndmask_b32_e64 v97, v118, v97, s10
	v_and_b32_e32 v99, 0xffff, v99
	v_cndmask_b32_e64 v118, v102, v87, s11
	v_lshrrev_b16 v96, 11, v96
	v_lshrrev_b16 v100, 11, v100
	v_cndmask_b32_e64 v87, v87, v102, s11
	v_lshl_or_b32 v99, v145, 16, v99
	v_cndmask_b32_e64 v102, v98, v80, s6
	v_cndmask_b32_e64 v80, v80, v98, s6
	v_cmp_lt_u16_e64 s4, v96, v100
	v_and_b32_e32 v96, 0xff, v83
	v_and_b32_e32 v98, 0xff, v134
	v_lshlrev_b16 v145, 8, v83
	v_lshlrev_b16 v146, 8, v118
	v_cndmask_b32_e64 v3, v3, v99, s4
	v_mul_lo_u16 v96, 0xcd, v96
	v_mul_lo_u16 v98, 0xcd, v98
	v_and_b32_e32 v99, 0xff, v102
	v_and_b32_e32 v86, 0xffff, v86
	v_and_b32_sdwa v100, v3, v1 dst_sel:DWORD dst_unused:UNUSED_PAD src0_sel:WORD_1 src1_sel:DWORD
	v_lshrrev_b16 v96, 11, v96
	v_lshrrev_b16 v98, 11, v98
	v_lshlrev_b16 v150, 8, v85
	v_and_or_b32 v86, 0xffff0000, v81, v86
	v_or_b32_sdwa v100, v100, v145 dst_sel:WORD_1 dst_unused:UNUSED_PAD src0_sel:DWORD src1_sel:DWORD
	v_or_b32_e32 v145, v99, v146
	v_cmp_lt_u16_e64 s5, v96, v98
	v_cndmask_b32_e64 v98, v119, v114, s7
	v_cndmask_b32_e64 v114, v114, v119, s7
	v_and_or_b32 v100, 0xffff, v3, v100
	v_and_b32_e32 v96, 0xffff, v145
	v_and_b32_e32 v145, 0xff, v0
	v_cndmask_b32_e64 v119, v133, v113, s4
	v_cndmask_b32_e64 v149, v83, v134, s5
	;; [unrolled: 1-line block ×4, first 2 shown]
	v_cndmask_b32_e32 v101, v130, v116, vcc_lo
	v_cndmask_b32_e32 v116, v116, v130, vcc_lo
	v_and_b32_e32 v130, 0xff, v115
	v_mul_lo_u16 v145, 0xcd, v145
	v_and_b32_sdwa v129, v3, v10 dst_sel:DWORD dst_unused:UNUSED_PAD src0_sel:WORD_1 src1_sel:DWORD
	v_or_b32_sdwa v148, v3, v148 dst_sel:DWORD dst_unused:UNUSED_PAD src0_sel:BYTE_0 src1_sel:DWORD
	v_cndmask_b32_e64 v83, v134, v83, s5
	v_and_b32_e32 v134, 0xff, v2
	v_lshrrev_b16 v145, 11, v145
	v_or_b32_sdwa v129, v130, v129 dst_sel:WORD_1 dst_unused:UNUSED_PAD src0_sel:DWORD src1_sel:DWORD
	v_mul_lo_u16 v130, 0xcd, v130
	v_cndmask_b32_e64 v113, v113, v133, s4
	v_and_b32_e32 v133, 0xff, v119
	v_lshlrev_b16 v146, 8, v101
	v_or_b32_sdwa v129, v148, v129 dst_sel:DWORD dst_unused:UNUSED_PAD src0_sel:WORD_0 src1_sel:DWORD
	v_lshrrev_b16 v130, 11, v130
	v_mul_lo_u16 v134, 0xcd, v134
	v_and_b32_e32 v148, 0xff, v12
	v_or_b32_e32 v146, v133, v146
	v_mul_lo_u16 v71, 0xcd, v71
	v_cmp_lt_u16_e32 vcc_lo, v145, v130
	v_and_b32_e32 v70, 0xffff, v70
	v_and_or_b32 v96, 0xffff0000, v68, v96
	v_and_b32_e32 v146, 0xffff, v146
	v_cndmask_b32_e32 v129, v3, v129, vcc_lo
	v_cndmask_b32_e32 v145, v0, v115, vcc_lo
	;; [unrolled: 1-line block ×3, first 2 shown]
	v_lshrrev_b16 v3, 11, v144
	v_lshrrev_b16 v115, 11, v134
	v_and_b32_e32 v134, 0xff, v8
	v_and_b32_e32 v144, 0xff, v132
	v_and_or_b32 v130, 0xffff0000, v100, v146
	v_lshlrev_b16 v146, 8, v132
	v_cmp_lt_u16_e32 vcc_lo, v3, v115
	v_and_or_b32 v70, 0xffff0000, v131, v70
	v_mul_lo_u16 v115, 0xcd, v144
	v_or_b32_e32 v144, v148, v150
	v_cndmask_b32_e32 v81, v81, v86, vcc_lo
	v_mul_lo_u16 v86, 0xcd, v134
	v_or_b32_sdwa v134, v134, v146 dst_sel:WORD_1 dst_unused:UNUSED_PAD src0_sel:DWORD src1_sel:DWORD
	v_cndmask_b32_e32 v3, v2, v6, vcc_lo
	v_lshrrev_b16 v115, 11, v115
	v_cndmask_b32_e32 v146, v6, v2, vcc_lo
	v_lshrrev_b16 v86, 11, v86
	v_and_b32_e32 v2, 0xff, v85
	v_and_or_b32 v134, 0xffff, v81, v134
	v_and_b32_e32 v144, 0xffff, v144
	v_cmp_lt_u16_e32 vcc_lo, v86, v115
	v_mul_lo_u16 v86, 0xcd, v148
	v_mul_lo_u16 v2, 0xcd, v2
	v_and_or_b32 v6, 0xffff0000, v9, v144
	v_and_b32_e32 v144, 0xff, v135
	v_cndmask_b32_e32 v81, v81, v134, vcc_lo
	v_and_b32_e32 v134, 0xff, v67
	v_lshrrev_b16 v86, 11, v86
	v_lshrrev_b16 v2, 11, v2
	v_cndmask_b32_e32 v115, v8, v132, vcc_lo
	v_cndmask_b32_e32 v132, v132, v8, vcc_lo
	v_mul_lo_u16 v8, 0xcd, v134
	v_mul_lo_u16 v144, 0xcd, v144
	v_cmp_lt_u16_e32 vcc_lo, v86, v2
	v_lshlrev_b16 v148, 8, v135
	v_lshrrev_b16 v86, 11, v144
	v_cndmask_b32_e32 v2, v9, v6, vcc_lo
	v_lshrrev_b16 v6, 11, v8
	v_and_b32_e32 v8, 0xff, v128
	v_or_b32_sdwa v9, v134, v148 dst_sel:WORD_1 dst_unused:UNUSED_PAD src0_sel:DWORD src1_sel:DWORD
	v_cndmask_b32_e32 v134, v12, v85, vcc_lo
	v_cndmask_b32_e32 v85, v85, v12, vcc_lo
	v_cmp_lt_u16_e64 s4, v6, v86
	v_mul_lo_u16 v8, 0xcd, v8
	v_and_or_b32 v9, 0xffff, v2, v9
	v_lshrrev_b16 v6, 11, v71
	v_lshlrev_b16 v12, 8, v14
	v_cndmask_b32_e64 v86, v67, v135, s4
	v_lshrrev_b16 v8, 11, v8
	v_cndmask_b32_e64 v71, v2, v9, s4
	v_and_b32_e32 v2, 0xff, v13
	v_cndmask_b32_e64 v67, v135, v67, s4
	v_cmp_lt_u16_e32 vcc_lo, v6, v8
	v_and_b32_e32 v8, 0xff, v14
	v_mul_lo_u16 v9, 0xcd, v2
	v_or_b32_sdwa v2, v2, v12 dst_sel:WORD_1 dst_unused:UNUSED_PAD src0_sel:DWORD src1_sel:DWORD
	v_cndmask_b32_e32 v6, v131, v70, vcc_lo
	v_and_b32_e32 v70, 0xff, v97
	v_lshlrev_b16 v131, 8, v69
	v_mul_lo_u16 v8, 0xcd, v8
	v_cndmask_b32_e32 v135, v112, v128, vcc_lo
	v_lshrrev_b16 v9, 11, v9
	v_cndmask_b32_e32 v112, v128, v112, vcc_lo
	v_or_b32_e32 v12, v70, v131
	v_lshrrev_b16 v8, 11, v8
	v_and_b32_e32 v128, 0xff, v69
	v_and_or_b32 v2, 0xffff, v6, v2
	v_and_b32_e32 v12, 0xffff, v12
	v_cmp_lt_u16_e32 vcc_lo, v9, v8
	v_mul_lo_u16 v8, 0xcd, v70
	v_mul_lo_u16 v9, 0xcd, v128
	v_cndmask_b32_e32 v70, v6, v2, vcc_lo
	v_and_or_b32 v2, 0xffff0000, v84, v12
	v_lshrrev_b16 v6, 11, v8
	v_lshrrev_b16 v8, 11, v9
	v_and_b32_e32 v9, 0xff, v87
	v_and_b32_e32 v12, 0xff, v117
	v_cndmask_b32_e32 v128, v13, v14, vcc_lo
	v_cndmask_b32_e32 v13, v14, v13, vcc_lo
	v_lshlrev_b16 v14, 8, v117
	v_cmp_lt_u16_e32 vcc_lo, v6, v8
	v_mul_lo_u16 v6, 0xcd, v9
	v_mul_lo_u16 v8, 0xcd, v12
	v_and_b32_e32 v12, 0xff, v118
	v_or_b32_sdwa v9, v9, v14 dst_sel:WORD_1 dst_unused:UNUSED_PAD src0_sel:DWORD src1_sel:DWORD
	v_cndmask_b32_e32 v2, v84, v2, vcc_lo
	v_lshrrev_b16 v6, 11, v6
	v_lshrrev_b16 v8, 11, v8
	v_cndmask_b32_e32 v14, v97, v69, vcc_lo
	v_mul_lo_u16 v84, 0xcd, v99
	v_and_or_b32 v9, 0xffff, v2, v9
	v_mul_lo_u16 v12, 0xcd, v12
	v_cndmask_b32_e32 v69, v69, v97, vcc_lo
	v_cmp_lt_u16_e32 vcc_lo, v6, v8
	v_and_b32_e32 v8, 0xff, v103
	v_lshrrev_b16 v6, 11, v12
	v_cndmask_b32_e32 v97, v2, v9, vcc_lo
	v_lshrrev_b16 v2, 11, v84
	v_cndmask_b32_e32 v99, v87, v117, vcc_lo
	v_cndmask_b32_e32 v87, v117, v87, vcc_lo
	v_lshlrev_b16 v9, 8, v80
	v_mul_lo_u16 v12, 0xcd, v8
	v_cmp_lt_u16_e32 vcc_lo, v2, v6
	v_and_b32_e32 v6, 0xff, v80
	v_perm_b32 v84, v86, v70, 0x3020104
	v_or_b32_sdwa v8, v8, v9 dst_sel:WORD_1 dst_unused:UNUSED_PAD src0_sel:DWORD src1_sel:DWORD
	v_lshrrev_b16 v9, 11, v12
	v_cndmask_b32_e32 v2, v68, v96, vcc_lo
	v_mul_lo_u16 v6, 0xcd, v6
	v_and_b32_e32 v68, 0xff, v114
	v_lshlrev_b16 v96, 8, v147
	v_cndmask_b32_e32 v117, v102, v118, vcc_lo
	v_and_or_b32 v8, 0xffff, v2, v8
	v_lshrrev_b16 v6, 11, v6
	v_or_b32_e32 v12, v68, v96
	v_cndmask_b32_e32 v96, v118, v102, vcc_lo
	v_and_b32_e32 v102, 0xff, v147
	v_cmp_lt_u16_e32 vcc_lo, v9, v6
	v_and_b32_e32 v9, 0xff, v116
	v_and_b32_e32 v12, 0xffff, v12
	v_mul_lo_u16 v6, 0xcd, v102
	v_cndmask_b32_e32 v118, v2, v8, vcc_lo
	v_mul_lo_u16 v2, 0xcd, v68
	v_and_or_b32 v8, 0xffff0000, v82, v12
	v_cndmask_b32_e32 v68, v103, v80, vcc_lo
	v_lshrrev_b16 v6, 11, v6
	v_cndmask_b32_e32 v80, v80, v103, vcc_lo
	v_lshrrev_b16 v2, 11, v2
	v_and_b32_e32 v102, 0xff, v98
	v_mul_lo_u16 v12, 0xcd, v9
	v_lshlrev_b16 v103, 8, v98
	v_perm_b32 v131, v99, v118, 0x3020104
	v_cmp_lt_u16_e32 vcc_lo, v2, v6
	v_and_b32_e32 v6, 0xff, v101
	v_lshrrev_b16 v12, 11, v12
	v_or_b32_sdwa v9, v9, v103 dst_sel:WORD_1 dst_unused:UNUSED_PAD src0_sel:DWORD src1_sel:DWORD
	v_cndmask_b32_e32 v2, v82, v8, vcc_lo
	v_mul_lo_u16 v8, 0xcd, v102
	v_mul_lo_u16 v82, 0xcd, v133
	v_mul_lo_u16 v6, 0xcd, v6
	v_cndmask_b32_e32 v102, v114, v147, vcc_lo
	v_and_or_b32 v9, 0xffff, v2, v9
	v_lshrrev_b16 v8, 11, v8
	v_lshrrev_b16 v82, 11, v82
	;; [unrolled: 1-line block ×3, first 2 shown]
	v_cndmask_b32_e32 v103, v147, v114, vcc_lo
	v_and_b32_e32 v133, 0xff, v135
	v_cmp_lt_u16_e64 s4, v12, v8
	v_lshlrev_b16 v12, 8, v113
	v_cmp_lt_u16_e32 vcc_lo, v82, v6
	v_and_b32_e32 v6, 0xff, v83
	v_mul_lo_u16 v133, 0xcd, v133
	v_cndmask_b32_e64 v114, v2, v9, s4
	v_and_b32_e32 v9, 0xff, v113
	v_cndmask_b32_e32 v2, v100, v130, vcc_lo
	v_cndmask_b32_e32 v8, v119, v101, vcc_lo
	;; [unrolled: 1-line block ×3, first 2 shown]
	v_mul_lo_u16 v101, 0xcd, v6
	v_mul_lo_u16 v9, 0xcd, v9
	v_cndmask_b32_e64 v82, v116, v98, s4
	v_cndmask_b32_e64 v98, v98, v116, s4
	v_and_b32_e32 v116, 0xff, v0
	v_lshlrev_b16 v119, 8, v149
	v_or_b32_sdwa v6, v6, v12 dst_sel:WORD_1 dst_unused:UNUSED_PAD src0_sel:DWORD src1_sel:DWORD
	v_lshrrev_b16 v12, 11, v101
	v_and_b32_e32 v101, 0xff, v149
	v_lshrrev_b16 v9, 11, v9
	v_or_b32_e32 v119, v116, v119
	v_and_or_b32 v6, 0xffff, v2, v6
	v_mul_lo_u16 v116, 0xcd, v116
	v_mul_lo_u16 v101, 0xcd, v101
	v_cmp_lt_u16_e32 vcc_lo, v12, v9
	v_and_b32_e32 v119, 0xffff, v119
	v_lshrrev_b16 v133, 11, v133
	v_lshlrev_b16 v147, 8, v67
	v_lshrrev_b16 v9, 11, v101
	v_cndmask_b32_e32 v130, v2, v6, vcc_lo
	v_lshrrev_b16 v2, 11, v116
	v_cndmask_b32_e32 v6, v83, v113, vcc_lo
	v_and_b32_e32 v116, 0xff, v7
	v_cndmask_b32_e32 v12, v113, v83, vcc_lo
	v_lshlrev_b16 v83, 8, v145
	v_cmp_lt_u16_e32 vcc_lo, v2, v9
	v_and_b32_e32 v9, 0xff, v145
	v_and_or_b32 v101, 0xffff0000, v129, v119
	v_mul_lo_u16 v113, 0xcd, v116
	v_or_b32_sdwa v83, v116, v83 dst_sel:WORD_1 dst_unused:UNUSED_PAD src0_sel:DWORD src1_sel:DWORD
	v_and_b32_e32 v116, 0xff, v112
	v_mul_lo_u16 v9, 0xcd, v9
	v_and_b32_e32 v119, 0xff, v86
	v_cndmask_b32_e32 v101, v129, v101, vcc_lo
	v_cndmask_b32_e32 v2, v0, v149, vcc_lo
	v_lshrrev_b16 v113, 11, v113
	v_lshrrev_b16 v129, 11, v9
	v_cndmask_b32_e32 v9, v149, v0, vcc_lo
	v_mul_lo_u16 v0, 0xcd, v116
	v_mul_lo_u16 v116, 0xcd, v119
	v_and_or_b32 v83, 0xffff, v101, v83
	v_cmp_lt_u16_e32 vcc_lo, v113, v129
	v_and_b32_e32 v129, 0xff, v13
	v_lshrrev_b16 v113, 11, v0
	v_lshrrev_b16 v116, 11, v116
	v_perm_b32 v119, v82, v130, 0x3020104
	v_cndmask_b32_e32 v83, v101, v83, vcc_lo
	v_cndmask_b32_e32 v0, v7, v145, vcc_lo
	;; [unrolled: 1-line block ×3, first 2 shown]
	v_cmp_lt_u16_e32 vcc_lo, v113, v116
	v_and_b32_e32 v101, 0xff, v132
	v_and_b32_e32 v113, 0xff, v146
	v_lshlrev_b16 v116, 8, v132
	v_mul_lo_u16 v129, 0xcd, v129
	v_cndmask_b32_e32 v70, v70, v84, vcc_lo
	v_lshlrev_b16 v84, 8, v13
	v_mul_lo_u16 v101, 0xcd, v101
	v_mul_lo_u16 v113, 0xcd, v113
	v_or_b32_sdwa v116, v81, v116 dst_sel:DWORD dst_unused:UNUSED_PAD src0_sel:BYTE_0 src1_sel:DWORD
	v_perm_b32 v144, v135, v70, 0xc0c0304
	v_or_b32_sdwa v84, v70, v84 dst_sel:DWORD dst_unused:UNUSED_PAD src0_sel:BYTE_0 src1_sel:DWORD
	v_lshrrev_b16 v129, 11, v129
	v_perm_b32 v145, v146, v81, 0xc0c0304
	v_and_b32_e32 v116, 0xffff, v116
	v_lshrrev_b16 v101, 11, v101
	v_and_b32_e32 v84, 0xffff, v84
	v_lshrrev_b16 v113, 11, v113
	v_cmp_lt_u16_e64 s4, v129, v133
	v_lshl_or_b32 v116, v145, 16, v116
	v_and_b32_e32 v129, 0xff, v128
	v_lshl_or_b32 v84, v144, 16, v84
	v_cmp_lt_u16_e64 s5, v101, v113
	v_lshlrev_b16 v113, 8, v69
	v_and_b32_e32 v133, 0xff, v85
	v_lshlrev_b16 v144, 8, v85
	v_cndmask_b32_e64 v70, v70, v84, s4
	v_and_b32_e32 v84, 0xff, v69
	v_cndmask_b32_e64 v81, v81, v116, s5
	v_mul_lo_u16 v116, 0xcd, v129
	v_perm_b32 v145, v128, v97, 0x3020104
	v_and_b32_sdwa v101, v70, v1 dst_sel:DWORD dst_unused:UNUSED_PAD src0_sel:WORD_1 src1_sel:DWORD
	v_mul_lo_u16 v84, 0xcd, v84
	v_and_b32_sdwa v129, v81, v1 dst_sel:DWORD dst_unused:UNUSED_PAD src0_sel:WORD_1 src1_sel:DWORD
	v_and_b32_e32 v0, 0xff, v0
	v_or_b32_sdwa v101, v101, v113 dst_sel:WORD_1 dst_unused:UNUSED_PAD src0_sel:DWORD src1_sel:DWORD
	v_lshrrev_b16 v84, 11, v84
	v_lshrrev_b16 v113, 11, v116
	v_and_b32_e32 v116, 0xff, v115
	v_and_or_b32 v101, 0xffff, v70, v101
	v_cmp_lt_u16_e64 s6, v84, v113
	v_mul_lo_u16 v84, 0xcd, v133
	v_mul_lo_u16 v113, 0xcd, v116
	v_or_b32_sdwa v116, v129, v144 dst_sel:WORD_1 dst_unused:UNUSED_PAD src0_sel:DWORD src1_sel:DWORD
	v_and_b32_e32 v133, 0xff, v14
	v_cndmask_b32_e64 v97, v97, v145, s6
	v_lshrrev_b16 v84, 11, v84
	v_lshrrev_b16 v113, 11, v113
	v_and_or_b32 v116, 0xffff, v81, v116
	v_and_b32_e32 v144, 0xff, v87
	v_and_b32_sdwa v129, v97, v10 dst_sel:DWORD dst_unused:UNUSED_PAD src0_sel:WORD_1 src1_sel:DWORD
	v_lshlrev_b16 v145, 8, v87
	v_cmp_lt_u16_e64 s7, v84, v113
	v_cndmask_b32_e64 v70, v70, v101, s6
	v_mul_lo_u16 v113, 0xcd, v144
	v_perm_b32 v101, v115, v71, 0x3020104
	v_or_b32_sdwa v84, v133, v129 dst_sel:WORD_1 dst_unused:UNUSED_PAD src0_sel:DWORD src1_sel:DWORD
	v_cndmask_b32_e64 v81, v81, v116, s7
	v_mul_lo_u16 v116, 0xcd, v133
	v_or_b32_sdwa v129, v97, v145 dst_sel:DWORD dst_unused:UNUSED_PAD src0_sel:BYTE_0 src1_sel:DWORD
	v_lshrrev_b16 v113, 11, v113
	v_cndmask_b32_e64 v71, v71, v101, s7
	v_cndmask_b32_e64 v101, v132, v146, s5
	v_lshrrev_b16 v116, 11, v116
	v_or_b32_sdwa v84, v129, v84 dst_sel:DWORD dst_unused:UNUSED_PAD src0_sel:WORD_0 src1_sel:DWORD
	v_cndmask_b32_e64 v132, v146, v132, s5
	v_and_b32_sdwa v129, v71, v10 dst_sel:DWORD dst_unused:UNUSED_PAD src0_sel:WORD_1 src1_sel:DWORD
	v_and_b32_e32 v133, 0xff, v134
	v_cmp_lt_u16_e64 s5, v113, v116
	v_and_b32_e32 v116, 0xff, v99
	v_lshlrev_b16 v145, 8, v96
	v_and_b32_e32 v146, 0xff, v67
	v_or_b32_sdwa v113, v133, v129 dst_sel:WORD_1 dst_unused:UNUSED_PAD src0_sel:DWORD src1_sel:DWORD
	v_cndmask_b32_e64 v84, v97, v84, s5
	v_and_b32_e32 v97, 0xff, v96
	v_mul_lo_u16 v116, 0xcd, v116
	v_mul_lo_u16 v133, 0xcd, v133
	v_cndmask_b32_e64 v129, v85, v115, s7
	v_and_b32_sdwa v144, v84, v1 dst_sel:DWORD dst_unused:UNUSED_PAD src0_sel:WORD_1 src1_sel:DWORD
	v_mul_lo_u16 v97, 0xcd, v97
	v_lshrrev_b16 v116, 11, v116
	v_cndmask_b32_e64 v85, v115, v85, s7
	v_and_b32_e32 v132, 0xff, v132
	v_or_b32_sdwa v144, v144, v145 dst_sel:WORD_1 dst_unused:UNUSED_PAD src0_sel:DWORD src1_sel:DWORD
	v_lshrrev_b16 v97, 11, v97
	v_mul_lo_u16 v145, 0xcd, v146
	v_or_b32_sdwa v146, v71, v147 dst_sel:DWORD dst_unused:UNUSED_PAD src0_sel:BYTE_0 src1_sel:DWORD
	v_and_b32_e32 v85, 0xff, v85
	v_and_or_b32 v144, 0xffff, v84, v144
	v_cmp_lt_u16_e64 s10, v97, v116
	v_lshrrev_b16 v97, 11, v145
	v_lshrrev_b16 v116, 11, v133
	v_or_b32_sdwa v113, v146, v113 dst_sel:DWORD dst_unused:UNUSED_PAD src0_sel:WORD_0 src1_sel:DWORD
	v_cndmask_b32_e64 v118, v118, v131, s10
	v_lshlrev_b16 v131, 8, v80
	v_cmp_lt_u16_e64 s11, v97, v116
	v_and_b32_e32 v97, 0xff, v80
	v_cndmask_b32_e64 v84, v84, v144, s10
	v_perm_b32 v133, v117, v118, 0xc0c0304
	v_or_b32_sdwa v115, v118, v131 dst_sel:DWORD dst_unused:UNUSED_PAD src0_sel:BYTE_0 src1_sel:DWORD
	v_cndmask_b32_e64 v71, v71, v113, s11
	v_and_b32_e32 v113, 0xff, v117
	v_mul_lo_u16 v97, 0xcd, v97
	v_lshlrev_b16 v144, 8, v112
	v_and_b32_e32 v115, 0xffff, v115
	v_and_b32_sdwa v116, v71, v1 dst_sel:DWORD dst_unused:UNUSED_PAD src0_sel:WORD_1 src1_sel:DWORD
	v_mul_lo_u16 v113, 0xcd, v113
	v_lshrrev_b16 v97, 11, v97
	v_cndmask_b32_e64 v131, v67, v134, s11
	v_lshl_or_b32 v115, v133, 16, v115
	v_or_b32_sdwa v116, v116, v144 dst_sel:WORD_1 dst_unused:UNUSED_PAD src0_sel:DWORD src1_sel:DWORD
	v_lshrrev_b16 v113, 11, v113
	v_lshlrev_b16 v133, 8, v3
	v_cndmask_b32_e64 v67, v134, v67, s11
	v_lshlrev_b16 v134, 8, v103
	v_lshlrev_b16 v144, 8, v98
	v_cmp_lt_u16_e64 s7, v97, v113
	v_and_b32_e32 v113, 0xff, v103
	v_and_b32_e32 v3, 0xff, v3
	v_cndmask_b32_e64 v97, v118, v115, s7
	v_and_or_b32 v115, 0xffff, v71, v116
	v_and_b32_e32 v116, 0xff, v68
	v_mul_lo_u16 v113, 0xcd, v113
	v_or_b32_e32 v118, v132, v133
	v_and_b32_sdwa v133, v97, v1 dst_sel:DWORD dst_unused:UNUSED_PAD src0_sel:WORD_1 src1_sel:DWORD
	v_cndmask_b32_e32 v71, v71, v115, vcc_lo
	v_mul_lo_u16 v116, 0xcd, v116
	v_lshrrev_b16 v113, 11, v113
	v_mul_lo_u16 v3, 0xcd, v3
	v_or_b32_sdwa v115, v133, v134 dst_sel:WORD_1 dst_unused:UNUSED_PAD src0_sel:DWORD src1_sel:DWORD
	v_perm_b32 v134, v68, v114, 0x3020104
	v_lshrrev_b16 v116, 11, v116
	v_cndmask_b32_e32 v133, v112, v86, vcc_lo
	v_cndmask_b32_e32 v86, v86, v112, vcc_lo
	v_and_or_b32 v115, 0xffff, v97, v115
	v_cndmask_b32_e64 v112, v13, v135, s4
	v_cmp_lt_u16_e64 s11, v113, v116
	v_cndmask_b32_e64 v13, v135, v13, s4
	v_cndmask_b32_e64 v135, v87, v14, s5
	;; [unrolled: 1-line block ×3, first 2 shown]
	v_and_b32_e32 v118, 0xffff, v118
	v_cndmask_b32_e64 v113, v114, v134, s11
	v_cndmask_b32_e64 v114, v69, v128, s6
	;; [unrolled: 1-line block ×3, first 2 shown]
	v_and_b32_e32 v128, 0xff, v102
	v_and_b32_e32 v134, 0xff, v98
	v_and_b32_sdwa v116, v113, v10 dst_sel:DWORD dst_unused:UNUSED_PAD src0_sel:WORD_1 src1_sel:DWORD
	v_cndmask_b32_e64 v97, v97, v115, s11
	v_and_b32_e32 v115, 0xff, v13
	v_lshlrev_b16 v13, 8, v133
	v_mul_lo_u16 v134, 0xcd, v134
	v_or_b32_sdwa v116, v128, v116 dst_sel:WORD_1 dst_unused:UNUSED_PAD src0_sel:DWORD src1_sel:DWORD
	v_mul_lo_u16 v128, 0xcd, v128
	v_or_b32_sdwa v144, v113, v144 dst_sel:DWORD dst_unused:UNUSED_PAD src0_sel:BYTE_0 src1_sel:DWORD
	v_or_b32_e32 v13, v115, v13
	v_lshrrev_b16 v14, 11, v134
	v_lshrrev_b16 v3, 11, v3
	;; [unrolled: 1-line block ×3, first 2 shown]
	v_or_b32_sdwa v116, v144, v116 dst_sel:DWORD dst_unused:UNUSED_PAD src0_sel:WORD_0 src1_sel:DWORD
	v_and_b32_e32 v13, 0xffff, v13
	v_cndmask_b32_e64 v144, v96, v99, s10
	v_cndmask_b32_e64 v96, v99, v96, s10
	v_cmp_lt_u16_e32 vcc_lo, v14, v128
	v_and_b32_e32 v14, 0xff, v100
	v_and_or_b32 v134, 0xffff0000, v70, v13
	v_cndmask_b32_e64 v99, v80, v117, s7
	v_cndmask_b32_e64 v80, v117, v80, s7
	v_cndmask_b32_e32 v13, v113, v116, vcc_lo
	v_and_b32_e32 v113, 0xff, v82
	v_mul_lo_u16 v14, 0xcd, v14
	v_lshlrev_b16 v117, 8, v100
	v_and_b32_e32 v80, 0xff, v80
	v_and_b32_sdwa v116, v13, v1 dst_sel:DWORD dst_unused:UNUSED_PAD src0_sel:WORD_1 src1_sel:DWORD
	v_mul_lo_u16 v113, 0xcd, v113
	v_lshlrev_b16 v128, 8, v144
	v_lshrrev_b16 v14, 11, v14
	v_and_or_b32 v118, 0xffff0000, v81, v118
	v_or_b32_sdwa v116, v116, v117 dst_sel:WORD_1 dst_unused:UNUSED_PAD src0_sel:DWORD src1_sel:DWORD
	v_lshrrev_b16 v113, 11, v113
	v_or_b32_e32 v128, v80, v128
	v_cndmask_b32_e64 v117, v103, v68, s11
	v_cndmask_b32_e64 v103, v68, v103, s11
	v_and_or_b32 v68, 0xffff, v13, v116
	v_cmp_lt_u16_e64 s4, v14, v113
	v_and_b32_e32 v14, 0xffff, v128
	v_cndmask_b32_e32 v113, v98, v102, vcc_lo
	v_cndmask_b32_e32 v98, v102, v98, vcc_lo
	v_and_b32_e32 v69, 0xff, v69
	v_cndmask_b32_e64 v102, v13, v68, s4
	v_cndmask_b32_e64 v13, v130, v119, s4
	v_lshlrev_b16 v68, 8, v12
	v_and_or_b32 v116, 0xffff0000, v97, v14
	v_and_b32_e32 v14, 0xff, v12
	v_and_b32_e32 v119, 0xff, v8
	v_cndmask_b32_e64 v128, v100, v82, s4
	v_or_b32_sdwa v68, v13, v68 dst_sel:DWORD dst_unused:UNUSED_PAD src0_sel:BYTE_0 src1_sel:DWORD
	v_cndmask_b32_e64 v82, v82, v100, s4
	v_mul_lo_u16 v14, 0xcd, v14
	v_mul_lo_u16 v100, 0xcd, v119
	v_perm_b32 v119, v8, v13, 0xc0c0304
	v_and_b32_e32 v68, 0xffff, v68
	v_mul_lo_u16 v130, 0xcd, v132
	v_lshrrev_b16 v14, 11, v14
	v_lshrrev_b16 v100, 11, v100
	v_lshlrev_b16 v132, 8, v128
	v_lshl_or_b32 v68, v119, 16, v68
	v_lshrrev_b16 v119, 11, v130
	v_and_b32_e32 v98, 0xff, v98
	v_cmp_lt_u16_e64 s4, v14, v100
	v_and_b32_e32 v14, 0xff, v67
	v_lshlrev_b16 v67, 8, v129
	v_cmp_lt_u16_e32 vcc_lo, v119, v3
	v_and_b32_e32 v82, 0xff, v82
	v_cndmask_b32_e64 v100, v13, v68, s4
	v_and_b32_e32 v68, 0xff, v101
	v_mul_lo_u16 v13, 0xcd, v85
	v_cndmask_b32_e32 v3, v81, v118, vcc_lo
	v_lshlrev_b16 v81, 8, v101
	v_and_b32_e32 v101, 0xff, v129
	v_mul_lo_u16 v68, 0xcd, v68
	v_or_b32_e32 v67, v14, v67
	v_lshrrev_b16 v13, 11, v13
	v_or_b32_sdwa v81, v85, v81 dst_sel:WORD_1 dst_unused:UNUSED_PAD src0_sel:DWORD src1_sel:DWORD
	v_mul_lo_u16 v14, 0xcd, v14
	v_mul_lo_u16 v85, 0xcd, v101
	v_lshrrev_b16 v68, 11, v68
	v_and_b32_e32 v67, 0xffff, v67
	v_and_or_b32 v81, 0xffff, v3, v81
	v_lshrrev_b16 v14, 11, v14
	v_lshrrev_b16 v85, 11, v85
	v_cmp_lt_u16_e32 vcc_lo, v13, v68
	v_and_or_b32 v67, 0xffff0000, v71, v67
	v_and_b32_e32 v68, 0xff, v131
	v_and_b32_e32 v129, 0xff, v9
	v_perm_b32 v101, v6, v83, 0x3020104
	v_cndmask_b32_e32 v13, v3, v81, vcc_lo
	v_cmp_lt_u16_e32 vcc_lo, v14, v85
	v_mul_lo_u16 v68, 0xcd, v68
	v_and_b32_sdwa v81, v100, v1 dst_sel:DWORD dst_unused:UNUSED_PAD src0_sel:WORD_1 src1_sel:DWORD
	v_and_b32_e32 v128, 0xff, v128
	v_lshrrev_b32_e32 v3, 16, v13
	v_cndmask_b32_e32 v14, v71, v67, vcc_lo
	v_lshrrev_b32_e32 v85, 8, v13
	v_and_b32_e32 v67, 0xff, v86
	v_lshlrev_b16 v71, 8, v131
	v_and_b32_e32 v86, 0xff, v3
	v_lshrrev_b16 v68, 11, v68
	v_and_b32_e32 v118, 0xff, v85
	v_mul_lo_u16 v119, 0xcd, v67
	v_or_b32_sdwa v67, v67, v71 dst_sel:WORD_1 dst_unused:UNUSED_PAD src0_sel:DWORD src1_sel:DWORD
	v_mul_lo_u16 v71, 0xcd, v86
	v_mul_lo_u16 v128, 0xcd, v128
	;; [unrolled: 1-line block ×3, first 2 shown]
	v_lshrrev_b16 v118, 11, v119
	v_and_or_b32 v67, 0xffff, v14, v67
	v_lshrrev_b16 v71, 11, v71
	v_perm_b32 v119, v13, v13, 0x7050604
	v_lshrrev_b16 v86, 11, v86
	v_cmp_lt_u16_e32 vcc_lo, v118, v68
	v_lshlrev_b16 v118, 8, v9
	v_cndmask_b32_e32 v14, v14, v67, vcc_lo
	v_cmp_lt_u16_e32 vcc_lo, v71, v86
	v_and_b32_e32 v86, 0xff, v6
	v_cndmask_b32_e64 v71, v12, v8, s4
	v_cndmask_b32_e64 v8, v8, v12, s4
	v_cndmask_b32_e32 v13, v13, v119, vcc_lo
	v_mul_lo_u16 v119, 0xcd, v129
	v_mul_lo_u16 v12, 0xcd, v86
	v_and_b32_e32 v86, 0xff, v14
	v_mul_lo_u16 v129, 0xcd, v69
	v_lshrrev_b64 v[67:68], 24, v[13:14]
	v_or_b32_sdwa v68, v81, v118 dst_sel:WORD_1 dst_unused:UNUSED_PAD src0_sel:DWORD src1_sel:DWORD
	v_lshrrev_b16 v81, 11, v119
	v_lshrrev_b16 v12, 11, v12
	v_and_b32_e32 v119, 0xff, v133
	v_mul_lo_u16 v86, 0xcd, v86
	v_and_b32_e32 v118, 0xff, v67
	v_and_or_b32 v68, 0xffff, v100, v68
	v_cmp_lt_u16_e64 s6, v81, v12
	v_mul_lo_u16 v81, 0xcd, v119
	v_lshrrev_b16 v86, 11, v86
	v_mul_lo_u16 v118, 0xcd, v118
	v_cndmask_b32_e64 v12, v100, v68, s6
	v_mul_lo_u16 v68, 0xcd, v115
	v_perm_b32 v115, v13, v14, 0x3020107
	v_lshrrev_b16 v100, 11, v118
	v_lshrrev_b16 v81, 11, v81
	v_cndmask_b32_e64 v83, v83, v101, s6
	v_lshrrev_b16 v68, 11, v68
	v_and_b32_e32 v101, 0xff, v2
	v_cmp_lt_u16_e64 s4, v86, v100
	v_and_b32_sdwa v100, v83, v10 dst_sel:DWORD dst_unused:UNUSED_PAD src0_sel:WORD_1 src1_sel:DWORD
	v_cmp_lt_u16_e64 s5, v68, v81
	v_cndmask_b32_e64 v86, v14, v115, s4
	v_cndmask_b32_e64 v68, v70, v134, s5
	v_and_b32_e32 v70, 0xff, v112
	v_lshrrev_b32_e32 v81, 16, v86
	v_lshrrev_b32_e32 v115, 8, v86
	v_lshlrev_b16 v112, 8, v112
	v_mul_lo_u16 v70, 0xcd, v70
	v_and_b32_e32 v118, 0xff, v81
	v_and_b32_e32 v119, 0xff, v115
	v_or_b32_sdwa v69, v69, v112 dst_sel:WORD_1 dst_unused:UNUSED_PAD src0_sel:DWORD src1_sel:DWORD
	v_lshrrev_b16 v70, 11, v70
	v_mul_lo_u16 v112, 0xcd, v118
	v_mul_lo_u16 v118, 0xcd, v119
	v_lshrrev_b16 v119, 11, v129
	v_and_or_b32 v69, 0xffff, v68, v69
	v_perm_b32 v129, v86, v86, 0x7050604
	v_lshrrev_b16 v112, 11, v112
	v_lshrrev_b16 v118, 11, v118
	v_cmp_lt_u16_e64 s5, v119, v70
	v_or_b32_sdwa v70, v101, v100 dst_sel:WORD_1 dst_unused:UNUSED_PAD src0_sel:DWORD src1_sel:DWORD
	v_mul_lo_u16 v101, 0xcd, v101
	v_cndmask_b32_e64 v119, v68, v69, s5
	v_cmp_lt_u16_e64 s5, v112, v118
	v_and_b32_e32 v68, 0xff, v87
	v_lshlrev_b16 v69, 8, v114
	v_cndmask_b32_e64 v87, v9, v6, s6
	v_and_b32_e32 v100, 0xff, v119
	v_cndmask_b32_e64 v86, v86, v129, s5
	v_cndmask_b32_e64 v118, v6, v9, s6
	v_and_b32_e32 v6, 0xff, v114
	v_or_b32_e32 v69, v68, v69
	v_mul_lo_u16 v9, 0xcd, v100
	v_lshrrev_b32_e32 v112, 24, v86
	v_mul_lo_u16 v68, 0xcd, v68
	v_mul_lo_u16 v6, 0xcd, v6
	v_and_b32_e32 v69, 0xffff, v69
	v_lshrrev_b16 v9, 11, v9
	v_mul_lo_u16 v100, 0xcd, v112
	v_perm_b32 v114, v86, v119, 0x3020107
	v_lshrrev_b16 v68, 11, v68
	v_lshrrev_b16 v6, 11, v6
	v_and_or_b32 v69, 0xffff0000, v84, v69
	v_lshrrev_b16 v100, 11, v100
	v_and_b32_e32 v129, 0xff, v8
	v_and_b32_e32 v8, 0xff, v96
	v_cmp_lt_u16_e64 s7, v68, v6
	v_lshlrev_b16 v68, 8, v135
	v_cmp_lt_u16_e64 s6, v9, v100
	v_and_b32_e32 v9, 0xff, v135
	v_mul_lo_u16 v131, 0xcd, v8
	v_cndmask_b32_e64 v6, v84, v69, s7
	v_or_b32_sdwa v8, v8, v68 dst_sel:WORD_1 dst_unused:UNUSED_PAD src0_sel:DWORD src1_sel:DWORD
	v_cndmask_b32_e64 v100, v119, v114, s6
	v_mul_lo_u16 v9, 0xcd, v9
	v_and_b32_e32 v114, 0xff, v7
	v_and_or_b32 v8, 0xffff, v6, v8
	v_lshrrev_b32_e32 v84, 16, v100
	v_lshrrev_b32_e32 v130, 8, v100
	v_lshrrev_b16 v9, 11, v9
	v_and_b32_e32 v69, 0xff, v84
	v_and_b32_e32 v96, 0xff, v130
	v_mul_lo_u16 v68, 0xcd, v69
	v_mul_lo_u16 v69, 0xcd, v96
	v_lshrrev_b16 v96, 11, v131
	v_perm_b32 v131, v100, v100, 0x7050604
	v_lshrrev_b16 v68, 11, v68
	v_lshrrev_b16 v69, 11, v69
	v_cmp_lt_u16_e64 s7, v96, v9
	v_lshlrev_b16 v96, 8, v7
	v_cndmask_b32_e64 v9, v6, v8, s7
	v_cmp_lt_u16_e64 s7, v68, v69
	v_mul_lo_u16 v6, 0xcd, v114
	v_cndmask_b32_e64 v8, v100, v131, s7
	v_or_b32_e32 v100, v129, v132
	v_lshrrev_b16 v6, 11, v6
	v_and_b32_e32 v131, 0xff, v113
	v_mul_lo_u16 v129, 0xcd, v129
	v_lshrrev_b64 v[68:69], 24, v[8:9]
	v_or_b32_sdwa v69, v83, v96 dst_sel:DWORD dst_unused:UNUSED_PAD src0_sel:BYTE_0 src1_sel:DWORD
	v_and_b32_e32 v96, 0xffff, v100
	v_lshrrev_b16 v100, 11, v101
	v_and_b32_e32 v101, 0xff, v9
	v_and_b32_e32 v114, 0xff, v68
	v_or_b32_sdwa v69, v69, v70 dst_sel:DWORD dst_unused:UNUSED_PAD src0_sel:WORD_0 src1_sel:DWORD
	v_and_b32_e32 v70, 0xff, v144
	v_mul_lo_u16 v101, 0xcd, v101
	v_cmp_lt_u16_e64 s11, v6, v100
	v_mul_lo_u16 v114, 0xcd, v114
	v_mul_lo_u16 v6, 0xcd, v80
	v_perm_b32 v100, v8, v9, 0x3020107
	v_and_or_b32 v96, 0xffff0000, v12, v96
	v_cndmask_b32_e64 v83, v83, v69, s11
	v_mul_lo_u16 v69, 0xcd, v70
	v_lshrrev_b16 v70, 11, v101
	v_lshrrev_b16 v80, 11, v114
	;; [unrolled: 1-line block ×3, first 2 shown]
	v_cndmask_b32_e64 v101, v7, v2, s11
	v_lshrrev_b16 v69, 11, v69
	v_cndmask_b32_e64 v2, v2, v7, s11
	v_cmp_lt_u16_e64 s10, v70, v80
	v_and_b32_e32 v7, 0xff, v103
	v_cmp_lt_u16_e64 s11, v6, v69
	v_and_b32_e32 v69, 0xff, v99
	v_cndmask_b32_e64 v70, v9, v100, s10
	v_lshlrev_b16 v99, 8, v99
	v_mul_lo_u16 v100, 0xcd, v7
	v_cndmask_b32_e64 v6, v97, v116, s11
	v_mul_lo_u16 v69, 0xcd, v69
	v_lshrrev_b32_e32 v80, 16, v70
	v_lshrrev_b32_e32 v97, 8, v70
	v_or_b32_sdwa v7, v7, v99 dst_sel:WORD_1 dst_unused:UNUSED_PAD src0_sel:DWORD src1_sel:DWORD
	v_lshrrev_b16 v99, 11, v100
	v_lshrrev_b16 v69, 11, v69
	v_and_b32_e32 v103, 0xff, v80
	v_and_b32_e32 v114, 0xff, v97
	v_and_or_b32 v7, 0xffff, v6, v7
	v_lshlrev_b16 v116, 8, v117
	v_cmp_lt_u16_e64 s11, v99, v69
	v_mul_lo_u16 v100, 0xcd, v103
	v_mul_lo_u16 v103, 0xcd, v114
	v_perm_b32 v114, v70, v70, 0x7050604
	v_lshlrev_b16 v69, 8, v119
	v_cndmask_b32_e64 v99, v6, v7, s11
	v_lshrrev_b16 v100, 11, v100
	v_lshrrev_b16 v103, 11, v103
	v_or_b32_e32 v6, v98, v116
	v_mul_lo_u16 v98, 0xcd, v98
	v_and_b32_e32 v7, 0xff, v99
	v_and_b32_e32 v2, 0xff, v2
	v_cmp_lt_u16_e64 s11, v100, v103
	v_and_b32_e32 v6, 0xffff, v6
	v_lshrrev_b16 v98, 11, v98
	v_mul_lo_u16 v7, 0xcd, v7
	v_cndmask_b32_e64 v100, v70, v114, s11
	v_and_b32_e32 v114, 0xff, v117
	v_and_or_b32 v6, 0xffff0000, v102, v6
	v_lshrrev_b16 v7, 11, v7
	v_and_b32_sdwa v70, v86, v1 dst_sel:DWORD dst_unused:UNUSED_PAD src0_sel:WORD_1 src1_sel:DWORD
	v_lshrrev_b32_e32 v103, 24, v100
	v_mul_lo_u16 v114, 0xcd, v114
	v_perm_b32 v117, v100, v99, 0x3020107
	v_and_b32_sdwa v132, v100, v1 dst_sel:DWORD dst_unused:UNUSED_PAD src0_sel:WORD_1 src1_sel:DWORD
	v_mul_lo_u16 v116, 0xcd, v103
	v_lshrrev_b16 v114, 11, v114
	v_lshrrev_b16 v116, 11, v116
	v_cmp_lt_u16_e64 s15, v98, v114
	v_mul_lo_u16 v98, 0xcd, v82
	v_cmp_lt_u16_e64 s14, v7, v116
	v_cndmask_b32_e64 v6, v102, v6, s15
	v_lshlrev_b16 v7, 8, v113
	v_mul_lo_u16 v102, 0xcd, v131
	v_lshlrev_b16 v131, 8, v99
	v_cndmask_b32_e64 v116, v99, v117, s14
	v_or_b32_sdwa v7, v82, v7 dst_sel:WORD_1 dst_unused:UNUSED_PAD src0_sel:DWORD src1_sel:DWORD
	v_lshrrev_b16 v82, 11, v98
	v_lshrrev_b16 v98, 11, v102
	v_lshrrev_b32_e32 v113, 16, v116
	v_lshrrev_b32_e32 v114, 8, v116
	v_and_or_b32 v7, 0xffff, v6, v7
	v_perm_b32 v133, v116, v116, 0x7050604
	v_cmp_lt_u16_e64 s15, v82, v98
	v_and_b32_e32 v102, 0xff, v113
	v_and_b32_e32 v117, 0xff, v114
	v_lshrrev_b16 v82, 11, v129
	v_lshrrev_b16 v98, 11, v128
	v_cndmask_b32_e64 v7, v6, v7, s15
	v_mul_lo_u16 v102, 0xcd, v102
	v_mul_lo_u16 v117, 0xcd, v117
	v_lshlrev_b16 v128, 8, v14
	v_cmp_lt_u16_e64 s16, v82, v98
	v_and_b32_e32 v82, 0xff, v71
	v_lshrrev_b16 v102, 11, v102
	v_lshrrev_b16 v117, 11, v117
	v_lshlrev_b16 v71, 8, v71
	v_cndmask_b32_e64 v12, v12, v96, s16
	v_and_b32_e32 v96, 0xff, v7
	v_mul_lo_u16 v82, 0xcd, v82
	v_cmp_lt_u16_e64 s15, v102, v117
	v_or_b32_sdwa v102, v70, v69 dst_sel:WORD_1 dst_unused:UNUSED_PAD src0_sel:DWORD src1_sel:DWORD
	v_or_b32_sdwa v117, v132, v131 dst_sel:WORD_1 dst_unused:UNUSED_PAD src0_sel:DWORD src1_sel:DWORD
	v_mul_lo_u16 v96, 0xcd, v96
	v_lshrrev_b16 v82, 11, v82
	v_cndmask_b32_e64 v6, v116, v133, s15
	v_and_b32_e32 v116, 0xff, v118
	v_cndmask_b32_e64 v134, v114, v113, s15
	v_lshrrev_b16 v96, 11, v96
	v_lshrrev_b64 v[69:70], 24, v[6:7]
	v_mul_lo_u16 v70, 0xcd, v116
	v_perm_b32 v118, v6, v7, 0x3020107
	v_or_b32_sdwa v71, v116, v71 dst_sel:WORD_1 dst_unused:UNUSED_PAD src0_sel:DWORD src1_sel:DWORD
	v_lshlrev_b16 v116, 8, v87
	v_and_b32_e32 v98, 0xff, v69
	v_lshrrev_b16 v70, 11, v70
	v_and_or_b32 v71, 0xffff, v12, v71
	v_or_b32_e32 v116, v2, v116
	v_mul_lo_u16 v2, 0xcd, v2
	v_mul_lo_u16 v98, 0xcd, v98
	v_cmp_lt_u16_e64 s17, v70, v82
	v_and_b32_e32 v70, 0xff, v87
	v_lshrrev_b16 v2, 11, v2
	v_lshrrev_b16 v98, 11, v98
	v_cndmask_b32_e64 v12, v12, v71, s17
	v_mul_lo_u16 v70, 0xcd, v70
	v_and_b32_e32 v71, 0xffff, v116
	v_cmp_lt_u16_e64 s16, v96, v98
	v_lshrrev_b16 v70, 11, v70
	v_and_or_b32 v71, 0xffff0000, v83, v71
	v_cndmask_b32_e64 v96, v7, v118, s16
	v_mul_lo_u16 v118, 0xcd, v0
	v_cmp_lt_u16_e64 s17, v2, v70
	v_lshrrev_b32_e32 v82, 16, v96
	v_lshrrev_b32_e32 v87, 8, v96
	v_cndmask_b32_e64 v2, v83, v71, s17
	v_and_b32_e32 v71, 0xff, v101
	v_lshrrev_b16 v70, 11, v118
	v_and_b32_e32 v98, 0xff, v82
	v_and_b32_e32 v116, 0xff, v87
	v_lshlrev_b16 v101, 8, v101
	v_and_b32_sdwa v118, v13, v1 dst_sel:DWORD dst_unused:UNUSED_PAD src0_sel:WORD_1 src1_sel:DWORD
	v_mul_lo_u16 v71, 0xcd, v71
	v_mul_lo_u16 v98, 0xcd, v98
	;; [unrolled: 1-line block ×3, first 2 shown]
	v_or_b32_sdwa v0, v0, v101 dst_sel:WORD_1 dst_unused:UNUSED_PAD src0_sel:DWORD src1_sel:DWORD
	v_lshrrev_b16 v71, 11, v71
	v_lshrrev_b16 v83, 11, v98
	;; [unrolled: 1-line block ×3, first 2 shown]
	v_perm_b32 v116, v96, v96, 0x7050604
	v_and_or_b32 v0, 0xffff, v2, v0
	v_cmp_lt_u16_e64 s18, v70, v71
	v_and_or_b32 v70, 0xffff, v86, v102
	v_cmp_lt_u16_e64 s17, v83, v98
	v_lshlrev_b16 v98, 8, v12
	v_cndmask_b32_e64 v71, v2, v0, s18
	v_and_b32_e32 v0, 0xff, v12
	v_cndmask_b32_e64 v83, v96, v116, s17
	v_or_b32_sdwa v96, v118, v128 dst_sel:WORD_1 dst_unused:UNUSED_PAD src0_sel:DWORD src1_sel:DWORD
	v_cndmask_b32_e64 v128, v14, v67, s4
	v_cndmask_b32_e64 v14, v67, v14, s4
	v_mul_lo_u16 v0, 0xcd, v0
	v_and_b32_sdwa v101, v83, v1 dst_sel:DWORD dst_unused:UNUSED_PAD src0_sel:WORD_1 src1_sel:DWORD
	v_and_or_b32 v96, 0xffff, v13, v96
	v_perm_b32 v116, v83, v12, 0x3020107
	v_cndmask_b32_e64 v67, v81, v115, s5
	v_lshrrev_b16 v0, 11, v0
	v_or_b32_sdwa v98, v101, v98 dst_sel:WORD_1 dst_unused:UNUSED_PAD src0_sel:DWORD src1_sel:DWORD
	v_cndmask_b32_e64 v13, v13, v96, s4
	v_lshrrev_b32_e32 v96, 24, v83
	v_cndmask_b32_e32 v101, v85, v3, vcc_lo
	v_cndmask_b32_e32 v85, v3, v85, vcc_lo
	v_and_or_b32 v98, 0xffff, v83, v98
	v_lshlrev_b16 v2, 8, v13
	v_mul_lo_u16 v3, 0xcd, v96
	v_and_b32_e32 v118, 0xff, v101
	v_cndmask_b32_e64 v81, v115, v81, s5
	v_cndmask_b32_e64 v86, v86, v70, s6
	v_lshlrev_b16 v133, 8, v71
	v_lshrrev_b16 v3, 11, v3
	v_or_b32_e32 v2, v118, v2
	v_and_b32_e32 v147, 0xff, v81
	v_lshlrev_b16 v148, 8, v128
	v_cmp_lt_u16_e32 vcc_lo, v0, v3
	v_and_b32_e32 v0, 0xffff, v2
	v_and_b32_sdwa v2, v8, v1 dst_sel:DWORD dst_unused:UNUSED_PAD src0_sel:WORD_1 src1_sel:DWORD
	v_lshlrev_b16 v3, 8, v9
	v_or_b32_e32 v148, v147, v148
	v_cndmask_b32_e32 v83, v83, v98, vcc_lo
	v_cndmask_b32_e32 v98, v12, v116, vcc_lo
	v_cndmask_b32_e64 v116, v119, v112, s6
	v_or_b32_sdwa v2, v2, v3 dst_sel:WORD_1 dst_unused:UNUSED_PAD src0_sel:DWORD src1_sel:DWORD
	v_cndmask_b32_e64 v112, v112, v119, s6
	v_cndmask_b32_e64 v119, v130, v84, s7
	v_lshrrev_b32_e32 v102, 16, v98
	v_lshrrev_b32_e32 v115, 8, v98
	v_and_or_b32 v2, 0xffff, v8, v2
	v_perm_b32 v131, v98, v98, 0x7050604
	v_and_b32_e32 v129, 0xff, v119
	v_and_b32_e32 v3, 0xff, v102
	v_and_b32_e32 v70, 0xff, v115
	v_cndmask_b32_e64 v8, v8, v2, s10
	v_cndmask_b32_e64 v84, v84, v130, s7
	;; [unrolled: 1-line block ×3, first 2 shown]
	v_mul_lo_u16 v2, 0xcd, v3
	v_mul_lo_u16 v3, 0xcd, v70
	v_lshlrev_b16 v70, 8, v116
	v_cndmask_b32_e64 v9, v68, v9, s10
	v_and_or_b32 v68, 0xffff, v100, v117
	v_lshrrev_b16 v2, 11, v2
	v_lshrrev_b16 v3, 11, v3
	v_or_b32_e32 v132, v129, v70
	v_cndmask_b32_e64 v117, v80, v97, s11
	v_cndmask_b32_e64 v80, v97, v80, s11
	;; [unrolled: 1-line block ×3, first 2 shown]
	v_cmp_lt_u16_e64 s4, v2, v3
	v_cndmask_b32_e64 v97, v99, v103, s14
	v_and_b32_e32 v100, 0xff, v71
	v_and_or_b32 v0, 0xffff0000, v13, v0
	v_mul_lo_u16 v129, 0xcd, v129
	v_cndmask_b32_e64 v70, v98, v131, s4
	v_and_b32_e32 v98, 0xffff, v132
	v_mul_lo_u16 v100, 0xcd, v100
	v_lshlrev_b16 v131, 8, v7
	v_lshrrev_b64 v[2:3], 24, v[70:71]
	v_and_or_b32 v3, 0xffff0000, v8, v98
	v_cndmask_b32_e64 v98, v103, v99, s14
	v_and_b32_sdwa v99, v6, v1 dst_sel:DWORD dst_unused:UNUSED_PAD src0_sel:WORD_1 src1_sel:DWORD
	v_and_b32_sdwa v132, v70, v1 dst_sel:DWORD dst_unused:UNUSED_PAD src0_sel:WORD_1 src1_sel:DWORD
	v_lshrrev_b16 v100, 11, v100
	v_and_b32_e32 v103, 0xff, v2
	v_perm_b32 v135, v70, v71, 0x3020107
	v_or_b32_sdwa v99, v99, v131 dst_sel:WORD_1 dst_unused:UNUSED_PAD src0_sel:DWORD src1_sel:DWORD
	v_or_b32_sdwa v131, v132, v133 dst_sel:WORD_1 dst_unused:UNUSED_PAD src0_sel:DWORD src1_sel:DWORD
	v_and_b32_e32 v132, 0xff, v134
	v_mul_lo_u16 v103, 0xcd, v103
	v_lshlrev_b16 v133, 8, v97
	v_and_or_b32 v99, 0xffff, v6, v99
	v_and_or_b32 v131, 0xffff, v70, v131
	v_lshrrev_b16 v103, 11, v103
	v_cndmask_b32_e64 v6, v6, v99, s16
	v_cndmask_b32_e64 v99, v7, v69, s16
	;; [unrolled: 1-line block ×3, first 2 shown]
	v_cmp_lt_u16_e64 s5, v100, v103
	v_cndmask_b32_e64 v100, v113, v114, s15
	v_or_b32_e32 v103, v132, v133
	v_cndmask_b32_e64 v114, v82, v87, s17
	v_cndmask_b32_e64 v82, v87, v82, s17
	;; [unrolled: 1-line block ×4, first 2 shown]
	v_and_b32_e32 v69, 0xffff, v103
	v_cndmask_b32_e64 v133, v115, v102, s4
	v_cndmask_b32_e32 v135, v12, v96, vcc_lo
	v_lshrrev_b32_e32 v103, 16, v113
	v_lshrrev_b32_e32 v87, 8, v113
	v_cndmask_b32_e32 v12, v96, v12, vcc_lo
	v_cndmask_b32_e64 v102, v102, v115, s4
	v_lshlrev_b16 v145, 8, v135
	v_and_b32_e32 v131, 0xff, v103
	v_and_b32_e32 v144, 0xff, v87
	v_cndmask_b32_e64 v115, v71, v2, s5
	v_perm_b32 v146, v113, v113, 0x7050604
	v_cndmask_b32_e64 v2, v2, v71, s5
	v_mul_lo_u16 v96, 0xcd, v131
	v_mul_lo_u16 v144, 0xcd, v144
	v_and_b32_e32 v131, 0xff, v133
	v_and_b32_e32 v71, 0xff, v13
	v_and_or_b32 v69, 0xffff0000, v6, v69
	v_lshrrev_b16 v96, 11, v96
	v_lshrrev_b16 v144, 11, v144
	v_or_b32_e32 v145, v131, v145
	v_mul_lo_u16 v71, 0xcd, v71
	v_cmp_lt_u16_e32 vcc_lo, v96, v144
	v_and_b32_e32 v145, 0xffff, v145
	v_lshrrev_b16 v71, 11, v71
	v_cndmask_b32_e32 v96, v113, v146, vcc_lo
	v_mul_lo_u16 v113, 0xcd, v118
	v_and_or_b32 v118, 0xffff0000, v70, v145
	v_cndmask_b32_e32 v144, v103, v87, vcc_lo
	v_cndmask_b32_e32 v87, v87, v103, vcc_lo
	v_and_b32_e32 v145, 0xff, v85
	v_lshrrev_b16 v103, 11, v113
	v_and_b32_e32 v113, 0xff, v14
	v_lshlrev_b16 v146, 8, v85
	v_mul_lo_u16 v145, 0xcd, v145
	v_cmp_lt_u16_e32 vcc_lo, v103, v71
	v_mul_lo_u16 v103, 0xcd, v113
	v_or_b32_sdwa v113, v113, v146 dst_sel:WORD_1 dst_unused:UNUSED_PAD src0_sel:DWORD src1_sel:DWORD
	v_and_b32_e32 v146, 0xffff, v148
	v_lshrrev_b16 v145, 11, v145
	v_cndmask_b32_e32 v71, v13, v0, vcc_lo
	v_lshrrev_b16 v103, 11, v103
	v_cndmask_b32_e32 v0, v13, v101, vcc_lo
	v_cndmask_b32_e32 v13, v101, v13, vcc_lo
	v_and_b32_e32 v101, 0xff, v128
	v_and_or_b32 v113, 0xffff, v71, v113
	v_cmp_lt_u16_e32 vcc_lo, v103, v145
	v_and_or_b32 v103, 0xffff0000, v86, v146
	v_and_b32_e32 v146, 0xff, v112
	v_mul_lo_u16 v101, 0xcd, v101
	v_lshlrev_b16 v148, 8, v67
	v_cndmask_b32_e32 v71, v71, v113, vcc_lo
	v_mul_lo_u16 v113, 0xcd, v147
	v_and_b32_e32 v147, 0xff, v67
	v_lshrrev_b16 v101, 11, v101
	v_cndmask_b32_e32 v145, v14, v85, vcc_lo
	v_cndmask_b32_e32 v14, v85, v14, vcc_lo
	v_lshrrev_b16 v113, 11, v113
	v_mul_lo_u16 v85, 0xcd, v146
	v_mul_lo_u16 v147, 0xcd, v147
	v_cmp_lt_u16_e32 vcc_lo, v113, v101
	v_and_b32_e32 v101, 0xff, v116
	v_lshrrev_b16 v85, 11, v85
	v_lshrrev_b16 v113, 11, v147
	v_lshlrev_b16 v147, 8, v0
	v_cndmask_b32_e32 v86, v86, v103, vcc_lo
	v_mul_lo_u16 v101, 0xcd, v101
	v_or_b32_sdwa v103, v146, v148 dst_sel:WORD_1 dst_unused:UNUSED_PAD src0_sel:DWORD src1_sel:DWORD
	v_cmp_lt_u16_e64 s4, v85, v113
	v_lshrrev_b16 v85, 11, v129
	v_cndmask_b32_e32 v146, v81, v128, vcc_lo
	v_lshrrev_b16 v101, 11, v101
	v_cndmask_b32_e32 v81, v128, v81, vcc_lo
	v_and_b32_e32 v113, 0xff, v9
	v_and_or_b32 v103, 0xffff, v86, v103
	v_lshlrev_b16 v128, 8, v84
	v_cmp_lt_u16_e32 vcc_lo, v85, v101
	v_and_b32_e32 v101, 0xff, v80
	v_mul_lo_u16 v85, 0xcd, v113
	v_cndmask_b32_e64 v86, v86, v103, s4
	v_cndmask_b32_e64 v103, v112, v67, s4
	v_cndmask_b32_e32 v3, v8, v3, vcc_lo
	v_and_b32_e32 v8, 0xff, v84
	v_cndmask_b32_e64 v67, v67, v112, s4
	v_lshlrev_b16 v112, 8, v130
	v_cndmask_b32_e32 v129, v119, v116, vcc_lo
	v_lshrrev_b16 v85, 11, v85
	v_mul_lo_u16 v8, 0xcd, v8
	v_cndmask_b32_e32 v116, v116, v119, vcc_lo
	v_and_b32_e32 v119, 0xff, v130
	v_or_b32_e32 v112, v101, v112
	v_or_b32_sdwa v113, v113, v128 dst_sel:WORD_1 dst_unused:UNUSED_PAD src0_sel:DWORD src1_sel:DWORD
	v_lshrrev_b16 v8, 11, v8
	v_lshlrev_b16 v128, 8, v100
	v_and_b32_e32 v112, 0xffff, v112
	v_and_or_b32 v113, 0xffff, v3, v113
	v_cmp_lt_u16_e32 vcc_lo, v85, v8
	v_mul_lo_u16 v8, 0xcd, v101
	v_mul_lo_u16 v85, 0xcd, v119
	v_and_or_b32 v101, 0xffff0000, v68, v112
	v_lshlrev_b16 v119, 8, v117
	v_cndmask_b32_e32 v3, v3, v113, vcc_lo
	v_lshrrev_b16 v8, 11, v8
	v_lshrrev_b16 v85, 11, v85
	v_cndmask_b32_e32 v112, v9, v84, vcc_lo
	v_cndmask_b32_e32 v9, v84, v9, vcc_lo
	v_and_b32_e32 v84, 0xff, v98
	v_and_b32_e32 v113, 0xff, v117
	v_cmp_lt_u16_e32 vcc_lo, v8, v85
	v_mul_lo_u16 v85, 0xcd, v113
	v_cndmask_b32_e32 v8, v68, v101, vcc_lo
	v_mul_lo_u16 v68, 0xcd, v84
	v_or_b32_sdwa v84, v84, v119 dst_sel:WORD_1 dst_unused:UNUSED_PAD src0_sel:DWORD src1_sel:DWORD
	v_and_b32_e32 v113, 0xff, v97
	v_lshrrev_b16 v85, 11, v85
	v_cndmask_b32_e32 v101, v80, v130, vcc_lo
	v_lshrrev_b16 v68, 11, v68
	v_and_or_b32 v84, 0xffff, v8, v84
	v_mul_lo_u16 v119, 0xcd, v132
	v_mul_lo_u16 v113, 0xcd, v113
	v_cndmask_b32_e32 v80, v130, v80, vcc_lo
	v_cmp_lt_u16_e32 vcc_lo, v68, v85
	v_lshlrev_b16 v132, 8, v115
	v_lshrrev_b16 v68, 11, v119
	v_and_b32_e32 v119, 0xff, v7
	v_perm_b32 v85, v103, v3, 0x3020104
	v_cndmask_b32_e32 v8, v8, v84, vcc_lo
	v_lshrrev_b16 v84, 11, v113
	v_cndmask_b32_e32 v113, v98, v117, vcc_lo
	v_cndmask_b32_e32 v98, v117, v98, vcc_lo
	v_lshlrev_b16 v117, 8, v99
	v_cmp_lt_u16_e32 vcc_lo, v68, v84
	v_and_b32_e32 v68, 0xff, v100
	v_and_b32_e32 v84, 0xff, v82
	v_cndmask_b32_e32 v6, v6, v69, vcc_lo
	v_mul_lo_u16 v69, 0xcd, v119
	v_mul_lo_u16 v68, 0xcd, v68
	v_or_b32_sdwa v119, v119, v128 dst_sel:WORD_1 dst_unused:UNUSED_PAD src0_sel:DWORD src1_sel:DWORD
	v_and_b32_e32 v128, 0xff, v99
	v_cndmask_b32_e32 v130, v134, v97, vcc_lo
	v_lshrrev_b16 v69, 11, v69
	v_lshrrev_b16 v68, 11, v68
	v_or_b32_e32 v117, v84, v117
	v_cndmask_b32_e32 v97, v97, v134, vcc_lo
	v_and_or_b32 v119, 0xffff, v6, v119
	v_and_b32_e32 v134, 0xff, v81
	v_cmp_lt_u16_e32 vcc_lo, v69, v68
	v_mul_lo_u16 v68, 0xcd, v84
	v_mul_lo_u16 v69, 0xcd, v128
	v_and_b32_e32 v117, 0xffff, v117
	v_lshlrev_b16 v128, 8, v114
	v_cndmask_b32_e32 v6, v6, v119, vcc_lo
	v_lshrrev_b16 v68, 11, v68
	v_lshrrev_b16 v69, 11, v69
	v_and_or_b32 v84, 0xffff0000, v83, v117
	v_cndmask_b32_e32 v117, v7, v100, vcc_lo
	v_and_b32_e32 v119, 0xff, v12
	v_cndmask_b32_e32 v7, v100, v7, vcc_lo
	v_and_b32_e32 v100, 0xff, v114
	v_cmp_lt_u16_e32 vcc_lo, v68, v69
	v_mul_lo_u16 v68, 0xcd, v119
	v_cndmask_b32_e32 v69, v83, v84, vcc_lo
	v_mul_lo_u16 v83, 0xcd, v100
	v_or_b32_sdwa v84, v119, v128 dst_sel:WORD_1 dst_unused:UNUSED_PAD src0_sel:DWORD src1_sel:DWORD
	v_lshrrev_b16 v68, 11, v68
	v_and_b32_e32 v119, 0xff, v135
	v_cndmask_b32_e32 v100, v82, v99, vcc_lo
	v_lshrrev_b16 v83, 11, v83
	v_and_or_b32 v84, 0xffff, v69, v84
	v_cndmask_b32_e32 v82, v99, v82, vcc_lo
	v_mul_lo_u16 v99, 0xcd, v131
	v_mul_lo_u16 v119, 0xcd, v119
	v_cmp_lt_u16_e32 vcc_lo, v68, v83
	v_and_b32_e32 v131, 0xff, v87
	v_perm_b32 v83, v113, v6, 0x3020104
	v_cndmask_b32_e32 v68, v69, v84, vcc_lo
	v_and_b32_e32 v69, 0xff, v2
	v_lshrrev_b16 v84, 11, v99
	v_lshrrev_b16 v99, 11, v119
	v_cndmask_b32_e32 v119, v12, v114, vcc_lo
	v_cndmask_b32_e32 v12, v114, v12, vcc_lo
	v_mul_lo_u16 v128, 0xcd, v69
	v_cmp_lt_u16_e64 s4, v84, v99
	v_and_b32_e32 v99, 0xff, v115
	v_lshlrev_b16 v148, 8, v12
	v_lshrrev_b16 v84, 11, v128
	v_and_b32_e32 v128, 0xff, v102
	v_cndmask_b32_e64 v70, v70, v118, s4
	v_or_b32_e32 v118, v131, v132
	v_mul_lo_u16 v131, 0xcd, v131
	v_mul_lo_u16 v99, 0xcd, v99
	v_lshlrev_b16 v132, 8, v102
	v_mul_lo_u16 v128, 0xcd, v128
	v_and_b32_e32 v118, 0xffff, v118
	v_lshrrev_b16 v131, 11, v131
	v_lshrrev_b16 v99, 11, v99
	v_or_b32_sdwa v69, v69, v132 dst_sel:WORD_1 dst_unused:UNUSED_PAD src0_sel:DWORD src1_sel:DWORD
	v_lshrrev_b16 v128, 11, v128
	v_and_or_b32 v118, 0xffff0000, v96, v118
	v_and_b32_e32 v132, 0xff, v14
	v_cmp_lt_u16_e32 vcc_lo, v131, v99
	v_and_or_b32 v69, 0xffff, v70, v69
	v_cmp_lt_u16_e64 s5, v84, v128
	v_lshlrev_b16 v128, 8, v144
	v_cndmask_b32_e64 v84, v133, v135, s4
	v_cndmask_b32_e32 v96, v96, v118, vcc_lo
	v_and_b32_e32 v118, 0xff, v144
	v_cndmask_b32_e64 v69, v70, v69, s5
	v_cndmask_b32_e64 v114, v2, v102, s5
	;; [unrolled: 1-line block ×3, first 2 shown]
	v_lshrrev_b32_e32 v70, 24, v96
	v_mul_lo_u16 v118, 0xcd, v118
	v_cndmask_b32_e64 v99, v135, v133, s4
	v_cndmask_b32_e32 v131, v87, v115, vcc_lo
	v_cndmask_b32_e32 v87, v115, v87, vcc_lo
	v_mul_lo_u16 v2, 0xcd, v70
	v_or_b32_sdwa v128, v70, v128 dst_sel:WORD_1 dst_unused:UNUSED_PAD src0_sel:DWORD src1_sel:DWORD
	v_lshrrev_b16 v118, 11, v118
	v_lshlrev_b16 v115, 8, v14
	v_and_b32_e32 v133, 0xff, v13
	v_lshrrev_b16 v2, 11, v2
	v_and_or_b32 v128, 0xffff, v96, v128
	v_and_b32_e32 v135, 0xff, v145
	v_or_b32_sdwa v115, v71, v115 dst_sel:DWORD dst_unused:UNUSED_PAD src0_sel:BYTE_0 src1_sel:DWORD
	v_cmp_lt_u16_e32 vcc_lo, v2, v118
	v_mul_lo_u16 v2, 0xcd, v132
	v_perm_b32 v132, v13, v71, 0xc0c0304
	v_and_b32_e32 v115, 0xffff, v115
	v_perm_b32 v118, v119, v69, 0x3020104
	v_cndmask_b32_e32 v96, v96, v128, vcc_lo
	v_mul_lo_u16 v128, 0xcd, v133
	v_lshrrev_b16 v133, 11, v2
	v_lshl_or_b32 v115, v132, 16, v115
	v_mul_lo_u16 v132, 0xcd, v134
	v_mul_lo_u16 v134, 0xcd, v135
	v_lshrrev_b16 v128, 11, v128
	v_cndmask_b32_e32 v2, v70, v144, vcc_lo
	v_cndmask_b32_e32 v70, v144, v70, vcc_lo
	v_lshlrev_b16 v144, 8, v67
	v_cmp_lt_u16_e64 s4, v133, v128
	v_lshrrev_b16 v128, 11, v134
	v_lshlrev_b16 v134, 8, v81
	v_cndmask_b32_e64 v71, v71, v115, s4
	v_lshrrev_b16 v115, 11, v132
	v_perm_b32 v132, v145, v86, 0x3020104
	v_cndmask_b32_e64 v135, v14, v13, s4
	v_cndmask_b32_e64 v13, v13, v14, s4
	v_and_b32_sdwa v133, v71, v1 dst_sel:DWORD dst_unused:UNUSED_PAD src0_sel:WORD_1 src1_sel:DWORD
	v_cmp_lt_u16_e32 vcc_lo, v115, v128
	v_and_b32_e32 v115, 0xff, v116
	v_and_b32_e32 v128, 0xff, v103
	v_or_b32_sdwa v14, v133, v134 dst_sel:WORD_1 dst_unused:UNUSED_PAD src0_sel:DWORD src1_sel:DWORD
	v_cndmask_b32_e32 v86, v86, v132, vcc_lo
	v_mul_lo_u16 v115, 0xcd, v115
	v_mul_lo_u16 v128, 0xcd, v128
	v_and_b32_e32 v133, 0xff, v146
	v_and_b32_e32 v134, 0xff, v67
	v_and_b32_sdwa v132, v86, v10 dst_sel:DWORD dst_unused:UNUSED_PAD src0_sel:WORD_1 src1_sel:DWORD
	v_lshrrev_b16 v115, 11, v115
	v_lshrrev_b16 v128, 11, v128
	v_and_or_b32 v14, 0xffff, v71, v14
	v_mul_lo_u16 v134, 0xcd, v134
	v_or_b32_sdwa v132, v133, v132 dst_sel:WORD_1 dst_unused:UNUSED_PAD src0_sel:DWORD src1_sel:DWORD
	v_cmp_lt_u16_e64 s4, v115, v128
	v_mul_lo_u16 v115, 0xcd, v133
	v_lshrrev_b16 v134, 11, v134
	v_or_b32_sdwa v128, v86, v144 dst_sel:DWORD dst_unused:UNUSED_PAD src0_sel:BYTE_0 src1_sel:DWORD
	v_and_b32_e32 v133, 0xff, v9
	v_cndmask_b32_e64 v3, v3, v85, s4
	v_lshlrev_b16 v85, 8, v9
	v_and_b32_e32 v144, 0xff, v129
	v_lshrrev_b16 v115, 11, v115
	v_or_b32_sdwa v128, v128, v132 dst_sel:DWORD dst_unused:UNUSED_PAD src0_sel:WORD_0 src1_sel:DWORD
	v_mul_lo_u16 v132, 0xcd, v133
	v_or_b32_sdwa v85, v3, v85 dst_sel:DWORD dst_unused:UNUSED_PAD src0_sel:BYTE_0 src1_sel:DWORD
	v_mul_lo_u16 v133, 0xcd, v144
	v_cmp_lt_u16_e64 s5, v134, v115
	v_perm_b32 v144, v129, v3, 0xc0c0304
	v_lshrrev_b16 v115, 11, v132
	v_and_b32_e32 v85, 0xffff, v85
	v_cndmask_b32_e32 v14, v71, v14, vcc_lo
	v_cndmask_b32_e64 v86, v86, v128, s5
	v_lshrrev_b16 v128, 11, v133
	v_cndmask_b32_e32 v71, v81, v145, vcc_lo
	v_lshl_or_b32 v85, v144, 16, v85
	v_cndmask_b32_e32 v81, v145, v81, vcc_lo
	v_and_b32_sdwa v132, v86, v1 dst_sel:DWORD dst_unused:UNUSED_PAD src0_sel:WORD_1 src1_sel:DWORD
	v_cmp_lt_u16_e32 vcc_lo, v115, v128
	v_and_b32_e32 v128, 0xff, v112
	v_lshlrev_b16 v115, 8, v116
	v_lshlrev_b16 v145, 8, v80
	v_and_b32_e32 v134, 0xff, v13
	v_cndmask_b32_e32 v3, v3, v85, vcc_lo
	v_and_b32_e32 v85, 0xff, v80
	v_mul_lo_u16 v128, 0xcd, v128
	v_or_b32_sdwa v115, v132, v115 dst_sel:WORD_1 dst_unused:UNUSED_PAD src0_sel:DWORD src1_sel:DWORD
	v_cndmask_b32_e64 v133, v67, v146, s5
	v_and_b32_sdwa v144, v3, v1 dst_sel:DWORD dst_unused:UNUSED_PAD src0_sel:WORD_1 src1_sel:DWORD
	v_mul_lo_u16 v85, 0xcd, v85
	v_lshrrev_b16 v128, 11, v128
	v_and_or_b32 v115, 0xffff, v86, v115
	v_cndmask_b32_e64 v67, v146, v67, s5
	v_or_b32_sdwa v132, v144, v145 dst_sel:WORD_1 dst_unused:UNUSED_PAD src0_sel:DWORD src1_sel:DWORD
	v_lshrrev_b16 v85, 11, v85
	v_or_b32_e32 v144, v134, v147
	v_perm_b32 v145, v112, v8, 0x3020104
	v_cndmask_b32_e64 v86, v86, v115, s4
	v_and_or_b32 v132, 0xffff, v3, v132
	v_cmp_lt_u16_e64 s6, v85, v128
	v_and_b32_e32 v85, 0xffff, v144
	v_and_b32_e32 v144, 0xff, v113
	;; [unrolled: 1-line block ×3, first 2 shown]
	v_lshlrev_b16 v150, 8, v71
	v_cndmask_b32_e64 v115, v3, v132, s6
	v_cndmask_b32_e64 v3, v8, v145, s6
	v_and_b32_e32 v132, 0xff, v97
	v_and_or_b32 v8, 0xffff0000, v14, v85
	v_cndmask_b32_e64 v85, v116, v103, s4
	v_cndmask_b32_e64 v103, v103, v116, s4
	v_cndmask_b32_e32 v116, v9, v129, vcc_lo
	v_and_b32_sdwa v128, v3, v10 dst_sel:DWORD dst_unused:UNUSED_PAD src0_sel:WORD_1 src1_sel:DWORD
	v_and_b32_e32 v145, 0xff, v101
	v_cndmask_b32_e32 v9, v129, v9, vcc_lo
	v_mul_lo_u16 v129, 0xcd, v132
	v_mul_lo_u16 v132, 0xcd, v144
	;; [unrolled: 1-line block ×3, first 2 shown]
	v_or_b32_sdwa v128, v145, v128 dst_sel:WORD_1 dst_unused:UNUSED_PAD src0_sel:DWORD src1_sel:DWORD
	v_lshlrev_b16 v146, 8, v98
	v_lshrrev_b16 v129, 11, v129
	v_lshrrev_b16 v132, 11, v132
	v_mul_lo_u16 v145, 0xcd, v145
	v_lshrrev_b16 v144, 11, v144
	v_or_b32_sdwa v146, v3, v146 dst_sel:DWORD dst_unused:UNUSED_PAD src0_sel:BYTE_0 src1_sel:DWORD
	v_cndmask_b32_e64 v147, v80, v112, s6
	v_cmp_lt_u16_e32 vcc_lo, v129, v132
	v_lshrrev_b16 v129, 11, v145
	v_and_b32_e32 v132, 0xff, v7
	v_or_b32_sdwa v128, v146, v128 dst_sel:DWORD dst_unused:UNUSED_PAD src0_sel:WORD_0 src1_sel:DWORD
	v_and_b32_e32 v145, 0xff, v130
	v_cndmask_b32_e32 v6, v6, v83, vcc_lo
	v_lshlrev_b16 v83, 8, v7
	v_cmp_lt_u16_e64 s4, v144, v129
	v_cndmask_b32_e64 v80, v112, v80, s6
	v_mul_lo_u16 v129, 0xcd, v145
	v_lshlrev_b16 v144, 8, v85
	v_or_b32_sdwa v83, v6, v83 dst_sel:DWORD dst_unused:UNUSED_PAD src0_sel:BYTE_0 src1_sel:DWORD
	v_cndmask_b32_e64 v3, v3, v128, s4
	v_mul_lo_u16 v128, 0xcd, v132
	v_perm_b32 v132, v130, v6, 0xc0c0304
	v_lshrrev_b16 v129, 11, v129
	v_and_b32_e32 v83, 0xffff, v83
	v_and_b32_sdwa v112, v3, v1 dst_sel:DWORD dst_unused:UNUSED_PAD src0_sel:WORD_1 src1_sel:DWORD
	v_lshrrev_b16 v128, 11, v128
	v_lshlrev_b16 v146, 8, v82
	v_lshl_or_b32 v83, v132, 16, v83
	v_cndmask_b32_e64 v132, v98, v101, s4
	v_cndmask_b32_e64 v98, v101, v98, s4
	v_cmp_lt_u16_e64 s4, v128, v129
	v_and_b32_e32 v129, 0xff, v117
	v_lshlrev_b16 v101, 8, v97
	v_and_b32_e32 v128, 0xff, v9
	v_cndmask_b32_e64 v6, v6, v83, s4
	v_and_b32_e32 v83, 0xff, v82
	v_mul_lo_u16 v129, 0xcd, v129
	v_or_b32_sdwa v101, v112, v101 dst_sel:WORD_1 dst_unused:UNUSED_PAD src0_sel:DWORD src1_sel:DWORD
	v_or_b32_e32 v112, v128, v144
	v_and_b32_sdwa v145, v6, v1 dst_sel:DWORD dst_unused:UNUSED_PAD src0_sel:WORD_1 src1_sel:DWORD
	v_mul_lo_u16 v83, 0xcd, v83
	v_lshrrev_b16 v129, 11, v129
	v_and_or_b32 v101, 0xffff, v3, v101
	v_and_b32_e32 v112, 0xffff, v112
	v_or_b32_sdwa v144, v145, v146 dst_sel:WORD_1 dst_unused:UNUSED_PAD src0_sel:DWORD src1_sel:DWORD
	v_lshrrev_b16 v83, 11, v83
	v_perm_b32 v145, v117, v68, 0x3020104
	v_and_b32_e32 v146, 0xff, v100
	v_mul_lo_u16 v128, 0xcd, v128
	v_and_or_b32 v144, 0xffff, v6, v144
	v_cmp_lt_u16_e64 s5, v83, v129
	v_cndmask_b32_e32 v83, v3, v101, vcc_lo
	v_and_or_b32 v101, 0xffff0000, v115, v112
	v_cndmask_b32_e32 v112, v97, v113, vcc_lo
	v_cndmask_b32_e64 v129, v7, v130, s4
	v_cndmask_b32_e64 v3, v68, v145, s5
	v_cndmask_b32_e32 v68, v113, v97, vcc_lo
	v_and_b32_e32 v97, 0xff, v99
	v_and_b32_e32 v113, 0xff, v119
	;; [unrolled: 1-line block ×3, first 2 shown]
	v_cndmask_b32_e64 v6, v6, v144, s5
	v_and_b32_sdwa v144, v3, v10 dst_sel:DWORD dst_unused:UNUSED_PAD src0_sel:WORD_1 src1_sel:DWORD
	v_mul_lo_u16 v97, 0xcd, v97
	v_mul_lo_u16 v113, 0xcd, v113
	v_cndmask_b32_e64 v7, v130, v7, s4
	v_mul_lo_u16 v130, 0xcd, v145
	v_or_b32_sdwa v144, v146, v144 dst_sel:WORD_1 dst_unused:UNUSED_PAD src0_sel:DWORD src1_sel:DWORD
	v_lshrrev_b16 v97, 11, v97
	v_lshrrev_b16 v113, 11, v113
	v_cndmask_b32_e64 v145, v82, v117, s5
	v_lshrrev_b16 v130, 11, v130
	v_cndmask_b32_e64 v82, v117, v82, s5
	v_lshlrev_b16 v149, 8, v112
	v_cmp_lt_u16_e32 vcc_lo, v97, v113
	v_mul_lo_u16 v113, 0xcd, v146
	v_lshlrev_b16 v97, 8, v102
	v_and_b32_e32 v146, 0xff, v102
	v_cndmask_b32_e32 v69, v69, v118, vcc_lo
	v_or_b32_sdwa v118, v3, v148 dst_sel:DWORD dst_unused:UNUSED_PAD src0_sel:BYTE_0 src1_sel:DWORD
	v_and_b32_e32 v148, 0xff, v84
	v_lshrrev_b16 v113, 11, v113
	v_or_b32_sdwa v97, v69, v97 dst_sel:DWORD dst_unused:UNUSED_PAD src0_sel:BYTE_0 src1_sel:DWORD
	v_or_b32_sdwa v118, v118, v144 dst_sel:DWORD dst_unused:UNUSED_PAD src0_sel:WORD_0 src1_sel:DWORD
	v_mul_lo_u16 v144, 0xcd, v146
	v_mul_lo_u16 v146, 0xcd, v148
	v_cmp_lt_u16_e64 s4, v130, v113
	v_and_b32_e32 v97, 0xffff, v97
	v_perm_b32 v148, v84, v69, 0xc0c0304
	v_lshrrev_b16 v113, 11, v144
	v_and_b32_e32 v144, 0xff, v7
	v_cndmask_b32_e64 v3, v3, v118, s4
	v_lshrrev_b16 v118, 11, v146
	v_lshl_or_b32 v97, v148, 16, v97
	v_lshlrev_b16 v148, 8, v87
	v_cndmask_b32_e64 v130, v12, v100, s4
	v_and_b32_sdwa v117, v3, v1 dst_sel:DWORD dst_unused:UNUSED_PAD src0_sel:WORD_1 src1_sel:DWORD
	v_cmp_lt_u16_e64 s5, v113, v118
	v_and_b32_e32 v118, 0xff, v114
	v_lshlrev_b16 v113, 8, v99
	v_cndmask_b32_e64 v12, v100, v12, s4
	v_cndmask_b32_e64 v69, v69, v97, s5
	v_and_b32_e32 v97, 0xff, v87
	v_mul_lo_u16 v118, 0xcd, v118
	v_or_b32_sdwa v113, v117, v113 dst_sel:WORD_1 dst_unused:UNUSED_PAD src0_sel:DWORD src1_sel:DWORD
	v_and_b32_sdwa v146, v69, v1 dst_sel:DWORD dst_unused:UNUSED_PAD src0_sel:WORD_1 src1_sel:DWORD
	v_mul_lo_u16 v97, 0xcd, v97
	v_lshrrev_b16 v118, 11, v118
	v_and_or_b32 v113, 0xffff, v3, v113
	v_or_b32_sdwa v117, v146, v148 dst_sel:WORD_1 dst_unused:UNUSED_PAD src0_sel:DWORD src1_sel:DWORD
	v_lshrrev_b16 v97, 11, v97
	v_or_b32_e32 v146, v144, v149
	v_perm_b32 v148, v114, v96, 0x3020104
	v_cndmask_b32_e32 v100, v3, v113, vcc_lo
	v_and_or_b32 v117, 0xffff, v69, v117
	v_cmp_lt_u16_e64 s6, v97, v118
	v_and_b32_e32 v97, 0xffff, v146
	v_and_b32_e32 v118, 0xff, v131
	v_cndmask_b32_e64 v113, v84, v102, s5
	v_cndmask_b32_e64 v84, v102, v84, s5
	;; [unrolled: 1-line block ×4, first 2 shown]
	v_and_or_b32 v96, 0xffff0000, v6, v97
	v_cndmask_b32_e32 v97, v99, v119, vcc_lo
	v_cndmask_b32_e32 v99, v119, v99, vcc_lo
	v_and_b32_sdwa v117, v3, v10 dst_sel:DWORD dst_unused:UNUSED_PAD src0_sel:WORD_1 src1_sel:DWORD
	v_and_b32_e32 v119, 0xff, v70
	v_lshlrev_b16 v148, 8, v70
	v_cndmask_b32_e64 v149, v87, v114, s6
	v_cndmask_b32_e64 v87, v114, v87, s6
	v_or_b32_sdwa v117, v118, v117 dst_sel:WORD_1 dst_unused:UNUSED_PAD src0_sel:DWORD src1_sel:DWORD
	v_mul_lo_u16 v119, 0xcd, v119
	v_mul_lo_u16 v118, 0xcd, v118
	v_or_b32_sdwa v148, v3, v148 dst_sel:DWORD dst_unused:UNUSED_PAD src0_sel:BYTE_0 src1_sel:DWORD
	v_and_b32_e32 v114, 0xff, v0
	v_and_b32_e32 v102, 0xff, v113
	v_lshrrev_b16 v119, 11, v119
	v_lshrrev_b16 v118, 11, v118
	v_or_b32_sdwa v117, v148, v117 dst_sel:DWORD dst_unused:UNUSED_PAD src0_sel:WORD_0 src1_sel:DWORD
	v_mul_lo_u16 v114, 0xcd, v114
	v_lshlrev_b16 v146, 8, v97
	v_and_b32_e32 v148, 0xff, v67
	v_cmp_lt_u16_e32 vcc_lo, v119, v118
	v_mul_lo_u16 v119, 0xcd, v134
	v_lshrrev_b16 v114, 11, v114
	v_or_b32_e32 v146, v102, v146
	v_mul_lo_u16 v102, 0xcd, v102
	v_cndmask_b32_e32 v117, v3, v117, vcc_lo
	v_lshrrev_b16 v3, 11, v119
	v_cndmask_b32_e32 v134, v70, v131, vcc_lo
	v_cndmask_b32_e32 v70, v131, v70, vcc_lo
	v_and_b32_e32 v119, 0xff, v81
	v_and_b32_e32 v131, 0xff, v135
	v_cmp_lt_u16_e32 vcc_lo, v3, v114
	v_and_b32_e32 v146, 0xffff, v146
	v_lshrrev_b16 v102, 11, v102
	v_mul_lo_u16 v114, 0xcd, v131
	v_cndmask_b32_e32 v8, v14, v8, vcc_lo
	v_mul_lo_u16 v14, 0xcd, v119
	v_and_or_b32 v118, 0xffff0000, v69, v146
	v_lshlrev_b16 v146, 8, v135
	v_cndmask_b32_e32 v3, v0, v13, vcc_lo
	v_lshrrev_b16 v114, 11, v114
	v_lshrrev_b16 v14, 11, v14
	v_cndmask_b32_e32 v13, v13, v0, vcc_lo
	v_and_b32_e32 v0, 0xff, v71
	v_or_b32_e32 v131, v148, v150
	v_or_b32_sdwa v119, v119, v146 dst_sel:WORD_1 dst_unused:UNUSED_PAD src0_sel:DWORD src1_sel:DWORD
	v_cmp_lt_u16_e32 vcc_lo, v14, v114
	v_mul_lo_u16 v114, 0xcd, v148
	v_mul_lo_u16 v0, 0xcd, v0
	v_and_b32_e32 v131, 0xffff, v131
	v_and_or_b32 v119, 0xffff, v8, v119
	v_and_b32_e32 v146, 0xff, v133
	v_lshrrev_b16 v114, 11, v114
	v_lshrrev_b16 v0, 11, v0
	v_and_or_b32 v14, 0xffff0000, v86, v131
	v_cndmask_b32_e32 v8, v8, v119, vcc_lo
	v_cndmask_b32_e32 v119, v81, v135, vcc_lo
	v_and_b32_e32 v131, 0xff, v103
	v_cndmask_b32_e32 v81, v135, v81, vcc_lo
	v_cmp_lt_u16_e32 vcc_lo, v114, v0
	v_mul_lo_u16 v146, 0xcd, v146
	v_lshlrev_b16 v148, 8, v133
	v_mul_lo_u16 v135, 0xcd, v131
	v_cndmask_b32_e32 v0, v86, v14, vcc_lo
	v_and_b32_e32 v86, 0xff, v85
	v_or_b32_sdwa v114, v131, v148 dst_sel:WORD_1 dst_unused:UNUSED_PAD src0_sel:DWORD src1_sel:DWORD
	v_lshrrev_b16 v14, 11, v135
	v_lshrrev_b16 v131, 11, v146
	v_cndmask_b32_e32 v135, v67, v71, vcc_lo
	v_mul_lo_u16 v86, 0xcd, v86
	v_and_or_b32 v114, 0xffff, v0, v114
	v_and_b32_e32 v146, 0xff, v119
	v_cmp_lt_u16_e64 s4, v14, v131
	v_cndmask_b32_e32 v14, v71, v67, vcc_lo
	v_lshrrev_b16 v67, 11, v128
	v_lshrrev_b16 v71, 11, v86
	v_and_b32_e32 v128, 0xff, v98
	v_cndmask_b32_e64 v86, v0, v114, s4
	v_and_b32_e32 v0, 0xff, v80
	v_cndmask_b32_e64 v114, v103, v133, s4
	v_cmp_lt_u16_e32 vcc_lo, v67, v71
	v_and_b32_e32 v71, 0xff, v116
	v_cndmask_b32_e64 v103, v133, v103, s4
	v_lshlrev_b16 v131, 8, v147
	v_cndmask_b32_e32 v67, v115, v101, vcc_lo
	v_mul_lo_u16 v101, 0xcd, v0
	v_mul_lo_u16 v71, 0xcd, v71
	v_lshlrev_b16 v115, 8, v116
	v_cndmask_b32_e32 v133, v9, v85, vcc_lo
	v_cndmask_b32_e32 v9, v85, v9, vcc_lo
	v_lshrrev_b16 v101, 11, v101
	v_lshrrev_b16 v71, 11, v71
	v_and_b32_e32 v85, 0xff, v147
	v_or_b32_sdwa v0, v0, v115 dst_sel:WORD_1 dst_unused:UNUSED_PAD src0_sel:DWORD src1_sel:DWORD
	v_or_b32_e32 v115, v128, v131
	v_and_b32_e32 v131, 0xff, v12
	v_cmp_lt_u16_e32 vcc_lo, v101, v71
	v_mul_lo_u16 v71, 0xcd, v128
	v_mul_lo_u16 v85, 0xcd, v85
	v_and_or_b32 v0, 0xffff, v67, v0
	v_and_b32_e32 v115, 0xffff, v115
	v_cndmask_b32_e32 v101, v80, v116, vcc_lo
	v_lshrrev_b16 v71, 11, v71
	v_lshrrev_b16 v85, 11, v85
	v_cndmask_b32_e32 v67, v67, v0, vcc_lo
	v_and_or_b32 v0, 0xffff0000, v83, v115
	v_cndmask_b32_e32 v80, v116, v80, vcc_lo
	v_and_b32_e32 v115, 0xff, v68
	v_and_b32_e32 v116, 0xff, v132
	v_cmp_lt_u16_e32 vcc_lo, v71, v85
	v_lshlrev_b16 v128, 8, v132
	v_mul_lo_u16 v71, 0xcd, v115
	v_cndmask_b32_e32 v0, v83, v0, vcc_lo
	v_mul_lo_u16 v83, 0xcd, v116
	v_or_b32_sdwa v85, v115, v128 dst_sel:WORD_1 dst_unused:UNUSED_PAD src0_sel:DWORD src1_sel:DWORD
	v_and_b32_e32 v116, 0xff, v112
	v_lshrrev_b16 v71, 11, v71
	v_cndmask_b32_e32 v115, v98, v147, vcc_lo
	v_lshrrev_b16 v83, 11, v83
	v_and_or_b32 v85, 0xffff, v0, v85
	v_mul_lo_u16 v128, 0xcd, v144
	v_mul_lo_u16 v116, 0xcd, v116
	v_cndmask_b32_e32 v98, v147, v98, vcc_lo
	v_cmp_lt_u16_e32 vcc_lo, v71, v83
	v_lshlrev_b16 v144, 8, v130
	v_lshlrev_b16 v147, 8, v3
	v_lshrrev_b16 v83, 11, v116
	v_cndmask_b32_e32 v71, v0, v85, vcc_lo
	v_lshrrev_b16 v0, 11, v128
	v_cndmask_b32_e32 v116, v68, v132, vcc_lo
	v_cndmask_b32_e32 v68, v132, v68, vcc_lo
	v_and_b32_e32 v128, 0xff, v82
	v_lshlrev_b16 v132, 8, v145
	v_cmp_lt_u16_e32 vcc_lo, v0, v83
	v_lshlrev_b16 v83, 8, v129
	v_perm_b32 v85, v114, v67, 0x3020104
	v_or_b32_e32 v132, v131, v132
	v_cndmask_b32_e32 v0, v6, v96, vcc_lo
	v_and_b32_e32 v6, 0xff, v129
	v_mul_lo_u16 v96, 0xcd, v128
	v_or_b32_sdwa v83, v128, v83 dst_sel:WORD_1 dst_unused:UNUSED_PAD src0_sel:DWORD src1_sel:DWORD
	v_cndmask_b32_e32 v128, v7, v112, vcc_lo
	v_cndmask_b32_e32 v7, v112, v7, vcc_lo
	v_mul_lo_u16 v6, 0xcd, v6
	v_lshrrev_b16 v96, 11, v96
	v_and_or_b32 v83, 0xffff, v0, v83
	v_and_b32_e32 v112, 0xff, v145
	v_and_b32_e32 v132, 0xffff, v132
	v_lshrrev_b16 v6, 11, v6
	v_cmp_lt_u16_e32 vcc_lo, v96, v6
	v_and_or_b32 v96, 0xffff0000, v100, v132
	v_and_b32_e32 v132, 0xff, v130
	v_cndmask_b32_e32 v6, v0, v83, vcc_lo
	v_mul_lo_u16 v0, 0xcd, v131
	v_mul_lo_u16 v83, 0xcd, v112
	v_and_b32_e32 v112, 0xff, v99
	v_cndmask_b32_e32 v131, v82, v129, vcc_lo
	v_cndmask_b32_e32 v82, v129, v82, vcc_lo
	v_lshrrev_b16 v0, 11, v0
	v_lshrrev_b16 v83, 11, v83
	v_mul_lo_u16 v129, 0xcd, v112
	v_or_b32_sdwa v112, v112, v144 dst_sel:WORD_1 dst_unused:UNUSED_PAD src0_sel:DWORD src1_sel:DWORD
	v_and_b32_e32 v144, 0xff, v13
	v_cmp_lt_u16_e32 vcc_lo, v0, v83
	v_and_b32_e32 v83, 0xff, v97
	v_cndmask_b32_e32 v0, v100, v96, vcc_lo
	v_mul_lo_u16 v96, 0xcd, v132
	v_mul_lo_u16 v83, 0xcd, v83
	v_lshrrev_b16 v100, 11, v129
	v_cndmask_b32_e32 v129, v12, v145, vcc_lo
	v_and_or_b32 v112, 0xffff, v0, v112
	v_lshrrev_b16 v96, 11, v96
	v_lshrrev_b16 v83, 11, v83
	v_cndmask_b32_e32 v12, v145, v12, vcc_lo
	v_lshlrev_b16 v132, 8, v149
	v_and_b32_e32 v145, 0xff, v14
	v_cmp_lt_u16_e64 s4, v100, v96
	v_cmp_lt_u16_e32 vcc_lo, v102, v83
	v_perm_b32 v100, v116, v6, 0x3020104
	v_cndmask_b32_e64 v96, v0, v112, s4
	v_cndmask_b32_e32 v0, v69, v118, vcc_lo
	v_and_b32_e32 v69, 0xff, v87
	v_and_b32_e32 v112, 0xff, v84
	v_cndmask_b32_e32 v102, v113, v97, vcc_lo
	v_cndmask_b32_e32 v97, v97, v113, vcc_lo
	v_lshlrev_b16 v113, 8, v84
	v_mul_lo_u16 v118, 0xcd, v69
	v_mul_lo_u16 v112, 0xcd, v112
	v_cndmask_b32_e64 v83, v99, v130, s4
	v_cndmask_b32_e64 v99, v130, v99, s4
	v_and_b32_e32 v130, 0xff, v70
	v_or_b32_sdwa v69, v69, v113 dst_sel:WORD_1 dst_unused:UNUSED_PAD src0_sel:DWORD src1_sel:DWORD
	v_lshrrev_b16 v113, 11, v118
	v_and_b32_e32 v118, 0xff, v149
	v_lshrrev_b16 v112, 11, v112
	v_or_b32_e32 v132, v130, v132
	v_and_or_b32 v69, 0xffff, v0, v69
	v_mul_lo_u16 v130, 0xcd, v130
	v_mul_lo_u16 v118, 0xcd, v118
	v_cmp_lt_u16_e32 vcc_lo, v113, v112
	v_and_b32_e32 v132, 0xffff, v132
	v_lshlrev_b16 v148, 8, v99
	v_lshrrev_b16 v112, 11, v118
	v_cndmask_b32_e32 v69, v0, v69, vcc_lo
	v_lshrrev_b16 v0, 11, v130
	v_and_or_b32 v113, 0xffff0000, v117, v132
	v_cndmask_b32_e32 v118, v87, v84, vcc_lo
	v_cndmask_b32_e32 v84, v84, v87, vcc_lo
	v_and_b32_e32 v87, 0xff, v2
	v_cmp_lt_u16_e32 vcc_lo, v0, v112
	v_and_b32_e32 v0, 0xff, v134
	v_lshlrev_b16 v112, 8, v134
	v_and_b32_e32 v132, 0xff, v81
	v_cndmask_b32_e32 v113, v117, v113, vcc_lo
	v_mul_lo_u16 v117, 0xcd, v87
	v_mul_lo_u16 v0, 0xcd, v0
	v_or_b32_sdwa v87, v87, v112 dst_sel:WORD_1 dst_unused:UNUSED_PAD src0_sel:DWORD src1_sel:DWORD
	v_cndmask_b32_e32 v130, v70, v149, vcc_lo
	v_cndmask_b32_e32 v70, v149, v70, vcc_lo
	v_lshrrev_b16 v112, 11, v117
	v_lshrrev_b16 v0, 11, v0
	v_lshlrev_b16 v117, 8, v81
	v_and_or_b32 v87, 0xffff, v113, v87
	v_cmp_lt_u16_e32 vcc_lo, v112, v0
	v_or_b32_sdwa v117, v8, v117 dst_sel:DWORD dst_unused:UNUSED_PAD src0_sel:BYTE_0 src1_sel:DWORD
	v_mul_lo_u16 v0, 0xcd, v132
	v_perm_b32 v132, v13, v8, 0xc0c0304
	v_perm_b32 v112, v83, v69, 0x3020104
	v_cndmask_b32_e32 v87, v113, v87, vcc_lo
	v_mul_lo_u16 v113, 0xcd, v144
	v_and_b32_e32 v117, 0xffff, v117
	v_lshrrev_b16 v144, 11, v0
	v_cndmask_b32_e32 v0, v2, v134, vcc_lo
	v_cndmask_b32_e32 v2, v134, v2, vcc_lo
	v_lshrrev_b16 v113, 11, v113
	v_lshl_or_b32 v117, v132, 16, v117
	v_mul_lo_u16 v132, 0xcd, v145
	v_mul_lo_u16 v145, 0xcd, v146
	v_lshlrev_b16 v146, 8, v103
	v_cmp_lt_u16_e64 s4, v144, v113
	v_lshlrev_b16 v144, 8, v14
	v_lshrrev_b16 v113, 11, v132
	v_perm_b32 v132, v119, v86, 0x3020104
	v_cndmask_b32_e64 v8, v8, v117, s4
	v_lshrrev_b16 v117, 11, v145
	v_cndmask_b32_e64 v145, v81, v13, s4
	v_cndmask_b32_e64 v13, v13, v81, s4
	v_and_b32_sdwa v134, v8, v1 dst_sel:DWORD dst_unused:UNUSED_PAD src0_sel:WORD_1 src1_sel:DWORD
	v_cmp_lt_u16_e32 vcc_lo, v113, v117
	v_and_b32_e32 v113, 0xff, v9
	v_and_b32_e32 v117, 0xff, v114
	v_or_b32_sdwa v81, v134, v144 dst_sel:WORD_1 dst_unused:UNUSED_PAD src0_sel:DWORD src1_sel:DWORD
	v_cndmask_b32_e32 v86, v86, v132, vcc_lo
	v_mul_lo_u16 v113, 0xcd, v113
	v_mul_lo_u16 v117, 0xcd, v117
	v_and_b32_e32 v134, 0xff, v135
	v_and_b32_e32 v144, 0xff, v103
	v_and_b32_sdwa v132, v86, v10 dst_sel:DWORD dst_unused:UNUSED_PAD src0_sel:WORD_1 src1_sel:DWORD
	v_lshrrev_b16 v113, 11, v113
	v_lshrrev_b16 v117, 11, v117
	v_and_or_b32 v81, 0xffff, v8, v81
	v_mul_lo_u16 v144, 0xcd, v144
	v_or_b32_sdwa v132, v134, v132 dst_sel:WORD_1 dst_unused:UNUSED_PAD src0_sel:DWORD src1_sel:DWORD
	v_cmp_lt_u16_e64 s4, v113, v117
	v_mul_lo_u16 v113, 0xcd, v134
	v_lshrrev_b16 v144, 11, v144
	v_or_b32_sdwa v117, v86, v146 dst_sel:DWORD dst_unused:UNUSED_PAD src0_sel:BYTE_0 src1_sel:DWORD
	v_and_b32_e32 v134, 0xff, v80
	v_cndmask_b32_e64 v67, v67, v85, s4
	v_lshlrev_b16 v85, 8, v80
	v_and_b32_e32 v146, 0xff, v133
	v_lshrrev_b16 v113, 11, v113
	v_or_b32_sdwa v117, v117, v132 dst_sel:DWORD dst_unused:UNUSED_PAD src0_sel:WORD_0 src1_sel:DWORD
	v_mul_lo_u16 v132, 0xcd, v134
	v_or_b32_sdwa v85, v67, v85 dst_sel:DWORD dst_unused:UNUSED_PAD src0_sel:BYTE_0 src1_sel:DWORD
	v_mul_lo_u16 v134, 0xcd, v146
	v_cmp_lt_u16_e64 s5, v144, v113
	v_perm_b32 v146, v133, v67, 0xc0c0304
	v_lshrrev_b16 v113, 11, v132
	v_and_b32_e32 v85, 0xffff, v85
	v_cndmask_b32_e32 v8, v8, v81, vcc_lo
	v_cndmask_b32_e64 v86, v86, v117, s5
	v_lshrrev_b16 v117, 11, v134
	v_cndmask_b32_e32 v81, v14, v119, vcc_lo
	v_lshl_or_b32 v85, v146, 16, v85
	v_cndmask_b32_e32 v14, v119, v14, vcc_lo
	v_and_b32_sdwa v119, v86, v1 dst_sel:DWORD dst_unused:UNUSED_PAD src0_sel:WORD_1 src1_sel:DWORD
	v_cmp_lt_u16_e32 vcc_lo, v113, v117
	v_and_b32_e32 v117, 0xff, v101
	v_lshlrev_b16 v113, 8, v9
	v_lshlrev_b16 v146, 8, v98
	v_and_b32_e32 v134, 0xff, v13
	v_cndmask_b32_e32 v67, v67, v85, vcc_lo
	v_and_b32_e32 v85, 0xff, v98
	v_mul_lo_u16 v117, 0xcd, v117
	v_or_b32_sdwa v113, v119, v113 dst_sel:WORD_1 dst_unused:UNUSED_PAD src0_sel:DWORD src1_sel:DWORD
	v_cndmask_b32_e64 v132, v103, v135, s5
	v_and_b32_sdwa v144, v67, v1 dst_sel:DWORD dst_unused:UNUSED_PAD src0_sel:WORD_1 src1_sel:DWORD
	v_mul_lo_u16 v85, 0xcd, v85
	v_lshrrev_b16 v117, 11, v117
	v_and_or_b32 v113, 0xffff, v86, v113
	v_cndmask_b32_e64 v103, v135, v103, s5
	v_or_b32_sdwa v119, v144, v146 dst_sel:WORD_1 dst_unused:UNUSED_PAD src0_sel:DWORD src1_sel:DWORD
	v_lshrrev_b16 v85, 11, v85
	v_perm_b32 v146, v101, v71, 0x3020104
	v_or_b32_e32 v144, v134, v147
	v_and_b32_e32 v135, 0xff, v116
	v_and_or_b32 v119, 0xffff, v67, v119
	v_cmp_lt_u16_e64 s6, v85, v117
	v_cndmask_b32_e64 v86, v86, v113, s4
	v_and_b32_e32 v85, 0xffff, v144
	v_cndmask_b32_e64 v113, v9, v114, s4
	v_cndmask_b32_e64 v9, v114, v9, s4
	;; [unrolled: 1-line block ×4, first 2 shown]
	v_and_b32_e32 v119, 0xff, v7
	v_cndmask_b32_e32 v114, v80, v133, vcc_lo
	v_and_b32_e32 v144, 0xff, v115
	v_and_b32_e32 v146, 0xff, v68
	v_and_b32_sdwa v117, v71, v10 dst_sel:DWORD dst_unused:UNUSED_PAD src0_sel:WORD_1 src1_sel:DWORD
	v_cndmask_b32_e32 v80, v133, v80, vcc_lo
	v_mul_lo_u16 v119, 0xcd, v119
	v_mul_lo_u16 v133, 0xcd, v135
	v_mul_lo_u16 v135, 0xcd, v146
	v_or_b32_sdwa v117, v144, v117 dst_sel:WORD_1 dst_unused:UNUSED_PAD src0_sel:DWORD src1_sel:DWORD
	v_lshlrev_b16 v146, 8, v68
	v_lshrrev_b16 v119, 11, v119
	v_lshrrev_b16 v133, 11, v133
	v_mul_lo_u16 v144, 0xcd, v144
	v_lshrrev_b16 v135, 11, v135
	v_or_b32_sdwa v146, v71, v146 dst_sel:DWORD dst_unused:UNUSED_PAD src0_sel:BYTE_0 src1_sel:DWORD
	v_cndmask_b32_e64 v147, v98, v101, s6
	v_cmp_lt_u16_e32 vcc_lo, v119, v133
	v_lshrrev_b16 v119, 11, v144
	v_and_b32_e32 v133, 0xff, v82
	v_or_b32_sdwa v117, v146, v117 dst_sel:DWORD dst_unused:UNUSED_PAD src0_sel:WORD_0 src1_sel:DWORD
	v_and_b32_e32 v144, 0xff, v128
	v_cndmask_b32_e32 v6, v6, v100, vcc_lo
	v_lshlrev_b16 v100, 8, v82
	v_cmp_lt_u16_e64 s4, v135, v119
	v_cndmask_b32_e64 v98, v101, v98, s6
	v_mul_lo_u16 v119, 0xcd, v144
	v_lshlrev_b16 v135, 8, v113
	v_or_b32_sdwa v100, v6, v100 dst_sel:DWORD dst_unused:UNUSED_PAD src0_sel:BYTE_0 src1_sel:DWORD
	v_cndmask_b32_e64 v71, v71, v117, s4
	v_mul_lo_u16 v117, 0xcd, v133
	v_perm_b32 v133, v128, v6, 0xc0c0304
	v_lshrrev_b16 v119, 11, v119
	v_and_b32_e32 v100, 0xffff, v100
	v_and_b32_sdwa v101, v71, v1 dst_sel:DWORD dst_unused:UNUSED_PAD src0_sel:WORD_1 src1_sel:DWORD
	v_lshrrev_b16 v117, 11, v117
	v_lshlrev_b16 v146, 8, v12
	v_and_or_b32 v85, 0xffff0000, v8, v85
	v_lshl_or_b32 v100, v133, 16, v100
	v_cndmask_b32_e64 v133, v68, v115, s4
	v_cndmask_b32_e64 v68, v115, v68, s4
	v_cmp_lt_u16_e64 s4, v117, v119
	v_lshlrev_b16 v115, 8, v7
	v_and_b32_e32 v117, 0xff, v80
	v_and_b32_e32 v119, 0xff, v131
	v_lshlrev_b16 v150, 8, v81
	v_cndmask_b32_e64 v6, v6, v100, s4
	v_and_b32_e32 v100, 0xff, v12
	v_or_b32_sdwa v101, v101, v115 dst_sel:WORD_1 dst_unused:UNUSED_PAD src0_sel:DWORD src1_sel:DWORD
	v_mul_lo_u16 v119, 0xcd, v119
	v_or_b32_e32 v115, v117, v135
	v_and_b32_sdwa v144, v6, v1 dst_sel:DWORD dst_unused:UNUSED_PAD src0_sel:WORD_1 src1_sel:DWORD
	v_mul_lo_u16 v100, 0xcd, v100
	v_and_or_b32 v101, 0xffff, v71, v101
	v_lshrrev_b16 v119, 11, v119
	v_and_b32_e32 v115, 0xffff, v115
	v_or_b32_sdwa v135, v144, v146 dst_sel:WORD_1 dst_unused:UNUSED_PAD src0_sel:DWORD src1_sel:DWORD
	v_lshrrev_b16 v100, 11, v100
	v_cndmask_b32_e32 v71, v71, v101, vcc_lo
	v_cndmask_b32_e32 v101, v7, v116, vcc_lo
	;; [unrolled: 1-line block ×3, first 2 shown]
	v_and_b32_e32 v116, 0xff, v83
	v_cmp_lt_u16_e64 s5, v100, v119
	v_and_or_b32 v100, 0xffff0000, v67, v115
	v_and_b32_e32 v115, 0xff, v97
	v_perm_b32 v144, v131, v96, 0x3020104
	v_mul_lo_u16 v116, 0xcd, v116
	v_and_or_b32 v135, 0xffff, v6, v135
	v_and_b32_e32 v146, 0xff, v129
	v_mul_lo_u16 v115, 0xcd, v115
	v_cndmask_b32_e64 v96, v96, v144, s5
	v_and_b32_e32 v144, 0xff, v99
	v_lshrrev_b16 v116, 11, v116
	v_cndmask_b32_e64 v6, v6, v135, s5
	v_lshrrev_b16 v115, 11, v115
	v_cndmask_b32_e64 v119, v82, v128, s4
	v_and_b32_sdwa v135, v96, v10 dst_sel:DWORD dst_unused:UNUSED_PAD src0_sel:WORD_1 src1_sel:DWORD
	v_cndmask_b32_e64 v82, v128, v82, s4
	v_mul_lo_u16 v128, 0xcd, v144
	v_cmp_lt_u16_e32 vcc_lo, v115, v116
	v_mul_lo_u16 v115, 0xcd, v146
	v_or_b32_sdwa v135, v146, v135 dst_sel:WORD_1 dst_unused:UNUSED_PAD src0_sel:DWORD src1_sel:DWORD
	v_or_b32_sdwa v116, v96, v148 dst_sel:DWORD dst_unused:UNUSED_PAD src0_sel:BYTE_0 src1_sel:DWORD
	v_lshrrev_b16 v128, 11, v128
	v_cndmask_b32_e32 v69, v69, v112, vcc_lo
	v_lshlrev_b16 v112, 8, v84
	v_and_b32_e32 v146, 0xff, v84
	v_and_b32_e32 v148, 0xff, v102
	v_lshrrev_b16 v115, 11, v115
	v_or_b32_sdwa v116, v116, v135 dst_sel:DWORD dst_unused:UNUSED_PAD src0_sel:WORD_0 src1_sel:DWORD
	v_or_b32_sdwa v112, v69, v112 dst_sel:DWORD dst_unused:UNUSED_PAD src0_sel:BYTE_0 src1_sel:DWORD
	v_mul_lo_u16 v135, 0xcd, v146
	v_mul_lo_u16 v146, 0xcd, v148
	v_cmp_lt_u16_e64 s4, v128, v115
	v_perm_b32 v148, v102, v69, 0xc0c0304
	v_and_b32_e32 v112, 0xffff, v112
	v_lshrrev_b16 v115, 11, v135
	v_cndmask_b32_e64 v144, v12, v131, s5
	v_cndmask_b32_e64 v96, v96, v116, s4
	v_lshrrev_b16 v116, 11, v146
	v_lshl_or_b32 v112, v148, 16, v112
	v_cndmask_b32_e64 v12, v131, v12, s5
	v_lshlrev_b16 v148, 8, v70
	v_and_b32_sdwa v128, v96, v1 dst_sel:DWORD dst_unused:UNUSED_PAD src0_sel:WORD_1 src1_sel:DWORD
	v_cmp_lt_u16_e64 s5, v115, v116
	v_and_b32_e32 v116, 0xff, v118
	v_lshlrev_b16 v115, 8, v97
	v_cndmask_b32_e64 v131, v99, v129, s4
	v_cndmask_b32_e64 v99, v129, v99, s4
	;; [unrolled: 1-line block ×3, first 2 shown]
	v_and_b32_e32 v112, 0xff, v70
	v_mul_lo_u16 v116, 0xcd, v116
	v_or_b32_sdwa v115, v128, v115 dst_sel:WORD_1 dst_unused:UNUSED_PAD src0_sel:DWORD src1_sel:DWORD
	v_and_b32_e32 v129, 0xff, v2
	v_and_b32_sdwa v146, v69, v1 dst_sel:DWORD dst_unused:UNUSED_PAD src0_sel:WORD_1 src1_sel:DWORD
	v_mul_lo_u16 v112, 0xcd, v112
	v_lshrrev_b16 v116, 11, v116
	v_and_b32_e32 v135, 0xff, v82
	v_lshlrev_b16 v149, 8, v101
	v_or_b32_sdwa v128, v146, v148 dst_sel:WORD_1 dst_unused:UNUSED_PAD src0_sel:DWORD src1_sel:DWORD
	v_lshrrev_b16 v112, 11, v112
	v_perm_b32 v148, v118, v87, 0x3020104
	v_mul_lo_u16 v129, 0xcd, v129
	v_or_b32_e32 v146, v135, v149
	v_and_or_b32 v128, 0xffff, v69, v128
	v_cmp_lt_u16_e64 s6, v112, v116
	v_and_or_b32 v115, 0xffff, v96, v115
	v_lshrrev_b16 v129, 11, v129
	v_and_b32_e32 v112, 0xffff, v146
	v_mul_lo_u16 v117, 0xcd, v117
	v_cndmask_b32_e64 v87, v87, v148, s6
	v_cndmask_b32_e64 v69, v69, v128, s6
	v_and_b32_e32 v128, 0xff, v130
	v_lshlrev_b16 v148, 8, v2
	v_cndmask_b32_e64 v149, v70, v118, s6
	v_and_b32_sdwa v116, v87, v10 dst_sel:DWORD dst_unused:UNUSED_PAD src0_sel:WORD_1 src1_sel:DWORD
	v_cndmask_b32_e64 v70, v118, v70, s6
	v_and_b32_e32 v118, 0xff, v3
	v_or_b32_sdwa v148, v87, v148 dst_sel:DWORD dst_unused:UNUSED_PAD src0_sel:BYTE_0 src1_sel:DWORD
	v_cndmask_b32_e32 v96, v96, v115, vcc_lo
	v_or_b32_sdwa v116, v128, v116 dst_sel:WORD_1 dst_unused:UNUSED_PAD src0_sel:DWORD src1_sel:DWORD
	v_mul_lo_u16 v128, 0xcd, v128
	v_cndmask_b32_e32 v115, v97, v83, vcc_lo
	v_cndmask_b32_e32 v83, v83, v97, vcc_lo
	v_cndmask_b32_e64 v97, v102, v84, s5
	v_or_b32_sdwa v116, v148, v116 dst_sel:DWORD dst_unused:UNUSED_PAD src0_sel:WORD_0 src1_sel:DWORD
	v_lshrrev_b16 v128, 11, v128
	v_mul_lo_u16 v118, 0xcd, v118
	v_cndmask_b32_e64 v84, v84, v102, s5
	v_and_b32_e32 v102, 0xff, v97
	v_lshlrev_b16 v146, 8, v115
	v_cmp_lt_u16_e32 vcc_lo, v129, v128
	v_mul_lo_u16 v129, 0xcd, v134
	v_lshrrev_b16 v118, 11, v118
	v_and_b32_e32 v134, 0xff, v145
	v_or_b32_e32 v146, v102, v146
	v_cndmask_b32_e32 v87, v87, v116, vcc_lo
	v_cndmask_b32_e32 v116, v2, v130, vcc_lo
	;; [unrolled: 1-line block ×3, first 2 shown]
	v_lshrrev_b16 v2, 11, v129
	v_and_b32_e32 v129, 0xff, v14
	v_and_b32_e32 v146, 0xffff, v146
	;; [unrolled: 1-line block ×3, first 2 shown]
	v_and_or_b32 v112, 0xffff0000, v6, v112
	v_cmp_lt_u16_e32 vcc_lo, v2, v118
	v_mul_lo_u16 v118, 0xcd, v134
	v_and_or_b32 v128, 0xffff0000, v69, v146
	v_lshlrev_b16 v146, 8, v145
	v_or_b32_e32 v134, v148, v150
	v_cndmask_b32_e32 v8, v8, v85, vcc_lo
	v_mul_lo_u16 v85, 0xcd, v129
	v_cndmask_b32_e32 v2, v3, v13, vcc_lo
	v_lshrrev_b16 v118, 11, v118
	v_cndmask_b32_e32 v3, v13, v3, vcc_lo
	v_and_b32_e32 v13, 0xff, v81
	v_lshrrev_b16 v85, 11, v85
	v_or_b32_sdwa v129, v129, v146 dst_sel:WORD_1 dst_unused:UNUSED_PAD src0_sel:DWORD src1_sel:DWORD
	v_and_b32_e32 v134, 0xffff, v134
	v_and_b32_e32 v146, 0xff, v132
	v_mul_lo_u16 v13, 0xcd, v13
	v_cmp_lt_u16_e32 vcc_lo, v85, v118
	v_mul_lo_u16 v118, 0xcd, v148
	v_and_or_b32 v129, 0xffff, v8, v129
	v_and_or_b32 v85, 0xffff0000, v86, v134
	v_lshrrev_b16 v13, 11, v13
	v_and_b32_e32 v134, 0xff, v9
	v_lshrrev_b16 v118, 11, v118
	v_cndmask_b32_e32 v8, v8, v129, vcc_lo
	v_cndmask_b32_e32 v129, v14, v145, vcc_lo
	;; [unrolled: 1-line block ×3, first 2 shown]
	v_mul_lo_u16 v145, 0xcd, v134
	v_cmp_lt_u16_e32 vcc_lo, v118, v13
	v_mul_lo_u16 v146, 0xcd, v146
	v_lshlrev_b16 v148, 8, v132
	v_mul_lo_u16 v102, 0xcd, v102
	v_cndmask_b32_e32 v13, v86, v85, vcc_lo
	v_and_b32_e32 v86, 0xff, v113
	v_lshrrev_b16 v85, 11, v145
	v_or_b32_sdwa v118, v134, v148 dst_sel:WORD_1 dst_unused:UNUSED_PAD src0_sel:DWORD src1_sel:DWORD
	v_lshrrev_b16 v134, 11, v146
	v_cndmask_b32_e32 v145, v103, v81, vcc_lo
	v_mul_lo_u16 v86, 0xcd, v86
	v_cndmask_b32_e32 v81, v81, v103, vcc_lo
	v_and_or_b32 v118, 0xffff, v13, v118
	v_cmp_lt_u16_e64 s4, v85, v134
	v_lshrrev_b16 v85, 11, v117
	v_lshrrev_b16 v86, 11, v86
	v_and_b32_e32 v117, 0xff, v98
	v_lshrrev_b16 v102, 11, v102
	v_cndmask_b32_e64 v13, v13, v118, s4
	v_cndmask_b32_e64 v103, v9, v132, s4
	v_cmp_lt_u16_e32 vcc_lo, v85, v86
	v_and_b32_e32 v85, 0xff, v114
	v_cndmask_b32_e64 v9, v132, v9, s4
	v_mul_lo_u16 v86, 0xcd, v117
	v_and_b32_e32 v118, 0xff, v68
	v_cndmask_b32_e32 v67, v67, v100, vcc_lo
	v_lshlrev_b16 v100, 8, v114
	v_lshlrev_b16 v132, 8, v147
	v_mul_lo_u16 v85, 0xcd, v85
	v_cndmask_b32_e32 v134, v80, v113, vcc_lo
	v_lshrrev_b16 v86, 11, v86
	v_or_b32_sdwa v100, v117, v100 dst_sel:WORD_1 dst_unused:UNUSED_PAD src0_sel:DWORD src1_sel:DWORD
	v_or_b32_e32 v117, v118, v132
	v_lshrrev_b16 v85, 11, v85
	v_cndmask_b32_e32 v80, v113, v80, vcc_lo
	v_and_b32_e32 v113, 0xff, v147
	v_and_or_b32 v100, 0xffff, v67, v100
	v_and_b32_e32 v117, 0xffff, v117
	v_cmp_lt_u16_e32 vcc_lo, v86, v85
	v_mul_lo_u16 v85, 0xcd, v118
	v_mul_lo_u16 v86, 0xcd, v113
	v_lshlrev_b16 v118, 8, v133
	v_and_b32_e32 v132, 0xff, v99
	v_cndmask_b32_e32 v67, v67, v100, vcc_lo
	v_and_or_b32 v100, 0xffff0000, v71, v117
	v_cndmask_b32_e32 v113, v98, v114, vcc_lo
	v_lshrrev_b16 v85, 11, v85
	v_lshrrev_b16 v86, 11, v86
	v_cndmask_b32_e32 v98, v114, v98, vcc_lo
	v_and_b32_e32 v114, 0xff, v7
	v_and_b32_e32 v117, 0xff, v133
	v_cmp_lt_u16_e32 vcc_lo, v85, v86
	v_mul_lo_u16 v85, 0xcd, v114
	v_mul_lo_u16 v86, 0xcd, v117
	v_and_b32_e32 v117, 0xff, v101
	v_cndmask_b32_e32 v71, v71, v100, vcc_lo
	v_or_b32_sdwa v100, v114, v118 dst_sel:WORD_1 dst_unused:UNUSED_PAD src0_sel:DWORD src1_sel:DWORD
	v_lshrrev_b16 v85, 11, v85
	v_lshrrev_b16 v86, 11, v86
	v_mul_lo_u16 v118, 0xcd, v135
	v_mul_lo_u16 v117, 0xcd, v117
	v_cndmask_b32_e32 v114, v68, v147, vcc_lo
	v_and_or_b32 v100, 0xffff, v71, v100
	v_cndmask_b32_e32 v68, v147, v68, vcc_lo
	v_cmp_lt_u16_e32 vcc_lo, v85, v86
	v_lshrrev_b16 v85, 11, v118
	v_lshrrev_b16 v86, 11, v117
	v_lshlrev_b16 v135, 8, v131
	v_cndmask_b32_e32 v71, v71, v100, vcc_lo
	v_cndmask_b32_e32 v117, v7, v133, vcc_lo
	v_cndmask_b32_e32 v118, v133, v7, vcc_lo
	v_and_b32_e32 v7, 0xff, v12
	v_cmp_lt_u16_e32 vcc_lo, v85, v86
	v_and_b32_e32 v85, 0xff, v119
	v_lshlrev_b16 v86, 8, v119
	v_lshlrev_b16 v133, 8, v144
	v_perm_b32 v100, v103, v67, 0x3020104
	v_cndmask_b32_e32 v6, v6, v112, vcc_lo
	v_mul_lo_u16 v112, 0xcd, v7
	v_mul_lo_u16 v85, 0xcd, v85
	v_or_b32_sdwa v7, v7, v86 dst_sel:WORD_1 dst_unused:UNUSED_PAD src0_sel:DWORD src1_sel:DWORD
	v_cndmask_b32_e32 v86, v82, v101, vcc_lo
	v_cndmask_b32_e32 v82, v101, v82, vcc_lo
	v_lshrrev_b16 v112, 11, v112
	v_lshrrev_b16 v85, 11, v85
	v_and_or_b32 v7, 0xffff, v6, v7
	v_and_b32_e32 v101, 0xff, v144
	v_or_b32_e32 v133, v132, v133
	v_and_b32_e32 v103, 0xff, v103
	v_cmp_lt_u16_e32 vcc_lo, v112, v85
	v_and_b32_e32 v112, 0xff, v83
	v_mul_lo_u16 v85, 0xcd, v101
	v_and_b32_e32 v133, 0xffff, v133
	v_mul_lo_u16 v103, 0xcd, v103
	v_cndmask_b32_e32 v6, v6, v7, vcc_lo
	v_mul_lo_u16 v7, 0xcd, v132
	v_lshrrev_b16 v85, 11, v85
	v_and_or_b32 v101, 0xffff0000, v96, v133
	v_cndmask_b32_e32 v132, v12, v119, vcc_lo
	v_cndmask_b32_e32 v12, v119, v12, vcc_lo
	v_lshrrev_b16 v7, 11, v7
	v_and_b32_e32 v133, 0xff, v131
	v_mul_lo_u16 v119, 0xcd, v112
	v_or_b32_sdwa v112, v112, v135 dst_sel:WORD_1 dst_unused:UNUSED_PAD src0_sel:DWORD src1_sel:DWORD
	v_and_b32_e32 v135, 0xff, v149
	v_cmp_lt_u16_e32 vcc_lo, v7, v85
	v_and_b32_e32 v85, 0xff, v115
	v_lshrrev_b16 v103, 11, v103
	v_cndmask_b32_e32 v7, v96, v101, vcc_lo
	v_mul_lo_u16 v96, 0xcd, v133
	v_lshrrev_b16 v101, 11, v119
	v_mul_lo_u16 v85, 0xcd, v85
	v_cndmask_b32_e32 v119, v99, v144, vcc_lo
	v_and_or_b32 v112, 0xffff, v7, v112
	v_lshrrev_b16 v96, 11, v96
	v_lshlrev_b16 v133, 8, v149
	v_lshrrev_b16 v85, 11, v85
	v_cmp_lt_u16_e64 s4, v101, v96
	v_cndmask_b32_e32 v96, v144, v99, vcc_lo
	v_cmp_lt_u16_e32 vcc_lo, v102, v85
	v_and_b32_e32 v144, 0xff, v129
	v_perm_b32 v129, v129, v13, 0x3020104
	v_cndmask_b32_e64 v99, v7, v112, s4
	v_and_b32_e32 v7, 0xff, v70
	v_and_b32_e32 v112, 0xff, v84
	v_cndmask_b32_e64 v85, v83, v131, s4
	v_cndmask_b32_e64 v83, v131, v83, s4
	v_cndmask_b32_e32 v69, v69, v128, vcc_lo
	v_cndmask_b32_e32 v102, v97, v115, vcc_lo
	;; [unrolled: 1-line block ×3, first 2 shown]
	v_mul_lo_u16 v115, 0xcd, v7
	v_lshlrev_b16 v128, 8, v84
	v_and_b32_e32 v131, 0xff, v130
	v_mul_lo_u16 v112, 0xcd, v112
	v_mul_lo_u16 v144, 0xcd, v144
	v_lshrrev_b16 v115, 11, v115
	v_or_b32_sdwa v7, v7, v128 dst_sel:WORD_1 dst_unused:UNUSED_PAD src0_sel:DWORD src1_sel:DWORD
	v_or_b32_e32 v128, v131, v133
	v_lshrrev_b16 v112, 11, v112
	v_mul_lo_u16 v131, 0xcd, v131
	v_mul_lo_u16 v133, 0xcd, v135
	v_and_or_b32 v7, 0xffff, v69, v7
	v_and_b32_e32 v128, 0xffff, v128
	v_cmp_lt_u16_e32 vcc_lo, v115, v112
	v_lshrrev_b16 v112, 11, v131
	v_lshrrev_b16 v115, 11, v133
	v_and_b32_e32 v131, 0xff, v0
	v_lshlrev_b16 v133, 8, v14
	v_cndmask_b32_e32 v69, v69, v7, vcc_lo
	v_and_or_b32 v7, 0xffff0000, v87, v128
	v_cmp_lt_u16_e64 s4, v112, v115
	v_and_b32_e32 v14, 0xff, v14
	v_or_b32_sdwa v133, v8, v133 dst_sel:DWORD dst_unused:UNUSED_PAD src0_sel:BYTE_0 src1_sel:DWORD
	v_and_b32_e32 v135, 0xff, v81
	v_cndmask_b32_e32 v128, v70, v84, vcc_lo
	v_cndmask_b32_e64 v112, v130, v149, s4
	v_cndmask_b32_e64 v115, v149, v130, s4
	v_lshlrev_b16 v130, 8, v116
	v_cndmask_b32_e64 v7, v87, v7, s4
	v_mul_lo_u16 v87, 0xcd, v131
	v_mul_lo_u16 v14, 0xcd, v14
	v_cndmask_b32_e32 v70, v84, v70, vcc_lo
	v_or_b32_sdwa v130, v131, v130 dst_sel:WORD_1 dst_unused:UNUSED_PAD src0_sel:DWORD src1_sel:DWORD
	v_and_b32_e32 v131, 0xff, v3
	v_and_b32_e32 v84, 0xff, v116
	v_and_b32_e32 v133, 0xffff, v133
	v_perm_b32 v3, v3, v8, 0xc0c0304
	v_mul_lo_u16 v135, 0xcd, v135
	v_mul_lo_u16 v131, 0xcd, v131
	v_lshrrev_b16 v14, 11, v14
	v_mul_lo_u16 v84, 0xcd, v84
	v_lshl_or_b32 v3, v3, 16, v133
	v_lshrrev_b16 v133, 11, v135
	v_lshrrev_b16 v131, 11, v131
	;; [unrolled: 1-line block ×5, first 2 shown]
	v_and_or_b32 v130, 0xffff, v7, v130
	v_cmp_lt_u16_e32 vcc_lo, v14, v131
	v_lshlrev_b16 v81, 8, v81
	v_perm_b32 v101, v117, v6, 0x3020104
	v_cmp_lt_u16_e64 s4, v87, v84
	v_and_b32_e32 v87, 0xff, v145
	v_cndmask_b32_e32 v3, v8, v3, vcc_lo
	v_cmp_lt_u16_e32 vcc_lo, v133, v135
	v_perm_b32 v14, v85, v69, 0x3020104
	v_and_b32_e32 v85, 0xff, v85
	v_cndmask_b32_e32 v8, v13, v129, vcc_lo
	v_cndmask_b32_e64 v13, v7, v130, s4
	v_and_b32_e32 v129, 0xff, v80
	v_and_b32_e32 v130, 0xff, v9
	v_and_b32_sdwa v7, v3, v1 dst_sel:DWORD dst_unused:UNUSED_PAD src0_sel:WORD_1 src1_sel:DWORD
	v_and_b32_sdwa v84, v8, v10 dst_sel:DWORD dst_unused:UNUSED_PAD src0_sel:WORD_1 src1_sel:DWORD
	v_lshlrev_b16 v9, 8, v9
	v_mul_lo_u16 v129, 0xcd, v129
	v_mul_lo_u16 v130, 0xcd, v130
	v_or_b32_sdwa v7, v7, v81 dst_sel:WORD_1 dst_unused:UNUSED_PAD src0_sel:DWORD src1_sel:DWORD
	v_or_b32_sdwa v84, v87, v84 dst_sel:WORD_1 dst_unused:UNUSED_PAD src0_sel:DWORD src1_sel:DWORD
	v_mul_lo_u16 v87, 0xcd, v87
	v_or_b32_sdwa v9, v8, v9 dst_sel:DWORD dst_unused:UNUSED_PAD src0_sel:BYTE_0 src1_sel:DWORD
	v_lshrrev_b16 v129, 11, v129
	v_lshrrev_b16 v81, 11, v130
	v_and_or_b32 v7, 0xffff, v3, v7
	v_lshrrev_b16 v87, 11, v87
	v_or_b32_sdwa v9, v9, v84 dst_sel:DWORD dst_unused:UNUSED_PAD src0_sel:WORD_0 src1_sel:DWORD
	v_cmp_lt_u16_e64 s5, v129, v103
	v_lshlrev_b16 v84, 8, v98
	v_lshlrev_b16 v80, 8, v80
	v_cmp_lt_u16_e64 s6, v81, v87
	v_and_b32_e32 v81, 0xff, v134
	v_cndmask_b32_e64 v67, v67, v100, s5
	v_cndmask_b32_e32 v100, v3, v7, vcc_lo
	v_and_b32_e32 v103, 0xff, v117
	v_cndmask_b32_e64 v8, v8, v9, s6
	v_and_b32_e32 v9, 0xff, v98
	v_or_b32_sdwa v84, v67, v84 dst_sel:DWORD dst_unused:UNUSED_PAD src0_sel:BYTE_0 src1_sel:DWORD
	v_mul_lo_u16 v81, 0xcd, v81
	v_perm_b32 v98, v134, v67, 0xc0c0304
	v_and_b32_sdwa v87, v8, v1 dst_sel:DWORD dst_unused:UNUSED_PAD src0_sel:WORD_1 src1_sel:DWORD
	v_mul_lo_u16 v9, 0xcd, v9
	v_and_b32_e32 v84, 0xffff, v84
	v_cndmask_b32_e64 v3, v0, v116, s4
	v_cndmask_b32_e64 v0, v116, v0, s4
	v_or_b32_sdwa v7, v87, v80 dst_sel:WORD_1 dst_unused:UNUSED_PAD src0_sel:DWORD src1_sel:DWORD
	v_lshrrev_b16 v9, 11, v9
	v_lshrrev_b16 v80, 11, v81
	v_lshl_or_b32 v81, v98, 16, v84
	v_and_b32_e32 v87, 0xff, v113
	v_and_b32_e32 v98, 0xff, v82
	v_and_or_b32 v7, 0xffff, v8, v7
	v_cmp_lt_u16_e32 vcc_lo, v9, v80
	v_lshlrev_b16 v82, 8, v82
	v_mul_lo_u16 v87, 0xcd, v87
	v_lshrrev_b32_e32 v84, 8, v100
	v_cndmask_b32_e64 v7, v8, v7, s5
	v_cndmask_b32_e32 v9, v67, v81, vcc_lo
	v_and_b32_e32 v81, 0xff, v68
	v_lshlrev_b16 v68, 8, v68
	v_lshrrev_b16 v87, 11, v87
	v_and_b32_e32 v8, 0xff, v84
	v_and_b32_sdwa v80, v9, v1 dst_sel:DWORD dst_unused:UNUSED_PAD src0_sel:WORD_1 src1_sel:DWORD
	v_mul_lo_u16 v81, 0xcd, v81
	v_lshlrev_b16 v67, 8, v2
	v_or_b32_sdwa v68, v80, v68 dst_sel:WORD_1 dst_unused:UNUSED_PAD src0_sel:DWORD src1_sel:DWORD
	v_mul_lo_u16 v80, 0xcd, v98
	v_mul_lo_u16 v98, 0xcd, v103
	v_lshrrev_b16 v81, 11, v81
	v_perm_b32 v103, v113, v71, 0x3020104
	v_and_or_b32 v68, 0xffff, v9, v68
	v_lshrrev_b16 v80, 11, v80
	v_lshrrev_b16 v98, 11, v98
	v_cmp_lt_u16_e32 vcc_lo, v81, v87
	v_and_b32_e32 v87, 0xff, v118
	v_or_b32_e32 v67, v8, v67
	v_cmp_lt_u16_e64 s4, v80, v98
	v_cndmask_b32_e32 v81, v9, v68, vcc_lo
	v_lshlrev_b16 v9, 8, v12
	v_cndmask_b32_e32 v68, v71, v103, vcc_lo
	v_and_b32_e32 v12, 0xff, v12
	v_cndmask_b32_e64 v6, v6, v101, s4
	v_and_b32_e32 v71, 0xff, v86
	v_mul_lo_u16 v87, 0xcd, v87
	v_and_b32_sdwa v80, v68, v10 dst_sel:DWORD dst_unused:UNUSED_PAD src0_sel:WORD_1 src1_sel:DWORD
	v_mul_lo_u16 v12, 0xcd, v12
	v_or_b32_sdwa v9, v6, v9 dst_sel:DWORD dst_unused:UNUSED_PAD src0_sel:BYTE_0 src1_sel:DWORD
	v_mul_lo_u16 v71, 0xcd, v71
	v_perm_b32 v86, v86, v6, 0xc0c0304
	v_and_b32_e32 v98, 0xff, v114
	v_lshrrev_b16 v12, 11, v12
	v_and_b32_e32 v9, 0xffff, v9
	v_lshrrev_b16 v71, 11, v71
	v_and_b32_e32 v67, 0xffff, v67
	v_or_b32_sdwa v80, v98, v80 dst_sel:WORD_1 dst_unused:UNUSED_PAD src0_sel:DWORD src1_sel:DWORD
	v_lshl_or_b32 v9, v86, 16, v9
	v_cmp_lt_u16_e32 vcc_lo, v12, v71
	v_lshrrev_b16 v86, 11, v87
	v_lshlrev_b16 v87, 8, v118
	v_and_b32_e32 v71, 0xff, v132
	v_mul_lo_u16 v12, 0xcd, v98
	v_cndmask_b32_e32 v6, v6, v9, vcc_lo
	v_and_b32_e32 v9, 0xff, v96
	v_or_b32_sdwa v87, v68, v87 dst_sel:DWORD dst_unused:UNUSED_PAD src0_sel:BYTE_0 src1_sel:DWORD
	v_lshlrev_b16 v96, 8, v96
	v_mul_lo_u16 v71, 0xcd, v71
	v_and_b32_sdwa v98, v6, v1 dst_sel:DWORD dst_unused:UNUSED_PAD src0_sel:WORD_1 src1_sel:DWORD
	v_mul_lo_u16 v9, 0xcd, v9
	v_lshrrev_b16 v12, 11, v12
	v_or_b32_sdwa v80, v87, v80 dst_sel:DWORD dst_unused:UNUSED_PAD src0_sel:WORD_0 src1_sel:DWORD
	v_lshrrev_b16 v71, 11, v71
	v_or_b32_sdwa v87, v98, v96 dst_sel:WORD_1 dst_unused:UNUSED_PAD src0_sel:DWORD src1_sel:DWORD
	v_lshrrev_b16 v9, 11, v9
	v_and_b32_e32 v96, 0xff, v97
	v_cmp_lt_u16_e64 s5, v86, v12
	v_perm_b32 v98, v132, v99, 0x3020104
	v_and_or_b32 v87, 0xffff, v6, v87
	v_cmp_lt_u16_e32 vcc_lo, v9, v71
	v_mul_lo_u16 v9, 0xcd, v96
	v_mul_lo_u16 v71, 0xcd, v85
	v_cndmask_b32_e64 v12, v68, v80, s5
	v_and_or_b32 v67, 0xffff0000, v100, v67
	v_cndmask_b32_e32 v80, v6, v87, vcc_lo
	v_lshrrev_b16 v9, 11, v9
	v_lshrrev_b16 v68, 11, v71
	v_cndmask_b32_e32 v6, v99, v98, vcc_lo
	v_and_b32_sdwa v71, v12, v1 dst_sel:DWORD dst_unused:UNUSED_PAD src0_sel:WORD_1 src1_sel:DWORD
	v_and_b32_e32 v87, 0xff, v7
	v_and_b32_e32 v96, 0xff, v81
	v_cmp_lt_u16_e32 vcc_lo, v9, v68
	v_and_b32_sdwa v85, v6, v10 dst_sel:DWORD dst_unused:UNUSED_PAD src0_sel:WORD_1 src1_sel:DWORD
	v_and_b32_e32 v68, 0xff, v119
	v_cndmask_b32_e32 v9, v69, v14, vcc_lo
	v_lshlrev_b16 v14, 8, v70
	v_or_b32_sdwa v69, v71, v82 dst_sel:WORD_1 dst_unused:UNUSED_PAD src0_sel:DWORD src1_sel:DWORD
	v_and_b32_e32 v70, 0xff, v70
	v_and_b32_e32 v71, 0xff, v102
	v_or_b32_sdwa v82, v68, v85 dst_sel:WORD_1 dst_unused:UNUSED_PAD src0_sel:DWORD src1_sel:DWORD
	v_or_b32_sdwa v14, v9, v14 dst_sel:DWORD dst_unused:UNUSED_PAD src0_sel:BYTE_0 src1_sel:DWORD
	v_and_b32_e32 v85, 0xff, v83
	v_mul_lo_u16 v70, 0xcd, v70
	v_mul_lo_u16 v71, 0xcd, v71
	v_perm_b32 v86, v102, v9, 0xc0c0304
	v_and_b32_e32 v14, 0xffff, v14
	v_mul_lo_u16 v85, 0xcd, v85
	v_lshlrev_b16 v83, 8, v83
	v_lshrrev_b16 v70, 11, v70
	v_lshrrev_b16 v71, 11, v71
	v_mul_lo_u16 v68, 0xcd, v68
	v_lshl_or_b32 v14, v86, 16, v14
	v_lshrrev_b16 v85, 11, v85
	v_or_b32_sdwa v83, v6, v83 dst_sel:DWORD dst_unused:UNUSED_PAD src0_sel:BYTE_0 src1_sel:DWORD
	v_cmp_lt_u16_e64 s5, v70, v71
	v_lshrrev_b16 v68, 11, v68
	v_and_b32_e32 v70, 0xff, v128
	v_or_b32_sdwa v71, v83, v82 dst_sel:DWORD dst_unused:UNUSED_PAD src0_sel:WORD_0 src1_sel:DWORD
	v_cndmask_b32_e64 v9, v9, v14, s5
	v_and_b32_e32 v14, 0xff, v115
	v_cmp_lt_u16_e64 s5, v85, v68
	v_mul_lo_u16 v70, 0xcd, v70
	v_lshlrev_b16 v83, 8, v115
	v_and_b32_sdwa v82, v9, v1 dst_sel:DWORD dst_unused:UNUSED_PAD src0_sel:WORD_1 src1_sel:DWORD
	v_mul_lo_u16 v14, 0xcd, v14
	v_cndmask_b32_e64 v6, v6, v71, s5
	v_and_or_b32 v68, 0xffff, v12, v69
	v_lshrrev_b16 v70, 11, v70
	v_or_b32_sdwa v69, v82, v83 dst_sel:WORD_1 dst_unused:UNUSED_PAD src0_sel:DWORD src1_sel:DWORD
	v_lshrrev_b16 v14, 11, v14
	v_and_b32_sdwa v71, v6, v1 dst_sel:DWORD dst_unused:UNUSED_PAD src0_sel:WORD_1 src1_sel:DWORD
	v_lshlrev_b16 v82, 8, v97
	v_perm_b32 v83, v128, v13, 0x3020104
	v_and_or_b32 v69, 0xffff, v9, v69
	v_cmp_lt_u16_e64 s5, v14, v70
	v_and_b32_e32 v85, 0xff, v112
	v_or_b32_sdwa v70, v71, v82 dst_sel:WORD_1 dst_unused:UNUSED_PAD src0_sel:DWORD src1_sel:DWORD
	v_perm_b32 v71, 0, v80, 0xc0c0001
	v_perm_b32 v14, 0, v81, 0xc0c0001
	v_cndmask_b32_e64 v69, v9, v69, s5
	v_cndmask_b32_e64 v9, v12, v68, s4
	v_and_or_b32 v12, 0xffff, v6, v70
	v_and_or_b32 v70, 0xffff0000, v80, v71
	v_and_b32_e32 v71, 0xff, v2
	v_cndmask_b32_e64 v82, v13, v83, s5
	v_and_b32_e32 v83, 0xff, v0
	v_cndmask_b32_e32 v13, v6, v12, vcc_lo
	v_mul_lo_u16 v6, 0xcd, v8
	v_mul_lo_u16 v8, 0xcd, v71
	;; [unrolled: 1-line block ×3, first 2 shown]
	v_and_b32_sdwa v68, v82, v10 dst_sel:DWORD dst_unused:UNUSED_PAD src0_sel:WORD_1 src1_sel:DWORD
	v_mul_lo_u16 v12, 0xcd, v83
	v_lshrrev_b16 v6, 11, v6
	v_lshrrev_b16 v8, 11, v8
	v_lshlrev_b16 v0, 8, v0
	v_or_b32_sdwa v68, v85, v68 dst_sel:WORD_1 dst_unused:UNUSED_PAD src0_sel:DWORD src1_sel:DWORD
	v_lshrrev_b16 v12, 11, v12
	v_and_or_b32 v14, 0xffff0000, v81, v14
	v_cmp_lt_u16_e32 vcc_lo, v6, v8
	v_lshrrev_b16 v8, 11, v71
	v_lshrrev_b32_e32 v71, 8, v7
	v_or_b32_sdwa v0, v82, v0 dst_sel:DWORD dst_unused:UNUSED_PAD src0_sel:BYTE_0 src1_sel:DWORD
	v_and_b32_e32 v98, 0xff, v9
	v_cndmask_b32_e32 v6, v100, v67, vcc_lo
	v_cmp_lt_u16_e64 s4, v12, v8
	v_and_b32_e32 v86, 0xff, v71
	v_or_b32_sdwa v0, v0, v68 dst_sel:DWORD dst_unused:UNUSED_PAD src0_sel:WORD_0 src1_sel:DWORD
	v_mul_lo_u16 v12, 0xcd, v87
	v_lshrrev_b64 v[67:68], 24, v[6:7]
	v_lshrrev_b32_e32 v85, 16, v6
	v_mul_lo_u16 v8, 0xcd, v86
	v_cndmask_b32_e64 v68, v82, v0, s4
	v_lshrrev_b16 v12, 11, v12
	v_cndmask_b32_e32 v2, v84, v2, vcc_lo
	v_and_b32_e32 v82, 0xff, v67
	v_lshrrev_b16 v8, 11, v8
	v_and_b32_e32 v84, 0xff, v85
	v_perm_b32 v86, v7, v7, 0x7060405
	v_perm_b32 v0, 0, v85, 0xc0c0001
	v_mul_lo_u16 v82, 0xcd, v82
	v_cmp_lt_u16_e32 vcc_lo, v8, v12
	v_mul_lo_u16 v84, 0xcd, v84
	v_mul_lo_u16 v98, 0xcd, v98
	v_lshlrev_b32_e32 v0, 16, v0
	v_lshrrev_b16 v8, 11, v82
	v_cndmask_b32_e32 v12, v7, v86, vcc_lo
	v_lshrrev_b32_e32 v86, 8, v81
	v_lshrrev_b16 v82, 11, v84
	v_and_or_b32 v0, 0xffff, v6, v0
	v_lshrrev_b16 v98, 11, v98
	v_lshrrev_b32_e32 v84, 16, v12
	v_and_b32_e32 v87, 0xff, v86
	v_cmp_lt_u16_e64 s4, v8, v82
	v_lshrrev_b32_e32 v82, 24, v12
	v_perm_b32 v102, v9, v9, 0x7060405
	v_perm_b32 v118, v13, v13, 0x7060405
	v_mul_lo_u16 v8, 0xcd, v87
	v_mul_lo_u16 v87, 0xcd, v96
	v_cndmask_b32_e64 v0, v6, v0, s4
	v_and_b32_e32 v6, 0xff, v84
	v_mul_lo_u16 v97, 0xcd, v82
	v_lshrrev_b16 v8, 11, v8
	v_lshrrev_b16 v87, 11, v87
	v_cndmask_b32_e64 v96, v67, v85, s4
	v_mul_lo_u16 v6, 0xcd, v6
	v_cndmask_b32_e64 v85, v85, v67, s4
	v_lshrrev_b16 v67, 11, v97
	v_cmp_lt_u16_e64 s4, v8, v87
	v_perm_b32 v97, v12, v12, 0x6070504
	v_lshrrev_b16 v6, 11, v6
	v_perm_b32 v83, 0, v69, 0xc0c0001
	v_perm_b32 v134, v68, v68, 0x7060405
	v_cndmask_b32_e64 v8, v81, v14, s4
	v_cndmask_b32_e32 v14, v71, v7, vcc_lo
	v_cndmask_b32_e32 v71, v7, v71, vcc_lo
	v_cmp_lt_u16_e32 vcc_lo, v67, v6
	v_lshrrev_b32_e32 v67, 8, v9
	v_lshrrev_b64 v[6:7], 24, v[8:9]
	v_cndmask_b32_e64 v101, v86, v81, s4
	v_cndmask_b32_e64 v81, v81, v86, s4
	v_cndmask_b32_e32 v87, v12, v97, vcc_lo
	v_lshrrev_b32_e32 v12, 16, v8
	v_cndmask_b32_e32 v97, v82, v84, vcc_lo
	v_cndmask_b32_e32 v82, v84, v82, vcc_lo
	v_and_b32_e32 v84, 0xff, v67
	v_and_b32_e32 v99, 0xff, v6
	;; [unrolled: 1-line block ×3, first 2 shown]
	v_perm_b32 v7, 0, v12, 0xc0c0001
	v_and_or_b32 v83, 0xffff0000, v69, v83
	v_mul_lo_u16 v84, 0xcd, v84
	v_mul_lo_u16 v99, 0xcd, v99
	;; [unrolled: 1-line block ×3, first 2 shown]
	v_lshlrev_b32_e32 v7, 16, v7
	v_and_b32_e32 v135, 0xff, v2
	v_lshrrev_b16 v84, 11, v84
	v_lshrrev_b16 v99, 11, v99
	;; [unrolled: 1-line block ×3, first 2 shown]
	v_and_or_b32 v7, 0xffff, v8, v7
	v_cmp_lt_u16_e32 vcc_lo, v84, v98
	v_lshrrev_b32_e32 v98, 8, v80
	v_cmp_lt_u16_e64 s4, v99, v100
	v_and_b32_e32 v99, 0xff, v80
	v_cndmask_b32_e32 v84, v9, v102, vcc_lo
	v_cndmask_b32_e64 v8, v8, v7, s4
	v_and_b32_e32 v7, 0xff, v98
	v_mul_lo_u16 v99, 0xcd, v99
	v_lshrrev_b32_e32 v86, 16, v84
	v_lshrrev_b32_e32 v102, 24, v84
	v_cndmask_b32_e64 v100, v6, v12, s4
	v_mul_lo_u16 v7, 0xcd, v7
	v_lshrrev_b16 v99, 11, v99
	v_and_b32_e32 v103, 0xff, v86
	v_cndmask_b32_e64 v112, v12, v6, s4
	v_mul_lo_u16 v6, 0xcd, v102
	v_lshrrev_b16 v7, 11, v7
	v_perm_b32 v114, v84, v84, 0x6070504
	v_mul_lo_u16 v12, 0xcd, v103
	v_cndmask_b32_e32 v103, v67, v9, vcc_lo
	v_lshrrev_b16 v6, 11, v6
	v_cmp_lt_u16_e64 s4, v7, v99
	v_cndmask_b32_e32 v9, v9, v67, vcc_lo
	v_lshrrev_b16 v113, 11, v12
	v_lshrrev_b32_e32 v99, 8, v13
	v_cndmask_b32_e64 v12, v80, v70, s4
	v_cndmask_b32_e64 v117, v98, v80, s4
	v_cmp_lt_u16_e32 vcc_lo, v6, v113
	v_cndmask_b32_e64 v80, v80, v98, s4
	v_lshrrev_b64 v[6:7], 24, v[12:13]
	v_lshrrev_b32_e32 v67, 16, v12
	v_cndmask_b32_e32 v70, v84, v114, vcc_lo
	v_cndmask_b32_e32 v113, v102, v86, vcc_lo
	v_cndmask_b32_e32 v86, v86, v102, vcc_lo
	v_and_b32_e32 v102, 0xff, v99
	v_and_b32_e32 v114, 0xff, v13
	;; [unrolled: 1-line block ×4, first 2 shown]
	v_perm_b32 v7, 0, v67, 0xc0c0001
	v_mul_lo_u16 v102, 0xcd, v102
	v_mul_lo_u16 v114, 0xcd, v114
	;; [unrolled: 1-line block ×4, first 2 shown]
	v_lshlrev_b32_e32 v7, 16, v7
	v_lshrrev_b16 v102, 11, v102
	v_lshrrev_b16 v114, 11, v114
	;; [unrolled: 1-line block ×4, first 2 shown]
	v_and_or_b32 v7, 0xffff, v12, v7
	v_perm_b32 v84, v97, v8, 0x3020104
	v_cmp_lt_u16_e32 vcc_lo, v102, v114
	v_lshrrev_b32_e32 v114, 8, v69
	v_cmp_lt_u16_e64 s4, v115, v116
	v_and_b32_e32 v115, 0xff, v69
	v_cndmask_b32_e32 v102, v13, v118, vcc_lo
	v_cndmask_b32_e64 v12, v12, v7, s4
	v_and_b32_e32 v7, 0xff, v114
	v_mul_lo_u16 v115, 0xcd, v115
	v_lshrrev_b32_e32 v98, 16, v102
	v_lshrrev_b32_e32 v118, 24, v102
	v_cndmask_b32_e64 v116, v6, v67, s4
	v_mul_lo_u16 v7, 0xcd, v7
	v_cndmask_b32_e64 v128, v67, v6, s4
	v_and_b32_e32 v119, 0xff, v98
	v_mul_lo_u16 v6, 0xcd, v118
	v_lshrrev_b16 v115, 11, v115
	v_lshrrev_b16 v7, 11, v7
	v_perm_b32 v130, v102, v102, 0x6070504
	v_mul_lo_u16 v67, 0xcd, v119
	v_lshrrev_b16 v6, 11, v6
	v_cndmask_b32_e32 v119, v99, v13, vcc_lo
	v_cmp_lt_u16_e64 s4, v7, v115
	v_cndmask_b32_e32 v13, v13, v99, vcc_lo
	v_lshrrev_b16 v129, 11, v67
	v_and_b32_e32 v115, 0xff, v68
	v_cndmask_b32_e64 v67, v69, v83, s4
	v_lshrrev_b32_e32 v83, 8, v68
	v_cmp_lt_u16_e32 vcc_lo, v6, v129
	v_mul_lo_u16 v115, 0xcd, v115
	v_lshrrev_b64 v[6:7], 24, v[67:68]
	v_lshrrev_b32_e32 v129, 16, v67
	v_cndmask_b32_e32 v99, v102, v130, vcc_lo
	v_and_b32_e32 v102, 0xff, v83
	v_lshrrev_b16 v115, 11, v115
	v_cndmask_b32_e32 v130, v118, v98, vcc_lo
	v_and_b32_e32 v131, 0xff, v6
	v_and_b32_e32 v133, 0xff, v129
	v_mul_lo_u16 v102, 0xcd, v102
	v_perm_b32 v132, 0, v129, 0xc0c0001
	v_cndmask_b32_e32 v98, v98, v118, vcc_lo
	v_mul_lo_u16 v131, 0xcd, v131
	v_mul_lo_u16 v133, 0xcd, v133
	v_lshrrev_b16 v102, 11, v102
	v_cndmask_b32_e64 v118, v114, v69, s4
	v_cndmask_b32_e64 v69, v69, v114, s4
	v_lshrrev_b16 v131, 11, v131
	v_lshlrev_b32_e32 v132, 16, v132
	v_cmp_lt_u16_e64 s5, v102, v115
	v_lshrrev_b16 v115, 11, v133
	v_perm_b32 v7, v113, v12, 0x3020104
	v_lshlrev_b16 v146, 8, v98
	v_and_or_b32 v132, 0xffff, v67, v132
	v_cndmask_b32_e64 v102, v68, v134, s5
	v_cmp_lt_u16_e32 vcc_lo, v131, v115
	v_and_b32_e32 v115, 0xff, v3
	v_lshrrev_b32_e32 v133, 16, v102
	v_cndmask_b32_e32 v131, v6, v129, vcc_lo
	v_mul_lo_u16 v115, 0xcd, v115
	v_cndmask_b32_e32 v6, v129, v6, vcc_lo
	v_cndmask_b32_e64 v129, v83, v68, s5
	v_and_b32_e32 v114, 0xff, v133
	v_cndmask_b32_e64 v68, v68, v83, s5
	v_lshrrev_b16 v83, 11, v115
	v_cndmask_b32_e32 v67, v67, v132, vcc_lo
	v_lshlrev_b16 v115, 8, v85
	v_mul_lo_u16 v114, 0xcd, v114
	v_and_b32_e32 v132, 0xff, v85
	v_perm_b32 v134, v102, v3, 0x6000504
	v_or_b32_sdwa v115, v0, v115 dst_sel:DWORD dst_unused:UNUSED_PAD src0_sel:BYTE_0 src1_sel:DWORD
	v_lshrrev_b16 v114, 11, v114
	v_mul_lo_u16 v132, 0xcd, v132
	v_cmp_lt_u16_e32 vcc_lo, v83, v114
	v_and_b32_e32 v114, 0xffff, v115
	v_perm_b32 v115, v2, v0, 0xc0c0304
	v_lshrrev_b16 v132, 11, v132
	v_cndmask_b32_e32 v83, v102, v134, vcc_lo
	v_mul_lo_u16 v102, 0xcd, v135
	v_and_b32_e32 v134, 0xff, v71
	v_and_b32_e32 v135, 0xff, v96
	v_lshl_or_b32 v114, v115, 16, v114
	v_cndmask_b32_e32 v3, v133, v3, vcc_lo
	v_lshrrev_b16 v102, 11, v102
	v_mul_lo_u16 v134, 0xcd, v134
	v_mul_lo_u16 v135, 0xcd, v135
	v_perm_b32 v115, v130, v67, 0x3020104
	v_cmp_lt_u16_e64 s4, v132, v102
	v_lshrrev_b16 v102, 11, v134
	v_lshlrev_b16 v134, 8, v71
	v_perm_b32 v132, v96, v87, 0x3020104
	v_cndmask_b32_e64 v0, v0, v114, s4
	v_lshrrev_b16 v114, 11, v135
	v_cndmask_b32_e64 v135, v85, v2, s4
	v_cndmask_b32_e64 v85, v2, v85, s4
	v_and_b32_sdwa v133, v0, v1 dst_sel:DWORD dst_unused:UNUSED_PAD src0_sel:WORD_1 src1_sel:DWORD
	v_cmp_lt_u16_e32 vcc_lo, v102, v114
	v_and_b32_e32 v102, 0xff, v81
	v_and_b32_e32 v114, 0xff, v97
	v_and_b32_e32 v145, 0xff, v85
	v_or_b32_sdwa v2, v133, v134 dst_sel:WORD_1 dst_unused:UNUSED_PAD src0_sel:DWORD src1_sel:DWORD
	v_and_b32_e32 v134, 0xff, v82
	v_mul_lo_u16 v102, 0xcd, v102
	v_mul_lo_u16 v114, 0xcd, v114
	v_cndmask_b32_e32 v87, v87, v132, vcc_lo
	v_and_b32_e32 v133, 0xff, v14
	v_and_or_b32 v2, 0xffff, v0, v2
	v_mul_lo_u16 v134, 0xcd, v134
	v_lshrrev_b16 v102, 11, v102
	v_lshrrev_b16 v114, 11, v114
	v_and_b32_sdwa v132, v87, v10 dst_sel:DWORD dst_unused:UNUSED_PAD src0_sel:WORD_1 src1_sel:DWORD
	v_cndmask_b32_e32 v0, v0, v2, vcc_lo
	v_lshrrev_b16 v2, 11, v134
	v_lshlrev_b16 v134, 8, v82
	v_cmp_lt_u16_e64 s4, v102, v114
	v_mul_lo_u16 v102, 0xcd, v133
	v_or_b32_sdwa v132, v133, v132 dst_sel:WORD_1 dst_unused:UNUSED_PAD src0_sel:DWORD src1_sel:DWORD
	v_and_b32_e32 v133, 0xff, v112
	v_or_b32_sdwa v114, v87, v134 dst_sel:DWORD dst_unused:UNUSED_PAD src0_sel:BYTE_0 src1_sel:DWORD
	v_cndmask_b32_e64 v8, v8, v84, s4
	v_lshlrev_b16 v84, 8, v112
	v_and_b32_e32 v134, 0xff, v101
	v_lshrrev_b16 v102, 11, v102
	v_or_b32_sdwa v114, v114, v132 dst_sel:DWORD dst_unused:UNUSED_PAD src0_sel:WORD_0 src1_sel:DWORD
	v_mul_lo_u16 v132, 0xcd, v133
	v_or_b32_sdwa v84, v8, v84 dst_sel:DWORD dst_unused:UNUSED_PAD src0_sel:BYTE_0 src1_sel:DWORD
	v_mul_lo_u16 v133, 0xcd, v134
	v_cmp_lt_u16_e64 s5, v2, v102
	v_perm_b32 v134, v101, v8, 0xc0c0304
	v_cndmask_b32_e32 v144, v71, v96, vcc_lo
	v_and_b32_e32 v84, 0xffff, v84
	v_lshrrev_b16 v102, 11, v133
	v_cndmask_b32_e64 v2, v87, v114, s5
	v_lshrrev_b16 v87, 11, v132
	v_cndmask_b32_e32 v71, v96, v71, vcc_lo
	v_lshl_or_b32 v84, v134, 16, v84
	v_lshlrev_b16 v132, 8, v0
	v_and_b32_sdwa v96, v2, v1 dst_sel:DWORD dst_unused:UNUSED_PAD src0_sel:WORD_1 src1_sel:DWORD
	v_cmp_lt_u16_e32 vcc_lo, v87, v102
	v_and_b32_e32 v102, 0xff, v100
	v_lshlrev_b16 v87, 8, v81
	v_lshlrev_b16 v134, 8, v9
	v_or_b32_e32 v132, v145, v132
	v_cndmask_b32_e32 v8, v8, v84, vcc_lo
	v_and_b32_e32 v84, 0xff, v9
	v_mul_lo_u16 v102, 0xcd, v102
	v_or_b32_sdwa v87, v96, v87 dst_sel:WORD_1 dst_unused:UNUSED_PAD src0_sel:DWORD src1_sel:DWORD
	v_cndmask_b32_e64 v114, v82, v14, s5
	v_and_b32_sdwa v133, v8, v1 dst_sel:DWORD dst_unused:UNUSED_PAD src0_sel:WORD_1 src1_sel:DWORD
	v_mul_lo_u16 v84, 0xcd, v84
	v_lshrrev_b16 v102, 11, v102
	v_and_or_b32 v87, 0xffff, v2, v87
	v_cndmask_b32_e64 v14, v14, v82, s5
	v_or_b32_sdwa v96, v133, v134 dst_sel:WORD_1 dst_unused:UNUSED_PAD src0_sel:DWORD src1_sel:DWORD
	v_lshrrev_b16 v84, 11, v84
	v_perm_b32 v133, v100, v70, 0x3020104
	v_cndmask_b32_e64 v82, v2, v87, s4
	v_cndmask_b32_e32 v87, v112, v101, vcc_lo
	v_and_or_b32 v96, 0xffff, v8, v96
	v_cmp_lt_u16_e64 s6, v84, v102
	v_and_b32_e32 v84, 0xffff, v132
	v_and_b32_e32 v102, 0xff, v113
	;; [unrolled: 1-line block ×3, first 2 shown]
	v_cndmask_b32_e32 v101, v101, v112, vcc_lo
	v_cndmask_b32_e64 v2, v70, v133, s6
	v_and_or_b32 v70, 0xffff0000, v0, v84
	v_cndmask_b32_e64 v84, v81, v97, s4
	v_cndmask_b32_e64 v81, v97, v81, s4
	v_and_b32_e32 v97, 0xff, v80
	v_cndmask_b32_e64 v8, v8, v96, s6
	v_and_b32_sdwa v96, v2, v10 dst_sel:DWORD dst_unused:UNUSED_PAD src0_sel:WORD_1 src1_sel:DWORD
	v_and_b32_e32 v133, 0xff, v86
	v_mul_lo_u16 v102, 0xcd, v102
	v_mul_lo_u16 v97, 0xcd, v97
	v_cndmask_b32_e64 v134, v9, v100, s6
	v_or_b32_sdwa v96, v132, v96 dst_sel:WORD_1 dst_unused:UNUSED_PAD src0_sel:DWORD src1_sel:DWORD
	v_mul_lo_u16 v112, 0xcd, v133
	v_lshlrev_b16 v133, 8, v86
	v_lshrrev_b16 v97, 11, v97
	v_lshrrev_b16 v102, 11, v102
	v_mul_lo_u16 v132, 0xcd, v132
	v_lshrrev_b16 v112, 11, v112
	v_or_b32_sdwa v133, v2, v133 dst_sel:DWORD dst_unused:UNUSED_PAD src0_sel:BYTE_0 src1_sel:DWORD
	v_cndmask_b32_e64 v9, v100, v9, s6
	v_cmp_lt_u16_e32 vcc_lo, v97, v102
	v_lshrrev_b16 v97, 11, v132
	v_and_b32_e32 v102, 0xff, v128
	v_or_b32_sdwa v96, v133, v96 dst_sel:DWORD dst_unused:UNUSED_PAD src0_sel:WORD_0 src1_sel:DWORD
	v_and_b32_e32 v132, 0xff, v117
	v_cndmask_b32_e32 v7, v12, v7, vcc_lo
	v_lshlrev_b16 v12, 8, v128
	v_cmp_lt_u16_e64 s4, v112, v97
	v_lshlrev_b16 v112, 8, v84
	v_mul_lo_u16 v97, 0xcd, v132
	v_lshlrev_b16 v133, 8, v13
	v_or_b32_sdwa v12, v7, v12 dst_sel:DWORD dst_unused:UNUSED_PAD src0_sel:BYTE_0 src1_sel:DWORD
	v_cndmask_b32_e64 v2, v2, v96, s4
	v_mul_lo_u16 v96, 0xcd, v102
	v_perm_b32 v102, v117, v7, 0xc0c0304
	v_lshrrev_b16 v97, 11, v97
	v_and_b32_e32 v12, 0xffff, v12
	v_and_b32_sdwa v100, v2, v1 dst_sel:DWORD dst_unused:UNUSED_PAD src0_sel:WORD_1 src1_sel:DWORD
	v_lshrrev_b16 v96, 11, v96
	v_lshlrev_b16 v148, 8, v144
	v_lshl_or_b32 v12, v102, 16, v12
	v_cndmask_b32_e64 v102, v86, v103, s4
	v_cndmask_b32_e64 v86, v103, v86, s4
	v_cmp_lt_u16_e64 s4, v96, v97
	v_and_b32_e32 v97, 0xff, v116
	v_lshlrev_b16 v103, 8, v80
	v_and_b32_e32 v96, 0xff, v101
	v_cndmask_b32_e64 v7, v7, v12, s4
	v_and_b32_e32 v12, 0xff, v13
	v_mul_lo_u16 v97, 0xcd, v97
	v_or_b32_sdwa v100, v100, v103 dst_sel:WORD_1 dst_unused:UNUSED_PAD src0_sel:DWORD src1_sel:DWORD
	v_or_b32_e32 v103, v96, v112
	v_and_b32_sdwa v132, v7, v1 dst_sel:DWORD dst_unused:UNUSED_PAD src0_sel:WORD_1 src1_sel:DWORD
	v_mul_lo_u16 v12, 0xcd, v12
	v_lshrrev_b16 v97, 11, v97
	v_and_or_b32 v100, 0xffff, v2, v100
	v_and_b32_e32 v103, 0xffff, v103
	v_or_b32_sdwa v112, v132, v133 dst_sel:WORD_1 dst_unused:UNUSED_PAD src0_sel:DWORD src1_sel:DWORD
	v_lshrrev_b16 v12, 11, v12
	v_perm_b32 v132, v116, v99, 0x3020104
	v_and_b32_e32 v133, 0xff, v119
	v_mul_lo_u16 v96, 0xcd, v96
	v_and_or_b32 v112, 0xffff, v7, v112
	v_cmp_lt_u16_e64 s5, v12, v97
	v_cndmask_b32_e32 v12, v2, v100, vcc_lo
	v_and_or_b32 v97, 0xffff0000, v8, v103
	v_and_b32_e32 v103, 0xff, v130
	v_cndmask_b32_e32 v100, v80, v113, vcc_lo
	v_cndmask_b32_e64 v2, v99, v132, s5
	v_and_b32_e32 v99, 0xff, v69
	v_and_b32_e32 v132, 0xff, v98
	v_mul_lo_u16 v103, 0xcd, v103
	v_cndmask_b32_e64 v7, v7, v112, s5
	v_cndmask_b32_e32 v80, v113, v80, vcc_lo
	v_mul_lo_u16 v99, 0xcd, v99
	v_cndmask_b32_e64 v112, v128, v117, s4
	v_lshrrev_b16 v103, 11, v103
	v_and_b32_sdwa v113, v2, v10 dst_sel:DWORD dst_unused:UNUSED_PAD src0_sel:WORD_1 src1_sel:DWORD
	v_cndmask_b32_e64 v117, v117, v128, s4
	v_lshrrev_b16 v99, 11, v99
	v_mul_lo_u16 v128, 0xcd, v132
	v_cndmask_b32_e64 v132, v13, v116, s5
	v_or_b32_sdwa v113, v133, v113 dst_sel:WORD_1 dst_unused:UNUSED_PAD src0_sel:DWORD src1_sel:DWORD
	v_cndmask_b32_e64 v13, v116, v13, s5
	v_cmp_lt_u16_e32 vcc_lo, v99, v103
	v_mul_lo_u16 v103, 0xcd, v133
	v_lshrrev_b16 v128, 11, v128
	v_lshlrev_b16 v99, 8, v6
	v_and_b32_e32 v133, 0xff, v6
	v_cndmask_b32_e32 v67, v67, v115, vcc_lo
	v_or_b32_sdwa v115, v2, v146 dst_sel:DWORD dst_unused:UNUSED_PAD src0_sel:BYTE_0 src1_sel:DWORD
	v_and_b32_e32 v146, 0xff, v118
	v_lshrrev_b16 v103, 11, v103
	v_lshlrev_b16 v147, 8, v100
	v_or_b32_sdwa v99, v67, v99 dst_sel:DWORD dst_unused:UNUSED_PAD src0_sel:BYTE_0 src1_sel:DWORD
	v_or_b32_sdwa v113, v115, v113 dst_sel:DWORD dst_unused:UNUSED_PAD src0_sel:WORD_0 src1_sel:DWORD
	v_mul_lo_u16 v115, 0xcd, v133
	v_mul_lo_u16 v133, 0xcd, v146
	v_cmp_lt_u16_e64 s4, v128, v103
	v_and_b32_e32 v99, 0xffff, v99
	v_perm_b32 v146, v118, v67, 0xc0c0304
	v_lshrrev_b16 v103, 11, v115
	v_and_b32_e32 v128, 0xff, v117
	v_cndmask_b32_e64 v2, v2, v113, s4
	v_lshrrev_b16 v113, 11, v133
	v_lshl_or_b32 v99, v146, 16, v99
	v_lshlrev_b16 v146, 8, v68
	v_cndmask_b32_e64 v116, v98, v119, s4
	v_and_b32_sdwa v115, v2, v1 dst_sel:DWORD dst_unused:UNUSED_PAD src0_sel:WORD_1 src1_sel:DWORD
	v_cmp_lt_u16_e64 s5, v103, v113
	v_and_b32_e32 v113, 0xff, v131
	v_lshlrev_b16 v103, 8, v69
	v_cndmask_b32_e64 v98, v119, v98, s4
	v_and_b32_e32 v119, 0xff, v129
	v_cndmask_b32_e64 v67, v67, v99, s5
	v_and_b32_e32 v99, 0xff, v68
	v_mul_lo_u16 v113, 0xcd, v113
	v_or_b32_sdwa v103, v115, v103 dst_sel:WORD_1 dst_unused:UNUSED_PAD src0_sel:DWORD src1_sel:DWORD
	v_and_b32_sdwa v133, v67, v1 dst_sel:DWORD dst_unused:UNUSED_PAD src0_sel:WORD_1 src1_sel:DWORD
	v_mul_lo_u16 v99, 0xcd, v99
	v_lshrrev_b16 v113, 11, v113
	v_and_or_b32 v103, 0xffff, v2, v103
	v_or_b32_sdwa v115, v133, v146 dst_sel:WORD_1 dst_unused:UNUSED_PAD src0_sel:DWORD src1_sel:DWORD
	v_lshrrev_b16 v99, 11, v99
	v_or_b32_e32 v133, v128, v147
	v_perm_b32 v146, v131, v83, 0x3020104
	v_cndmask_b32_e32 v103, v2, v103, vcc_lo
	v_and_or_b32 v115, 0xffff, v67, v115
	v_cmp_lt_u16_e64 s6, v99, v113
	v_and_b32_e32 v99, 0xffff, v133
	v_cndmask_b32_e64 v113, v118, v6, s5
	v_cndmask_b32_e64 v6, v6, v118, s5
	v_mul_lo_u16 v128, 0xcd, v128
	v_cndmask_b32_e64 v2, v83, v146, s6
	v_cndmask_b32_e64 v67, v67, v115, s6
	v_and_or_b32 v83, 0xffff0000, v7, v99
	v_cndmask_b32_e32 v99, v69, v130, vcc_lo
	v_cndmask_b32_e32 v69, v130, v69, vcc_lo
	v_and_b32_sdwa v115, v2, v10 dst_sel:DWORD dst_unused:UNUSED_PAD src0_sel:WORD_1 src1_sel:DWORD
	v_and_b32_e32 v130, 0xff, v3
	v_and_b32_e32 v118, 0xff, v113
	v_lshlrev_b16 v133, 8, v99
	v_lshlrev_b16 v146, 8, v3
	v_or_b32_sdwa v115, v119, v115 dst_sel:WORD_1 dst_unused:UNUSED_PAD src0_sel:DWORD src1_sel:DWORD
	v_mul_lo_u16 v130, 0xcd, v130
	v_mul_lo_u16 v119, 0xcd, v119
	v_or_b32_e32 v133, v118, v133
	v_cndmask_b32_e64 v147, v68, v131, s6
	v_or_b32_sdwa v146, v2, v146 dst_sel:DWORD dst_unused:UNUSED_PAD src0_sel:BYTE_0 src1_sel:DWORD
	v_lshrrev_b16 v130, 11, v130
	v_lshrrev_b16 v119, 11, v119
	v_cndmask_b32_e64 v68, v131, v68, s6
	v_and_b32_e32 v131, 0xff, v0
	v_and_b32_e32 v133, 0xffff, v133
	v_or_b32_sdwa v115, v146, v115 dst_sel:DWORD dst_unused:UNUSED_PAD src0_sel:WORD_0 src1_sel:DWORD
	v_cmp_lt_u16_e32 vcc_lo, v130, v119
	v_mul_lo_u16 v130, 0xcd, v145
	v_mul_lo_u16 v131, 0xcd, v131
	v_and_or_b32 v119, 0xffff0000, v67, v133
	v_lshlrev_b16 v145, 8, v135
	v_cndmask_b32_e32 v115, v2, v115, vcc_lo
	v_cndmask_b32_e32 v133, v3, v129, vcc_lo
	;; [unrolled: 1-line block ×3, first 2 shown]
	v_lshrrev_b16 v2, 11, v130
	v_lshrrev_b16 v129, 11, v131
	v_and_b32_e32 v130, 0xff, v71
	v_and_b32_e32 v131, 0xff, v135
	;; [unrolled: 1-line block ×3, first 2 shown]
	v_mul_lo_u16 v118, 0xcd, v118
	v_cmp_lt_u16_e32 vcc_lo, v2, v129
	v_mul_lo_u16 v129, 0xcd, v130
	v_mul_lo_u16 v131, 0xcd, v131
	v_or_b32_sdwa v130, v130, v145 dst_sel:WORD_1 dst_unused:UNUSED_PAD src0_sel:DWORD src1_sel:DWORD
	v_or_b32_e32 v148, v146, v148
	v_cndmask_b32_e32 v70, v0, v70, vcc_lo
	v_lshrrev_b16 v129, 11, v129
	v_lshrrev_b16 v131, 11, v131
	v_cndmask_b32_e32 v2, v0, v85, vcc_lo
	v_cndmask_b32_e32 v0, v85, v0, vcc_lo
	v_and_or_b32 v130, 0xffff, v70, v130
	v_and_b32_e32 v85, 0xff, v144
	v_cmp_lt_u16_e32 vcc_lo, v129, v131
	v_and_b32_e32 v145, 0xffff, v148
	v_lshlrev_b16 v148, 8, v114
	v_mul_lo_u16 v85, 0xcd, v85
	v_cndmask_b32_e32 v70, v70, v130, vcc_lo
	v_mul_lo_u16 v130, 0xcd, v146
	v_and_or_b32 v129, 0xffff0000, v82, v145
	v_cndmask_b32_e32 v131, v71, v135, vcc_lo
	v_lshrrev_b16 v85, 11, v85
	v_and_b32_e32 v145, 0xff, v81
	v_lshrrev_b16 v130, 11, v130
	v_and_b32_e32 v146, 0xff, v114
	v_cndmask_b32_e32 v71, v135, v71, vcc_lo
	v_mul_lo_u16 v135, 0xcd, v145
	v_cmp_lt_u16_e32 vcc_lo, v130, v85
	v_mul_lo_u16 v146, 0xcd, v146
	v_or_b32_sdwa v130, v145, v148 dst_sel:WORD_1 dst_unused:UNUSED_PAD src0_sel:DWORD src1_sel:DWORD
	v_lshrrev_b16 v85, 11, v135
	v_cndmask_b32_e32 v82, v82, v129, vcc_lo
	v_and_b32_e32 v129, 0xff, v84
	v_lshrrev_b16 v135, 11, v146
	v_cndmask_b32_e32 v145, v14, v144, vcc_lo
	v_cndmask_b32_e32 v14, v144, v14, vcc_lo
	v_and_or_b32 v130, 0xffff, v82, v130
	v_mul_lo_u16 v129, 0xcd, v129
	v_cmp_lt_u16_e64 s4, v85, v135
	v_lshrrev_b16 v85, 11, v96
	v_lshlrev_b16 v135, 8, v134
	v_and_b32_e32 v146, 0xff, v131
	v_lshrrev_b16 v96, 11, v129
	v_cndmask_b32_e64 v82, v82, v130, s4
	v_and_b32_e32 v130, 0xff, v9
	v_cndmask_b32_e64 v129, v81, v114, s4
	v_cndmask_b32_e64 v81, v114, v81, s4
	v_cmp_lt_u16_e32 vcc_lo, v85, v96
	v_and_b32_e32 v85, 0xff, v87
	v_mul_lo_u16 v96, 0xcd, v130
	v_and_b32_e32 v114, 0xff, v86
	v_cndmask_b32_e32 v8, v8, v97, vcc_lo
	v_mul_lo_u16 v85, 0xcd, v85
	v_lshlrev_b16 v97, 8, v87
	v_cndmask_b32_e32 v144, v101, v84, vcc_lo
	v_lshrrev_b16 v96, 11, v96
	v_cndmask_b32_e32 v84, v84, v101, vcc_lo
	v_lshrrev_b16 v85, 11, v85
	v_and_b32_e32 v101, 0xff, v134
	v_or_b32_sdwa v97, v130, v97 dst_sel:WORD_1 dst_unused:UNUSED_PAD src0_sel:DWORD src1_sel:DWORD
	v_or_b32_e32 v130, v114, v135
	v_and_b32_e32 v135, 0xff, v14
	v_cmp_lt_u16_e32 vcc_lo, v96, v85
	v_mul_lo_u16 v85, 0xcd, v114
	v_mul_lo_u16 v96, 0xcd, v101
	v_and_or_b32 v97, 0xffff, v8, v97
	v_and_b32_e32 v130, 0xffff, v130
	v_cndmask_b32_e32 v101, v9, v87, vcc_lo
	v_lshrrev_b16 v85, 11, v85
	v_lshrrev_b16 v96, 11, v96
	v_cndmask_b32_e32 v9, v87, v9, vcc_lo
	v_and_b32_e32 v87, 0xff, v80
	v_and_b32_e32 v114, 0xff, v102
	v_cndmask_b32_e32 v8, v8, v97, vcc_lo
	v_and_or_b32 v97, 0xffff0000, v12, v130
	v_lshlrev_b16 v130, 8, v102
	v_cmp_lt_u16_e32 vcc_lo, v85, v96
	v_mul_lo_u16 v85, 0xcd, v87
	v_mul_lo_u16 v96, 0xcd, v114
	v_and_b32_e32 v114, 0xff, v100
	v_or_b32_sdwa v87, v87, v130 dst_sel:WORD_1 dst_unused:UNUSED_PAD src0_sel:DWORD src1_sel:DWORD
	v_cndmask_b32_e32 v12, v12, v97, vcc_lo
	v_lshrrev_b16 v85, 11, v85
	v_lshrrev_b16 v96, 11, v96
	v_cndmask_b32_e32 v97, v86, v134, vcc_lo
	v_mul_lo_u16 v114, 0xcd, v114
	v_and_or_b32 v87, 0xffff, v12, v87
	v_cndmask_b32_e32 v86, v134, v86, vcc_lo
	v_cmp_lt_u16_e32 vcc_lo, v85, v96
	v_lshrrev_b16 v85, 11, v128
	v_and_b32_e32 v128, 0xff, v13
	v_lshlrev_b16 v130, 8, v132
	v_perm_b32 v96, v129, v8, 0x3020104
	v_cndmask_b32_e32 v12, v12, v87, vcc_lo
	v_lshrrev_b16 v87, 11, v114
	v_cndmask_b32_e32 v114, v80, v102, vcc_lo
	v_cndmask_b32_e32 v80, v102, v80, vcc_lo
	v_and_b32_e32 v102, 0xff, v98
	v_cmp_lt_u16_e32 vcc_lo, v85, v87
	v_mul_lo_u16 v85, 0xcd, v128
	v_lshlrev_b16 v87, 8, v112
	v_cndmask_b32_e32 v7, v7, v83, vcc_lo
	v_and_b32_e32 v83, 0xff, v112
	v_cndmask_b32_e32 v134, v117, v100, vcc_lo
	v_lshrrev_b16 v85, 11, v85
	v_cndmask_b32_e32 v100, v100, v117, vcc_lo
	v_and_b32_e32 v117, 0xff, v132
	v_mul_lo_u16 v83, 0xcd, v83
	v_or_b32_sdwa v87, v128, v87 dst_sel:WORD_1 dst_unused:UNUSED_PAD src0_sel:DWORD src1_sel:DWORD
	v_or_b32_e32 v128, v102, v130
	v_and_b32_e32 v130, 0xff, v3
	v_lshrrev_b16 v83, 11, v83
	v_and_or_b32 v87, 0xffff, v7, v87
	v_and_b32_e32 v128, 0xffff, v128
	v_cmp_lt_u16_e32 vcc_lo, v85, v83
	v_mul_lo_u16 v83, 0xcd, v102
	v_mul_lo_u16 v85, 0xcd, v117
	v_and_b32_e32 v117, 0xff, v69
	v_cndmask_b32_e32 v7, v7, v87, vcc_lo
	v_lshrrev_b16 v83, 11, v83
	v_lshrrev_b16 v85, 11, v85
	v_and_or_b32 v87, 0xffff0000, v103, v128
	v_cndmask_b32_e32 v102, v13, v112, vcc_lo
	v_cndmask_b32_e32 v13, v112, v13, vcc_lo
	v_and_b32_e32 v112, 0xff, v116
	v_cmp_lt_u16_e32 vcc_lo, v83, v85
	v_lshlrev_b16 v128, 8, v116
	v_mul_lo_u16 v83, 0xcd, v117
	v_cndmask_b32_e32 v85, v103, v87, vcc_lo
	v_mul_lo_u16 v87, 0xcd, v112
	v_or_b32_sdwa v103, v117, v128 dst_sel:WORD_1 dst_unused:UNUSED_PAD src0_sel:DWORD src1_sel:DWORD
	v_lshrrev_b16 v83, 11, v83
	v_and_b32_e32 v117, 0xff, v99
	v_cndmask_b32_e32 v112, v98, v132, vcc_lo
	v_lshrrev_b16 v87, 11, v87
	v_and_or_b32 v103, 0xffff, v85, v103
	v_cndmask_b32_e32 v98, v132, v98, vcc_lo
	v_mul_lo_u16 v117, 0xcd, v117
	v_lshlrev_b16 v132, 8, v147
	v_cmp_lt_u16_e32 vcc_lo, v83, v87
	v_perm_b32 v87, v114, v7, 0x3020104
	v_lshrrev_b16 v117, 11, v117
	v_cndmask_b32_e32 v83, v85, v103, vcc_lo
	v_and_b32_e32 v85, 0xff, v68
	v_lshrrev_b16 v103, 11, v118
	v_cndmask_b32_e32 v118, v69, v116, vcc_lo
	v_cndmask_b32_e32 v69, v116, v69, vcc_lo
	v_and_b32_e32 v116, 0xff, v133
	v_mul_lo_u16 v128, 0xcd, v85
	v_cmp_lt_u16_e64 s4, v103, v117
	v_and_b32_e32 v117, 0xff, v147
	v_lshlrev_b16 v148, 8, v69
	v_mul_lo_u16 v116, 0xcd, v116
	v_lshrrev_b16 v103, 11, v128
	v_cndmask_b32_e64 v67, v67, v119, s4
	v_or_b32_e32 v119, v130, v132
	v_and_b32_e32 v128, 0xff, v6
	v_mul_lo_u16 v130, 0xcd, v130
	v_mul_lo_u16 v117, 0xcd, v117
	v_lshlrev_b16 v132, 8, v6
	v_and_b32_e32 v119, 0xffff, v119
	v_mul_lo_u16 v128, 0xcd, v128
	v_lshrrev_b16 v130, 11, v130
	v_lshrrev_b16 v117, 11, v117
	v_or_b32_sdwa v85, v85, v132 dst_sel:WORD_1 dst_unused:UNUSED_PAD src0_sel:DWORD src1_sel:DWORD
	v_and_or_b32 v119, 0xffff0000, v115, v119
	v_lshrrev_b16 v128, 11, v128
	v_lshrrev_b16 v116, 11, v116
	v_cmp_lt_u16_e32 vcc_lo, v130, v117
	v_and_or_b32 v85, 0xffff, v67, v85
	v_lshlrev_b16 v117, 8, v133
	v_cmp_lt_u16_e64 s5, v103, v128
	v_cndmask_b32_e64 v103, v113, v99, s4
	v_cndmask_b32_e32 v115, v115, v119, vcc_lo
	v_cndmask_b32_e64 v99, v99, v113, s4
	v_cndmask_b32_e32 v119, v3, v147, vcc_lo
	v_cndmask_b32_e64 v67, v67, v85, s5
	v_cndmask_b32_e64 v113, v68, v6, s5
	v_lshrrev_b32_e32 v85, 24, v115
	v_cndmask_b32_e64 v6, v6, v68, s5
	v_cndmask_b32_e32 v128, v147, v3, vcc_lo
	v_and_b32_e32 v130, 0xff, v71
	v_and_b32_e32 v132, 0xff, v0
	v_mul_lo_u16 v68, 0xcd, v85
	v_or_b32_sdwa v117, v85, v117 dst_sel:WORD_1 dst_unused:UNUSED_PAD src0_sel:DWORD src1_sel:DWORD
	v_lshlrev_b16 v147, 8, v2
	v_lshrrev_b16 v3, 11, v68
	v_lshlrev_b16 v68, 8, v71
	v_and_or_b32 v117, 0xffff, v115, v117
	v_cmp_lt_u16_e32 vcc_lo, v3, v116
	v_or_b32_sdwa v68, v70, v68 dst_sel:DWORD dst_unused:UNUSED_PAD src0_sel:BYTE_0 src1_sel:DWORD
	v_mul_lo_u16 v3, 0xcd, v130
	v_perm_b32 v130, v0, v70, 0xc0c0304
	v_perm_b32 v116, v118, v67, 0x3020104
	v_cndmask_b32_e32 v115, v115, v117, vcc_lo
	v_mul_lo_u16 v117, 0xcd, v132
	v_and_b32_e32 v68, 0xffff, v68
	v_lshrrev_b16 v132, 11, v3
	v_cndmask_b32_e32 v3, v85, v133, vcc_lo
	v_lshrrev_b16 v117, 11, v117
	v_lshl_or_b32 v68, v130, 16, v68
	v_mul_lo_u16 v130, 0xcd, v135
	v_mul_lo_u16 v135, 0xcd, v146
	v_lshlrev_b16 v146, 8, v81
	v_cmp_lt_u16_e64 s4, v132, v117
	v_lshrrev_b16 v117, 11, v135
	v_cndmask_b32_e64 v68, v70, v68, s4
	v_cndmask_b32_e32 v70, v133, v85, vcc_lo
	v_lshrrev_b16 v85, 11, v130
	v_perm_b32 v130, v131, v82, 0x3020104
	v_lshlrev_b16 v133, 8, v14
	v_and_b32_sdwa v132, v68, v1 dst_sel:DWORD dst_unused:UNUSED_PAD src0_sel:WORD_1 src1_sel:DWORD
	v_cndmask_b32_e64 v135, v71, v0, s4
	v_cmp_lt_u16_e32 vcc_lo, v85, v117
	v_and_b32_e32 v85, 0xff, v84
	v_and_b32_e32 v117, 0xff, v129
	v_cndmask_b32_e64 v71, v0, v71, s4
	v_or_b32_sdwa v0, v132, v133 dst_sel:WORD_1 dst_unused:UNUSED_PAD src0_sel:DWORD src1_sel:DWORD
	v_cndmask_b32_e32 v82, v82, v130, vcc_lo
	v_mul_lo_u16 v85, 0xcd, v85
	v_mul_lo_u16 v117, 0xcd, v117
	v_and_b32_e32 v132, 0xff, v145
	v_and_b32_e32 v133, 0xff, v81
	v_and_b32_sdwa v130, v82, v10 dst_sel:DWORD dst_unused:UNUSED_PAD src0_sel:WORD_1 src1_sel:DWORD
	v_lshrrev_b16 v85, 11, v85
	v_lshrrev_b16 v117, 11, v117
	v_and_or_b32 v0, 0xffff, v68, v0
	v_mul_lo_u16 v133, 0xcd, v133
	v_or_b32_sdwa v130, v132, v130 dst_sel:WORD_1 dst_unused:UNUSED_PAD src0_sel:DWORD src1_sel:DWORD
	v_cmp_lt_u16_e64 s4, v85, v117
	v_lshlrev_b16 v85, 8, v9
	v_lshrrev_b16 v133, 11, v133
	v_or_b32_sdwa v117, v82, v146 dst_sel:DWORD dst_unused:UNUSED_PAD src0_sel:BYTE_0 src1_sel:DWORD
	v_and_b32_e32 v146, 0xff, v144
	v_cndmask_b32_e64 v8, v8, v96, s4
	v_mul_lo_u16 v96, 0xcd, v132
	v_and_b32_e32 v132, 0xff, v9
	v_or_b32_sdwa v117, v117, v130 dst_sel:DWORD dst_unused:UNUSED_PAD src0_sel:WORD_0 src1_sel:DWORD
	v_cndmask_b32_e32 v0, v68, v0, vcc_lo
	v_or_b32_sdwa v85, v8, v85 dst_sel:DWORD dst_unused:UNUSED_PAD src0_sel:BYTE_0 src1_sel:DWORD
	v_lshrrev_b16 v96, 11, v96
	v_mul_lo_u16 v130, 0xcd, v132
	v_mul_lo_u16 v132, 0xcd, v146
	v_perm_b32 v146, v144, v8, 0xc0c0304
	v_and_b32_e32 v85, 0xffff, v85
	v_cmp_lt_u16_e64 s5, v133, v96
	v_lshrrev_b16 v96, 11, v130
	v_cndmask_b32_e32 v68, v14, v131, vcc_lo
	v_cndmask_b32_e32 v14, v131, v14, vcc_lo
	v_lshl_or_b32 v85, v146, 16, v85
	v_cndmask_b32_e64 v82, v82, v117, s5
	v_lshrrev_b16 v117, 11, v132
	v_lshlrev_b16 v146, 8, v86
	v_and_b32_e32 v132, 0xff, v71
	v_cndmask_b32_e64 v131, v81, v145, s5
	v_and_b32_sdwa v130, v82, v1 dst_sel:DWORD dst_unused:UNUSED_PAD src0_sel:WORD_1 src1_sel:DWORD
	v_cmp_lt_u16_e32 vcc_lo, v96, v117
	v_and_b32_e32 v117, 0xff, v101
	v_lshlrev_b16 v96, 8, v84
	v_cndmask_b32_e64 v81, v145, v81, s5
	v_and_b32_e32 v145, 0xff, v97
	v_cndmask_b32_e32 v8, v8, v85, vcc_lo
	v_and_b32_e32 v85, 0xff, v86
	v_mul_lo_u16 v117, 0xcd, v117
	v_or_b32_sdwa v96, v130, v96 dst_sel:WORD_1 dst_unused:UNUSED_PAD src0_sel:DWORD src1_sel:DWORD
	v_lshlrev_b16 v150, 8, v68
	v_and_b32_sdwa v133, v8, v1 dst_sel:DWORD dst_unused:UNUSED_PAD src0_sel:WORD_1 src1_sel:DWORD
	v_mul_lo_u16 v85, 0xcd, v85
	v_lshrrev_b16 v117, 11, v117
	v_and_or_b32 v96, 0xffff, v82, v96
	v_or_b32_sdwa v130, v133, v146 dst_sel:WORD_1 dst_unused:UNUSED_PAD src0_sel:DWORD src1_sel:DWORD
	v_lshrrev_b16 v85, 11, v85
	v_or_b32_e32 v133, v132, v147
	v_perm_b32 v146, v101, v12, 0x3020104
	v_cndmask_b32_e64 v82, v82, v96, s4
	v_and_or_b32 v130, 0xffff, v8, v130
	v_cmp_lt_u16_e64 s6, v85, v117
	v_and_b32_e32 v85, 0xffff, v133
	v_and_b32_e32 v133, 0xff, v114
	v_cndmask_b32_e64 v96, v84, v129, s4
	v_cndmask_b32_e64 v84, v129, v84, s4
	;; [unrolled: 1-line block ×4, first 2 shown]
	v_and_b32_e32 v130, 0xff, v100
	v_and_b32_e32 v146, 0xff, v80
	v_mul_lo_u16 v133, 0xcd, v133
	v_cndmask_b32_e32 v117, v9, v144, vcc_lo
	v_and_b32_sdwa v129, v12, v10 dst_sel:DWORD dst_unused:UNUSED_PAD src0_sel:WORD_1 src1_sel:DWORD
	v_mul_lo_u16 v130, 0xcd, v130
	v_cndmask_b32_e32 v9, v144, v9, vcc_lo
	v_mul_lo_u16 v144, 0xcd, v146
	v_lshlrev_b16 v146, 8, v80
	v_or_b32_sdwa v129, v145, v129 dst_sel:WORD_1 dst_unused:UNUSED_PAD src0_sel:DWORD src1_sel:DWORD
	v_lshrrev_b16 v130, 11, v130
	v_lshrrev_b16 v133, 11, v133
	v_mul_lo_u16 v145, 0xcd, v145
	v_lshrrev_b16 v144, 11, v144
	v_or_b32_sdwa v146, v12, v146 dst_sel:DWORD dst_unused:UNUSED_PAD src0_sel:BYTE_0 src1_sel:DWORD
	v_cndmask_b32_e64 v147, v86, v101, s6
	v_cmp_lt_u16_e32 vcc_lo, v130, v133
	v_lshrrev_b16 v130, 11, v145
	v_and_b32_e32 v133, 0xff, v13
	v_or_b32_sdwa v129, v146, v129 dst_sel:DWORD dst_unused:UNUSED_PAD src0_sel:WORD_0 src1_sel:DWORD
	v_and_b32_e32 v145, 0xff, v134
	v_cndmask_b32_e32 v7, v7, v87, vcc_lo
	v_lshlrev_b16 v87, 8, v13
	v_cmp_lt_u16_e64 s4, v144, v130
	v_cndmask_b32_e64 v86, v101, v86, s6
	v_mul_lo_u16 v130, 0xcd, v145
	v_lshlrev_b16 v144, 8, v96
	v_or_b32_sdwa v87, v7, v87 dst_sel:DWORD dst_unused:UNUSED_PAD src0_sel:BYTE_0 src1_sel:DWORD
	v_cndmask_b32_e64 v12, v12, v129, s4
	v_mul_lo_u16 v129, 0xcd, v133
	v_perm_b32 v133, v134, v7, 0xc0c0304
	v_lshrrev_b16 v130, 11, v130
	v_and_b32_e32 v87, 0xffff, v87
	v_and_b32_sdwa v101, v12, v1 dst_sel:DWORD dst_unused:UNUSED_PAD src0_sel:WORD_1 src1_sel:DWORD
	v_lshrrev_b16 v129, 11, v129
	v_lshlrev_b16 v146, 8, v98
	v_and_or_b32 v85, 0xffff0000, v0, v85
	v_lshl_or_b32 v87, v133, 16, v87
	v_cndmask_b32_e64 v133, v80, v97, s4
	v_cndmask_b32_e64 v80, v97, v80, s4
	v_cmp_lt_u16_e64 s4, v129, v130
	v_lshlrev_b16 v97, 8, v100
	v_and_b32_e32 v129, 0xff, v9
	v_and_b32_e32 v130, 0xff, v102
	v_cndmask_b32_e64 v7, v7, v87, s4
	v_and_b32_e32 v87, 0xff, v98
	v_or_b32_sdwa v97, v101, v97 dst_sel:WORD_1 dst_unused:UNUSED_PAD src0_sel:DWORD src1_sel:DWORD
	v_mul_lo_u16 v130, 0xcd, v130
	v_or_b32_e32 v101, v129, v144
	v_and_b32_sdwa v145, v7, v1 dst_sel:DWORD dst_unused:UNUSED_PAD src0_sel:WORD_1 src1_sel:DWORD
	v_mul_lo_u16 v87, 0xcd, v87
	v_and_or_b32 v97, 0xffff, v12, v97
	v_lshrrev_b16 v130, 11, v130
	v_and_b32_e32 v101, 0xffff, v101
	v_or_b32_sdwa v144, v145, v146 dst_sel:WORD_1 dst_unused:UNUSED_PAD src0_sel:DWORD src1_sel:DWORD
	v_lshrrev_b16 v87, 11, v87
	v_cndmask_b32_e32 v12, v12, v97, vcc_lo
	v_cndmask_b32_e32 v97, v100, v114, vcc_lo
	;; [unrolled: 1-line block ×3, first 2 shown]
	v_and_b32_e32 v114, 0xff, v118
	v_cmp_lt_u16_e64 s5, v87, v130
	v_and_or_b32 v87, 0xffff0000, v8, v101
	v_and_b32_e32 v101, 0xff, v99
	v_perm_b32 v145, v102, v83, 0x3020104
	v_mul_lo_u16 v114, 0xcd, v114
	v_and_or_b32 v144, 0xffff, v7, v144
	v_and_b32_e32 v146, 0xff, v112
	v_mul_lo_u16 v101, 0xcd, v101
	v_cndmask_b32_e64 v83, v83, v145, s5
	v_and_b32_e32 v145, 0xff, v69
	v_lshrrev_b16 v114, 11, v114
	v_cndmask_b32_e64 v7, v7, v144, s5
	v_lshrrev_b16 v101, 11, v101
	v_cndmask_b32_e64 v130, v13, v134, s4
	v_and_b32_sdwa v144, v83, v10 dst_sel:DWORD dst_unused:UNUSED_PAD src0_sel:WORD_1 src1_sel:DWORD
	v_cndmask_b32_e64 v13, v134, v13, s4
	v_mul_lo_u16 v134, 0xcd, v145
	v_cmp_lt_u16_e32 vcc_lo, v101, v114
	v_mul_lo_u16 v114, 0xcd, v146
	v_or_b32_sdwa v144, v146, v144 dst_sel:WORD_1 dst_unused:UNUSED_PAD src0_sel:DWORD src1_sel:DWORD
	v_lshlrev_b16 v101, 8, v6
	v_lshrrev_b16 v134, 11, v134
	v_cndmask_b32_e32 v67, v67, v116, vcc_lo
	v_or_b32_sdwa v116, v83, v148 dst_sel:DWORD dst_unused:UNUSED_PAD src0_sel:BYTE_0 src1_sel:DWORD
	v_and_b32_e32 v146, 0xff, v6
	v_and_b32_e32 v148, 0xff, v103
	v_lshrrev_b16 v114, 11, v114
	v_or_b32_sdwa v101, v67, v101 dst_sel:DWORD dst_unused:UNUSED_PAD src0_sel:BYTE_0 src1_sel:DWORD
	v_or_b32_sdwa v116, v116, v144 dst_sel:DWORD dst_unused:UNUSED_PAD src0_sel:WORD_0 src1_sel:DWORD
	v_mul_lo_u16 v144, 0xcd, v146
	v_mul_lo_u16 v146, 0xcd, v148
	v_cmp_lt_u16_e64 s4, v134, v114
	v_and_b32_e32 v101, 0xffff, v101
	v_perm_b32 v148, v103, v67, 0xc0c0304
	v_lshrrev_b16 v114, 11, v144
	v_cndmask_b32_e64 v145, v98, v102, s5
	v_cndmask_b32_e64 v83, v83, v116, s4
	v_lshrrev_b16 v116, 11, v146
	v_lshl_or_b32 v101, v148, 16, v101
	v_cndmask_b32_e64 v98, v102, v98, s5
	v_lshlrev_b16 v148, 8, v128
	v_and_b32_sdwa v102, v83, v1 dst_sel:DWORD dst_unused:UNUSED_PAD src0_sel:WORD_1 src1_sel:DWORD
	v_cmp_lt_u16_e64 s5, v114, v116
	v_and_b32_e32 v116, 0xff, v113
	v_lshlrev_b16 v114, 8, v99
	v_cndmask_b32_e64 v134, v69, v112, s4
	v_cndmask_b32_e64 v69, v112, v69, s4
	;; [unrolled: 1-line block ×3, first 2 shown]
	v_and_b32_e32 v101, 0xff, v128
	v_mul_lo_u16 v116, 0xcd, v116
	v_or_b32_sdwa v102, v102, v114 dst_sel:WORD_1 dst_unused:UNUSED_PAD src0_sel:DWORD src1_sel:DWORD
	v_cndmask_b32_e32 v112, v99, v118, vcc_lo
	v_and_b32_sdwa v146, v67, v1 dst_sel:DWORD dst_unused:UNUSED_PAD src0_sel:WORD_1 src1_sel:DWORD
	v_mul_lo_u16 v101, 0xcd, v101
	v_lshrrev_b16 v116, 11, v116
	v_and_or_b32 v102, 0xffff, v83, v102
	v_cndmask_b32_e32 v99, v118, v99, vcc_lo
	v_or_b32_sdwa v114, v146, v148 dst_sel:WORD_1 dst_unused:UNUSED_PAD src0_sel:DWORD src1_sel:DWORD
	v_lshrrev_b16 v101, 11, v101
	v_perm_b32 v148, v113, v115, 0x3020104
	v_cndmask_b32_e32 v83, v83, v102, vcc_lo
	v_and_b32_e32 v118, 0xff, v70
	v_and_b32_e32 v144, 0xff, v13
	v_cmp_lt_u16_e64 s6, v101, v116
	v_and_b32_e32 v116, 0xff, v119
	v_lshlrev_b16 v149, 8, v97
	v_and_or_b32 v114, 0xffff, v67, v114
	v_mul_lo_u16 v118, 0xcd, v118
	v_cndmask_b32_e64 v102, v115, v148, s6
	v_lshlrev_b16 v148, 8, v70
	v_or_b32_e32 v146, v144, v149
	v_cndmask_b32_e64 v67, v67, v114, s6
	v_cndmask_b32_e64 v114, v103, v6, s5
	v_and_b32_sdwa v115, v102, v10 dst_sel:DWORD dst_unused:UNUSED_PAD src0_sel:WORD_1 src1_sel:DWORD
	v_cndmask_b32_e64 v149, v128, v113, s6
	v_lshrrev_b16 v118, 11, v118
	v_or_b32_sdwa v148, v102, v148 dst_sel:DWORD dst_unused:UNUSED_PAD src0_sel:BYTE_0 src1_sel:DWORD
	v_cndmask_b32_e64 v113, v113, v128, s6
	v_or_b32_sdwa v115, v116, v115 dst_sel:WORD_1 dst_unused:UNUSED_PAD src0_sel:DWORD src1_sel:DWORD
	v_mul_lo_u16 v116, 0xcd, v116
	v_and_b32_e32 v128, 0xff, v2
	v_and_b32_e32 v101, 0xffff, v146
	v_cndmask_b32_e64 v6, v6, v103, s5
	v_and_b32_e32 v103, 0xff, v114
	v_lshrrev_b16 v116, 11, v116
	v_lshlrev_b16 v146, 8, v112
	v_or_b32_sdwa v115, v148, v115 dst_sel:DWORD dst_unused:UNUSED_PAD src0_sel:WORD_0 src1_sel:DWORD
	v_mul_lo_u16 v128, 0xcd, v128
	v_and_b32_e32 v148, 0xff, v81
	v_cmp_lt_u16_e32 vcc_lo, v118, v116
	v_mul_lo_u16 v118, 0xcd, v132
	v_or_b32_e32 v146, v103, v146
	v_and_b32_e32 v132, 0xff, v135
	v_mul_lo_u16 v129, 0xcd, v129
	v_cndmask_b32_e32 v102, v102, v115, vcc_lo
	v_cndmask_b32_e32 v115, v70, v119, vcc_lo
	;; [unrolled: 1-line block ×3, first 2 shown]
	v_lshrrev_b16 v118, 11, v118
	v_lshrrev_b16 v119, 11, v128
	v_and_b32_e32 v128, 0xff, v14
	v_and_b32_e32 v146, 0xffff, v146
	v_and_or_b32 v101, 0xffff0000, v7, v101
	v_cmp_lt_u16_e32 vcc_lo, v118, v119
	v_mul_lo_u16 v118, 0xcd, v128
	v_mul_lo_u16 v119, 0xcd, v132
	v_and_or_b32 v116, 0xffff0000, v67, v146
	v_lshlrev_b16 v146, 8, v135
	v_cndmask_b32_e32 v85, v0, v85, vcc_lo
	v_cndmask_b32_e32 v0, v2, v71, vcc_lo
	v_lshrrev_b16 v118, 11, v118
	v_lshrrev_b16 v119, 11, v119
	v_cndmask_b32_e32 v71, v71, v2, vcc_lo
	v_and_b32_e32 v2, 0xff, v68
	v_or_b32_e32 v132, v148, v150
	v_or_b32_sdwa v128, v128, v146 dst_sel:WORD_1 dst_unused:UNUSED_PAD src0_sel:DWORD src1_sel:DWORD
	v_cmp_lt_u16_e32 vcc_lo, v118, v119
	v_mul_lo_u16 v119, 0xcd, v148
	v_mul_lo_u16 v2, 0xcd, v2
	v_and_b32_e32 v132, 0xffff, v132
	v_and_or_b32 v128, 0xffff, v85, v128
	v_and_b32_e32 v146, 0xff, v131
	v_lshrrev_b16 v119, 11, v119
	v_lshrrev_b16 v2, 11, v2
	v_and_or_b32 v118, 0xffff0000, v82, v132
	v_cndmask_b32_e32 v85, v85, v128, vcc_lo
	v_cndmask_b32_e32 v128, v14, v135, vcc_lo
	v_and_b32_e32 v132, 0xff, v84
	v_cndmask_b32_e32 v135, v135, v14, vcc_lo
	v_cmp_lt_u16_e32 vcc_lo, v119, v2
	v_mul_lo_u16 v146, 0xcd, v146
	v_lshlrev_b16 v148, 8, v131
	v_mul_lo_u16 v14, 0xcd, v132
	v_cndmask_b32_e32 v2, v82, v118, vcc_lo
	v_and_b32_e32 v82, 0xff, v96
	v_or_b32_sdwa v118, v132, v148 dst_sel:WORD_1 dst_unused:UNUSED_PAD src0_sel:DWORD src1_sel:DWORD
	v_lshrrev_b16 v14, 11, v14
	v_lshrrev_b16 v119, 11, v146
	v_cndmask_b32_e32 v132, v81, v68, vcc_lo
	v_mul_lo_u16 v82, 0xcd, v82
	v_and_or_b32 v118, 0xffff, v2, v118
	v_cndmask_b32_e32 v68, v68, v81, vcc_lo
	v_cmp_lt_u16_e64 s4, v14, v119
	v_lshrrev_b16 v14, 11, v129
	v_lshrrev_b16 v81, 11, v82
	v_and_b32_e32 v119, 0xff, v80
	v_lshlrev_b16 v129, 8, v147
	v_cndmask_b32_e64 v2, v2, v118, s4
	v_and_b32_e32 v118, 0xff, v86
	v_cmp_lt_u16_e32 vcc_lo, v14, v81
	v_and_b32_e32 v14, 0xff, v117
	v_cndmask_b32_e64 v82, v84, v131, s4
	v_cndmask_b32_e64 v84, v131, v84, s4
	v_mul_lo_u16 v81, 0xcd, v118
	v_cndmask_b32_e32 v8, v8, v87, vcc_lo
	v_mul_lo_u16 v14, 0xcd, v14
	v_lshlrev_b16 v87, 8, v117
	v_cndmask_b32_e32 v131, v9, v96, vcc_lo
	v_lshrrev_b16 v81, 11, v81
	v_cndmask_b32_e32 v96, v96, v9, vcc_lo
	v_lshrrev_b16 v14, 11, v14
	v_and_b32_e32 v9, 0xff, v147
	v_or_b32_sdwa v87, v118, v87 dst_sel:WORD_1 dst_unused:UNUSED_PAD src0_sel:DWORD src1_sel:DWORD
	v_or_b32_e32 v118, v119, v129
	v_and_b32_e32 v146, 0xff, v68
	v_cmp_lt_u16_e32 vcc_lo, v81, v14
	v_mul_lo_u16 v14, 0xcd, v119
	v_mul_lo_u16 v9, 0xcd, v9
	v_and_or_b32 v87, 0xffff, v8, v87
	v_and_b32_e32 v118, 0xffff, v118
	v_lshlrev_b16 v119, 8, v133
	v_lshrrev_b16 v14, 11, v14
	v_lshrrev_b16 v9, 11, v9
	v_cndmask_b32_e32 v81, v8, v87, vcc_lo
	v_and_or_b32 v8, 0xffff0000, v12, v118
	v_cndmask_b32_e32 v87, v86, v117, vcc_lo
	v_cndmask_b32_e32 v86, v117, v86, vcc_lo
	v_and_b32_e32 v117, 0xff, v100
	v_and_b32_e32 v118, 0xff, v133
	v_cmp_lt_u16_e32 vcc_lo, v14, v9
	v_mul_lo_u16 v9, 0xcd, v117
	v_or_b32_sdwa v14, v117, v119 dst_sel:WORD_1 dst_unused:UNUSED_PAD src0_sel:DWORD src1_sel:DWORD
	v_cndmask_b32_e32 v8, v12, v8, vcc_lo
	v_mul_lo_u16 v12, 0xcd, v118
	v_and_b32_e32 v118, 0xff, v97
	v_lshrrev_b16 v9, 11, v9
	v_cndmask_b32_e32 v117, v80, v147, vcc_lo
	v_and_or_b32 v14, 0xffff, v8, v14
	v_lshrrev_b16 v12, 11, v12
	v_mul_lo_u16 v119, 0xcd, v144
	v_mul_lo_u16 v118, 0xcd, v118
	v_cndmask_b32_e32 v80, v147, v80, vcc_lo
	v_and_b32_e32 v147, 0xff, v128
	v_cmp_lt_u16_e32 vcc_lo, v9, v12
	v_and_b32_e32 v12, 0xff, v98
	v_lshrrev_b16 v9, 11, v118
	v_perm_b32 v118, v82, v81, 0x3020104
	v_cndmask_b32_e32 v129, v8, v14, vcc_lo
	v_lshrrev_b16 v8, 11, v119
	v_cndmask_b32_e32 v119, v100, v133, vcc_lo
	v_cndmask_b32_e32 v100, v133, v100, vcc_lo
	v_mul_lo_u16 v14, 0xcd, v12
	v_lshlrev_b16 v133, 8, v145
	v_cmp_lt_u16_e32 vcc_lo, v8, v9
	v_and_b32_e32 v8, 0xff, v130
	v_lshlrev_b16 v9, 8, v130
	v_cndmask_b32_e32 v7, v7, v101, vcc_lo
	v_mul_lo_u16 v8, 0xcd, v8
	v_or_b32_sdwa v9, v12, v9 dst_sel:WORD_1 dst_unused:UNUSED_PAD src0_sel:DWORD src1_sel:DWORD
	v_lshrrev_b16 v12, 11, v14
	v_and_b32_e32 v101, 0xff, v69
	v_cndmask_b32_e32 v144, v13, v97, vcc_lo
	v_lshrrev_b16 v8, 11, v8
	v_and_or_b32 v9, 0xffff, v7, v9
	v_cndmask_b32_e32 v97, v97, v13, vcc_lo
	v_and_b32_e32 v13, 0xff, v145
	v_or_b32_e32 v14, v101, v133
	v_cmp_lt_u16_e32 vcc_lo, v12, v8
	v_and_b32_e32 v12, 0xff, v99
	v_mul_lo_u16 v8, 0xcd, v13
	v_and_b32_e32 v14, 0xffff, v14
	v_cndmask_b32_e32 v133, v7, v9, vcc_lo
	v_mul_lo_u16 v7, 0xcd, v101
	v_cndmask_b32_e32 v101, v98, v130, vcc_lo
	v_lshrrev_b16 v8, 11, v8
	v_and_or_b32 v9, 0xffff0000, v83, v14
	v_cndmask_b32_e32 v98, v130, v98, vcc_lo
	v_lshrrev_b16 v7, 11, v7
	v_and_b32_e32 v14, 0xff, v134
	v_mul_lo_u16 v13, 0xcd, v12
	v_lshlrev_b16 v130, 8, v134
	v_cmp_lt_u16_e32 vcc_lo, v7, v8
	v_and_b32_e32 v8, 0xff, v112
	v_lshrrev_b16 v13, 11, v13
	v_or_b32_sdwa v12, v12, v130 dst_sel:WORD_1 dst_unused:UNUSED_PAD src0_sel:DWORD src1_sel:DWORD
	v_perm_b32 v130, v119, v133, 0x3020104
	v_cndmask_b32_e32 v7, v83, v9, vcc_lo
	v_mul_lo_u16 v9, 0xcd, v14
	v_mul_lo_u16 v14, 0xcd, v103
	;; [unrolled: 1-line block ×3, first 2 shown]
	v_cndmask_b32_e32 v83, v69, v145, vcc_lo
	v_and_or_b32 v12, 0xffff, v7, v12
	v_lshrrev_b16 v9, 11, v9
	v_lshrrev_b16 v14, 11, v14
	v_lshrrev_b16 v8, 11, v8
	v_cndmask_b32_e32 v69, v145, v69, vcc_lo
	v_cmp_lt_u16_e64 s4, v13, v9
	v_and_b32_e32 v13, 0xff, v6
	v_cmp_lt_u16_e32 vcc_lo, v14, v8
	v_lshlrev_b16 v14, 8, v6
	v_lshlrev_b16 v148, 8, v69
	v_cndmask_b32_e64 v103, v7, v12, s4
	v_and_b32_e32 v7, 0xff, v113
	v_cndmask_b32_e32 v8, v67, v116, vcc_lo
	v_cndmask_b32_e32 v12, v114, v112, vcc_lo
	;; [unrolled: 1-line block ×3, first 2 shown]
	v_and_b32_e32 v112, 0xff, v70
	v_mul_lo_u16 v9, 0xcd, v7
	v_lshlrev_b16 v114, 8, v149
	v_and_b32_e32 v116, 0xff, v149
	v_mul_lo_u16 v13, 0xcd, v13
	v_or_b32_sdwa v7, v7, v14 dst_sel:WORD_1 dst_unused:UNUSED_PAD src0_sel:DWORD src1_sel:DWORD
	v_lshrrev_b16 v9, 11, v9
	v_or_b32_e32 v14, v112, v114
	v_mul_lo_u16 v112, 0xcd, v112
	v_mul_lo_u16 v114, 0xcd, v116
	v_lshrrev_b16 v13, 11, v13
	v_and_or_b32 v7, 0xffff, v8, v7
	v_and_b32_e32 v14, 0xffff, v14
	v_lshrrev_b16 v112, 11, v112
	v_lshrrev_b16 v114, 11, v114
	v_cmp_lt_u16_e32 vcc_lo, v9, v13
	v_cndmask_b32_e64 v145, v99, v134, s4
	v_cndmask_b32_e64 v99, v134, v99, s4
	v_perm_b32 v134, v71, v85, 0xc0c0304
	v_cmp_lt_u16_e64 s4, v112, v114
	v_cndmask_b32_e32 v116, v8, v7, vcc_lo
	v_and_or_b32 v7, 0xffff0000, v102, v14
	v_and_b32_e32 v14, 0xff, v3
	v_cndmask_b32_e32 v8, v113, v6, vcc_lo
	v_cndmask_b32_e32 v13, v6, v113, vcc_lo
	v_lshlrev_b16 v113, 8, v115
	v_cndmask_b32_e64 v7, v102, v7, s4
	v_mul_lo_u16 v102, 0xcd, v14
	v_cndmask_b32_e64 v6, v70, v149, s4
	v_and_b32_e32 v112, 0xff, v115
	v_cndmask_b32_e64 v9, v149, v70, s4
	v_or_b32_sdwa v14, v14, v113 dst_sel:WORD_1 dst_unused:UNUSED_PAD src0_sel:DWORD src1_sel:DWORD
	v_lshrrev_b16 v70, 11, v102
	v_lshlrev_b16 v102, 8, v135
	v_and_b32_e32 v113, 0xff, v135
	v_and_b32_e32 v114, 0xff, v71
	v_mul_lo_u16 v112, 0xcd, v112
	v_and_or_b32 v14, 0xffff, v7, v14
	v_or_b32_sdwa v102, v85, v102 dst_sel:DWORD dst_unused:UNUSED_PAD src0_sel:BYTE_0 src1_sel:DWORD
	v_mul_lo_u16 v113, 0xcd, v113
	v_mul_lo_u16 v114, 0xcd, v114
	v_lshrrev_b16 v112, 11, v112
	v_and_b32_e32 v102, 0xffff, v102
	v_lshrrev_b16 v113, 11, v113
	v_lshrrev_b16 v114, 11, v114
	v_cmp_lt_u16_e32 vcc_lo, v70, v112
	v_perm_b32 v112, v145, v116, 0x3020104
	v_lshl_or_b32 v102, v134, 16, v102
	v_mul_lo_u16 v134, 0xcd, v146
	v_mul_lo_u16 v146, 0xcd, v147
	v_cmp_lt_u16_e64 s4, v113, v114
	v_cndmask_b32_e32 v14, v7, v14, vcc_lo
	v_lshlrev_b16 v114, 8, v68
	v_lshrrev_b16 v7, 11, v134
	v_and_b32_e32 v134, 0xff, v84
	v_cndmask_b32_e64 v70, v85, v102, s4
	v_lshrrev_b16 v85, 11, v146
	v_perm_b32 v102, v128, v2, 0x3020104
	v_and_b32_e32 v146, 0xff, v82
	v_mul_lo_u16 v134, 0xcd, v134
	v_and_b32_sdwa v113, v70, v1 dst_sel:DWORD dst_unused:UNUSED_PAD src0_sel:WORD_1 src1_sel:DWORD
	v_cmp_lt_u16_e64 s5, v7, v85
	v_cndmask_b32_e64 v7, v71, v135, s4
	v_and_b32_e32 v147, 0xff, v119
	v_lshrrev_b16 v134, 11, v134
	v_or_b32_sdwa v113, v113, v114 dst_sel:WORD_1 dst_unused:UNUSED_PAD src0_sel:DWORD src1_sel:DWORD
	v_cndmask_b32_e64 v85, v2, v102, s5
	v_cndmask_b32_e32 v2, v3, v115, vcc_lo
	v_cndmask_b32_e32 v3, v115, v3, vcc_lo
	v_and_b32_e32 v115, 0xff, v132
	v_cndmask_b32_e64 v102, v135, v71, s4
	v_and_b32_sdwa v114, v85, v10 dst_sel:DWORD dst_unused:UNUSED_PAD src0_sel:WORD_1 src1_sel:DWORD
	v_lshlrev_b16 v71, 8, v84
	v_and_b32_e32 v135, 0xff, v96
	v_and_or_b32 v113, 0xffff, v70, v113
	v_or_b32_sdwa v114, v115, v114 dst_sel:WORD_1 dst_unused:UNUSED_PAD src0_sel:DWORD src1_sel:DWORD
	v_mul_lo_u16 v115, 0xcd, v115
	v_or_b32_sdwa v71, v85, v71 dst_sel:DWORD dst_unused:UNUSED_PAD src0_sel:BYTE_0 src1_sel:DWORD
	v_cndmask_b32_e64 v70, v70, v113, s5
	v_lshrrev_b16 v115, 11, v115
	v_or_b32_sdwa v71, v71, v114 dst_sel:DWORD dst_unused:UNUSED_PAD src0_sel:WORD_0 src1_sel:DWORD
	v_mul_lo_u16 v114, 0xcd, v135
	v_mul_lo_u16 v135, 0xcd, v146
	v_cmp_lt_u16_e32 vcc_lo, v134, v115
	v_and_b32_e32 v134, 0xff, v7
	v_lshrrev_b16 v113, 11, v135
	v_lshlrev_b16 v135, 8, v0
	v_cndmask_b32_e32 v71, v85, v71, vcc_lo
	v_lshrrev_b16 v85, 11, v114
	v_cndmask_b32_e64 v114, v68, v128, s5
	v_cndmask_b32_e64 v68, v128, v68, s5
	v_lshlrev_b16 v128, 8, v96
	v_and_b32_sdwa v115, v71, v1 dst_sel:DWORD dst_unused:UNUSED_PAD src0_sel:WORD_1 src1_sel:DWORD
	v_cmp_lt_u16_e64 s4, v85, v113
	v_lshlrev_b16 v85, 8, v86
	v_cndmask_b32_e32 v113, v84, v132, vcc_lo
	v_or_b32_e32 v135, v134, v135
	v_or_b32_sdwa v115, v115, v128 dst_sel:WORD_1 dst_unused:UNUSED_PAD src0_sel:DWORD src1_sel:DWORD
	v_cndmask_b32_e64 v81, v81, v118, s4
	v_and_b32_e32 v118, 0xff, v86
	v_and_b32_e32 v128, 0xff, v131
	v_cndmask_b32_e32 v84, v132, v84, vcc_lo
	v_and_or_b32 v115, 0xffff, v71, v115
	v_or_b32_sdwa v85, v81, v85 dst_sel:DWORD dst_unused:UNUSED_PAD src0_sel:BYTE_0 src1_sel:DWORD
	v_mul_lo_u16 v118, 0xcd, v118
	v_mul_lo_u16 v128, 0xcd, v128
	v_perm_b32 v146, v131, v81, 0xc0c0304
	v_and_b32_e32 v132, 0xffff, v135
	v_and_b32_e32 v85, 0xffff, v85
	v_lshrrev_b16 v118, 11, v118
	v_lshrrev_b16 v128, 11, v128
	v_cndmask_b32_e64 v71, v71, v115, s4
	v_and_or_b32 v115, 0xffff0000, v70, v132
	v_lshl_or_b32 v85, v146, 16, v85
	v_lshlrev_b16 v135, 8, v80
	v_cmp_lt_u16_e32 vcc_lo, v118, v128
	v_and_b32_e32 v118, 0xff, v87
	v_and_b32_e32 v146, 0xff, v97
	v_cndmask_b32_e64 v128, v96, v82, s4
	v_cndmask_b32_e64 v82, v82, v96, s4
	v_cndmask_b32_e32 v81, v81, v85, vcc_lo
	v_and_b32_e32 v85, 0xff, v80
	v_mul_lo_u16 v118, 0xcd, v118
	v_cndmask_b32_e32 v96, v86, v131, vcc_lo
	v_cndmask_b32_e32 v86, v131, v86, vcc_lo
	v_and_b32_sdwa v132, v81, v1 dst_sel:DWORD dst_unused:UNUSED_PAD src0_sel:WORD_1 src1_sel:DWORD
	v_mul_lo_u16 v85, 0xcd, v85
	v_lshrrev_b16 v118, 11, v118
	v_and_b32_e32 v131, 0xff, v98
	v_mul_lo_u16 v134, 0xcd, v134
	v_or_b32_sdwa v132, v132, v135 dst_sel:WORD_1 dst_unused:UNUSED_PAD src0_sel:DWORD src1_sel:DWORD
	v_lshrrev_b16 v85, 11, v85
	v_mul_lo_u16 v135, 0xcd, v146
	v_mul_lo_u16 v146, 0xcd, v147
	;; [unrolled: 1-line block ×3, first 2 shown]
	v_and_or_b32 v132, 0xffff, v81, v132
	v_cmp_lt_u16_e64 s5, v85, v118
	v_lshrrev_b16 v85, 11, v135
	v_lshrrev_b16 v118, 11, v146
	v_perm_b32 v147, v87, v129, 0x3020104
	v_lshrrev_b16 v131, 11, v131
	v_cndmask_b32_e64 v81, v81, v132, s5
	v_and_b32_e32 v132, 0xff, v144
	v_cmp_lt_u16_e64 s4, v85, v118
	v_lshlrev_b16 v118, 8, v98
	v_cndmask_b32_e64 v129, v129, v147, s5
	v_and_b32_e32 v135, 0xff, v100
	v_mul_lo_u16 v132, 0xcd, v132
	v_cndmask_b32_e64 v85, v133, v130, s4
	v_and_b32_e32 v133, 0xff, v117
	v_and_b32_sdwa v130, v129, v10 dst_sel:DWORD dst_unused:UNUSED_PAD src0_sel:WORD_1 src1_sel:DWORD
	v_mul_lo_u16 v135, 0xcd, v135
	v_lshrrev_b16 v132, 11, v132
	v_or_b32_sdwa v118, v85, v118 dst_sel:DWORD dst_unused:UNUSED_PAD src0_sel:BYTE_0 src1_sel:DWORD
	v_perm_b32 v146, v144, v85, 0xc0c0304
	v_lshlrev_b16 v147, 8, v100
	v_or_b32_sdwa v130, v133, v130 dst_sel:WORD_1 dst_unused:UNUSED_PAD src0_sel:DWORD src1_sel:DWORD
	v_cmp_lt_u16_e32 vcc_lo, v131, v132
	v_and_b32_e32 v118, 0xffff, v118
	v_and_b32_e32 v131, 0xff, v101
	v_mul_lo_u16 v132, 0xcd, v133
	v_lshrrev_b16 v135, 11, v135
	v_or_b32_sdwa v133, v129, v147 dst_sel:DWORD dst_unused:UNUSED_PAD src0_sel:BYTE_0 src1_sel:DWORD
	v_lshl_or_b32 v118, v146, 16, v118
	v_mul_lo_u16 v131, 0xcd, v131
	v_lshrrev_b16 v132, 11, v132
	v_cndmask_b32_e64 v146, v80, v87, s5
	v_or_b32_sdwa v130, v133, v130 dst_sel:DWORD dst_unused:UNUSED_PAD src0_sel:WORD_0 src1_sel:DWORD
	v_cndmask_b32_e32 v85, v85, v118, vcc_lo
	v_and_b32_e32 v118, 0xff, v69
	v_lshrrev_b16 v131, 11, v131
	v_cmp_lt_u16_e64 s6, v135, v132
	v_cndmask_b32_e64 v80, v87, v80, s5
	v_and_b32_sdwa v147, v85, v1 dst_sel:DWORD dst_unused:UNUSED_PAD src0_sel:WORD_1 src1_sel:DWORD
	v_mul_lo_u16 v118, 0xcd, v118
	v_perm_b32 v87, v101, v103, 0x3020104
	v_cndmask_b32_e64 v129, v129, v130, s6
	v_lshrrev_b16 v134, 11, v134
	v_or_b32_sdwa v133, v147, v148 dst_sel:WORD_1 dst_unused:UNUSED_PAD src0_sel:DWORD src1_sel:DWORD
	v_lshrrev_b16 v118, 11, v118
	v_and_b32_e32 v68, 0xff, v68
	v_cndmask_b32_e64 v132, v100, v117, s6
	v_cndmask_b32_e64 v100, v117, v100, s6
	v_and_or_b32 v130, 0xffff, v85, v133
	v_cmp_lt_u16_e64 s5, v118, v131
	v_and_b32_sdwa v118, v129, v1 dst_sel:DWORD dst_unused:UNUSED_PAD src0_sel:WORD_1 src1_sel:DWORD
	v_lshlrev_b16 v131, 8, v97
	v_lshlrev_b16 v133, 8, v99
	v_and_b32_e32 v86, 0xff, v86
	v_cndmask_b32_e64 v87, v103, v87, s5
	v_cndmask_b32_e64 v85, v85, v130, s5
	v_or_b32_sdwa v103, v118, v131 dst_sel:WORD_1 dst_unused:UNUSED_PAD src0_sel:DWORD src1_sel:DWORD
	v_and_b32_e32 v130, 0xff, v83
	v_and_b32_e32 v131, 0xff, v99
	v_and_b32_sdwa v118, v87, v10 dst_sel:DWORD dst_unused:UNUSED_PAD src0_sel:WORD_1 src1_sel:DWORD
	v_or_b32_sdwa v133, v87, v133 dst_sel:DWORD dst_unused:UNUSED_PAD src0_sel:BYTE_0 src1_sel:DWORD
	v_and_or_b32 v103, 0xffff, v129, v103
	v_lshlrev_b16 v117, 8, v128
	v_mul_lo_u16 v131, 0xcd, v131
	v_or_b32_sdwa v118, v130, v118 dst_sel:WORD_1 dst_unused:UNUSED_PAD src0_sel:DWORD src1_sel:DWORD
	v_mul_lo_u16 v130, 0xcd, v130
	v_cndmask_b32_e64 v103, v129, v103, s4
	v_or_b32_e32 v117, v86, v117
	v_lshrrev_b16 v129, 11, v131
	v_or_b32_sdwa v118, v133, v118 dst_sel:DWORD dst_unused:UNUSED_PAD src0_sel:WORD_0 src1_sel:DWORD
	v_lshrrev_b16 v130, 11, v130
	v_cndmask_b32_e64 v131, v97, v119, s4
	v_cndmask_b32_e64 v97, v119, v97, s4
	v_and_b32_e32 v119, 0xff, v145
	v_lshlrev_b16 v133, 8, v67
	v_cmp_lt_u16_e64 s4, v129, v130
	v_cndmask_b32_e32 v129, v98, v144, vcc_lo
	v_cndmask_b32_e32 v98, v144, v98, vcc_lo
	v_mul_lo_u16 v119, 0xcd, v119
	v_lshlrev_b16 v135, 8, v131
	v_cndmask_b32_e64 v87, v87, v118, s4
	v_and_b32_e32 v118, 0xff, v67
	v_and_b32_e32 v98, 0xff, v98
	v_lshrrev_b16 v119, 11, v119
	v_and_b32_e32 v117, 0xffff, v117
	v_and_b32_sdwa v130, v87, v1 dst_sel:DWORD dst_unused:UNUSED_PAD src0_sel:WORD_1 src1_sel:DWORD
	v_mul_lo_u16 v118, 0xcd, v118
	v_or_b32_e32 v135, v98, v135
	v_and_b32_e32 v80, 0xff, v80
	v_and_or_b32 v117, 0xffff0000, v81, v117
	v_or_b32_sdwa v130, v130, v133 dst_sel:WORD_1 dst_unused:UNUSED_PAD src0_sel:DWORD src1_sel:DWORD
	v_lshrrev_b16 v118, 11, v118
	v_cndmask_b32_e64 v133, v69, v101, s5
	v_cndmask_b32_e64 v101, v101, v69, s5
	v_and_or_b32 v69, 0xffff, v87, v130
	v_cmp_lt_u16_e32 vcc_lo, v118, v119
	v_and_b32_e32 v119, 0xffff, v135
	v_cndmask_b32_e64 v118, v99, v83, s4
	v_cndmask_b32_e64 v83, v83, v99, s4
	v_cndmask_b32_e32 v99, v116, v112, vcc_lo
	v_and_or_b32 v112, 0xffff0000, v85, v119
	v_and_b32_e32 v116, 0xff, v13
	v_and_b32_e32 v119, 0xff, v12
	v_cndmask_b32_e32 v130, v67, v145, vcc_lo
	v_cndmask_b32_e32 v135, v145, v67, vcc_lo
	;; [unrolled: 1-line block ×3, first 2 shown]
	v_mul_lo_u16 v67, 0xcd, v116
	v_mul_lo_u16 v116, 0xcd, v119
	v_and_b32_e32 v119, 0xff, v0
	v_lshlrev_b16 v69, 8, v13
	v_perm_b32 v144, v12, v99, 0xc0c0304
	v_lshrrev_b16 v67, 11, v67
	v_lshrrev_b16 v116, 11, v116
	v_mul_lo_u16 v119, 0xcd, v119
	v_or_b32_sdwa v69, v99, v69 dst_sel:DWORD dst_unused:UNUSED_PAD src0_sel:BYTE_0 src1_sel:DWORD
	v_cmp_lt_u16_e64 s4, v67, v116
	v_lshrrev_b16 v119, 11, v119
	v_and_b32_e32 v69, 0xffff, v69
	v_mul_lo_u16 v67, 0xcd, v68
	v_cmp_lt_u16_e64 s11, v134, v119
	v_lshl_or_b32 v69, v144, 16, v69
	v_lshrrev_b16 v67, 11, v67
	v_and_b32_e32 v119, 0xff, v9
	v_lshlrev_b16 v134, 8, v130
	v_cndmask_b32_e64 v70, v70, v115, s11
	v_and_b32_e32 v115, 0xff, v102
	v_cndmask_b32_e64 v99, v99, v69, s4
	v_and_b32_e32 v69, 0xff, v84
	v_lshlrev_b16 v84, 8, v114
	v_lshlrev_b16 v102, 8, v102
	v_and_b32_e32 v114, 0xff, v114
	v_mul_lo_u16 v115, 0xcd, v115
	v_and_b32_e32 v130, 0xff, v130
	v_or_b32_e32 v84, v69, v84
	v_or_b32_sdwa v68, v68, v102 dst_sel:WORD_1 dst_unused:UNUSED_PAD src0_sel:DWORD src1_sel:DWORD
	v_mul_lo_u16 v69, 0xcd, v69
	v_mul_lo_u16 v102, 0xcd, v114
	v_lshrrev_b16 v114, 11, v115
	v_and_b32_e32 v84, 0xffff, v84
	v_and_or_b32 v68, 0xffff, v70, v68
	v_lshrrev_b16 v69, 11, v69
	v_lshrrev_b16 v102, 11, v102
	v_cmp_lt_u16_e32 vcc_lo, v67, v114
	v_and_or_b32 v84, 0xffff0000, v71, v84
	v_and_b32_sdwa v114, v99, v1 dst_sel:DWORD dst_unused:UNUSED_PAD src0_sel:WORD_1 src1_sel:DWORD
	v_perm_b32 v115, v8, v14, 0x3020104
	v_cndmask_b32_e32 v68, v70, v68, vcc_lo
	v_cmp_lt_u16_e32 vcc_lo, v69, v102
	v_and_b32_e32 v70, 0xff, v82
	v_lshlrev_b16 v82, 8, v113
	v_lshrrev_b32_e32 v67, 16, v68
	v_cndmask_b32_e32 v69, v71, v84, vcc_lo
	v_lshrrev_b32_e32 v84, 8, v68
	v_and_b32_e32 v71, 0xff, v113
	v_mul_lo_u16 v116, 0xcd, v70
	v_and_b32_e32 v102, 0xff, v67
	v_or_b32_sdwa v70, v70, v82 dst_sel:WORD_1 dst_unused:UNUSED_PAD src0_sel:DWORD src1_sel:DWORD
	v_and_b32_e32 v113, 0xff, v84
	v_mul_lo_u16 v71, 0xcd, v71
	v_mul_lo_u16 v82, 0xcd, v102
	v_and_or_b32 v70, 0xffff, v69, v70
	v_mul_lo_u16 v102, 0xcd, v113
	v_lshrrev_b16 v113, 11, v116
	v_lshrrev_b16 v71, 11, v71
	;; [unrolled: 1-line block ×3, first 2 shown]
	v_perm_b32 v116, v68, v68, 0x7050604
	v_lshrrev_b16 v102, 11, v102
	v_cmp_lt_u16_e32 vcc_lo, v113, v71
	v_lshlrev_b16 v113, 8, v9
	v_cndmask_b32_e32 v69, v69, v70, vcc_lo
	v_cmp_lt_u16_e32 vcc_lo, v82, v102
	v_and_b32_e32 v102, 0xff, v8
	v_cndmask_b32_e64 v82, v13, v12, s4
	v_cndmask_b32_e64 v12, v12, v13, s4
	v_cndmask_b32_e32 v68, v68, v116, vcc_lo
	v_mul_lo_u16 v116, 0xcd, v119
	v_mul_lo_u16 v13, 0xcd, v102
	v_and_b32_e32 v119, 0xff, v12
	v_and_b32_e32 v12, 0xff, v132
	v_lshrrev_b64 v[70:71], 24, v[68:69]
	v_or_b32_sdwa v71, v114, v113 dst_sel:WORD_1 dst_unused:UNUSED_PAD src0_sel:DWORD src1_sel:DWORD
	v_lshrrev_b16 v102, 11, v116
	v_and_b32_e32 v113, 0xff, v69
	v_lshrrev_b16 v13, 11, v13
	v_and_b32_e32 v116, 0xff, v128
	v_and_b32_e32 v114, 0xff, v70
	v_and_or_b32 v71, 0xffff, v99, v71
	v_mul_lo_u16 v113, 0xcd, v113
	v_cmp_lt_u16_e64 s6, v102, v13
	v_mul_lo_u16 v13, 0xcd, v86
	v_mul_lo_u16 v114, 0xcd, v114
	;; [unrolled: 1-line block ×4, first 2 shown]
	v_cndmask_b32_e64 v71, v99, v71, s6
	v_lshrrev_b16 v99, 11, v113
	v_lshrrev_b16 v102, 11, v114
	v_perm_b32 v113, v68, v69, 0x3020107
	v_lshrrev_b16 v13, 11, v13
	v_lshrrev_b16 v86, 11, v86
	v_and_b32_e32 v114, 0xff, v96
	v_cmp_lt_u16_e64 s4, v99, v102
	v_cndmask_b32_e64 v14, v14, v115, s6
	v_lshlrev_b16 v96, 8, v96
	v_cmp_lt_u16_e64 s5, v13, v86
	v_mul_lo_u16 v114, 0xcd, v114
	v_cndmask_b32_e64 v99, v69, v113, s4
	v_and_b32_sdwa v102, v14, v10 dst_sel:DWORD dst_unused:UNUSED_PAD src0_sel:WORD_1 src1_sel:DWORD
	v_and_b32_e32 v113, 0xff, v6
	v_cndmask_b32_e64 v13, v81, v117, s5
	v_mul_lo_u16 v117, 0xcd, v80
	v_lshrrev_b32_e32 v81, 16, v99
	v_lshrrev_b32_e32 v86, 8, v99
	v_or_b32_sdwa v80, v80, v96 dst_sel:WORD_1 dst_unused:UNUSED_PAD src0_sel:DWORD src1_sel:DWORD
	v_lshrrev_b16 v114, 11, v114
	v_lshrrev_b16 v12, 11, v12
	v_and_b32_e32 v115, 0xff, v81
	v_and_b32_e32 v116, 0xff, v86
	v_and_or_b32 v80, 0xffff, v13, v80
	v_mul_lo_u16 v96, 0xcd, v115
	v_mul_lo_u16 v115, 0xcd, v116
	v_lshrrev_b16 v116, 11, v117
	v_perm_b32 v117, v99, v99, 0x7050604
	v_lshrrev_b16 v96, 11, v96
	v_lshrrev_b16 v115, 11, v115
	v_cmp_lt_u16_e64 s5, v116, v114
	v_cndmask_b32_e64 v116, v8, v9, s6
	v_cndmask_b32_e64 v80, v13, v80, s5
	v_cmp_lt_u16_e64 s5, v96, v115
	v_and_b32_e32 v13, 0xff, v100
	v_or_b32_sdwa v100, v113, v102 dst_sel:WORD_1 dst_unused:UNUSED_PAD src0_sel:DWORD src1_sel:DWORD
	v_cndmask_b32_e64 v102, v9, v8, s6
	v_and_b32_e32 v114, 0xff, v80
	v_cndmask_b32_e64 v96, v99, v117, s5
	v_lshlrev_b16 v99, 8, v146
	v_and_b32_e32 v8, 0xff, v146
	v_mul_lo_u16 v113, 0xcd, v113
	v_mul_lo_u16 v9, 0xcd, v114
	v_lshrrev_b32_e32 v115, 24, v96
	v_or_b32_e32 v99, v13, v99
	v_mul_lo_u16 v13, 0xcd, v13
	v_mul_lo_u16 v8, 0xcd, v8
	v_lshrrev_b16 v9, 11, v9
	v_mul_lo_u16 v114, 0xcd, v115
	v_and_b32_e32 v99, 0xffff, v99
	v_perm_b32 v117, v96, v80, 0x3020107
	v_lshrrev_b16 v13, 11, v13
	v_lshrrev_b16 v8, 11, v8
	;; [unrolled: 1-line block ×3, first 2 shown]
	v_and_or_b32 v99, 0xffff0000, v103, v99
	v_lshrrev_b16 v113, 11, v113
	v_and_b32_e32 v116, 0xff, v116
	v_cmp_lt_u16_e64 s7, v13, v8
	v_cmp_lt_u16_e64 s6, v9, v114
	v_and_b32_e32 v9, 0xff, v97
	v_lshlrev_b16 v13, 8, v132
	v_cndmask_b32_e64 v8, v103, v99, s7
	v_cndmask_b32_e64 v114, v80, v117, s6
	v_mul_lo_u16 v132, 0xcd, v9
	v_or_b32_sdwa v9, v9, v13 dst_sel:WORD_1 dst_unused:UNUSED_PAD src0_sel:DWORD src1_sel:DWORD
	v_and_b32_e32 v117, 0xff, v3
	v_lshrrev_b32_e32 v99, 16, v114
	v_lshrrev_b32_e32 v103, 8, v114
	v_and_or_b32 v9, 0xffff, v8, v9
	v_and_b32_e32 v97, 0xff, v99
	v_and_b32_e32 v128, 0xff, v103
	v_mul_lo_u16 v13, 0xcd, v97
	v_mul_lo_u16 v97, 0xcd, v128
	v_lshrrev_b16 v128, 11, v132
	v_perm_b32 v132, v114, v114, 0x7050604
	v_lshrrev_b16 v13, 11, v13
	v_lshrrev_b16 v97, 11, v97
	v_cmp_lt_u16_e64 s7, v128, v12
	v_cndmask_b32_e64 v9, v8, v9, s7
	v_cmp_lt_u16_e64 s7, v13, v97
	v_mul_lo_u16 v97, 0xcd, v117
	v_or_b32_e32 v117, v119, v134
	v_cndmask_b32_e64 v8, v114, v132, s7
	v_lshlrev_b16 v114, 8, v3
	v_lshrrev_b64 v[12:13], 24, v[8:9]
	v_lshrrev_b16 v13, 11, v97
	v_or_b32_sdwa v97, v14, v114 dst_sel:DWORD dst_unused:UNUSED_PAD src0_sel:BYTE_0 src1_sel:DWORD
	v_and_b32_e32 v114, 0xffff, v117
	v_and_b32_e32 v117, 0xff, v9
	;; [unrolled: 1-line block ×3, first 2 shown]
	v_or_b32_sdwa v97, v97, v100 dst_sel:DWORD dst_unused:UNUSED_PAD src0_sel:WORD_0 src1_sel:DWORD
	v_and_or_b32 v100, 0xffff0000, v71, v114
	v_and_b32_e32 v114, 0xff, v131
	v_mul_lo_u16 v117, 0xcd, v117
	v_mul_lo_u16 v128, 0xcd, v128
	v_cmp_lt_u16_e64 s14, v13, v113
	v_mul_lo_u16 v13, 0xcd, v98
	v_lshrrev_b16 v98, 11, v117
	v_lshrrev_b16 v113, 11, v128
	v_cndmask_b32_e64 v97, v14, v97, s14
	v_mul_lo_u16 v14, 0xcd, v114
	v_perm_b32 v114, v8, v9, 0x3020107
	v_lshrrev_b16 v13, 11, v13
	v_cmp_lt_u16_e64 s10, v98, v113
	v_cndmask_b32_e64 v113, v0, v7, s11
	v_lshrrev_b16 v14, 11, v14
	v_cndmask_b32_e64 v117, v3, v6, s14
	v_cndmask_b32_e64 v3, v6, v3, s14
	;; [unrolled: 1-line block ×3, first 2 shown]
	v_and_b32_e32 v6, 0xff, v101
	v_cmp_lt_u16_e64 s11, v13, v14
	v_and_b32_e32 v7, 0xff, v129
	v_lshlrev_b16 v13, 8, v129
	v_and_b32_e32 v3, 0xff, v3
	v_mul_lo_u16 v114, 0xcd, v6
	v_cndmask_b32_e64 v0, v85, v112, s11
	v_lshrrev_b32_e32 v85, 16, v98
	v_lshrrev_b32_e32 v112, 8, v98
	v_mul_lo_u16 v7, 0xcd, v7
	v_or_b32_sdwa v6, v6, v13 dst_sel:WORD_1 dst_unused:UNUSED_PAD src0_sel:DWORD src1_sel:DWORD
	v_and_b32_e32 v14, 0xff, v85
	v_and_b32_e32 v101, 0xff, v112
	v_lshrrev_b16 v7, 11, v7
	v_and_or_b32 v6, 0xffff, v0, v6
	v_mul_lo_u16 v13, 0xcd, v14
	v_mul_lo_u16 v14, 0xcd, v101
	v_lshrrev_b16 v101, 11, v114
	v_perm_b32 v114, v98, v98, 0x7050604
	v_lshrrev_b16 v13, 11, v13
	v_lshrrev_b16 v14, 11, v14
	v_cmp_lt_u16_e64 s11, v101, v7
	v_lshlrev_b16 v7, 8, v80
	v_cndmask_b32_e64 v101, v0, v6, s11
	v_cmp_lt_u16_e64 s11, v13, v14
	v_and_b32_e32 v0, 0xff, v83
	v_lshlrev_b16 v6, 8, v133
	v_and_b32_sdwa v13, v96, v1 dst_sel:DWORD dst_unused:UNUSED_PAD src0_sel:WORD_1 src1_sel:DWORD
	v_and_b32_e32 v14, 0xff, v101
	v_cndmask_b32_e64 v83, v98, v114, s11
	v_and_b32_e32 v114, 0xff, v133
	v_or_b32_e32 v6, v0, v6
	v_mul_lo_u16 v0, 0xcd, v0
	v_mul_lo_u16 v14, 0xcd, v14
	v_lshrrev_b32_e32 v98, 24, v83
	v_mul_lo_u16 v114, 0xcd, v114
	v_and_b32_e32 v6, 0xffff, v6
	v_lshrrev_b16 v0, 11, v0
	v_lshrrev_b16 v14, 11, v14
	v_mul_lo_u16 v128, 0xcd, v98
	v_perm_b32 v129, v83, v101, 0x3020107
	v_lshrrev_b16 v114, 11, v114
	v_and_or_b32 v6, 0xffff0000, v87, v6
	v_or_b32_sdwa v131, v13, v7 dst_sel:WORD_1 dst_unused:UNUSED_PAD src0_sel:DWORD src1_sel:DWORD
	v_lshrrev_b16 v128, 11, v128
	v_and_b32_e32 v7, 0xff, v118
	v_cmp_lt_u16_e64 s15, v0, v114
	v_and_b32_sdwa v132, v83, v1 dst_sel:DWORD dst_unused:UNUSED_PAD src0_sel:WORD_1 src1_sel:DWORD
	v_cmp_lt_u16_e64 s14, v14, v128
	v_lshlrev_b16 v14, 8, v118
	v_cndmask_b32_e64 v0, v87, v6, s15
	v_and_b32_e32 v6, 0xff, v135
	v_mul_lo_u16 v7, 0xcd, v7
	v_cndmask_b32_e64 v13, v101, v129, s14
	v_cndmask_b32_e64 v135, v9, v12, s10
	;; [unrolled: 1-line block ×3, first 2 shown]
	v_mul_lo_u16 v118, 0xcd, v6
	v_or_b32_sdwa v6, v6, v14 dst_sel:WORD_1 dst_unused:UNUSED_PAD src0_sel:DWORD src1_sel:DWORD
	v_lshrrev_b32_e32 v87, 16, v13
	v_lshrrev_b32_e32 v114, 8, v13
	v_lshrrev_b16 v7, 11, v7
	v_lshrrev_b16 v14, 11, v118
	v_and_or_b32 v6, 0xffff, v0, v6
	v_and_b32_e32 v128, 0xff, v87
	v_and_b32_e32 v129, 0xff, v114
	v_perm_b32 v133, v13, v13, 0x7050604
	v_cmp_lt_u16_e64 s15, v14, v7
	v_cndmask_b32_e64 v144, v101, v98, s14
	v_mul_lo_u16 v118, 0xcd, v128
	v_mul_lo_u16 v128, 0xcd, v129
	v_lshlrev_b16 v129, 8, v101
	v_cndmask_b32_e64 v7, v0, v6, s15
	v_mul_lo_u16 v0, 0xcd, v119
	v_lshrrev_b16 v118, 11, v118
	v_lshrrev_b16 v128, 11, v128
	v_or_b32_sdwa v119, v132, v129 dst_sel:WORD_1 dst_unused:UNUSED_PAD src0_sel:DWORD src1_sel:DWORD
	v_and_b32_e32 v129, 0xff, v7
	v_lshrrev_b16 v0, 11, v0
	v_cndmask_b32_e64 v98, v98, v101, s14
	v_cmp_lt_u16_e64 s15, v118, v128
	v_mul_lo_u16 v118, 0xcd, v130
	v_and_b32_e32 v128, 0xff, v82
	v_lshlrev_b16 v82, 8, v82
	v_cndmask_b32_e64 v6, v13, v133, s15
	v_or_b32_sdwa v82, v116, v82 dst_sel:WORD_1 dst_unused:UNUSED_PAD src0_sel:DWORD src1_sel:DWORD
	v_lshrrev_b64 v[13:14], 24, v[6:7]
	v_lshrrev_b16 v14, 11, v118
	v_mul_lo_u16 v118, 0xcd, v116
	v_and_b32_e32 v130, 0xff, v13
	v_cmp_lt_u16_e64 s16, v0, v14
	v_lshrrev_b16 v14, 11, v118
	v_mul_lo_u16 v118, 0xcd, v130
	v_cndmask_b32_e64 v0, v71, v100, s16
	v_mul_lo_u16 v100, 0xcd, v129
	v_mul_lo_u16 v71, 0xcd, v128
	v_lshlrev_b16 v128, 8, v102
	v_lshrrev_b16 v118, 11, v118
	v_perm_b32 v129, v6, v7, 0x3020107
	v_lshrrev_b16 v100, 11, v100
	v_and_b32_e32 v102, 0xff, v102
	v_lshrrev_b16 v71, 11, v71
	v_or_b32_e32 v116, v3, v128
	v_mul_lo_u16 v3, 0xcd, v3
	v_cmp_lt_u16_e64 s16, v100, v118
	v_mul_lo_u16 v102, 0xcd, v102
	v_and_or_b32 v82, 0xffff, v0, v82
	v_and_b32_e32 v116, 0xffff, v116
	v_lshrrev_b16 v3, 11, v3
	v_cndmask_b32_e64 v100, v7, v129, s16
	v_lshrrev_b16 v102, 11, v102
	v_cmp_lt_u16_e64 s17, v14, v71
	v_and_or_b32 v116, 0xffff0000, v97, v116
	v_lshrrev_b32_e32 v118, 16, v100
	v_lshrrev_b32_e32 v128, 8, v100
	v_cndmask_b32_e64 v14, v0, v82, s17
	v_cmp_lt_u16_e64 s17, v3, v102
	v_and_b32_e32 v82, 0xff, v2
	v_and_b32_e32 v129, 0xff, v118
	;; [unrolled: 1-line block ×3, first 2 shown]
	v_perm_b32 v102, v100, v100, 0x7050604
	v_cndmask_b32_e64 v3, v97, v116, s17
	v_and_b32_e32 v97, 0xff, v117
	v_mul_lo_u16 v0, 0xcd, v129
	v_mul_lo_u16 v71, 0xcd, v130
	;; [unrolled: 1-line block ×3, first 2 shown]
	v_lshlrev_b16 v129, 8, v117
	v_mul_lo_u16 v97, 0xcd, v97
	v_lshrrev_b16 v0, 11, v0
	v_lshrrev_b16 v71, 11, v71
	v_cndmask_b32_e64 v130, v80, v115, s6
	v_or_b32_sdwa v82, v82, v129 dst_sel:WORD_1 dst_unused:UNUSED_PAD src0_sel:DWORD src1_sel:DWORD
	v_lshrrev_b16 v97, 11, v97
	v_lshlrev_b16 v129, 8, v69
	v_cmp_lt_u16_e64 s17, v0, v71
	v_lshrrev_b16 v0, 11, v116
	v_and_or_b32 v82, 0xffff, v3, v82
	v_and_b32_sdwa v116, v68, v1 dst_sel:DWORD dst_unused:UNUSED_PAD src0_sel:WORD_1 src1_sel:DWORD
	v_cndmask_b32_e64 v80, v115, v80, s6
	v_cndmask_b32_e64 v71, v100, v102, s17
	v_cmp_lt_u16_e64 s18, v0, v97
	v_lshlrev_b16 v100, 8, v14
	v_lshlrev_b16 v132, 8, v130
	v_and_b32_sdwa v102, v71, v1 dst_sel:DWORD dst_unused:UNUSED_PAD src0_sel:WORD_1 src1_sel:DWORD
	v_cndmask_b32_e64 v3, v3, v82, s18
	v_cndmask_b32_e64 v0, v2, v117, s18
	v_and_b32_e32 v2, 0xff, v14
	v_lshrrev_b32_e32 v82, 24, v71
	v_or_b32_sdwa v100, v102, v100 dst_sel:WORD_1 dst_unused:UNUSED_PAD src0_sel:DWORD src1_sel:DWORD
	v_or_b32_sdwa v102, v116, v129 dst_sel:WORD_1 dst_unused:UNUSED_PAD src0_sel:DWORD src1_sel:DWORD
	v_cndmask_b32_e32 v116, v84, v67, vcc_lo
	v_cndmask_b32_e32 v67, v67, v84, vcc_lo
	v_mul_lo_u16 v2, 0xcd, v2
	v_mul_lo_u16 v84, 0xcd, v82
	v_perm_b32 v97, v71, v14, 0x3020107
	v_and_or_b32 v102, 0xffff, v68, v102
	v_and_or_b32 v100, 0xffff, v71, v100
	v_lshrrev_b16 v2, 11, v2
	v_lshrrev_b16 v84, 11, v84
	v_lshlrev_b16 v117, 8, v113
	v_cndmask_b32_e64 v68, v68, v102, s4
	v_and_b32_e32 v102, 0xff, v116
	v_cndmask_b32_e64 v129, v69, v70, s4
	v_cmp_lt_u16_e32 vcc_lo, v2, v84
	v_and_or_b32 v2, 0xffff, v96, v131
	v_cndmask_b32_e64 v84, v81, v86, s5
	v_cndmask_b32_e64 v81, v86, v81, s5
	;; [unrolled: 1-line block ×3, first 2 shown]
	v_cndmask_b32_e32 v97, v14, v97, vcc_lo
	v_cndmask_b32_e32 v71, v71, v100, vcc_lo
	v_cndmask_b32_e64 v86, v96, v2, s6
	v_or_b32_e32 v70, v102, v117
	v_and_b32_sdwa v2, v8, v1 dst_sel:DWORD dst_unused:UNUSED_PAD src0_sel:WORD_1 src1_sel:DWORD
	v_lshrrev_b32_e32 v96, 16, v97
	v_lshrrev_b32_e32 v100, 8, v97
	v_lshlrev_b16 v117, 8, v9
	v_perm_b32 v133, v97, v97, 0x7050604
	v_cndmask_b32_e32 v145, v14, v82, vcc_lo
	v_and_b32_e32 v115, 0xff, v96
	v_and_b32_e32 v131, 0xff, v100
	v_or_b32_sdwa v2, v2, v117 dst_sel:WORD_1 dst_unused:UNUSED_PAD src0_sel:DWORD src1_sel:DWORD
	v_cndmask_b32_e64 v117, v103, v99, s7
	v_cndmask_b32_e64 v99, v99, v103, s7
	v_mul_lo_u16 v103, 0xcd, v115
	v_mul_lo_u16 v115, 0xcd, v131
	v_and_or_b32 v2, 0xffff, v8, v2
	v_and_b32_e32 v131, 0xff, v117
	v_lshlrev_b16 v148, 8, v145
	v_lshrrev_b16 v103, 11, v103
	v_lshrrev_b16 v115, 11, v115
	v_cndmask_b32_e64 v134, v8, v2, s10
	v_or_b32_e32 v8, v131, v132
	v_cndmask_b32_e32 v14, v82, v14, vcc_lo
	v_mul_lo_u16 v102, 0xcd, v102
	v_cmp_lt_u16_e64 s4, v103, v115
	v_cndmask_b32_e64 v115, v85, v112, s11
	v_and_b32_e32 v103, 0xffff, v8
	v_and_b32_e32 v70, 0xffff, v70
	v_lshrrev_b16 v102, 11, v102
	v_cndmask_b32_e64 v2, v97, v133, s4
	v_and_or_b32 v97, 0xffff, v83, v119
	v_lshlrev_b16 v119, 8, v7
	v_lshlrev_b16 v133, 8, v3
	v_and_or_b32 v70, 0xffff0000, v68, v70
	v_lshrrev_b64 v[8:9], 24, v[2:3]
	v_cndmask_b32_e64 v9, v112, v85, s11
	v_and_or_b32 v85, 0xffff0000, v134, v103
	v_and_b32_e32 v103, 0xff, v3
	v_cndmask_b32_e64 v83, v83, v97, s14
	v_and_b32_sdwa v97, v6, v1 dst_sel:DWORD dst_unused:UNUSED_PAD src0_sel:WORD_1 src1_sel:DWORD
	v_and_b32_e32 v112, 0xff, v8
	v_and_b32_sdwa v132, v2, v1 dst_sel:DWORD dst_unused:UNUSED_PAD src0_sel:WORD_1 src1_sel:DWORD
	v_mul_lo_u16 v103, 0xcd, v103
	v_perm_b32 v101, v2, v3, 0x3020107
	v_or_b32_sdwa v97, v97, v119 dst_sel:WORD_1 dst_unused:UNUSED_PAD src0_sel:DWORD src1_sel:DWORD
	v_mul_lo_u16 v112, 0xcd, v112
	v_or_b32_sdwa v119, v132, v133 dst_sel:WORD_1 dst_unused:UNUSED_PAD src0_sel:DWORD src1_sel:DWORD
	v_lshrrev_b16 v103, 11, v103
	v_cndmask_b32_e64 v133, v100, v96, s4
	v_and_or_b32 v97, 0xffff, v6, v97
	v_lshrrev_b16 v112, 11, v112
	v_and_or_b32 v119, 0xffff, v2, v119
	v_cndmask_b32_e64 v96, v96, v100, s4
	v_and_b32_e32 v147, 0xff, v133
	v_cndmask_b32_e64 v6, v6, v97, s16
	v_cmp_lt_u16_e64 s5, v103, v112
	v_cndmask_b32_e64 v103, v87, v114, s15
	v_cndmask_b32_e64 v87, v114, v87, s15
	v_lshlrev_b16 v151, 8, v67
	v_and_b32_e32 v149, 0xff, v81
	v_cndmask_b32_e64 v97, v3, v101, s5
	v_cndmask_b32_e64 v2, v2, v119, s5
	;; [unrolled: 1-line block ×5, first 2 shown]
	v_lshrrev_b32_e32 v114, 16, v97
	v_lshrrev_b32_e32 v128, 8, v97
	v_cndmask_b32_e64 v3, v8, v3, s5
	v_and_b32_e32 v8, 0xff, v113
	v_lshlrev_b16 v150, 8, v129
	v_and_b32_e32 v132, 0xff, v114
	v_and_b32_e32 v146, 0xff, v128
	v_mul_lo_u16 v131, 0xcd, v131
	v_mul_lo_u16 v8, 0xcd, v8
	v_cndmask_b32_e64 v101, v7, v13, s16
	v_mul_lo_u16 v132, 0xcd, v132
	v_mul_lo_u16 v146, 0xcd, v146
	v_cndmask_b32_e64 v7, v13, v7, s16
	v_lshrrev_b16 v8, 11, v8
	v_and_b32_e32 v13, 0xff, v87
	v_lshrrev_b16 v82, 11, v132
	v_lshrrev_b16 v146, 11, v146
	v_or_b32_e32 v132, v147, v148
	v_perm_b32 v148, v97, v97, 0x7050604
	v_lshlrev_b16 v112, 8, v144
	v_cmp_lt_u16_e32 vcc_lo, v82, v146
	v_and_b32_e32 v132, 0xffff, v132
	v_and_b32_e32 v146, 0xff, v69
	v_or_b32_e32 v112, v13, v112
	v_mul_lo_u16 v13, 0xcd, v13
	v_cndmask_b32_e32 v82, v97, v148, vcc_lo
	v_and_b32_e32 v148, 0xff, v67
	v_and_or_b32 v97, 0xffff0000, v2, v132
	v_cndmask_b32_e32 v132, v114, v128, vcc_lo
	v_cndmask_b32_e32 v114, v128, v114, vcc_lo
	v_mul_lo_u16 v128, 0xcd, v146
	v_mul_lo_u16 v148, 0xcd, v148
	v_cmp_lt_u16_e32 vcc_lo, v102, v8
	v_or_b32_sdwa v102, v146, v151 dst_sel:WORD_1 dst_unused:UNUSED_PAD src0_sel:DWORD src1_sel:DWORD
	v_and_b32_e32 v112, 0xffff, v112
	v_lshrrev_b16 v13, 11, v13
	v_cndmask_b32_e32 v8, v68, v70, vcc_lo
	v_lshrrev_b16 v68, 11, v128
	v_lshrrev_b16 v128, 11, v148
	v_cndmask_b32_e32 v113, v116, v113, vcc_lo
	v_and_b32_e32 v116, 0xff, v129
	v_or_b32_e32 v70, v149, v150
	v_and_or_b32 v102, 0xffff, v8, v102
	v_cmp_lt_u16_e32 vcc_lo, v68, v128
	v_mul_lo_u16 v68, 0xcd, v149
	v_mul_lo_u16 v116, 0xcd, v116
	v_and_b32_e32 v70, 0xffff, v70
	v_and_b32_e32 v128, 0xff, v80
	v_cndmask_b32_e32 v8, v8, v102, vcc_lo
	v_lshrrev_b16 v68, 11, v68
	v_lshrrev_b16 v102, 11, v116
	v_and_or_b32 v70, 0xffff0000, v86, v70
	v_and_b32_e32 v148, 0xff, v84
	v_lshlrev_b16 v149, 8, v84
	v_mul_lo_u16 v146, 0xcd, v128
	v_cmp_lt_u16_e64 s4, v68, v102
	v_cndmask_b32_e32 v116, v69, v67, vcc_lo
	v_cndmask_b32_e32 v67, v67, v69, vcc_lo
	v_or_b32_sdwa v128, v128, v149 dst_sel:WORD_1 dst_unused:UNUSED_PAD src0_sel:DWORD src1_sel:DWORD
	v_lshrrev_b16 v102, 11, v146
	v_cndmask_b32_e64 v68, v86, v70, s4
	v_and_b32_e32 v70, 0xff, v130
	v_mul_lo_u16 v86, 0xcd, v148
	v_and_or_b32 v112, 0xffff0000, v6, v112
	v_and_or_b32 v69, 0xffff, v68, v128
	v_mul_lo_u16 v70, 0xcd, v70
	v_lshrrev_b16 v86, 11, v86
	v_lshrrev_b16 v128, 11, v131
	v_lshlrev_b16 v131, 8, v99
	v_lshrrev_b16 v70, 11, v70
	v_cmp_lt_u16_e32 vcc_lo, v102, v86
	v_cndmask_b32_e64 v86, v81, v129, s4
	v_cndmask_b32_e64 v81, v129, v81, s4
	v_and_b32_e32 v102, 0xff, v9
	v_cmp_lt_u16_e64 s4, v128, v70
	v_cndmask_b32_e32 v68, v68, v69, vcc_lo
	v_cndmask_b32_e32 v69, v80, v84, vcc_lo
	;; [unrolled: 1-line block ×3, first 2 shown]
	v_and_b32_e32 v80, 0xff, v12
	v_cndmask_b32_e64 v84, v134, v85, s4
	v_cndmask_b32_e64 v85, v117, v130, s4
	v_cndmask_b32_e64 v117, v130, v117, s4
	v_and_b32_e32 v130, 0xff, v99
	v_lshlrev_b16 v128, 8, v135
	v_mul_lo_u16 v129, 0xcd, v80
	v_and_b32_e32 v134, 0xff, v135
	v_or_b32_sdwa v80, v80, v131 dst_sel:WORD_1 dst_unused:UNUSED_PAD src0_sel:DWORD src1_sel:DWORD
	v_mul_lo_u16 v130, 0xcd, v130
	v_or_b32_e32 v128, v102, v128
	v_lshrrev_b16 v129, 11, v129
	v_mul_lo_u16 v102, 0xcd, v102
	v_mul_lo_u16 v131, 0xcd, v134
	v_lshrrev_b16 v130, 11, v130
	v_and_b32_e32 v128, 0xffff, v128
	v_and_or_b32 v80, 0xffff, v84, v80
	v_lshrrev_b16 v102, 11, v102
	v_lshrrev_b16 v131, 11, v131
	v_cmp_lt_u16_e32 vcc_lo, v129, v130
	v_and_or_b32 v128, 0xffff0000, v83, v128
	v_and_b32_e32 v129, 0xff, v115
	v_lshlrev_b16 v130, 8, v115
	v_cmp_lt_u16_e64 s4, v102, v131
	v_cndmask_b32_e32 v80, v84, v80, vcc_lo
	v_and_b32_e32 v84, 0xff, v98
	v_and_b32_e32 v131, 0xff, v118
	v_lshlrev_b16 v134, 8, v101
	v_cndmask_b32_e64 v83, v83, v128, s4
	v_mul_lo_u16 v128, 0xcd, v129
	v_mul_lo_u16 v102, 0xcd, v84
	v_or_b32_sdwa v84, v84, v130 dst_sel:WORD_1 dst_unused:UNUSED_PAD src0_sel:DWORD src1_sel:DWORD
	v_cndmask_b32_e32 v129, v12, v99, vcc_lo
	v_cndmask_b32_e32 v12, v99, v12, vcc_lo
	v_and_b32_e32 v130, 0xff, v144
	v_lshrrev_b16 v99, 11, v102
	v_lshrrev_b16 v102, 11, v128
	v_and_or_b32 v84, 0xffff, v83, v84
	v_cndmask_b32_e64 v128, v9, v135, s4
	v_cndmask_b32_e64 v9, v135, v9, s4
	v_lshlrev_b16 v135, 8, v119
	v_cmp_lt_u16_e32 vcc_lo, v99, v102
	v_perm_b32 v99, v69, v80, 0x3020104
	v_cndmask_b32_e32 v83, v83, v84, vcc_lo
	v_mul_lo_u16 v84, 0xcd, v130
	v_cndmask_b32_e32 v102, v98, v115, vcc_lo
	v_cndmask_b32_e32 v98, v115, v98, vcc_lo
	v_and_b32_e32 v115, 0xff, v7
	v_and_b32_e32 v130, 0xff, v103
	v_lshrrev_b16 v84, 11, v84
	v_cmp_lt_u16_e32 vcc_lo, v13, v84
	v_mul_lo_u16 v13, 0xcd, v115
	v_lshlrev_b16 v84, 8, v103
	v_cndmask_b32_e32 v6, v6, v112, vcc_lo
	v_mul_lo_u16 v112, 0xcd, v130
	v_or_b32_e32 v130, v131, v134
	v_lshrrev_b16 v13, 11, v13
	v_or_b32_sdwa v84, v115, v84 dst_sel:WORD_1 dst_unused:UNUSED_PAD src0_sel:DWORD src1_sel:DWORD
	v_cndmask_b32_e32 v134, v87, v144, vcc_lo
	v_lshrrev_b16 v112, 11, v112
	v_and_b32_e32 v115, 0xffff, v130
	v_and_b32_e32 v130, 0xff, v101
	v_cndmask_b32_e32 v87, v144, v87, vcc_lo
	v_and_or_b32 v84, 0xffff, v6, v84
	v_cmp_lt_u16_e32 vcc_lo, v13, v112
	v_and_or_b32 v13, 0xffff0000, v71, v115
	v_mul_lo_u16 v112, 0xcd, v131
	v_mul_lo_u16 v115, 0xcd, v130
	v_and_b32_e32 v131, 0xff, v119
	v_cndmask_b32_e32 v6, v6, v84, vcc_lo
	v_cndmask_b32_e32 v130, v7, v103, vcc_lo
	v_lshrrev_b16 v112, 11, v112
	v_lshrrev_b16 v115, 11, v115
	v_cndmask_b32_e32 v7, v103, v7, vcc_lo
	v_and_b32_e32 v84, 0xff, v14
	v_and_b32_e32 v144, 0xff, v100
	v_cmp_lt_u16_e32 vcc_lo, v112, v115
	v_mul_lo_u16 v115, 0xcd, v147
	v_mul_lo_u16 v103, 0xcd, v84
	;; [unrolled: 1-line block ×3, first 2 shown]
	v_or_b32_sdwa v84, v84, v135 dst_sel:WORD_1 dst_unused:UNUSED_PAD src0_sel:DWORD src1_sel:DWORD
	v_cndmask_b32_e32 v13, v71, v13, vcc_lo
	v_and_b32_e32 v71, 0xff, v145
	v_lshrrev_b16 v115, 11, v115
	v_lshrrev_b16 v103, 11, v103
	;; [unrolled: 1-line block ×3, first 2 shown]
	v_cndmask_b32_e32 v131, v118, v101, vcc_lo
	v_mul_lo_u16 v71, 0xcd, v71
	v_cndmask_b32_e32 v101, v101, v118, vcc_lo
	v_lshlrev_b16 v118, 8, v100
	v_cmp_lt_u16_e64 s4, v103, v112
	v_and_b32_e32 v112, 0xff, v96
	v_lshrrev_b16 v71, 11, v71
	v_lshlrev_b16 v135, 8, v96
	v_and_or_b32 v84, 0xffff, v13, v84
	v_mul_lo_u16 v112, 0xcd, v112
	v_cmp_lt_u16_e32 vcc_lo, v115, v71
	v_and_b32_e32 v115, 0xff, v114
	v_cndmask_b32_e64 v71, v14, v119, s4
	v_cndmask_b32_e64 v14, v119, v14, s4
	v_lshrrev_b16 v112, 11, v112
	v_cndmask_b32_e32 v2, v2, v97, vcc_lo
	v_and_b32_e32 v97, 0xff, v3
	v_or_b32_e32 v118, v115, v118
	v_mul_lo_u16 v115, 0xcd, v115
	v_cndmask_b32_e32 v103, v133, v145, vcc_lo
	v_cndmask_b32_e32 v133, v145, v133, vcc_lo
	v_mul_lo_u16 v119, 0xcd, v97
	v_or_b32_sdwa v97, v97, v135 dst_sel:WORD_1 dst_unused:UNUSED_PAD src0_sel:DWORD src1_sel:DWORD
	v_and_b32_e32 v118, 0xffff, v118
	v_mul_lo_u16 v135, 0xcd, v144
	v_lshrrev_b16 v115, 11, v115
	v_lshrrev_b16 v119, 11, v119
	v_and_or_b32 v97, 0xffff, v2, v97
	v_cndmask_b32_e64 v13, v13, v84, s4
	v_lshlrev_b16 v144, 8, v70
	v_perm_b32 v84, v102, v6, 0x3020104
	v_cmp_lt_u16_e32 vcc_lo, v119, v112
	v_and_or_b32 v112, 0xffff0000, v82, v118
	v_lshrrev_b16 v118, 11, v135
	v_and_b32_e32 v135, 0xff, v113
	v_lshlrev_b16 v146, 8, v14
	v_cndmask_b32_e32 v2, v2, v97, vcc_lo
	v_cndmask_b32_e32 v97, v3, v96, vcc_lo
	v_cndmask_b32_e32 v3, v96, v3, vcc_lo
	v_cmp_lt_u16_e32 vcc_lo, v115, v118
	v_and_b32_e32 v96, 0xff, v0
	v_lshlrev_b16 v115, 8, v132
	v_cndmask_b32_e32 v82, v82, v112, vcc_lo
	v_and_b32_e32 v112, 0xff, v132
	v_mul_lo_u16 v118, 0xcd, v96
	v_cndmask_b32_e32 v119, v114, v100, vcc_lo
	v_cndmask_b32_e32 v100, v100, v114, vcc_lo
	v_or_b32_sdwa v96, v96, v115 dst_sel:WORD_1 dst_unused:UNUSED_PAD src0_sel:DWORD src1_sel:DWORD
	v_mul_lo_u16 v112, 0xcd, v112
	v_lshrrev_b16 v114, 11, v118
	v_lshlrev_b16 v115, 8, v67
	v_and_b32_e32 v118, 0xff, v67
	v_and_or_b32 v96, 0xffff, v82, v96
	v_lshrrev_b16 v112, 11, v112
	v_or_b32_sdwa v115, v8, v115 dst_sel:DWORD dst_unused:UNUSED_PAD src0_sel:BYTE_0 src1_sel:DWORD
	v_mul_lo_u16 v118, 0xcd, v118
	v_cmp_lt_u16_e32 vcc_lo, v114, v112
	v_perm_b32 v114, v113, v8, 0xc0c0304
	v_and_b32_e32 v112, 0xffff, v115
	v_lshrrev_b16 v115, 11, v118
	v_and_b32_e32 v118, 0xff, v81
	v_cndmask_b32_e32 v82, v82, v96, vcc_lo
	v_mul_lo_u16 v96, 0xcd, v135
	v_and_b32_e32 v135, 0xff, v116
	v_lshl_or_b32 v112, v114, 16, v112
	v_mul_lo_u16 v118, 0xcd, v118
	v_cndmask_b32_e32 v0, v132, v0, vcc_lo
	v_lshrrev_b16 v96, 11, v96
	v_mul_lo_u16 v135, 0xcd, v135
	v_lshlrev_b16 v132, 8, v81
	v_perm_b32 v114, v71, v2, 0x3020104
	v_cmp_lt_u16_e64 s4, v115, v96
	v_lshrrev_b16 v96, 11, v118
	v_perm_b32 v115, v116, v68, 0x3020104
	v_cndmask_b32_e64 v8, v8, v112, s4
	v_lshrrev_b16 v112, 11, v135
	v_cndmask_b32_e64 v135, v67, v113, s4
	v_cndmask_b32_e64 v67, v113, v67, s4
	v_and_b32_e32 v113, 0xff, v69
	v_and_b32_sdwa v118, v8, v1 dst_sel:DWORD dst_unused:UNUSED_PAD src0_sel:WORD_1 src1_sel:DWORD
	v_cmp_lt_u16_e32 vcc_lo, v96, v112
	v_and_b32_e32 v112, 0xff, v117
	v_and_b32_e32 v145, 0xff, v67
	v_mul_lo_u16 v113, 0xcd, v113
	v_or_b32_sdwa v96, v118, v132 dst_sel:WORD_1 dst_unused:UNUSED_PAD src0_sel:DWORD src1_sel:DWORD
	v_cndmask_b32_e32 v68, v68, v115, vcc_lo
	v_mul_lo_u16 v112, 0xcd, v112
	v_and_b32_e32 v118, 0xff, v86
	v_and_b32_e32 v132, 0xff, v70
	v_lshrrev_b16 v113, 11, v113
	v_and_b32_sdwa v115, v68, v10 dst_sel:DWORD dst_unused:UNUSED_PAD src0_sel:WORD_1 src1_sel:DWORD
	v_lshrrev_b16 v112, 11, v112
	v_and_or_b32 v96, 0xffff, v8, v96
	v_mul_lo_u16 v132, 0xcd, v132
	v_or_b32_sdwa v115, v118, v115 dst_sel:WORD_1 dst_unused:UNUSED_PAD src0_sel:DWORD src1_sel:DWORD
	v_cmp_lt_u16_e64 s4, v112, v113
	v_mul_lo_u16 v112, 0xcd, v118
	v_lshrrev_b16 v132, 11, v132
	v_or_b32_sdwa v113, v68, v144 dst_sel:DWORD dst_unused:UNUSED_PAD src0_sel:BYTE_0 src1_sel:DWORD
	v_and_b32_e32 v118, 0xff, v12
	v_cndmask_b32_e64 v80, v80, v99, s4
	v_lshlrev_b16 v99, 8, v12
	v_and_b32_e32 v144, 0xff, v85
	v_lshrrev_b16 v112, 11, v112
	v_or_b32_sdwa v113, v113, v115 dst_sel:DWORD dst_unused:UNUSED_PAD src0_sel:WORD_0 src1_sel:DWORD
	v_mul_lo_u16 v115, 0xcd, v118
	v_or_b32_sdwa v99, v80, v99 dst_sel:DWORD dst_unused:UNUSED_PAD src0_sel:BYTE_0 src1_sel:DWORD
	v_mul_lo_u16 v118, 0xcd, v144
	v_cmp_lt_u16_e64 s5, v132, v112
	v_perm_b32 v144, v85, v80, 0xc0c0304
	v_lshrrev_b16 v112, 11, v115
	v_and_b32_e32 v99, 0xffff, v99
	v_cndmask_b32_e32 v8, v8, v96, vcc_lo
	v_cndmask_b32_e64 v68, v68, v113, s5
	v_lshrrev_b16 v113, 11, v118
	v_cndmask_b32_e32 v96, v81, v116, vcc_lo
	v_lshl_or_b32 v99, v144, 16, v99
	v_cndmask_b32_e32 v81, v116, v81, vcc_lo
	v_and_b32_sdwa v115, v68, v1 dst_sel:DWORD dst_unused:UNUSED_PAD src0_sel:WORD_1 src1_sel:DWORD
	v_cmp_lt_u16_e32 vcc_lo, v112, v113
	v_and_b32_e32 v113, 0xff, v129
	v_lshlrev_b16 v112, 8, v117
	v_lshlrev_b16 v118, 8, v8
	;; [unrolled: 1-line block ×3, first 2 shown]
	v_cndmask_b32_e32 v80, v80, v99, vcc_lo
	v_and_b32_e32 v99, 0xff, v9
	v_mul_lo_u16 v113, 0xcd, v113
	v_or_b32_sdwa v112, v115, v112 dst_sel:WORD_1 dst_unused:UNUSED_PAD src0_sel:DWORD src1_sel:DWORD
	v_or_b32_e32 v118, v145, v118
	v_and_b32_sdwa v132, v80, v1 dst_sel:DWORD dst_unused:UNUSED_PAD src0_sel:WORD_1 src1_sel:DWORD
	v_mul_lo_u16 v99, 0xcd, v99
	v_lshrrev_b16 v113, 11, v113
	v_cndmask_b32_e64 v116, v70, v86, s5
	v_and_or_b32 v112, 0xffff, v68, v112
	v_or_b32_sdwa v115, v132, v144 dst_sel:WORD_1 dst_unused:UNUSED_PAD src0_sel:DWORD src1_sel:DWORD
	v_lshrrev_b16 v99, 11, v99
	v_perm_b32 v132, v129, v83, 0x3020104
	v_cndmask_b32_e64 v70, v86, v70, s5
	v_cndmask_b32_e64 v68, v68, v112, s4
	v_and_or_b32 v115, 0xffff, v80, v115
	v_cmp_lt_u16_e64 s6, v99, v113
	v_and_b32_e32 v99, 0xffff, v118
	v_cndmask_b32_e32 v112, v12, v85, vcc_lo
	v_and_b32_e32 v118, 0xff, v128
	v_cndmask_b32_e32 v12, v85, v12, vcc_lo
	v_cndmask_b32_e64 v80, v80, v115, s6
	v_cndmask_b32_e64 v83, v83, v132, s6
	v_and_or_b32 v86, 0xffff0000, v8, v99
	v_cndmask_b32_e64 v99, v117, v69, s4
	v_cndmask_b32_e64 v69, v69, v117, s4
	v_and_b32_e32 v115, 0xff, v87
	v_and_b32_e32 v117, 0xff, v102
	v_and_b32_sdwa v113, v83, v10 dst_sel:DWORD dst_unused:UNUSED_PAD src0_sel:WORD_1 src1_sel:DWORD
	v_and_b32_e32 v132, 0xff, v98
	v_cndmask_b32_e64 v144, v9, v129, s6
	v_mul_lo_u16 v85, 0xcd, v115
	v_mul_lo_u16 v115, 0xcd, v117
	v_or_b32_sdwa v113, v118, v113 dst_sel:WORD_1 dst_unused:UNUSED_PAD src0_sel:DWORD src1_sel:DWORD
	v_mul_lo_u16 v117, 0xcd, v132
	v_lshlrev_b16 v132, 8, v98
	v_lshrrev_b16 v85, 11, v85
	v_lshrrev_b16 v115, 11, v115
	v_mul_lo_u16 v118, 0xcd, v118
	v_lshrrev_b16 v117, 11, v117
	v_or_b32_sdwa v132, v83, v132 dst_sel:DWORD dst_unused:UNUSED_PAD src0_sel:BYTE_0 src1_sel:DWORD
	v_cndmask_b32_e64 v9, v129, v9, s6
	v_cmp_lt_u16_e32 vcc_lo, v85, v115
	v_lshrrev_b16 v85, 11, v118
	v_and_b32_e32 v115, 0xff, v7
	v_or_b32_sdwa v113, v132, v113 dst_sel:DWORD dst_unused:UNUSED_PAD src0_sel:WORD_0 src1_sel:DWORD
	v_and_b32_e32 v118, 0xff, v134
	v_cndmask_b32_e32 v6, v6, v84, vcc_lo
	v_lshlrev_b16 v84, 8, v7
	v_cmp_lt_u16_e64 s4, v117, v85
	v_mul_lo_u16 v85, 0xcd, v115
	v_lshlrev_b16 v132, 8, v101
	v_perm_b32 v115, v134, v6, 0xc0c0304
	v_or_b32_sdwa v84, v6, v84 dst_sel:DWORD dst_unused:UNUSED_PAD src0_sel:BYTE_0 src1_sel:DWORD
	v_cndmask_b32_e64 v83, v83, v113, s4
	v_mul_lo_u16 v113, 0xcd, v118
	v_lshrrev_b16 v85, 11, v85
	v_lshlrev_b16 v118, 8, v87
	v_and_b32_e32 v84, 0xffff, v84
	v_and_b32_sdwa v117, v83, v1 dst_sel:DWORD dst_unused:UNUSED_PAD src0_sel:WORD_1 src1_sel:DWORD
	v_lshrrev_b16 v113, 11, v113
	v_lshlrev_b16 v148, 8, v96
	v_lshl_or_b32 v84, v115, 16, v84
	v_cndmask_b32_e64 v115, v98, v128, s4
	v_cndmask_b32_e64 v98, v128, v98, s4
	v_cmp_lt_u16_e64 s4, v85, v113
	v_and_b32_e32 v113, 0xff, v130
	v_or_b32_sdwa v117, v117, v118 dst_sel:WORD_1 dst_unused:UNUSED_PAD src0_sel:DWORD src1_sel:DWORD
	v_and_b32_e32 v85, 0xff, v12
	v_lshlrev_b16 v128, 8, v99
	v_cndmask_b32_e64 v6, v6, v84, s4
	v_and_b32_e32 v84, 0xff, v101
	v_mul_lo_u16 v113, 0xcd, v113
	v_and_or_b32 v117, 0xffff, v83, v117
	v_or_b32_e32 v118, v85, v128
	v_and_b32_sdwa v129, v6, v1 dst_sel:DWORD dst_unused:UNUSED_PAD src0_sel:WORD_1 src1_sel:DWORD
	v_mul_lo_u16 v84, 0xcd, v84
	v_lshrrev_b16 v113, 11, v113
	v_cndmask_b32_e32 v83, v83, v117, vcc_lo
	v_and_b32_e32 v117, 0xff, v71
	v_or_b32_sdwa v128, v129, v132 dst_sel:WORD_1 dst_unused:UNUSED_PAD src0_sel:DWORD src1_sel:DWORD
	v_lshrrev_b16 v84, 11, v84
	v_perm_b32 v129, v130, v13, 0x3020104
	v_and_b32_e32 v132, 0xff, v131
	v_mul_lo_u16 v117, 0xcd, v117
	v_and_or_b32 v128, 0xffff, v6, v128
	v_cmp_lt_u16_e64 s5, v84, v113
	v_cndmask_b32_e32 v113, v87, v102, vcc_lo
	v_cndmask_b32_e32 v87, v102, v87, vcc_lo
	v_and_b32_e32 v102, 0xff, v133
	v_lshrrev_b16 v117, 11, v117
	v_cndmask_b32_e64 v13, v13, v129, s5
	v_and_b32_e32 v129, 0xff, v14
	v_cndmask_b32_e64 v6, v6, v128, s5
	v_mul_lo_u16 v102, 0xcd, v102
	v_and_b32_e32 v118, 0xffff, v118
	v_and_b32_sdwa v128, v13, v10 dst_sel:DWORD dst_unused:UNUSED_PAD src0_sel:WORD_1 src1_sel:DWORD
	v_mul_lo_u16 v129, 0xcd, v129
	v_lshlrev_b16 v147, 8, v113
	v_lshrrev_b16 v102, 11, v102
	v_and_or_b32 v84, 0xffff0000, v80, v118
	v_or_b32_sdwa v128, v132, v128 dst_sel:WORD_1 dst_unused:UNUSED_PAD src0_sel:DWORD src1_sel:DWORD
	v_lshrrev_b16 v129, 11, v129
	v_cndmask_b32_e64 v118, v7, v134, s4
	v_cmp_lt_u16_e32 vcc_lo, v102, v117
	v_lshlrev_b16 v102, 8, v3
	v_or_b32_sdwa v117, v13, v146 dst_sel:DWORD dst_unused:UNUSED_PAD src0_sel:BYTE_0 src1_sel:DWORD
	v_and_b32_e32 v146, 0xff, v103
	v_cndmask_b32_e64 v7, v134, v7, s4
	v_cndmask_b32_e32 v2, v2, v114, vcc_lo
	v_mul_lo_u16 v114, 0xcd, v132
	v_and_b32_e32 v132, 0xff, v3
	v_or_b32_sdwa v117, v117, v128 dst_sel:DWORD dst_unused:UNUSED_PAD src0_sel:WORD_0 src1_sel:DWORD
	v_cndmask_b32_e64 v134, v101, v130, s5
	v_or_b32_sdwa v102, v2, v102 dst_sel:DWORD dst_unused:UNUSED_PAD src0_sel:BYTE_0 src1_sel:DWORD
	v_lshrrev_b16 v114, 11, v114
	v_mul_lo_u16 v128, 0xcd, v132
	v_mul_lo_u16 v132, 0xcd, v146
	v_perm_b32 v146, v103, v2, 0xc0c0304
	v_and_b32_e32 v102, 0xffff, v102
	v_cmp_lt_u16_e64 s4, v129, v114
	v_lshrrev_b16 v114, 11, v128
	v_cndmask_b32_e64 v101, v130, v101, s5
	v_and_b32_e32 v130, 0xff, v7
	v_lshl_or_b32 v102, v146, 16, v102
	v_cndmask_b32_e64 v13, v13, v117, s4
	v_lshrrev_b16 v117, 11, v132
	v_lshlrev_b16 v146, 8, v100
	v_cndmask_b32_e64 v129, v14, v131, s4
	v_cndmask_b32_e64 v14, v131, v14, s4
	v_and_b32_sdwa v128, v13, v1 dst_sel:DWORD dst_unused:UNUSED_PAD src0_sel:WORD_1 src1_sel:DWORD
	v_cmp_lt_u16_e64 s5, v114, v117
	v_and_b32_e32 v117, 0xff, v97
	v_lshlrev_b16 v114, 8, v133
	v_and_b32_e32 v131, 0xff, v119
	v_mul_lo_u16 v85, 0xcd, v85
	v_cndmask_b32_e64 v2, v2, v102, s5
	v_and_b32_e32 v102, 0xff, v100
	v_mul_lo_u16 v117, 0xcd, v117
	v_or_b32_sdwa v114, v128, v114 dst_sel:WORD_1 dst_unused:UNUSED_PAD src0_sel:DWORD src1_sel:DWORD
	v_and_b32_sdwa v132, v2, v1 dst_sel:DWORD dst_unused:UNUSED_PAD src0_sel:WORD_1 src1_sel:DWORD
	v_mul_lo_u16 v102, 0xcd, v102
	v_lshrrev_b16 v117, 11, v117
	v_and_or_b32 v114, 0xffff, v13, v114
	v_or_b32_sdwa v128, v132, v146 dst_sel:WORD_1 dst_unused:UNUSED_PAD src0_sel:DWORD src1_sel:DWORD
	v_lshrrev_b16 v102, 11, v102
	v_or_b32_e32 v132, v130, v147
	v_perm_b32 v146, v97, v82, 0x3020104
	v_cndmask_b32_e32 v13, v13, v114, vcc_lo
	v_and_or_b32 v128, 0xffff, v2, v128
	v_cmp_lt_u16_e64 s6, v102, v117
	v_and_b32_e32 v102, 0xffff, v132
	v_cndmask_b32_e64 v117, v103, v3, s5
	v_and_b32_e32 v132, 0xff, v0
	v_cndmask_b32_e64 v3, v3, v103, s5
	v_cndmask_b32_e64 v114, v2, v128, s6
	;; [unrolled: 1-line block ×3, first 2 shown]
	v_and_or_b32 v82, 0xffff0000, v6, v102
	v_cndmask_b32_e32 v102, v133, v71, vcc_lo
	v_cndmask_b32_e32 v71, v71, v133, vcc_lo
	v_and_b32_e32 v103, 0xff, v117
	v_and_b32_sdwa v128, v2, v10 dst_sel:DWORD dst_unused:UNUSED_PAD src0_sel:WORD_1 src1_sel:DWORD
	v_mul_lo_u16 v132, 0xcd, v132
	v_lshlrev_b16 v133, 8, v102
	v_lshlrev_b16 v146, 8, v0
	v_cndmask_b32_e64 v147, v100, v97, s6
	v_or_b32_sdwa v128, v131, v128 dst_sel:WORD_1 dst_unused:UNUSED_PAD src0_sel:DWORD src1_sel:DWORD
	v_mul_lo_u16 v131, 0xcd, v131
	v_or_b32_e32 v133, v103, v133
	v_lshrrev_b16 v132, 11, v132
	v_or_b32_sdwa v146, v2, v146 dst_sel:DWORD dst_unused:UNUSED_PAD src0_sel:BYTE_0 src1_sel:DWORD
	v_cndmask_b32_e64 v97, v97, v100, s6
	v_lshrrev_b16 v131, 11, v131
	v_and_b32_e32 v100, 0xff, v8
	v_and_b32_e32 v133, 0xffff, v133
	v_or_b32_sdwa v128, v146, v128 dst_sel:DWORD dst_unused:UNUSED_PAD src0_sel:WORD_0 src1_sel:DWORD
	v_and_b32_e32 v146, 0xff, v70
	v_cmp_lt_u16_e32 vcc_lo, v132, v131
	v_mul_lo_u16 v132, 0xcd, v145
	v_mul_lo_u16 v100, 0xcd, v100
	v_and_or_b32 v131, 0xffff0000, v114, v133
	v_lshlrev_b16 v145, 8, v135
	v_cndmask_b32_e32 v128, v2, v128, vcc_lo
	v_cndmask_b32_e32 v133, v0, v119, vcc_lo
	;; [unrolled: 1-line block ×3, first 2 shown]
	v_lshrrev_b16 v2, 11, v132
	v_lshrrev_b16 v100, 11, v100
	v_and_b32_e32 v119, 0xff, v81
	v_and_b32_e32 v132, 0xff, v135
	v_or_b32_e32 v148, v146, v148
	v_mul_lo_u16 v103, 0xcd, v103
	v_cmp_lt_u16_e32 vcc_lo, v2, v100
	v_mul_lo_u16 v100, 0xcd, v119
	v_mul_lo_u16 v132, 0xcd, v132
	v_or_b32_sdwa v119, v119, v145 dst_sel:WORD_1 dst_unused:UNUSED_PAD src0_sel:DWORD src1_sel:DWORD
	v_and_b32_e32 v145, 0xffff, v148
	v_cndmask_b32_e32 v86, v8, v86, vcc_lo
	v_lshrrev_b16 v100, 11, v100
	v_lshrrev_b16 v132, 11, v132
	v_cndmask_b32_e32 v2, v8, v67, vcc_lo
	v_cndmask_b32_e32 v8, v67, v8, vcc_lo
	v_and_or_b32 v119, 0xffff, v86, v119
	v_and_b32_e32 v67, 0xff, v96
	v_cmp_lt_u16_e32 vcc_lo, v100, v132
	v_and_or_b32 v100, 0xffff0000, v68, v145
	v_and_b32_e32 v145, 0xff, v69
	v_lshlrev_b16 v148, 8, v116
	v_mul_lo_u16 v67, 0xcd, v67
	v_cndmask_b32_e32 v86, v86, v119, vcc_lo
	v_mul_lo_u16 v119, 0xcd, v146
	v_cndmask_b32_e32 v132, v81, v135, vcc_lo
	v_and_b32_e32 v146, 0xff, v116
	v_lshrrev_b16 v67, 11, v67
	v_cndmask_b32_e32 v81, v135, v81, vcc_lo
	v_lshrrev_b16 v119, 11, v119
	v_mul_lo_u16 v135, 0xcd, v145
	v_mul_lo_u16 v146, 0xcd, v146
	v_cmp_lt_u16_e32 vcc_lo, v119, v67
	v_or_b32_sdwa v119, v145, v148 dst_sel:WORD_1 dst_unused:UNUSED_PAD src0_sel:DWORD src1_sel:DWORD
	v_cndmask_b32_e32 v67, v68, v100, vcc_lo
	v_and_b32_e32 v100, 0xff, v99
	v_lshrrev_b16 v68, 11, v135
	v_lshrrev_b16 v135, 11, v146
	v_cndmask_b32_e32 v145, v70, v96, vcc_lo
	v_and_or_b32 v119, 0xffff, v67, v119
	v_mul_lo_u16 v100, 0xcd, v100
	v_and_b32_e32 v146, 0xff, v132
	v_cmp_lt_u16_e64 s4, v68, v135
	v_cndmask_b32_e32 v68, v96, v70, vcc_lo
	v_lshrrev_b16 v70, 11, v85
	v_lshrrev_b16 v85, 11, v100
	v_and_b32_e32 v100, 0xff, v9
	v_cndmask_b32_e64 v67, v67, v119, s4
	v_cndmask_b32_e64 v96, v69, v116, s4
	;; [unrolled: 1-line block ×3, first 2 shown]
	v_cmp_lt_u16_e32 vcc_lo, v70, v85
	v_lshlrev_b16 v85, 8, v112
	v_and_b32_e32 v116, 0xff, v98
	v_lshlrev_b16 v119, 8, v144
	v_cndmask_b32_e32 v70, v80, v84, vcc_lo
	v_and_b32_e32 v80, 0xff, v112
	v_mul_lo_u16 v84, 0xcd, v100
	v_cndmask_b32_e32 v135, v12, v99, vcc_lo
	v_cndmask_b32_e32 v12, v99, v12, vcc_lo
	v_and_b32_e32 v99, 0xff, v144
	v_mul_lo_u16 v80, 0xcd, v80
	v_lshrrev_b16 v84, 11, v84
	v_or_b32_sdwa v85, v100, v85 dst_sel:WORD_1 dst_unused:UNUSED_PAD src0_sel:DWORD src1_sel:DWORD
	v_or_b32_e32 v100, v116, v119
	v_lshlrev_b16 v119, 8, v134
	v_lshrrev_b16 v80, 11, v80
	v_and_or_b32 v85, 0xffff, v70, v85
	v_and_b32_e32 v100, 0xffff, v100
	v_cmp_lt_u16_e32 vcc_lo, v84, v80
	v_mul_lo_u16 v80, 0xcd, v116
	v_mul_lo_u16 v84, 0xcd, v99
	v_lshlrev_b16 v116, 8, v115
	v_cndmask_b32_e32 v70, v70, v85, vcc_lo
	v_lshrrev_b16 v80, 11, v80
	v_lshrrev_b16 v84, 11, v84
	v_and_or_b32 v85, 0xffff0000, v83, v100
	v_cndmask_b32_e32 v99, v9, v112, vcc_lo
	v_cndmask_b32_e32 v9, v112, v9, vcc_lo
	v_and_b32_e32 v100, 0xff, v87
	v_and_b32_e32 v112, 0xff, v115
	v_cmp_lt_u16_e32 vcc_lo, v80, v84
	v_mul_lo_u16 v84, 0xcd, v112
	v_cndmask_b32_e32 v80, v83, v85, vcc_lo
	v_mul_lo_u16 v83, 0xcd, v100
	v_and_b32_e32 v112, 0xff, v113
	v_or_b32_sdwa v85, v100, v116 dst_sel:WORD_1 dst_unused:UNUSED_PAD src0_sel:DWORD src1_sel:DWORD
	v_lshrrev_b16 v84, 11, v84
	v_mul_lo_u16 v116, 0xcd, v130
	v_lshrrev_b16 v83, 11, v83
	v_mul_lo_u16 v112, 0xcd, v112
	v_cndmask_b32_e32 v100, v98, v144, vcc_lo
	v_and_or_b32 v85, 0xffff, v80, v85
	v_cndmask_b32_e32 v98, v144, v98, vcc_lo
	v_cmp_lt_u16_e32 vcc_lo, v83, v84
	v_lshrrev_b16 v83, 11, v116
	v_lshrrev_b16 v84, 11, v112
	v_and_b32_e32 v116, 0xff, v101
	v_and_b32_e32 v144, 0xff, v68
	v_cndmask_b32_e32 v80, v80, v85, vcc_lo
	v_cndmask_b32_e32 v112, v87, v115, vcc_lo
	;; [unrolled: 1-line block ×3, first 2 shown]
	v_cmp_lt_u16_e32 vcc_lo, v83, v84
	v_mul_lo_u16 v83, 0xcd, v116
	v_lshlrev_b16 v84, 8, v118
	v_and_b32_e32 v115, 0xff, v14
	v_perm_b32 v85, v96, v70, 0x3020104
	v_cndmask_b32_e32 v6, v6, v82, vcc_lo
	v_and_b32_e32 v82, 0xff, v118
	v_cndmask_b32_e32 v130, v7, v113, vcc_lo
	v_lshrrev_b16 v83, 11, v83
	v_or_b32_sdwa v84, v116, v84 dst_sel:WORD_1 dst_unused:UNUSED_PAD src0_sel:DWORD src1_sel:DWORD
	v_or_b32_e32 v116, v115, v119
	v_mul_lo_u16 v82, 0xcd, v82
	v_cndmask_b32_e32 v7, v113, v7, vcc_lo
	v_and_b32_e32 v113, 0xff, v134
	v_and_or_b32 v84, 0xffff, v6, v84
	v_and_b32_e32 v116, 0xffff, v116
	v_lshrrev_b16 v82, 11, v82
	v_and_b32_e32 v119, 0xff, v0
	v_cmp_lt_u16_e32 vcc_lo, v83, v82
	v_mul_lo_u16 v82, 0xcd, v115
	v_mul_lo_u16 v83, 0xcd, v113
	v_and_b32_e32 v115, 0xff, v71
	v_cndmask_b32_e32 v6, v6, v84, vcc_lo
	v_and_or_b32 v84, 0xffff0000, v13, v116
	v_lshrrev_b16 v82, 11, v82
	v_lshrrev_b16 v83, 11, v83
	v_and_b32_e32 v116, 0xff, v129
	v_cndmask_b32_e32 v113, v101, v118, vcc_lo
	v_cndmask_b32_e32 v101, v118, v101, vcc_lo
	v_lshlrev_b16 v118, 8, v129
	v_cmp_lt_u16_e32 vcc_lo, v82, v83
	v_mul_lo_u16 v82, 0xcd, v115
	v_mul_lo_u16 v83, 0xcd, v116
	v_and_b32_e32 v116, 0xff, v102
	v_cndmask_b32_e32 v13, v13, v84, vcc_lo
	v_or_b32_sdwa v84, v115, v118 dst_sel:WORD_1 dst_unused:UNUSED_PAD src0_sel:DWORD src1_sel:DWORD
	v_lshrrev_b16 v82, 11, v82
	v_lshrrev_b16 v83, 11, v83
	v_cndmask_b32_e32 v115, v14, v134, vcc_lo
	v_cndmask_b32_e32 v14, v134, v14, vcc_lo
	v_and_or_b32 v84, 0xffff, v13, v84
	v_mul_lo_u16 v116, 0xcd, v116
	v_cmp_lt_u16_e32 vcc_lo, v82, v83
	v_and_b32_e32 v82, 0xff, v97
	v_lshlrev_b16 v134, 8, v147
	v_perm_b32 v83, v112, v6, 0x3020104
	v_cndmask_b32_e32 v13, v13, v84, vcc_lo
	v_lshrrev_b16 v84, 11, v103
	v_lshrrev_b16 v103, 11, v116
	v_mul_lo_u16 v118, 0xcd, v82
	v_cndmask_b32_e32 v116, v71, v129, vcc_lo
	v_cndmask_b32_e32 v71, v129, v71, vcc_lo
	v_cmp_lt_u16_e64 s4, v84, v103
	v_lshrrev_b16 v103, 11, v118
	v_or_b32_e32 v118, v119, v134
	v_mul_lo_u16 v119, 0xcd, v119
	v_lshlrev_b16 v134, 8, v3
	v_cndmask_b32_e64 v84, v114, v131, s4
	v_and_b32_e32 v114, 0xff, v147
	v_and_b32_e32 v131, 0xff, v3
	v_and_b32_e32 v118, 0xffff, v118
	v_lshrrev_b16 v119, 11, v119
	v_or_b32_sdwa v82, v82, v134 dst_sel:WORD_1 dst_unused:UNUSED_PAD src0_sel:DWORD src1_sel:DWORD
	v_mul_lo_u16 v114, 0xcd, v114
	v_mul_lo_u16 v131, 0xcd, v131
	v_and_or_b32 v118, 0xffff0000, v128, v118
	v_and_b32_e32 v134, 0xff, v8
	v_and_or_b32 v82, 0xffff, v84, v82
	v_lshrrev_b16 v114, 11, v114
	v_lshrrev_b16 v131, 11, v131
	v_lshlrev_b16 v148, 8, v71
	v_cmp_lt_u16_e32 vcc_lo, v119, v114
	v_cmp_lt_u16_e64 s5, v103, v131
	v_cndmask_b32_e64 v103, v117, v102, s4
	v_cndmask_b32_e64 v102, v102, v117, s4
	v_lshlrev_b16 v119, 8, v133
	v_cndmask_b32_e32 v114, v128, v118, vcc_lo
	v_cndmask_b32_e64 v82, v84, v82, s5
	v_and_b32_e32 v118, 0xff, v133
	v_cndmask_b32_e64 v117, v97, v3, s5
	v_cndmask_b32_e64 v3, v3, v97, s5
	v_lshrrev_b32_e32 v84, 24, v114
	v_cndmask_b32_e32 v128, v0, v147, vcc_lo
	v_mul_lo_u16 v118, 0xcd, v118
	v_cndmask_b32_e32 v129, v147, v0, vcc_lo
	v_and_b32_e32 v131, 0xff, v81
	v_mul_lo_u16 v97, 0xcd, v84
	v_or_b32_sdwa v119, v84, v119 dst_sel:WORD_1 dst_unused:UNUSED_PAD src0_sel:DWORD src1_sel:DWORD
	v_lshrrev_b16 v118, 11, v118
	v_lshlrev_b16 v147, 8, v2
	v_lshrrev_b16 v0, 11, v97
	v_lshlrev_b16 v97, 8, v81
	v_and_or_b32 v119, 0xffff, v114, v119
	v_cmp_lt_u16_e32 vcc_lo, v0, v118
	v_or_b32_sdwa v97, v86, v97 dst_sel:DWORD dst_unused:UNUSED_PAD src0_sel:BYTE_0 src1_sel:DWORD
	v_mul_lo_u16 v0, 0xcd, v131
	v_perm_b32 v131, v8, v86, 0xc0c0304
	v_perm_b32 v118, v116, v82, 0x3020104
	v_cndmask_b32_e32 v114, v114, v119, vcc_lo
	v_mul_lo_u16 v119, 0xcd, v134
	v_and_b32_e32 v97, 0xffff, v97
	v_lshrrev_b16 v134, 11, v0
	v_cndmask_b32_e32 v0, v84, v133, vcc_lo
	v_cndmask_b32_e32 v84, v133, v84, vcc_lo
	v_lshrrev_b16 v119, 11, v119
	v_lshl_or_b32 v97, v131, 16, v97
	v_mul_lo_u16 v131, 0xcd, v144
	v_mul_lo_u16 v144, 0xcd, v146
	v_lshlrev_b16 v146, 8, v69
	v_cmp_lt_u16_e64 s4, v134, v119
	v_lshlrev_b16 v134, 8, v68
	v_lshrrev_b16 v119, 11, v144
	v_cndmask_b32_e64 v86, v86, v97, s4
	v_lshrrev_b16 v97, 11, v131
	v_perm_b32 v131, v132, v67, 0x3020104
	v_cndmask_b32_e64 v144, v81, v8, s4
	v_cndmask_b32_e64 v8, v8, v81, s4
	v_and_b32_sdwa v133, v86, v1 dst_sel:DWORD dst_unused:UNUSED_PAD src0_sel:WORD_1 src1_sel:DWORD
	v_cmp_lt_u16_e32 vcc_lo, v97, v119
	v_and_b32_e32 v97, 0xff, v12
	v_and_b32_e32 v119, 0xff, v96
	v_or_b32_sdwa v81, v133, v134 dst_sel:WORD_1 dst_unused:UNUSED_PAD src0_sel:DWORD src1_sel:DWORD
	v_cndmask_b32_e32 v67, v67, v131, vcc_lo
	v_mul_lo_u16 v97, 0xcd, v97
	v_mul_lo_u16 v119, 0xcd, v119
	v_and_b32_e32 v133, 0xff, v145
	v_and_b32_e32 v134, 0xff, v69
	v_and_b32_sdwa v131, v67, v10 dst_sel:DWORD dst_unused:UNUSED_PAD src0_sel:WORD_1 src1_sel:DWORD
	v_lshrrev_b16 v97, 11, v97
	v_lshrrev_b16 v119, 11, v119
	v_and_or_b32 v81, 0xffff, v86, v81
	v_mul_lo_u16 v134, 0xcd, v134
	v_or_b32_sdwa v131, v133, v131 dst_sel:WORD_1 dst_unused:UNUSED_PAD src0_sel:DWORD src1_sel:DWORD
	v_cmp_lt_u16_e64 s4, v97, v119
	v_mul_lo_u16 v97, 0xcd, v133
	v_lshrrev_b16 v134, 11, v134
	v_or_b32_sdwa v119, v67, v146 dst_sel:DWORD dst_unused:UNUSED_PAD src0_sel:BYTE_0 src1_sel:DWORD
	v_and_b32_e32 v133, 0xff, v9
	v_cndmask_b32_e64 v70, v70, v85, s4
	v_lshlrev_b16 v85, 8, v9
	v_and_b32_e32 v146, 0xff, v135
	v_lshrrev_b16 v97, 11, v97
	v_or_b32_sdwa v119, v119, v131 dst_sel:DWORD dst_unused:UNUSED_PAD src0_sel:WORD_0 src1_sel:DWORD
	v_mul_lo_u16 v131, 0xcd, v133
	v_or_b32_sdwa v85, v70, v85 dst_sel:DWORD dst_unused:UNUSED_PAD src0_sel:BYTE_0 src1_sel:DWORD
	v_mul_lo_u16 v133, 0xcd, v146
	v_cmp_lt_u16_e64 s5, v134, v97
	v_perm_b32 v146, v135, v70, 0xc0c0304
	v_lshrrev_b16 v97, 11, v131
	v_and_b32_e32 v85, 0xffff, v85
	v_cndmask_b32_e32 v81, v86, v81, vcc_lo
	v_cndmask_b32_e64 v67, v67, v119, s5
	v_lshrrev_b16 v119, 11, v133
	v_cndmask_b32_e32 v86, v68, v132, vcc_lo
	v_lshl_or_b32 v85, v146, 16, v85
	v_cndmask_b32_e32 v68, v132, v68, vcc_lo
	v_and_b32_sdwa v131, v67, v1 dst_sel:DWORD dst_unused:UNUSED_PAD src0_sel:WORD_1 src1_sel:DWORD
	v_cmp_lt_u16_e32 vcc_lo, v97, v119
	v_and_b32_e32 v119, 0xff, v99
	v_lshlrev_b16 v97, 8, v12
	v_lshlrev_b16 v146, 8, v98
	v_and_b32_e32 v133, 0xff, v8
	v_cndmask_b32_e32 v70, v70, v85, vcc_lo
	v_and_b32_e32 v85, 0xff, v98
	v_mul_lo_u16 v119, 0xcd, v119
	v_or_b32_sdwa v97, v131, v97 dst_sel:WORD_1 dst_unused:UNUSED_PAD src0_sel:DWORD src1_sel:DWORD
	v_cndmask_b32_e64 v132, v69, v145, s5
	v_and_b32_sdwa v134, v70, v1 dst_sel:DWORD dst_unused:UNUSED_PAD src0_sel:WORD_1 src1_sel:DWORD
	v_mul_lo_u16 v85, 0xcd, v85
	v_lshrrev_b16 v119, 11, v119
	v_and_or_b32 v97, 0xffff, v67, v97
	v_cndmask_b32_e64 v69, v145, v69, s5
	v_or_b32_sdwa v131, v134, v146 dst_sel:WORD_1 dst_unused:UNUSED_PAD src0_sel:DWORD src1_sel:DWORD
	v_lshrrev_b16 v85, 11, v85
	v_or_b32_e32 v134, v133, v147
	v_perm_b32 v146, v99, v80, 0x3020104
	v_and_b32_e32 v145, 0xff, v100
	v_and_or_b32 v131, 0xffff, v70, v131
	v_cmp_lt_u16_e64 s6, v85, v119
	v_and_b32_e32 v85, 0xffff, v134
	v_and_b32_e32 v134, 0xff, v112
	v_cndmask_b32_e64 v67, v67, v97, s4
	v_cndmask_b32_e64 v97, v12, v96, s4
	;; [unrolled: 1-line block ×4, first 2 shown]
	v_and_b32_e32 v131, 0xff, v7
	v_and_b32_e32 v146, 0xff, v87
	v_mul_lo_u16 v134, 0xcd, v134
	v_cndmask_b32_e64 v12, v96, v12, s4
	v_and_b32_sdwa v119, v80, v10 dst_sel:DWORD dst_unused:UNUSED_PAD src0_sel:WORD_1 src1_sel:DWORD
	v_mul_lo_u16 v131, 0xcd, v131
	v_cndmask_b32_e32 v96, v9, v135, vcc_lo
	v_cndmask_b32_e32 v9, v135, v9, vcc_lo
	v_mul_lo_u16 v135, 0xcd, v146
	v_or_b32_sdwa v119, v145, v119 dst_sel:WORD_1 dst_unused:UNUSED_PAD src0_sel:DWORD src1_sel:DWORD
	v_lshlrev_b16 v146, 8, v87
	v_lshrrev_b16 v131, 11, v131
	v_lshrrev_b16 v134, 11, v134
	v_mul_lo_u16 v145, 0xcd, v145
	v_lshrrev_b16 v135, 11, v135
	v_or_b32_sdwa v146, v80, v146 dst_sel:DWORD dst_unused:UNUSED_PAD src0_sel:BYTE_0 src1_sel:DWORD
	v_cndmask_b32_e64 v147, v98, v99, s6
	v_cmp_lt_u16_e32 vcc_lo, v131, v134
	v_lshrrev_b16 v131, 11, v145
	v_and_b32_e32 v134, 0xff, v101
	v_or_b32_sdwa v119, v146, v119 dst_sel:DWORD dst_unused:UNUSED_PAD src0_sel:WORD_0 src1_sel:DWORD
	v_and_b32_e32 v145, 0xff, v130
	v_cndmask_b32_e32 v6, v6, v83, vcc_lo
	v_lshlrev_b16 v83, 8, v101
	v_cmp_lt_u16_e64 s4, v135, v131
	v_cndmask_b32_e64 v98, v99, v98, s6
	v_mul_lo_u16 v131, 0xcd, v145
	v_lshlrev_b16 v135, 8, v97
	v_or_b32_sdwa v83, v6, v83 dst_sel:DWORD dst_unused:UNUSED_PAD src0_sel:BYTE_0 src1_sel:DWORD
	v_cndmask_b32_e64 v80, v80, v119, s4
	v_mul_lo_u16 v119, 0xcd, v134
	v_perm_b32 v134, v130, v6, 0xc0c0304
	v_lshrrev_b16 v131, 11, v131
	v_and_b32_e32 v83, 0xffff, v83
	v_and_b32_sdwa v99, v80, v1 dst_sel:DWORD dst_unused:UNUSED_PAD src0_sel:WORD_1 src1_sel:DWORD
	v_lshrrev_b16 v119, 11, v119
	v_lshlrev_b16 v146, 8, v14
	v_and_or_b32 v85, 0xffff0000, v81, v85
	v_lshl_or_b32 v83, v134, 16, v83
	v_cndmask_b32_e64 v134, v87, v100, s4
	v_cndmask_b32_e64 v87, v100, v87, s4
	v_cmp_lt_u16_e64 s4, v119, v131
	v_lshlrev_b16 v100, 8, v7
	v_and_b32_e32 v119, 0xff, v9
	v_and_b32_e32 v131, 0xff, v113
	v_lshlrev_b16 v150, 8, v86
	v_cndmask_b32_e64 v6, v6, v83, s4
	v_and_b32_e32 v83, 0xff, v14
	v_or_b32_sdwa v99, v99, v100 dst_sel:WORD_1 dst_unused:UNUSED_PAD src0_sel:DWORD src1_sel:DWORD
	v_mul_lo_u16 v131, 0xcd, v131
	v_or_b32_e32 v100, v119, v135
	v_and_b32_sdwa v145, v6, v1 dst_sel:DWORD dst_unused:UNUSED_PAD src0_sel:WORD_1 src1_sel:DWORD
	v_mul_lo_u16 v83, 0xcd, v83
	v_and_or_b32 v99, 0xffff, v80, v99
	v_lshrrev_b16 v131, 11, v131
	v_and_b32_e32 v100, 0xffff, v100
	v_or_b32_sdwa v135, v145, v146 dst_sel:WORD_1 dst_unused:UNUSED_PAD src0_sel:DWORD src1_sel:DWORD
	v_lshrrev_b16 v83, 11, v83
	v_cndmask_b32_e32 v80, v80, v99, vcc_lo
	v_cndmask_b32_e32 v99, v7, v112, vcc_lo
	;; [unrolled: 1-line block ×3, first 2 shown]
	v_and_b32_e32 v112, 0xff, v116
	v_cmp_lt_u16_e64 s5, v83, v131
	v_and_or_b32 v83, 0xffff0000, v70, v100
	v_and_b32_e32 v100, 0xff, v102
	v_perm_b32 v145, v113, v13, 0x3020104
	v_mul_lo_u16 v112, 0xcd, v112
	v_and_or_b32 v135, 0xffff, v6, v135
	v_and_b32_e32 v146, 0xff, v115
	v_mul_lo_u16 v100, 0xcd, v100
	v_cndmask_b32_e64 v13, v13, v145, s5
	v_and_b32_e32 v145, 0xff, v71
	v_lshrrev_b16 v112, 11, v112
	v_cndmask_b32_e64 v6, v6, v135, s5
	v_lshrrev_b16 v100, 11, v100
	v_cndmask_b32_e64 v131, v101, v130, s4
	v_and_b32_sdwa v135, v13, v10 dst_sel:DWORD dst_unused:UNUSED_PAD src0_sel:WORD_1 src1_sel:DWORD
	v_cndmask_b32_e64 v101, v130, v101, s4
	v_mul_lo_u16 v130, 0xcd, v145
	v_cmp_lt_u16_e32 vcc_lo, v100, v112
	v_mul_lo_u16 v112, 0xcd, v146
	v_or_b32_sdwa v135, v146, v135 dst_sel:WORD_1 dst_unused:UNUSED_PAD src0_sel:DWORD src1_sel:DWORD
	v_lshlrev_b16 v100, 8, v3
	v_lshrrev_b16 v130, 11, v130
	v_cndmask_b32_e32 v82, v82, v118, vcc_lo
	v_or_b32_sdwa v118, v13, v148 dst_sel:DWORD dst_unused:UNUSED_PAD src0_sel:BYTE_0 src1_sel:DWORD
	v_and_b32_e32 v146, 0xff, v3
	v_and_b32_e32 v148, 0xff, v103
	v_lshrrev_b16 v112, 11, v112
	v_or_b32_sdwa v100, v82, v100 dst_sel:DWORD dst_unused:UNUSED_PAD src0_sel:BYTE_0 src1_sel:DWORD
	v_or_b32_sdwa v118, v118, v135 dst_sel:DWORD dst_unused:UNUSED_PAD src0_sel:WORD_0 src1_sel:DWORD
	v_mul_lo_u16 v135, 0xcd, v146
	v_mul_lo_u16 v146, 0xcd, v148
	v_cmp_lt_u16_e64 s4, v130, v112
	v_and_b32_e32 v100, 0xffff, v100
	v_perm_b32 v148, v103, v82, 0xc0c0304
	v_lshrrev_b16 v112, 11, v135
	v_cndmask_b32_e64 v145, v14, v113, s5
	v_cndmask_b32_e64 v13, v13, v118, s4
	v_lshrrev_b16 v118, 11, v146
	v_lshl_or_b32 v100, v148, 16, v100
	v_cndmask_b32_e64 v14, v113, v14, s5
	v_lshlrev_b16 v148, 8, v129
	v_and_b32_sdwa v113, v13, v1 dst_sel:DWORD dst_unused:UNUSED_PAD src0_sel:WORD_1 src1_sel:DWORD
	v_cmp_lt_u16_e64 s5, v112, v118
	v_and_b32_e32 v118, 0xff, v117
	v_lshlrev_b16 v112, 8, v102
	v_and_b32_e32 v135, 0xff, v101
	v_lshlrev_b16 v149, 8, v99
	v_cndmask_b32_e64 v82, v82, v100, s5
	v_and_b32_e32 v100, 0xff, v129
	v_mul_lo_u16 v118, 0xcd, v118
	v_or_b32_sdwa v112, v113, v112 dst_sel:WORD_1 dst_unused:UNUSED_PAD src0_sel:DWORD src1_sel:DWORD
	v_cndmask_b32_e64 v130, v71, v115, s4
	v_and_b32_sdwa v146, v82, v1 dst_sel:DWORD dst_unused:UNUSED_PAD src0_sel:WORD_1 src1_sel:DWORD
	v_mul_lo_u16 v100, 0xcd, v100
	v_lshrrev_b16 v118, 11, v118
	v_and_or_b32 v112, 0xffff, v13, v112
	v_cndmask_b32_e64 v71, v115, v71, s4
	v_or_b32_sdwa v113, v146, v148 dst_sel:WORD_1 dst_unused:UNUSED_PAD src0_sel:DWORD src1_sel:DWORD
	v_lshrrev_b16 v100, 11, v100
	v_perm_b32 v148, v117, v114, 0x3020104
	v_or_b32_e32 v146, v135, v149
	v_cndmask_b32_e32 v13, v13, v112, vcc_lo
	v_and_or_b32 v113, 0xffff, v82, v113
	v_cmp_lt_u16_e64 s6, v100, v118
	v_and_b32_e32 v118, 0xff, v84
	v_and_b32_e32 v100, 0xffff, v146
	v_mul_lo_u16 v119, 0xcd, v119
	v_cndmask_b32_e64 v82, v82, v113, s6
	v_cndmask_b32_e64 v112, v114, v148, s6
	v_cndmask_b32_e32 v113, v102, v116, vcc_lo
	v_cndmask_b32_e64 v114, v103, v3, s5
	v_cndmask_b32_e32 v102, v116, v102, vcc_lo
	v_and_b32_e32 v116, 0xff, v128
	v_and_b32_sdwa v115, v112, v10 dst_sel:DWORD dst_unused:UNUSED_PAD src0_sel:WORD_1 src1_sel:DWORD
	v_cndmask_b32_e64 v103, v3, v103, s5
	v_and_b32_e32 v146, 0xff, v114
	v_lshlrev_b16 v3, 8, v113
	v_mul_lo_u16 v118, 0xcd, v118
	v_or_b32_sdwa v115, v116, v115 dst_sel:WORD_1 dst_unused:UNUSED_PAD src0_sel:DWORD src1_sel:DWORD
	v_mul_lo_u16 v116, 0xcd, v116
	v_lshlrev_b16 v148, 8, v84
	v_or_b32_e32 v3, v146, v3
	v_cndmask_b32_e64 v149, v129, v117, s6
	v_lshrrev_b16 v118, 11, v118
	v_lshrrev_b16 v116, 11, v116
	v_cndmask_b32_e64 v117, v117, v129, s6
	v_and_b32_e32 v3, 0xffff, v3
	v_and_b32_e32 v129, 0xff, v2
	v_or_b32_sdwa v148, v112, v148 dst_sel:DWORD dst_unused:UNUSED_PAD src0_sel:BYTE_0 src1_sel:DWORD
	v_cmp_lt_u16_e32 vcc_lo, v118, v116
	v_and_or_b32 v100, 0xffff0000, v6, v100
	v_and_or_b32 v116, 0xffff0000, v82, v3
	v_mul_lo_u16 v3, 0xcd, v133
	v_mul_lo_u16 v118, 0xcd, v129
	v_or_b32_sdwa v115, v148, v115 dst_sel:DWORD dst_unused:UNUSED_PAD src0_sel:WORD_0 src1_sel:DWORD
	v_and_b32_e32 v129, 0xff, v144
	v_lshlrev_b16 v133, 8, v144
	v_lshrrev_b16 v3, 11, v3
	v_lshrrev_b16 v118, 11, v118
	v_cndmask_b32_e32 v112, v112, v115, vcc_lo
	v_cndmask_b32_e32 v115, v84, v128, vcc_lo
	;; [unrolled: 1-line block ×3, first 2 shown]
	v_and_b32_e32 v128, 0xff, v68
	v_cmp_lt_u16_e32 vcc_lo, v3, v118
	v_mul_lo_u16 v118, 0xcd, v129
	v_and_b32_e32 v148, 0xff, v69
	v_cndmask_b32_e32 v81, v81, v85, vcc_lo
	v_mul_lo_u16 v85, 0xcd, v128
	v_cndmask_b32_e32 v3, v2, v8, vcc_lo
	v_lshrrev_b16 v118, 11, v118
	v_cndmask_b32_e32 v2, v8, v2, vcc_lo
	v_and_b32_e32 v8, 0xff, v86
	v_lshrrev_b16 v85, 11, v85
	v_or_b32_e32 v129, v148, v150
	v_or_b32_sdwa v128, v128, v133 dst_sel:WORD_1 dst_unused:UNUSED_PAD src0_sel:DWORD src1_sel:DWORD
	v_and_b32_e32 v133, 0xff, v132
	v_mul_lo_u16 v8, 0xcd, v8
	v_cmp_lt_u16_e32 vcc_lo, v85, v118
	v_mul_lo_u16 v118, 0xcd, v148
	v_and_b32_e32 v129, 0xffff, v129
	v_and_or_b32 v128, 0xffff, v81, v128
	v_lshrrev_b16 v8, 11, v8
	v_mul_lo_u16 v133, 0xcd, v133
	v_lshrrev_b16 v118, 11, v118
	v_and_or_b32 v85, 0xffff0000, v67, v129
	v_cndmask_b32_e32 v81, v81, v128, vcc_lo
	v_cndmask_b32_e32 v128, v68, v144, vcc_lo
	v_and_b32_e32 v129, 0xff, v12
	v_cndmask_b32_e32 v68, v144, v68, vcc_lo
	v_cmp_lt_u16_e32 vcc_lo, v118, v8
	v_lshlrev_b16 v148, 8, v132
	v_mul_lo_u16 v144, 0xcd, v129
	v_cndmask_b32_e32 v8, v67, v85, vcc_lo
	v_and_b32_e32 v85, 0xff, v97
	v_or_b32_sdwa v118, v129, v148 dst_sel:WORD_1 dst_unused:UNUSED_PAD src0_sel:DWORD src1_sel:DWORD
	v_lshrrev_b16 v67, 11, v144
	v_lshrrev_b16 v129, 11, v133
	v_cndmask_b32_e32 v133, v69, v86, vcc_lo
	v_mul_lo_u16 v85, 0xcd, v85
	v_and_or_b32 v118, 0xffff, v8, v118
	v_and_b32_e32 v144, 0xff, v149
	v_cmp_lt_u16_e64 s4, v67, v129
	v_cndmask_b32_e32 v67, v86, v69, vcc_lo
	v_lshrrev_b16 v69, 11, v119
	v_lshrrev_b16 v85, 11, v85
	v_and_b32_e32 v119, 0xff, v87
	v_cndmask_b32_e64 v8, v8, v118, s4
	v_and_b32_e32 v118, 0xff, v98
	v_cndmask_b32_e64 v86, v12, v132, s4
	v_cmp_lt_u16_e32 vcc_lo, v69, v85
	v_cndmask_b32_e64 v12, v132, v12, s4
	v_lshlrev_b16 v85, 8, v96
	v_lshlrev_b16 v129, 8, v147
	v_cndmask_b32_e32 v69, v70, v83, vcc_lo
	v_and_b32_e32 v70, 0xff, v96
	v_mul_lo_u16 v83, 0xcd, v118
	v_cndmask_b32_e32 v132, v9, v97, vcc_lo
	v_cndmask_b32_e32 v9, v97, v9, vcc_lo
	v_and_b32_e32 v97, 0xff, v147
	v_mul_lo_u16 v70, 0xcd, v70
	v_lshrrev_b16 v83, 11, v83
	v_or_b32_sdwa v85, v118, v85 dst_sel:WORD_1 dst_unused:UNUSED_PAD src0_sel:DWORD src1_sel:DWORD
	v_or_b32_e32 v118, v119, v129
	v_and_b32_e32 v129, 0xff, v71
	v_lshrrev_b16 v70, 11, v70
	v_and_or_b32 v85, 0xffff, v69, v85
	v_and_b32_e32 v118, 0xffff, v118
	v_cmp_lt_u16_e32 vcc_lo, v83, v70
	v_mul_lo_u16 v70, 0xcd, v119
	v_mul_lo_u16 v83, 0xcd, v97
	v_lshlrev_b16 v119, 8, v134
	v_cndmask_b32_e32 v69, v69, v85, vcc_lo
	v_lshrrev_b16 v70, 11, v70
	v_lshrrev_b16 v83, 11, v83
	v_and_or_b32 v85, 0xffff0000, v80, v118
	v_cndmask_b32_e32 v97, v98, v96, vcc_lo
	v_cndmask_b32_e32 v96, v96, v98, vcc_lo
	v_and_b32_e32 v98, 0xff, v7
	v_and_b32_e32 v118, 0xff, v134
	v_cmp_lt_u16_e32 vcc_lo, v70, v83
	v_mul_lo_u16 v83, 0xcd, v118
	v_cndmask_b32_e32 v70, v80, v85, vcc_lo
	v_mul_lo_u16 v80, 0xcd, v98
	v_and_b32_e32 v118, 0xff, v99
	v_or_b32_sdwa v85, v98, v119 dst_sel:WORD_1 dst_unused:UNUSED_PAD src0_sel:DWORD src1_sel:DWORD
	v_lshrrev_b16 v83, 11, v83
	v_mul_lo_u16 v119, 0xcd, v135
	v_lshrrev_b16 v80, 11, v80
	v_mul_lo_u16 v118, 0xcd, v118
	v_cndmask_b32_e32 v98, v87, v147, vcc_lo
	v_and_or_b32 v85, 0xffff, v70, v85
	v_cndmask_b32_e32 v87, v147, v87, vcc_lo
	v_cmp_lt_u16_e32 vcc_lo, v80, v83
	v_lshrrev_b16 v80, 11, v119
	v_lshrrev_b16 v83, 11, v118
	v_and_b32_e32 v119, 0xff, v14
	v_lshlrev_b16 v135, 8, v130
	v_cndmask_b32_e32 v70, v70, v85, vcc_lo
	v_cndmask_b32_e32 v118, v7, v134, vcc_lo
	;; [unrolled: 1-line block ×3, first 2 shown]
	v_cmp_lt_u16_e32 vcc_lo, v80, v83
	v_and_b32_e32 v80, 0xff, v131
	v_lshlrev_b16 v83, 8, v131
	v_lshlrev_b16 v134, 8, v145
	v_perm_b32 v85, v86, v69, 0x3020104
	v_cndmask_b32_e32 v6, v6, v100, vcc_lo
	v_mul_lo_u16 v100, 0xcd, v119
	v_mul_lo_u16 v80, 0xcd, v80
	v_or_b32_sdwa v83, v119, v83 dst_sel:WORD_1 dst_unused:UNUSED_PAD src0_sel:DWORD src1_sel:DWORD
	v_cndmask_b32_e32 v119, v101, v99, vcc_lo
	v_cndmask_b32_e32 v99, v99, v101, vcc_lo
	v_lshrrev_b16 v100, 11, v100
	v_lshrrev_b16 v80, 11, v80
	v_and_or_b32 v83, 0xffff, v6, v83
	v_and_b32_e32 v101, 0xff, v145
	v_or_b32_e32 v134, v129, v134
	v_and_b32_e32 v86, 0xff, v86
	v_cmp_lt_u16_e32 vcc_lo, v100, v80
	v_and_b32_e32 v98, 0xff, v98
	v_and_b32_e32 v134, 0xffff, v134
	v_mul_lo_u16 v86, 0xcd, v86
	v_cndmask_b32_e32 v80, v6, v83, vcc_lo
	v_mul_lo_u16 v6, 0xcd, v129
	v_mul_lo_u16 v83, 0xcd, v101
	v_and_or_b32 v100, 0xffff0000, v13, v134
	v_and_b32_e32 v101, 0xff, v102
	v_cndmask_b32_e32 v129, v14, v131, vcc_lo
	v_lshrrev_b16 v6, 11, v6
	v_lshrrev_b16 v83, 11, v83
	v_cndmask_b32_e32 v14, v131, v14, vcc_lo
	v_mul_lo_u16 v131, 0xcd, v101
	v_and_b32_e32 v134, 0xff, v130
	v_or_b32_sdwa v101, v101, v135 dst_sel:WORD_1 dst_unused:UNUSED_PAD src0_sel:DWORD src1_sel:DWORD
	v_cmp_lt_u16_e32 vcc_lo, v6, v83
	v_lshlrev_b16 v135, 8, v149
	v_lshrrev_b16 v86, 11, v86
	v_mul_lo_u16 v83, 0xcd, v134
	v_cndmask_b32_e32 v6, v13, v100, vcc_lo
	v_and_b32_e32 v13, 0xff, v113
	v_lshrrev_b16 v100, 11, v131
	v_mul_lo_u16 v131, 0xcd, v146
	v_lshrrev_b16 v83, 11, v83
	v_cndmask_b32_e32 v134, v71, v145, vcc_lo
	v_mul_lo_u16 v13, 0xcd, v13
	v_and_or_b32 v101, 0xffff, v6, v101
	v_lshrrev_b16 v131, 11, v131
	v_cmp_lt_u16_e64 s4, v100, v83
	v_cndmask_b32_e32 v71, v145, v71, vcc_lo
	v_lshrrev_b16 v13, 11, v13
	v_and_b32_e32 v145, 0xff, v67
	v_and_b32_e32 v146, 0xff, v128
	v_cndmask_b32_e64 v83, v6, v101, s4
	v_cndmask_b32_e64 v101, v130, v102, s4
	v_cmp_lt_u16_e32 vcc_lo, v131, v13
	v_cndmask_b32_e64 v13, v102, v130, s4
	v_and_b32_e32 v6, 0xff, v117
	v_lshlrev_b16 v130, 8, v103
	v_and_b32_e32 v131, 0xff, v84
	v_cndmask_b32_e32 v102, v114, v113, vcc_lo
	v_cndmask_b32_e32 v113, v113, v114, vcc_lo
	v_and_b32_e32 v114, 0xff, v103
	v_cndmask_b32_e32 v82, v82, v116, vcc_lo
	v_mul_lo_u16 v116, 0xcd, v6
	v_or_b32_sdwa v6, v6, v130 dst_sel:WORD_1 dst_unused:UNUSED_PAD src0_sel:DWORD src1_sel:DWORD
	v_or_b32_e32 v130, v131, v135
	v_mul_lo_u16 v114, 0xcd, v114
	v_mul_lo_u16 v135, 0xcd, v144
	v_lshrrev_b16 v116, 11, v116
	v_and_or_b32 v6, 0xffff, v82, v6
	v_and_b32_e32 v130, 0xffff, v130
	v_lshrrev_b16 v114, 11, v114
	v_mul_lo_u16 v131, 0xcd, v131
	v_lshlrev_b16 v144, 8, v115
	v_lshlrev_b16 v67, 8, v67
	v_perm_b32 v100, v118, v80, 0x3020104
	v_cmp_lt_u16_e32 vcc_lo, v116, v114
	v_lshrrev_b16 v116, 11, v135
	v_and_b32_e32 v135, 0xff, v2
	v_lshrrev_b16 v114, 11, v131
	v_perm_b32 v2, v2, v81, 0xc0c0304
	v_cndmask_b32_e32 v82, v82, v6, vcc_lo
	v_and_or_b32 v6, 0xffff0000, v112, v130
	v_cndmask_b32_e32 v130, v117, v103, vcc_lo
	v_cndmask_b32_e32 v103, v103, v117, vcc_lo
	v_lshlrev_b16 v117, 8, v68
	v_and_b32_e32 v68, 0xff, v68
	v_mul_lo_u16 v135, 0xcd, v135
	v_cmp_lt_u16_e64 s4, v114, v116
	v_and_b32_e32 v131, 0xff, v0
	v_or_b32_sdwa v117, v81, v117 dst_sel:DWORD dst_unused:UNUSED_PAD src0_sel:BYTE_0 src1_sel:DWORD
	v_mul_lo_u16 v68, 0xcd, v68
	v_lshrrev_b16 v135, 11, v135
	v_cndmask_b32_e64 v6, v112, v6, s4
	v_and_b32_e32 v112, 0xff, v115
	v_and_b32_e32 v117, 0xffff, v117
	v_lshrrev_b16 v68, 11, v68
	v_mul_lo_u16 v114, 0xcd, v131
	v_or_b32_sdwa v131, v131, v144 dst_sel:WORD_1 dst_unused:UNUSED_PAD src0_sel:DWORD src1_sel:DWORD
	v_mul_lo_u16 v112, 0xcd, v112
	v_lshl_or_b32 v2, v2, 16, v117
	v_mul_lo_u16 v117, 0xcd, v145
	v_mul_lo_u16 v145, 0xcd, v146
	v_cmp_lt_u16_e32 vcc_lo, v68, v135
	v_lshrrev_b16 v114, 11, v114
	v_lshrrev_b16 v112, 11, v112
	;; [unrolled: 1-line block ×3, first 2 shown]
	v_perm_b32 v117, v128, v8, 0x3020104
	v_cndmask_b32_e32 v2, v81, v2, vcc_lo
	v_lshrrev_b16 v81, 11, v145
	v_cndmask_b32_e64 v116, v84, v149, s4
	v_cndmask_b32_e64 v84, v149, v84, s4
	v_and_or_b32 v128, 0xffff, v6, v131
	v_and_b32_sdwa v131, v2, v1 dst_sel:DWORD dst_unused:UNUSED_PAD src0_sel:WORD_1 src1_sel:DWORD
	v_cmp_lt_u16_e32 vcc_lo, v68, v81
	v_cmp_lt_u16_e64 s4, v114, v112
	v_and_b32_e32 v112, 0xff, v9
	v_and_b32_e32 v114, 0xff, v133
	v_lshlrev_b16 v9, 8, v9
	v_cndmask_b32_e32 v8, v8, v117, vcc_lo
	v_cndmask_b32_e64 v68, v6, v128, s4
	v_or_b32_sdwa v6, v131, v67 dst_sel:WORD_1 dst_unused:UNUSED_PAD src0_sel:DWORD src1_sel:DWORD
	v_and_b32_e32 v117, 0xff, v12
	v_mul_lo_u16 v112, 0xcd, v112
	v_and_b32_sdwa v67, v8, v10 dst_sel:DWORD dst_unused:UNUSED_PAD src0_sel:WORD_1 src1_sel:DWORD
	v_lshlrev_b16 v12, 8, v12
	v_and_or_b32 v6, 0xffff, v2, v6
	v_mul_lo_u16 v117, 0xcd, v117
	v_lshrrev_b16 v112, 11, v112
	v_or_b32_sdwa v67, v114, v67 dst_sel:WORD_1 dst_unused:UNUSED_PAD src0_sel:DWORD src1_sel:DWORD
	v_mul_lo_u16 v114, 0xcd, v114
	v_cndmask_b32_e32 v2, v2, v6, vcc_lo
	v_lshrrev_b16 v6, 11, v117
	v_or_b32_sdwa v12, v8, v12 dst_sel:DWORD dst_unused:UNUSED_PAD src0_sel:BYTE_0 src1_sel:DWORD
	v_cmp_lt_u16_e32 vcc_lo, v112, v86
	v_lshrrev_b16 v86, 11, v114
	v_and_b32_e32 v112, 0xff, v97
	v_and_b32_e32 v114, 0xff, v99
	v_or_b32_sdwa v12, v12, v67 dst_sel:DWORD dst_unused:UNUSED_PAD src0_sel:WORD_0 src1_sel:DWORD
	v_cndmask_b32_e32 v69, v69, v85, vcc_lo
	v_lshlrev_b16 v85, 8, v96
	v_and_b32_e32 v67, 0xff, v96
	v_and_b32_e32 v96, 0xff, v132
	v_cmp_lt_u16_e64 s5, v6, v86
	v_mul_lo_u16 v112, 0xcd, v112
	v_or_b32_sdwa v85, v69, v85 dst_sel:DWORD dst_unused:UNUSED_PAD src0_sel:BYTE_0 src1_sel:DWORD
	v_mul_lo_u16 v6, 0xcd, v67
	v_perm_b32 v97, v97, v70, 0x3020104
	v_cndmask_b32_e64 v8, v8, v12, s5
	v_mul_lo_u16 v12, 0xcd, v96
	v_and_b32_e32 v67, 0xffff, v85
	v_perm_b32 v85, v132, v69, 0xc0c0304
	v_lshrrev_b16 v96, 11, v6
	v_and_b32_sdwa v86, v8, v1 dst_sel:DWORD dst_unused:UNUSED_PAD src0_sel:WORD_1 src1_sel:DWORD
	v_lshrrev_b16 v12, 11, v12
	v_cndmask_b32_e64 v6, v0, v115, s4
	v_lshl_or_b32 v67, v85, 16, v67
	v_cndmask_b32_e64 v0, v115, v0, s4
	v_or_b32_sdwa v9, v86, v9 dst_sel:WORD_1 dst_unused:UNUSED_PAD src0_sel:DWORD src1_sel:DWORD
	v_cmp_lt_u16_e64 s5, v96, v12
	v_and_b32_e32 v96, 0xff, v87
	v_lshlrev_b16 v87, 8, v87
	v_and_b32_e32 v115, 0xff, v118
	v_lshrrev_b16 v112, 11, v112
	v_cndmask_b32_e64 v12, v69, v67, s5
	v_mul_lo_u16 v96, 0xcd, v96
	v_perm_b32 v81, v13, v82, 0x3020104
	v_and_b32_e32 v13, 0xff, v13
	v_and_or_b32 v9, 0xffff, v8, v9
	v_and_b32_sdwa v86, v12, v1 dst_sel:DWORD dst_unused:UNUSED_PAD src0_sel:WORD_1 src1_sel:DWORD
	v_lshrrev_b16 v96, 11, v96
	v_lshrrev_b32_e32 v85, 8, v2
	v_mul_lo_u16 v13, 0xcd, v13
	v_cndmask_b32_e32 v8, v8, v9, vcc_lo
	v_or_b32_sdwa v86, v86, v87 dst_sel:WORD_1 dst_unused:UNUSED_PAD src0_sel:DWORD src1_sel:DWORD
	v_mul_lo_u16 v87, 0xcd, v114
	v_mul_lo_u16 v114, 0xcd, v115
	v_cmp_lt_u16_e64 s4, v96, v112
	v_lshrrev_b16 v13, 11, v13
	v_and_or_b32 v86, 0xffff, v12, v86
	v_lshrrev_b16 v87, 11, v87
	v_lshrrev_b16 v114, 11, v114
	v_cndmask_b32_e64 v70, v70, v97, s4
	v_and_b32_e32 v97, 0xff, v7
	v_cndmask_b32_e64 v86, v12, v86, s4
	v_lshlrev_b16 v7, 8, v7
	v_cmp_lt_u16_e64 s5, v87, v114
	v_and_b32_e32 v87, 0xff, v119
	v_and_b32_sdwa v96, v70, v10 dst_sel:DWORD dst_unused:UNUSED_PAD src0_sel:WORD_1 src1_sel:DWORD
	v_mul_lo_u16 v97, 0xcd, v97
	v_or_b32_sdwa v7, v70, v7 dst_sel:DWORD dst_unused:UNUSED_PAD src0_sel:BYTE_0 src1_sel:DWORD
	v_cndmask_b32_e64 v12, v80, v100, s5
	v_lshlrev_b16 v80, 8, v14
	v_and_b32_e32 v14, 0xff, v14
	v_mul_lo_u16 v87, 0xcd, v87
	v_or_b32_sdwa v96, v98, v96 dst_sel:WORD_1 dst_unused:UNUSED_PAD src0_sel:DWORD src1_sel:DWORD
	v_perm_b32 v100, v119, v12, 0xc0c0304
	v_or_b32_sdwa v80, v12, v80 dst_sel:DWORD dst_unused:UNUSED_PAD src0_sel:BYTE_0 src1_sel:DWORD
	v_mul_lo_u16 v14, 0xcd, v14
	v_lshrrev_b16 v87, 11, v87
	v_or_b32_sdwa v7, v7, v96 dst_sel:DWORD dst_unused:UNUSED_PAD src0_sel:WORD_0 src1_sel:DWORD
	v_and_b32_e32 v96, 0xff, v113
	v_and_b32_e32 v80, 0xffff, v80
	v_lshrrev_b16 v14, 11, v14
	v_lshrrev_b16 v97, 11, v97
	v_and_b32_e32 v67, 0xff, v85
	v_lshlrev_b16 v69, 8, v3
	v_lshl_or_b32 v80, v100, 16, v80
	v_cmp_lt_u16_e64 s4, v14, v87
	v_and_b32_e32 v14, 0xff, v71
	v_and_b32_e32 v87, 0xff, v129
	v_lshlrev_b16 v71, 8, v71
	v_or_b32_e32 v69, v67, v69
	v_cndmask_b32_e64 v12, v12, v80, s4
	v_mul_lo_u16 v14, 0xcd, v14
	v_mul_lo_u16 v87, 0xcd, v87
	;; [unrolled: 1-line block ×4, first 2 shown]
	v_and_b32_sdwa v98, v12, v1 dst_sel:DWORD dst_unused:UNUSED_PAD src0_sel:WORD_1 src1_sel:DWORD
	v_lshrrev_b16 v14, 11, v14
	v_lshrrev_b16 v87, 11, v87
	;; [unrolled: 1-line block ×3, first 2 shown]
	v_and_b32_e32 v69, 0xffff, v69
	v_or_b32_sdwa v71, v98, v71 dst_sel:WORD_1 dst_unused:UNUSED_PAD src0_sel:DWORD src1_sel:DWORD
	v_perm_b32 v98, v129, v83, 0x3020104
	v_cmp_lt_u16_e64 s4, v14, v87
	v_mul_lo_u16 v14, 0xcd, v96
	v_cmp_lt_u16_e64 s6, v97, v80
	v_and_or_b32 v71, 0xffff, v12, v71
	v_and_b32_e32 v80, 0xff, v134
	v_and_b32_e32 v87, 0xff, v101
	v_lshrrev_b16 v14, 11, v14
	v_cndmask_b32_e64 v7, v70, v7, s6
	v_cndmask_b32_e64 v70, v12, v71, s4
	;; [unrolled: 1-line block ×3, first 2 shown]
	v_and_b32_e32 v83, 0xff, v102
	v_cmp_lt_u16_e32 vcc_lo, v14, v13
	v_lshlrev_b16 v14, 8, v103
	v_mul_lo_u16 v87, 0xcd, v87
	v_and_b32_sdwa v71, v12, v10 dst_sel:DWORD dst_unused:UNUSED_PAD src0_sel:WORD_1 src1_sel:DWORD
	v_mul_lo_u16 v83, 0xcd, v83
	v_cndmask_b32_e32 v13, v82, v81, vcc_lo
	v_and_b32_e32 v82, 0xff, v103
	v_lshlrev_b16 v97, 8, v101
	v_or_b32_sdwa v71, v80, v71 dst_sel:WORD_1 dst_unused:UNUSED_PAD src0_sel:DWORD src1_sel:DWORD
	v_lshrrev_b16 v83, 11, v83
	v_or_b32_sdwa v14, v13, v14 dst_sel:DWORD dst_unused:UNUSED_PAD src0_sel:BYTE_0 src1_sel:DWORD
	v_mul_lo_u16 v82, 0xcd, v82
	v_perm_b32 v96, v102, v13, 0xc0c0304
	v_mul_lo_u16 v80, 0xcd, v80
	v_lshrrev_b16 v87, 11, v87
	v_and_b32_e32 v14, 0xffff, v14
	v_lshrrev_b16 v82, 11, v82
	v_and_b32_sdwa v9, v7, v1 dst_sel:DWORD dst_unused:UNUSED_PAD src0_sel:WORD_1 src1_sel:DWORD
	v_lshrrev_b16 v80, 11, v80
	v_lshlrev_b16 v81, 8, v99
	v_lshl_or_b32 v14, v96, 16, v14
	v_cmp_lt_u16_e64 s4, v82, v83
	v_or_b32_sdwa v96, v12, v97 dst_sel:DWORD dst_unused:UNUSED_PAD src0_sel:BYTE_0 src1_sel:DWORD
	v_and_b32_e32 v82, 0xff, v130
	v_or_b32_sdwa v9, v9, v81 dst_sel:WORD_1 dst_unused:UNUSED_PAD src0_sel:DWORD src1_sel:DWORD
	v_lshrrev_b16 v67, 11, v67
	v_cndmask_b32_e64 v13, v13, v14, s4
	v_and_b32_e32 v14, 0xff, v84
	v_or_b32_sdwa v71, v96, v71 dst_sel:DWORD dst_unused:UNUSED_PAD src0_sel:WORD_0 src1_sel:DWORD
	v_mul_lo_u16 v82, 0xcd, v82
	v_lshlrev_b16 v84, 8, v84
	v_and_b32_sdwa v83, v13, v1 dst_sel:DWORD dst_unused:UNUSED_PAD src0_sel:WORD_1 src1_sel:DWORD
	v_mul_lo_u16 v14, 0xcd, v14
	v_cmp_lt_u16_e64 s4, v87, v80
	v_lshrrev_b16 v80, 11, v82
	v_and_or_b32 v9, 0xffff, v7, v9
	v_lshlrev_b16 v82, 8, v113
	v_lshrrev_b16 v14, 11, v14
	v_cndmask_b32_e64 v12, v12, v71, s4
	v_or_b32_sdwa v71, v83, v84 dst_sel:WORD_1 dst_unused:UNUSED_PAD src0_sel:DWORD src1_sel:DWORD
	v_perm_b32 v83, v130, v68, 0x3020104
	v_and_or_b32 v69, 0xffff0000, v2, v69
	v_cmp_lt_u16_e64 s4, v14, v80
	v_and_b32_sdwa v81, v12, v1 dst_sel:DWORD dst_unused:UNUSED_PAD src0_sel:WORD_1 src1_sel:DWORD
	v_and_or_b32 v71, 0xffff, v13, v71
	v_perm_b32 v14, 0, v86, 0xc0c0001
	v_lshrrev_b32_e32 v84, 8, v8
	v_and_b32_e32 v99, 0xff, v86
	v_or_b32_sdwa v80, v81, v82 dst_sel:WORD_1 dst_unused:UNUSED_PAD src0_sel:DWORD src1_sel:DWORD
	v_cndmask_b32_e64 v71, v13, v71, s4
	v_cndmask_b32_e64 v13, v7, v9, s5
	v_perm_b32 v7, 0, v70, 0xc0c0001
	v_cndmask_b32_e64 v81, v68, v83, s4
	v_and_or_b32 v82, 0xffff0000, v86, v14
	v_and_or_b32 v9, 0xffff, v12, v80
	v_and_b32_e32 v68, 0xff, v116
	v_and_or_b32 v83, 0xffff0000, v70, v7
	v_and_b32_e32 v7, 0xff, v3
	v_and_b32_sdwa v14, v81, v10 dst_sel:DWORD dst_unused:UNUSED_PAD src0_sel:WORD_1 src1_sel:DWORD
	v_and_b32_e32 v80, 0xff, v0
	v_lshlrev_b16 v0, 8, v0
	v_cndmask_b32_e32 v9, v12, v9, vcc_lo
	v_mul_lo_u16 v7, 0xcd, v7
	v_or_b32_sdwa v12, v68, v14 dst_sel:WORD_1 dst_unused:UNUSED_PAD src0_sel:DWORD src1_sel:DWORD
	v_mul_lo_u16 v68, 0xcd, v68
	v_or_b32_sdwa v0, v81, v0 dst_sel:DWORD dst_unused:UNUSED_PAD src0_sel:BYTE_0 src1_sel:DWORD
	v_mul_lo_u16 v14, 0xcd, v80
	v_lshrrev_b16 v7, 11, v7
	v_perm_b32 v102, v13, v13, 0x7060405
	v_lshrrev_b16 v80, 11, v68
	v_or_b32_sdwa v0, v0, v12 dst_sel:DWORD dst_unused:UNUSED_PAD src0_sel:WORD_0 src1_sel:DWORD
	v_and_b32_e32 v12, 0xff, v8
	v_cmp_lt_u16_e32 vcc_lo, v67, v7
	v_perm_b32 v68, 0, v71, 0xc0c0001
	v_lshrrev_b16 v14, 11, v14
	v_and_b32_e32 v112, 0xff, v70
	v_mul_lo_u16 v12, 0xcd, v12
	v_cndmask_b32_e32 v7, v2, v69, vcc_lo
	v_and_b32_e32 v2, 0xff, v84
	v_and_or_b32 v69, 0xffff0000, v71, v68
	v_cmp_lt_u16_e64 s4, v14, v80
	v_lshrrev_b16 v12, 11, v12
	v_lshrrev_b64 v[67:68], 24, v[7:8]
	v_mul_lo_u16 v2, 0xcd, v2
	v_lshrrev_b32_e32 v87, 16, v7
	v_cndmask_b32_e64 v14, v81, v0, s4
	v_perm_b32 v81, v8, v8, 0x7060405
	v_and_b32_e32 v117, 0xff, v9
	v_lshrrev_b16 v80, 11, v2
	v_and_b32_e32 v68, 0xff, v67
	v_and_b32_e32 v96, 0xff, v87
	v_perm_b32 v0, 0, v87, 0xc0c0001
	v_cndmask_b32_e32 v2, v3, v85, vcc_lo
	v_cmp_lt_u16_e64 s4, v80, v12
	v_mul_lo_u16 v68, 0xcd, v68
	v_mul_lo_u16 v12, 0xcd, v96
	v_cndmask_b32_e32 v3, v85, v3, vcc_lo
	v_lshlrev_b32_e32 v0, 16, v0
	v_cndmask_b32_e64 v80, v8, v81, s4
	v_lshrrev_b16 v68, 11, v68
	v_lshrrev_b32_e32 v85, 8, v86
	v_lshrrev_b16 v12, 11, v12
	v_and_or_b32 v0, 0xffff, v7, v0
	v_lshrrev_b32_e32 v81, 16, v80
	v_lshrrev_b32_e32 v96, 24, v80
	v_and_b32_e32 v98, 0xff, v85
	v_cmp_lt_u16_e32 vcc_lo, v68, v12
	v_lshrrev_b32_e32 v119, 8, v71
	v_and_b32_e32 v97, 0xff, v81
	v_lshrrev_b32_e32 v130, 8, v14
	v_mul_lo_u16 v12, 0xcd, v98
	v_cndmask_b32_e32 v68, v7, v0, vcc_lo
	v_mul_lo_u16 v0, 0xcd, v96
	v_mul_lo_u16 v7, 0xcd, v97
	;; [unrolled: 1-line block ×3, first 2 shown]
	v_lshrrev_b16 v12, 11, v12
	v_cndmask_b32_e32 v98, v67, v87, vcc_lo
	v_lshrrev_b16 v0, 11, v0
	v_lshrrev_b16 v7, 11, v7
	;; [unrolled: 1-line block ×3, first 2 shown]
	v_cndmask_b32_e32 v67, v87, v67, vcc_lo
	v_perm_b32 v99, v80, v80, 0x6070504
	v_cndmask_b32_e64 v87, v84, v8, s4
	v_cmp_lt_u16_e32 vcc_lo, v0, v7
	v_cmp_lt_u16_e64 s5, v12, v97
	v_lshrrev_b32_e32 v0, 8, v13
	v_perm_b32 v134, v14, v14, 0x7060405
	v_and_b32_e32 v144, 0xff, v3
	v_cndmask_b32_e32 v80, v80, v99, vcc_lo
	v_cndmask_b32_e64 v12, v86, v82, s5
	v_cndmask_b32_e64 v82, v8, v84, s4
	v_cndmask_b32_e32 v84, v96, v81, vcc_lo
	v_cndmask_b32_e32 v81, v81, v96, vcc_lo
	v_and_b32_e32 v96, 0xff, v0
	v_and_b32_e32 v99, 0xff, v13
	v_lshrrev_b64 v[7:8], 24, v[12:13]
	v_lshrrev_b32_e32 v97, 16, v12
	v_cndmask_b32_e64 v100, v85, v86, s5
	v_mul_lo_u16 v96, 0xcd, v96
	v_mul_lo_u16 v99, 0xcd, v99
	v_cndmask_b32_e64 v85, v86, v85, s5
	v_and_b32_e32 v86, 0xff, v7
	v_and_b32_e32 v101, 0xff, v97
	v_lshrrev_b16 v96, 11, v96
	v_lshrrev_b16 v99, 11, v99
	v_perm_b32 v8, 0, v97, 0xc0c0001
	v_mul_lo_u16 v86, 0xcd, v86
	v_mul_lo_u16 v101, 0xcd, v101
	v_and_b32_e32 v145, 0xff, v82
	v_cmp_lt_u16_e32 vcc_lo, v96, v99
	v_lshlrev_b32_e32 v8, 16, v8
	v_lshrrev_b32_e32 v99, 8, v70
	v_lshrrev_b16 v86, 11, v86
	v_lshrrev_b16 v101, 11, v101
	v_cndmask_b32_e32 v96, v13, v102, vcc_lo
	v_and_or_b32 v8, 0xffff, v12, v8
	v_and_b32_e32 v103, 0xff, v99
	v_and_b32_e32 v146, 0xff, v98
	v_cmp_lt_u16_e64 s4, v86, v101
	v_lshrrev_b32_e32 v102, 16, v96
	v_lshrrev_b32_e32 v101, 24, v96
	v_perm_b32 v114, v96, v96, 0x6070504
	v_lshlrev_b16 v147, 8, v2
	v_cndmask_b32_e64 v86, v12, v8, s4
	v_and_b32_e32 v8, 0xff, v102
	v_mul_lo_u16 v12, 0xcd, v103
	v_mul_lo_u16 v103, 0xcd, v112
	;; [unrolled: 1-line block ×3, first 2 shown]
	v_cndmask_b32_e64 v112, v7, v97, s4
	v_mul_lo_u16 v8, 0xcd, v8
	v_lshrrev_b16 v12, 11, v12
	v_lshrrev_b16 v103, 11, v103
	v_cndmask_b32_e64 v97, v97, v7, s4
	v_lshrrev_b16 v7, 11, v113
	v_lshrrev_b16 v113, 11, v8
	v_cmp_lt_u16_e64 s4, v12, v103
	v_cndmask_b32_e32 v103, v13, v0, vcc_lo
	v_cndmask_b32_e64 v8, v70, v83, s4
	v_cndmask_b32_e32 v83, v0, v13, vcc_lo
	v_cmp_lt_u16_e32 vcc_lo, v7, v113
	v_lshrrev_b32_e32 v7, 8, v9
	v_cndmask_b32_e64 v115, v99, v70, s4
	v_lshrrev_b64 v[12:13], 24, v[8:9]
	v_lshrrev_b32_e32 v0, 16, v8
	v_cndmask_b32_e64 v70, v70, v99, s4
	v_and_b32_e32 v116, 0xff, v7
	v_cndmask_b32_e32 v96, v96, v114, vcc_lo
	v_cndmask_b32_e32 v114, v101, v102, vcc_lo
	v_and_b32_e32 v13, 0xff, v12
	v_and_b32_e32 v118, 0xff, v0
	v_mul_lo_u16 v99, 0xcd, v116
	v_mul_lo_u16 v116, 0xcd, v117
	v_cndmask_b32_e32 v101, v102, v101, vcc_lo
	v_perm_b32 v102, 0, v0, 0xc0c0001
	v_mul_lo_u16 v13, 0xcd, v13
	v_lshrrev_b16 v99, 11, v99
	v_lshrrev_b16 v116, 11, v116
	v_mul_lo_u16 v117, 0xcd, v118
	v_perm_b32 v118, v9, v9, 0x7060405
	v_lshrrev_b16 v13, 11, v13
	v_lshlrev_b32_e32 v102, 16, v102
	v_cmp_lt_u16_e32 vcc_lo, v99, v116
	v_lshrrev_b16 v117, 11, v117
	v_and_b32_e32 v116, 0xff, v119
	v_perm_b32 v113, v84, v86, 0x3020104
	v_and_or_b32 v102, 0xffff, v8, v102
	v_cndmask_b32_e32 v99, v9, v118, vcc_lo
	v_and_b32_e32 v118, 0xff, v71
	v_cmp_lt_u16_e64 s4, v13, v117
	v_lshrrev_b32_e32 v117, 16, v99
	v_mul_lo_u16 v13, 0xcd, v118
	v_cndmask_b32_e64 v102, v8, v102, s4
	v_mul_lo_u16 v8, 0xcd, v116
	v_lshrrev_b32_e32 v128, 24, v99
	v_and_b32_e32 v118, 0xff, v117
	v_lshrrev_b16 v13, 11, v13
	v_cndmask_b32_e64 v116, v12, v0, s4
	v_lshrrev_b16 v8, 11, v8
	v_mul_lo_u16 v129, 0xcd, v128
	v_cndmask_b32_e64 v12, v0, v12, s4
	v_mul_lo_u16 v0, 0xcd, v118
	v_cndmask_b32_e32 v118, v7, v9, vcc_lo
	v_cmp_lt_u16_e64 s4, v8, v13
	v_lshrrev_b16 v129, 11, v129
	v_cndmask_b32_e32 v9, v9, v7, vcc_lo
	v_lshrrev_b16 v0, 11, v0
	v_cndmask_b32_e64 v13, v71, v69, s4
	v_perm_b32 v69, v99, v99, 0x6070504
	v_cmp_lt_u16_e32 vcc_lo, v129, v0
	v_and_b32_e32 v0, 0xff, v130
	v_lshrrev_b64 v[7:8], 24, v[13:14]
	v_lshrrev_b32_e32 v131, 16, v13
	v_cndmask_b32_e32 v8, v99, v69, vcc_lo
	v_and_b32_e32 v69, 0xff, v14
	v_mul_lo_u16 v0, 0xcd, v0
	v_and_b32_e32 v129, 0xff, v7
	v_and_b32_e32 v133, 0xff, v131
	v_cndmask_b32_e32 v132, v128, v117, vcc_lo
	v_mul_lo_u16 v69, 0xcd, v69
	v_lshrrev_b16 v0, 11, v0
	v_mul_lo_u16 v129, 0xcd, v129
	v_mul_lo_u16 v133, 0xcd, v133
	v_perm_b32 v135, 0, v131, 0xc0c0001
	v_lshrrev_b16 v69, 11, v69
	v_cndmask_b32_e32 v117, v117, v128, vcc_lo
	v_lshrrev_b16 v129, 11, v129
	v_lshrrev_b16 v133, 11, v133
	v_cndmask_b32_e64 v128, v119, v71, s4
	v_cmp_lt_u16_e64 s5, v0, v69
	v_cndmask_b32_e64 v71, v71, v119, s4
	v_lshlrev_b32_e32 v69, 16, v135
	v_cmp_lt_u16_e32 vcc_lo, v129, v133
	v_and_b32_e32 v129, 0xff, v6
	v_cndmask_b32_e64 v0, v14, v134, s5
	v_and_b32_e32 v135, 0xff, v67
	v_and_or_b32 v69, 0xffff, v13, v69
	v_perm_b32 v99, v114, v102, 0x3020104
	v_mul_lo_u16 v129, 0xcd, v129
	v_lshrrev_b32_e32 v134, 16, v0
	v_perm_b32 v133, v0, v6, 0x6000504
	v_cndmask_b32_e32 v13, v13, v69, vcc_lo
	v_cndmask_b32_e32 v69, v7, v131, vcc_lo
	v_lshrrev_b16 v129, 11, v129
	v_and_b32_e32 v119, 0xff, v134
	v_cndmask_b32_e32 v7, v131, v7, vcc_lo
	v_cndmask_b32_e64 v131, v130, v14, s5
	v_cndmask_b32_e64 v14, v14, v130, s5
	v_lshlrev_b16 v130, 8, v67
	v_mul_lo_u16 v119, 0xcd, v119
	v_and_b32_e32 v148, 0xff, v128
	v_or_b32_sdwa v130, v68, v130 dst_sel:DWORD dst_unused:UNUSED_PAD src0_sel:BYTE_0 src1_sel:DWORD
	v_lshrrev_b16 v119, 11, v119
	v_mul_lo_u16 v148, 0xcd, v148
	v_and_b32_e32 v130, 0xffff, v130
	v_cmp_lt_u16_e32 vcc_lo, v129, v119
	v_perm_b32 v129, v132, v13, 0x3020104
	v_cndmask_b32_e32 v119, v0, v133, vcc_lo
	v_mul_lo_u16 v0, 0xcd, v135
	v_mul_lo_u16 v133, 0xcd, v144
	v_perm_b32 v135, v3, v68, 0xc0c0304
	v_lshrrev_b16 v144, 11, v0
	v_lshrrev_b16 v133, 11, v133
	v_lshl_or_b32 v130, v135, 16, v130
	v_mul_lo_u16 v135, 0xcd, v145
	v_mul_lo_u16 v145, 0xcd, v146
	v_cndmask_b32_e32 v0, v6, v134, vcc_lo
	v_cmp_lt_u16_e64 s4, v144, v133
	v_cndmask_b32_e32 v6, v134, v6, vcc_lo
	v_perm_b32 v134, v98, v80, 0x3020104
	v_lshrrev_b16 v133, 11, v145
	v_lshlrev_b16 v144, 8, v82
	v_cndmask_b32_e64 v68, v68, v130, s4
	v_lshrrev_b16 v130, 11, v135
	v_cndmask_b32_e64 v145, v67, v3, s4
	v_cndmask_b32_e64 v3, v3, v67, s4
	v_lshlrev_b16 v146, 8, v81
	v_and_b32_sdwa v135, v68, v1 dst_sel:DWORD dst_unused:UNUSED_PAD src0_sel:WORD_1 src1_sel:DWORD
	v_cmp_lt_u16_e32 vcc_lo, v130, v133
	v_and_b32_e32 v130, 0xff, v85
	v_and_b32_e32 v133, 0xff, v84
	v_or_b32_sdwa v67, v135, v144 dst_sel:WORD_1 dst_unused:UNUSED_PAD src0_sel:DWORD src1_sel:DWORD
	v_cndmask_b32_e32 v80, v80, v134, vcc_lo
	v_mul_lo_u16 v130, 0xcd, v130
	v_mul_lo_u16 v133, 0xcd, v133
	v_and_b32_e32 v135, 0xff, v87
	v_and_b32_e32 v144, 0xff, v81
	v_and_b32_sdwa v134, v80, v10 dst_sel:DWORD dst_unused:UNUSED_PAD src0_sel:WORD_1 src1_sel:DWORD
	v_lshrrev_b16 v130, 11, v130
	v_lshrrev_b16 v133, 11, v133
	v_and_or_b32 v67, 0xffff, v68, v67
	v_mul_lo_u16 v144, 0xcd, v144
	v_or_b32_sdwa v134, v135, v134 dst_sel:WORD_1 dst_unused:UNUSED_PAD src0_sel:DWORD src1_sel:DWORD
	v_cmp_lt_u16_e64 s4, v130, v133
	v_mul_lo_u16 v130, 0xcd, v135
	v_lshrrev_b16 v144, 11, v144
	v_or_b32_sdwa v133, v80, v146 dst_sel:DWORD dst_unused:UNUSED_PAD src0_sel:BYTE_0 src1_sel:DWORD
	v_and_b32_e32 v135, 0xff, v97
	v_cndmask_b32_e64 v86, v86, v113, s4
	v_lshlrev_b16 v113, 8, v97
	v_and_b32_e32 v146, 0xff, v100
	v_lshrrev_b16 v130, 11, v130
	v_or_b32_sdwa v133, v133, v134 dst_sel:DWORD dst_unused:UNUSED_PAD src0_sel:WORD_0 src1_sel:DWORD
	v_mul_lo_u16 v134, 0xcd, v135
	v_or_b32_sdwa v113, v86, v113 dst_sel:DWORD dst_unused:UNUSED_PAD src0_sel:BYTE_0 src1_sel:DWORD
	v_mul_lo_u16 v135, 0xcd, v146
	v_cmp_lt_u16_e64 s5, v144, v130
	v_perm_b32 v146, v100, v86, 0xc0c0304
	v_lshrrev_b16 v130, 11, v134
	v_and_b32_e32 v113, 0xffff, v113
	v_cndmask_b32_e32 v67, v68, v67, vcc_lo
	v_cndmask_b32_e64 v80, v80, v133, s5
	v_lshrrev_b16 v133, 11, v135
	v_cndmask_b32_e32 v68, v82, v98, vcc_lo
	v_lshl_or_b32 v113, v146, 16, v113
	v_cndmask_b32_e32 v82, v98, v82, vcc_lo
	v_and_b32_sdwa v98, v80, v1 dst_sel:DWORD dst_unused:UNUSED_PAD src0_sel:WORD_1 src1_sel:DWORD
	v_cmp_lt_u16_e32 vcc_lo, v130, v133
	v_and_b32_e32 v133, 0xff, v112
	v_lshlrev_b16 v130, 8, v85
	v_and_b32_e32 v135, 0xff, v3
	v_lshlrev_b16 v146, 8, v103
	v_cndmask_b32_e32 v86, v86, v113, vcc_lo
	v_and_b32_e32 v113, 0xff, v103
	v_mul_lo_u16 v133, 0xcd, v133
	v_or_b32_sdwa v98, v98, v130 dst_sel:WORD_1 dst_unused:UNUSED_PAD src0_sel:DWORD src1_sel:DWORD
	v_cndmask_b32_e64 v134, v81, v87, s5
	v_and_b32_sdwa v144, v86, v1 dst_sel:DWORD dst_unused:UNUSED_PAD src0_sel:WORD_1 src1_sel:DWORD
	v_mul_lo_u16 v113, 0xcd, v113
	v_lshrrev_b16 v133, 11, v133
	v_and_or_b32 v98, 0xffff, v80, v98
	v_cndmask_b32_e64 v81, v87, v81, s5
	v_or_b32_sdwa v130, v144, v146 dst_sel:WORD_1 dst_unused:UNUSED_PAD src0_sel:DWORD src1_sel:DWORD
	v_lshrrev_b16 v113, 11, v113
	v_or_b32_e32 v144, v135, v147
	v_perm_b32 v146, v112, v96, 0x3020104
	v_cndmask_b32_e64 v80, v80, v98, s4
	v_and_or_b32 v130, 0xffff, v86, v130
	v_cmp_lt_u16_e64 s6, v113, v133
	v_and_b32_e32 v113, 0xffff, v144
	v_and_b32_e32 v133, 0xff, v70
	;; [unrolled: 1-line block ×3, first 2 shown]
	v_cndmask_b32_e64 v98, v85, v84, s4
	v_cndmask_b32_e64 v87, v96, v146, s6
	;; [unrolled: 1-line block ×3, first 2 shown]
	v_mul_lo_u16 v133, 0xcd, v133
	v_mul_lo_u16 v144, 0xcd, v144
	v_and_or_b32 v96, 0xffff0000, v67, v113
	v_cndmask_b32_e64 v84, v84, v85, s4
	v_cndmask_b32_e32 v85, v97, v100, vcc_lo
	v_and_b32_sdwa v113, v87, v10 dst_sel:DWORD dst_unused:UNUSED_PAD src0_sel:WORD_1 src1_sel:DWORD
	v_and_b32_e32 v130, 0xff, v83
	v_cndmask_b32_e32 v97, v100, v97, vcc_lo
	v_and_b32_e32 v100, 0xff, v101
	v_lshlrev_b16 v147, 8, v101
	v_lshrrev_b16 v133, 11, v133
	v_lshrrev_b16 v144, 11, v144
	v_or_b32_sdwa v113, v130, v113 dst_sel:WORD_1 dst_unused:UNUSED_PAD src0_sel:DWORD src1_sel:DWORD
	v_cndmask_b32_e64 v146, v103, v112, s6
	v_mul_lo_u16 v100, 0xcd, v100
	v_cndmask_b32_e64 v103, v112, v103, s6
	v_mul_lo_u16 v112, 0xcd, v130
	v_or_b32_sdwa v130, v87, v147 dst_sel:DWORD dst_unused:UNUSED_PAD src0_sel:BYTE_0 src1_sel:DWORD
	v_cmp_lt_u16_e32 vcc_lo, v133, v144
	v_lshrrev_b16 v100, 11, v100
	v_and_b32_e32 v133, 0xff, v115
	v_lshrrev_b16 v112, 11, v112
	v_or_b32_sdwa v113, v130, v113 dst_sel:DWORD dst_unused:UNUSED_PAD src0_sel:WORD_0 src1_sel:DWORD
	v_cndmask_b32_e32 v99, v102, v99, vcc_lo
	v_lshlrev_b16 v102, 8, v12
	v_and_b32_e32 v130, 0xff, v12
	v_cmp_lt_u16_e64 s4, v100, v112
	v_mul_lo_u16 v112, 0xcd, v133
	v_lshlrev_b16 v133, 8, v70
	v_or_b32_sdwa v102, v99, v102 dst_sel:DWORD dst_unused:UNUSED_PAD src0_sel:BYTE_0 src1_sel:DWORD
	v_mul_lo_u16 v100, 0xcd, v130
	v_cndmask_b32_e64 v87, v87, v113, s4
	v_perm_b32 v113, v115, v99, 0xc0c0304
	v_lshrrev_b16 v112, 11, v112
	v_and_b32_e32 v102, 0xffff, v102
	v_lshrrev_b16 v100, 11, v100
	v_and_b32_sdwa v130, v87, v1 dst_sel:DWORD dst_unused:UNUSED_PAD src0_sel:WORD_1 src1_sel:DWORD
	v_lshlrev_b16 v144, 8, v9
	v_and_b32_e32 v147, 0xff, v117
	v_lshl_or_b32 v102, v113, 16, v102
	v_cndmask_b32_e64 v113, v101, v83, s4
	v_cndmask_b32_e64 v83, v83, v101, s4
	v_cmp_lt_u16_e64 s4, v100, v112
	v_or_b32_sdwa v101, v130, v133 dst_sel:WORD_1 dst_unused:UNUSED_PAD src0_sel:DWORD src1_sel:DWORD
	v_and_b32_e32 v112, 0xff, v9
	v_and_b32_e32 v130, 0xff, v116
	;; [unrolled: 1-line block ×3, first 2 shown]
	v_cndmask_b32_e64 v99, v99, v102, s4
	v_and_or_b32 v101, 0xffff, v87, v101
	v_mul_lo_u16 v112, 0xcd, v112
	v_mul_lo_u16 v130, 0xcd, v130
	v_lshlrev_b16 v151, 8, v68
	v_and_b32_sdwa v133, v99, v1 dst_sel:DWORD dst_unused:UNUSED_PAD src0_sel:WORD_1 src1_sel:DWORD
	v_cndmask_b32_e32 v87, v87, v101, vcc_lo
	v_lshrrev_b16 v112, 11, v112
	v_lshrrev_b16 v130, 11, v130
	v_and_b32_e32 v100, 0xff, v97
	v_or_b32_sdwa v133, v133, v144 dst_sel:WORD_1 dst_unused:UNUSED_PAD src0_sel:DWORD src1_sel:DWORD
	v_and_b32_e32 v144, 0xff, v118
	v_lshlrev_b16 v102, 8, v98
	v_cmp_lt_u16_e64 s5, v112, v130
	v_and_b32_e32 v130, 0xff, v132
	v_and_or_b32 v101, 0xffff, v99, v133
	v_perm_b32 v133, v116, v8, 0x3020104
	v_cndmask_b32_e32 v112, v70, v114, vcc_lo
	v_cndmask_b32_e32 v70, v114, v70, vcc_lo
	v_mul_lo_u16 v130, 0xcd, v130
	v_cndmask_b32_e64 v99, v99, v101, s5
	v_and_b32_e32 v101, 0xff, v71
	v_cndmask_b32_e64 v8, v8, v133, s5
	v_cndmask_b32_e64 v114, v12, v115, s4
	v_lshrrev_b16 v130, 11, v130
	v_cndmask_b32_e64 v12, v115, v12, s4
	v_mul_lo_u16 v101, 0xcd, v101
	v_and_b32_sdwa v133, v8, v10 dst_sel:DWORD dst_unused:UNUSED_PAD src0_sel:WORD_1 src1_sel:DWORD
	v_or_b32_e32 v102, v100, v102
	v_mul_lo_u16 v100, 0xcd, v100
	v_lshrrev_b16 v101, 11, v101
	v_or_b32_sdwa v115, v144, v133 dst_sel:WORD_1 dst_unused:UNUSED_PAD src0_sel:DWORD src1_sel:DWORD
	v_mul_lo_u16 v133, 0xcd, v147
	v_cndmask_b32_e64 v147, v9, v116, s5
	v_mul_lo_u16 v144, 0xcd, v144
	v_cmp_lt_u16_e32 vcc_lo, v101, v130
	v_lshlrev_b16 v101, 8, v7
	v_lshlrev_b16 v130, 8, v117
	v_cndmask_b32_e64 v9, v116, v9, s5
	v_lshrrev_b16 v144, 11, v144
	v_cndmask_b32_e32 v13, v13, v129, vcc_lo
	v_lshrrev_b16 v129, 11, v133
	v_and_b32_e32 v133, 0xff, v7
	v_or_b32_sdwa v130, v8, v130 dst_sel:DWORD dst_unused:UNUSED_PAD src0_sel:BYTE_0 src1_sel:DWORD
	v_and_b32_e32 v116, 0xff, v69
	v_or_b32_sdwa v101, v13, v101 dst_sel:DWORD dst_unused:UNUSED_PAD src0_sel:BYTE_0 src1_sel:DWORD
	v_perm_b32 v149, v128, v13, 0xc0c0304
	v_mul_lo_u16 v133, 0xcd, v133
	v_or_b32_sdwa v115, v130, v115 dst_sel:DWORD dst_unused:UNUSED_PAD src0_sel:WORD_0 src1_sel:DWORD
	v_cmp_lt_u16_e64 s4, v129, v144
	v_and_b32_e32 v101, 0xffff, v101
	v_mul_lo_u16 v116, 0xcd, v116
	v_lshrrev_b16 v130, 11, v133
	v_lshrrev_b16 v133, 11, v148
	v_cndmask_b32_e64 v8, v8, v115, s4
	v_lshl_or_b32 v101, v149, 16, v101
	v_lshrrev_b16 v116, 11, v116
	v_lshlrev_b16 v129, 8, v71
	v_cmp_lt_u16_e64 s5, v130, v133
	v_lshlrev_b16 v133, 8, v14
	v_and_b32_sdwa v115, v8, v1 dst_sel:DWORD dst_unused:UNUSED_PAD src0_sel:WORD_1 src1_sel:DWORD
	v_and_b32_e32 v144, 0xff, v12
	v_lshlrev_b16 v148, 8, v112
	v_cndmask_b32_e64 v13, v13, v101, s5
	v_and_b32_e32 v101, 0xff, v14
	v_or_b32_sdwa v115, v115, v129 dst_sel:WORD_1 dst_unused:UNUSED_PAD src0_sel:DWORD src1_sel:DWORD
	v_and_b32_e32 v102, 0xffff, v102
	v_or_b32_e32 v129, v144, v148
	v_and_b32_sdwa v130, v13, v1 dst_sel:DWORD dst_unused:UNUSED_PAD src0_sel:WORD_1 src1_sel:DWORD
	v_mul_lo_u16 v101, 0xcd, v101
	v_and_or_b32 v115, 0xffff, v8, v115
	v_lshlrev_b16 v148, 8, v6
	v_and_or_b32 v102, 0xffff0000, v86, v102
	v_or_b32_sdwa v130, v130, v133 dst_sel:WORD_1 dst_unused:UNUSED_PAD src0_sel:DWORD src1_sel:DWORD
	v_lshrrev_b16 v101, 11, v101
	v_perm_b32 v133, v69, v119, 0x3020104
	v_cndmask_b32_e32 v8, v8, v115, vcc_lo
	v_and_or_b32 v130, 0xffff, v13, v130
	v_cmp_lt_u16_e64 s6, v101, v116
	v_cndmask_b32_e64 v101, v117, v118, s4
	v_and_b32_e32 v116, 0xffff, v129
	v_cndmask_b32_e64 v117, v118, v117, s4
	v_and_b32_e32 v129, 0xff, v131
	v_cndmask_b32_e64 v119, v119, v133, s6
	v_cndmask_b32_e64 v13, v13, v130, s6
	v_and_b32_e32 v130, 0xff, v6
	v_and_or_b32 v115, 0xffff0000, v99, v116
	v_cndmask_b32_e32 v116, v71, v132, vcc_lo
	v_and_b32_sdwa v118, v119, v10 dst_sel:DWORD dst_unused:UNUSED_PAD src0_sel:WORD_1 src1_sel:DWORD
	v_cndmask_b32_e64 v133, v128, v7, s5
	v_cndmask_b32_e64 v7, v7, v128, s5
	v_mul_lo_u16 v128, 0xcd, v130
	v_cndmask_b32_e32 v71, v132, v71, vcc_lo
	v_or_b32_sdwa v118, v129, v118 dst_sel:WORD_1 dst_unused:UNUSED_PAD src0_sel:DWORD src1_sel:DWORD
	v_mul_lo_u16 v129, 0xcd, v129
	v_and_b32_e32 v130, 0xff, v133
	v_lshlrev_b16 v132, 8, v116
	v_cndmask_b32_e64 v149, v14, v69, s6
	v_lshrrev_b16 v128, 11, v128
	v_lshrrev_b16 v129, 11, v129
	v_cndmask_b32_e64 v14, v69, v14, s6
	v_and_b32_e32 v69, 0xff, v2
	v_or_b32_e32 v132, v130, v132
	v_or_b32_sdwa v148, v119, v148 dst_sel:DWORD dst_unused:UNUSED_PAD src0_sel:BYTE_0 src1_sel:DWORD
	v_cmp_lt_u16_e32 vcc_lo, v128, v129
	v_mul_lo_u16 v128, 0xcd, v135
	v_mul_lo_u16 v69, 0xcd, v69
	v_and_b32_e32 v132, 0xffff, v132
	v_and_b32_e32 v135, 0xff, v145
	v_or_b32_sdwa v118, v148, v118 dst_sel:DWORD dst_unused:UNUSED_PAD src0_sel:WORD_0 src1_sel:DWORD
	v_lshrrev_b16 v128, 11, v128
	v_lshrrev_b16 v69, 11, v69
	v_and_or_b32 v129, 0xffff0000, v13, v132
	v_and_b32_e32 v132, 0xff, v82
	v_lshlrev_b16 v148, 8, v145
	v_cndmask_b32_e32 v118, v119, v118, vcc_lo
	v_cmp_lt_u16_e64 s4, v128, v69
	v_cndmask_b32_e32 v119, v6, v131, vcc_lo
	v_mul_lo_u16 v69, 0xcd, v132
	v_or_b32_e32 v128, v150, v151
	v_or_b32_sdwa v132, v132, v148 dst_sel:WORD_1 dst_unused:UNUSED_PAD src0_sel:DWORD src1_sel:DWORD
	v_cndmask_b32_e64 v67, v67, v96, s4
	v_mul_lo_u16 v96, 0xcd, v135
	v_lshrrev_b16 v69, 11, v69
	v_cndmask_b32_e64 v2, v3, v2, s4
	v_and_b32_e32 v3, 0xff, v68
	v_cndmask_b32_e32 v6, v131, v6, vcc_lo
	v_lshrrev_b16 v96, 11, v96
	v_and_b32_e32 v128, 0xffff, v128
	v_and_or_b32 v131, 0xffff, v67, v132
	v_mul_lo_u16 v3, 0xcd, v3
	v_and_b32_e32 v132, 0xff, v134
	v_cmp_lt_u16_e32 vcc_lo, v69, v96
	v_mul_lo_u16 v96, 0xcd, v150
	v_and_or_b32 v69, 0xffff0000, v80, v128
	v_lshrrev_b16 v3, 11, v3
	v_mul_lo_u16 v132, 0xcd, v132
	v_cndmask_b32_e32 v67, v67, v131, vcc_lo
	v_lshrrev_b16 v96, 11, v96
	v_cndmask_b32_e32 v128, v82, v145, vcc_lo
	v_and_b32_e32 v131, 0xff, v84
	v_cndmask_b32_e32 v82, v145, v82, vcc_lo
	v_lshlrev_b16 v145, 8, v134
	v_cmp_lt_u16_e32 vcc_lo, v96, v3
	v_mul_lo_u16 v135, 0xcd, v131
	v_or_b32_sdwa v96, v131, v145 dst_sel:WORD_1 dst_unused:UNUSED_PAD src0_sel:DWORD src1_sel:DWORD
	v_cndmask_b32_e32 v3, v80, v69, vcc_lo
	v_and_b32_e32 v80, 0xff, v98
	v_lshrrev_b16 v69, 11, v135
	v_lshrrev_b16 v131, 11, v132
	v_cndmask_b32_e32 v132, v81, v68, vcc_lo
	v_and_or_b32 v96, 0xffff, v3, v96
	v_mul_lo_u16 v80, 0xcd, v80
	v_cndmask_b32_e32 v68, v68, v81, vcc_lo
	v_cmp_lt_u16_e64 s4, v69, v131
	v_lshrrev_b16 v69, 11, v100
	v_lshlrev_b16 v100, 8, v85
	v_lshrrev_b16 v80, 11, v80
	v_lshlrev_b16 v131, 8, v146
	v_cndmask_b32_e64 v3, v3, v96, s4
	v_and_b32_e32 v96, 0xff, v103
	v_cndmask_b32_e64 v81, v84, v134, s4
	v_cmp_lt_u16_e32 vcc_lo, v69, v80
	v_and_b32_e32 v80, 0xff, v85
	v_cndmask_b32_e64 v84, v134, v84, s4
	v_lshlrev_b16 v135, 8, v101
	v_cndmask_b32_e32 v69, v86, v102, vcc_lo
	v_mul_lo_u16 v86, 0xcd, v96
	v_mul_lo_u16 v80, 0xcd, v80
	v_and_b32_e32 v102, 0xff, v83
	v_cndmask_b32_e32 v134, v97, v98, vcc_lo
	v_cndmask_b32_e32 v97, v98, v97, vcc_lo
	v_lshrrev_b16 v86, 11, v86
	v_lshrrev_b16 v80, 11, v80
	v_and_b32_e32 v98, 0xff, v146
	v_or_b32_sdwa v96, v96, v100 dst_sel:WORD_1 dst_unused:UNUSED_PAD src0_sel:DWORD src1_sel:DWORD
	v_or_b32_e32 v100, v102, v131
	v_lshlrev_b16 v131, 8, v147
	v_cmp_lt_u16_e32 vcc_lo, v86, v80
	v_mul_lo_u16 v80, 0xcd, v102
	v_mul_lo_u16 v86, 0xcd, v98
	v_and_or_b32 v96, 0xffff, v69, v96
	v_and_b32_e32 v100, 0xffff, v100
	v_cndmask_b32_e32 v98, v103, v85, vcc_lo
	v_lshrrev_b16 v80, 11, v80
	v_lshrrev_b16 v86, 11, v86
	v_cndmask_b32_e32 v69, v69, v96, vcc_lo
	v_and_or_b32 v96, 0xffff0000, v87, v100
	v_cndmask_b32_e32 v85, v85, v103, vcc_lo
	v_and_b32_e32 v100, 0xff, v70
	v_and_b32_e32 v102, 0xff, v113
	v_cmp_lt_u16_e32 vcc_lo, v80, v86
	v_lshlrev_b16 v103, 8, v113
	v_mul_lo_u16 v86, 0xcd, v100
	v_cndmask_b32_e32 v80, v87, v96, vcc_lo
	v_mul_lo_u16 v87, 0xcd, v102
	v_and_b32_e32 v102, 0xff, v112
	v_or_b32_sdwa v96, v100, v103 dst_sel:WORD_1 dst_unused:UNUSED_PAD src0_sel:DWORD src1_sel:DWORD
	v_lshrrev_b16 v86, 11, v86
	v_mul_lo_u16 v103, 0xcd, v144
	v_lshrrev_b16 v87, 11, v87
	v_mul_lo_u16 v102, 0xcd, v102
	v_cndmask_b32_e32 v100, v83, v146, vcc_lo
	v_and_or_b32 v96, 0xffff, v80, v96
	v_cndmask_b32_e32 v83, v146, v83, vcc_lo
	v_cmp_lt_u16_e32 vcc_lo, v86, v87
	v_lshrrev_b16 v86, 11, v103
	v_lshrrev_b16 v87, 11, v102
	v_and_b32_e32 v103, 0xff, v9
	v_cndmask_b32_e32 v80, v80, v96, vcc_lo
	v_cndmask_b32_e32 v102, v70, v113, vcc_lo
	;; [unrolled: 1-line block ×3, first 2 shown]
	v_cmp_lt_u16_e32 vcc_lo, v86, v87
	v_and_b32_e32 v87, 0xff, v114
	v_mul_lo_u16 v113, 0xcd, v103
	v_perm_b32 v96, v81, v69, 0x3020104
	v_and_b32_e32 v81, 0xff, v81
	v_cndmask_b32_e32 v86, v99, v115, vcc_lo
	v_lshlrev_b16 v99, 8, v114
	v_mul_lo_u16 v87, 0xcd, v87
	v_and_b32_e32 v115, 0xff, v117
	v_lshrrev_b16 v113, 11, v113
	v_or_b32_sdwa v99, v103, v99 dst_sel:WORD_1 dst_unused:UNUSED_PAD src0_sel:DWORD src1_sel:DWORD
	v_cndmask_b32_e32 v103, v12, v112, vcc_lo
	v_lshrrev_b16 v87, 11, v87
	v_cndmask_b32_e32 v112, v112, v12, vcc_lo
	v_and_b32_e32 v12, 0xff, v147
	v_or_b32_e32 v131, v115, v131
	v_and_or_b32 v99, 0xffff, v86, v99
	v_cmp_lt_u16_e32 vcc_lo, v113, v87
	v_mul_lo_u16 v87, 0xcd, v115
	v_mul_lo_u16 v12, 0xcd, v12
	v_and_b32_e32 v131, 0xffff, v131
	v_and_b32_e32 v113, 0xff, v71
	v_cndmask_b32_e32 v86, v86, v99, vcc_lo
	v_lshrrev_b16 v87, 11, v87
	v_lshrrev_b16 v12, 11, v12
	v_and_or_b32 v99, 0xffff0000, v8, v131
	v_cndmask_b32_e32 v115, v9, v114, vcc_lo
	v_cndmask_b32_e32 v9, v114, v9, vcc_lo
	v_mul_lo_u16 v114, 0xcd, v113
	v_and_b32_e32 v131, 0xff, v101
	v_cmp_lt_u16_e32 vcc_lo, v87, v12
	v_and_b32_e32 v12, 0xff, v116
	v_or_b32_sdwa v113, v113, v135 dst_sel:WORD_1 dst_unused:UNUSED_PAD src0_sel:DWORD src1_sel:DWORD
	v_mul_lo_u16 v87, 0xcd, v131
	v_cndmask_b32_e32 v8, v8, v99, vcc_lo
	v_lshrrev_b16 v99, 11, v114
	v_mul_lo_u16 v114, 0xcd, v130
	v_mul_lo_u16 v12, 0xcd, v12
	v_lshrrev_b16 v87, 11, v87
	v_cndmask_b32_e32 v130, v117, v147, vcc_lo
	v_and_or_b32 v113, 0xffff, v8, v113
	v_lshrrev_b16 v114, 11, v114
	v_lshrrev_b16 v12, 11, v12
	v_cmp_lt_u16_e64 s4, v99, v87
	v_cndmask_b32_e32 v87, v147, v117, vcc_lo
	v_lshlrev_b16 v117, 8, v7
	v_and_b32_e32 v131, 0xff, v6
	v_cmp_lt_u16_e32 vcc_lo, v114, v12
	v_cndmask_b32_e64 v99, v8, v113, s4
	v_cndmask_b32_e64 v114, v71, v101, s4
	;; [unrolled: 1-line block ×3, first 2 shown]
	v_and_b32_e32 v12, 0xff, v14
	v_cndmask_b32_e32 v8, v13, v129, vcc_lo
	v_cndmask_b32_e32 v13, v133, v116, vcc_lo
	;; [unrolled: 1-line block ×3, first 2 shown]
	v_and_b32_e32 v116, 0xff, v7
	v_mul_lo_u16 v129, 0xcd, v12
	v_lshlrev_b16 v133, 8, v149
	v_or_b32_sdwa v12, v12, v117 dst_sel:WORD_1 dst_unused:UNUSED_PAD src0_sel:DWORD src1_sel:DWORD
	v_perm_b32 v113, v102, v86, 0x3020104
	v_mul_lo_u16 v116, 0xcd, v116
	v_lshrrev_b16 v117, 11, v129
	v_and_b32_e32 v129, 0xff, v149
	v_or_b32_e32 v133, v131, v133
	v_and_or_b32 v12, 0xffff, v8, v12
	v_lshrrev_b16 v116, 11, v116
	v_mul_lo_u16 v131, 0xcd, v131
	v_mul_lo_u16 v129, 0xcd, v129
	v_and_b32_e32 v133, 0xffff, v133
	v_cmp_lt_u16_e32 vcc_lo, v117, v116
	v_and_or_b32 v117, 0xffff0000, v118, v133
	v_lshlrev_b16 v133, 8, v119
	v_cndmask_b32_e32 v116, v8, v12, vcc_lo
	v_lshrrev_b16 v8, 11, v131
	v_lshrrev_b16 v12, 11, v129
	v_and_b32_e32 v129, 0xff, v0
	v_and_b32_e32 v131, 0xff, v119
	v_cmp_lt_u16_e64 s4, v8, v12
	v_mul_lo_u16 v12, 0xcd, v129
	v_cndmask_b32_e64 v8, v118, v117, s4
	v_mul_lo_u16 v117, 0xcd, v131
	v_or_b32_sdwa v118, v129, v133 dst_sel:WORD_1 dst_unused:UNUSED_PAD src0_sel:DWORD src1_sel:DWORD
	v_cndmask_b32_e32 v129, v14, v7, vcc_lo
	v_cndmask_b32_e32 v7, v7, v14, vcc_lo
	v_lshrrev_b16 v12, 11, v12
	v_lshrrev_b16 v14, 11, v117
	v_and_or_b32 v117, 0xffff, v8, v118
	v_cndmask_b32_e64 v118, v6, v149, s4
	v_cndmask_b32_e64 v133, v149, v6, s4
	v_lshlrev_b16 v6, 8, v82
	v_cmp_lt_u16_e64 s4, v12, v14
	v_and_b32_e32 v131, 0xff, v82
	v_and_b32_e32 v12, 0xff, v2
	;; [unrolled: 1-line block ×3, first 2 shown]
	v_or_b32_sdwa v6, v67, v6 dst_sel:DWORD dst_unused:UNUSED_PAD src0_sel:BYTE_0 src1_sel:DWORD
	v_cndmask_b32_e64 v14, v8, v117, s4
	v_and_b32_e32 v117, 0xff, v128
	v_mul_lo_u16 v8, 0xcd, v131
	v_mul_lo_u16 v12, 0xcd, v12
	;; [unrolled: 1-line block ×3, first 2 shown]
	v_and_b32_e32 v6, 0xffff, v6
	v_mul_lo_u16 v117, 0xcd, v117
	v_perm_b32 v2, v2, v67, 0xc0c0304
	v_lshrrev_b16 v8, 11, v8
	v_lshrrev_b16 v12, 11, v12
	;; [unrolled: 1-line block ×4, first 2 shown]
	v_lshl_or_b32 v2, v2, 16, v6
	v_and_b32_e32 v6, 0xff, v97
	v_perm_b32 v128, v128, v3, 0x3020104
	v_cmp_lt_u16_e32 vcc_lo, v8, v12
	v_cmp_lt_u16_e64 s5, v82, v117
	v_mul_lo_u16 v8, 0xcd, v81
	v_mul_lo_u16 v6, 0xcd, v6
	v_and_b32_e32 v81, 0xff, v84
	v_cndmask_b32_e32 v2, v67, v2, vcc_lo
	v_cndmask_b32_e64 v3, v3, v128, s5
	v_lshrrev_b16 v8, 11, v8
	v_lshrrev_b16 v6, 11, v6
	v_and_b32_e32 v67, 0xff, v132
	v_mul_lo_u16 v81, 0xcd, v81
	v_and_b32_sdwa v12, v3, v10 dst_sel:DWORD dst_unused:UNUSED_PAD src0_sel:WORD_1 src1_sel:DWORD
	v_and_b32_sdwa v82, v2, v1 dst_sel:DWORD dst_unused:UNUSED_PAD src0_sel:WORD_1 src1_sel:DWORD
	v_cmp_lt_u16_e32 vcc_lo, v6, v8
	v_lshlrev_b16 v8, 8, v85
	v_lshlrev_b16 v68, 8, v68
	v_or_b32_sdwa v12, v67, v12 dst_sel:WORD_1 dst_unused:UNUSED_PAD src0_sel:DWORD src1_sel:DWORD
	v_mul_lo_u16 v67, 0xcd, v67
	v_cndmask_b32_e32 v6, v69, v96, vcc_lo
	v_lshrrev_b16 v69, 11, v81
	v_lshlrev_b16 v81, 8, v84
	v_and_b32_e32 v84, 0xff, v85
	v_and_b32_e32 v85, 0xff, v134
	v_or_b32_sdwa v8, v6, v8 dst_sel:DWORD dst_unused:UNUSED_PAD src0_sel:BYTE_0 src1_sel:DWORD
	v_lshrrev_b16 v67, 11, v67
	v_or_b32_sdwa v81, v3, v81 dst_sel:DWORD dst_unused:UNUSED_PAD src0_sel:BYTE_0 src1_sel:DWORD
	v_mul_lo_u16 v84, 0xcd, v84
	v_mul_lo_u16 v85, 0xcd, v85
	v_and_b32_e32 v8, 0xffff, v8
	v_perm_b32 v96, v134, v6, 0xc0c0304
	v_or_b32_sdwa v12, v81, v12 dst_sel:DWORD dst_unused:UNUSED_PAD src0_sel:WORD_0 src1_sel:DWORD
	v_lshrrev_b16 v81, 11, v84
	v_lshrrev_b16 v84, 11, v85
	v_cmp_lt_u16_e64 s6, v69, v67
	v_lshl_or_b32 v8, v96, 16, v8
	v_or_b32_sdwa v68, v82, v68 dst_sel:WORD_1 dst_unused:UNUSED_PAD src0_sel:DWORD src1_sel:DWORD
	v_and_b32_e32 v69, 0xff, v83
	v_lshlrev_b16 v82, 8, v83
	v_cndmask_b32_e64 v3, v3, v12, s6
	v_cmp_lt_u16_e64 s6, v81, v84
	v_and_b32_e32 v81, 0xff, v98
	v_and_b32_e32 v83, 0xff, v112
	;; [unrolled: 1-line block ×3, first 2 shown]
	v_mul_lo_u16 v69, 0xcd, v69
	v_cndmask_b32_e64 v6, v6, v8, s6
	v_mul_lo_u16 v81, 0xcd, v81
	v_cndmask_b32_e64 v12, v119, v0, s4
	v_and_or_b32 v0, 0xffff, v2, v68
	v_lshrrev_b16 v69, 11, v69
	v_and_b32_sdwa v8, v6, v1 dst_sel:DWORD dst_unused:UNUSED_PAD src0_sel:WORD_1 src1_sel:DWORD
	v_lshrrev_b16 v81, 11, v81
	v_and_b32_sdwa v68, v3, v1 dst_sel:DWORD dst_unused:UNUSED_PAD src0_sel:WORD_1 src1_sel:DWORD
	v_perm_b32 v85, v98, v80, 0x3020104
	v_perm_b32 v67, v114, v116, 0x3020104
	v_or_b32_sdwa v8, v8, v82 dst_sel:WORD_1 dst_unused:UNUSED_PAD src0_sel:DWORD src1_sel:DWORD
	v_mul_lo_u16 v82, 0xcd, v83
	v_mul_lo_u16 v83, 0xcd, v84
	v_cmp_lt_u16_e64 s4, v69, v81
	v_lshlrev_b16 v69, 8, v9
	v_and_or_b32 v8, 0xffff, v6, v8
	v_lshrrev_b16 v82, 11, v82
	v_lshrrev_b16 v83, 11, v83
	v_and_b32_e32 v9, 0xff, v9
	v_and_b32_e32 v81, 0xff, v103
	v_cndmask_b32_e64 v8, v6, v8, s4
	v_lshlrev_b16 v84, 8, v97
	v_cmp_lt_u16_e64 s6, v82, v83
	v_mul_lo_u16 v9, 0xcd, v9
	v_mul_lo_u16 v81, 0xcd, v81
	v_cndmask_b32_e64 v80, v80, v85, s4
	v_or_b32_sdwa v68, v68, v84 dst_sel:WORD_1 dst_unused:UNUSED_PAD src0_sel:DWORD src1_sel:DWORD
	v_cndmask_b32_e64 v6, v86, v113, s6
	v_lshrrev_b16 v9, 11, v9
	v_lshrrev_b16 v81, 11, v81
	v_and_b32_e32 v83, 0xff, v70
	v_and_b32_e32 v85, 0xff, v100
	v_or_b32_sdwa v69, v6, v69 dst_sel:DWORD dst_unused:UNUSED_PAD src0_sel:BYTE_0 src1_sel:DWORD
	v_perm_b32 v84, v103, v6, 0xc0c0304
	v_cmp_lt_u16_e64 s4, v9, v81
	v_and_b32_sdwa v82, v80, v10 dst_sel:DWORD dst_unused:UNUSED_PAD src0_sel:WORD_1 src1_sel:DWORD
	v_mul_lo_u16 v83, 0xcd, v83
	v_and_b32_e32 v69, 0xffff, v69
	v_lshlrev_b16 v70, 8, v70
	v_and_b32_e32 v81, 0xff, v115
	v_or_b32_sdwa v82, v85, v82 dst_sel:WORD_1 dst_unused:UNUSED_PAD src0_sel:DWORD src1_sel:DWORD
	v_lshrrev_b16 v83, 11, v83
	v_lshl_or_b32 v69, v84, 16, v69
	v_or_b32_sdwa v70, v80, v70 dst_sel:DWORD dst_unused:UNUSED_PAD src0_sel:BYTE_0 src1_sel:DWORD
	v_mul_lo_u16 v81, 0xcd, v81
	v_cndmask_b32_e64 v9, v6, v69, s4
	v_and_b32_e32 v6, 0xff, v87
	v_mul_lo_u16 v69, 0xcd, v85
	v_lshlrev_b16 v85, 8, v87
	v_or_b32_sdwa v70, v70, v82 dst_sel:DWORD dst_unused:UNUSED_PAD src0_sel:WORD_0 src1_sel:DWORD
	v_and_b32_sdwa v84, v9, v1 dst_sel:DWORD dst_unused:UNUSED_PAD src0_sel:WORD_1 src1_sel:DWORD
	v_mul_lo_u16 v6, 0xcd, v6
	v_lshrrev_b16 v69, 11, v69
	v_lshrrev_b16 v81, 11, v81
	v_or_b32_sdwa v82, v84, v85 dst_sel:WORD_1 dst_unused:UNUSED_PAD src0_sel:DWORD src1_sel:DWORD
	v_lshrrev_b16 v6, 11, v6
	v_cmp_lt_u16_e64 s4, v83, v69
	v_and_b32_e32 v84, 0xff, v130
	v_cndmask_b32_e64 v69, v80, v70, s4
	v_perm_b32 v70, v115, v99, 0x3020104
	v_and_or_b32 v80, 0xffff, v9, v82
	v_cmp_lt_u16_e64 s4, v6, v81
	v_cndmask_b32_e64 v6, v2, v0, s5
	v_and_b32_e32 v82, 0xff, v71
	v_lshlrev_b16 v71, 8, v71
	v_and_or_b32 v2, 0xffff, v3, v68
	v_cndmask_b32_e64 v0, v9, v80, s4
	v_cndmask_b32_e64 v9, v99, v70, s4
	v_and_b32_e32 v70, 0xff, v101
	v_and_b32_e32 v80, 0xff, v114
	v_mul_lo_u16 v82, 0xcd, v82
	v_and_b32_sdwa v68, v69, v1 dst_sel:DWORD dst_unused:UNUSED_PAD src0_sel:WORD_1 src1_sel:DWORD
	v_and_b32_sdwa v83, v9, v10 dst_sel:DWORD dst_unused:UNUSED_PAD src0_sel:WORD_1 src1_sel:DWORD
	v_mul_lo_u16 v70, 0xcd, v70
	v_mul_lo_u16 v80, 0xcd, v80
	v_lshrrev_b16 v82, 11, v82
	v_or_b32_sdwa v71, v9, v71 dst_sel:DWORD dst_unused:UNUSED_PAD src0_sel:BYTE_0 src1_sel:DWORD
	v_or_b32_sdwa v83, v84, v83 dst_sel:WORD_1 dst_unused:UNUSED_PAD src0_sel:DWORD src1_sel:DWORD
	v_lshrrev_b16 v70, 11, v70
	v_lshrrev_b16 v80, 11, v80
	v_mul_lo_u16 v84, 0xcd, v84
	v_lshlrev_b16 v81, 8, v112
	v_or_b32_sdwa v71, v71, v83 dst_sel:DWORD dst_unused:UNUSED_PAD src0_sel:WORD_0 src1_sel:DWORD
	v_and_b32_e32 v83, 0xff, v13
	v_cmp_lt_u16_e64 s4, v70, v80
	v_lshrrev_b16 v80, 11, v84
	v_lshlrev_b16 v70, 8, v7
	v_and_b32_e32 v7, 0xff, v7
	v_cndmask_b32_e64 v67, v116, v67, s4
	v_cmp_lt_u16_e64 s5, v82, v80
	v_lshlrev_b16 v82, 8, v101
	v_mul_lo_u16 v7, 0xcd, v7
	v_or_b32_sdwa v70, v67, v70 dst_sel:DWORD dst_unused:UNUSED_PAD src0_sel:BYTE_0 src1_sel:DWORD
	v_cndmask_b32_e64 v71, v9, v71, s5
	v_mul_lo_u16 v9, 0xcd, v83
	v_perm_b32 v13, v13, v67, 0xc0c0304
	v_lshrrev_b16 v83, 11, v7
	v_and_b32_e32 v70, 0xffff, v70
	v_cndmask_b32_e32 v7, v3, v2, vcc_lo
	v_lshrrev_b16 v9, 11, v9
	v_and_b32_sdwa v80, v71, v1 dst_sel:DWORD dst_unused:UNUSED_PAD src0_sel:WORD_1 src1_sel:DWORD
	v_or_b32_sdwa v2, v68, v81 dst_sel:WORD_1 dst_unused:UNUSED_PAD src0_sel:DWORD src1_sel:DWORD
	v_lshl_or_b32 v13, v13, 16, v70
	v_lshlrev_b16 v68, 8, v133
	v_cmp_lt_u16_e32 vcc_lo, v83, v9
	v_and_b32_e32 v9, 0xff, v133
	v_or_b32_sdwa v3, v80, v82 dst_sel:WORD_1 dst_unused:UNUSED_PAD src0_sel:DWORD src1_sel:DWORD
	v_and_b32_e32 v80, 0xff, v12
	v_and_or_b32 v2, 0xffff, v69, v2
	v_cndmask_b32_e32 v67, v67, v13, vcc_lo
	v_and_b32_e32 v13, 0xff, v129
	v_mul_lo_u16 v9, 0xcd, v9
	v_and_or_b32 v3, 0xffff, v71, v3
	v_perm_b32 v81, v129, v14, 0x3020104
	v_and_b32_sdwa v1, v67, v1 dst_sel:DWORD dst_unused:UNUSED_PAD src0_sel:WORD_1 src1_sel:DWORD
	v_mul_lo_u16 v70, 0xcd, v13
	v_and_b32_e32 v13, 0xff, v118
	v_lshrrev_b16 v9, 11, v9
	v_or_b32_sdwa v1, v1, v68 dst_sel:WORD_1 dst_unused:UNUSED_PAD src0_sel:DWORD src1_sel:DWORD
	v_lshrrev_b16 v68, 11, v70
	v_mul_lo_u16 v70, 0xcd, v80
	v_mul_lo_u16 v80, 0xcd, v13
	v_and_or_b32 v82, 0xffff, v67, v1
	v_cmp_lt_u16_e32 vcc_lo, v9, v68
	v_lshrrev_b16 v68, 11, v70
	v_lshrrev_b16 v70, 11, v80
	v_cndmask_b32_e64 v9, v69, v2, s6
	v_cndmask_b32_e64 v1, v71, v3, s4
	v_cndmask_b32_e32 v2, v67, v82, vcc_lo
	v_cndmask_b32_e32 v3, v14, v81, vcc_lo
	s_mov_b32 s4, exec_lo
	v_cmpx_lt_u16_e64 v68, v70
; %bb.7:
	v_and_b32_sdwa v10, v3, v10 dst_sel:DWORD dst_unused:UNUSED_PAD src0_sel:WORD_1 src1_sel:DWORD
	v_lshlrev_b16 v12, 8, v12
	v_or_b32_sdwa v10, v13, v10 dst_sel:WORD_1 dst_unused:UNUSED_PAD src0_sel:DWORD src1_sel:DWORD
	v_or_b32_sdwa v3, v3, v12 dst_sel:DWORD dst_unused:UNUSED_PAD src0_sel:BYTE_0 src1_sel:DWORD
	v_or_b32_sdwa v3, v3, v10 dst_sel:DWORD dst_unused:UNUSED_PAD src0_sel:WORD_0 src1_sel:DWORD
; %bb.8:
	s_or_b32 exec_lo, exec_lo, s4
.LBB691_9:
	s_or_b32 exec_lo, exec_lo, s20
	v_mbcnt_lo_u32_b32 v10, -1, 0
	v_and_b32_e32 v67, 0xfffffc00, v11
	s_mov_b32 s4, exec_lo
	v_lshlrev_b32_e32 v69, 5, v10
	v_sub_nc_u32_e64 v68, 0x2000, v67 clamp
	v_or_b32_e32 v10, 32, v69
	v_and_b32_e32 v11, 32, v69
	v_and_b32_e32 v97, 0x3c0, v69
	v_min_u32_e32 v70, v68, v10
	v_min_u32_e32 v14, v68, v11
	v_add_nc_u32_e32 v10, 32, v70
	v_sub_nc_u32_e32 v11, v70, v97
	v_min_u32_e32 v71, v68, v10
	v_sub_nc_u32_e32 v10, v71, v70
	v_sub_nc_u32_e64 v99, v14, v10 clamp
	v_min_u32_e32 v10, v14, v11
	v_or_b32_e32 v11, v67, v69
	ds_write_b128 v11, v[6:9]
	ds_write_b128 v11, v[0:3] offset:16
	; wave barrier
	v_cmpx_lt_u32_e64 v99, v10
	s_cbranch_execz .LBB691_13
; %bb.10:
	v_add_nc_u32_e32 v11, v67, v97
	v_add3_u32 v12, v67, v70, v14
	s_mov_b32 s5, 0
	.p2align	6
.LBB691_11:                             ; =>This Inner Loop Header: Depth=1
	v_add_nc_u32_e32 v13, v10, v99
	v_lshrrev_b32_e32 v13, 1, v13
	v_xad_u32 v80, v13, -1, v12
	v_add_nc_u32_e32 v81, v11, v13
	v_add_nc_u32_e32 v82, 1, v13
	ds_read_u8 v80, v80
	ds_read_u8 v81, v81
	s_waitcnt lgkmcnt(1)
	v_mul_lo_u16 v80, 0xcd, v80
	s_waitcnt lgkmcnt(0)
	v_mul_lo_u16 v81, 0xcd, v81
	v_lshrrev_b16 v80, 11, v80
	v_lshrrev_b16 v81, 11, v81
	v_cmp_lt_u16_e32 vcc_lo, v80, v81
	v_cndmask_b32_e32 v10, v10, v13, vcc_lo
	v_cndmask_b32_e32 v99, v82, v99, vcc_lo
	v_cmp_ge_u32_e32 vcc_lo, v99, v10
	s_or_b32 s5, vcc_lo, s5
	s_andn2_b32 exec_lo, exec_lo, s5
	s_cbranch_execnz .LBB691_11
; %bb.12:
	s_or_b32 exec_lo, exec_lo, s5
.LBB691_13:
	s_or_b32 exec_lo, exec_lo, s4
	v_add_nc_u32_e32 v115, v70, v14
	v_lshrrev_b64 v[10:11], 24, v[6:7]
	v_lshrrev_b64 v[11:12], 24, v[8:9]
	;; [unrolled: 1-line block ×4, first 2 shown]
	v_add_nc_u32_e32 v14, v99, v97
	v_sub_nc_u32_e32 v132, v115, v99
	v_lshrrev_b32_e32 v102, 8, v6
	v_lshrrev_b32_e32 v103, 16, v6
	;; [unrolled: 1-line block ×3, first 2 shown]
	v_cmp_le_u32_e32 vcc_lo, v14, v70
	v_cmp_le_u32_e64 s4, v132, v71
	v_lshrrev_b32_e32 v80, 16, v7
	v_lshrrev_b32_e32 v81, 24, v7
	;; [unrolled: 1-line block ×17, first 2 shown]
	v_mov_b32_e32 v115, v6
	v_mov_b32_e32 v118, v7
	;; [unrolled: 1-line block ×8, first 2 shown]
	s_or_b32 s4, vcc_lo, s4
	s_and_saveexec_b32 s5, s4
	s_cbranch_execz .LBB691_145
; %bb.14:
	s_mov_b32 s6, exec_lo
	v_cmp_ge_u32_e32 vcc_lo, v14, v70
                                        ; implicit-def: $vgpr0
	v_cmpx_lt_u32_e64 v14, v70
; %bb.15:
	v_add_nc_u32_e32 v0, v67, v14
	ds_read_u8 v0, v0
; %bb.16:
	s_or_b32 exec_lo, exec_lo, s6
	v_cmp_ge_u32_e64 s6, v132, v71
	s_mov_b32 s7, exec_lo
                                        ; implicit-def: $vgpr1
	v_cmpx_lt_u32_e64 v132, v71
; %bb.17:
	v_add_nc_u32_e32 v1, v67, v132
	ds_read_u8 v1, v1
; %bb.18:
	s_or_b32 exec_lo, exec_lo, s7
	s_nor_b32 s7, vcc_lo, s6
	s_and_saveexec_b32 s4, s7
	s_cbranch_execz .LBB691_20
; %bb.19:
	s_waitcnt lgkmcnt(0)
	v_and_b32_e32 v2, 0xff, v1
	v_and_b32_e32 v3, 0xff, v0
	s_andn2_b32 s6, s6, exec_lo
	v_mul_lo_u16 v2, 0xcd, v2
	v_mul_lo_u16 v3, 0xcd, v3
	v_lshrrev_b16 v2, 11, v2
	v_lshrrev_b16 v3, 11, v3
	v_cmp_ge_u16_e32 vcc_lo, v2, v3
	s_and_b32 s7, vcc_lo, exec_lo
	s_or_b32 s6, s6, s7
.LBB691_20:
	s_or_b32 exec_lo, exec_lo, s4
	v_cndmask_b32_e64 v2, v132, v14, s6
	v_cndmask_b32_e64 v3, v71, v70, s6
	s_mov_b32 s4, -1
	s_mov_b32 s7, -1
	s_mov_b32 s10, exec_lo
	v_add_nc_u32_e32 v2, 1, v2
	v_add_nc_u32_e32 v3, -1, v3
	v_cndmask_b32_e64 v6, v2, v132, s6
	v_min_u32_e32 v3, v2, v3
	v_cndmask_b32_e64 v7, v14, v2, s6
	v_add_nc_u32_e32 v3, v67, v3
	ds_read_u8 v3, v3
	s_waitcnt lgkmcnt(0)
	v_cndmask_b32_e64 v2, v3, v1, s6
	v_cndmask_b32_e64 v3, v0, v3, s6
	v_cmpx_lt_u32_e64 v6, v71
	s_cbranch_execz .LBB691_24
; %bb.21:
	s_mov_b32 s11, 0
	s_mov_b32 s7, exec_lo
	v_cmpx_lt_u32_e64 v7, v70
	s_cbranch_execz .LBB691_23
; %bb.22:
	v_and_b32_e32 v8, 0xff, v2
	v_and_b32_e32 v9, 0xff, v3
	v_mul_lo_u16 v8, 0xcd, v8
	v_mul_lo_u16 v9, 0xcd, v9
	v_lshrrev_b16 v8, 11, v8
	v_lshrrev_b16 v9, 11, v9
	v_cmp_ge_u16_e32 vcc_lo, v8, v9
	s_and_b32 s11, vcc_lo, exec_lo
.LBB691_23:
	s_or_b32 exec_lo, exec_lo, s7
	s_orn2_b32 s7, s11, exec_lo
.LBB691_24:
	s_or_b32 exec_lo, exec_lo, s10
	v_cndmask_b32_e64 v8, v6, v7, s7
	v_cndmask_b32_e64 v9, v71, v70, s7
	s_mov_b32 s10, exec_lo
	v_add_nc_u32_e32 v10, 1, v8
	v_add_nc_u32_e32 v8, -1, v9
	v_cndmask_b32_e64 v9, v7, v10, s7
	v_min_u32_e32 v8, v10, v8
	v_add_nc_u32_e32 v8, v67, v8
	ds_read_u8 v11, v8
	v_cndmask_b32_e64 v8, v10, v6, s7
	s_waitcnt lgkmcnt(0)
	v_cndmask_b32_e64 v6, v11, v2, s7
	v_cndmask_b32_e64 v7, v3, v11, s7
	v_cmpx_lt_u32_e64 v8, v71
	s_cbranch_execz .LBB691_28
; %bb.25:
	s_mov_b32 s11, 0
	s_mov_b32 s4, exec_lo
	v_cmpx_lt_u32_e64 v9, v70
	s_cbranch_execz .LBB691_27
; %bb.26:
	v_and_b32_e32 v10, 0xff, v6
	v_and_b32_e32 v11, 0xff, v7
	v_mul_lo_u16 v10, 0xcd, v10
	v_mul_lo_u16 v11, 0xcd, v11
	v_lshrrev_b16 v10, 11, v10
	v_lshrrev_b16 v11, 11, v11
	v_cmp_ge_u16_e32 vcc_lo, v10, v11
	s_and_b32 s11, vcc_lo, exec_lo
.LBB691_27:
	s_or_b32 exec_lo, exec_lo, s4
	s_orn2_b32 s4, s11, exec_lo
.LBB691_28:
	s_or_b32 exec_lo, exec_lo, s10
	v_cndmask_b32_e64 v10, v8, v9, s4
	v_cndmask_b32_e64 v11, v71, v70, s4
	s_mov_b32 s10, -1
	s_mov_b32 s11, -1
	s_mov_b32 s14, exec_lo
	v_add_nc_u32_e32 v12, 1, v10
	v_add_nc_u32_e32 v10, -1, v11
	v_cndmask_b32_e64 v11, v9, v12, s4
	v_min_u32_e32 v10, v12, v10
	v_add_nc_u32_e32 v10, v67, v10
	ds_read_u8 v13, v10
	v_cndmask_b32_e64 v10, v12, v8, s4
	s_waitcnt lgkmcnt(0)
	v_cndmask_b32_e64 v8, v13, v6, s4
	v_cndmask_b32_e64 v9, v7, v13, s4
	v_cmpx_lt_u32_e64 v10, v71
	s_cbranch_execz .LBB691_32
; %bb.29:
	s_mov_b32 s15, 0
	s_mov_b32 s11, exec_lo
	v_cmpx_lt_u32_e64 v11, v70
	s_cbranch_execz .LBB691_31
; %bb.30:
	v_and_b32_e32 v12, 0xff, v8
	v_and_b32_e32 v13, 0xff, v9
	v_mul_lo_u16 v12, 0xcd, v12
	v_mul_lo_u16 v13, 0xcd, v13
	v_lshrrev_b16 v12, 11, v12
	v_lshrrev_b16 v13, 11, v13
	v_cmp_ge_u16_e32 vcc_lo, v12, v13
	s_and_b32 s15, vcc_lo, exec_lo
.LBB691_31:
	s_or_b32 exec_lo, exec_lo, s11
	s_orn2_b32 s11, s15, exec_lo
.LBB691_32:
	s_or_b32 exec_lo, exec_lo, s14
	v_cndmask_b32_e64 v12, v10, v11, s11
	v_cndmask_b32_e64 v13, v71, v70, s11
	s_mov_b32 s14, exec_lo
	v_add_nc_u32_e32 v12, 1, v12
	v_add_nc_u32_e32 v13, -1, v13
	v_cndmask_b32_e64 v10, v12, v10, s11
	v_min_u32_e32 v13, v12, v13
	v_add_nc_u32_e32 v13, v67, v13
	ds_read_u8 v14, v13
	v_cndmask_b32_e64 v13, v11, v12, s11
	s_waitcnt lgkmcnt(0)
	v_cndmask_b32_e64 v11, v14, v8, s11
	v_cndmask_b32_e64 v12, v9, v14, s11
	v_cmpx_lt_u32_e64 v10, v71
	s_cbranch_execz .LBB691_36
; %bb.33:
	s_mov_b32 s15, 0
	s_mov_b32 s10, exec_lo
	v_cmpx_lt_u32_e64 v13, v70
	s_cbranch_execz .LBB691_35
; %bb.34:
	v_and_b32_e32 v14, 0xff, v11
	v_and_b32_e32 v80, 0xff, v12
	v_mul_lo_u16 v14, 0xcd, v14
	v_mul_lo_u16 v80, 0xcd, v80
	v_lshrrev_b16 v14, 11, v14
	v_lshrrev_b16 v80, 11, v80
	v_cmp_ge_u16_e32 vcc_lo, v14, v80
	s_and_b32 s15, vcc_lo, exec_lo
.LBB691_35:
	s_or_b32 exec_lo, exec_lo, s10
	s_orn2_b32 s10, s15, exec_lo
.LBB691_36:
	s_or_b32 exec_lo, exec_lo, s14
	v_cndmask_b32_e64 v14, v10, v13, s10
	v_cndmask_b32_e64 v80, v71, v70, s10
	s_mov_b32 s14, -1
	s_mov_b32 s15, -1
	s_mov_b32 s16, exec_lo
	v_add_nc_u32_e32 v14, 1, v14
	v_add_nc_u32_e32 v80, -1, v80
	v_cndmask_b32_e64 v10, v14, v10, s10
	v_min_u32_e32 v80, v14, v80
	v_add_nc_u32_e32 v80, v67, v80
	ds_read_u8 v81, v80
	v_cndmask_b32_e64 v80, v13, v14, s10
	s_waitcnt lgkmcnt(0)
	v_cndmask_b32_e64 v13, v81, v11, s10
	v_cndmask_b32_e64 v14, v12, v81, s10
	v_cmpx_lt_u32_e64 v10, v71
	s_cbranch_execz .LBB691_40
; %bb.37:
	s_mov_b32 s17, 0
	s_mov_b32 s15, exec_lo
	v_cmpx_lt_u32_e64 v80, v70
	s_cbranch_execz .LBB691_39
; %bb.38:
	v_and_b32_e32 v81, 0xff, v13
	v_and_b32_e32 v82, 0xff, v14
	v_mul_lo_u16 v81, 0xcd, v81
	v_mul_lo_u16 v82, 0xcd, v82
	v_lshrrev_b16 v81, 11, v81
	v_lshrrev_b16 v82, 11, v82
	v_cmp_ge_u16_e32 vcc_lo, v81, v82
	s_and_b32 s17, vcc_lo, exec_lo
.LBB691_39:
	s_or_b32 exec_lo, exec_lo, s15
	s_orn2_b32 s15, s17, exec_lo
.LBB691_40:
	s_or_b32 exec_lo, exec_lo, s16
	v_cndmask_b32_e64 v81, v10, v80, s15
	v_cndmask_b32_e64 v82, v71, v70, s15
	s_mov_b32 s16, exec_lo
	v_add_nc_u32_e32 v81, 1, v81
	v_add_nc_u32_e32 v82, -1, v82
	v_cndmask_b32_e64 v10, v81, v10, s15
	v_min_u32_e32 v82, v81, v82
	v_add_nc_u32_e32 v82, v67, v82
	ds_read_u8 v83, v82
	v_cndmask_b32_e64 v82, v80, v81, s15
	s_waitcnt lgkmcnt(0)
	v_cndmask_b32_e64 v80, v83, v13, s15
	v_cndmask_b32_e64 v81, v14, v83, s15
	v_cmpx_lt_u32_e64 v10, v71
	s_cbranch_execz .LBB691_44
; %bb.41:
	s_mov_b32 s17, 0
	s_mov_b32 s14, exec_lo
	v_cmpx_lt_u32_e64 v82, v70
	s_cbranch_execz .LBB691_43
; %bb.42:
	v_and_b32_e32 v83, 0xff, v80
	v_and_b32_e32 v84, 0xff, v81
	v_mul_lo_u16 v83, 0xcd, v83
	v_mul_lo_u16 v84, 0xcd, v84
	v_lshrrev_b16 v83, 11, v83
	v_lshrrev_b16 v84, 11, v84
	v_cmp_ge_u16_e32 vcc_lo, v83, v84
	s_and_b32 s17, vcc_lo, exec_lo
.LBB691_43:
	s_or_b32 exec_lo, exec_lo, s14
	s_orn2_b32 s14, s17, exec_lo
.LBB691_44:
	s_or_b32 exec_lo, exec_lo, s16
	v_cndmask_b32_e64 v83, v10, v82, s14
	v_cndmask_b32_e64 v84, v71, v70, s14
	s_mov_b32 s16, -1
	s_mov_b32 s17, -1
	s_mov_b32 s18, exec_lo
	v_add_nc_u32_e32 v83, 1, v83
	v_add_nc_u32_e32 v84, -1, v84
	v_cndmask_b32_e64 v10, v83, v10, s14
	v_min_u32_e32 v84, v83, v84
	v_add_nc_u32_e32 v84, v67, v84
	ds_read_u8 v85, v84
	v_cndmask_b32_e64 v84, v82, v83, s14
	s_waitcnt lgkmcnt(0)
	v_cndmask_b32_e64 v82, v85, v80, s14
	v_cndmask_b32_e64 v83, v81, v85, s14
	v_cmpx_lt_u32_e64 v10, v71
	s_cbranch_execz .LBB691_48
; %bb.45:
	s_mov_b32 s20, 0
	s_mov_b32 s17, exec_lo
	v_cmpx_lt_u32_e64 v84, v70
	s_cbranch_execz .LBB691_47
; %bb.46:
	v_and_b32_e32 v85, 0xff, v82
	v_and_b32_e32 v86, 0xff, v83
	v_mul_lo_u16 v85, 0xcd, v85
	v_mul_lo_u16 v86, 0xcd, v86
	v_lshrrev_b16 v85, 11, v85
	v_lshrrev_b16 v86, 11, v86
	v_cmp_ge_u16_e32 vcc_lo, v85, v86
	s_and_b32 s20, vcc_lo, exec_lo
.LBB691_47:
	s_or_b32 exec_lo, exec_lo, s17
	s_orn2_b32 s17, s20, exec_lo
.LBB691_48:
	s_or_b32 exec_lo, exec_lo, s18
	v_cndmask_b32_e64 v85, v10, v84, s17
	v_cndmask_b32_e64 v86, v71, v70, s17
	s_mov_b32 s18, exec_lo
	v_add_nc_u32_e32 v85, 1, v85
	v_add_nc_u32_e32 v86, -1, v86
	v_cndmask_b32_e64 v10, v85, v10, s17
	v_min_u32_e32 v86, v85, v86
	v_add_nc_u32_e32 v86, v67, v86
	ds_read_u8 v87, v86
	v_cndmask_b32_e64 v86, v84, v85, s17
	s_waitcnt lgkmcnt(0)
	v_cndmask_b32_e64 v84, v87, v82, s17
	v_cndmask_b32_e64 v85, v83, v87, s17
	v_cmpx_lt_u32_e64 v10, v71
	s_cbranch_execz .LBB691_52
; %bb.49:
	s_mov_b32 s20, 0
	s_mov_b32 s16, exec_lo
	v_cmpx_lt_u32_e64 v86, v70
	s_cbranch_execz .LBB691_51
; %bb.50:
	v_and_b32_e32 v87, 0xff, v84
	v_and_b32_e32 v96, 0xff, v85
	v_mul_lo_u16 v87, 0xcd, v87
	v_mul_lo_u16 v96, 0xcd, v96
	v_lshrrev_b16 v87, 11, v87
	v_lshrrev_b16 v96, 11, v96
	v_cmp_ge_u16_e32 vcc_lo, v87, v96
	s_and_b32 s20, vcc_lo, exec_lo
.LBB691_51:
	s_or_b32 exec_lo, exec_lo, s16
	s_orn2_b32 s16, s20, exec_lo
.LBB691_52:
	s_or_b32 exec_lo, exec_lo, s18
	v_cndmask_b32_e64 v87, v10, v86, s16
	v_cndmask_b32_e64 v96, v71, v70, s16
	s_mov_b32 s18, -1
	s_mov_b32 s20, -1
	s_mov_b32 s21, exec_lo
	v_add_nc_u32_e32 v87, 1, v87
	v_add_nc_u32_e32 v96, -1, v96
	v_cndmask_b32_e64 v10, v87, v10, s16
	v_min_u32_e32 v96, v87, v96
	v_add_nc_u32_e32 v96, v67, v96
	ds_read_u8 v97, v96
	v_cndmask_b32_e64 v96, v86, v87, s16
	s_waitcnt lgkmcnt(0)
	v_cndmask_b32_e64 v86, v97, v84, s16
	v_cndmask_b32_e64 v87, v85, v97, s16
	v_cmpx_lt_u32_e64 v10, v71
	s_cbranch_execz .LBB691_56
; %bb.53:
	s_mov_b32 s22, 0
	s_mov_b32 s20, exec_lo
	v_cmpx_lt_u32_e64 v96, v70
	s_cbranch_execz .LBB691_55
; %bb.54:
	v_and_b32_e32 v97, 0xff, v86
	v_and_b32_e32 v98, 0xff, v87
	v_mul_lo_u16 v97, 0xcd, v97
	v_mul_lo_u16 v98, 0xcd, v98
	v_lshrrev_b16 v97, 11, v97
	v_lshrrev_b16 v98, 11, v98
	v_cmp_ge_u16_e32 vcc_lo, v97, v98
	s_and_b32 s22, vcc_lo, exec_lo
.LBB691_55:
	s_or_b32 exec_lo, exec_lo, s20
	s_orn2_b32 s20, s22, exec_lo
.LBB691_56:
	s_or_b32 exec_lo, exec_lo, s21
	v_cndmask_b32_e64 v97, v10, v96, s20
	v_cndmask_b32_e64 v98, v71, v70, s20
	s_mov_b32 s21, exec_lo
	v_add_nc_u32_e32 v97, 1, v97
	v_add_nc_u32_e32 v98, -1, v98
	v_cndmask_b32_e64 v10, v97, v10, s20
	v_min_u32_e32 v98, v97, v98
	v_add_nc_u32_e32 v98, v67, v98
	ds_read_u8 v99, v98
	v_cndmask_b32_e64 v98, v96, v97, s20
	s_waitcnt lgkmcnt(0)
	v_cndmask_b32_e64 v96, v99, v86, s20
	v_cndmask_b32_e64 v97, v87, v99, s20
	v_cmpx_lt_u32_e64 v10, v71
	s_cbranch_execz .LBB691_60
; %bb.57:
	s_mov_b32 s22, 0
	s_mov_b32 s18, exec_lo
	v_cmpx_lt_u32_e64 v98, v70
	s_cbranch_execz .LBB691_59
; %bb.58:
	v_and_b32_e32 v99, 0xff, v96
	v_and_b32_e32 v100, 0xff, v97
	v_mul_lo_u16 v99, 0xcd, v99
	v_mul_lo_u16 v100, 0xcd, v100
	v_lshrrev_b16 v99, 11, v99
	v_lshrrev_b16 v100, 11, v100
	v_cmp_ge_u16_e32 vcc_lo, v99, v100
	s_and_b32 s22, vcc_lo, exec_lo
.LBB691_59:
	s_or_b32 exec_lo, exec_lo, s18
	s_orn2_b32 s18, s22, exec_lo
.LBB691_60:
	s_or_b32 exec_lo, exec_lo, s21
	v_cndmask_b32_e64 v99, v10, v98, s18
	v_cndmask_b32_e64 v100, v71, v70, s18
	s_mov_b32 s21, -1
	s_mov_b32 s22, -1
	s_mov_b32 s23, exec_lo
	v_add_nc_u32_e32 v99, 1, v99
	v_add_nc_u32_e32 v100, -1, v100
	v_cndmask_b32_e64 v10, v99, v10, s18
	v_min_u32_e32 v100, v99, v100
	v_cndmask_b32_e64 v99, v98, v99, s18
	v_add_nc_u32_e32 v100, v67, v100
	ds_read_u8 v100, v100
	s_waitcnt lgkmcnt(0)
	v_cndmask_b32_e64 v98, v100, v96, s18
	v_cndmask_b32_e64 v100, v97, v100, s18
	v_cmpx_lt_u32_e64 v10, v71
	s_cbranch_execz .LBB691_64
; %bb.61:
	s_mov_b32 s24, 0
	s_mov_b32 s22, exec_lo
	v_cmpx_lt_u32_e64 v99, v70
	s_cbranch_execz .LBB691_63
; %bb.62:
	v_and_b32_e32 v101, 0xff, v98
	v_and_b32_e32 v102, 0xff, v100
	v_mul_lo_u16 v101, 0xcd, v101
	v_mul_lo_u16 v102, 0xcd, v102
	v_lshrrev_b16 v101, 11, v101
	v_lshrrev_b16 v102, 11, v102
	v_cmp_ge_u16_e32 vcc_lo, v101, v102
	s_and_b32 s24, vcc_lo, exec_lo
.LBB691_63:
	s_or_b32 exec_lo, exec_lo, s22
	s_orn2_b32 s22, s24, exec_lo
.LBB691_64:
	s_or_b32 exec_lo, exec_lo, s23
	v_cndmask_b32_e64 v101, v10, v99, s22
	v_cndmask_b32_e64 v102, v71, v70, s22
	s_mov_b32 s23, exec_lo
	v_add_nc_u32_e32 v101, 1, v101
	v_add_nc_u32_e32 v102, -1, v102
	v_cndmask_b32_e64 v10, v101, v10, s22
	v_min_u32_e32 v102, v101, v102
	v_cndmask_b32_e64 v99, v99, v101, s22
	v_add_nc_u32_e32 v102, v67, v102
	ds_read_u8 v102, v102
	s_waitcnt lgkmcnt(0)
	v_cndmask_b32_e64 v101, v102, v98, s22
	v_cndmask_b32_e64 v112, v100, v102, s22
	v_cmpx_lt_u32_e64 v10, v71
	s_cbranch_execz .LBB691_68
; %bb.65:
	s_mov_b32 s24, 0
	s_mov_b32 s21, exec_lo
	v_cmpx_lt_u32_e64 v99, v70
	s_cbranch_execz .LBB691_67
; %bb.66:
	v_and_b32_e32 v102, 0xff, v101
	v_and_b32_e32 v103, 0xff, v112
	v_mul_lo_u16 v102, 0xcd, v102
	v_mul_lo_u16 v103, 0xcd, v103
	v_lshrrev_b16 v102, 11, v102
	v_lshrrev_b16 v103, 11, v103
	v_cmp_ge_u16_e32 vcc_lo, v102, v103
	s_and_b32 s24, vcc_lo, exec_lo
.LBB691_67:
	s_or_b32 exec_lo, exec_lo, s21
	s_orn2_b32 s21, s24, exec_lo
.LBB691_68:
	s_or_b32 exec_lo, exec_lo, s23
	v_cndmask_b32_e64 v102, v10, v99, s21
	v_cndmask_b32_e64 v103, v71, v70, s21
	s_mov_b32 s23, -1
	s_mov_b32 s24, -1
	s_mov_b32 s25, exec_lo
	v_add_nc_u32_e32 v102, 1, v102
	v_add_nc_u32_e32 v103, -1, v103
	v_cndmask_b32_e64 v10, v102, v10, s21
	v_min_u32_e32 v103, v102, v103
	v_cndmask_b32_e64 v99, v99, v102, s21
	v_add_nc_u32_e32 v103, v67, v103
	ds_read_u8 v103, v103
	s_waitcnt lgkmcnt(0)
	v_cndmask_b32_e64 v113, v103, v101, s21
	v_cndmask_b32_e64 v116, v112, v103, s21
	v_cmpx_lt_u32_e64 v10, v71
	s_cbranch_execz .LBB691_72
; %bb.69:
	s_mov_b32 s26, 0
	s_mov_b32 s24, exec_lo
	v_cmpx_lt_u32_e64 v99, v70
	s_cbranch_execz .LBB691_71
; %bb.70:
	v_and_b32_e32 v102, 0xff, v113
	v_and_b32_e32 v103, 0xff, v116
	v_mul_lo_u16 v102, 0xcd, v102
	v_mul_lo_u16 v103, 0xcd, v103
	v_lshrrev_b16 v102, 11, v102
	v_lshrrev_b16 v103, 11, v103
	v_cmp_ge_u16_e32 vcc_lo, v102, v103
	s_and_b32 s26, vcc_lo, exec_lo
.LBB691_71:
	s_or_b32 exec_lo, exec_lo, s24
	s_orn2_b32 s24, s26, exec_lo
.LBB691_72:
	s_or_b32 exec_lo, exec_lo, s25
	v_cndmask_b32_e64 v102, v10, v99, s24
	v_cndmask_b32_e64 v103, v71, v70, s24
	s_mov_b32 s25, exec_lo
	v_add_nc_u32_e32 v102, 1, v102
	v_add_nc_u32_e32 v103, -1, v103
	v_cndmask_b32_e64 v10, v102, v10, s24
	v_min_u32_e32 v103, v102, v103
	v_cndmask_b32_e64 v99, v99, v102, s24
	v_add_nc_u32_e32 v103, v67, v103
	ds_read_u8 v103, v103
	s_waitcnt lgkmcnt(0)
	v_cndmask_b32_e64 v117, v103, v113, s24
	v_cndmask_b32_e64 v128, v116, v103, s24
	v_cmpx_lt_u32_e64 v10, v71
	s_cbranch_execz .LBB691_76
; %bb.73:
	s_mov_b32 s26, 0
	s_mov_b32 s23, exec_lo
	v_cmpx_lt_u32_e64 v99, v70
	s_cbranch_execz .LBB691_75
; %bb.74:
	v_and_b32_e32 v102, 0xff, v117
	v_and_b32_e32 v103, 0xff, v128
	v_mul_lo_u16 v102, 0xcd, v102
	v_mul_lo_u16 v103, 0xcd, v103
	v_lshrrev_b16 v102, 11, v102
	v_lshrrev_b16 v103, 11, v103
	v_cmp_ge_u16_e32 vcc_lo, v102, v103
	s_and_b32 s26, vcc_lo, exec_lo
.LBB691_75:
	s_or_b32 exec_lo, exec_lo, s23
	s_orn2_b32 s23, s26, exec_lo
.LBB691_76:
	s_or_b32 exec_lo, exec_lo, s25
	v_cndmask_b32_e64 v102, v10, v99, s23
	v_cndmask_b32_e64 v103, v71, v70, s23
	s_mov_b32 s25, -1
	s_mov_b32 s26, -1
	s_mov_b32 s27, exec_lo
	v_add_nc_u32_e32 v102, 1, v102
	v_add_nc_u32_e32 v103, -1, v103
	v_cndmask_b32_e64 v10, v102, v10, s23
	v_min_u32_e32 v103, v102, v103
	v_cndmask_b32_e64 v99, v99, v102, s23
	v_add_nc_u32_e32 v103, v67, v103
	ds_read_u8 v103, v103
	s_waitcnt lgkmcnt(0)
	v_cndmask_b32_e64 v129, v103, v117, s23
	v_cndmask_b32_e64 v131, v128, v103, s23
	v_cmpx_lt_u32_e64 v10, v71
	s_cbranch_execz .LBB691_80
; %bb.77:
	s_mov_b32 s28, 0
	s_mov_b32 s26, exec_lo
	v_cmpx_lt_u32_e64 v99, v70
	s_cbranch_execz .LBB691_79
; %bb.78:
	v_and_b32_e32 v102, 0xff, v129
	v_and_b32_e32 v103, 0xff, v131
	v_mul_lo_u16 v102, 0xcd, v102
	v_mul_lo_u16 v103, 0xcd, v103
	v_lshrrev_b16 v102, 11, v102
	v_lshrrev_b16 v103, 11, v103
	v_cmp_ge_u16_e32 vcc_lo, v102, v103
	s_and_b32 s28, vcc_lo, exec_lo
.LBB691_79:
	s_or_b32 exec_lo, exec_lo, s26
	s_orn2_b32 s26, s28, exec_lo
.LBB691_80:
	s_or_b32 exec_lo, exec_lo, s27
	v_cndmask_b32_e64 v102, v10, v99, s26
	v_cndmask_b32_e64 v103, v71, v70, s26
	s_mov_b32 s27, exec_lo
	v_add_nc_u32_e32 v102, 1, v102
	v_add_nc_u32_e32 v103, -1, v103
	v_cndmask_b32_e64 v10, v102, v10, s26
	v_min_u32_e32 v103, v102, v103
	v_cndmask_b32_e64 v99, v99, v102, s26
	v_add_nc_u32_e32 v103, v67, v103
	ds_read_u8 v103, v103
	s_waitcnt lgkmcnt(0)
	v_cndmask_b32_e64 v132, v103, v129, s26
	v_cndmask_b32_e64 v133, v131, v103, s26
	v_cmpx_lt_u32_e64 v10, v71
	s_cbranch_execz .LBB691_84
; %bb.81:
	s_mov_b32 s28, 0
	s_mov_b32 s25, exec_lo
	v_cmpx_lt_u32_e64 v99, v70
	s_cbranch_execz .LBB691_83
; %bb.82:
	v_and_b32_e32 v102, 0xff, v132
	v_and_b32_e32 v103, 0xff, v133
	v_mul_lo_u16 v102, 0xcd, v102
	v_mul_lo_u16 v103, 0xcd, v103
	v_lshrrev_b16 v102, 11, v102
	v_lshrrev_b16 v103, 11, v103
	v_cmp_ge_u16_e32 vcc_lo, v102, v103
	s_and_b32 s28, vcc_lo, exec_lo
.LBB691_83:
	s_or_b32 exec_lo, exec_lo, s25
	s_orn2_b32 s25, s28, exec_lo
.LBB691_84:
	s_or_b32 exec_lo, exec_lo, s27
	v_cndmask_b32_e64 v102, v10, v99, s25
	v_cndmask_b32_e64 v103, v71, v70, s25
	s_mov_b32 s27, -1
	s_mov_b32 s28, -1
	s_mov_b32 s29, exec_lo
	v_add_nc_u32_e32 v102, 1, v102
	v_add_nc_u32_e32 v103, -1, v103
	v_cndmask_b32_e64 v10, v102, v10, s25
	v_min_u32_e32 v103, v102, v103
	v_cndmask_b32_e64 v99, v99, v102, s25
	v_add_nc_u32_e32 v103, v67, v103
	ds_read_u8 v103, v103
	s_waitcnt lgkmcnt(0)
	v_cndmask_b32_e64 v134, v103, v132, s25
	v_cndmask_b32_e64 v135, v133, v103, s25
	v_cmpx_lt_u32_e64 v10, v71
	s_cbranch_execz .LBB691_88
; %bb.85:
	s_mov_b32 s40, 0
	s_mov_b32 s28, exec_lo
	v_cmpx_lt_u32_e64 v99, v70
	s_cbranch_execz .LBB691_87
; %bb.86:
	v_and_b32_e32 v102, 0xff, v134
	v_and_b32_e32 v103, 0xff, v135
	v_mul_lo_u16 v102, 0xcd, v102
	v_mul_lo_u16 v103, 0xcd, v103
	v_lshrrev_b16 v102, 11, v102
	v_lshrrev_b16 v103, 11, v103
	v_cmp_ge_u16_e32 vcc_lo, v102, v103
	s_and_b32 s40, vcc_lo, exec_lo
.LBB691_87:
	s_or_b32 exec_lo, exec_lo, s28
	s_orn2_b32 s28, s40, exec_lo
.LBB691_88:
	s_or_b32 exec_lo, exec_lo, s29
	v_cndmask_b32_e64 v102, v10, v99, s28
	v_cndmask_b32_e64 v103, v71, v70, s28
	s_mov_b32 s29, exec_lo
	v_add_nc_u32_e32 v102, 1, v102
	v_add_nc_u32_e32 v103, -1, v103
	v_cndmask_b32_e64 v10, v102, v10, s28
	v_min_u32_e32 v103, v102, v103
	v_cndmask_b32_e64 v99, v99, v102, s28
	v_add_nc_u32_e32 v103, v67, v103
	ds_read_u8 v103, v103
	s_waitcnt lgkmcnt(0)
	v_cndmask_b32_e64 v144, v103, v134, s28
	v_cndmask_b32_e64 v145, v135, v103, s28
	v_cmpx_lt_u32_e64 v10, v71
	s_cbranch_execz .LBB691_92
; %bb.89:
	s_mov_b32 s40, 0
	s_mov_b32 s27, exec_lo
	v_cmpx_lt_u32_e64 v99, v70
	s_cbranch_execz .LBB691_91
; %bb.90:
	v_and_b32_e32 v102, 0xff, v144
	v_and_b32_e32 v103, 0xff, v145
	v_mul_lo_u16 v102, 0xcd, v102
	v_mul_lo_u16 v103, 0xcd, v103
	v_lshrrev_b16 v102, 11, v102
	v_lshrrev_b16 v103, 11, v103
	v_cmp_ge_u16_e32 vcc_lo, v102, v103
	s_and_b32 s40, vcc_lo, exec_lo
.LBB691_91:
	s_or_b32 exec_lo, exec_lo, s27
	s_orn2_b32 s27, s40, exec_lo
.LBB691_92:
	s_or_b32 exec_lo, exec_lo, s29
	v_cndmask_b32_e64 v102, v10, v99, s27
	v_cndmask_b32_e64 v103, v71, v70, s27
	s_mov_b32 s29, -1
	s_mov_b32 s40, -1
	s_mov_b32 s41, exec_lo
	v_add_nc_u32_e32 v102, 1, v102
	v_add_nc_u32_e32 v103, -1, v103
	v_cndmask_b32_e64 v10, v102, v10, s27
	v_min_u32_e32 v103, v102, v103
	v_cndmask_b32_e64 v99, v99, v102, s27
	v_add_nc_u32_e32 v103, v67, v103
	ds_read_u8 v103, v103
	s_waitcnt lgkmcnt(0)
	v_cndmask_b32_e64 v146, v103, v144, s27
	v_cndmask_b32_e64 v147, v145, v103, s27
	v_cmpx_lt_u32_e64 v10, v71
	s_cbranch_execz .LBB691_96
; %bb.93:
	s_mov_b32 s42, 0
	s_mov_b32 s40, exec_lo
	v_cmpx_lt_u32_e64 v99, v70
	s_cbranch_execz .LBB691_95
; %bb.94:
	v_and_b32_e32 v102, 0xff, v146
	v_and_b32_e32 v103, 0xff, v147
	v_mul_lo_u16 v102, 0xcd, v102
	v_mul_lo_u16 v103, 0xcd, v103
	v_lshrrev_b16 v102, 11, v102
	v_lshrrev_b16 v103, 11, v103
	v_cmp_ge_u16_e32 vcc_lo, v102, v103
	s_and_b32 s42, vcc_lo, exec_lo
.LBB691_95:
	s_or_b32 exec_lo, exec_lo, s40
	s_orn2_b32 s40, s42, exec_lo
.LBB691_96:
	s_or_b32 exec_lo, exec_lo, s41
	v_cndmask_b32_e64 v102, v10, v99, s40
	v_cndmask_b32_e64 v103, v71, v70, s40
	s_mov_b32 s41, exec_lo
	v_add_nc_u32_e32 v102, 1, v102
	v_add_nc_u32_e32 v103, -1, v103
	v_cndmask_b32_e64 v10, v102, v10, s40
	v_min_u32_e32 v103, v102, v103
	v_cndmask_b32_e64 v99, v99, v102, s40
	v_add_nc_u32_e32 v103, v67, v103
	ds_read_u8 v103, v103
	s_waitcnt lgkmcnt(0)
	v_cndmask_b32_e64 v148, v103, v146, s40
	v_cndmask_b32_e64 v149, v147, v103, s40
	v_cmpx_lt_u32_e64 v10, v71
	s_cbranch_execz .LBB691_100
; %bb.97:
	s_mov_b32 s42, 0
	s_mov_b32 s29, exec_lo
	v_cmpx_lt_u32_e64 v99, v70
	s_cbranch_execz .LBB691_99
; %bb.98:
	v_and_b32_e32 v102, 0xff, v148
	v_and_b32_e32 v103, 0xff, v149
	v_mul_lo_u16 v102, 0xcd, v102
	v_mul_lo_u16 v103, 0xcd, v103
	v_lshrrev_b16 v102, 11, v102
	v_lshrrev_b16 v103, 11, v103
	v_cmp_ge_u16_e32 vcc_lo, v102, v103
	s_and_b32 s42, vcc_lo, exec_lo
.LBB691_99:
	s_or_b32 exec_lo, exec_lo, s29
	s_orn2_b32 s29, s42, exec_lo
.LBB691_100:
	s_or_b32 exec_lo, exec_lo, s41
	v_cndmask_b32_e64 v102, v10, v99, s29
	v_cndmask_b32_e64 v103, v71, v70, s29
	s_mov_b32 s41, -1
	s_mov_b32 s42, -1
	s_mov_b32 s43, exec_lo
	v_add_nc_u32_e32 v102, 1, v102
	v_add_nc_u32_e32 v103, -1, v103
	v_cndmask_b32_e64 v10, v102, v10, s29
	v_min_u32_e32 v103, v102, v103
	v_cndmask_b32_e64 v99, v99, v102, s29
	v_add_nc_u32_e32 v103, v67, v103
	ds_read_u8 v103, v103
	s_waitcnt lgkmcnt(0)
	v_cndmask_b32_e64 v150, v103, v148, s29
	v_cndmask_b32_e64 v151, v149, v103, s29
	v_cmpx_lt_u32_e64 v10, v71
	s_cbranch_execz .LBB691_104
; %bb.101:
	s_mov_b32 s44, 0
	s_mov_b32 s42, exec_lo
	v_cmpx_lt_u32_e64 v99, v70
	s_cbranch_execz .LBB691_103
; %bb.102:
	v_and_b32_e32 v102, 0xff, v150
	v_and_b32_e32 v103, 0xff, v151
	v_mul_lo_u16 v102, 0xcd, v102
	v_mul_lo_u16 v103, 0xcd, v103
	v_lshrrev_b16 v102, 11, v102
	v_lshrrev_b16 v103, 11, v103
	v_cmp_ge_u16_e32 vcc_lo, v102, v103
	s_and_b32 s44, vcc_lo, exec_lo
.LBB691_103:
	s_or_b32 exec_lo, exec_lo, s42
	s_orn2_b32 s42, s44, exec_lo
.LBB691_104:
	s_or_b32 exec_lo, exec_lo, s43
	v_cndmask_b32_e64 v102, v10, v99, s42
	v_cndmask_b32_e64 v103, v71, v70, s42
	s_mov_b32 s43, exec_lo
	v_add_nc_u32_e32 v102, 1, v102
	v_add_nc_u32_e32 v103, -1, v103
	v_cndmask_b32_e64 v10, v102, v10, s42
	v_min_u32_e32 v103, v102, v103
	v_cndmask_b32_e64 v99, v99, v102, s42
	v_add_nc_u32_e32 v103, v67, v103
	ds_read_u8 v103, v103
	s_waitcnt lgkmcnt(0)
	v_cndmask_b32_e64 v160, v103, v150, s42
	v_cndmask_b32_e64 v161, v151, v103, s42
	v_cmpx_lt_u32_e64 v10, v71
	s_cbranch_execz .LBB691_108
; %bb.105:
	s_mov_b32 s44, 0
	s_mov_b32 s41, exec_lo
	v_cmpx_lt_u32_e64 v99, v70
	s_cbranch_execz .LBB691_107
; %bb.106:
	v_and_b32_e32 v102, 0xff, v160
	v_and_b32_e32 v103, 0xff, v161
	v_mul_lo_u16 v102, 0xcd, v102
	v_mul_lo_u16 v103, 0xcd, v103
	v_lshrrev_b16 v102, 11, v102
	v_lshrrev_b16 v103, 11, v103
	v_cmp_ge_u16_e32 vcc_lo, v102, v103
	s_and_b32 s44, vcc_lo, exec_lo
.LBB691_107:
	s_or_b32 exec_lo, exec_lo, s41
	s_orn2_b32 s41, s44, exec_lo
.LBB691_108:
	s_or_b32 exec_lo, exec_lo, s43
	v_cndmask_b32_e64 v102, v10, v99, s41
	v_cndmask_b32_e64 v103, v71, v70, s41
	s_mov_b32 s43, -1
	s_mov_b32 s44, -1
	s_mov_b32 s45, exec_lo
	v_add_nc_u32_e32 v102, 1, v102
	v_add_nc_u32_e32 v103, -1, v103
	v_cndmask_b32_e64 v10, v102, v10, s41
	v_min_u32_e32 v103, v102, v103
	v_cndmask_b32_e64 v99, v99, v102, s41
	v_add_nc_u32_e32 v103, v67, v103
	ds_read_u8 v103, v103
	s_waitcnt lgkmcnt(0)
	v_cndmask_b32_e64 v162, v103, v160, s41
	v_cndmask_b32_e64 v163, v161, v103, s41
	v_cmpx_lt_u32_e64 v10, v71
	s_cbranch_execz .LBB691_112
; %bb.109:
	s_mov_b32 s46, 0
	s_mov_b32 s44, exec_lo
	v_cmpx_lt_u32_e64 v99, v70
	s_cbranch_execz .LBB691_111
; %bb.110:
	v_and_b32_e32 v102, 0xff, v162
	v_and_b32_e32 v103, 0xff, v163
	v_mul_lo_u16 v102, 0xcd, v102
	v_mul_lo_u16 v103, 0xcd, v103
	v_lshrrev_b16 v102, 11, v102
	v_lshrrev_b16 v103, 11, v103
	v_cmp_ge_u16_e32 vcc_lo, v102, v103
	s_and_b32 s46, vcc_lo, exec_lo
.LBB691_111:
	s_or_b32 exec_lo, exec_lo, s44
	s_orn2_b32 s44, s46, exec_lo
.LBB691_112:
	s_or_b32 exec_lo, exec_lo, s45
	v_cndmask_b32_e64 v102, v10, v99, s44
	v_cndmask_b32_e64 v103, v71, v70, s44
	s_mov_b32 s45, exec_lo
	v_add_nc_u32_e32 v102, 1, v102
	v_add_nc_u32_e32 v103, -1, v103
	v_cndmask_b32_e64 v10, v102, v10, s44
	v_min_u32_e32 v103, v102, v103
	v_cndmask_b32_e64 v99, v99, v102, s44
	v_add_nc_u32_e32 v103, v67, v103
	ds_read_u8 v103, v103
	s_waitcnt lgkmcnt(0)
	v_cndmask_b32_e64 v164, v103, v162, s44
	v_cndmask_b32_e64 v165, v163, v103, s44
	v_cmpx_lt_u32_e64 v10, v71
	s_cbranch_execz .LBB691_116
; %bb.113:
	s_mov_b32 s46, 0
	s_mov_b32 s43, exec_lo
	v_cmpx_lt_u32_e64 v99, v70
	s_cbranch_execz .LBB691_115
; %bb.114:
	v_and_b32_e32 v102, 0xff, v164
	v_and_b32_e32 v103, 0xff, v165
	v_mul_lo_u16 v102, 0xcd, v102
	v_mul_lo_u16 v103, 0xcd, v103
	v_lshrrev_b16 v102, 11, v102
	v_lshrrev_b16 v103, 11, v103
	v_cmp_ge_u16_e32 vcc_lo, v102, v103
	s_and_b32 s46, vcc_lo, exec_lo
.LBB691_115:
	s_or_b32 exec_lo, exec_lo, s43
	s_orn2_b32 s43, s46, exec_lo
.LBB691_116:
	s_or_b32 exec_lo, exec_lo, s45
	v_cndmask_b32_e64 v102, v10, v99, s43
	v_cndmask_b32_e64 v103, v71, v70, s43
	s_mov_b32 s45, -1
	s_mov_b32 s46, -1
	s_mov_b32 s47, exec_lo
	v_add_nc_u32_e32 v102, 1, v102
	v_add_nc_u32_e32 v103, -1, v103
	v_cndmask_b32_e64 v10, v102, v10, s43
	v_min_u32_e32 v103, v102, v103
	v_cndmask_b32_e64 v99, v99, v102, s43
	v_add_nc_u32_e32 v103, v67, v103
	ds_read_u8 v103, v103
	s_waitcnt lgkmcnt(0)
	v_cndmask_b32_e64 v166, v103, v164, s43
	v_cndmask_b32_e64 v167, v165, v103, s43
	v_cmpx_lt_u32_e64 v10, v71
	s_cbranch_execz .LBB691_120
; %bb.117:
	s_mov_b32 s56, 0
	s_mov_b32 s46, exec_lo
	v_cmpx_lt_u32_e64 v99, v70
	s_cbranch_execz .LBB691_119
; %bb.118:
	v_and_b32_e32 v102, 0xff, v166
	v_and_b32_e32 v103, 0xff, v167
	v_mul_lo_u16 v102, 0xcd, v102
	v_mul_lo_u16 v103, 0xcd, v103
	v_lshrrev_b16 v102, 11, v102
	v_lshrrev_b16 v103, 11, v103
	v_cmp_ge_u16_e32 vcc_lo, v102, v103
	s_and_b32 s56, vcc_lo, exec_lo
.LBB691_119:
	s_or_b32 exec_lo, exec_lo, s46
	s_orn2_b32 s46, s56, exec_lo
.LBB691_120:
	s_or_b32 exec_lo, exec_lo, s47
	v_cndmask_b32_e64 v102, v10, v99, s46
	v_cndmask_b32_e64 v103, v71, v70, s46
	s_mov_b32 s47, exec_lo
	v_add_nc_u32_e32 v102, 1, v102
	v_add_nc_u32_e32 v103, -1, v103
	v_cndmask_b32_e64 v10, v102, v10, s46
	v_min_u32_e32 v103, v102, v103
	v_cndmask_b32_e64 v99, v99, v102, s46
	v_add_nc_u32_e32 v103, v67, v103
	ds_read_u8 v103, v103
	s_waitcnt lgkmcnt(0)
	v_cndmask_b32_e64 v176, v103, v166, s46
	v_cndmask_b32_e64 v177, v167, v103, s46
	v_cmpx_lt_u32_e64 v10, v71
	s_cbranch_execz .LBB691_124
; %bb.121:
	s_mov_b32 s56, 0
	s_mov_b32 s45, exec_lo
	v_cmpx_lt_u32_e64 v99, v70
	s_cbranch_execz .LBB691_123
; %bb.122:
	v_and_b32_e32 v102, 0xff, v176
	v_and_b32_e32 v103, 0xff, v177
	v_mul_lo_u16 v102, 0xcd, v102
	v_mul_lo_u16 v103, 0xcd, v103
	v_lshrrev_b16 v102, 11, v102
	v_lshrrev_b16 v103, 11, v103
	v_cmp_ge_u16_e32 vcc_lo, v102, v103
	s_and_b32 s56, vcc_lo, exec_lo
.LBB691_123:
	s_or_b32 exec_lo, exec_lo, s45
	s_orn2_b32 s45, s56, exec_lo
.LBB691_124:
	s_or_b32 exec_lo, exec_lo, s47
	v_cndmask_b32_e64 v102, v10, v99, s45
	v_cndmask_b32_e64 v103, v71, v70, s45
	s_mov_b32 s47, -1
	s_mov_b32 s56, -1
	s_mov_b32 s57, exec_lo
	v_add_nc_u32_e32 v102, 1, v102
	v_add_nc_u32_e32 v103, -1, v103
	v_cndmask_b32_e64 v10, v102, v10, s45
	v_min_u32_e32 v103, v102, v103
	v_cndmask_b32_e64 v99, v99, v102, s45
	v_add_nc_u32_e32 v103, v67, v103
	ds_read_u8 v103, v103
	s_waitcnt lgkmcnt(0)
	v_cndmask_b32_e64 v178, v103, v176, s45
	v_cndmask_b32_e64 v179, v177, v103, s45
	v_cmpx_lt_u32_e64 v10, v71
	s_cbranch_execz .LBB691_128
; %bb.125:
	s_mov_b32 s58, 0
	s_mov_b32 s56, exec_lo
	v_cmpx_lt_u32_e64 v99, v70
	s_cbranch_execz .LBB691_127
; %bb.126:
	v_and_b32_e32 v102, 0xff, v178
	v_and_b32_e32 v103, 0xff, v179
	v_mul_lo_u16 v102, 0xcd, v102
	v_mul_lo_u16 v103, 0xcd, v103
	v_lshrrev_b16 v102, 11, v102
	v_lshrrev_b16 v103, 11, v103
	v_cmp_ge_u16_e32 vcc_lo, v102, v103
	s_and_b32 s58, vcc_lo, exec_lo
.LBB691_127:
	s_or_b32 exec_lo, exec_lo, s56
	s_orn2_b32 s56, s58, exec_lo
.LBB691_128:
	s_or_b32 exec_lo, exec_lo, s57
	v_cndmask_b32_e64 v102, v10, v99, s56
	v_cndmask_b32_e64 v103, v71, v70, s56
	s_mov_b32 s57, exec_lo
	v_add_nc_u32_e32 v102, 1, v102
	v_add_nc_u32_e32 v103, -1, v103
	v_cndmask_b32_e64 v10, v102, v10, s56
	v_min_u32_e32 v103, v102, v103
	v_cndmask_b32_e64 v99, v99, v102, s56
	v_add_nc_u32_e32 v103, v67, v103
	ds_read_u8 v103, v103
	s_waitcnt lgkmcnt(0)
	v_cndmask_b32_e64 v180, v103, v178, s56
	v_cndmask_b32_e64 v181, v179, v103, s56
	v_cmpx_lt_u32_e64 v10, v71
	s_cbranch_execz .LBB691_132
; %bb.129:
	s_mov_b32 s58, 0
	s_mov_b32 s47, exec_lo
	v_cmpx_lt_u32_e64 v99, v70
	s_cbranch_execz .LBB691_131
; %bb.130:
	v_and_b32_e32 v102, 0xff, v180
	v_and_b32_e32 v103, 0xff, v181
	v_mul_lo_u16 v102, 0xcd, v102
	v_mul_lo_u16 v103, 0xcd, v103
	v_lshrrev_b16 v102, 11, v102
	v_lshrrev_b16 v103, 11, v103
	v_cmp_ge_u16_e32 vcc_lo, v102, v103
	s_and_b32 s58, vcc_lo, exec_lo
.LBB691_131:
	s_or_b32 exec_lo, exec_lo, s47
	s_orn2_b32 s47, s58, exec_lo
.LBB691_132:
	s_or_b32 exec_lo, exec_lo, s57
	v_cndmask_b32_e64 v102, v10, v99, s47
	v_cndmask_b32_e64 v103, v71, v70, s47
	s_mov_b32 s57, -1
	s_mov_b32 s58, -1
	s_mov_b32 s59, exec_lo
	v_add_nc_u32_e32 v102, 1, v102
	v_add_nc_u32_e32 v103, -1, v103
	v_cndmask_b32_e64 v10, v102, v10, s47
	v_min_u32_e32 v103, v102, v103
	v_cndmask_b32_e64 v99, v99, v102, s47
	v_add_nc_u32_e32 v103, v67, v103
	ds_read_u8 v103, v103
	s_waitcnt lgkmcnt(0)
	v_cndmask_b32_e64 v182, v103, v180, s47
	v_cndmask_b32_e64 v183, v181, v103, s47
	v_cmpx_lt_u32_e64 v10, v71
	s_cbranch_execz .LBB691_136
; %bb.133:
	s_mov_b32 s60, 0
	s_mov_b32 s58, exec_lo
	v_cmpx_lt_u32_e64 v99, v70
	s_cbranch_execz .LBB691_135
; %bb.134:
	v_and_b32_e32 v102, 0xff, v182
	v_and_b32_e32 v103, 0xff, v183
	v_mul_lo_u16 v102, 0xcd, v102
	v_mul_lo_u16 v103, 0xcd, v103
	v_lshrrev_b16 v102, 11, v102
	v_lshrrev_b16 v103, 11, v103
	v_cmp_ge_u16_e32 vcc_lo, v102, v103
	s_and_b32 s60, vcc_lo, exec_lo
.LBB691_135:
	s_or_b32 exec_lo, exec_lo, s58
	s_orn2_b32 s58, s60, exec_lo
.LBB691_136:
	s_or_b32 exec_lo, exec_lo, s59
	v_cndmask_b32_e64 v102, v10, v99, s58
	v_cndmask_b32_e64 v103, v71, v70, s58
	s_mov_b32 s59, exec_lo
	v_add_nc_u32_e32 v114, 1, v102
	v_add_nc_u32_e32 v102, -1, v103
	v_min_u32_e32 v102, v114, v102
	v_add_nc_u32_e32 v102, v67, v102
	ds_read_u8 v103, v102
	v_cndmask_b32_e64 v102, v114, v10, s58
	v_cndmask_b32_e64 v10, v99, v114, s58
	s_waitcnt lgkmcnt(0)
	v_cndmask_b32_e64 v192, v103, v182, s58
	v_cndmask_b32_e64 v193, v183, v103, s58
	v_cmpx_lt_u32_e64 v102, v71
	s_cbranch_execz .LBB691_140
; %bb.137:
	s_mov_b32 s60, 0
	s_mov_b32 s57, exec_lo
	v_cmpx_lt_u32_e64 v10, v70
	s_cbranch_execz .LBB691_139
; %bb.138:
	v_and_b32_e32 v99, 0xff, v192
	v_and_b32_e32 v103, 0xff, v193
	v_mul_lo_u16 v99, 0xcd, v99
	v_mul_lo_u16 v103, 0xcd, v103
	v_lshrrev_b16 v99, 11, v99
	v_lshrrev_b16 v103, 11, v103
	v_cmp_ge_u16_e32 vcc_lo, v99, v103
	s_and_b32 s60, vcc_lo, exec_lo
.LBB691_139:
	s_or_b32 exec_lo, exec_lo, s57
	s_orn2_b32 s57, s60, exec_lo
.LBB691_140:
	s_or_b32 exec_lo, exec_lo, s59
	v_cndmask_b32_e64 v99, v102, v10, s57
	v_cndmask_b32_e64 v114, v71, v70, s57
	s_mov_b32 s59, exec_lo
	v_add_nc_u32_e32 v103, 1, v99
	v_add_nc_u32_e32 v99, -1, v114
	v_cndmask_b32_e64 v102, v103, v102, s57
	v_min_u32_e32 v99, v103, v99
	v_add_nc_u32_e32 v99, v67, v99
	ds_read_u8 v114, v99
	s_waitcnt lgkmcnt(0)
	v_cndmask_b32_e64 v99, v193, v114, s57
	v_cmpx_lt_u32_e64 v102, v71
	s_cbranch_execz .LBB691_144
; %bb.141:
	v_cndmask_b32_e64 v71, v10, v103, s57
	v_cndmask_b32_e64 v10, v114, v192, s57
	s_mov_b32 s60, exec_lo
	v_cmpx_lt_u32_e64 v71, v70
	s_cbranch_execz .LBB691_143
; %bb.142:
	v_and_b32_e32 v70, 0xff, v10
	v_and_b32_e32 v71, 0xff, v99
	v_mul_lo_u16 v70, 0xcd, v70
	v_mul_lo_u16 v71, 0xcd, v71
	v_lshrrev_b16 v70, 11, v70
	v_lshrrev_b16 v71, 11, v71
	v_cmp_lt_u16_e32 vcc_lo, v70, v71
	v_cndmask_b32_e32 v10, v99, v10, vcc_lo
.LBB691_143:
	s_or_b32 exec_lo, exec_lo, s60
	v_mov_b32_e32 v99, v10
.LBB691_144:
	s_or_b32 exec_lo, exec_lo, s59
	v_cndmask_b32_e64 v114, v13, v14, s15
	v_cndmask_b32_e64 v80, v80, v81, s14
	;; [unrolled: 1-line block ×23, first 2 shown]
	v_lshlrev_b16 v0, 8, v101
	v_lshlrev_b16 v1, 8, v13
	;; [unrolled: 1-line block ×4, first 2 shown]
	v_cndmask_b32_e64 v103, v6, v7, s4
	v_cndmask_b32_e64 v10, v8, v9, s11
	;; [unrolled: 1-line block ×5, first 2 shown]
	v_or_b32_sdwa v0, v117, v0 dst_sel:DWORD dst_unused:UNUSED_PAD src0_sel:BYTE_0 src1_sel:DWORD
	v_or_b32_sdwa v1, v113, v1 dst_sel:WORD_1 dst_unused:UNUSED_PAD src0_sel:BYTE_0 src1_sel:DWORD
	v_or_b32_sdwa v6, v116, v2 dst_sel:DWORD dst_unused:UNUSED_PAD src0_sel:BYTE_0 src1_sel:DWORD
	v_or_b32_sdwa v3, v87, v3 dst_sel:WORD_1 dst_unused:UNUSED_PAD src0_sel:BYTE_0 src1_sel:DWORD
	v_lshlrev_b16 v7, 8, v84
	v_lshlrev_b16 v8, 8, v12
	v_cndmask_b32_e64 v128, v182, v183, s58
	v_or_b32_sdwa v2, v0, v1 dst_sel:DWORD dst_unused:UNUSED_PAD src0_sel:WORD_0 src1_sel:DWORD
	v_or_b32_sdwa v1, v6, v3 dst_sel:DWORD dst_unused:UNUSED_PAD src0_sel:WORD_0 src1_sel:DWORD
	v_or_b32_sdwa v0, v97, v7 dst_sel:DWORD dst_unused:UNUSED_PAD src0_sel:BYTE_0 src1_sel:DWORD
	v_or_b32_sdwa v3, v85, v8 dst_sel:WORD_1 dst_unused:UNUSED_PAD src0_sel:BYTE_0 src1_sel:DWORD
	v_lshlrev_b16 v6, 8, v98
	v_lshlrev_b16 v7, 8, v112
	;; [unrolled: 1-line block ×4, first 2 shown]
	v_cndmask_b32_e64 v129, v180, v181, s47
	v_or_b32_sdwa v0, v0, v3 dst_sel:DWORD dst_unused:UNUSED_PAD src0_sel:WORD_0 src1_sel:DWORD
	v_or_b32_sdwa v3, v130, v6 dst_sel:DWORD dst_unused:UNUSED_PAD src0_sel:BYTE_0 src1_sel:DWORD
	v_or_b32_sdwa v6, v100, v7 dst_sel:WORD_1 dst_unused:UNUSED_PAD src0_sel:BYTE_0 src1_sel:DWORD
	v_or_b32_sdwa v7, v119, v8 dst_sel:DWORD dst_unused:UNUSED_PAD src0_sel:BYTE_0 src1_sel:DWORD
	v_or_b32_sdwa v8, v83, v9 dst_sel:WORD_1 dst_unused:UNUSED_PAD src0_sel:BYTE_0 src1_sel:DWORD
	v_lshlrev_b16 v9, 8, v128
	v_cndmask_b32_e64 v131, v192, v193, s57
	v_lshlrev_b16 v14, 8, v114
	v_lshlrev_b16 v70, 8, v81
	;; [unrolled: 1-line block ×4, first 2 shown]
	v_or_b32_sdwa v9, v129, v9 dst_sel:DWORD dst_unused:UNUSED_PAD src0_sel:BYTE_0 src1_sel:DWORD
	v_or_b32_sdwa v14, v118, v14 dst_sel:DWORD dst_unused:UNUSED_PAD src0_sel:BYTE_0 src1_sel:DWORD
	v_or_b32_sdwa v70, v80, v70 dst_sel:WORD_1 dst_unused:UNUSED_PAD src0_sel:BYTE_0 src1_sel:DWORD
	v_or_b32_sdwa v71, v115, v71 dst_sel:DWORD dst_unused:UNUSED_PAD src0_sel:BYTE_0 src1_sel:DWORD
	v_or_b32_sdwa v132, v103, v132 dst_sel:WORD_1 dst_unused:UNUSED_PAD src0_sel:BYTE_0 src1_sel:DWORD
	v_and_b32_e32 v133, 0xffff, v9
	v_perm_b32 v134, v131, v99, 0xc0c0004
	v_or_b32_sdwa v9, v3, v6 dst_sel:DWORD dst_unused:UNUSED_PAD src0_sel:WORD_0 src1_sel:DWORD
	v_or_b32_sdwa v8, v7, v8 dst_sel:DWORD dst_unused:UNUSED_PAD src0_sel:WORD_0 src1_sel:DWORD
	;; [unrolled: 1-line block ×4, first 2 shown]
	v_lshl_or_b32 v3, v134, 16, v133
.LBB691_145:
	s_or_b32 exec_lo, exec_lo, s5
	v_perm_b32 v70, v130, v98, 0xc0c0004
	v_perm_b32 v71, v100, v112, 0xc0c0004
	v_and_b32_e32 v132, 0x380, v69
	v_perm_b32 v133, v119, v82, 0xc0c0004
	v_perm_b32 v134, v118, v114, 0xc0c0004
	;; [unrolled: 1-line block ×3, first 2 shown]
	v_lshl_or_b32 v147, v71, 16, v70
	v_or_b32_e32 v70, 64, v132
	v_perm_b32 v71, v83, v11, 0xc0c0004
	v_perm_b32 v144, v115, v102, 0xc0c0004
	;; [unrolled: 1-line block ×4, first 2 shown]
	v_min_u32_e32 v70, v68, v70
	v_lshl_or_b32 v146, v71, 16, v133
	v_and_b32_e32 v133, 0x60, v69
	v_perm_b32 v150, v131, v99, 0xc0c0004
	v_lshl_or_b32 v145, v135, 16, v134
	v_add_nc_u32_e32 v71, 64, v70
	v_perm_b32 v134, v117, v101, 0xc0c0004
	v_perm_b32 v135, v113, v13, 0xc0c0004
	v_min_u32_e32 v133, v68, v133
	v_sub_nc_u32_e32 v161, v70, v132
	v_min_u32_e32 v71, v68, v71
	v_lshl_or_b32 v144, v148, 16, v144
	v_lshl_or_b32 v151, v150, 16, v149
	v_perm_b32 v148, v116, v86, 0xc0c0004
	v_perm_b32 v149, v87, v96, 0xc0c0004
	v_sub_nc_u32_e32 v160, v71, v70
	v_perm_b32 v162, v97, v84, 0xc0c0004
	v_perm_b32 v163, v85, v12, 0xc0c0004
	v_add_nc_u32_e32 v14, v67, v69
	v_lshl_or_b32 v150, v135, 16, v134
	v_sub_nc_u32_e64 v134, v133, v160 clamp
	v_min_u32_e32 v135, v133, v161
	v_lshl_or_b32 v149, v149, 16, v148
	v_lshl_or_b32 v148, v163, 16, v162
	s_mov_b32 s4, exec_lo
	; wave barrier
	ds_write_b128 v14, v[144:147]
	ds_write_b128 v14, v[148:151] offset:16
	; wave barrier
	v_cmpx_lt_u32_e64 v134, v135
	s_cbranch_execz .LBB691_149
; %bb.146:
	v_add_nc_u32_e32 v144, v67, v132
	v_add3_u32 v145, v67, v70, v133
	s_mov_b32 s5, 0
	.p2align	6
.LBB691_147:                            ; =>This Inner Loop Header: Depth=1
	v_add_nc_u32_e32 v146, v135, v134
	v_lshrrev_b32_e32 v146, 1, v146
	v_xad_u32 v147, v146, -1, v145
	v_add_nc_u32_e32 v148, v144, v146
	v_add_nc_u32_e32 v149, 1, v146
	ds_read_u8 v147, v147
	ds_read_u8 v148, v148
	s_waitcnt lgkmcnt(1)
	v_mul_lo_u16 v147, 0xcd, v147
	s_waitcnt lgkmcnt(0)
	v_mul_lo_u16 v148, 0xcd, v148
	v_lshrrev_b16 v147, 11, v147
	v_lshrrev_b16 v148, 11, v148
	v_cmp_lt_u16_e32 vcc_lo, v147, v148
	v_cndmask_b32_e32 v135, v135, v146, vcc_lo
	v_cndmask_b32_e32 v134, v149, v134, vcc_lo
	v_cmp_ge_u32_e32 vcc_lo, v134, v135
	s_or_b32 s5, vcc_lo, s5
	s_andn2_b32 exec_lo, exec_lo, s5
	s_cbranch_execnz .LBB691_147
; %bb.148:
	s_or_b32 exec_lo, exec_lo, s5
.LBB691_149:
	s_or_b32 exec_lo, exec_lo, s4
	v_add_nc_u32_e32 v133, v70, v133
	v_add_nc_u32_e32 v132, v134, v132
	v_sub_nc_u32_e32 v133, v133, v134
	v_cmp_le_u32_e32 vcc_lo, v132, v70
	v_cmp_le_u32_e64 s4, v133, v71
	s_or_b32 s4, vcc_lo, s4
	s_and_saveexec_b32 s5, s4
	s_cbranch_execz .LBB691_281
; %bb.150:
	s_mov_b32 s6, exec_lo
	v_cmp_ge_u32_e32 vcc_lo, v132, v70
                                        ; implicit-def: $vgpr0
	v_cmpx_lt_u32_e64 v132, v70
; %bb.151:
	v_add_nc_u32_e32 v0, v67, v132
	ds_read_u8 v0, v0
; %bb.152:
	s_or_b32 exec_lo, exec_lo, s6
	v_cmp_ge_u32_e64 s6, v133, v71
	s_mov_b32 s7, exec_lo
                                        ; implicit-def: $vgpr1
	v_cmpx_lt_u32_e64 v133, v71
; %bb.153:
	v_add_nc_u32_e32 v1, v67, v133
	ds_read_u8 v1, v1
; %bb.154:
	s_or_b32 exec_lo, exec_lo, s7
	s_nor_b32 s7, vcc_lo, s6
	s_and_saveexec_b32 s4, s7
	s_cbranch_execz .LBB691_156
; %bb.155:
	s_waitcnt lgkmcnt(0)
	v_and_b32_e32 v2, 0xff, v1
	v_and_b32_e32 v3, 0xff, v0
	s_andn2_b32 s6, s6, exec_lo
	v_mul_lo_u16 v2, 0xcd, v2
	v_mul_lo_u16 v3, 0xcd, v3
	v_lshrrev_b16 v2, 11, v2
	v_lshrrev_b16 v3, 11, v3
	v_cmp_ge_u16_e32 vcc_lo, v2, v3
	s_and_b32 s7, vcc_lo, exec_lo
	s_or_b32 s6, s6, s7
.LBB691_156:
	s_or_b32 exec_lo, exec_lo, s4
	v_cndmask_b32_e64 v2, v133, v132, s6
	v_cndmask_b32_e64 v3, v71, v70, s6
	s_mov_b32 s4, -1
	s_mov_b32 s7, -1
	s_mov_b32 s10, exec_lo
	v_add_nc_u32_e32 v2, 1, v2
	v_add_nc_u32_e32 v3, -1, v3
	v_cndmask_b32_e64 v6, v2, v133, s6
	v_min_u32_e32 v3, v2, v3
	v_cndmask_b32_e64 v7, v132, v2, s6
	v_add_nc_u32_e32 v3, v67, v3
	ds_read_u8 v3, v3
	s_waitcnt lgkmcnt(0)
	v_cndmask_b32_e64 v2, v3, v1, s6
	v_cndmask_b32_e64 v3, v0, v3, s6
	v_cmpx_lt_u32_e64 v6, v71
	s_cbranch_execz .LBB691_160
; %bb.157:
	s_mov_b32 s11, 0
	s_mov_b32 s7, exec_lo
	v_cmpx_lt_u32_e64 v7, v70
	s_cbranch_execz .LBB691_159
; %bb.158:
	v_and_b32_e32 v8, 0xff, v2
	v_and_b32_e32 v9, 0xff, v3
	v_mul_lo_u16 v8, 0xcd, v8
	v_mul_lo_u16 v9, 0xcd, v9
	v_lshrrev_b16 v8, 11, v8
	v_lshrrev_b16 v9, 11, v9
	v_cmp_ge_u16_e32 vcc_lo, v8, v9
	s_and_b32 s11, vcc_lo, exec_lo
.LBB691_159:
	s_or_b32 exec_lo, exec_lo, s7
	s_orn2_b32 s7, s11, exec_lo
.LBB691_160:
	s_or_b32 exec_lo, exec_lo, s10
	v_cndmask_b32_e64 v8, v6, v7, s7
	v_cndmask_b32_e64 v9, v71, v70, s7
	s_mov_b32 s10, exec_lo
	v_add_nc_u32_e32 v10, 1, v8
	v_add_nc_u32_e32 v8, -1, v9
	v_cndmask_b32_e64 v9, v7, v10, s7
	v_min_u32_e32 v8, v10, v8
	v_add_nc_u32_e32 v8, v67, v8
	ds_read_u8 v11, v8
	v_cndmask_b32_e64 v8, v10, v6, s7
	s_waitcnt lgkmcnt(0)
	v_cndmask_b32_e64 v6, v11, v2, s7
	v_cndmask_b32_e64 v7, v3, v11, s7
	v_cmpx_lt_u32_e64 v8, v71
	s_cbranch_execz .LBB691_164
; %bb.161:
	s_mov_b32 s11, 0
	s_mov_b32 s4, exec_lo
	v_cmpx_lt_u32_e64 v9, v70
	s_cbranch_execz .LBB691_163
; %bb.162:
	v_and_b32_e32 v10, 0xff, v6
	v_and_b32_e32 v11, 0xff, v7
	v_mul_lo_u16 v10, 0xcd, v10
	v_mul_lo_u16 v11, 0xcd, v11
	v_lshrrev_b16 v10, 11, v10
	v_lshrrev_b16 v11, 11, v11
	v_cmp_ge_u16_e32 vcc_lo, v10, v11
	s_and_b32 s11, vcc_lo, exec_lo
.LBB691_163:
	s_or_b32 exec_lo, exec_lo, s4
	s_orn2_b32 s4, s11, exec_lo
.LBB691_164:
	s_or_b32 exec_lo, exec_lo, s10
	v_cndmask_b32_e64 v10, v8, v9, s4
	v_cndmask_b32_e64 v11, v71, v70, s4
	s_mov_b32 s10, -1
	s_mov_b32 s11, -1
	s_mov_b32 s14, exec_lo
	v_add_nc_u32_e32 v12, 1, v10
	v_add_nc_u32_e32 v10, -1, v11
	v_cndmask_b32_e64 v11, v9, v12, s4
	v_min_u32_e32 v10, v12, v10
	v_add_nc_u32_e32 v10, v67, v10
	ds_read_u8 v13, v10
	v_cndmask_b32_e64 v10, v12, v8, s4
	s_waitcnt lgkmcnt(0)
	v_cndmask_b32_e64 v8, v13, v6, s4
	v_cndmask_b32_e64 v9, v7, v13, s4
	v_cmpx_lt_u32_e64 v10, v71
	s_cbranch_execz .LBB691_168
; %bb.165:
	s_mov_b32 s15, 0
	s_mov_b32 s11, exec_lo
	v_cmpx_lt_u32_e64 v11, v70
	s_cbranch_execz .LBB691_167
; %bb.166:
	v_and_b32_e32 v12, 0xff, v8
	v_and_b32_e32 v13, 0xff, v9
	v_mul_lo_u16 v12, 0xcd, v12
	v_mul_lo_u16 v13, 0xcd, v13
	v_lshrrev_b16 v12, 11, v12
	v_lshrrev_b16 v13, 11, v13
	v_cmp_ge_u16_e32 vcc_lo, v12, v13
	s_and_b32 s15, vcc_lo, exec_lo
.LBB691_167:
	s_or_b32 exec_lo, exec_lo, s11
	s_orn2_b32 s11, s15, exec_lo
.LBB691_168:
	s_or_b32 exec_lo, exec_lo, s14
	v_cndmask_b32_e64 v12, v10, v11, s11
	v_cndmask_b32_e64 v13, v71, v70, s11
	s_mov_b32 s14, exec_lo
	v_add_nc_u32_e32 v12, 1, v12
	v_add_nc_u32_e32 v13, -1, v13
	v_cndmask_b32_e64 v10, v12, v10, s11
	v_min_u32_e32 v13, v12, v13
	v_add_nc_u32_e32 v13, v67, v13
	ds_read_u8 v80, v13
	v_cndmask_b32_e64 v13, v11, v12, s11
	s_waitcnt lgkmcnt(0)
	v_cndmask_b32_e64 v11, v80, v8, s11
	v_cndmask_b32_e64 v12, v9, v80, s11
	v_cmpx_lt_u32_e64 v10, v71
	s_cbranch_execz .LBB691_172
; %bb.169:
	s_mov_b32 s15, 0
	s_mov_b32 s10, exec_lo
	v_cmpx_lt_u32_e64 v13, v70
	s_cbranch_execz .LBB691_171
; %bb.170:
	v_and_b32_e32 v80, 0xff, v11
	v_and_b32_e32 v81, 0xff, v12
	v_mul_lo_u16 v80, 0xcd, v80
	v_mul_lo_u16 v81, 0xcd, v81
	v_lshrrev_b16 v80, 11, v80
	v_lshrrev_b16 v81, 11, v81
	v_cmp_ge_u16_e32 vcc_lo, v80, v81
	s_and_b32 s15, vcc_lo, exec_lo
.LBB691_171:
	s_or_b32 exec_lo, exec_lo, s10
	s_orn2_b32 s10, s15, exec_lo
.LBB691_172:
	s_or_b32 exec_lo, exec_lo, s14
	v_cndmask_b32_e64 v80, v10, v13, s10
	v_cndmask_b32_e64 v81, v71, v70, s10
	s_mov_b32 s14, -1
	s_mov_b32 s15, -1
	s_mov_b32 s16, exec_lo
	v_add_nc_u32_e32 v80, 1, v80
	v_add_nc_u32_e32 v81, -1, v81
	v_cndmask_b32_e64 v10, v80, v10, s10
	v_min_u32_e32 v81, v80, v81
	v_add_nc_u32_e32 v81, v67, v81
	ds_read_u8 v82, v81
	v_cndmask_b32_e64 v81, v13, v80, s10
	s_waitcnt lgkmcnt(0)
	v_cndmask_b32_e64 v13, v82, v11, s10
	v_cndmask_b32_e64 v80, v12, v82, s10
	v_cmpx_lt_u32_e64 v10, v71
	s_cbranch_execz .LBB691_176
; %bb.173:
	s_mov_b32 s17, 0
	s_mov_b32 s15, exec_lo
	v_cmpx_lt_u32_e64 v81, v70
	s_cbranch_execz .LBB691_175
; %bb.174:
	v_and_b32_e32 v82, 0xff, v13
	v_and_b32_e32 v83, 0xff, v80
	v_mul_lo_u16 v82, 0xcd, v82
	v_mul_lo_u16 v83, 0xcd, v83
	v_lshrrev_b16 v82, 11, v82
	v_lshrrev_b16 v83, 11, v83
	v_cmp_ge_u16_e32 vcc_lo, v82, v83
	s_and_b32 s17, vcc_lo, exec_lo
.LBB691_175:
	s_or_b32 exec_lo, exec_lo, s15
	s_orn2_b32 s15, s17, exec_lo
.LBB691_176:
	s_or_b32 exec_lo, exec_lo, s16
	v_cndmask_b32_e64 v82, v10, v81, s15
	v_cndmask_b32_e64 v83, v71, v70, s15
	s_mov_b32 s16, exec_lo
	v_add_nc_u32_e32 v82, 1, v82
	v_add_nc_u32_e32 v83, -1, v83
	v_cndmask_b32_e64 v10, v82, v10, s15
	v_min_u32_e32 v83, v82, v83
	v_add_nc_u32_e32 v83, v67, v83
	ds_read_u8 v84, v83
	v_cndmask_b32_e64 v83, v81, v82, s15
	s_waitcnt lgkmcnt(0)
	v_cndmask_b32_e64 v81, v84, v13, s15
	v_cndmask_b32_e64 v82, v80, v84, s15
	v_cmpx_lt_u32_e64 v10, v71
	s_cbranch_execz .LBB691_180
; %bb.177:
	s_mov_b32 s17, 0
	s_mov_b32 s14, exec_lo
	v_cmpx_lt_u32_e64 v83, v70
	s_cbranch_execz .LBB691_179
; %bb.178:
	v_and_b32_e32 v84, 0xff, v81
	v_and_b32_e32 v85, 0xff, v82
	v_mul_lo_u16 v84, 0xcd, v84
	v_mul_lo_u16 v85, 0xcd, v85
	v_lshrrev_b16 v84, 11, v84
	v_lshrrev_b16 v85, 11, v85
	v_cmp_ge_u16_e32 vcc_lo, v84, v85
	s_and_b32 s17, vcc_lo, exec_lo
.LBB691_179:
	s_or_b32 exec_lo, exec_lo, s14
	s_orn2_b32 s14, s17, exec_lo
.LBB691_180:
	s_or_b32 exec_lo, exec_lo, s16
	v_cndmask_b32_e64 v84, v10, v83, s14
	v_cndmask_b32_e64 v85, v71, v70, s14
	s_mov_b32 s16, -1
	s_mov_b32 s17, -1
	s_mov_b32 s18, exec_lo
	v_add_nc_u32_e32 v84, 1, v84
	v_add_nc_u32_e32 v85, -1, v85
	v_cndmask_b32_e64 v10, v84, v10, s14
	v_min_u32_e32 v85, v84, v85
	v_add_nc_u32_e32 v85, v67, v85
	ds_read_u8 v86, v85
	v_cndmask_b32_e64 v85, v83, v84, s14
	s_waitcnt lgkmcnt(0)
	v_cndmask_b32_e64 v83, v86, v81, s14
	v_cndmask_b32_e64 v84, v82, v86, s14
	v_cmpx_lt_u32_e64 v10, v71
	s_cbranch_execz .LBB691_184
; %bb.181:
	s_mov_b32 s20, 0
	s_mov_b32 s17, exec_lo
	v_cmpx_lt_u32_e64 v85, v70
	s_cbranch_execz .LBB691_183
; %bb.182:
	v_and_b32_e32 v86, 0xff, v83
	v_and_b32_e32 v87, 0xff, v84
	v_mul_lo_u16 v86, 0xcd, v86
	v_mul_lo_u16 v87, 0xcd, v87
	v_lshrrev_b16 v86, 11, v86
	v_lshrrev_b16 v87, 11, v87
	v_cmp_ge_u16_e32 vcc_lo, v86, v87
	s_and_b32 s20, vcc_lo, exec_lo
.LBB691_183:
	s_or_b32 exec_lo, exec_lo, s17
	s_orn2_b32 s17, s20, exec_lo
.LBB691_184:
	s_or_b32 exec_lo, exec_lo, s18
	v_cndmask_b32_e64 v86, v10, v85, s17
	v_cndmask_b32_e64 v87, v71, v70, s17
	s_mov_b32 s18, exec_lo
	v_add_nc_u32_e32 v86, 1, v86
	v_add_nc_u32_e32 v87, -1, v87
	v_cndmask_b32_e64 v10, v86, v10, s17
	v_min_u32_e32 v87, v86, v87
	v_add_nc_u32_e32 v87, v67, v87
	ds_read_u8 v96, v87
	v_cndmask_b32_e64 v87, v85, v86, s17
	s_waitcnt lgkmcnt(0)
	v_cndmask_b32_e64 v85, v96, v83, s17
	v_cndmask_b32_e64 v86, v84, v96, s17
	v_cmpx_lt_u32_e64 v10, v71
	s_cbranch_execz .LBB691_188
; %bb.185:
	s_mov_b32 s20, 0
	s_mov_b32 s16, exec_lo
	v_cmpx_lt_u32_e64 v87, v70
	s_cbranch_execz .LBB691_187
; %bb.186:
	v_and_b32_e32 v96, 0xff, v85
	v_and_b32_e32 v97, 0xff, v86
	v_mul_lo_u16 v96, 0xcd, v96
	v_mul_lo_u16 v97, 0xcd, v97
	v_lshrrev_b16 v96, 11, v96
	v_lshrrev_b16 v97, 11, v97
	v_cmp_ge_u16_e32 vcc_lo, v96, v97
	s_and_b32 s20, vcc_lo, exec_lo
.LBB691_187:
	s_or_b32 exec_lo, exec_lo, s16
	s_orn2_b32 s16, s20, exec_lo
.LBB691_188:
	s_or_b32 exec_lo, exec_lo, s18
	v_cndmask_b32_e64 v96, v10, v87, s16
	v_cndmask_b32_e64 v97, v71, v70, s16
	s_mov_b32 s18, -1
	s_mov_b32 s20, -1
	s_mov_b32 s21, exec_lo
	v_add_nc_u32_e32 v96, 1, v96
	v_add_nc_u32_e32 v97, -1, v97
	v_cndmask_b32_e64 v10, v96, v10, s16
	v_min_u32_e32 v97, v96, v97
	v_add_nc_u32_e32 v97, v67, v97
	ds_read_u8 v98, v97
	v_cndmask_b32_e64 v97, v87, v96, s16
	s_waitcnt lgkmcnt(0)
	v_cndmask_b32_e64 v87, v98, v85, s16
	v_cndmask_b32_e64 v96, v86, v98, s16
	v_cmpx_lt_u32_e64 v10, v71
	s_cbranch_execz .LBB691_192
; %bb.189:
	s_mov_b32 s22, 0
	s_mov_b32 s20, exec_lo
	v_cmpx_lt_u32_e64 v97, v70
	s_cbranch_execz .LBB691_191
; %bb.190:
	v_and_b32_e32 v98, 0xff, v87
	v_and_b32_e32 v99, 0xff, v96
	v_mul_lo_u16 v98, 0xcd, v98
	v_mul_lo_u16 v99, 0xcd, v99
	v_lshrrev_b16 v98, 11, v98
	v_lshrrev_b16 v99, 11, v99
	v_cmp_ge_u16_e32 vcc_lo, v98, v99
	s_and_b32 s22, vcc_lo, exec_lo
.LBB691_191:
	s_or_b32 exec_lo, exec_lo, s20
	s_orn2_b32 s20, s22, exec_lo
.LBB691_192:
	s_or_b32 exec_lo, exec_lo, s21
	v_cndmask_b32_e64 v98, v10, v97, s20
	v_cndmask_b32_e64 v99, v71, v70, s20
	s_mov_b32 s21, exec_lo
	v_add_nc_u32_e32 v98, 1, v98
	v_add_nc_u32_e32 v99, -1, v99
	v_cndmask_b32_e64 v10, v98, v10, s20
	v_min_u32_e32 v99, v98, v99
	v_add_nc_u32_e32 v99, v67, v99
	ds_read_u8 v100, v99
	v_cndmask_b32_e64 v99, v97, v98, s20
	s_waitcnt lgkmcnt(0)
	v_cndmask_b32_e64 v97, v100, v87, s20
	v_cndmask_b32_e64 v98, v96, v100, s20
	v_cmpx_lt_u32_e64 v10, v71
	s_cbranch_execz .LBB691_196
; %bb.193:
	s_mov_b32 s22, 0
	s_mov_b32 s18, exec_lo
	v_cmpx_lt_u32_e64 v99, v70
	s_cbranch_execz .LBB691_195
; %bb.194:
	v_and_b32_e32 v100, 0xff, v97
	v_and_b32_e32 v101, 0xff, v98
	v_mul_lo_u16 v100, 0xcd, v100
	v_mul_lo_u16 v101, 0xcd, v101
	v_lshrrev_b16 v100, 11, v100
	v_lshrrev_b16 v101, 11, v101
	v_cmp_ge_u16_e32 vcc_lo, v100, v101
	s_and_b32 s22, vcc_lo, exec_lo
.LBB691_195:
	s_or_b32 exec_lo, exec_lo, s18
	s_orn2_b32 s18, s22, exec_lo
.LBB691_196:
	s_or_b32 exec_lo, exec_lo, s21
	v_cndmask_b32_e64 v100, v10, v99, s18
	v_cndmask_b32_e64 v101, v71, v70, s18
	s_mov_b32 s21, -1
	s_mov_b32 s22, -1
	s_mov_b32 s23, exec_lo
	v_add_nc_u32_e32 v100, 1, v100
	v_add_nc_u32_e32 v101, -1, v101
	v_cndmask_b32_e64 v10, v100, v10, s18
	v_min_u32_e32 v101, v100, v101
	v_cndmask_b32_e64 v99, v99, v100, s18
	v_add_nc_u32_e32 v101, v67, v101
	ds_read_u8 v101, v101
	s_waitcnt lgkmcnt(0)
	v_cndmask_b32_e64 v100, v101, v97, s18
	v_cndmask_b32_e64 v101, v98, v101, s18
	v_cmpx_lt_u32_e64 v10, v71
	s_cbranch_execz .LBB691_200
; %bb.197:
	s_mov_b32 s24, 0
	s_mov_b32 s22, exec_lo
	v_cmpx_lt_u32_e64 v99, v70
	s_cbranch_execz .LBB691_199
; %bb.198:
	v_and_b32_e32 v102, 0xff, v100
	v_and_b32_e32 v103, 0xff, v101
	v_mul_lo_u16 v102, 0xcd, v102
	v_mul_lo_u16 v103, 0xcd, v103
	v_lshrrev_b16 v102, 11, v102
	v_lshrrev_b16 v103, 11, v103
	v_cmp_ge_u16_e32 vcc_lo, v102, v103
	s_and_b32 s24, vcc_lo, exec_lo
.LBB691_199:
	s_or_b32 exec_lo, exec_lo, s22
	s_orn2_b32 s22, s24, exec_lo
.LBB691_200:
	s_or_b32 exec_lo, exec_lo, s23
	v_cndmask_b32_e64 v102, v10, v99, s22
	v_cndmask_b32_e64 v103, v71, v70, s22
	s_mov_b32 s23, exec_lo
	v_add_nc_u32_e32 v102, 1, v102
	v_add_nc_u32_e32 v103, -1, v103
	v_cndmask_b32_e64 v10, v102, v10, s22
	v_min_u32_e32 v103, v102, v103
	v_cndmask_b32_e64 v99, v99, v102, s22
	v_add_nc_u32_e32 v103, v67, v103
	ds_read_u8 v103, v103
	s_waitcnt lgkmcnt(0)
	v_cndmask_b32_e64 v112, v103, v100, s22
	v_cndmask_b32_e64 v113, v101, v103, s22
	v_cmpx_lt_u32_e64 v10, v71
	s_cbranch_execz .LBB691_204
; %bb.201:
	s_mov_b32 s24, 0
	s_mov_b32 s21, exec_lo
	v_cmpx_lt_u32_e64 v99, v70
	s_cbranch_execz .LBB691_203
; %bb.202:
	v_and_b32_e32 v102, 0xff, v112
	v_and_b32_e32 v103, 0xff, v113
	v_mul_lo_u16 v102, 0xcd, v102
	v_mul_lo_u16 v103, 0xcd, v103
	v_lshrrev_b16 v102, 11, v102
	v_lshrrev_b16 v103, 11, v103
	v_cmp_ge_u16_e32 vcc_lo, v102, v103
	s_and_b32 s24, vcc_lo, exec_lo
.LBB691_203:
	s_or_b32 exec_lo, exec_lo, s21
	s_orn2_b32 s21, s24, exec_lo
.LBB691_204:
	s_or_b32 exec_lo, exec_lo, s23
	v_cndmask_b32_e64 v102, v10, v99, s21
	v_cndmask_b32_e64 v103, v71, v70, s21
	s_mov_b32 s23, -1
	s_mov_b32 s24, -1
	s_mov_b32 s25, exec_lo
	v_add_nc_u32_e32 v102, 1, v102
	v_add_nc_u32_e32 v103, -1, v103
	v_cndmask_b32_e64 v10, v102, v10, s21
	v_min_u32_e32 v103, v102, v103
	v_cndmask_b32_e64 v99, v99, v102, s21
	v_add_nc_u32_e32 v103, v67, v103
	ds_read_u8 v103, v103
	s_waitcnt lgkmcnt(0)
	v_cndmask_b32_e64 v116, v103, v112, s21
	v_cndmask_b32_e64 v117, v113, v103, s21
	v_cmpx_lt_u32_e64 v10, v71
	s_cbranch_execz .LBB691_208
; %bb.205:
	s_mov_b32 s26, 0
	s_mov_b32 s24, exec_lo
	v_cmpx_lt_u32_e64 v99, v70
	s_cbranch_execz .LBB691_207
; %bb.206:
	v_and_b32_e32 v102, 0xff, v116
	v_and_b32_e32 v103, 0xff, v117
	v_mul_lo_u16 v102, 0xcd, v102
	v_mul_lo_u16 v103, 0xcd, v103
	v_lshrrev_b16 v102, 11, v102
	v_lshrrev_b16 v103, 11, v103
	v_cmp_ge_u16_e32 vcc_lo, v102, v103
	s_and_b32 s26, vcc_lo, exec_lo
.LBB691_207:
	s_or_b32 exec_lo, exec_lo, s24
	s_orn2_b32 s24, s26, exec_lo
.LBB691_208:
	s_or_b32 exec_lo, exec_lo, s25
	v_cndmask_b32_e64 v102, v10, v99, s24
	v_cndmask_b32_e64 v103, v71, v70, s24
	s_mov_b32 s25, exec_lo
	v_add_nc_u32_e32 v102, 1, v102
	v_add_nc_u32_e32 v103, -1, v103
	v_cndmask_b32_e64 v10, v102, v10, s24
	v_min_u32_e32 v103, v102, v103
	v_cndmask_b32_e64 v99, v99, v102, s24
	v_add_nc_u32_e32 v103, v67, v103
	ds_read_u8 v103, v103
	s_waitcnt lgkmcnt(0)
	v_cndmask_b32_e64 v128, v103, v116, s24
	v_cndmask_b32_e64 v129, v117, v103, s24
	v_cmpx_lt_u32_e64 v10, v71
	s_cbranch_execz .LBB691_212
; %bb.209:
	s_mov_b32 s26, 0
	s_mov_b32 s23, exec_lo
	v_cmpx_lt_u32_e64 v99, v70
	s_cbranch_execz .LBB691_211
; %bb.210:
	v_and_b32_e32 v102, 0xff, v128
	v_and_b32_e32 v103, 0xff, v129
	v_mul_lo_u16 v102, 0xcd, v102
	v_mul_lo_u16 v103, 0xcd, v103
	v_lshrrev_b16 v102, 11, v102
	v_lshrrev_b16 v103, 11, v103
	v_cmp_ge_u16_e32 vcc_lo, v102, v103
	s_and_b32 s26, vcc_lo, exec_lo
.LBB691_211:
	s_or_b32 exec_lo, exec_lo, s23
	s_orn2_b32 s23, s26, exec_lo
.LBB691_212:
	s_or_b32 exec_lo, exec_lo, s25
	v_cndmask_b32_e64 v102, v10, v99, s23
	v_cndmask_b32_e64 v103, v71, v70, s23
	s_mov_b32 s25, -1
	s_mov_b32 s26, -1
	s_mov_b32 s27, exec_lo
	v_add_nc_u32_e32 v102, 1, v102
	v_add_nc_u32_e32 v103, -1, v103
	v_cndmask_b32_e64 v10, v102, v10, s23
	v_min_u32_e32 v103, v102, v103
	v_cndmask_b32_e64 v99, v99, v102, s23
	v_add_nc_u32_e32 v103, v67, v103
	ds_read_u8 v103, v103
	s_waitcnt lgkmcnt(0)
	v_cndmask_b32_e64 v131, v103, v128, s23
	v_cndmask_b32_e64 v132, v129, v103, s23
	v_cmpx_lt_u32_e64 v10, v71
	s_cbranch_execz .LBB691_216
; %bb.213:
	s_mov_b32 s28, 0
	s_mov_b32 s26, exec_lo
	v_cmpx_lt_u32_e64 v99, v70
	s_cbranch_execz .LBB691_215
; %bb.214:
	v_and_b32_e32 v102, 0xff, v131
	v_and_b32_e32 v103, 0xff, v132
	v_mul_lo_u16 v102, 0xcd, v102
	v_mul_lo_u16 v103, 0xcd, v103
	v_lshrrev_b16 v102, 11, v102
	v_lshrrev_b16 v103, 11, v103
	v_cmp_ge_u16_e32 vcc_lo, v102, v103
	s_and_b32 s28, vcc_lo, exec_lo
.LBB691_215:
	s_or_b32 exec_lo, exec_lo, s26
	s_orn2_b32 s26, s28, exec_lo
.LBB691_216:
	s_or_b32 exec_lo, exec_lo, s27
	v_cndmask_b32_e64 v102, v10, v99, s26
	v_cndmask_b32_e64 v103, v71, v70, s26
	s_mov_b32 s27, exec_lo
	v_add_nc_u32_e32 v102, 1, v102
	v_add_nc_u32_e32 v103, -1, v103
	v_cndmask_b32_e64 v10, v102, v10, s26
	v_min_u32_e32 v103, v102, v103
	v_cndmask_b32_e64 v99, v99, v102, s26
	v_add_nc_u32_e32 v103, v67, v103
	ds_read_u8 v103, v103
	s_waitcnt lgkmcnt(0)
	v_cndmask_b32_e64 v133, v103, v131, s26
	v_cndmask_b32_e64 v134, v132, v103, s26
	v_cmpx_lt_u32_e64 v10, v71
	s_cbranch_execz .LBB691_220
; %bb.217:
	s_mov_b32 s28, 0
	s_mov_b32 s25, exec_lo
	v_cmpx_lt_u32_e64 v99, v70
	s_cbranch_execz .LBB691_219
; %bb.218:
	v_and_b32_e32 v102, 0xff, v133
	v_and_b32_e32 v103, 0xff, v134
	v_mul_lo_u16 v102, 0xcd, v102
	v_mul_lo_u16 v103, 0xcd, v103
	v_lshrrev_b16 v102, 11, v102
	v_lshrrev_b16 v103, 11, v103
	v_cmp_ge_u16_e32 vcc_lo, v102, v103
	s_and_b32 s28, vcc_lo, exec_lo
.LBB691_219:
	s_or_b32 exec_lo, exec_lo, s25
	s_orn2_b32 s25, s28, exec_lo
.LBB691_220:
	s_or_b32 exec_lo, exec_lo, s27
	v_cndmask_b32_e64 v102, v10, v99, s25
	v_cndmask_b32_e64 v103, v71, v70, s25
	s_mov_b32 s27, -1
	s_mov_b32 s28, -1
	s_mov_b32 s29, exec_lo
	v_add_nc_u32_e32 v102, 1, v102
	v_add_nc_u32_e32 v103, -1, v103
	v_cndmask_b32_e64 v10, v102, v10, s25
	v_min_u32_e32 v103, v102, v103
	v_cndmask_b32_e64 v99, v99, v102, s25
	v_add_nc_u32_e32 v103, v67, v103
	ds_read_u8 v103, v103
	s_waitcnt lgkmcnt(0)
	v_cndmask_b32_e64 v135, v103, v133, s25
	v_cndmask_b32_e64 v144, v134, v103, s25
	v_cmpx_lt_u32_e64 v10, v71
	s_cbranch_execz .LBB691_224
; %bb.221:
	s_mov_b32 s40, 0
	s_mov_b32 s28, exec_lo
	v_cmpx_lt_u32_e64 v99, v70
	s_cbranch_execz .LBB691_223
; %bb.222:
	v_and_b32_e32 v102, 0xff, v135
	v_and_b32_e32 v103, 0xff, v144
	v_mul_lo_u16 v102, 0xcd, v102
	v_mul_lo_u16 v103, 0xcd, v103
	v_lshrrev_b16 v102, 11, v102
	v_lshrrev_b16 v103, 11, v103
	v_cmp_ge_u16_e32 vcc_lo, v102, v103
	s_and_b32 s40, vcc_lo, exec_lo
.LBB691_223:
	s_or_b32 exec_lo, exec_lo, s28
	s_orn2_b32 s28, s40, exec_lo
.LBB691_224:
	s_or_b32 exec_lo, exec_lo, s29
	v_cndmask_b32_e64 v102, v10, v99, s28
	v_cndmask_b32_e64 v103, v71, v70, s28
	s_mov_b32 s29, exec_lo
	v_add_nc_u32_e32 v102, 1, v102
	v_add_nc_u32_e32 v103, -1, v103
	v_cndmask_b32_e64 v10, v102, v10, s28
	v_min_u32_e32 v103, v102, v103
	v_cndmask_b32_e64 v99, v99, v102, s28
	v_add_nc_u32_e32 v103, v67, v103
	ds_read_u8 v103, v103
	s_waitcnt lgkmcnt(0)
	v_cndmask_b32_e64 v145, v103, v135, s28
	v_cndmask_b32_e64 v146, v144, v103, s28
	v_cmpx_lt_u32_e64 v10, v71
	s_cbranch_execz .LBB691_228
; %bb.225:
	s_mov_b32 s40, 0
	s_mov_b32 s27, exec_lo
	v_cmpx_lt_u32_e64 v99, v70
	s_cbranch_execz .LBB691_227
; %bb.226:
	v_and_b32_e32 v102, 0xff, v145
	v_and_b32_e32 v103, 0xff, v146
	v_mul_lo_u16 v102, 0xcd, v102
	v_mul_lo_u16 v103, 0xcd, v103
	v_lshrrev_b16 v102, 11, v102
	v_lshrrev_b16 v103, 11, v103
	v_cmp_ge_u16_e32 vcc_lo, v102, v103
	s_and_b32 s40, vcc_lo, exec_lo
.LBB691_227:
	s_or_b32 exec_lo, exec_lo, s27
	s_orn2_b32 s27, s40, exec_lo
.LBB691_228:
	s_or_b32 exec_lo, exec_lo, s29
	v_cndmask_b32_e64 v102, v10, v99, s27
	v_cndmask_b32_e64 v103, v71, v70, s27
	s_mov_b32 s29, -1
	s_mov_b32 s40, -1
	s_mov_b32 s41, exec_lo
	v_add_nc_u32_e32 v102, 1, v102
	v_add_nc_u32_e32 v103, -1, v103
	v_cndmask_b32_e64 v10, v102, v10, s27
	v_min_u32_e32 v103, v102, v103
	v_cndmask_b32_e64 v99, v99, v102, s27
	v_add_nc_u32_e32 v103, v67, v103
	ds_read_u8 v103, v103
	s_waitcnt lgkmcnt(0)
	v_cndmask_b32_e64 v147, v103, v145, s27
	v_cndmask_b32_e64 v148, v146, v103, s27
	v_cmpx_lt_u32_e64 v10, v71
	s_cbranch_execz .LBB691_232
; %bb.229:
	s_mov_b32 s42, 0
	s_mov_b32 s40, exec_lo
	v_cmpx_lt_u32_e64 v99, v70
	s_cbranch_execz .LBB691_231
; %bb.230:
	v_and_b32_e32 v102, 0xff, v147
	v_and_b32_e32 v103, 0xff, v148
	v_mul_lo_u16 v102, 0xcd, v102
	v_mul_lo_u16 v103, 0xcd, v103
	v_lshrrev_b16 v102, 11, v102
	v_lshrrev_b16 v103, 11, v103
	v_cmp_ge_u16_e32 vcc_lo, v102, v103
	s_and_b32 s42, vcc_lo, exec_lo
.LBB691_231:
	s_or_b32 exec_lo, exec_lo, s40
	s_orn2_b32 s40, s42, exec_lo
.LBB691_232:
	s_or_b32 exec_lo, exec_lo, s41
	v_cndmask_b32_e64 v102, v10, v99, s40
	v_cndmask_b32_e64 v103, v71, v70, s40
	s_mov_b32 s41, exec_lo
	v_add_nc_u32_e32 v102, 1, v102
	v_add_nc_u32_e32 v103, -1, v103
	v_cndmask_b32_e64 v10, v102, v10, s40
	v_min_u32_e32 v103, v102, v103
	v_cndmask_b32_e64 v99, v99, v102, s40
	v_add_nc_u32_e32 v103, v67, v103
	ds_read_u8 v103, v103
	s_waitcnt lgkmcnt(0)
	v_cndmask_b32_e64 v149, v103, v147, s40
	v_cndmask_b32_e64 v150, v148, v103, s40
	v_cmpx_lt_u32_e64 v10, v71
	s_cbranch_execz .LBB691_236
; %bb.233:
	s_mov_b32 s42, 0
	s_mov_b32 s29, exec_lo
	v_cmpx_lt_u32_e64 v99, v70
	s_cbranch_execz .LBB691_235
; %bb.234:
	v_and_b32_e32 v102, 0xff, v149
	v_and_b32_e32 v103, 0xff, v150
	v_mul_lo_u16 v102, 0xcd, v102
	v_mul_lo_u16 v103, 0xcd, v103
	v_lshrrev_b16 v102, 11, v102
	v_lshrrev_b16 v103, 11, v103
	v_cmp_ge_u16_e32 vcc_lo, v102, v103
	s_and_b32 s42, vcc_lo, exec_lo
.LBB691_235:
	s_or_b32 exec_lo, exec_lo, s29
	s_orn2_b32 s29, s42, exec_lo
.LBB691_236:
	s_or_b32 exec_lo, exec_lo, s41
	v_cndmask_b32_e64 v102, v10, v99, s29
	v_cndmask_b32_e64 v103, v71, v70, s29
	s_mov_b32 s41, -1
	s_mov_b32 s42, -1
	s_mov_b32 s43, exec_lo
	v_add_nc_u32_e32 v102, 1, v102
	v_add_nc_u32_e32 v103, -1, v103
	v_cndmask_b32_e64 v10, v102, v10, s29
	v_min_u32_e32 v103, v102, v103
	v_cndmask_b32_e64 v99, v99, v102, s29
	v_add_nc_u32_e32 v103, v67, v103
	ds_read_u8 v103, v103
	s_waitcnt lgkmcnt(0)
	v_cndmask_b32_e64 v151, v103, v149, s29
	v_cndmask_b32_e64 v160, v150, v103, s29
	v_cmpx_lt_u32_e64 v10, v71
	s_cbranch_execz .LBB691_240
; %bb.237:
	s_mov_b32 s44, 0
	s_mov_b32 s42, exec_lo
	v_cmpx_lt_u32_e64 v99, v70
	s_cbranch_execz .LBB691_239
; %bb.238:
	v_and_b32_e32 v102, 0xff, v151
	v_and_b32_e32 v103, 0xff, v160
	v_mul_lo_u16 v102, 0xcd, v102
	v_mul_lo_u16 v103, 0xcd, v103
	v_lshrrev_b16 v102, 11, v102
	v_lshrrev_b16 v103, 11, v103
	v_cmp_ge_u16_e32 vcc_lo, v102, v103
	s_and_b32 s44, vcc_lo, exec_lo
.LBB691_239:
	s_or_b32 exec_lo, exec_lo, s42
	s_orn2_b32 s42, s44, exec_lo
.LBB691_240:
	s_or_b32 exec_lo, exec_lo, s43
	v_cndmask_b32_e64 v102, v10, v99, s42
	v_cndmask_b32_e64 v103, v71, v70, s42
	s_mov_b32 s43, exec_lo
	v_add_nc_u32_e32 v102, 1, v102
	v_add_nc_u32_e32 v103, -1, v103
	v_cndmask_b32_e64 v10, v102, v10, s42
	v_min_u32_e32 v103, v102, v103
	v_cndmask_b32_e64 v99, v99, v102, s42
	v_add_nc_u32_e32 v103, v67, v103
	ds_read_u8 v103, v103
	s_waitcnt lgkmcnt(0)
	v_cndmask_b32_e64 v161, v103, v151, s42
	v_cndmask_b32_e64 v162, v160, v103, s42
	v_cmpx_lt_u32_e64 v10, v71
	s_cbranch_execz .LBB691_244
; %bb.241:
	s_mov_b32 s44, 0
	s_mov_b32 s41, exec_lo
	v_cmpx_lt_u32_e64 v99, v70
	s_cbranch_execz .LBB691_243
; %bb.242:
	v_and_b32_e32 v102, 0xff, v161
	v_and_b32_e32 v103, 0xff, v162
	v_mul_lo_u16 v102, 0xcd, v102
	v_mul_lo_u16 v103, 0xcd, v103
	v_lshrrev_b16 v102, 11, v102
	v_lshrrev_b16 v103, 11, v103
	v_cmp_ge_u16_e32 vcc_lo, v102, v103
	s_and_b32 s44, vcc_lo, exec_lo
.LBB691_243:
	s_or_b32 exec_lo, exec_lo, s41
	s_orn2_b32 s41, s44, exec_lo
.LBB691_244:
	s_or_b32 exec_lo, exec_lo, s43
	v_cndmask_b32_e64 v102, v10, v99, s41
	v_cndmask_b32_e64 v103, v71, v70, s41
	s_mov_b32 s43, -1
	s_mov_b32 s44, -1
	s_mov_b32 s45, exec_lo
	v_add_nc_u32_e32 v102, 1, v102
	v_add_nc_u32_e32 v103, -1, v103
	v_cndmask_b32_e64 v10, v102, v10, s41
	v_min_u32_e32 v103, v102, v103
	v_cndmask_b32_e64 v99, v99, v102, s41
	v_add_nc_u32_e32 v103, v67, v103
	ds_read_u8 v103, v103
	s_waitcnt lgkmcnt(0)
	v_cndmask_b32_e64 v163, v103, v161, s41
	v_cndmask_b32_e64 v164, v162, v103, s41
	v_cmpx_lt_u32_e64 v10, v71
	s_cbranch_execz .LBB691_248
; %bb.245:
	s_mov_b32 s46, 0
	s_mov_b32 s44, exec_lo
	v_cmpx_lt_u32_e64 v99, v70
	s_cbranch_execz .LBB691_247
; %bb.246:
	v_and_b32_e32 v102, 0xff, v163
	v_and_b32_e32 v103, 0xff, v164
	v_mul_lo_u16 v102, 0xcd, v102
	v_mul_lo_u16 v103, 0xcd, v103
	v_lshrrev_b16 v102, 11, v102
	v_lshrrev_b16 v103, 11, v103
	v_cmp_ge_u16_e32 vcc_lo, v102, v103
	s_and_b32 s46, vcc_lo, exec_lo
.LBB691_247:
	s_or_b32 exec_lo, exec_lo, s44
	s_orn2_b32 s44, s46, exec_lo
.LBB691_248:
	s_or_b32 exec_lo, exec_lo, s45
	v_cndmask_b32_e64 v102, v10, v99, s44
	v_cndmask_b32_e64 v103, v71, v70, s44
	s_mov_b32 s45, exec_lo
	v_add_nc_u32_e32 v102, 1, v102
	v_add_nc_u32_e32 v103, -1, v103
	v_cndmask_b32_e64 v10, v102, v10, s44
	v_min_u32_e32 v103, v102, v103
	v_cndmask_b32_e64 v99, v99, v102, s44
	v_add_nc_u32_e32 v103, v67, v103
	ds_read_u8 v103, v103
	s_waitcnt lgkmcnt(0)
	v_cndmask_b32_e64 v165, v103, v163, s44
	v_cndmask_b32_e64 v166, v164, v103, s44
	v_cmpx_lt_u32_e64 v10, v71
	s_cbranch_execz .LBB691_252
; %bb.249:
	s_mov_b32 s46, 0
	s_mov_b32 s43, exec_lo
	v_cmpx_lt_u32_e64 v99, v70
	s_cbranch_execz .LBB691_251
; %bb.250:
	v_and_b32_e32 v102, 0xff, v165
	v_and_b32_e32 v103, 0xff, v166
	v_mul_lo_u16 v102, 0xcd, v102
	v_mul_lo_u16 v103, 0xcd, v103
	v_lshrrev_b16 v102, 11, v102
	v_lshrrev_b16 v103, 11, v103
	v_cmp_ge_u16_e32 vcc_lo, v102, v103
	s_and_b32 s46, vcc_lo, exec_lo
.LBB691_251:
	s_or_b32 exec_lo, exec_lo, s43
	s_orn2_b32 s43, s46, exec_lo
.LBB691_252:
	s_or_b32 exec_lo, exec_lo, s45
	v_cndmask_b32_e64 v102, v10, v99, s43
	v_cndmask_b32_e64 v103, v71, v70, s43
	s_mov_b32 s45, -1
	s_mov_b32 s46, -1
	s_mov_b32 s47, exec_lo
	v_add_nc_u32_e32 v102, 1, v102
	v_add_nc_u32_e32 v103, -1, v103
	v_cndmask_b32_e64 v10, v102, v10, s43
	v_min_u32_e32 v103, v102, v103
	v_cndmask_b32_e64 v99, v99, v102, s43
	v_add_nc_u32_e32 v103, v67, v103
	ds_read_u8 v103, v103
	s_waitcnt lgkmcnt(0)
	v_cndmask_b32_e64 v167, v103, v165, s43
	v_cndmask_b32_e64 v176, v166, v103, s43
	v_cmpx_lt_u32_e64 v10, v71
	s_cbranch_execz .LBB691_256
; %bb.253:
	s_mov_b32 s56, 0
	s_mov_b32 s46, exec_lo
	v_cmpx_lt_u32_e64 v99, v70
	s_cbranch_execz .LBB691_255
; %bb.254:
	v_and_b32_e32 v102, 0xff, v167
	v_and_b32_e32 v103, 0xff, v176
	v_mul_lo_u16 v102, 0xcd, v102
	v_mul_lo_u16 v103, 0xcd, v103
	v_lshrrev_b16 v102, 11, v102
	v_lshrrev_b16 v103, 11, v103
	v_cmp_ge_u16_e32 vcc_lo, v102, v103
	s_and_b32 s56, vcc_lo, exec_lo
.LBB691_255:
	s_or_b32 exec_lo, exec_lo, s46
	s_orn2_b32 s46, s56, exec_lo
.LBB691_256:
	s_or_b32 exec_lo, exec_lo, s47
	v_cndmask_b32_e64 v102, v10, v99, s46
	v_cndmask_b32_e64 v103, v71, v70, s46
	s_mov_b32 s47, exec_lo
	v_add_nc_u32_e32 v102, 1, v102
	v_add_nc_u32_e32 v103, -1, v103
	v_cndmask_b32_e64 v10, v102, v10, s46
	v_min_u32_e32 v103, v102, v103
	v_cndmask_b32_e64 v99, v99, v102, s46
	v_add_nc_u32_e32 v103, v67, v103
	ds_read_u8 v103, v103
	s_waitcnt lgkmcnt(0)
	v_cndmask_b32_e64 v177, v103, v167, s46
	v_cndmask_b32_e64 v178, v176, v103, s46
	v_cmpx_lt_u32_e64 v10, v71
	s_cbranch_execz .LBB691_260
; %bb.257:
	s_mov_b32 s56, 0
	s_mov_b32 s45, exec_lo
	v_cmpx_lt_u32_e64 v99, v70
	s_cbranch_execz .LBB691_259
; %bb.258:
	v_and_b32_e32 v102, 0xff, v177
	v_and_b32_e32 v103, 0xff, v178
	v_mul_lo_u16 v102, 0xcd, v102
	v_mul_lo_u16 v103, 0xcd, v103
	v_lshrrev_b16 v102, 11, v102
	v_lshrrev_b16 v103, 11, v103
	v_cmp_ge_u16_e32 vcc_lo, v102, v103
	s_and_b32 s56, vcc_lo, exec_lo
.LBB691_259:
	s_or_b32 exec_lo, exec_lo, s45
	s_orn2_b32 s45, s56, exec_lo
.LBB691_260:
	s_or_b32 exec_lo, exec_lo, s47
	v_cndmask_b32_e64 v102, v10, v99, s45
	v_cndmask_b32_e64 v103, v71, v70, s45
	s_mov_b32 s47, -1
	s_mov_b32 s56, -1
	s_mov_b32 s57, exec_lo
	v_add_nc_u32_e32 v102, 1, v102
	v_add_nc_u32_e32 v103, -1, v103
	v_cndmask_b32_e64 v10, v102, v10, s45
	v_min_u32_e32 v103, v102, v103
	v_cndmask_b32_e64 v99, v99, v102, s45
	v_add_nc_u32_e32 v103, v67, v103
	ds_read_u8 v103, v103
	s_waitcnt lgkmcnt(0)
	v_cndmask_b32_e64 v179, v103, v177, s45
	v_cndmask_b32_e64 v180, v178, v103, s45
	v_cmpx_lt_u32_e64 v10, v71
	s_cbranch_execz .LBB691_264
; %bb.261:
	s_mov_b32 s58, 0
	s_mov_b32 s56, exec_lo
	v_cmpx_lt_u32_e64 v99, v70
	s_cbranch_execz .LBB691_263
; %bb.262:
	v_and_b32_e32 v102, 0xff, v179
	v_and_b32_e32 v103, 0xff, v180
	v_mul_lo_u16 v102, 0xcd, v102
	v_mul_lo_u16 v103, 0xcd, v103
	v_lshrrev_b16 v102, 11, v102
	v_lshrrev_b16 v103, 11, v103
	v_cmp_ge_u16_e32 vcc_lo, v102, v103
	s_and_b32 s58, vcc_lo, exec_lo
.LBB691_263:
	s_or_b32 exec_lo, exec_lo, s56
	s_orn2_b32 s56, s58, exec_lo
.LBB691_264:
	s_or_b32 exec_lo, exec_lo, s57
	v_cndmask_b32_e64 v102, v10, v99, s56
	v_cndmask_b32_e64 v103, v71, v70, s56
	s_mov_b32 s57, exec_lo
	v_add_nc_u32_e32 v102, 1, v102
	v_add_nc_u32_e32 v103, -1, v103
	v_cndmask_b32_e64 v10, v102, v10, s56
	v_min_u32_e32 v103, v102, v103
	v_cndmask_b32_e64 v99, v99, v102, s56
	v_add_nc_u32_e32 v103, v67, v103
	ds_read_u8 v103, v103
	s_waitcnt lgkmcnt(0)
	v_cndmask_b32_e64 v181, v103, v179, s56
	v_cndmask_b32_e64 v182, v180, v103, s56
	v_cmpx_lt_u32_e64 v10, v71
	s_cbranch_execz .LBB691_268
; %bb.265:
	s_mov_b32 s58, 0
	s_mov_b32 s47, exec_lo
	v_cmpx_lt_u32_e64 v99, v70
	s_cbranch_execz .LBB691_267
; %bb.266:
	v_and_b32_e32 v102, 0xff, v181
	v_and_b32_e32 v103, 0xff, v182
	v_mul_lo_u16 v102, 0xcd, v102
	v_mul_lo_u16 v103, 0xcd, v103
	v_lshrrev_b16 v102, 11, v102
	v_lshrrev_b16 v103, 11, v103
	v_cmp_ge_u16_e32 vcc_lo, v102, v103
	s_and_b32 s58, vcc_lo, exec_lo
.LBB691_267:
	s_or_b32 exec_lo, exec_lo, s47
	s_orn2_b32 s47, s58, exec_lo
.LBB691_268:
	s_or_b32 exec_lo, exec_lo, s57
	v_cndmask_b32_e64 v102, v10, v99, s47
	v_cndmask_b32_e64 v103, v71, v70, s47
	s_mov_b32 s57, -1
	s_mov_b32 s58, -1
	s_mov_b32 s59, exec_lo
	v_add_nc_u32_e32 v102, 1, v102
	v_add_nc_u32_e32 v103, -1, v103
	v_cndmask_b32_e64 v10, v102, v10, s47
	v_min_u32_e32 v103, v102, v103
	v_cndmask_b32_e64 v99, v99, v102, s47
	v_add_nc_u32_e32 v103, v67, v103
	ds_read_u8 v103, v103
	s_waitcnt lgkmcnt(0)
	v_cndmask_b32_e64 v183, v103, v181, s47
	v_cndmask_b32_e64 v192, v182, v103, s47
	v_cmpx_lt_u32_e64 v10, v71
	s_cbranch_execz .LBB691_272
; %bb.269:
	s_mov_b32 s60, 0
	s_mov_b32 s58, exec_lo
	v_cmpx_lt_u32_e64 v99, v70
	s_cbranch_execz .LBB691_271
; %bb.270:
	v_and_b32_e32 v102, 0xff, v183
	v_and_b32_e32 v103, 0xff, v192
	v_mul_lo_u16 v102, 0xcd, v102
	v_mul_lo_u16 v103, 0xcd, v103
	v_lshrrev_b16 v102, 11, v102
	v_lshrrev_b16 v103, 11, v103
	v_cmp_ge_u16_e32 vcc_lo, v102, v103
	s_and_b32 s60, vcc_lo, exec_lo
.LBB691_271:
	s_or_b32 exec_lo, exec_lo, s58
	s_orn2_b32 s58, s60, exec_lo
.LBB691_272:
	s_or_b32 exec_lo, exec_lo, s59
	v_cndmask_b32_e64 v102, v10, v99, s58
	v_cndmask_b32_e64 v103, v71, v70, s58
	s_mov_b32 s59, exec_lo
	v_add_nc_u32_e32 v114, 1, v102
	v_add_nc_u32_e32 v102, -1, v103
	v_min_u32_e32 v102, v114, v102
	v_add_nc_u32_e32 v102, v67, v102
	ds_read_u8 v103, v102
	v_cndmask_b32_e64 v102, v114, v10, s58
	v_cndmask_b32_e64 v10, v99, v114, s58
	s_waitcnt lgkmcnt(0)
	v_cndmask_b32_e64 v193, v103, v183, s58
	v_cndmask_b32_e64 v194, v192, v103, s58
	v_cmpx_lt_u32_e64 v102, v71
	s_cbranch_execz .LBB691_276
; %bb.273:
	s_mov_b32 s60, 0
	s_mov_b32 s57, exec_lo
	v_cmpx_lt_u32_e64 v10, v70
	s_cbranch_execz .LBB691_275
; %bb.274:
	v_and_b32_e32 v99, 0xff, v193
	v_and_b32_e32 v103, 0xff, v194
	v_mul_lo_u16 v99, 0xcd, v99
	v_mul_lo_u16 v103, 0xcd, v103
	v_lshrrev_b16 v99, 11, v99
	v_lshrrev_b16 v103, 11, v103
	v_cmp_ge_u16_e32 vcc_lo, v99, v103
	s_and_b32 s60, vcc_lo, exec_lo
.LBB691_275:
	s_or_b32 exec_lo, exec_lo, s57
	s_orn2_b32 s57, s60, exec_lo
.LBB691_276:
	s_or_b32 exec_lo, exec_lo, s59
	v_cndmask_b32_e64 v99, v102, v10, s57
	v_cndmask_b32_e64 v114, v71, v70, s57
	s_mov_b32 s59, exec_lo
	v_add_nc_u32_e32 v103, 1, v99
	v_add_nc_u32_e32 v99, -1, v114
	v_cndmask_b32_e64 v102, v103, v102, s57
	v_min_u32_e32 v99, v103, v99
	v_add_nc_u32_e32 v99, v67, v99
	ds_read_u8 v114, v99
	s_waitcnt lgkmcnt(0)
	v_cndmask_b32_e64 v99, v194, v114, s57
	v_cmpx_lt_u32_e64 v102, v71
	s_cbranch_execz .LBB691_280
; %bb.277:
	v_cndmask_b32_e64 v71, v10, v103, s57
	v_cndmask_b32_e64 v10, v114, v193, s57
	s_mov_b32 s60, exec_lo
	v_cmpx_lt_u32_e64 v71, v70
	s_cbranch_execz .LBB691_279
; %bb.278:
	v_and_b32_e32 v70, 0xff, v10
	v_and_b32_e32 v71, 0xff, v99
	v_mul_lo_u16 v70, 0xcd, v70
	v_mul_lo_u16 v71, 0xcd, v71
	v_lshrrev_b16 v70, 11, v70
	v_lshrrev_b16 v71, 11, v71
	v_cmp_lt_u16_e32 vcc_lo, v70, v71
	v_cndmask_b32_e32 v10, v99, v10, vcc_lo
.LBB691_279:
	s_or_b32 exec_lo, exec_lo, s60
	v_mov_b32_e32 v99, v10
.LBB691_280:
	s_or_b32 exec_lo, exec_lo, s59
	v_cndmask_b32_e64 v118, v11, v12, s10
	v_cndmask_b32_e64 v114, v13, v80, s15
	;; [unrolled: 1-line block ×22, first 2 shown]
	v_lshlrev_b16 v0, 8, v101
	v_lshlrev_b16 v1, 8, v13
	;; [unrolled: 1-line block ×4, first 2 shown]
	v_cndmask_b32_e64 v103, v6, v7, s4
	v_cndmask_b32_e64 v10, v8, v9, s11
	;; [unrolled: 1-line block ×5, first 2 shown]
	v_or_b32_sdwa v0, v117, v0 dst_sel:DWORD dst_unused:UNUSED_PAD src0_sel:BYTE_0 src1_sel:DWORD
	v_or_b32_sdwa v1, v113, v1 dst_sel:WORD_1 dst_unused:UNUSED_PAD src0_sel:BYTE_0 src1_sel:DWORD
	v_or_b32_sdwa v6, v116, v2 dst_sel:DWORD dst_unused:UNUSED_PAD src0_sel:BYTE_0 src1_sel:DWORD
	v_or_b32_sdwa v3, v87, v3 dst_sel:WORD_1 dst_unused:UNUSED_PAD src0_sel:BYTE_0 src1_sel:DWORD
	v_lshlrev_b16 v7, 8, v84
	v_lshlrev_b16 v8, 8, v12
	v_cndmask_b32_e64 v100, v128, v129, s23
	v_cndmask_b32_e64 v128, v183, v192, s58
	v_or_b32_sdwa v2, v0, v1 dst_sel:DWORD dst_unused:UNUSED_PAD src0_sel:WORD_0 src1_sel:DWORD
	v_or_b32_sdwa v1, v6, v3 dst_sel:DWORD dst_unused:UNUSED_PAD src0_sel:WORD_0 src1_sel:DWORD
	v_or_b32_sdwa v0, v97, v7 dst_sel:DWORD dst_unused:UNUSED_PAD src0_sel:BYTE_0 src1_sel:DWORD
	v_or_b32_sdwa v3, v85, v8 dst_sel:WORD_1 dst_unused:UNUSED_PAD src0_sel:BYTE_0 src1_sel:DWORD
	v_lshlrev_b16 v6, 8, v98
	v_lshlrev_b16 v7, 8, v112
	;; [unrolled: 1-line block ×4, first 2 shown]
	v_cndmask_b32_e64 v129, v181, v182, s47
	v_or_b32_sdwa v0, v0, v3 dst_sel:DWORD dst_unused:UNUSED_PAD src0_sel:WORD_0 src1_sel:DWORD
	v_or_b32_sdwa v3, v130, v6 dst_sel:DWORD dst_unused:UNUSED_PAD src0_sel:BYTE_0 src1_sel:DWORD
	v_or_b32_sdwa v6, v100, v7 dst_sel:WORD_1 dst_unused:UNUSED_PAD src0_sel:BYTE_0 src1_sel:DWORD
	v_or_b32_sdwa v7, v119, v8 dst_sel:DWORD dst_unused:UNUSED_PAD src0_sel:BYTE_0 src1_sel:DWORD
	v_or_b32_sdwa v8, v83, v9 dst_sel:WORD_1 dst_unused:UNUSED_PAD src0_sel:BYTE_0 src1_sel:DWORD
	v_lshlrev_b16 v9, 8, v128
	v_cndmask_b32_e64 v131, v193, v194, s57
	v_lshlrev_b16 v70, 8, v114
	v_lshlrev_b16 v71, 8, v81
	;; [unrolled: 1-line block ×4, first 2 shown]
	v_or_b32_sdwa v9, v129, v9 dst_sel:DWORD dst_unused:UNUSED_PAD src0_sel:BYTE_0 src1_sel:DWORD
	v_or_b32_sdwa v70, v118, v70 dst_sel:DWORD dst_unused:UNUSED_PAD src0_sel:BYTE_0 src1_sel:DWORD
	v_or_b32_sdwa v71, v80, v71 dst_sel:WORD_1 dst_unused:UNUSED_PAD src0_sel:BYTE_0 src1_sel:DWORD
	v_or_b32_sdwa v132, v115, v132 dst_sel:DWORD dst_unused:UNUSED_PAD src0_sel:BYTE_0 src1_sel:DWORD
	v_or_b32_sdwa v133, v103, v133 dst_sel:WORD_1 dst_unused:UNUSED_PAD src0_sel:BYTE_0 src1_sel:DWORD
	v_and_b32_e32 v134, 0xffff, v9
	v_perm_b32 v135, v131, v99, 0xc0c0004
	v_or_b32_sdwa v9, v3, v6 dst_sel:DWORD dst_unused:UNUSED_PAD src0_sel:WORD_0 src1_sel:DWORD
	v_or_b32_sdwa v8, v7, v8 dst_sel:DWORD dst_unused:UNUSED_PAD src0_sel:WORD_0 src1_sel:DWORD
	;; [unrolled: 1-line block ×4, first 2 shown]
	v_lshl_or_b32 v3, v135, 16, v134
.LBB691_281:
	s_or_b32 exec_lo, exec_lo, s5
	v_perm_b32 v70, v130, v98, 0xc0c0004
	v_perm_b32 v71, v100, v112, 0xc0c0004
	v_and_b32_e32 v132, 0x300, v69
	v_perm_b32 v135, v80, v81, 0xc0c0004
	v_perm_b32 v133, v119, v82, 0xc0c0004
	;; [unrolled: 1-line block ×3, first 2 shown]
	v_lshl_or_b32 v147, v71, 16, v70
	v_or_b32_e32 v70, 0x80, v132
	v_perm_b32 v71, v118, v114, 0xc0c0004
	v_perm_b32 v144, v115, v102, 0xc0c0004
	v_lshl_or_b32 v146, v134, 16, v133
	v_and_b32_e32 v133, 0xe0, v69
	v_min_u32_e32 v70, v68, v70
	v_lshl_or_b32 v145, v135, 16, v71
	v_perm_b32 v148, v103, v10, 0xc0c0004
	v_perm_b32 v149, v129, v128, 0xc0c0004
	;; [unrolled: 1-line block ×3, first 2 shown]
	v_add_nc_u32_e32 v71, 0x80, v70
	v_perm_b32 v134, v117, v101, 0xc0c0004
	v_perm_b32 v135, v113, v13, 0xc0c0004
	v_min_u32_e32 v133, v68, v133
	v_sub_nc_u32_e32 v161, v70, v132
	v_min_u32_e32 v71, v68, v71
	v_lshl_or_b32 v144, v148, 16, v144
	v_lshl_or_b32 v151, v150, 16, v149
	v_perm_b32 v148, v116, v86, 0xc0c0004
	v_perm_b32 v149, v87, v96, 0xc0c0004
	v_sub_nc_u32_e32 v160, v71, v70
	v_perm_b32 v162, v97, v84, 0xc0c0004
	v_perm_b32 v163, v85, v12, 0xc0c0004
	v_lshl_or_b32 v150, v135, 16, v134
	v_min_u32_e32 v135, v133, v161
	v_sub_nc_u32_e64 v134, v133, v160 clamp
	v_lshl_or_b32 v149, v149, 16, v148
	v_lshl_or_b32 v148, v163, 16, v162
	s_mov_b32 s4, exec_lo
	; wave barrier
	ds_write_b128 v14, v[144:147]
	ds_write_b128 v14, v[148:151] offset:16
	; wave barrier
	v_cmpx_lt_u32_e64 v134, v135
	s_cbranch_execz .LBB691_285
; %bb.282:
	v_add_nc_u32_e32 v144, v67, v132
	v_add3_u32 v145, v67, v70, v133
	s_mov_b32 s5, 0
	.p2align	6
.LBB691_283:                            ; =>This Inner Loop Header: Depth=1
	v_add_nc_u32_e32 v146, v135, v134
	v_lshrrev_b32_e32 v146, 1, v146
	v_xad_u32 v147, v146, -1, v145
	v_add_nc_u32_e32 v148, v144, v146
	v_add_nc_u32_e32 v149, 1, v146
	ds_read_u8 v147, v147
	ds_read_u8 v148, v148
	s_waitcnt lgkmcnt(1)
	v_mul_lo_u16 v147, 0xcd, v147
	s_waitcnt lgkmcnt(0)
	v_mul_lo_u16 v148, 0xcd, v148
	v_lshrrev_b16 v147, 11, v147
	v_lshrrev_b16 v148, 11, v148
	v_cmp_lt_u16_e32 vcc_lo, v147, v148
	v_cndmask_b32_e32 v135, v135, v146, vcc_lo
	v_cndmask_b32_e32 v134, v149, v134, vcc_lo
	v_cmp_ge_u32_e32 vcc_lo, v134, v135
	s_or_b32 s5, vcc_lo, s5
	s_andn2_b32 exec_lo, exec_lo, s5
	s_cbranch_execnz .LBB691_283
; %bb.284:
	s_or_b32 exec_lo, exec_lo, s5
.LBB691_285:
	s_or_b32 exec_lo, exec_lo, s4
	v_add_nc_u32_e32 v133, v70, v133
	v_add_nc_u32_e32 v132, v134, v132
	v_sub_nc_u32_e32 v133, v133, v134
	v_cmp_le_u32_e32 vcc_lo, v132, v70
	v_cmp_le_u32_e64 s4, v133, v71
	s_or_b32 s4, vcc_lo, s4
	s_and_saveexec_b32 s5, s4
	s_cbranch_execz .LBB691_417
; %bb.286:
	s_mov_b32 s6, exec_lo
	v_cmp_ge_u32_e32 vcc_lo, v132, v70
                                        ; implicit-def: $vgpr0
	v_cmpx_lt_u32_e64 v132, v70
; %bb.287:
	v_add_nc_u32_e32 v0, v67, v132
	ds_read_u8 v0, v0
; %bb.288:
	s_or_b32 exec_lo, exec_lo, s6
	v_cmp_ge_u32_e64 s6, v133, v71
	s_mov_b32 s7, exec_lo
                                        ; implicit-def: $vgpr1
	v_cmpx_lt_u32_e64 v133, v71
; %bb.289:
	v_add_nc_u32_e32 v1, v67, v133
	ds_read_u8 v1, v1
; %bb.290:
	s_or_b32 exec_lo, exec_lo, s7
	s_nor_b32 s7, vcc_lo, s6
	s_and_saveexec_b32 s4, s7
	s_cbranch_execz .LBB691_292
; %bb.291:
	s_waitcnt lgkmcnt(0)
	v_and_b32_e32 v2, 0xff, v1
	v_and_b32_e32 v3, 0xff, v0
	s_andn2_b32 s6, s6, exec_lo
	v_mul_lo_u16 v2, 0xcd, v2
	v_mul_lo_u16 v3, 0xcd, v3
	v_lshrrev_b16 v2, 11, v2
	v_lshrrev_b16 v3, 11, v3
	v_cmp_ge_u16_e32 vcc_lo, v2, v3
	s_and_b32 s7, vcc_lo, exec_lo
	s_or_b32 s6, s6, s7
.LBB691_292:
	s_or_b32 exec_lo, exec_lo, s4
	v_cndmask_b32_e64 v2, v133, v132, s6
	v_cndmask_b32_e64 v3, v71, v70, s6
	s_mov_b32 s4, -1
	s_mov_b32 s7, -1
	s_mov_b32 s10, exec_lo
	v_add_nc_u32_e32 v2, 1, v2
	v_add_nc_u32_e32 v3, -1, v3
	v_cndmask_b32_e64 v6, v2, v133, s6
	v_min_u32_e32 v3, v2, v3
	v_cndmask_b32_e64 v7, v132, v2, s6
	v_add_nc_u32_e32 v3, v67, v3
	ds_read_u8 v3, v3
	s_waitcnt lgkmcnt(0)
	v_cndmask_b32_e64 v2, v3, v1, s6
	v_cndmask_b32_e64 v3, v0, v3, s6
	v_cmpx_lt_u32_e64 v6, v71
	s_cbranch_execz .LBB691_296
; %bb.293:
	s_mov_b32 s11, 0
	s_mov_b32 s7, exec_lo
	v_cmpx_lt_u32_e64 v7, v70
	s_cbranch_execz .LBB691_295
; %bb.294:
	v_and_b32_e32 v8, 0xff, v2
	v_and_b32_e32 v9, 0xff, v3
	v_mul_lo_u16 v8, 0xcd, v8
	v_mul_lo_u16 v9, 0xcd, v9
	v_lshrrev_b16 v8, 11, v8
	v_lshrrev_b16 v9, 11, v9
	v_cmp_ge_u16_e32 vcc_lo, v8, v9
	s_and_b32 s11, vcc_lo, exec_lo
.LBB691_295:
	s_or_b32 exec_lo, exec_lo, s7
	s_orn2_b32 s7, s11, exec_lo
.LBB691_296:
	s_or_b32 exec_lo, exec_lo, s10
	v_cndmask_b32_e64 v8, v6, v7, s7
	v_cndmask_b32_e64 v9, v71, v70, s7
	s_mov_b32 s10, exec_lo
	v_add_nc_u32_e32 v10, 1, v8
	v_add_nc_u32_e32 v8, -1, v9
	v_cndmask_b32_e64 v9, v7, v10, s7
	v_min_u32_e32 v8, v10, v8
	v_add_nc_u32_e32 v8, v67, v8
	ds_read_u8 v11, v8
	v_cndmask_b32_e64 v8, v10, v6, s7
	s_waitcnt lgkmcnt(0)
	v_cndmask_b32_e64 v6, v11, v2, s7
	v_cndmask_b32_e64 v7, v3, v11, s7
	v_cmpx_lt_u32_e64 v8, v71
	s_cbranch_execz .LBB691_300
; %bb.297:
	s_mov_b32 s11, 0
	s_mov_b32 s4, exec_lo
	v_cmpx_lt_u32_e64 v9, v70
	s_cbranch_execz .LBB691_299
; %bb.298:
	v_and_b32_e32 v10, 0xff, v6
	v_and_b32_e32 v11, 0xff, v7
	v_mul_lo_u16 v10, 0xcd, v10
	v_mul_lo_u16 v11, 0xcd, v11
	v_lshrrev_b16 v10, 11, v10
	v_lshrrev_b16 v11, 11, v11
	v_cmp_ge_u16_e32 vcc_lo, v10, v11
	s_and_b32 s11, vcc_lo, exec_lo
.LBB691_299:
	s_or_b32 exec_lo, exec_lo, s4
	s_orn2_b32 s4, s11, exec_lo
.LBB691_300:
	s_or_b32 exec_lo, exec_lo, s10
	v_cndmask_b32_e64 v10, v8, v9, s4
	v_cndmask_b32_e64 v11, v71, v70, s4
	s_mov_b32 s10, -1
	s_mov_b32 s11, -1
	s_mov_b32 s14, exec_lo
	v_add_nc_u32_e32 v12, 1, v10
	v_add_nc_u32_e32 v10, -1, v11
	v_cndmask_b32_e64 v11, v9, v12, s4
	v_min_u32_e32 v10, v12, v10
	v_add_nc_u32_e32 v10, v67, v10
	ds_read_u8 v13, v10
	v_cndmask_b32_e64 v10, v12, v8, s4
	s_waitcnt lgkmcnt(0)
	v_cndmask_b32_e64 v8, v13, v6, s4
	v_cndmask_b32_e64 v9, v7, v13, s4
	v_cmpx_lt_u32_e64 v10, v71
	s_cbranch_execz .LBB691_304
; %bb.301:
	s_mov_b32 s15, 0
	s_mov_b32 s11, exec_lo
	v_cmpx_lt_u32_e64 v11, v70
	s_cbranch_execz .LBB691_303
; %bb.302:
	v_and_b32_e32 v12, 0xff, v8
	v_and_b32_e32 v13, 0xff, v9
	v_mul_lo_u16 v12, 0xcd, v12
	v_mul_lo_u16 v13, 0xcd, v13
	v_lshrrev_b16 v12, 11, v12
	v_lshrrev_b16 v13, 11, v13
	v_cmp_ge_u16_e32 vcc_lo, v12, v13
	s_and_b32 s15, vcc_lo, exec_lo
.LBB691_303:
	s_or_b32 exec_lo, exec_lo, s11
	s_orn2_b32 s11, s15, exec_lo
.LBB691_304:
	s_or_b32 exec_lo, exec_lo, s14
	v_cndmask_b32_e64 v12, v10, v11, s11
	v_cndmask_b32_e64 v13, v71, v70, s11
	s_mov_b32 s14, exec_lo
	v_add_nc_u32_e32 v12, 1, v12
	v_add_nc_u32_e32 v13, -1, v13
	v_cndmask_b32_e64 v10, v12, v10, s11
	v_min_u32_e32 v13, v12, v13
	v_add_nc_u32_e32 v13, v67, v13
	ds_read_u8 v80, v13
	v_cndmask_b32_e64 v13, v11, v12, s11
	s_waitcnt lgkmcnt(0)
	v_cndmask_b32_e64 v11, v80, v8, s11
	v_cndmask_b32_e64 v12, v9, v80, s11
	v_cmpx_lt_u32_e64 v10, v71
	s_cbranch_execz .LBB691_308
; %bb.305:
	s_mov_b32 s15, 0
	s_mov_b32 s10, exec_lo
	v_cmpx_lt_u32_e64 v13, v70
	s_cbranch_execz .LBB691_307
; %bb.306:
	v_and_b32_e32 v80, 0xff, v11
	v_and_b32_e32 v81, 0xff, v12
	v_mul_lo_u16 v80, 0xcd, v80
	v_mul_lo_u16 v81, 0xcd, v81
	v_lshrrev_b16 v80, 11, v80
	v_lshrrev_b16 v81, 11, v81
	v_cmp_ge_u16_e32 vcc_lo, v80, v81
	s_and_b32 s15, vcc_lo, exec_lo
.LBB691_307:
	s_or_b32 exec_lo, exec_lo, s10
	s_orn2_b32 s10, s15, exec_lo
.LBB691_308:
	s_or_b32 exec_lo, exec_lo, s14
	v_cndmask_b32_e64 v80, v10, v13, s10
	v_cndmask_b32_e64 v81, v71, v70, s10
	s_mov_b32 s14, -1
	s_mov_b32 s15, -1
	s_mov_b32 s16, exec_lo
	v_add_nc_u32_e32 v80, 1, v80
	v_add_nc_u32_e32 v81, -1, v81
	v_cndmask_b32_e64 v10, v80, v10, s10
	v_min_u32_e32 v81, v80, v81
	v_add_nc_u32_e32 v81, v67, v81
	ds_read_u8 v82, v81
	v_cndmask_b32_e64 v81, v13, v80, s10
	s_waitcnt lgkmcnt(0)
	v_cndmask_b32_e64 v13, v82, v11, s10
	v_cndmask_b32_e64 v80, v12, v82, s10
	v_cmpx_lt_u32_e64 v10, v71
	s_cbranch_execz .LBB691_312
; %bb.309:
	s_mov_b32 s17, 0
	s_mov_b32 s15, exec_lo
	v_cmpx_lt_u32_e64 v81, v70
	s_cbranch_execz .LBB691_311
; %bb.310:
	v_and_b32_e32 v82, 0xff, v13
	v_and_b32_e32 v83, 0xff, v80
	v_mul_lo_u16 v82, 0xcd, v82
	v_mul_lo_u16 v83, 0xcd, v83
	v_lshrrev_b16 v82, 11, v82
	v_lshrrev_b16 v83, 11, v83
	v_cmp_ge_u16_e32 vcc_lo, v82, v83
	s_and_b32 s17, vcc_lo, exec_lo
.LBB691_311:
	s_or_b32 exec_lo, exec_lo, s15
	s_orn2_b32 s15, s17, exec_lo
.LBB691_312:
	s_or_b32 exec_lo, exec_lo, s16
	v_cndmask_b32_e64 v82, v10, v81, s15
	v_cndmask_b32_e64 v83, v71, v70, s15
	s_mov_b32 s16, exec_lo
	v_add_nc_u32_e32 v82, 1, v82
	v_add_nc_u32_e32 v83, -1, v83
	v_cndmask_b32_e64 v10, v82, v10, s15
	v_min_u32_e32 v83, v82, v83
	v_add_nc_u32_e32 v83, v67, v83
	ds_read_u8 v84, v83
	v_cndmask_b32_e64 v83, v81, v82, s15
	s_waitcnt lgkmcnt(0)
	v_cndmask_b32_e64 v81, v84, v13, s15
	v_cndmask_b32_e64 v82, v80, v84, s15
	v_cmpx_lt_u32_e64 v10, v71
	s_cbranch_execz .LBB691_316
; %bb.313:
	s_mov_b32 s17, 0
	s_mov_b32 s14, exec_lo
	v_cmpx_lt_u32_e64 v83, v70
	s_cbranch_execz .LBB691_315
; %bb.314:
	v_and_b32_e32 v84, 0xff, v81
	v_and_b32_e32 v85, 0xff, v82
	v_mul_lo_u16 v84, 0xcd, v84
	v_mul_lo_u16 v85, 0xcd, v85
	v_lshrrev_b16 v84, 11, v84
	v_lshrrev_b16 v85, 11, v85
	v_cmp_ge_u16_e32 vcc_lo, v84, v85
	s_and_b32 s17, vcc_lo, exec_lo
.LBB691_315:
	s_or_b32 exec_lo, exec_lo, s14
	s_orn2_b32 s14, s17, exec_lo
.LBB691_316:
	s_or_b32 exec_lo, exec_lo, s16
	v_cndmask_b32_e64 v84, v10, v83, s14
	v_cndmask_b32_e64 v85, v71, v70, s14
	s_mov_b32 s16, -1
	s_mov_b32 s17, -1
	s_mov_b32 s18, exec_lo
	v_add_nc_u32_e32 v84, 1, v84
	v_add_nc_u32_e32 v85, -1, v85
	v_cndmask_b32_e64 v10, v84, v10, s14
	v_min_u32_e32 v85, v84, v85
	v_add_nc_u32_e32 v85, v67, v85
	ds_read_u8 v86, v85
	v_cndmask_b32_e64 v85, v83, v84, s14
	s_waitcnt lgkmcnt(0)
	v_cndmask_b32_e64 v83, v86, v81, s14
	v_cndmask_b32_e64 v84, v82, v86, s14
	v_cmpx_lt_u32_e64 v10, v71
	s_cbranch_execz .LBB691_320
; %bb.317:
	s_mov_b32 s20, 0
	s_mov_b32 s17, exec_lo
	v_cmpx_lt_u32_e64 v85, v70
	s_cbranch_execz .LBB691_319
; %bb.318:
	v_and_b32_e32 v86, 0xff, v83
	v_and_b32_e32 v87, 0xff, v84
	v_mul_lo_u16 v86, 0xcd, v86
	v_mul_lo_u16 v87, 0xcd, v87
	v_lshrrev_b16 v86, 11, v86
	v_lshrrev_b16 v87, 11, v87
	v_cmp_ge_u16_e32 vcc_lo, v86, v87
	s_and_b32 s20, vcc_lo, exec_lo
.LBB691_319:
	s_or_b32 exec_lo, exec_lo, s17
	s_orn2_b32 s17, s20, exec_lo
.LBB691_320:
	s_or_b32 exec_lo, exec_lo, s18
	v_cndmask_b32_e64 v86, v10, v85, s17
	v_cndmask_b32_e64 v87, v71, v70, s17
	s_mov_b32 s18, exec_lo
	v_add_nc_u32_e32 v86, 1, v86
	v_add_nc_u32_e32 v87, -1, v87
	v_cndmask_b32_e64 v10, v86, v10, s17
	v_min_u32_e32 v87, v86, v87
	v_add_nc_u32_e32 v87, v67, v87
	ds_read_u8 v96, v87
	v_cndmask_b32_e64 v87, v85, v86, s17
	s_waitcnt lgkmcnt(0)
	v_cndmask_b32_e64 v85, v96, v83, s17
	v_cndmask_b32_e64 v86, v84, v96, s17
	v_cmpx_lt_u32_e64 v10, v71
	s_cbranch_execz .LBB691_324
; %bb.321:
	s_mov_b32 s20, 0
	s_mov_b32 s16, exec_lo
	v_cmpx_lt_u32_e64 v87, v70
	s_cbranch_execz .LBB691_323
; %bb.322:
	v_and_b32_e32 v96, 0xff, v85
	v_and_b32_e32 v97, 0xff, v86
	v_mul_lo_u16 v96, 0xcd, v96
	v_mul_lo_u16 v97, 0xcd, v97
	v_lshrrev_b16 v96, 11, v96
	v_lshrrev_b16 v97, 11, v97
	v_cmp_ge_u16_e32 vcc_lo, v96, v97
	s_and_b32 s20, vcc_lo, exec_lo
.LBB691_323:
	s_or_b32 exec_lo, exec_lo, s16
	s_orn2_b32 s16, s20, exec_lo
.LBB691_324:
	s_or_b32 exec_lo, exec_lo, s18
	v_cndmask_b32_e64 v96, v10, v87, s16
	v_cndmask_b32_e64 v97, v71, v70, s16
	s_mov_b32 s18, -1
	s_mov_b32 s20, -1
	s_mov_b32 s21, exec_lo
	v_add_nc_u32_e32 v96, 1, v96
	v_add_nc_u32_e32 v97, -1, v97
	v_cndmask_b32_e64 v10, v96, v10, s16
	v_min_u32_e32 v97, v96, v97
	v_add_nc_u32_e32 v97, v67, v97
	ds_read_u8 v98, v97
	v_cndmask_b32_e64 v97, v87, v96, s16
	s_waitcnt lgkmcnt(0)
	v_cndmask_b32_e64 v87, v98, v85, s16
	v_cndmask_b32_e64 v96, v86, v98, s16
	v_cmpx_lt_u32_e64 v10, v71
	s_cbranch_execz .LBB691_328
; %bb.325:
	s_mov_b32 s22, 0
	s_mov_b32 s20, exec_lo
	v_cmpx_lt_u32_e64 v97, v70
	s_cbranch_execz .LBB691_327
; %bb.326:
	v_and_b32_e32 v98, 0xff, v87
	v_and_b32_e32 v99, 0xff, v96
	v_mul_lo_u16 v98, 0xcd, v98
	v_mul_lo_u16 v99, 0xcd, v99
	v_lshrrev_b16 v98, 11, v98
	v_lshrrev_b16 v99, 11, v99
	v_cmp_ge_u16_e32 vcc_lo, v98, v99
	s_and_b32 s22, vcc_lo, exec_lo
.LBB691_327:
	s_or_b32 exec_lo, exec_lo, s20
	s_orn2_b32 s20, s22, exec_lo
.LBB691_328:
	s_or_b32 exec_lo, exec_lo, s21
	v_cndmask_b32_e64 v98, v10, v97, s20
	v_cndmask_b32_e64 v99, v71, v70, s20
	s_mov_b32 s21, exec_lo
	v_add_nc_u32_e32 v98, 1, v98
	v_add_nc_u32_e32 v99, -1, v99
	v_cndmask_b32_e64 v10, v98, v10, s20
	v_min_u32_e32 v99, v98, v99
	v_add_nc_u32_e32 v99, v67, v99
	ds_read_u8 v100, v99
	v_cndmask_b32_e64 v99, v97, v98, s20
	s_waitcnt lgkmcnt(0)
	v_cndmask_b32_e64 v97, v100, v87, s20
	v_cndmask_b32_e64 v98, v96, v100, s20
	v_cmpx_lt_u32_e64 v10, v71
	s_cbranch_execz .LBB691_332
; %bb.329:
	s_mov_b32 s22, 0
	s_mov_b32 s18, exec_lo
	v_cmpx_lt_u32_e64 v99, v70
	s_cbranch_execz .LBB691_331
; %bb.330:
	v_and_b32_e32 v100, 0xff, v97
	v_and_b32_e32 v101, 0xff, v98
	v_mul_lo_u16 v100, 0xcd, v100
	v_mul_lo_u16 v101, 0xcd, v101
	v_lshrrev_b16 v100, 11, v100
	v_lshrrev_b16 v101, 11, v101
	v_cmp_ge_u16_e32 vcc_lo, v100, v101
	s_and_b32 s22, vcc_lo, exec_lo
.LBB691_331:
	s_or_b32 exec_lo, exec_lo, s18
	s_orn2_b32 s18, s22, exec_lo
.LBB691_332:
	s_or_b32 exec_lo, exec_lo, s21
	v_cndmask_b32_e64 v100, v10, v99, s18
	v_cndmask_b32_e64 v101, v71, v70, s18
	s_mov_b32 s21, -1
	s_mov_b32 s22, -1
	s_mov_b32 s23, exec_lo
	v_add_nc_u32_e32 v100, 1, v100
	v_add_nc_u32_e32 v101, -1, v101
	v_cndmask_b32_e64 v10, v100, v10, s18
	v_min_u32_e32 v101, v100, v101
	v_cndmask_b32_e64 v99, v99, v100, s18
	v_add_nc_u32_e32 v101, v67, v101
	ds_read_u8 v101, v101
	s_waitcnt lgkmcnt(0)
	v_cndmask_b32_e64 v100, v101, v97, s18
	v_cndmask_b32_e64 v101, v98, v101, s18
	v_cmpx_lt_u32_e64 v10, v71
	s_cbranch_execz .LBB691_336
; %bb.333:
	s_mov_b32 s24, 0
	s_mov_b32 s22, exec_lo
	v_cmpx_lt_u32_e64 v99, v70
	s_cbranch_execz .LBB691_335
; %bb.334:
	v_and_b32_e32 v102, 0xff, v100
	v_and_b32_e32 v103, 0xff, v101
	v_mul_lo_u16 v102, 0xcd, v102
	v_mul_lo_u16 v103, 0xcd, v103
	v_lshrrev_b16 v102, 11, v102
	v_lshrrev_b16 v103, 11, v103
	v_cmp_ge_u16_e32 vcc_lo, v102, v103
	s_and_b32 s24, vcc_lo, exec_lo
.LBB691_335:
	s_or_b32 exec_lo, exec_lo, s22
	s_orn2_b32 s22, s24, exec_lo
.LBB691_336:
	s_or_b32 exec_lo, exec_lo, s23
	v_cndmask_b32_e64 v102, v10, v99, s22
	v_cndmask_b32_e64 v103, v71, v70, s22
	s_mov_b32 s23, exec_lo
	v_add_nc_u32_e32 v102, 1, v102
	v_add_nc_u32_e32 v103, -1, v103
	v_cndmask_b32_e64 v10, v102, v10, s22
	v_min_u32_e32 v103, v102, v103
	v_cndmask_b32_e64 v99, v99, v102, s22
	v_add_nc_u32_e32 v103, v67, v103
	ds_read_u8 v103, v103
	s_waitcnt lgkmcnt(0)
	v_cndmask_b32_e64 v112, v103, v100, s22
	v_cndmask_b32_e64 v113, v101, v103, s22
	v_cmpx_lt_u32_e64 v10, v71
	s_cbranch_execz .LBB691_340
; %bb.337:
	s_mov_b32 s24, 0
	s_mov_b32 s21, exec_lo
	v_cmpx_lt_u32_e64 v99, v70
	s_cbranch_execz .LBB691_339
; %bb.338:
	v_and_b32_e32 v102, 0xff, v112
	v_and_b32_e32 v103, 0xff, v113
	v_mul_lo_u16 v102, 0xcd, v102
	v_mul_lo_u16 v103, 0xcd, v103
	v_lshrrev_b16 v102, 11, v102
	v_lshrrev_b16 v103, 11, v103
	v_cmp_ge_u16_e32 vcc_lo, v102, v103
	s_and_b32 s24, vcc_lo, exec_lo
.LBB691_339:
	s_or_b32 exec_lo, exec_lo, s21
	s_orn2_b32 s21, s24, exec_lo
.LBB691_340:
	s_or_b32 exec_lo, exec_lo, s23
	v_cndmask_b32_e64 v102, v10, v99, s21
	v_cndmask_b32_e64 v103, v71, v70, s21
	s_mov_b32 s23, -1
	s_mov_b32 s24, -1
	s_mov_b32 s25, exec_lo
	v_add_nc_u32_e32 v102, 1, v102
	v_add_nc_u32_e32 v103, -1, v103
	v_cndmask_b32_e64 v10, v102, v10, s21
	v_min_u32_e32 v103, v102, v103
	v_cndmask_b32_e64 v99, v99, v102, s21
	v_add_nc_u32_e32 v103, v67, v103
	ds_read_u8 v103, v103
	s_waitcnt lgkmcnt(0)
	v_cndmask_b32_e64 v116, v103, v112, s21
	v_cndmask_b32_e64 v117, v113, v103, s21
	v_cmpx_lt_u32_e64 v10, v71
	s_cbranch_execz .LBB691_344
; %bb.341:
	s_mov_b32 s26, 0
	s_mov_b32 s24, exec_lo
	v_cmpx_lt_u32_e64 v99, v70
	s_cbranch_execz .LBB691_343
; %bb.342:
	v_and_b32_e32 v102, 0xff, v116
	v_and_b32_e32 v103, 0xff, v117
	v_mul_lo_u16 v102, 0xcd, v102
	v_mul_lo_u16 v103, 0xcd, v103
	v_lshrrev_b16 v102, 11, v102
	v_lshrrev_b16 v103, 11, v103
	v_cmp_ge_u16_e32 vcc_lo, v102, v103
	s_and_b32 s26, vcc_lo, exec_lo
.LBB691_343:
	s_or_b32 exec_lo, exec_lo, s24
	s_orn2_b32 s24, s26, exec_lo
.LBB691_344:
	s_or_b32 exec_lo, exec_lo, s25
	v_cndmask_b32_e64 v102, v10, v99, s24
	v_cndmask_b32_e64 v103, v71, v70, s24
	s_mov_b32 s25, exec_lo
	v_add_nc_u32_e32 v102, 1, v102
	v_add_nc_u32_e32 v103, -1, v103
	v_cndmask_b32_e64 v10, v102, v10, s24
	v_min_u32_e32 v103, v102, v103
	v_cndmask_b32_e64 v99, v99, v102, s24
	v_add_nc_u32_e32 v103, v67, v103
	ds_read_u8 v103, v103
	s_waitcnt lgkmcnt(0)
	v_cndmask_b32_e64 v128, v103, v116, s24
	v_cndmask_b32_e64 v129, v117, v103, s24
	v_cmpx_lt_u32_e64 v10, v71
	s_cbranch_execz .LBB691_348
; %bb.345:
	s_mov_b32 s26, 0
	s_mov_b32 s23, exec_lo
	v_cmpx_lt_u32_e64 v99, v70
	s_cbranch_execz .LBB691_347
; %bb.346:
	v_and_b32_e32 v102, 0xff, v128
	v_and_b32_e32 v103, 0xff, v129
	v_mul_lo_u16 v102, 0xcd, v102
	v_mul_lo_u16 v103, 0xcd, v103
	v_lshrrev_b16 v102, 11, v102
	v_lshrrev_b16 v103, 11, v103
	v_cmp_ge_u16_e32 vcc_lo, v102, v103
	s_and_b32 s26, vcc_lo, exec_lo
.LBB691_347:
	s_or_b32 exec_lo, exec_lo, s23
	s_orn2_b32 s23, s26, exec_lo
.LBB691_348:
	s_or_b32 exec_lo, exec_lo, s25
	v_cndmask_b32_e64 v102, v10, v99, s23
	v_cndmask_b32_e64 v103, v71, v70, s23
	s_mov_b32 s25, -1
	s_mov_b32 s26, -1
	s_mov_b32 s27, exec_lo
	v_add_nc_u32_e32 v102, 1, v102
	v_add_nc_u32_e32 v103, -1, v103
	v_cndmask_b32_e64 v10, v102, v10, s23
	v_min_u32_e32 v103, v102, v103
	v_cndmask_b32_e64 v99, v99, v102, s23
	v_add_nc_u32_e32 v103, v67, v103
	ds_read_u8 v103, v103
	s_waitcnt lgkmcnt(0)
	v_cndmask_b32_e64 v131, v103, v128, s23
	v_cndmask_b32_e64 v132, v129, v103, s23
	v_cmpx_lt_u32_e64 v10, v71
	s_cbranch_execz .LBB691_352
; %bb.349:
	s_mov_b32 s28, 0
	s_mov_b32 s26, exec_lo
	v_cmpx_lt_u32_e64 v99, v70
	s_cbranch_execz .LBB691_351
; %bb.350:
	v_and_b32_e32 v102, 0xff, v131
	v_and_b32_e32 v103, 0xff, v132
	v_mul_lo_u16 v102, 0xcd, v102
	v_mul_lo_u16 v103, 0xcd, v103
	v_lshrrev_b16 v102, 11, v102
	v_lshrrev_b16 v103, 11, v103
	v_cmp_ge_u16_e32 vcc_lo, v102, v103
	s_and_b32 s28, vcc_lo, exec_lo
.LBB691_351:
	s_or_b32 exec_lo, exec_lo, s26
	s_orn2_b32 s26, s28, exec_lo
.LBB691_352:
	s_or_b32 exec_lo, exec_lo, s27
	v_cndmask_b32_e64 v102, v10, v99, s26
	v_cndmask_b32_e64 v103, v71, v70, s26
	s_mov_b32 s27, exec_lo
	v_add_nc_u32_e32 v102, 1, v102
	v_add_nc_u32_e32 v103, -1, v103
	v_cndmask_b32_e64 v10, v102, v10, s26
	v_min_u32_e32 v103, v102, v103
	v_cndmask_b32_e64 v99, v99, v102, s26
	v_add_nc_u32_e32 v103, v67, v103
	ds_read_u8 v103, v103
	s_waitcnt lgkmcnt(0)
	v_cndmask_b32_e64 v133, v103, v131, s26
	v_cndmask_b32_e64 v134, v132, v103, s26
	v_cmpx_lt_u32_e64 v10, v71
	s_cbranch_execz .LBB691_356
; %bb.353:
	s_mov_b32 s28, 0
	s_mov_b32 s25, exec_lo
	v_cmpx_lt_u32_e64 v99, v70
	s_cbranch_execz .LBB691_355
; %bb.354:
	v_and_b32_e32 v102, 0xff, v133
	v_and_b32_e32 v103, 0xff, v134
	v_mul_lo_u16 v102, 0xcd, v102
	v_mul_lo_u16 v103, 0xcd, v103
	v_lshrrev_b16 v102, 11, v102
	v_lshrrev_b16 v103, 11, v103
	v_cmp_ge_u16_e32 vcc_lo, v102, v103
	s_and_b32 s28, vcc_lo, exec_lo
.LBB691_355:
	s_or_b32 exec_lo, exec_lo, s25
	s_orn2_b32 s25, s28, exec_lo
.LBB691_356:
	s_or_b32 exec_lo, exec_lo, s27
	v_cndmask_b32_e64 v102, v10, v99, s25
	v_cndmask_b32_e64 v103, v71, v70, s25
	s_mov_b32 s27, -1
	s_mov_b32 s28, -1
	s_mov_b32 s29, exec_lo
	v_add_nc_u32_e32 v102, 1, v102
	v_add_nc_u32_e32 v103, -1, v103
	v_cndmask_b32_e64 v10, v102, v10, s25
	v_min_u32_e32 v103, v102, v103
	v_cndmask_b32_e64 v99, v99, v102, s25
	v_add_nc_u32_e32 v103, v67, v103
	ds_read_u8 v103, v103
	s_waitcnt lgkmcnt(0)
	v_cndmask_b32_e64 v135, v103, v133, s25
	v_cndmask_b32_e64 v144, v134, v103, s25
	v_cmpx_lt_u32_e64 v10, v71
	s_cbranch_execz .LBB691_360
; %bb.357:
	s_mov_b32 s40, 0
	s_mov_b32 s28, exec_lo
	v_cmpx_lt_u32_e64 v99, v70
	s_cbranch_execz .LBB691_359
; %bb.358:
	v_and_b32_e32 v102, 0xff, v135
	v_and_b32_e32 v103, 0xff, v144
	v_mul_lo_u16 v102, 0xcd, v102
	v_mul_lo_u16 v103, 0xcd, v103
	v_lshrrev_b16 v102, 11, v102
	v_lshrrev_b16 v103, 11, v103
	v_cmp_ge_u16_e32 vcc_lo, v102, v103
	s_and_b32 s40, vcc_lo, exec_lo
.LBB691_359:
	s_or_b32 exec_lo, exec_lo, s28
	s_orn2_b32 s28, s40, exec_lo
.LBB691_360:
	s_or_b32 exec_lo, exec_lo, s29
	v_cndmask_b32_e64 v102, v10, v99, s28
	v_cndmask_b32_e64 v103, v71, v70, s28
	s_mov_b32 s29, exec_lo
	v_add_nc_u32_e32 v102, 1, v102
	v_add_nc_u32_e32 v103, -1, v103
	v_cndmask_b32_e64 v10, v102, v10, s28
	v_min_u32_e32 v103, v102, v103
	v_cndmask_b32_e64 v99, v99, v102, s28
	v_add_nc_u32_e32 v103, v67, v103
	ds_read_u8 v103, v103
	s_waitcnt lgkmcnt(0)
	v_cndmask_b32_e64 v145, v103, v135, s28
	v_cndmask_b32_e64 v146, v144, v103, s28
	v_cmpx_lt_u32_e64 v10, v71
	s_cbranch_execz .LBB691_364
; %bb.361:
	s_mov_b32 s40, 0
	s_mov_b32 s27, exec_lo
	v_cmpx_lt_u32_e64 v99, v70
	s_cbranch_execz .LBB691_363
; %bb.362:
	v_and_b32_e32 v102, 0xff, v145
	v_and_b32_e32 v103, 0xff, v146
	v_mul_lo_u16 v102, 0xcd, v102
	v_mul_lo_u16 v103, 0xcd, v103
	v_lshrrev_b16 v102, 11, v102
	v_lshrrev_b16 v103, 11, v103
	v_cmp_ge_u16_e32 vcc_lo, v102, v103
	s_and_b32 s40, vcc_lo, exec_lo
.LBB691_363:
	s_or_b32 exec_lo, exec_lo, s27
	s_orn2_b32 s27, s40, exec_lo
.LBB691_364:
	s_or_b32 exec_lo, exec_lo, s29
	v_cndmask_b32_e64 v102, v10, v99, s27
	v_cndmask_b32_e64 v103, v71, v70, s27
	s_mov_b32 s29, -1
	s_mov_b32 s40, -1
	s_mov_b32 s41, exec_lo
	v_add_nc_u32_e32 v102, 1, v102
	v_add_nc_u32_e32 v103, -1, v103
	v_cndmask_b32_e64 v10, v102, v10, s27
	v_min_u32_e32 v103, v102, v103
	v_cndmask_b32_e64 v99, v99, v102, s27
	v_add_nc_u32_e32 v103, v67, v103
	ds_read_u8 v103, v103
	s_waitcnt lgkmcnt(0)
	v_cndmask_b32_e64 v147, v103, v145, s27
	v_cndmask_b32_e64 v148, v146, v103, s27
	v_cmpx_lt_u32_e64 v10, v71
	s_cbranch_execz .LBB691_368
; %bb.365:
	s_mov_b32 s42, 0
	s_mov_b32 s40, exec_lo
	v_cmpx_lt_u32_e64 v99, v70
	s_cbranch_execz .LBB691_367
; %bb.366:
	v_and_b32_e32 v102, 0xff, v147
	v_and_b32_e32 v103, 0xff, v148
	v_mul_lo_u16 v102, 0xcd, v102
	v_mul_lo_u16 v103, 0xcd, v103
	v_lshrrev_b16 v102, 11, v102
	v_lshrrev_b16 v103, 11, v103
	v_cmp_ge_u16_e32 vcc_lo, v102, v103
	s_and_b32 s42, vcc_lo, exec_lo
.LBB691_367:
	s_or_b32 exec_lo, exec_lo, s40
	s_orn2_b32 s40, s42, exec_lo
.LBB691_368:
	s_or_b32 exec_lo, exec_lo, s41
	v_cndmask_b32_e64 v102, v10, v99, s40
	v_cndmask_b32_e64 v103, v71, v70, s40
	s_mov_b32 s41, exec_lo
	v_add_nc_u32_e32 v102, 1, v102
	v_add_nc_u32_e32 v103, -1, v103
	v_cndmask_b32_e64 v10, v102, v10, s40
	v_min_u32_e32 v103, v102, v103
	v_cndmask_b32_e64 v99, v99, v102, s40
	v_add_nc_u32_e32 v103, v67, v103
	ds_read_u8 v103, v103
	s_waitcnt lgkmcnt(0)
	v_cndmask_b32_e64 v149, v103, v147, s40
	v_cndmask_b32_e64 v150, v148, v103, s40
	v_cmpx_lt_u32_e64 v10, v71
	s_cbranch_execz .LBB691_372
; %bb.369:
	s_mov_b32 s42, 0
	s_mov_b32 s29, exec_lo
	v_cmpx_lt_u32_e64 v99, v70
	s_cbranch_execz .LBB691_371
; %bb.370:
	v_and_b32_e32 v102, 0xff, v149
	v_and_b32_e32 v103, 0xff, v150
	v_mul_lo_u16 v102, 0xcd, v102
	v_mul_lo_u16 v103, 0xcd, v103
	v_lshrrev_b16 v102, 11, v102
	v_lshrrev_b16 v103, 11, v103
	v_cmp_ge_u16_e32 vcc_lo, v102, v103
	s_and_b32 s42, vcc_lo, exec_lo
.LBB691_371:
	s_or_b32 exec_lo, exec_lo, s29
	s_orn2_b32 s29, s42, exec_lo
.LBB691_372:
	s_or_b32 exec_lo, exec_lo, s41
	v_cndmask_b32_e64 v102, v10, v99, s29
	v_cndmask_b32_e64 v103, v71, v70, s29
	s_mov_b32 s41, -1
	s_mov_b32 s42, -1
	s_mov_b32 s43, exec_lo
	v_add_nc_u32_e32 v102, 1, v102
	v_add_nc_u32_e32 v103, -1, v103
	v_cndmask_b32_e64 v10, v102, v10, s29
	v_min_u32_e32 v103, v102, v103
	v_cndmask_b32_e64 v99, v99, v102, s29
	v_add_nc_u32_e32 v103, v67, v103
	ds_read_u8 v103, v103
	s_waitcnt lgkmcnt(0)
	v_cndmask_b32_e64 v151, v103, v149, s29
	v_cndmask_b32_e64 v160, v150, v103, s29
	v_cmpx_lt_u32_e64 v10, v71
	s_cbranch_execz .LBB691_376
; %bb.373:
	s_mov_b32 s44, 0
	s_mov_b32 s42, exec_lo
	v_cmpx_lt_u32_e64 v99, v70
	s_cbranch_execz .LBB691_375
; %bb.374:
	v_and_b32_e32 v102, 0xff, v151
	v_and_b32_e32 v103, 0xff, v160
	v_mul_lo_u16 v102, 0xcd, v102
	v_mul_lo_u16 v103, 0xcd, v103
	v_lshrrev_b16 v102, 11, v102
	v_lshrrev_b16 v103, 11, v103
	v_cmp_ge_u16_e32 vcc_lo, v102, v103
	s_and_b32 s44, vcc_lo, exec_lo
.LBB691_375:
	s_or_b32 exec_lo, exec_lo, s42
	s_orn2_b32 s42, s44, exec_lo
.LBB691_376:
	s_or_b32 exec_lo, exec_lo, s43
	v_cndmask_b32_e64 v102, v10, v99, s42
	v_cndmask_b32_e64 v103, v71, v70, s42
	s_mov_b32 s43, exec_lo
	v_add_nc_u32_e32 v102, 1, v102
	v_add_nc_u32_e32 v103, -1, v103
	v_cndmask_b32_e64 v10, v102, v10, s42
	v_min_u32_e32 v103, v102, v103
	v_cndmask_b32_e64 v99, v99, v102, s42
	v_add_nc_u32_e32 v103, v67, v103
	ds_read_u8 v103, v103
	s_waitcnt lgkmcnt(0)
	v_cndmask_b32_e64 v161, v103, v151, s42
	v_cndmask_b32_e64 v162, v160, v103, s42
	v_cmpx_lt_u32_e64 v10, v71
	s_cbranch_execz .LBB691_380
; %bb.377:
	s_mov_b32 s44, 0
	s_mov_b32 s41, exec_lo
	v_cmpx_lt_u32_e64 v99, v70
	s_cbranch_execz .LBB691_379
; %bb.378:
	v_and_b32_e32 v102, 0xff, v161
	v_and_b32_e32 v103, 0xff, v162
	v_mul_lo_u16 v102, 0xcd, v102
	v_mul_lo_u16 v103, 0xcd, v103
	v_lshrrev_b16 v102, 11, v102
	v_lshrrev_b16 v103, 11, v103
	v_cmp_ge_u16_e32 vcc_lo, v102, v103
	s_and_b32 s44, vcc_lo, exec_lo
.LBB691_379:
	s_or_b32 exec_lo, exec_lo, s41
	s_orn2_b32 s41, s44, exec_lo
.LBB691_380:
	s_or_b32 exec_lo, exec_lo, s43
	v_cndmask_b32_e64 v102, v10, v99, s41
	v_cndmask_b32_e64 v103, v71, v70, s41
	s_mov_b32 s43, -1
	s_mov_b32 s44, -1
	s_mov_b32 s45, exec_lo
	v_add_nc_u32_e32 v102, 1, v102
	v_add_nc_u32_e32 v103, -1, v103
	v_cndmask_b32_e64 v10, v102, v10, s41
	v_min_u32_e32 v103, v102, v103
	v_cndmask_b32_e64 v99, v99, v102, s41
	v_add_nc_u32_e32 v103, v67, v103
	ds_read_u8 v103, v103
	s_waitcnt lgkmcnt(0)
	v_cndmask_b32_e64 v163, v103, v161, s41
	v_cndmask_b32_e64 v164, v162, v103, s41
	v_cmpx_lt_u32_e64 v10, v71
	s_cbranch_execz .LBB691_384
; %bb.381:
	s_mov_b32 s46, 0
	s_mov_b32 s44, exec_lo
	v_cmpx_lt_u32_e64 v99, v70
	s_cbranch_execz .LBB691_383
; %bb.382:
	v_and_b32_e32 v102, 0xff, v163
	v_and_b32_e32 v103, 0xff, v164
	v_mul_lo_u16 v102, 0xcd, v102
	v_mul_lo_u16 v103, 0xcd, v103
	v_lshrrev_b16 v102, 11, v102
	v_lshrrev_b16 v103, 11, v103
	v_cmp_ge_u16_e32 vcc_lo, v102, v103
	s_and_b32 s46, vcc_lo, exec_lo
.LBB691_383:
	s_or_b32 exec_lo, exec_lo, s44
	s_orn2_b32 s44, s46, exec_lo
.LBB691_384:
	s_or_b32 exec_lo, exec_lo, s45
	v_cndmask_b32_e64 v102, v10, v99, s44
	v_cndmask_b32_e64 v103, v71, v70, s44
	s_mov_b32 s45, exec_lo
	v_add_nc_u32_e32 v102, 1, v102
	v_add_nc_u32_e32 v103, -1, v103
	v_cndmask_b32_e64 v10, v102, v10, s44
	v_min_u32_e32 v103, v102, v103
	v_cndmask_b32_e64 v99, v99, v102, s44
	v_add_nc_u32_e32 v103, v67, v103
	ds_read_u8 v103, v103
	s_waitcnt lgkmcnt(0)
	v_cndmask_b32_e64 v165, v103, v163, s44
	v_cndmask_b32_e64 v166, v164, v103, s44
	v_cmpx_lt_u32_e64 v10, v71
	s_cbranch_execz .LBB691_388
; %bb.385:
	s_mov_b32 s46, 0
	s_mov_b32 s43, exec_lo
	v_cmpx_lt_u32_e64 v99, v70
	s_cbranch_execz .LBB691_387
; %bb.386:
	v_and_b32_e32 v102, 0xff, v165
	v_and_b32_e32 v103, 0xff, v166
	v_mul_lo_u16 v102, 0xcd, v102
	v_mul_lo_u16 v103, 0xcd, v103
	v_lshrrev_b16 v102, 11, v102
	v_lshrrev_b16 v103, 11, v103
	v_cmp_ge_u16_e32 vcc_lo, v102, v103
	s_and_b32 s46, vcc_lo, exec_lo
.LBB691_387:
	s_or_b32 exec_lo, exec_lo, s43
	s_orn2_b32 s43, s46, exec_lo
.LBB691_388:
	s_or_b32 exec_lo, exec_lo, s45
	v_cndmask_b32_e64 v102, v10, v99, s43
	v_cndmask_b32_e64 v103, v71, v70, s43
	s_mov_b32 s45, -1
	s_mov_b32 s46, -1
	s_mov_b32 s47, exec_lo
	v_add_nc_u32_e32 v102, 1, v102
	v_add_nc_u32_e32 v103, -1, v103
	v_cndmask_b32_e64 v10, v102, v10, s43
	v_min_u32_e32 v103, v102, v103
	v_cndmask_b32_e64 v99, v99, v102, s43
	v_add_nc_u32_e32 v103, v67, v103
	ds_read_u8 v103, v103
	s_waitcnt lgkmcnt(0)
	v_cndmask_b32_e64 v167, v103, v165, s43
	v_cndmask_b32_e64 v176, v166, v103, s43
	v_cmpx_lt_u32_e64 v10, v71
	s_cbranch_execz .LBB691_392
; %bb.389:
	s_mov_b32 s56, 0
	s_mov_b32 s46, exec_lo
	v_cmpx_lt_u32_e64 v99, v70
	s_cbranch_execz .LBB691_391
; %bb.390:
	v_and_b32_e32 v102, 0xff, v167
	v_and_b32_e32 v103, 0xff, v176
	v_mul_lo_u16 v102, 0xcd, v102
	v_mul_lo_u16 v103, 0xcd, v103
	v_lshrrev_b16 v102, 11, v102
	v_lshrrev_b16 v103, 11, v103
	v_cmp_ge_u16_e32 vcc_lo, v102, v103
	s_and_b32 s56, vcc_lo, exec_lo
.LBB691_391:
	s_or_b32 exec_lo, exec_lo, s46
	s_orn2_b32 s46, s56, exec_lo
.LBB691_392:
	s_or_b32 exec_lo, exec_lo, s47
	v_cndmask_b32_e64 v102, v10, v99, s46
	v_cndmask_b32_e64 v103, v71, v70, s46
	s_mov_b32 s47, exec_lo
	v_add_nc_u32_e32 v102, 1, v102
	v_add_nc_u32_e32 v103, -1, v103
	v_cndmask_b32_e64 v10, v102, v10, s46
	v_min_u32_e32 v103, v102, v103
	v_cndmask_b32_e64 v99, v99, v102, s46
	v_add_nc_u32_e32 v103, v67, v103
	ds_read_u8 v103, v103
	s_waitcnt lgkmcnt(0)
	v_cndmask_b32_e64 v177, v103, v167, s46
	v_cndmask_b32_e64 v178, v176, v103, s46
	v_cmpx_lt_u32_e64 v10, v71
	s_cbranch_execz .LBB691_396
; %bb.393:
	s_mov_b32 s56, 0
	s_mov_b32 s45, exec_lo
	v_cmpx_lt_u32_e64 v99, v70
	s_cbranch_execz .LBB691_395
; %bb.394:
	v_and_b32_e32 v102, 0xff, v177
	v_and_b32_e32 v103, 0xff, v178
	v_mul_lo_u16 v102, 0xcd, v102
	v_mul_lo_u16 v103, 0xcd, v103
	v_lshrrev_b16 v102, 11, v102
	v_lshrrev_b16 v103, 11, v103
	v_cmp_ge_u16_e32 vcc_lo, v102, v103
	s_and_b32 s56, vcc_lo, exec_lo
.LBB691_395:
	s_or_b32 exec_lo, exec_lo, s45
	s_orn2_b32 s45, s56, exec_lo
.LBB691_396:
	s_or_b32 exec_lo, exec_lo, s47
	v_cndmask_b32_e64 v102, v10, v99, s45
	v_cndmask_b32_e64 v103, v71, v70, s45
	s_mov_b32 s47, -1
	s_mov_b32 s56, -1
	s_mov_b32 s57, exec_lo
	v_add_nc_u32_e32 v102, 1, v102
	v_add_nc_u32_e32 v103, -1, v103
	v_cndmask_b32_e64 v10, v102, v10, s45
	v_min_u32_e32 v103, v102, v103
	v_cndmask_b32_e64 v99, v99, v102, s45
	v_add_nc_u32_e32 v103, v67, v103
	ds_read_u8 v103, v103
	s_waitcnt lgkmcnt(0)
	v_cndmask_b32_e64 v179, v103, v177, s45
	v_cndmask_b32_e64 v180, v178, v103, s45
	v_cmpx_lt_u32_e64 v10, v71
	s_cbranch_execz .LBB691_400
; %bb.397:
	s_mov_b32 s58, 0
	s_mov_b32 s56, exec_lo
	v_cmpx_lt_u32_e64 v99, v70
	s_cbranch_execz .LBB691_399
; %bb.398:
	v_and_b32_e32 v102, 0xff, v179
	v_and_b32_e32 v103, 0xff, v180
	v_mul_lo_u16 v102, 0xcd, v102
	v_mul_lo_u16 v103, 0xcd, v103
	v_lshrrev_b16 v102, 11, v102
	v_lshrrev_b16 v103, 11, v103
	v_cmp_ge_u16_e32 vcc_lo, v102, v103
	s_and_b32 s58, vcc_lo, exec_lo
.LBB691_399:
	s_or_b32 exec_lo, exec_lo, s56
	s_orn2_b32 s56, s58, exec_lo
.LBB691_400:
	s_or_b32 exec_lo, exec_lo, s57
	v_cndmask_b32_e64 v102, v10, v99, s56
	v_cndmask_b32_e64 v103, v71, v70, s56
	s_mov_b32 s57, exec_lo
	v_add_nc_u32_e32 v102, 1, v102
	v_add_nc_u32_e32 v103, -1, v103
	v_cndmask_b32_e64 v10, v102, v10, s56
	v_min_u32_e32 v103, v102, v103
	v_cndmask_b32_e64 v99, v99, v102, s56
	v_add_nc_u32_e32 v103, v67, v103
	ds_read_u8 v103, v103
	s_waitcnt lgkmcnt(0)
	v_cndmask_b32_e64 v181, v103, v179, s56
	v_cndmask_b32_e64 v182, v180, v103, s56
	v_cmpx_lt_u32_e64 v10, v71
	s_cbranch_execz .LBB691_404
; %bb.401:
	s_mov_b32 s58, 0
	s_mov_b32 s47, exec_lo
	v_cmpx_lt_u32_e64 v99, v70
	s_cbranch_execz .LBB691_403
; %bb.402:
	v_and_b32_e32 v102, 0xff, v181
	v_and_b32_e32 v103, 0xff, v182
	v_mul_lo_u16 v102, 0xcd, v102
	v_mul_lo_u16 v103, 0xcd, v103
	v_lshrrev_b16 v102, 11, v102
	v_lshrrev_b16 v103, 11, v103
	v_cmp_ge_u16_e32 vcc_lo, v102, v103
	s_and_b32 s58, vcc_lo, exec_lo
.LBB691_403:
	s_or_b32 exec_lo, exec_lo, s47
	s_orn2_b32 s47, s58, exec_lo
.LBB691_404:
	s_or_b32 exec_lo, exec_lo, s57
	v_cndmask_b32_e64 v102, v10, v99, s47
	v_cndmask_b32_e64 v103, v71, v70, s47
	s_mov_b32 s57, -1
	s_mov_b32 s58, -1
	s_mov_b32 s59, exec_lo
	v_add_nc_u32_e32 v102, 1, v102
	v_add_nc_u32_e32 v103, -1, v103
	v_cndmask_b32_e64 v10, v102, v10, s47
	v_min_u32_e32 v103, v102, v103
	v_cndmask_b32_e64 v99, v99, v102, s47
	v_add_nc_u32_e32 v103, v67, v103
	ds_read_u8 v103, v103
	s_waitcnt lgkmcnt(0)
	v_cndmask_b32_e64 v183, v103, v181, s47
	v_cndmask_b32_e64 v192, v182, v103, s47
	v_cmpx_lt_u32_e64 v10, v71
	s_cbranch_execz .LBB691_408
; %bb.405:
	s_mov_b32 s60, 0
	s_mov_b32 s58, exec_lo
	v_cmpx_lt_u32_e64 v99, v70
	s_cbranch_execz .LBB691_407
; %bb.406:
	v_and_b32_e32 v102, 0xff, v183
	v_and_b32_e32 v103, 0xff, v192
	v_mul_lo_u16 v102, 0xcd, v102
	v_mul_lo_u16 v103, 0xcd, v103
	v_lshrrev_b16 v102, 11, v102
	v_lshrrev_b16 v103, 11, v103
	v_cmp_ge_u16_e32 vcc_lo, v102, v103
	s_and_b32 s60, vcc_lo, exec_lo
.LBB691_407:
	s_or_b32 exec_lo, exec_lo, s58
	s_orn2_b32 s58, s60, exec_lo
.LBB691_408:
	s_or_b32 exec_lo, exec_lo, s59
	v_cndmask_b32_e64 v102, v10, v99, s58
	v_cndmask_b32_e64 v103, v71, v70, s58
	s_mov_b32 s59, exec_lo
	v_add_nc_u32_e32 v114, 1, v102
	v_add_nc_u32_e32 v102, -1, v103
	v_min_u32_e32 v102, v114, v102
	v_add_nc_u32_e32 v102, v67, v102
	ds_read_u8 v103, v102
	v_cndmask_b32_e64 v102, v114, v10, s58
	v_cndmask_b32_e64 v10, v99, v114, s58
	s_waitcnt lgkmcnt(0)
	v_cndmask_b32_e64 v193, v103, v183, s58
	v_cndmask_b32_e64 v194, v192, v103, s58
	v_cmpx_lt_u32_e64 v102, v71
	s_cbranch_execz .LBB691_412
; %bb.409:
	s_mov_b32 s60, 0
	s_mov_b32 s57, exec_lo
	v_cmpx_lt_u32_e64 v10, v70
	s_cbranch_execz .LBB691_411
; %bb.410:
	v_and_b32_e32 v99, 0xff, v193
	v_and_b32_e32 v103, 0xff, v194
	v_mul_lo_u16 v99, 0xcd, v99
	v_mul_lo_u16 v103, 0xcd, v103
	v_lshrrev_b16 v99, 11, v99
	v_lshrrev_b16 v103, 11, v103
	v_cmp_ge_u16_e32 vcc_lo, v99, v103
	s_and_b32 s60, vcc_lo, exec_lo
.LBB691_411:
	s_or_b32 exec_lo, exec_lo, s57
	s_orn2_b32 s57, s60, exec_lo
.LBB691_412:
	s_or_b32 exec_lo, exec_lo, s59
	v_cndmask_b32_e64 v99, v102, v10, s57
	v_cndmask_b32_e64 v114, v71, v70, s57
	s_mov_b32 s59, exec_lo
	v_add_nc_u32_e32 v103, 1, v99
	v_add_nc_u32_e32 v99, -1, v114
	v_cndmask_b32_e64 v102, v103, v102, s57
	v_min_u32_e32 v99, v103, v99
	v_add_nc_u32_e32 v99, v67, v99
	ds_read_u8 v114, v99
	s_waitcnt lgkmcnt(0)
	v_cndmask_b32_e64 v99, v194, v114, s57
	v_cmpx_lt_u32_e64 v102, v71
	s_cbranch_execz .LBB691_416
; %bb.413:
	v_cndmask_b32_e64 v71, v10, v103, s57
	v_cndmask_b32_e64 v10, v114, v193, s57
	s_mov_b32 s60, exec_lo
	v_cmpx_lt_u32_e64 v71, v70
	s_cbranch_execz .LBB691_415
; %bb.414:
	v_and_b32_e32 v70, 0xff, v10
	v_and_b32_e32 v71, 0xff, v99
	v_mul_lo_u16 v70, 0xcd, v70
	v_mul_lo_u16 v71, 0xcd, v71
	v_lshrrev_b16 v70, 11, v70
	v_lshrrev_b16 v71, 11, v71
	v_cmp_lt_u16_e32 vcc_lo, v70, v71
	v_cndmask_b32_e32 v10, v99, v10, vcc_lo
.LBB691_415:
	s_or_b32 exec_lo, exec_lo, s60
	v_mov_b32_e32 v99, v10
.LBB691_416:
	s_or_b32 exec_lo, exec_lo, s59
	v_cndmask_b32_e64 v118, v11, v12, s10
	v_cndmask_b32_e64 v114, v13, v80, s15
	;; [unrolled: 1-line block ×22, first 2 shown]
	v_lshlrev_b16 v0, 8, v101
	v_lshlrev_b16 v1, 8, v13
	;; [unrolled: 1-line block ×4, first 2 shown]
	v_cndmask_b32_e64 v103, v6, v7, s4
	v_cndmask_b32_e64 v10, v8, v9, s11
	v_cndmask_b32_e64 v112, v131, v132, s26
	v_cndmask_b32_e64 v97, v133, v134, s25
	v_cndmask_b32_e64 v85, v145, v146, s27
	v_or_b32_sdwa v0, v117, v0 dst_sel:DWORD dst_unused:UNUSED_PAD src0_sel:BYTE_0 src1_sel:DWORD
	v_or_b32_sdwa v1, v113, v1 dst_sel:WORD_1 dst_unused:UNUSED_PAD src0_sel:BYTE_0 src1_sel:DWORD
	v_or_b32_sdwa v6, v116, v2 dst_sel:DWORD dst_unused:UNUSED_PAD src0_sel:BYTE_0 src1_sel:DWORD
	v_or_b32_sdwa v3, v87, v3 dst_sel:WORD_1 dst_unused:UNUSED_PAD src0_sel:BYTE_0 src1_sel:DWORD
	v_lshlrev_b16 v7, 8, v84
	v_lshlrev_b16 v8, 8, v12
	v_cndmask_b32_e64 v100, v128, v129, s23
	v_cndmask_b32_e64 v128, v183, v192, s58
	v_or_b32_sdwa v2, v0, v1 dst_sel:DWORD dst_unused:UNUSED_PAD src0_sel:WORD_0 src1_sel:DWORD
	v_or_b32_sdwa v1, v6, v3 dst_sel:DWORD dst_unused:UNUSED_PAD src0_sel:WORD_0 src1_sel:DWORD
	v_or_b32_sdwa v0, v97, v7 dst_sel:DWORD dst_unused:UNUSED_PAD src0_sel:BYTE_0 src1_sel:DWORD
	v_or_b32_sdwa v3, v85, v8 dst_sel:WORD_1 dst_unused:UNUSED_PAD src0_sel:BYTE_0 src1_sel:DWORD
	v_lshlrev_b16 v6, 8, v98
	v_lshlrev_b16 v7, 8, v112
	;; [unrolled: 1-line block ×4, first 2 shown]
	v_cndmask_b32_e64 v129, v181, v182, s47
	v_or_b32_sdwa v0, v0, v3 dst_sel:DWORD dst_unused:UNUSED_PAD src0_sel:WORD_0 src1_sel:DWORD
	v_or_b32_sdwa v3, v130, v6 dst_sel:DWORD dst_unused:UNUSED_PAD src0_sel:BYTE_0 src1_sel:DWORD
	v_or_b32_sdwa v6, v100, v7 dst_sel:WORD_1 dst_unused:UNUSED_PAD src0_sel:BYTE_0 src1_sel:DWORD
	v_or_b32_sdwa v7, v119, v8 dst_sel:DWORD dst_unused:UNUSED_PAD src0_sel:BYTE_0 src1_sel:DWORD
	v_or_b32_sdwa v8, v83, v9 dst_sel:WORD_1 dst_unused:UNUSED_PAD src0_sel:BYTE_0 src1_sel:DWORD
	v_lshlrev_b16 v9, 8, v128
	v_cndmask_b32_e64 v131, v193, v194, s57
	v_lshlrev_b16 v70, 8, v114
	v_lshlrev_b16 v71, 8, v81
	;; [unrolled: 1-line block ×4, first 2 shown]
	v_or_b32_sdwa v9, v129, v9 dst_sel:DWORD dst_unused:UNUSED_PAD src0_sel:BYTE_0 src1_sel:DWORD
	v_or_b32_sdwa v70, v118, v70 dst_sel:DWORD dst_unused:UNUSED_PAD src0_sel:BYTE_0 src1_sel:DWORD
	v_or_b32_sdwa v71, v80, v71 dst_sel:WORD_1 dst_unused:UNUSED_PAD src0_sel:BYTE_0 src1_sel:DWORD
	v_or_b32_sdwa v132, v115, v132 dst_sel:DWORD dst_unused:UNUSED_PAD src0_sel:BYTE_0 src1_sel:DWORD
	v_or_b32_sdwa v133, v103, v133 dst_sel:WORD_1 dst_unused:UNUSED_PAD src0_sel:BYTE_0 src1_sel:DWORD
	v_and_b32_e32 v134, 0xffff, v9
	v_perm_b32 v135, v131, v99, 0xc0c0004
	v_or_b32_sdwa v9, v3, v6 dst_sel:DWORD dst_unused:UNUSED_PAD src0_sel:WORD_0 src1_sel:DWORD
	v_or_b32_sdwa v8, v7, v8 dst_sel:DWORD dst_unused:UNUSED_PAD src0_sel:WORD_0 src1_sel:DWORD
	v_or_b32_sdwa v7, v70, v71 dst_sel:DWORD dst_unused:UNUSED_PAD src0_sel:WORD_0 src1_sel:DWORD
	v_or_b32_sdwa v6, v132, v133 dst_sel:DWORD dst_unused:UNUSED_PAD src0_sel:WORD_0 src1_sel:DWORD
	v_lshl_or_b32 v3, v135, 16, v134
.LBB691_417:
	s_or_b32 exec_lo, exec_lo, s5
	v_perm_b32 v71, v130, v98, 0xc0c0004
	v_perm_b32 v98, v100, v112, 0xc0c0004
	v_and_b32_e32 v70, 0x200, v69
	v_perm_b32 v11, v83, v11, 0xc0c0004
	v_perm_b32 v82, v119, v82, 0xc0c0004
	;; [unrolled: 1-line block ×3, first 2 shown]
	v_lshl_or_b32 v83, v98, 16, v71
	v_or_b32_e32 v71, 0x100, v70
	v_perm_b32 v102, v103, v10, 0xc0c0004
	v_lshl_or_b32 v82, v11, 16, v82
	v_perm_b32 v98, v118, v114, 0xc0c0004
	v_perm_b32 v80, v80, v81, 0xc0c0004
	v_min_u32_e32 v10, v68, v71
	v_and_b32_e32 v69, 0x1e0, v69
	v_perm_b32 v71, v129, v128, 0xc0c0004
	v_perm_b32 v99, v131, v99, 0xc0c0004
	v_lshl_or_b32 v81, v80, 16, v98
	v_add_nc_u32_e32 v11, 0x100, v10
	v_perm_b32 v98, v113, v13, 0xc0c0004
	v_min_u32_e32 v13, v68, v69
	v_sub_nc_u32_e32 v69, v10, v70
	v_lshl_or_b32 v99, v99, 16, v71
	v_min_u32_e32 v11, v68, v11
	v_perm_b32 v71, v117, v101, 0xc0c0004
	v_perm_b32 v86, v116, v86, 0xc0c0004
	;; [unrolled: 1-line block ×4, first 2 shown]
	v_sub_nc_u32_e32 v68, v11, v10
	v_perm_b32 v85, v85, v12, 0xc0c0004
	v_lshl_or_b32 v80, v102, 16, v100
	v_min_u32_e32 v12, v13, v69
	v_lshl_or_b32 v98, v98, 16, v71
	v_sub_nc_u32_e64 v68, v13, v68 clamp
	v_lshl_or_b32 v97, v87, 16, v86
	v_lshl_or_b32 v96, v85, 16, v84
	s_mov_b32 s4, exec_lo
	; wave barrier
	ds_write_b128 v14, v[80:83]
	ds_write_b128 v14, v[96:99] offset:16
	; wave barrier
	v_cmpx_lt_u32_e64 v68, v12
	s_cbranch_execz .LBB691_421
; %bb.418:
	v_add_nc_u32_e32 v14, v67, v70
	v_add3_u32 v69, v67, v10, v13
	s_mov_b32 s5, 0
	.p2align	6
.LBB691_419:                            ; =>This Inner Loop Header: Depth=1
	v_add_nc_u32_e32 v71, v12, v68
	v_lshrrev_b32_e32 v71, 1, v71
	v_xad_u32 v80, v71, -1, v69
	v_add_nc_u32_e32 v81, v14, v71
	v_add_nc_u32_e32 v82, 1, v71
	ds_read_u8 v80, v80
	ds_read_u8 v81, v81
	s_waitcnt lgkmcnt(1)
	v_mul_lo_u16 v80, 0xcd, v80
	s_waitcnt lgkmcnt(0)
	v_mul_lo_u16 v81, 0xcd, v81
	v_lshrrev_b16 v80, 11, v80
	v_lshrrev_b16 v81, 11, v81
	v_cmp_lt_u16_e32 vcc_lo, v80, v81
	v_cndmask_b32_e32 v12, v12, v71, vcc_lo
	v_cndmask_b32_e32 v68, v82, v68, vcc_lo
	v_cmp_ge_u32_e32 vcc_lo, v68, v12
	s_or_b32 s5, vcc_lo, s5
	s_andn2_b32 exec_lo, exec_lo, s5
	s_cbranch_execnz .LBB691_419
; %bb.420:
	s_or_b32 exec_lo, exec_lo, s5
.LBB691_421:
	s_or_b32 exec_lo, exec_lo, s4
	v_add_nc_u32_e32 v13, v10, v13
	v_add_nc_u32_e32 v12, v68, v70
	v_sub_nc_u32_e32 v13, v13, v68
	v_cmp_le_u32_e32 vcc_lo, v12, v10
	v_cmp_le_u32_e64 s4, v13, v11
	s_or_b32 s4, vcc_lo, s4
	s_and_saveexec_b32 s7, s4
	s_cbranch_execz .LBB691_553
; %bb.422:
	s_mov_b32 s5, exec_lo
	v_cmp_ge_u32_e32 vcc_lo, v12, v10
                                        ; implicit-def: $vgpr0
	v_cmpx_lt_u32_e64 v12, v10
; %bb.423:
	v_add_nc_u32_e32 v0, v67, v12
	ds_read_u8 v0, v0
; %bb.424:
	s_or_b32 exec_lo, exec_lo, s5
	v_cmp_ge_u32_e64 s10, v13, v11
	s_mov_b32 s5, exec_lo
                                        ; implicit-def: $vgpr1
	v_cmpx_lt_u32_e64 v13, v11
; %bb.425:
	v_add_nc_u32_e32 v1, v67, v13
	ds_read_u8 v1, v1
; %bb.426:
	s_or_b32 exec_lo, exec_lo, s5
	s_nor_b32 s5, vcc_lo, s10
	s_and_saveexec_b32 s4, s5
	s_cbranch_execz .LBB691_428
; %bb.427:
	s_waitcnt lgkmcnt(0)
	v_and_b32_e32 v2, 0xff, v1
	v_and_b32_e32 v3, 0xff, v0
	s_andn2_b32 s5, s10, exec_lo
	v_mul_lo_u16 v2, 0xcd, v2
	v_mul_lo_u16 v3, 0xcd, v3
	v_lshrrev_b16 v2, 11, v2
	v_lshrrev_b16 v3, 11, v3
	v_cmp_ge_u16_e32 vcc_lo, v2, v3
	s_and_b32 s6, vcc_lo, exec_lo
	s_or_b32 s10, s5, s6
.LBB691_428:
	s_or_b32 exec_lo, exec_lo, s4
	v_cndmask_b32_e64 v2, v13, v12, s10
	v_cndmask_b32_e64 v3, v11, v10, s10
	s_mov_b32 s11, -1
	s_mov_b32 vcc_lo, -1
	s_mov_b32 s5, exec_lo
	v_add_nc_u32_e32 v2, 1, v2
	v_add_nc_u32_e32 v3, -1, v3
	v_cndmask_b32_e64 v6, v2, v13, s10
	v_min_u32_e32 v3, v2, v3
	v_cndmask_b32_e64 v7, v12, v2, s10
	v_add_nc_u32_e32 v3, v67, v3
	ds_read_u8 v3, v3
	s_waitcnt lgkmcnt(0)
	v_cndmask_b32_e64 v2, v3, v1, s10
	v_cndmask_b32_e64 v3, v0, v3, s10
	v_cmpx_lt_u32_e64 v6, v11
	s_cbranch_execz .LBB691_432
; %bb.429:
	s_mov_b32 s6, 0
	s_mov_b32 s4, exec_lo
	v_cmpx_lt_u32_e64 v7, v10
	s_cbranch_execz .LBB691_431
; %bb.430:
	v_and_b32_e32 v8, 0xff, v2
	v_and_b32_e32 v9, 0xff, v3
	v_mul_lo_u16 v8, 0xcd, v8
	v_mul_lo_u16 v9, 0xcd, v9
	v_lshrrev_b16 v8, 11, v8
	v_lshrrev_b16 v9, 11, v9
	v_cmp_ge_u16_e32 vcc_lo, v8, v9
	s_and_b32 s6, vcc_lo, exec_lo
.LBB691_431:
	s_or_b32 exec_lo, exec_lo, s4
	s_orn2_b32 vcc_lo, s6, exec_lo
.LBB691_432:
	s_or_b32 exec_lo, exec_lo, s5
	v_cndmask_b32_e32 v8, v6, v7, vcc_lo
	v_cndmask_b32_e32 v9, v11, v10, vcc_lo
	s_mov_b32 s5, exec_lo
	v_add_nc_u32_e32 v12, 1, v8
	v_add_nc_u32_e32 v8, -1, v9
	v_cndmask_b32_e32 v9, v7, v12, vcc_lo
	v_min_u32_e32 v8, v12, v8
	v_add_nc_u32_e32 v8, v67, v8
	ds_read_u8 v13, v8
	v_cndmask_b32_e32 v8, v12, v6, vcc_lo
	s_waitcnt lgkmcnt(0)
	v_cndmask_b32_e32 v6, v13, v2, vcc_lo
	v_cndmask_b32_e32 v7, v3, v13, vcc_lo
	v_cmpx_lt_u32_e64 v8, v11
	s_cbranch_execz .LBB691_436
; %bb.433:
	s_mov_b32 s11, 0
	s_mov_b32 s6, exec_lo
	v_cmpx_lt_u32_e64 v9, v10
	s_cbranch_execz .LBB691_435
; %bb.434:
	v_and_b32_e32 v12, 0xff, v6
	v_and_b32_e32 v13, 0xff, v7
	v_mul_lo_u16 v12, 0xcd, v12
	v_mul_lo_u16 v13, 0xcd, v13
	v_lshrrev_b16 v12, 11, v12
	v_lshrrev_b16 v13, 11, v13
	v_cmp_ge_u16_e64 s4, v12, v13
	s_and_b32 s11, s4, exec_lo
.LBB691_435:
	s_or_b32 exec_lo, exec_lo, s6
	s_orn2_b32 s11, s11, exec_lo
.LBB691_436:
	s_or_b32 exec_lo, exec_lo, s5
	v_cndmask_b32_e64 v12, v8, v9, s11
	v_cndmask_b32_e64 v13, v11, v10, s11
	s_mov_b32 s14, -1
	s_mov_b32 s4, -1
	s_mov_b32 s6, exec_lo
	v_add_nc_u32_e32 v14, 1, v12
	v_add_nc_u32_e32 v12, -1, v13
	v_cndmask_b32_e64 v13, v9, v14, s11
	v_min_u32_e32 v12, v14, v12
	v_add_nc_u32_e32 v12, v67, v12
	ds_read_u8 v68, v12
	v_cndmask_b32_e64 v12, v14, v8, s11
	s_waitcnt lgkmcnt(0)
	v_cndmask_b32_e64 v8, v68, v6, s11
	v_cndmask_b32_e64 v9, v7, v68, s11
	v_cmpx_lt_u32_e64 v12, v11
	s_cbranch_execz .LBB691_440
; %bb.437:
	s_mov_b32 s15, 0
	s_mov_b32 s5, exec_lo
	v_cmpx_lt_u32_e64 v13, v10
	s_cbranch_execz .LBB691_439
; %bb.438:
	v_and_b32_e32 v14, 0xff, v8
	v_and_b32_e32 v68, 0xff, v9
	v_mul_lo_u16 v14, 0xcd, v14
	v_mul_lo_u16 v68, 0xcd, v68
	v_lshrrev_b16 v14, 11, v14
	v_lshrrev_b16 v68, 11, v68
	v_cmp_ge_u16_e64 s4, v14, v68
	s_and_b32 s15, s4, exec_lo
.LBB691_439:
	s_or_b32 exec_lo, exec_lo, s5
	s_orn2_b32 s4, s15, exec_lo
.LBB691_440:
	s_or_b32 exec_lo, exec_lo, s6
	v_cndmask_b32_e64 v14, v12, v13, s4
	v_cndmask_b32_e64 v68, v11, v10, s4
	s_mov_b32 s6, exec_lo
	v_add_nc_u32_e32 v69, 1, v14
	v_add_nc_u32_e32 v14, -1, v68
	v_cndmask_b32_e64 v68, v13, v69, s4
	v_min_u32_e32 v14, v69, v14
	v_add_nc_u32_e32 v14, v67, v14
	ds_read_u8 v70, v14
	v_cndmask_b32_e64 v14, v69, v12, s4
	s_waitcnt lgkmcnt(0)
	v_cndmask_b32_e64 v12, v70, v8, s4
	v_cndmask_b32_e64 v13, v9, v70, s4
	v_cmpx_lt_u32_e64 v14, v11
	s_cbranch_execz .LBB691_444
; %bb.441:
	s_mov_b32 s15, 0
	s_mov_b32 s14, exec_lo
	v_cmpx_lt_u32_e64 v68, v10
	s_cbranch_execz .LBB691_443
; %bb.442:
	v_and_b32_e32 v69, 0xff, v12
	v_and_b32_e32 v70, 0xff, v13
	v_mul_lo_u16 v69, 0xcd, v69
	v_mul_lo_u16 v70, 0xcd, v70
	v_lshrrev_b16 v69, 11, v69
	v_lshrrev_b16 v70, 11, v70
	v_cmp_ge_u16_e64 s5, v69, v70
	s_and_b32 s15, s5, exec_lo
.LBB691_443:
	s_or_b32 exec_lo, exec_lo, s14
	s_orn2_b32 s14, s15, exec_lo
.LBB691_444:
	s_or_b32 exec_lo, exec_lo, s6
	v_cndmask_b32_e64 v69, v14, v68, s14
	v_cndmask_b32_e64 v70, v11, v10, s14
	s_mov_b32 s15, -1
	s_mov_b32 s5, -1
	s_mov_b32 s16, exec_lo
	v_add_nc_u32_e32 v71, 1, v69
	v_add_nc_u32_e32 v69, -1, v70
	v_cndmask_b32_e64 v70, v68, v71, s14
	v_min_u32_e32 v69, v71, v69
	v_add_nc_u32_e32 v69, v67, v69
	ds_read_u8 v80, v69
	v_cndmask_b32_e64 v69, v71, v14, s14
	s_waitcnt lgkmcnt(0)
	v_cndmask_b32_e64 v14, v80, v12, s14
	v_cndmask_b32_e64 v68, v13, v80, s14
	v_cmpx_lt_u32_e64 v69, v11
	s_cbranch_execz .LBB691_448
; %bb.445:
	s_mov_b32 s17, 0
	s_mov_b32 s6, exec_lo
	v_cmpx_lt_u32_e64 v70, v10
	s_cbranch_execz .LBB691_447
; %bb.446:
	v_and_b32_e32 v71, 0xff, v14
	v_and_b32_e32 v80, 0xff, v68
	v_mul_lo_u16 v71, 0xcd, v71
	v_mul_lo_u16 v80, 0xcd, v80
	v_lshrrev_b16 v71, 11, v71
	v_lshrrev_b16 v80, 11, v80
	v_cmp_ge_u16_e64 s5, v71, v80
	s_and_b32 s17, s5, exec_lo
.LBB691_447:
	s_or_b32 exec_lo, exec_lo, s6
	s_orn2_b32 s5, s17, exec_lo
.LBB691_448:
	s_or_b32 exec_lo, exec_lo, s16
	v_cndmask_b32_e64 v71, v69, v70, s5
	v_cndmask_b32_e64 v80, v11, v10, s5
	s_mov_b32 s16, exec_lo
	v_add_nc_u32_e32 v81, 1, v71
	v_add_nc_u32_e32 v71, -1, v80
	v_cndmask_b32_e64 v80, v70, v81, s5
	v_min_u32_e32 v71, v81, v71
	v_add_nc_u32_e32 v71, v67, v71
	ds_read_u8 v82, v71
	v_cndmask_b32_e64 v71, v81, v69, s5
	s_waitcnt lgkmcnt(0)
	v_cndmask_b32_e64 v69, v82, v14, s5
	v_cndmask_b32_e64 v70, v68, v82, s5
	v_cmpx_lt_u32_e64 v71, v11
	s_cbranch_execz .LBB691_452
; %bb.449:
	s_mov_b32 s17, 0
	s_mov_b32 s15, exec_lo
	v_cmpx_lt_u32_e64 v80, v10
	s_cbranch_execz .LBB691_451
; %bb.450:
	v_and_b32_e32 v81, 0xff, v69
	v_and_b32_e32 v82, 0xff, v70
	v_mul_lo_u16 v81, 0xcd, v81
	v_mul_lo_u16 v82, 0xcd, v82
	v_lshrrev_b16 v81, 11, v81
	v_lshrrev_b16 v82, 11, v82
	v_cmp_ge_u16_e64 s6, v81, v82
	s_and_b32 s17, s6, exec_lo
.LBB691_451:
	s_or_b32 exec_lo, exec_lo, s15
	s_orn2_b32 s15, s17, exec_lo
.LBB691_452:
	s_or_b32 exec_lo, exec_lo, s16
	v_cndmask_b32_e64 v81, v71, v80, s15
	v_cndmask_b32_e64 v82, v11, v10, s15
	s_mov_b32 s16, -1
	s_mov_b32 s17, -1
	s_mov_b32 s18, exec_lo
	v_add_nc_u32_e32 v83, 1, v81
	v_add_nc_u32_e32 v81, -1, v82
	v_cndmask_b32_e64 v82, v80, v83, s15
	v_min_u32_e32 v81, v83, v81
	v_add_nc_u32_e32 v81, v67, v81
	ds_read_u8 v84, v81
	v_cndmask_b32_e64 v81, v83, v71, s15
	s_waitcnt lgkmcnt(0)
	v_cndmask_b32_e64 v71, v84, v69, s15
	v_cndmask_b32_e64 v80, v70, v84, s15
	v_cmpx_lt_u32_e64 v81, v11
	s_cbranch_execz .LBB691_456
; %bb.453:
	s_mov_b32 s20, 0
	s_mov_b32 s17, exec_lo
	v_cmpx_lt_u32_e64 v82, v10
	s_cbranch_execz .LBB691_455
; %bb.454:
	v_and_b32_e32 v83, 0xff, v71
	v_and_b32_e32 v84, 0xff, v80
	v_mul_lo_u16 v83, 0xcd, v83
	v_mul_lo_u16 v84, 0xcd, v84
	v_lshrrev_b16 v83, 11, v83
	v_lshrrev_b16 v84, 11, v84
	v_cmp_ge_u16_e64 s6, v83, v84
	s_and_b32 s20, s6, exec_lo
.LBB691_455:
	s_or_b32 exec_lo, exec_lo, s17
	s_orn2_b32 s17, s20, exec_lo
.LBB691_456:
	s_or_b32 exec_lo, exec_lo, s18
	v_cndmask_b32_e64 v83, v81, v82, s17
	v_cndmask_b32_e64 v84, v11, v10, s17
	s_mov_b32 s18, exec_lo
	v_add_nc_u32_e32 v85, 1, v83
	v_add_nc_u32_e32 v83, -1, v84
	v_cndmask_b32_e64 v84, v82, v85, s17
	v_min_u32_e32 v83, v85, v83
	v_add_nc_u32_e32 v83, v67, v83
	ds_read_u8 v86, v83
	v_cndmask_b32_e64 v83, v85, v81, s17
	s_waitcnt lgkmcnt(0)
	v_cndmask_b32_e64 v81, v86, v71, s17
	v_cndmask_b32_e64 v82, v80, v86, s17
	v_cmpx_lt_u32_e64 v83, v11
	s_cbranch_execz .LBB691_460
; %bb.457:
	s_mov_b32 s20, 0
	s_mov_b32 s16, exec_lo
	v_cmpx_lt_u32_e64 v84, v10
	s_cbranch_execz .LBB691_459
; %bb.458:
	v_and_b32_e32 v85, 0xff, v81
	v_and_b32_e32 v86, 0xff, v82
	v_mul_lo_u16 v85, 0xcd, v85
	v_mul_lo_u16 v86, 0xcd, v86
	v_lshrrev_b16 v85, 11, v85
	v_lshrrev_b16 v86, 11, v86
	v_cmp_ge_u16_e64 s6, v85, v86
	s_and_b32 s20, s6, exec_lo
.LBB691_459:
	s_or_b32 exec_lo, exec_lo, s16
	s_orn2_b32 s16, s20, exec_lo
.LBB691_460:
	s_or_b32 exec_lo, exec_lo, s18
	v_cndmask_b32_e64 v85, v83, v84, s16
	v_cndmask_b32_e64 v86, v11, v10, s16
	s_mov_b32 s18, -1
	s_mov_b32 s20, -1
	s_mov_b32 s21, exec_lo
	v_add_nc_u32_e32 v87, 1, v85
	v_add_nc_u32_e32 v85, -1, v86
	v_cndmask_b32_e64 v86, v84, v87, s16
	v_min_u32_e32 v85, v87, v85
	v_add_nc_u32_e32 v85, v67, v85
	ds_read_u8 v96, v85
	v_cndmask_b32_e64 v85, v87, v83, s16
	s_waitcnt lgkmcnt(0)
	v_cndmask_b32_e64 v83, v96, v81, s16
	v_cndmask_b32_e64 v84, v82, v96, s16
	v_cmpx_lt_u32_e64 v85, v11
	s_cbranch_execz .LBB691_464
; %bb.461:
	s_mov_b32 s22, 0
	s_mov_b32 s20, exec_lo
	v_cmpx_lt_u32_e64 v86, v10
	s_cbranch_execz .LBB691_463
; %bb.462:
	v_and_b32_e32 v87, 0xff, v83
	v_and_b32_e32 v96, 0xff, v84
	v_mul_lo_u16 v87, 0xcd, v87
	v_mul_lo_u16 v96, 0xcd, v96
	v_lshrrev_b16 v87, 11, v87
	v_lshrrev_b16 v96, 11, v96
	v_cmp_ge_u16_e64 s6, v87, v96
	s_and_b32 s22, s6, exec_lo
.LBB691_463:
	s_or_b32 exec_lo, exec_lo, s20
	s_orn2_b32 s20, s22, exec_lo
.LBB691_464:
	s_or_b32 exec_lo, exec_lo, s21
	v_cndmask_b32_e64 v87, v85, v86, s20
	v_cndmask_b32_e64 v96, v11, v10, s20
	s_mov_b32 s21, exec_lo
	v_add_nc_u32_e32 v97, 1, v87
	v_add_nc_u32_e32 v87, -1, v96
	v_cndmask_b32_e64 v96, v86, v97, s20
	v_min_u32_e32 v87, v97, v87
	v_add_nc_u32_e32 v87, v67, v87
	ds_read_u8 v98, v87
	v_cndmask_b32_e64 v87, v97, v85, s20
	s_waitcnt lgkmcnt(0)
	v_cndmask_b32_e64 v85, v98, v83, s20
	v_cndmask_b32_e64 v86, v84, v98, s20
	v_cmpx_lt_u32_e64 v87, v11
	s_cbranch_execz .LBB691_468
; %bb.465:
	s_mov_b32 s22, 0
	s_mov_b32 s18, exec_lo
	v_cmpx_lt_u32_e64 v96, v10
	s_cbranch_execz .LBB691_467
; %bb.466:
	v_and_b32_e32 v97, 0xff, v85
	v_and_b32_e32 v98, 0xff, v86
	v_mul_lo_u16 v97, 0xcd, v97
	v_mul_lo_u16 v98, 0xcd, v98
	v_lshrrev_b16 v97, 11, v97
	v_lshrrev_b16 v98, 11, v98
	v_cmp_ge_u16_e64 s6, v97, v98
	s_and_b32 s22, s6, exec_lo
.LBB691_467:
	s_or_b32 exec_lo, exec_lo, s18
	s_orn2_b32 s18, s22, exec_lo
.LBB691_468:
	s_or_b32 exec_lo, exec_lo, s21
	v_cndmask_b32_e64 v97, v87, v96, s18
	v_cndmask_b32_e64 v98, v11, v10, s18
	s_mov_b32 s21, -1
	s_mov_b32 s22, -1
	s_mov_b32 s23, exec_lo
	v_add_nc_u32_e32 v99, 1, v97
	v_add_nc_u32_e32 v97, -1, v98
	v_cndmask_b32_e64 v98, v96, v99, s18
	v_min_u32_e32 v97, v99, v97
	v_add_nc_u32_e32 v97, v67, v97
	ds_read_u8 v100, v97
	v_cndmask_b32_e64 v97, v99, v87, s18
	s_waitcnt lgkmcnt(0)
	v_cndmask_b32_e64 v87, v100, v85, s18
	v_cndmask_b32_e64 v96, v86, v100, s18
	v_cmpx_lt_u32_e64 v97, v11
	s_cbranch_execz .LBB691_472
; %bb.469:
	s_mov_b32 s24, 0
	s_mov_b32 s22, exec_lo
	v_cmpx_lt_u32_e64 v98, v10
	s_cbranch_execz .LBB691_471
; %bb.470:
	v_and_b32_e32 v99, 0xff, v87
	v_and_b32_e32 v100, 0xff, v96
	v_mul_lo_u16 v99, 0xcd, v99
	v_mul_lo_u16 v100, 0xcd, v100
	v_lshrrev_b16 v99, 11, v99
	v_lshrrev_b16 v100, 11, v100
	v_cmp_ge_u16_e64 s6, v99, v100
	s_and_b32 s24, s6, exec_lo
.LBB691_471:
	s_or_b32 exec_lo, exec_lo, s22
	s_orn2_b32 s22, s24, exec_lo
.LBB691_472:
	s_or_b32 exec_lo, exec_lo, s23
	v_cndmask_b32_e64 v99, v97, v98, s22
	v_cndmask_b32_e64 v100, v11, v10, s22
	s_mov_b32 s23, exec_lo
	v_add_nc_u32_e32 v101, 1, v99
	v_add_nc_u32_e32 v99, -1, v100
	v_cndmask_b32_e64 v100, v98, v101, s22
	v_min_u32_e32 v99, v101, v99
	v_add_nc_u32_e32 v99, v67, v99
	ds_read_u8 v102, v99
	v_cndmask_b32_e64 v99, v101, v97, s22
	s_waitcnt lgkmcnt(0)
	v_cndmask_b32_e64 v97, v102, v87, s22
	v_cndmask_b32_e64 v98, v96, v102, s22
	v_cmpx_lt_u32_e64 v99, v11
	s_cbranch_execz .LBB691_476
; %bb.473:
	s_mov_b32 s24, 0
	s_mov_b32 s21, exec_lo
	v_cmpx_lt_u32_e64 v100, v10
	s_cbranch_execz .LBB691_475
; %bb.474:
	v_and_b32_e32 v101, 0xff, v97
	v_and_b32_e32 v102, 0xff, v98
	v_mul_lo_u16 v101, 0xcd, v101
	v_mul_lo_u16 v102, 0xcd, v102
	v_lshrrev_b16 v101, 11, v101
	v_lshrrev_b16 v102, 11, v102
	v_cmp_ge_u16_e64 s6, v101, v102
	s_and_b32 s24, s6, exec_lo
.LBB691_475:
	s_or_b32 exec_lo, exec_lo, s21
	s_orn2_b32 s21, s24, exec_lo
.LBB691_476:
	s_or_b32 exec_lo, exec_lo, s23
	v_cndmask_b32_e64 v101, v99, v100, s21
	v_cndmask_b32_e64 v102, v11, v10, s21
	s_mov_b32 s23, -1
	s_mov_b32 s24, -1
	s_mov_b32 s25, exec_lo
	v_add_nc_u32_e32 v103, 1, v101
	v_add_nc_u32_e32 v101, -1, v102
	v_cndmask_b32_e64 v102, v100, v103, s21
	v_min_u32_e32 v101, v103, v101
	v_add_nc_u32_e32 v101, v67, v101
	ds_read_u8 v112, v101
	v_cndmask_b32_e64 v101, v103, v99, s21
	s_waitcnt lgkmcnt(0)
	v_cndmask_b32_e64 v99, v112, v97, s21
	v_cndmask_b32_e64 v100, v98, v112, s21
	v_cmpx_lt_u32_e64 v101, v11
	s_cbranch_execz .LBB691_480
; %bb.477:
	s_mov_b32 s26, 0
	s_mov_b32 s24, exec_lo
	v_cmpx_lt_u32_e64 v102, v10
	s_cbranch_execz .LBB691_479
; %bb.478:
	v_and_b32_e32 v103, 0xff, v99
	v_and_b32_e32 v112, 0xff, v100
	v_mul_lo_u16 v103, 0xcd, v103
	v_mul_lo_u16 v112, 0xcd, v112
	v_lshrrev_b16 v103, 11, v103
	v_lshrrev_b16 v112, 11, v112
	v_cmp_ge_u16_e64 s6, v103, v112
	s_and_b32 s26, s6, exec_lo
.LBB691_479:
	s_or_b32 exec_lo, exec_lo, s24
	s_orn2_b32 s24, s26, exec_lo
.LBB691_480:
	s_or_b32 exec_lo, exec_lo, s25
	v_cndmask_b32_e64 v103, v101, v102, s24
	v_cndmask_b32_e64 v112, v11, v10, s24
	s_mov_b32 s25, exec_lo
	v_add_nc_u32_e32 v113, 1, v103
	v_add_nc_u32_e32 v103, -1, v112
	v_cndmask_b32_e64 v112, v102, v113, s24
	v_min_u32_e32 v103, v113, v103
	v_add_nc_u32_e32 v103, v67, v103
	ds_read_u8 v114, v103
	v_cndmask_b32_e64 v103, v113, v101, s24
	s_waitcnt lgkmcnt(0)
	v_cndmask_b32_e64 v101, v114, v99, s24
	v_cndmask_b32_e64 v102, v100, v114, s24
	v_cmpx_lt_u32_e64 v103, v11
	s_cbranch_execz .LBB691_484
; %bb.481:
	s_mov_b32 s26, 0
	s_mov_b32 s23, exec_lo
	v_cmpx_lt_u32_e64 v112, v10
	s_cbranch_execz .LBB691_483
; %bb.482:
	v_and_b32_e32 v113, 0xff, v101
	v_and_b32_e32 v114, 0xff, v102
	v_mul_lo_u16 v113, 0xcd, v113
	v_mul_lo_u16 v114, 0xcd, v114
	v_lshrrev_b16 v113, 11, v113
	v_lshrrev_b16 v114, 11, v114
	v_cmp_ge_u16_e64 s6, v113, v114
	s_and_b32 s26, s6, exec_lo
.LBB691_483:
	s_or_b32 exec_lo, exec_lo, s23
	s_orn2_b32 s23, s26, exec_lo
.LBB691_484:
	s_or_b32 exec_lo, exec_lo, s25
	v_cndmask_b32_e64 v113, v103, v112, s23
	v_cndmask_b32_e64 v114, v11, v10, s23
	s_mov_b32 s25, -1
	s_mov_b32 s26, -1
	s_mov_b32 s27, exec_lo
	v_add_nc_u32_e32 v115, 1, v113
	v_add_nc_u32_e32 v113, -1, v114
	v_cndmask_b32_e64 v114, v112, v115, s23
	v_min_u32_e32 v113, v115, v113
	v_add_nc_u32_e32 v113, v67, v113
	ds_read_u8 v116, v113
	v_cndmask_b32_e64 v113, v115, v103, s23
	s_waitcnt lgkmcnt(0)
	v_cndmask_b32_e64 v103, v116, v101, s23
	v_cndmask_b32_e64 v112, v102, v116, s23
	v_cmpx_lt_u32_e64 v113, v11
	s_cbranch_execz .LBB691_488
; %bb.485:
	s_mov_b32 s28, 0
	s_mov_b32 s26, exec_lo
	v_cmpx_lt_u32_e64 v114, v10
	s_cbranch_execz .LBB691_487
; %bb.486:
	v_and_b32_e32 v115, 0xff, v103
	v_and_b32_e32 v116, 0xff, v112
	v_mul_lo_u16 v115, 0xcd, v115
	v_mul_lo_u16 v116, 0xcd, v116
	v_lshrrev_b16 v115, 11, v115
	v_lshrrev_b16 v116, 11, v116
	v_cmp_ge_u16_e64 s6, v115, v116
	s_and_b32 s28, s6, exec_lo
.LBB691_487:
	s_or_b32 exec_lo, exec_lo, s26
	s_orn2_b32 s26, s28, exec_lo
.LBB691_488:
	s_or_b32 exec_lo, exec_lo, s27
	v_cndmask_b32_e64 v115, v113, v114, s26
	v_cndmask_b32_e64 v116, v11, v10, s26
	s_mov_b32 s27, exec_lo
	v_add_nc_u32_e32 v117, 1, v115
	v_add_nc_u32_e32 v115, -1, v116
	v_cndmask_b32_e64 v116, v114, v117, s26
	v_min_u32_e32 v115, v117, v115
	v_add_nc_u32_e32 v115, v67, v115
	ds_read_u8 v118, v115
	v_cndmask_b32_e64 v115, v117, v113, s26
	s_waitcnt lgkmcnt(0)
	v_cndmask_b32_e64 v113, v118, v103, s26
	v_cndmask_b32_e64 v114, v112, v118, s26
	v_cmpx_lt_u32_e64 v115, v11
	s_cbranch_execz .LBB691_492
; %bb.489:
	s_mov_b32 s28, 0
	s_mov_b32 s25, exec_lo
	v_cmpx_lt_u32_e64 v116, v10
	s_cbranch_execz .LBB691_491
; %bb.490:
	v_and_b32_e32 v117, 0xff, v113
	v_and_b32_e32 v118, 0xff, v114
	v_mul_lo_u16 v117, 0xcd, v117
	v_mul_lo_u16 v118, 0xcd, v118
	v_lshrrev_b16 v117, 11, v117
	v_lshrrev_b16 v118, 11, v118
	v_cmp_ge_u16_e64 s6, v117, v118
	s_and_b32 s28, s6, exec_lo
.LBB691_491:
	s_or_b32 exec_lo, exec_lo, s25
	s_orn2_b32 s25, s28, exec_lo
.LBB691_492:
	s_or_b32 exec_lo, exec_lo, s27
	v_cndmask_b32_e64 v117, v115, v116, s25
	v_cndmask_b32_e64 v118, v11, v10, s25
	s_mov_b32 s27, -1
	s_mov_b32 s28, -1
	s_mov_b32 s29, exec_lo
	v_add_nc_u32_e32 v119, 1, v117
	v_add_nc_u32_e32 v117, -1, v118
	v_cndmask_b32_e64 v118, v116, v119, s25
	v_min_u32_e32 v117, v119, v117
	v_add_nc_u32_e32 v117, v67, v117
	ds_read_u8 v128, v117
	v_cndmask_b32_e64 v117, v119, v115, s25
	s_waitcnt lgkmcnt(0)
	v_cndmask_b32_e64 v115, v128, v113, s25
	v_cndmask_b32_e64 v116, v114, v128, s25
	v_cmpx_lt_u32_e64 v117, v11
	s_cbranch_execz .LBB691_496
; %bb.493:
	s_mov_b32 s40, 0
	s_mov_b32 s28, exec_lo
	v_cmpx_lt_u32_e64 v118, v10
	s_cbranch_execz .LBB691_495
; %bb.494:
	v_and_b32_e32 v119, 0xff, v115
	v_and_b32_e32 v128, 0xff, v116
	v_mul_lo_u16 v119, 0xcd, v119
	v_mul_lo_u16 v128, 0xcd, v128
	v_lshrrev_b16 v119, 11, v119
	v_lshrrev_b16 v128, 11, v128
	v_cmp_ge_u16_e64 s6, v119, v128
	s_and_b32 s40, s6, exec_lo
.LBB691_495:
	s_or_b32 exec_lo, exec_lo, s28
	s_orn2_b32 s28, s40, exec_lo
.LBB691_496:
	s_or_b32 exec_lo, exec_lo, s29
	v_cndmask_b32_e64 v119, v117, v118, s28
	v_cndmask_b32_e64 v128, v11, v10, s28
	s_mov_b32 s29, exec_lo
	v_add_nc_u32_e32 v129, 1, v119
	v_add_nc_u32_e32 v119, -1, v128
	v_cndmask_b32_e64 v128, v118, v129, s28
	v_min_u32_e32 v119, v129, v119
	v_add_nc_u32_e32 v119, v67, v119
	ds_read_u8 v130, v119
	v_cndmask_b32_e64 v119, v129, v117, s28
	s_waitcnt lgkmcnt(0)
	v_cndmask_b32_e64 v117, v130, v115, s28
	v_cndmask_b32_e64 v118, v116, v130, s28
	v_cmpx_lt_u32_e64 v119, v11
	s_cbranch_execz .LBB691_500
; %bb.497:
	s_mov_b32 s40, 0
	s_mov_b32 s27, exec_lo
	v_cmpx_lt_u32_e64 v128, v10
	s_cbranch_execz .LBB691_499
; %bb.498:
	v_and_b32_e32 v129, 0xff, v117
	v_and_b32_e32 v130, 0xff, v118
	v_mul_lo_u16 v129, 0xcd, v129
	v_mul_lo_u16 v130, 0xcd, v130
	v_lshrrev_b16 v129, 11, v129
	v_lshrrev_b16 v130, 11, v130
	v_cmp_ge_u16_e64 s6, v129, v130
	s_and_b32 s40, s6, exec_lo
.LBB691_499:
	s_or_b32 exec_lo, exec_lo, s27
	s_orn2_b32 s27, s40, exec_lo
.LBB691_500:
	s_or_b32 exec_lo, exec_lo, s29
	v_cndmask_b32_e64 v129, v119, v128, s27
	v_cndmask_b32_e64 v130, v11, v10, s27
	s_mov_b32 s29, -1
	s_mov_b32 s40, -1
	s_mov_b32 s41, exec_lo
	v_add_nc_u32_e32 v131, 1, v129
	v_add_nc_u32_e32 v129, -1, v130
	v_cndmask_b32_e64 v130, v128, v131, s27
	v_min_u32_e32 v129, v131, v129
	v_add_nc_u32_e32 v129, v67, v129
	ds_read_u8 v132, v129
	v_cndmask_b32_e64 v129, v131, v119, s27
	s_waitcnt lgkmcnt(0)
	v_cndmask_b32_e64 v119, v132, v117, s27
	v_cndmask_b32_e64 v128, v118, v132, s27
	v_cmpx_lt_u32_e64 v129, v11
	s_cbranch_execz .LBB691_504
; %bb.501:
	s_mov_b32 s42, 0
	s_mov_b32 s40, exec_lo
	v_cmpx_lt_u32_e64 v130, v10
	s_cbranch_execz .LBB691_503
; %bb.502:
	v_and_b32_e32 v131, 0xff, v119
	v_and_b32_e32 v132, 0xff, v128
	v_mul_lo_u16 v131, 0xcd, v131
	v_mul_lo_u16 v132, 0xcd, v132
	v_lshrrev_b16 v131, 11, v131
	v_lshrrev_b16 v132, 11, v132
	v_cmp_ge_u16_e64 s6, v131, v132
	s_and_b32 s42, s6, exec_lo
.LBB691_503:
	s_or_b32 exec_lo, exec_lo, s40
	s_orn2_b32 s40, s42, exec_lo
.LBB691_504:
	s_or_b32 exec_lo, exec_lo, s41
	v_cndmask_b32_e64 v131, v129, v130, s40
	v_cndmask_b32_e64 v132, v11, v10, s40
	s_mov_b32 s41, exec_lo
	v_add_nc_u32_e32 v133, 1, v131
	v_add_nc_u32_e32 v131, -1, v132
	v_cndmask_b32_e64 v132, v130, v133, s40
	v_min_u32_e32 v131, v133, v131
	v_add_nc_u32_e32 v131, v67, v131
	ds_read_u8 v134, v131
	v_cndmask_b32_e64 v131, v133, v129, s40
	s_waitcnt lgkmcnt(0)
	v_cndmask_b32_e64 v129, v134, v119, s40
	v_cndmask_b32_e64 v130, v128, v134, s40
	v_cmpx_lt_u32_e64 v131, v11
	s_cbranch_execz .LBB691_508
; %bb.505:
	s_mov_b32 s42, 0
	s_mov_b32 s29, exec_lo
	v_cmpx_lt_u32_e64 v132, v10
	s_cbranch_execz .LBB691_507
; %bb.506:
	v_and_b32_e32 v133, 0xff, v129
	v_and_b32_e32 v134, 0xff, v130
	v_mul_lo_u16 v133, 0xcd, v133
	v_mul_lo_u16 v134, 0xcd, v134
	v_lshrrev_b16 v133, 11, v133
	v_lshrrev_b16 v134, 11, v134
	v_cmp_ge_u16_e64 s6, v133, v134
	s_and_b32 s42, s6, exec_lo
.LBB691_507:
	s_or_b32 exec_lo, exec_lo, s29
	s_orn2_b32 s29, s42, exec_lo
.LBB691_508:
	s_or_b32 exec_lo, exec_lo, s41
	v_cndmask_b32_e64 v133, v131, v132, s29
	v_cndmask_b32_e64 v134, v11, v10, s29
	s_mov_b32 s41, -1
	s_mov_b32 s42, -1
	s_mov_b32 s43, exec_lo
	v_add_nc_u32_e32 v135, 1, v133
	v_add_nc_u32_e32 v133, -1, v134
	v_cndmask_b32_e64 v134, v132, v135, s29
	v_min_u32_e32 v133, v135, v133
	v_add_nc_u32_e32 v133, v67, v133
	ds_read_u8 v144, v133
	v_cndmask_b32_e64 v133, v135, v131, s29
	s_waitcnt lgkmcnt(0)
	v_cndmask_b32_e64 v131, v144, v129, s29
	v_cndmask_b32_e64 v132, v130, v144, s29
	v_cmpx_lt_u32_e64 v133, v11
	s_cbranch_execz .LBB691_512
; %bb.509:
	s_mov_b32 s44, 0
	s_mov_b32 s42, exec_lo
	v_cmpx_lt_u32_e64 v134, v10
	s_cbranch_execz .LBB691_511
; %bb.510:
	v_and_b32_e32 v135, 0xff, v131
	v_and_b32_e32 v144, 0xff, v132
	v_mul_lo_u16 v135, 0xcd, v135
	v_mul_lo_u16 v144, 0xcd, v144
	v_lshrrev_b16 v135, 11, v135
	v_lshrrev_b16 v144, 11, v144
	v_cmp_ge_u16_e64 s6, v135, v144
	s_and_b32 s44, s6, exec_lo
.LBB691_511:
	s_or_b32 exec_lo, exec_lo, s42
	s_orn2_b32 s42, s44, exec_lo
.LBB691_512:
	s_or_b32 exec_lo, exec_lo, s43
	v_cndmask_b32_e64 v135, v133, v134, s42
	v_cndmask_b32_e64 v144, v11, v10, s42
	s_mov_b32 s43, exec_lo
	v_add_nc_u32_e32 v145, 1, v135
	v_add_nc_u32_e32 v135, -1, v144
	v_cndmask_b32_e64 v144, v134, v145, s42
	v_min_u32_e32 v135, v145, v135
	v_add_nc_u32_e32 v135, v67, v135
	ds_read_u8 v146, v135
	v_cndmask_b32_e64 v135, v145, v133, s42
	s_waitcnt lgkmcnt(0)
	v_cndmask_b32_e64 v133, v146, v131, s42
	v_cndmask_b32_e64 v134, v132, v146, s42
	v_cmpx_lt_u32_e64 v135, v11
	s_cbranch_execz .LBB691_516
; %bb.513:
	s_mov_b32 s44, 0
	s_mov_b32 s41, exec_lo
	v_cmpx_lt_u32_e64 v144, v10
	s_cbranch_execz .LBB691_515
; %bb.514:
	v_and_b32_e32 v145, 0xff, v133
	v_and_b32_e32 v146, 0xff, v134
	v_mul_lo_u16 v145, 0xcd, v145
	v_mul_lo_u16 v146, 0xcd, v146
	v_lshrrev_b16 v145, 11, v145
	v_lshrrev_b16 v146, 11, v146
	v_cmp_ge_u16_e64 s6, v145, v146
	s_and_b32 s44, s6, exec_lo
.LBB691_515:
	s_or_b32 exec_lo, exec_lo, s41
	s_orn2_b32 s41, s44, exec_lo
.LBB691_516:
	s_or_b32 exec_lo, exec_lo, s43
	v_cndmask_b32_e64 v145, v135, v144, s41
	v_cndmask_b32_e64 v146, v11, v10, s41
	s_mov_b32 s43, -1
	s_mov_b32 s44, -1
	s_mov_b32 s45, exec_lo
	v_add_nc_u32_e32 v147, 1, v145
	v_add_nc_u32_e32 v145, -1, v146
	v_cndmask_b32_e64 v146, v144, v147, s41
	v_min_u32_e32 v145, v147, v145
	v_add_nc_u32_e32 v145, v67, v145
	ds_read_u8 v148, v145
	v_cndmask_b32_e64 v145, v147, v135, s41
	s_waitcnt lgkmcnt(0)
	v_cndmask_b32_e64 v135, v148, v133, s41
	v_cndmask_b32_e64 v144, v134, v148, s41
	v_cmpx_lt_u32_e64 v145, v11
	s_cbranch_execz .LBB691_520
; %bb.517:
	s_mov_b32 s46, 0
	s_mov_b32 s44, exec_lo
	v_cmpx_lt_u32_e64 v146, v10
	s_cbranch_execz .LBB691_519
; %bb.518:
	v_and_b32_e32 v147, 0xff, v135
	v_and_b32_e32 v148, 0xff, v144
	v_mul_lo_u16 v147, 0xcd, v147
	v_mul_lo_u16 v148, 0xcd, v148
	v_lshrrev_b16 v147, 11, v147
	v_lshrrev_b16 v148, 11, v148
	v_cmp_ge_u16_e64 s6, v147, v148
	s_and_b32 s46, s6, exec_lo
.LBB691_519:
	s_or_b32 exec_lo, exec_lo, s44
	s_orn2_b32 s44, s46, exec_lo
.LBB691_520:
	s_or_b32 exec_lo, exec_lo, s45
	v_cndmask_b32_e64 v147, v145, v146, s44
	v_cndmask_b32_e64 v148, v11, v10, s44
	s_mov_b32 s45, exec_lo
	v_add_nc_u32_e32 v149, 1, v147
	v_add_nc_u32_e32 v147, -1, v148
	v_cndmask_b32_e64 v148, v146, v149, s44
	v_min_u32_e32 v147, v149, v147
	v_add_nc_u32_e32 v147, v67, v147
	ds_read_u8 v150, v147
	v_cndmask_b32_e64 v147, v149, v145, s44
	s_waitcnt lgkmcnt(0)
	v_cndmask_b32_e64 v145, v150, v135, s44
	v_cndmask_b32_e64 v146, v144, v150, s44
	v_cmpx_lt_u32_e64 v147, v11
	s_cbranch_execz .LBB691_524
; %bb.521:
	s_mov_b32 s46, 0
	s_mov_b32 s43, exec_lo
	v_cmpx_lt_u32_e64 v148, v10
	s_cbranch_execz .LBB691_523
; %bb.522:
	v_and_b32_e32 v149, 0xff, v145
	v_and_b32_e32 v150, 0xff, v146
	v_mul_lo_u16 v149, 0xcd, v149
	v_mul_lo_u16 v150, 0xcd, v150
	v_lshrrev_b16 v149, 11, v149
	v_lshrrev_b16 v150, 11, v150
	v_cmp_ge_u16_e64 s6, v149, v150
	s_and_b32 s46, s6, exec_lo
.LBB691_523:
	s_or_b32 exec_lo, exec_lo, s43
	s_orn2_b32 s43, s46, exec_lo
.LBB691_524:
	s_or_b32 exec_lo, exec_lo, s45
	v_cndmask_b32_e64 v149, v147, v148, s43
	v_cndmask_b32_e64 v150, v11, v10, s43
	s_mov_b32 s45, -1
	s_mov_b32 s46, -1
	s_mov_b32 s47, exec_lo
	v_add_nc_u32_e32 v151, 1, v149
	v_add_nc_u32_e32 v149, -1, v150
	v_cndmask_b32_e64 v150, v148, v151, s43
	v_min_u32_e32 v149, v151, v149
	v_add_nc_u32_e32 v149, v67, v149
	ds_read_u8 v160, v149
	v_cndmask_b32_e64 v149, v151, v147, s43
	s_waitcnt lgkmcnt(0)
	v_cndmask_b32_e64 v147, v160, v145, s43
	v_cndmask_b32_e64 v148, v146, v160, s43
	v_cmpx_lt_u32_e64 v149, v11
	s_cbranch_execz .LBB691_528
; %bb.525:
	s_mov_b32 s56, 0
	s_mov_b32 s46, exec_lo
	v_cmpx_lt_u32_e64 v150, v10
	s_cbranch_execz .LBB691_527
; %bb.526:
	v_and_b32_e32 v151, 0xff, v147
	v_and_b32_e32 v160, 0xff, v148
	v_mul_lo_u16 v151, 0xcd, v151
	v_mul_lo_u16 v160, 0xcd, v160
	v_lshrrev_b16 v151, 11, v151
	v_lshrrev_b16 v160, 11, v160
	v_cmp_ge_u16_e64 s6, v151, v160
	s_and_b32 s56, s6, exec_lo
.LBB691_527:
	s_or_b32 exec_lo, exec_lo, s46
	s_orn2_b32 s46, s56, exec_lo
.LBB691_528:
	s_or_b32 exec_lo, exec_lo, s47
	v_cndmask_b32_e64 v151, v149, v150, s46
	v_cndmask_b32_e64 v160, v11, v10, s46
	s_mov_b32 s47, exec_lo
	v_add_nc_u32_e32 v161, 1, v151
	v_add_nc_u32_e32 v151, -1, v160
	v_cndmask_b32_e64 v160, v150, v161, s46
	v_min_u32_e32 v151, v161, v151
	v_add_nc_u32_e32 v151, v67, v151
	ds_read_u8 v162, v151
	v_cndmask_b32_e64 v151, v161, v149, s46
	s_waitcnt lgkmcnt(0)
	v_cndmask_b32_e64 v149, v162, v147, s46
	v_cndmask_b32_e64 v150, v148, v162, s46
	v_cmpx_lt_u32_e64 v151, v11
	s_cbranch_execz .LBB691_532
; %bb.529:
	s_mov_b32 s56, 0
	s_mov_b32 s45, exec_lo
	v_cmpx_lt_u32_e64 v160, v10
	s_cbranch_execz .LBB691_531
; %bb.530:
	v_and_b32_e32 v161, 0xff, v149
	v_and_b32_e32 v162, 0xff, v150
	v_mul_lo_u16 v161, 0xcd, v161
	v_mul_lo_u16 v162, 0xcd, v162
	v_lshrrev_b16 v161, 11, v161
	v_lshrrev_b16 v162, 11, v162
	v_cmp_ge_u16_e64 s6, v161, v162
	s_and_b32 s56, s6, exec_lo
.LBB691_531:
	s_or_b32 exec_lo, exec_lo, s45
	s_orn2_b32 s45, s56, exec_lo
.LBB691_532:
	s_or_b32 exec_lo, exec_lo, s47
	v_cndmask_b32_e64 v161, v151, v160, s45
	v_cndmask_b32_e64 v162, v11, v10, s45
	s_mov_b32 s47, -1
	s_mov_b32 s56, -1
	s_mov_b32 s57, exec_lo
	v_add_nc_u32_e32 v163, 1, v161
	v_add_nc_u32_e32 v161, -1, v162
	v_cndmask_b32_e64 v162, v160, v163, s45
	v_min_u32_e32 v161, v163, v161
	v_add_nc_u32_e32 v161, v67, v161
	ds_read_u8 v164, v161
	v_cndmask_b32_e64 v161, v163, v151, s45
	s_waitcnt lgkmcnt(0)
	v_cndmask_b32_e64 v151, v164, v149, s45
	v_cndmask_b32_e64 v160, v150, v164, s45
	v_cmpx_lt_u32_e64 v161, v11
	s_cbranch_execz .LBB691_536
; %bb.533:
	s_mov_b32 s58, 0
	s_mov_b32 s56, exec_lo
	v_cmpx_lt_u32_e64 v162, v10
	s_cbranch_execz .LBB691_535
; %bb.534:
	v_and_b32_e32 v163, 0xff, v151
	v_and_b32_e32 v164, 0xff, v160
	v_mul_lo_u16 v163, 0xcd, v163
	v_mul_lo_u16 v164, 0xcd, v164
	v_lshrrev_b16 v163, 11, v163
	v_lshrrev_b16 v164, 11, v164
	v_cmp_ge_u16_e64 s6, v163, v164
	s_and_b32 s58, s6, exec_lo
.LBB691_535:
	s_or_b32 exec_lo, exec_lo, s56
	s_orn2_b32 s56, s58, exec_lo
.LBB691_536:
	s_or_b32 exec_lo, exec_lo, s57
	v_cndmask_b32_e64 v163, v161, v162, s56
	v_cndmask_b32_e64 v164, v11, v10, s56
	s_mov_b32 s57, exec_lo
	v_add_nc_u32_e32 v165, 1, v163
	v_add_nc_u32_e32 v163, -1, v164
	v_cndmask_b32_e64 v164, v162, v165, s56
	v_min_u32_e32 v163, v165, v163
	v_add_nc_u32_e32 v163, v67, v163
	ds_read_u8 v166, v163
	v_cndmask_b32_e64 v163, v165, v161, s56
	s_waitcnt lgkmcnt(0)
	v_cndmask_b32_e64 v161, v166, v151, s56
	v_cndmask_b32_e64 v162, v160, v166, s56
	v_cmpx_lt_u32_e64 v163, v11
	s_cbranch_execz .LBB691_540
; %bb.537:
	s_mov_b32 s58, 0
	s_mov_b32 s47, exec_lo
	v_cmpx_lt_u32_e64 v164, v10
	s_cbranch_execz .LBB691_539
; %bb.538:
	v_and_b32_e32 v165, 0xff, v161
	v_and_b32_e32 v166, 0xff, v162
	v_mul_lo_u16 v165, 0xcd, v165
	v_mul_lo_u16 v166, 0xcd, v166
	v_lshrrev_b16 v165, 11, v165
	v_lshrrev_b16 v166, 11, v166
	v_cmp_ge_u16_e64 s6, v165, v166
	s_and_b32 s58, s6, exec_lo
.LBB691_539:
	s_or_b32 exec_lo, exec_lo, s47
	s_orn2_b32 s47, s58, exec_lo
.LBB691_540:
	s_or_b32 exec_lo, exec_lo, s57
	v_cndmask_b32_e64 v165, v163, v164, s47
	v_cndmask_b32_e64 v166, v11, v10, s47
	s_mov_b32 s57, -1
	s_mov_b32 s58, -1
	s_mov_b32 s59, exec_lo
	v_add_nc_u32_e32 v167, 1, v165
	v_add_nc_u32_e32 v165, -1, v166
	v_cndmask_b32_e64 v166, v164, v167, s47
	v_min_u32_e32 v165, v167, v165
	v_add_nc_u32_e32 v165, v67, v165
	ds_read_u8 v176, v165
	v_cndmask_b32_e64 v165, v167, v163, s47
	s_waitcnt lgkmcnt(0)
	v_cndmask_b32_e64 v163, v176, v161, s47
	v_cndmask_b32_e64 v164, v162, v176, s47
	v_cmpx_lt_u32_e64 v165, v11
	s_cbranch_execz .LBB691_544
; %bb.541:
	s_mov_b32 s60, 0
	s_mov_b32 s58, exec_lo
	v_cmpx_lt_u32_e64 v166, v10
	s_cbranch_execz .LBB691_543
; %bb.542:
	v_and_b32_e32 v167, 0xff, v163
	v_and_b32_e32 v176, 0xff, v164
	v_mul_lo_u16 v167, 0xcd, v167
	v_mul_lo_u16 v176, 0xcd, v176
	v_lshrrev_b16 v167, 11, v167
	v_lshrrev_b16 v176, 11, v176
	v_cmp_ge_u16_e64 s6, v167, v176
	s_and_b32 s60, s6, exec_lo
.LBB691_543:
	s_or_b32 exec_lo, exec_lo, s58
	s_orn2_b32 s58, s60, exec_lo
.LBB691_544:
	s_or_b32 exec_lo, exec_lo, s59
	v_cndmask_b32_e64 v167, v165, v166, s58
	v_cndmask_b32_e64 v176, v11, v10, s58
	s_mov_b32 s59, exec_lo
	v_add_nc_u32_e32 v167, 1, v167
	v_add_nc_u32_e32 v176, -1, v176
	v_min_u32_e32 v176, v167, v176
	v_add_nc_u32_e32 v176, v67, v176
	ds_read_u8 v177, v176
	v_cndmask_b32_e64 v176, v167, v165, s58
	v_cndmask_b32_e64 v167, v166, v167, s58
	s_waitcnt lgkmcnt(0)
	v_cndmask_b32_e64 v165, v177, v163, s58
	v_cndmask_b32_e64 v166, v164, v177, s58
	v_cmpx_lt_u32_e64 v176, v11
	s_cbranch_execz .LBB691_548
; %bb.545:
	s_mov_b32 s60, 0
	s_mov_b32 s57, exec_lo
	v_cmpx_lt_u32_e64 v167, v10
	s_cbranch_execz .LBB691_547
; %bb.546:
	v_and_b32_e32 v177, 0xff, v165
	v_and_b32_e32 v178, 0xff, v166
	v_mul_lo_u16 v177, 0xcd, v177
	v_mul_lo_u16 v178, 0xcd, v178
	v_lshrrev_b16 v177, 11, v177
	v_lshrrev_b16 v178, 11, v178
	v_cmp_ge_u16_e64 s6, v177, v178
	s_and_b32 s60, s6, exec_lo
.LBB691_547:
	s_or_b32 exec_lo, exec_lo, s57
	s_orn2_b32 s57, s60, exec_lo
.LBB691_548:
	s_or_b32 exec_lo, exec_lo, s59
	v_cndmask_b32_e64 v177, v176, v167, s57
	v_cndmask_b32_e64 v178, v11, v10, s57
	s_mov_b32 s59, exec_lo
	v_add_nc_u32_e32 v177, 1, v177
	v_add_nc_u32_e32 v178, -1, v178
	v_cndmask_b32_e64 v176, v177, v176, s57
	v_min_u32_e32 v178, v177, v178
	v_add_nc_u32_e32 v67, v67, v178
	ds_read_u8 v178, v67
	s_waitcnt lgkmcnt(0)
	v_cndmask_b32_e64 v67, v166, v178, s57
	v_cmpx_lt_u32_e64 v176, v11
	s_cbranch_execz .LBB691_552
; %bb.549:
	v_cndmask_b32_e64 v167, v167, v177, s57
	v_cndmask_b32_e64 v11, v178, v165, s57
	s_mov_b32 s60, exec_lo
	v_cmpx_lt_u32_e64 v167, v10
	s_cbranch_execz .LBB691_551
; %bb.550:
	v_and_b32_e32 v10, 0xff, v11
	v_and_b32_e32 v167, 0xff, v67
	v_mul_lo_u16 v10, 0xcd, v10
	v_mul_lo_u16 v167, 0xcd, v167
	v_lshrrev_b16 v10, 11, v10
	v_lshrrev_b16 v167, 11, v167
	v_cmp_lt_u16_e64 s6, v10, v167
	v_cndmask_b32_e64 v11, v67, v11, s6
.LBB691_551:
	s_or_b32 exec_lo, exec_lo, s60
	v_mov_b32_e32 v67, v11
.LBB691_552:
	s_or_b32 exec_lo, exec_lo, s59
	v_cndmask_b32_sdwa v3, v2, v3, vcc_lo dst_sel:BYTE_1 dst_unused:UNUSED_PAD src0_sel:DWORD src1_sel:DWORD
	s_mov_b32 vcc_lo, s4
	v_cndmask_b32_e64 v6, v6, v7, s11
	v_cndmask_b32_sdwa v7, v8, v9, vcc_lo dst_sel:BYTE_1 dst_unused:UNUSED_PAD src0_sel:DWORD src1_sel:DWORD
	s_mov_b32 vcc_lo, s5
	v_cndmask_b32_e64 v8, v12, v13, s14
	v_cndmask_b32_sdwa v9, v14, v68, vcc_lo dst_sel:BYTE_1 dst_unused:UNUSED_PAD src0_sel:DWORD src1_sel:DWORD
	v_cndmask_b32_e64 v11, v69, v70, s15
	v_cndmask_b32_e64 v13, v81, v82, s16
	;; [unrolled: 1-line block ×14, first 2 shown]
	v_lshlrev_b16 v85, 8, v85
	v_lshlrev_b16 v87, 8, v87
	;; [unrolled: 1-line block ×4, first 2 shown]
	v_cndmask_b32_e64 v0, v99, v100, s24
	v_cndmask_b32_e64 v84, v147, v148, s46
	;; [unrolled: 1-line block ×3, first 2 shown]
	v_or_b32_sdwa v83, v83, v85 dst_sel:DWORD dst_unused:UNUSED_PAD src0_sel:BYTE_0 src1_sel:DWORD
	v_or_b32_sdwa v85, v86, v87 dst_sel:WORD_1 dst_unused:UNUSED_PAD src0_sel:BYTE_0 src1_sel:DWORD
	v_or_b32_sdwa v86, v1, v2 dst_sel:DWORD dst_unused:UNUSED_PAD src0_sel:BYTE_0 src1_sel:DWORD
	v_or_b32_sdwa v81, v81, v82 dst_sel:WORD_1 dst_unused:UNUSED_PAD src0_sel:BYTE_0 src1_sel:DWORD
	v_cndmask_b32_e64 v12, v71, v80, s17
	v_cndmask_b32_e64 v70, v97, v98, s21
	;; [unrolled: 1-line block ×4, first 2 shown]
	v_lshlrev_b16 v84, 8, v84
	v_cndmask_b32_e64 v97, v151, v160, s56
	v_cndmask_b32_e64 v99, v161, v162, s47
	v_lshlrev_b16 v87, 8, v0
	v_or_b32_sdwa v0, v86, v81 dst_sel:DWORD dst_unused:UNUSED_PAD src0_sel:WORD_0 src1_sel:DWORD
	v_lshlrev_b16 v14, 8, v14
	v_lshlrev_b16 v69, 8, v69
	;; [unrolled: 1-line block ×3, first 2 shown]
	v_cndmask_b32_e64 v71, v101, v102, s23
	v_cndmask_b32_e64 v98, v149, v150, s45
	v_or_b32_sdwa v84, v96, v84 dst_sel:DWORD dst_unused:UNUSED_PAD src0_sel:BYTE_0 src1_sel:DWORD
	v_lshlrev_b16 v96, 8, v97
	v_cndmask_b32_e64 v82, v165, v166, s57
	v_lshlrev_b16 v80, 8, v80
	v_lshlrev_b16 v12, 8, v12
	v_or_b32_sdwa v13, v13, v14 dst_sel:DWORD dst_unused:UNUSED_PAD src0_sel:BYTE_0 src1_sel:DWORD
	v_or_b32_sdwa v14, v68, v69 dst_sel:WORD_1 dst_unused:UNUSED_PAD src0_sel:BYTE_0 src1_sel:DWORD
	v_or_b32_sdwa v68, v99, v81 dst_sel:DWORD dst_unused:UNUSED_PAD src0_sel:BYTE_0 src1_sel:DWORD
	v_or_b32_sdwa v96, v98, v96 dst_sel:WORD_1 dst_unused:UNUSED_PAD src0_sel:BYTE_0 src1_sel:DWORD
	;; [unrolled: 2-line block ×5, first 2 shown]
	v_and_b32_e32 v10, 0xffff, v68
	v_perm_b32 v12, v82, v67, 0xc0c0004
	v_or_b32_sdwa v2, v84, v96 dst_sel:DWORD dst_unused:UNUSED_PAD src0_sel:WORD_0 src1_sel:DWORD
	v_or_b32_sdwa v1, v83, v85 dst_sel:DWORD dst_unused:UNUSED_PAD src0_sel:WORD_0 src1_sel:DWORD
	;; [unrolled: 1-line block ×6, first 2 shown]
	v_lshl_or_b32 v3, v12, 16, v10
.LBB691_553:
	s_or_b32 exec_lo, exec_lo, s7
	s_movk_i32 s7, 0x200
	; wave barrier
	s_waitcnt lgkmcnt(0)
	s_barrier
	buffer_gl0_inv
.LBB691_554:                            ; =>This Loop Header: Depth=1
                                        ;     Child Loop BB691_556 Depth 2
	s_lshl_b32 s10, s7, 1
	ds_write_b128 v18, v[6:9]
	ds_write_b128 v18, v[0:3] offset:16
	s_sub_i32 s4, 0, s10
	s_waitcnt lgkmcnt(0)
	v_and_b32_e32 v12, s4, v18
	s_add_i32 s4, s10, -1
	s_barrier
	v_and_b32_e32 v13, s4, v18
	s_mov_b32 s4, exec_lo
	v_add_nc_u32_e32 v10, s7, v12
	buffer_gl0_inv
	v_min_u32_e32 v13, 0x2000, v13
	v_min_u32_e32 v10, 0x2000, v10
	v_add_nc_u32_e32 v11, s7, v10
	v_sub_nc_u32_e32 v67, v10, v12
	v_min_u32_e32 v11, 0x2000, v11
	v_min_u32_e32 v67, v13, v67
	v_sub_nc_u32_e32 v14, v11, v10
	v_sub_nc_u32_e64 v14, v13, v14 clamp
	v_cmpx_lt_u32_e64 v14, v67
	s_cbranch_execz .LBB691_558
; %bb.555:                              ;   in Loop: Header=BB691_554 Depth=1
	v_add_nc_u32_e32 v68, v10, v13
	s_mov_b32 s5, 0
	.p2align	6
.LBB691_556:                            ;   Parent Loop BB691_554 Depth=1
                                        ; =>  This Inner Loop Header: Depth=2
	v_add_nc_u32_e32 v69, v67, v14
	v_lshrrev_b32_e32 v69, 1, v69
	v_xad_u32 v70, v69, -1, v68
	v_add_nc_u32_e32 v71, v12, v69
	v_add_nc_u32_e32 v80, 1, v69
	ds_read_u8 v70, v70
	ds_read_u8 v71, v71
	s_waitcnt lgkmcnt(1)
	v_mul_lo_u16 v70, 0xcd, v70
	s_waitcnt lgkmcnt(0)
	v_mul_lo_u16 v71, 0xcd, v71
	v_lshrrev_b16 v70, 11, v70
	v_lshrrev_b16 v71, 11, v71
	v_cmp_lt_u16_e32 vcc_lo, v70, v71
	v_cndmask_b32_e32 v67, v67, v69, vcc_lo
	v_cndmask_b32_e32 v14, v80, v14, vcc_lo
	v_cmp_ge_u32_e32 vcc_lo, v14, v67
	s_or_b32 s5, vcc_lo, s5
	s_andn2_b32 exec_lo, exec_lo, s5
	s_cbranch_execnz .LBB691_556
; %bb.557:                              ;   in Loop: Header=BB691_554 Depth=1
	s_or_b32 exec_lo, exec_lo, s5
.LBB691_558:                            ;   in Loop: Header=BB691_554 Depth=1
	s_or_b32 exec_lo, exec_lo, s4
	v_sub_nc_u32_e32 v13, v13, v14
	v_add_nc_u32_e32 v12, v14, v12
	v_add_nc_u32_e32 v13, v13, v10
	v_cmp_le_u32_e32 vcc_lo, v12, v10
	v_cmp_le_u32_e64 s4, v13, v11
	s_or_b32 s4, vcc_lo, s4
	s_and_saveexec_b32 s11, s4
	s_cbranch_execz .LBB691_690
; %bb.559:                              ;   in Loop: Header=BB691_554 Depth=1
	s_mov_b32 s5, exec_lo
	v_cmp_ge_u32_e32 vcc_lo, v12, v10
                                        ; implicit-def: $vgpr0
	v_cmpx_lt_u32_e64 v12, v10
; %bb.560:                              ;   in Loop: Header=BB691_554 Depth=1
	ds_read_u8 v0, v12
; %bb.561:                              ;   in Loop: Header=BB691_554 Depth=1
	s_or_b32 exec_lo, exec_lo, s5
	v_cmp_ge_u32_e64 s14, v13, v11
	s_mov_b32 s5, exec_lo
                                        ; implicit-def: $vgpr1
	v_cmpx_lt_u32_e64 v13, v11
; %bb.562:                              ;   in Loop: Header=BB691_554 Depth=1
	ds_read_u8 v1, v13
; %bb.563:                              ;   in Loop: Header=BB691_554 Depth=1
	s_or_b32 exec_lo, exec_lo, s5
	s_nor_b32 s5, vcc_lo, s14
	s_and_saveexec_b32 s4, s5
	s_cbranch_execz .LBB691_565
; %bb.564:                              ;   in Loop: Header=BB691_554 Depth=1
	s_waitcnt lgkmcnt(0)
	v_and_b32_e32 v2, 0xff, v1
	v_and_b32_e32 v3, 0xff, v0
	s_andn2_b32 s5, s14, exec_lo
	v_mul_lo_u16 v2, 0xcd, v2
	v_mul_lo_u16 v3, 0xcd, v3
	v_lshrrev_b16 v2, 11, v2
	v_lshrrev_b16 v3, 11, v3
	v_cmp_ge_u16_e32 vcc_lo, v2, v3
	s_and_b32 s6, vcc_lo, exec_lo
	s_or_b32 s14, s5, s6
.LBB691_565:                            ;   in Loop: Header=BB691_554 Depth=1
	s_or_b32 exec_lo, exec_lo, s4
	v_cndmask_b32_e64 v2, v13, v12, s14
	v_cndmask_b32_e64 v3, v11, v10, s14
	s_mov_b32 s15, -1
	s_mov_b32 vcc_lo, -1
	s_mov_b32 s5, exec_lo
	v_add_nc_u32_e32 v2, 1, v2
	v_add_nc_u32_e32 v3, -1, v3
	v_cndmask_b32_e64 v6, v2, v13, s14
	v_min_u32_e32 v3, v2, v3
	v_cndmask_b32_e64 v7, v12, v2, s14
	ds_read_u8 v3, v3
	s_waitcnt lgkmcnt(0)
	v_cndmask_b32_e64 v2, v3, v1, s14
	v_cndmask_b32_e64 v3, v0, v3, s14
	v_cmpx_lt_u32_e64 v6, v11
	s_cbranch_execz .LBB691_569
; %bb.566:                              ;   in Loop: Header=BB691_554 Depth=1
	s_mov_b32 s6, 0
	s_mov_b32 s4, exec_lo
	v_cmpx_lt_u32_e64 v7, v10
	s_cbranch_execz .LBB691_568
; %bb.567:                              ;   in Loop: Header=BB691_554 Depth=1
	v_and_b32_e32 v8, 0xff, v2
	v_and_b32_e32 v9, 0xff, v3
	v_mul_lo_u16 v8, 0xcd, v8
	v_mul_lo_u16 v9, 0xcd, v9
	v_lshrrev_b16 v8, 11, v8
	v_lshrrev_b16 v9, 11, v9
	v_cmp_ge_u16_e32 vcc_lo, v8, v9
	s_and_b32 s6, vcc_lo, exec_lo
.LBB691_568:                            ;   in Loop: Header=BB691_554 Depth=1
	s_or_b32 exec_lo, exec_lo, s4
	s_orn2_b32 vcc_lo, s6, exec_lo
.LBB691_569:                            ;   in Loop: Header=BB691_554 Depth=1
	s_or_b32 exec_lo, exec_lo, s5
	v_cndmask_b32_e32 v8, v6, v7, vcc_lo
	v_cndmask_b32_e32 v9, v11, v10, vcc_lo
	s_mov_b32 s5, exec_lo
	v_add_nc_u32_e32 v12, 1, v8
	v_add_nc_u32_e32 v8, -1, v9
	v_cndmask_b32_e32 v9, v7, v12, vcc_lo
	v_min_u32_e32 v8, v12, v8
	ds_read_u8 v13, v8
	v_cndmask_b32_e32 v8, v12, v6, vcc_lo
	s_waitcnt lgkmcnt(0)
	v_cndmask_b32_e32 v6, v13, v2, vcc_lo
	v_cndmask_b32_e32 v7, v3, v13, vcc_lo
	v_cmpx_lt_u32_e64 v8, v11
	s_cbranch_execz .LBB691_573
; %bb.570:                              ;   in Loop: Header=BB691_554 Depth=1
	s_mov_b32 s15, 0
	s_mov_b32 s6, exec_lo
	v_cmpx_lt_u32_e64 v9, v10
	s_cbranch_execz .LBB691_572
; %bb.571:                              ;   in Loop: Header=BB691_554 Depth=1
	v_and_b32_e32 v12, 0xff, v6
	v_and_b32_e32 v13, 0xff, v7
	v_mul_lo_u16 v12, 0xcd, v12
	v_mul_lo_u16 v13, 0xcd, v13
	v_lshrrev_b16 v12, 11, v12
	v_lshrrev_b16 v13, 11, v13
	v_cmp_ge_u16_e64 s4, v12, v13
	s_and_b32 s15, s4, exec_lo
.LBB691_572:                            ;   in Loop: Header=BB691_554 Depth=1
	s_or_b32 exec_lo, exec_lo, s6
	s_orn2_b32 s15, s15, exec_lo
.LBB691_573:                            ;   in Loop: Header=BB691_554 Depth=1
	s_or_b32 exec_lo, exec_lo, s5
	v_cndmask_b32_e64 v12, v8, v9, s15
	v_cndmask_b32_e64 v13, v11, v10, s15
	s_mov_b32 s16, -1
	s_mov_b32 s4, -1
	s_mov_b32 s6, exec_lo
	v_add_nc_u32_e32 v14, 1, v12
	v_add_nc_u32_e32 v12, -1, v13
	v_cndmask_b32_e64 v13, v9, v14, s15
	v_min_u32_e32 v12, v14, v12
	ds_read_u8 v67, v12
	v_cndmask_b32_e64 v12, v14, v8, s15
	s_waitcnt lgkmcnt(0)
	v_cndmask_b32_e64 v8, v67, v6, s15
	v_cndmask_b32_e64 v9, v7, v67, s15
	v_cmpx_lt_u32_e64 v12, v11
	s_cbranch_execz .LBB691_577
; %bb.574:                              ;   in Loop: Header=BB691_554 Depth=1
	s_mov_b32 s17, 0
	s_mov_b32 s5, exec_lo
	v_cmpx_lt_u32_e64 v13, v10
	s_cbranch_execz .LBB691_576
; %bb.575:                              ;   in Loop: Header=BB691_554 Depth=1
	v_and_b32_e32 v14, 0xff, v8
	v_and_b32_e32 v67, 0xff, v9
	v_mul_lo_u16 v14, 0xcd, v14
	v_mul_lo_u16 v67, 0xcd, v67
	v_lshrrev_b16 v14, 11, v14
	v_lshrrev_b16 v67, 11, v67
	v_cmp_ge_u16_e64 s4, v14, v67
	s_and_b32 s17, s4, exec_lo
.LBB691_576:                            ;   in Loop: Header=BB691_554 Depth=1
	s_or_b32 exec_lo, exec_lo, s5
	s_orn2_b32 s4, s17, exec_lo
.LBB691_577:                            ;   in Loop: Header=BB691_554 Depth=1
	s_or_b32 exec_lo, exec_lo, s6
	v_cndmask_b32_e64 v14, v12, v13, s4
	v_cndmask_b32_e64 v67, v11, v10, s4
	s_mov_b32 s6, exec_lo
	v_add_nc_u32_e32 v68, 1, v14
	v_add_nc_u32_e32 v14, -1, v67
	v_cndmask_b32_e64 v67, v13, v68, s4
	v_min_u32_e32 v14, v68, v14
	ds_read_u8 v69, v14
	v_cndmask_b32_e64 v14, v68, v12, s4
	s_waitcnt lgkmcnt(0)
	v_cndmask_b32_e64 v12, v69, v8, s4
	v_cndmask_b32_e64 v13, v9, v69, s4
	v_cmpx_lt_u32_e64 v14, v11
	s_cbranch_execz .LBB691_581
; %bb.578:                              ;   in Loop: Header=BB691_554 Depth=1
	s_mov_b32 s17, 0
	s_mov_b32 s16, exec_lo
	v_cmpx_lt_u32_e64 v67, v10
	s_cbranch_execz .LBB691_580
; %bb.579:                              ;   in Loop: Header=BB691_554 Depth=1
	v_and_b32_e32 v68, 0xff, v12
	v_and_b32_e32 v69, 0xff, v13
	v_mul_lo_u16 v68, 0xcd, v68
	v_mul_lo_u16 v69, 0xcd, v69
	v_lshrrev_b16 v68, 11, v68
	v_lshrrev_b16 v69, 11, v69
	v_cmp_ge_u16_e64 s5, v68, v69
	s_and_b32 s17, s5, exec_lo
.LBB691_580:                            ;   in Loop: Header=BB691_554 Depth=1
	s_or_b32 exec_lo, exec_lo, s16
	s_orn2_b32 s16, s17, exec_lo
.LBB691_581:                            ;   in Loop: Header=BB691_554 Depth=1
	s_or_b32 exec_lo, exec_lo, s6
	v_cndmask_b32_e64 v68, v14, v67, s16
	v_cndmask_b32_e64 v69, v11, v10, s16
	s_mov_b32 s17, -1
	s_mov_b32 s5, -1
	s_mov_b32 s18, exec_lo
	v_add_nc_u32_e32 v70, 1, v68
	v_add_nc_u32_e32 v68, -1, v69
	v_cndmask_b32_e64 v69, v67, v70, s16
	v_min_u32_e32 v68, v70, v68
	ds_read_u8 v71, v68
	v_cndmask_b32_e64 v68, v70, v14, s16
	s_waitcnt lgkmcnt(0)
	v_cndmask_b32_e64 v14, v71, v12, s16
	v_cndmask_b32_e64 v67, v13, v71, s16
	v_cmpx_lt_u32_e64 v68, v11
	s_cbranch_execz .LBB691_585
; %bb.582:                              ;   in Loop: Header=BB691_554 Depth=1
	s_mov_b32 s20, 0
	s_mov_b32 s6, exec_lo
	v_cmpx_lt_u32_e64 v69, v10
	s_cbranch_execz .LBB691_584
; %bb.583:                              ;   in Loop: Header=BB691_554 Depth=1
	v_and_b32_e32 v70, 0xff, v14
	v_and_b32_e32 v71, 0xff, v67
	v_mul_lo_u16 v70, 0xcd, v70
	v_mul_lo_u16 v71, 0xcd, v71
	v_lshrrev_b16 v70, 11, v70
	v_lshrrev_b16 v71, 11, v71
	v_cmp_ge_u16_e64 s5, v70, v71
	s_and_b32 s20, s5, exec_lo
.LBB691_584:                            ;   in Loop: Header=BB691_554 Depth=1
	s_or_b32 exec_lo, exec_lo, s6
	s_orn2_b32 s5, s20, exec_lo
.LBB691_585:                            ;   in Loop: Header=BB691_554 Depth=1
	s_or_b32 exec_lo, exec_lo, s18
	v_cndmask_b32_e64 v70, v68, v69, s5
	v_cndmask_b32_e64 v71, v11, v10, s5
	s_mov_b32 s18, exec_lo
	v_add_nc_u32_e32 v80, 1, v70
	v_add_nc_u32_e32 v70, -1, v71
	v_cndmask_b32_e64 v71, v69, v80, s5
	v_min_u32_e32 v70, v80, v70
	ds_read_u8 v81, v70
	v_cndmask_b32_e64 v70, v80, v68, s5
	s_waitcnt lgkmcnt(0)
	v_cndmask_b32_e64 v68, v81, v14, s5
	v_cndmask_b32_e64 v69, v67, v81, s5
	v_cmpx_lt_u32_e64 v70, v11
	s_cbranch_execz .LBB691_589
; %bb.586:                              ;   in Loop: Header=BB691_554 Depth=1
	s_mov_b32 s20, 0
	s_mov_b32 s17, exec_lo
	v_cmpx_lt_u32_e64 v71, v10
	s_cbranch_execz .LBB691_588
; %bb.587:                              ;   in Loop: Header=BB691_554 Depth=1
	v_and_b32_e32 v80, 0xff, v68
	v_and_b32_e32 v81, 0xff, v69
	v_mul_lo_u16 v80, 0xcd, v80
	v_mul_lo_u16 v81, 0xcd, v81
	v_lshrrev_b16 v80, 11, v80
	v_lshrrev_b16 v81, 11, v81
	v_cmp_ge_u16_e64 s6, v80, v81
	s_and_b32 s20, s6, exec_lo
.LBB691_588:                            ;   in Loop: Header=BB691_554 Depth=1
	s_or_b32 exec_lo, exec_lo, s17
	s_orn2_b32 s17, s20, exec_lo
.LBB691_589:                            ;   in Loop: Header=BB691_554 Depth=1
	s_or_b32 exec_lo, exec_lo, s18
	v_cndmask_b32_e64 v80, v70, v71, s17
	v_cndmask_b32_e64 v81, v11, v10, s17
	s_mov_b32 s18, -1
	s_mov_b32 s20, -1
	s_mov_b32 s21, exec_lo
	v_add_nc_u32_e32 v82, 1, v80
	v_add_nc_u32_e32 v80, -1, v81
	v_cndmask_b32_e64 v81, v71, v82, s17
	v_min_u32_e32 v80, v82, v80
	ds_read_u8 v83, v80
	v_cndmask_b32_e64 v80, v82, v70, s17
	s_waitcnt lgkmcnt(0)
	v_cndmask_b32_e64 v70, v83, v68, s17
	v_cndmask_b32_e64 v71, v69, v83, s17
	v_cmpx_lt_u32_e64 v80, v11
	s_cbranch_execz .LBB691_593
; %bb.590:                              ;   in Loop: Header=BB691_554 Depth=1
	s_mov_b32 s22, 0
	s_mov_b32 s20, exec_lo
	v_cmpx_lt_u32_e64 v81, v10
	s_cbranch_execz .LBB691_592
; %bb.591:                              ;   in Loop: Header=BB691_554 Depth=1
	v_and_b32_e32 v82, 0xff, v70
	v_and_b32_e32 v83, 0xff, v71
	v_mul_lo_u16 v82, 0xcd, v82
	v_mul_lo_u16 v83, 0xcd, v83
	v_lshrrev_b16 v82, 11, v82
	v_lshrrev_b16 v83, 11, v83
	v_cmp_ge_u16_e64 s6, v82, v83
	s_and_b32 s22, s6, exec_lo
.LBB691_592:                            ;   in Loop: Header=BB691_554 Depth=1
	s_or_b32 exec_lo, exec_lo, s20
	s_orn2_b32 s20, s22, exec_lo
.LBB691_593:                            ;   in Loop: Header=BB691_554 Depth=1
	s_or_b32 exec_lo, exec_lo, s21
	v_cndmask_b32_e64 v82, v80, v81, s20
	v_cndmask_b32_e64 v83, v11, v10, s20
	s_mov_b32 s21, exec_lo
	v_add_nc_u32_e32 v84, 1, v82
	v_add_nc_u32_e32 v82, -1, v83
	v_cndmask_b32_e64 v83, v81, v84, s20
	v_min_u32_e32 v82, v84, v82
	ds_read_u8 v85, v82
	v_cndmask_b32_e64 v82, v84, v80, s20
	s_waitcnt lgkmcnt(0)
	v_cndmask_b32_e64 v80, v85, v70, s20
	v_cndmask_b32_e64 v81, v71, v85, s20
	v_cmpx_lt_u32_e64 v82, v11
	s_cbranch_execz .LBB691_597
; %bb.594:                              ;   in Loop: Header=BB691_554 Depth=1
	s_mov_b32 s22, 0
	s_mov_b32 s18, exec_lo
	v_cmpx_lt_u32_e64 v83, v10
	s_cbranch_execz .LBB691_596
; %bb.595:                              ;   in Loop: Header=BB691_554 Depth=1
	v_and_b32_e32 v84, 0xff, v80
	v_and_b32_e32 v85, 0xff, v81
	v_mul_lo_u16 v84, 0xcd, v84
	v_mul_lo_u16 v85, 0xcd, v85
	v_lshrrev_b16 v84, 11, v84
	v_lshrrev_b16 v85, 11, v85
	v_cmp_ge_u16_e64 s6, v84, v85
	s_and_b32 s22, s6, exec_lo
.LBB691_596:                            ;   in Loop: Header=BB691_554 Depth=1
	s_or_b32 exec_lo, exec_lo, s18
	s_orn2_b32 s18, s22, exec_lo
.LBB691_597:                            ;   in Loop: Header=BB691_554 Depth=1
	s_or_b32 exec_lo, exec_lo, s21
	v_cndmask_b32_e64 v84, v82, v83, s18
	v_cndmask_b32_e64 v85, v11, v10, s18
	s_mov_b32 s21, -1
	s_mov_b32 s22, -1
	s_mov_b32 s23, exec_lo
	v_add_nc_u32_e32 v86, 1, v84
	v_add_nc_u32_e32 v84, -1, v85
	v_cndmask_b32_e64 v85, v83, v86, s18
	v_min_u32_e32 v84, v86, v84
	ds_read_u8 v87, v84
	v_cndmask_b32_e64 v84, v86, v82, s18
	s_waitcnt lgkmcnt(0)
	v_cndmask_b32_e64 v82, v87, v80, s18
	v_cndmask_b32_e64 v83, v81, v87, s18
	v_cmpx_lt_u32_e64 v84, v11
	s_cbranch_execz .LBB691_601
; %bb.598:                              ;   in Loop: Header=BB691_554 Depth=1
	s_mov_b32 s24, 0
	s_mov_b32 s22, exec_lo
	v_cmpx_lt_u32_e64 v85, v10
	s_cbranch_execz .LBB691_600
; %bb.599:                              ;   in Loop: Header=BB691_554 Depth=1
	v_and_b32_e32 v86, 0xff, v82
	v_and_b32_e32 v87, 0xff, v83
	v_mul_lo_u16 v86, 0xcd, v86
	v_mul_lo_u16 v87, 0xcd, v87
	v_lshrrev_b16 v86, 11, v86
	v_lshrrev_b16 v87, 11, v87
	v_cmp_ge_u16_e64 s6, v86, v87
	s_and_b32 s24, s6, exec_lo
.LBB691_600:                            ;   in Loop: Header=BB691_554 Depth=1
	s_or_b32 exec_lo, exec_lo, s22
	s_orn2_b32 s22, s24, exec_lo
.LBB691_601:                            ;   in Loop: Header=BB691_554 Depth=1
	s_or_b32 exec_lo, exec_lo, s23
	v_cndmask_b32_e64 v86, v84, v85, s22
	v_cndmask_b32_e64 v87, v11, v10, s22
	s_mov_b32 s23, exec_lo
	v_add_nc_u32_e32 v96, 1, v86
	v_add_nc_u32_e32 v86, -1, v87
	v_cndmask_b32_e64 v87, v85, v96, s22
	v_min_u32_e32 v86, v96, v86
	ds_read_u8 v97, v86
	v_cndmask_b32_e64 v86, v96, v84, s22
	s_waitcnt lgkmcnt(0)
	v_cndmask_b32_e64 v84, v97, v82, s22
	v_cndmask_b32_e64 v85, v83, v97, s22
	v_cmpx_lt_u32_e64 v86, v11
	s_cbranch_execz .LBB691_605
; %bb.602:                              ;   in Loop: Header=BB691_554 Depth=1
	s_mov_b32 s24, 0
	s_mov_b32 s21, exec_lo
	v_cmpx_lt_u32_e64 v87, v10
	s_cbranch_execz .LBB691_604
; %bb.603:                              ;   in Loop: Header=BB691_554 Depth=1
	v_and_b32_e32 v96, 0xff, v84
	v_and_b32_e32 v97, 0xff, v85
	v_mul_lo_u16 v96, 0xcd, v96
	v_mul_lo_u16 v97, 0xcd, v97
	v_lshrrev_b16 v96, 11, v96
	v_lshrrev_b16 v97, 11, v97
	v_cmp_ge_u16_e64 s6, v96, v97
	s_and_b32 s24, s6, exec_lo
.LBB691_604:                            ;   in Loop: Header=BB691_554 Depth=1
	s_or_b32 exec_lo, exec_lo, s21
	s_orn2_b32 s21, s24, exec_lo
.LBB691_605:                            ;   in Loop: Header=BB691_554 Depth=1
	s_or_b32 exec_lo, exec_lo, s23
	v_cndmask_b32_e64 v96, v86, v87, s21
	v_cndmask_b32_e64 v97, v11, v10, s21
	s_mov_b32 s23, -1
	s_mov_b32 s24, -1
	s_mov_b32 s25, exec_lo
	v_add_nc_u32_e32 v98, 1, v96
	v_add_nc_u32_e32 v96, -1, v97
	v_cndmask_b32_e64 v97, v87, v98, s21
	v_min_u32_e32 v96, v98, v96
	ds_read_u8 v99, v96
	v_cndmask_b32_e64 v96, v98, v86, s21
	s_waitcnt lgkmcnt(0)
	v_cndmask_b32_e64 v86, v99, v84, s21
	v_cndmask_b32_e64 v87, v85, v99, s21
	v_cmpx_lt_u32_e64 v96, v11
	s_cbranch_execz .LBB691_609
; %bb.606:                              ;   in Loop: Header=BB691_554 Depth=1
	s_mov_b32 s26, 0
	s_mov_b32 s24, exec_lo
	v_cmpx_lt_u32_e64 v97, v10
	s_cbranch_execz .LBB691_608
; %bb.607:                              ;   in Loop: Header=BB691_554 Depth=1
	v_and_b32_e32 v98, 0xff, v86
	v_and_b32_e32 v99, 0xff, v87
	v_mul_lo_u16 v98, 0xcd, v98
	v_mul_lo_u16 v99, 0xcd, v99
	v_lshrrev_b16 v98, 11, v98
	v_lshrrev_b16 v99, 11, v99
	v_cmp_ge_u16_e64 s6, v98, v99
	s_and_b32 s26, s6, exec_lo
.LBB691_608:                            ;   in Loop: Header=BB691_554 Depth=1
	s_or_b32 exec_lo, exec_lo, s24
	s_orn2_b32 s24, s26, exec_lo
.LBB691_609:                            ;   in Loop: Header=BB691_554 Depth=1
	s_or_b32 exec_lo, exec_lo, s25
	v_cndmask_b32_e64 v98, v96, v97, s24
	v_cndmask_b32_e64 v99, v11, v10, s24
	s_mov_b32 s25, exec_lo
	v_add_nc_u32_e32 v100, 1, v98
	v_add_nc_u32_e32 v98, -1, v99
	v_cndmask_b32_e64 v99, v97, v100, s24
	v_min_u32_e32 v98, v100, v98
	ds_read_u8 v101, v98
	v_cndmask_b32_e64 v98, v100, v96, s24
	s_waitcnt lgkmcnt(0)
	v_cndmask_b32_e64 v96, v101, v86, s24
	v_cndmask_b32_e64 v97, v87, v101, s24
	v_cmpx_lt_u32_e64 v98, v11
	s_cbranch_execz .LBB691_613
; %bb.610:                              ;   in Loop: Header=BB691_554 Depth=1
	s_mov_b32 s26, 0
	s_mov_b32 s23, exec_lo
	v_cmpx_lt_u32_e64 v99, v10
	s_cbranch_execz .LBB691_612
; %bb.611:                              ;   in Loop: Header=BB691_554 Depth=1
	v_and_b32_e32 v100, 0xff, v96
	v_and_b32_e32 v101, 0xff, v97
	v_mul_lo_u16 v100, 0xcd, v100
	v_mul_lo_u16 v101, 0xcd, v101
	v_lshrrev_b16 v100, 11, v100
	v_lshrrev_b16 v101, 11, v101
	v_cmp_ge_u16_e64 s6, v100, v101
	s_and_b32 s26, s6, exec_lo
.LBB691_612:                            ;   in Loop: Header=BB691_554 Depth=1
	s_or_b32 exec_lo, exec_lo, s23
	s_orn2_b32 s23, s26, exec_lo
.LBB691_613:                            ;   in Loop: Header=BB691_554 Depth=1
	s_or_b32 exec_lo, exec_lo, s25
	v_cndmask_b32_e64 v100, v98, v99, s23
	v_cndmask_b32_e64 v101, v11, v10, s23
	s_mov_b32 s25, -1
	s_mov_b32 s26, -1
	s_mov_b32 s27, exec_lo
	v_add_nc_u32_e32 v102, 1, v100
	v_add_nc_u32_e32 v100, -1, v101
	v_cndmask_b32_e64 v101, v99, v102, s23
	v_min_u32_e32 v100, v102, v100
	ds_read_u8 v103, v100
	v_cndmask_b32_e64 v100, v102, v98, s23
	s_waitcnt lgkmcnt(0)
	v_cndmask_b32_e64 v98, v103, v96, s23
	v_cndmask_b32_e64 v99, v97, v103, s23
	v_cmpx_lt_u32_e64 v100, v11
	s_cbranch_execz .LBB691_617
; %bb.614:                              ;   in Loop: Header=BB691_554 Depth=1
	s_mov_b32 s28, 0
	s_mov_b32 s26, exec_lo
	v_cmpx_lt_u32_e64 v101, v10
	s_cbranch_execz .LBB691_616
; %bb.615:                              ;   in Loop: Header=BB691_554 Depth=1
	v_and_b32_e32 v102, 0xff, v98
	v_and_b32_e32 v103, 0xff, v99
	v_mul_lo_u16 v102, 0xcd, v102
	v_mul_lo_u16 v103, 0xcd, v103
	v_lshrrev_b16 v102, 11, v102
	v_lshrrev_b16 v103, 11, v103
	v_cmp_ge_u16_e64 s6, v102, v103
	s_and_b32 s28, s6, exec_lo
.LBB691_616:                            ;   in Loop: Header=BB691_554 Depth=1
	s_or_b32 exec_lo, exec_lo, s26
	s_orn2_b32 s26, s28, exec_lo
.LBB691_617:                            ;   in Loop: Header=BB691_554 Depth=1
	s_or_b32 exec_lo, exec_lo, s27
	v_cndmask_b32_e64 v102, v100, v101, s26
	v_cndmask_b32_e64 v103, v11, v10, s26
	s_mov_b32 s27, exec_lo
	v_add_nc_u32_e32 v112, 1, v102
	v_add_nc_u32_e32 v102, -1, v103
	v_cndmask_b32_e64 v103, v101, v112, s26
	v_min_u32_e32 v102, v112, v102
	ds_read_u8 v113, v102
	v_cndmask_b32_e64 v102, v112, v100, s26
	s_waitcnt lgkmcnt(0)
	v_cndmask_b32_e64 v100, v113, v98, s26
	v_cndmask_b32_e64 v101, v99, v113, s26
	v_cmpx_lt_u32_e64 v102, v11
	s_cbranch_execz .LBB691_621
; %bb.618:                              ;   in Loop: Header=BB691_554 Depth=1
	s_mov_b32 s28, 0
	s_mov_b32 s25, exec_lo
	v_cmpx_lt_u32_e64 v103, v10
	s_cbranch_execz .LBB691_620
; %bb.619:                              ;   in Loop: Header=BB691_554 Depth=1
	v_and_b32_e32 v112, 0xff, v100
	v_and_b32_e32 v113, 0xff, v101
	v_mul_lo_u16 v112, 0xcd, v112
	v_mul_lo_u16 v113, 0xcd, v113
	v_lshrrev_b16 v112, 11, v112
	v_lshrrev_b16 v113, 11, v113
	v_cmp_ge_u16_e64 s6, v112, v113
	s_and_b32 s28, s6, exec_lo
.LBB691_620:                            ;   in Loop: Header=BB691_554 Depth=1
	s_or_b32 exec_lo, exec_lo, s25
	s_orn2_b32 s25, s28, exec_lo
.LBB691_621:                            ;   in Loop: Header=BB691_554 Depth=1
	s_or_b32 exec_lo, exec_lo, s27
	v_cndmask_b32_e64 v112, v102, v103, s25
	v_cndmask_b32_e64 v113, v11, v10, s25
	s_mov_b32 s27, -1
	s_mov_b32 s28, -1
	s_mov_b32 s29, exec_lo
	v_add_nc_u32_e32 v114, 1, v112
	v_add_nc_u32_e32 v112, -1, v113
	v_cndmask_b32_e64 v113, v103, v114, s25
	v_min_u32_e32 v112, v114, v112
	ds_read_u8 v115, v112
	v_cndmask_b32_e64 v112, v114, v102, s25
	s_waitcnt lgkmcnt(0)
	v_cndmask_b32_e64 v102, v115, v100, s25
	v_cndmask_b32_e64 v103, v101, v115, s25
	v_cmpx_lt_u32_e64 v112, v11
	s_cbranch_execz .LBB691_625
; %bb.622:                              ;   in Loop: Header=BB691_554 Depth=1
	s_mov_b32 s40, 0
	s_mov_b32 s28, exec_lo
	v_cmpx_lt_u32_e64 v113, v10
	s_cbranch_execz .LBB691_624
; %bb.623:                              ;   in Loop: Header=BB691_554 Depth=1
	v_and_b32_e32 v114, 0xff, v102
	v_and_b32_e32 v115, 0xff, v103
	v_mul_lo_u16 v114, 0xcd, v114
	v_mul_lo_u16 v115, 0xcd, v115
	v_lshrrev_b16 v114, 11, v114
	v_lshrrev_b16 v115, 11, v115
	v_cmp_ge_u16_e64 s6, v114, v115
	s_and_b32 s40, s6, exec_lo
.LBB691_624:                            ;   in Loop: Header=BB691_554 Depth=1
	s_or_b32 exec_lo, exec_lo, s28
	s_orn2_b32 s28, s40, exec_lo
.LBB691_625:                            ;   in Loop: Header=BB691_554 Depth=1
	s_or_b32 exec_lo, exec_lo, s29
	v_cndmask_b32_e64 v114, v112, v113, s28
	v_cndmask_b32_e64 v115, v11, v10, s28
	s_mov_b32 s29, exec_lo
	v_add_nc_u32_e32 v116, 1, v114
	v_add_nc_u32_e32 v114, -1, v115
	v_cndmask_b32_e64 v115, v113, v116, s28
	v_min_u32_e32 v114, v116, v114
	ds_read_u8 v117, v114
	v_cndmask_b32_e64 v114, v116, v112, s28
	s_waitcnt lgkmcnt(0)
	v_cndmask_b32_e64 v112, v117, v102, s28
	v_cndmask_b32_e64 v113, v103, v117, s28
	v_cmpx_lt_u32_e64 v114, v11
	s_cbranch_execz .LBB691_629
; %bb.626:                              ;   in Loop: Header=BB691_554 Depth=1
	s_mov_b32 s40, 0
	s_mov_b32 s27, exec_lo
	v_cmpx_lt_u32_e64 v115, v10
	s_cbranch_execz .LBB691_628
; %bb.627:                              ;   in Loop: Header=BB691_554 Depth=1
	v_and_b32_e32 v116, 0xff, v112
	v_and_b32_e32 v117, 0xff, v113
	v_mul_lo_u16 v116, 0xcd, v116
	v_mul_lo_u16 v117, 0xcd, v117
	v_lshrrev_b16 v116, 11, v116
	v_lshrrev_b16 v117, 11, v117
	v_cmp_ge_u16_e64 s6, v116, v117
	s_and_b32 s40, s6, exec_lo
.LBB691_628:                            ;   in Loop: Header=BB691_554 Depth=1
	s_or_b32 exec_lo, exec_lo, s27
	s_orn2_b32 s27, s40, exec_lo
.LBB691_629:                            ;   in Loop: Header=BB691_554 Depth=1
	s_or_b32 exec_lo, exec_lo, s29
	v_cndmask_b32_e64 v116, v114, v115, s27
	v_cndmask_b32_e64 v117, v11, v10, s27
	s_mov_b32 s29, -1
	s_mov_b32 s40, -1
	s_mov_b32 s41, exec_lo
	v_add_nc_u32_e32 v118, 1, v116
	v_add_nc_u32_e32 v116, -1, v117
	v_cndmask_b32_e64 v117, v115, v118, s27
	v_min_u32_e32 v116, v118, v116
	ds_read_u8 v119, v116
	v_cndmask_b32_e64 v116, v118, v114, s27
	s_waitcnt lgkmcnt(0)
	v_cndmask_b32_e64 v114, v119, v112, s27
	v_cndmask_b32_e64 v115, v113, v119, s27
	v_cmpx_lt_u32_e64 v116, v11
	s_cbranch_execz .LBB691_633
; %bb.630:                              ;   in Loop: Header=BB691_554 Depth=1
	s_mov_b32 s42, 0
	s_mov_b32 s40, exec_lo
	v_cmpx_lt_u32_e64 v117, v10
	s_cbranch_execz .LBB691_632
; %bb.631:                              ;   in Loop: Header=BB691_554 Depth=1
	v_and_b32_e32 v118, 0xff, v114
	v_and_b32_e32 v119, 0xff, v115
	v_mul_lo_u16 v118, 0xcd, v118
	v_mul_lo_u16 v119, 0xcd, v119
	v_lshrrev_b16 v118, 11, v118
	v_lshrrev_b16 v119, 11, v119
	v_cmp_ge_u16_e64 s6, v118, v119
	s_and_b32 s42, s6, exec_lo
.LBB691_632:                            ;   in Loop: Header=BB691_554 Depth=1
	s_or_b32 exec_lo, exec_lo, s40
	s_orn2_b32 s40, s42, exec_lo
.LBB691_633:                            ;   in Loop: Header=BB691_554 Depth=1
	s_or_b32 exec_lo, exec_lo, s41
	v_cndmask_b32_e64 v118, v116, v117, s40
	v_cndmask_b32_e64 v119, v11, v10, s40
	s_mov_b32 s41, exec_lo
	v_add_nc_u32_e32 v128, 1, v118
	v_add_nc_u32_e32 v118, -1, v119
	v_cndmask_b32_e64 v119, v117, v128, s40
	v_min_u32_e32 v118, v128, v118
	ds_read_u8 v129, v118
	v_cndmask_b32_e64 v118, v128, v116, s40
	s_waitcnt lgkmcnt(0)
	v_cndmask_b32_e64 v116, v129, v114, s40
	v_cndmask_b32_e64 v117, v115, v129, s40
	v_cmpx_lt_u32_e64 v118, v11
	s_cbranch_execz .LBB691_637
; %bb.634:                              ;   in Loop: Header=BB691_554 Depth=1
	s_mov_b32 s42, 0
	s_mov_b32 s29, exec_lo
	v_cmpx_lt_u32_e64 v119, v10
	s_cbranch_execz .LBB691_636
; %bb.635:                              ;   in Loop: Header=BB691_554 Depth=1
	v_and_b32_e32 v128, 0xff, v116
	v_and_b32_e32 v129, 0xff, v117
	v_mul_lo_u16 v128, 0xcd, v128
	v_mul_lo_u16 v129, 0xcd, v129
	v_lshrrev_b16 v128, 11, v128
	v_lshrrev_b16 v129, 11, v129
	v_cmp_ge_u16_e64 s6, v128, v129
	s_and_b32 s42, s6, exec_lo
.LBB691_636:                            ;   in Loop: Header=BB691_554 Depth=1
	s_or_b32 exec_lo, exec_lo, s29
	s_orn2_b32 s29, s42, exec_lo
.LBB691_637:                            ;   in Loop: Header=BB691_554 Depth=1
	s_or_b32 exec_lo, exec_lo, s41
	v_cndmask_b32_e64 v128, v118, v119, s29
	v_cndmask_b32_e64 v129, v11, v10, s29
	s_mov_b32 s41, -1
	s_mov_b32 s42, -1
	s_mov_b32 s43, exec_lo
	v_add_nc_u32_e32 v130, 1, v128
	v_add_nc_u32_e32 v128, -1, v129
	v_cndmask_b32_e64 v129, v119, v130, s29
	v_min_u32_e32 v128, v130, v128
	ds_read_u8 v131, v128
	v_cndmask_b32_e64 v128, v130, v118, s29
	s_waitcnt lgkmcnt(0)
	v_cndmask_b32_e64 v118, v131, v116, s29
	v_cndmask_b32_e64 v119, v117, v131, s29
	v_cmpx_lt_u32_e64 v128, v11
	s_cbranch_execz .LBB691_641
; %bb.638:                              ;   in Loop: Header=BB691_554 Depth=1
	s_mov_b32 s44, 0
	s_mov_b32 s42, exec_lo
	v_cmpx_lt_u32_e64 v129, v10
	s_cbranch_execz .LBB691_640
; %bb.639:                              ;   in Loop: Header=BB691_554 Depth=1
	v_and_b32_e32 v130, 0xff, v118
	v_and_b32_e32 v131, 0xff, v119
	v_mul_lo_u16 v130, 0xcd, v130
	v_mul_lo_u16 v131, 0xcd, v131
	v_lshrrev_b16 v130, 11, v130
	v_lshrrev_b16 v131, 11, v131
	v_cmp_ge_u16_e64 s6, v130, v131
	s_and_b32 s44, s6, exec_lo
.LBB691_640:                            ;   in Loop: Header=BB691_554 Depth=1
	s_or_b32 exec_lo, exec_lo, s42
	s_orn2_b32 s42, s44, exec_lo
.LBB691_641:                            ;   in Loop: Header=BB691_554 Depth=1
	s_or_b32 exec_lo, exec_lo, s43
	v_cndmask_b32_e64 v130, v128, v129, s42
	v_cndmask_b32_e64 v131, v11, v10, s42
	s_mov_b32 s43, exec_lo
	v_add_nc_u32_e32 v132, 1, v130
	v_add_nc_u32_e32 v130, -1, v131
	v_cndmask_b32_e64 v131, v129, v132, s42
	v_min_u32_e32 v130, v132, v130
	ds_read_u8 v133, v130
	v_cndmask_b32_e64 v130, v132, v128, s42
	s_waitcnt lgkmcnt(0)
	v_cndmask_b32_e64 v128, v133, v118, s42
	v_cndmask_b32_e64 v129, v119, v133, s42
	v_cmpx_lt_u32_e64 v130, v11
	s_cbranch_execz .LBB691_645
; %bb.642:                              ;   in Loop: Header=BB691_554 Depth=1
	s_mov_b32 s44, 0
	s_mov_b32 s41, exec_lo
	v_cmpx_lt_u32_e64 v131, v10
	s_cbranch_execz .LBB691_644
; %bb.643:                              ;   in Loop: Header=BB691_554 Depth=1
	v_and_b32_e32 v132, 0xff, v128
	v_and_b32_e32 v133, 0xff, v129
	v_mul_lo_u16 v132, 0xcd, v132
	v_mul_lo_u16 v133, 0xcd, v133
	v_lshrrev_b16 v132, 11, v132
	v_lshrrev_b16 v133, 11, v133
	v_cmp_ge_u16_e64 s6, v132, v133
	s_and_b32 s44, s6, exec_lo
.LBB691_644:                            ;   in Loop: Header=BB691_554 Depth=1
	s_or_b32 exec_lo, exec_lo, s41
	s_orn2_b32 s41, s44, exec_lo
.LBB691_645:                            ;   in Loop: Header=BB691_554 Depth=1
	s_or_b32 exec_lo, exec_lo, s43
	v_cndmask_b32_e64 v132, v130, v131, s41
	v_cndmask_b32_e64 v133, v11, v10, s41
	s_mov_b32 s43, -1
	s_mov_b32 s44, -1
	s_mov_b32 s45, exec_lo
	v_add_nc_u32_e32 v134, 1, v132
	v_add_nc_u32_e32 v132, -1, v133
	v_cndmask_b32_e64 v133, v131, v134, s41
	v_min_u32_e32 v132, v134, v132
	ds_read_u8 v135, v132
	v_cndmask_b32_e64 v132, v134, v130, s41
	s_waitcnt lgkmcnt(0)
	v_cndmask_b32_e64 v130, v135, v128, s41
	v_cndmask_b32_e64 v131, v129, v135, s41
	v_cmpx_lt_u32_e64 v132, v11
	s_cbranch_execz .LBB691_649
; %bb.646:                              ;   in Loop: Header=BB691_554 Depth=1
	s_mov_b32 s46, 0
	s_mov_b32 s44, exec_lo
	v_cmpx_lt_u32_e64 v133, v10
	s_cbranch_execz .LBB691_648
; %bb.647:                              ;   in Loop: Header=BB691_554 Depth=1
	v_and_b32_e32 v134, 0xff, v130
	v_and_b32_e32 v135, 0xff, v131
	v_mul_lo_u16 v134, 0xcd, v134
	v_mul_lo_u16 v135, 0xcd, v135
	v_lshrrev_b16 v134, 11, v134
	v_lshrrev_b16 v135, 11, v135
	v_cmp_ge_u16_e64 s6, v134, v135
	s_and_b32 s46, s6, exec_lo
.LBB691_648:                            ;   in Loop: Header=BB691_554 Depth=1
	s_or_b32 exec_lo, exec_lo, s44
	s_orn2_b32 s44, s46, exec_lo
.LBB691_649:                            ;   in Loop: Header=BB691_554 Depth=1
	s_or_b32 exec_lo, exec_lo, s45
	v_cndmask_b32_e64 v134, v132, v133, s44
	v_cndmask_b32_e64 v135, v11, v10, s44
	s_mov_b32 s45, exec_lo
	v_add_nc_u32_e32 v144, 1, v134
	v_add_nc_u32_e32 v134, -1, v135
	v_cndmask_b32_e64 v135, v133, v144, s44
	v_min_u32_e32 v134, v144, v134
	ds_read_u8 v145, v134
	v_cndmask_b32_e64 v134, v144, v132, s44
	s_waitcnt lgkmcnt(0)
	v_cndmask_b32_e64 v132, v145, v130, s44
	v_cndmask_b32_e64 v133, v131, v145, s44
	v_cmpx_lt_u32_e64 v134, v11
	s_cbranch_execz .LBB691_653
; %bb.650:                              ;   in Loop: Header=BB691_554 Depth=1
	s_mov_b32 s46, 0
	s_mov_b32 s43, exec_lo
	v_cmpx_lt_u32_e64 v135, v10
	s_cbranch_execz .LBB691_652
; %bb.651:                              ;   in Loop: Header=BB691_554 Depth=1
	v_and_b32_e32 v144, 0xff, v132
	v_and_b32_e32 v145, 0xff, v133
	v_mul_lo_u16 v144, 0xcd, v144
	v_mul_lo_u16 v145, 0xcd, v145
	v_lshrrev_b16 v144, 11, v144
	v_lshrrev_b16 v145, 11, v145
	v_cmp_ge_u16_e64 s6, v144, v145
	s_and_b32 s46, s6, exec_lo
.LBB691_652:                            ;   in Loop: Header=BB691_554 Depth=1
	s_or_b32 exec_lo, exec_lo, s43
	s_orn2_b32 s43, s46, exec_lo
.LBB691_653:                            ;   in Loop: Header=BB691_554 Depth=1
	s_or_b32 exec_lo, exec_lo, s45
	v_cndmask_b32_e64 v144, v134, v135, s43
	v_cndmask_b32_e64 v145, v11, v10, s43
	s_mov_b32 s45, -1
	s_mov_b32 s46, -1
	s_mov_b32 s47, exec_lo
	v_add_nc_u32_e32 v146, 1, v144
	v_add_nc_u32_e32 v144, -1, v145
	v_cndmask_b32_e64 v145, v135, v146, s43
	v_min_u32_e32 v144, v146, v144
	ds_read_u8 v147, v144
	v_cndmask_b32_e64 v144, v146, v134, s43
	s_waitcnt lgkmcnt(0)
	v_cndmask_b32_e64 v134, v147, v132, s43
	v_cndmask_b32_e64 v135, v133, v147, s43
	v_cmpx_lt_u32_e64 v144, v11
	s_cbranch_execz .LBB691_657
; %bb.654:                              ;   in Loop: Header=BB691_554 Depth=1
	s_mov_b32 s56, 0
	s_mov_b32 s46, exec_lo
	v_cmpx_lt_u32_e64 v145, v10
	s_cbranch_execz .LBB691_656
; %bb.655:                              ;   in Loop: Header=BB691_554 Depth=1
	v_and_b32_e32 v146, 0xff, v134
	v_and_b32_e32 v147, 0xff, v135
	v_mul_lo_u16 v146, 0xcd, v146
	v_mul_lo_u16 v147, 0xcd, v147
	v_lshrrev_b16 v146, 11, v146
	v_lshrrev_b16 v147, 11, v147
	v_cmp_ge_u16_e64 s6, v146, v147
	s_and_b32 s56, s6, exec_lo
.LBB691_656:                            ;   in Loop: Header=BB691_554 Depth=1
	s_or_b32 exec_lo, exec_lo, s46
	s_orn2_b32 s46, s56, exec_lo
.LBB691_657:                            ;   in Loop: Header=BB691_554 Depth=1
	s_or_b32 exec_lo, exec_lo, s47
	v_cndmask_b32_e64 v146, v144, v145, s46
	v_cndmask_b32_e64 v147, v11, v10, s46
	s_mov_b32 s47, exec_lo
	v_add_nc_u32_e32 v148, 1, v146
	v_add_nc_u32_e32 v146, -1, v147
	v_cndmask_b32_e64 v147, v145, v148, s46
	v_min_u32_e32 v146, v148, v146
	ds_read_u8 v149, v146
	v_cndmask_b32_e64 v146, v148, v144, s46
	s_waitcnt lgkmcnt(0)
	v_cndmask_b32_e64 v144, v149, v134, s46
	v_cndmask_b32_e64 v145, v135, v149, s46
	v_cmpx_lt_u32_e64 v146, v11
	s_cbranch_execz .LBB691_661
; %bb.658:                              ;   in Loop: Header=BB691_554 Depth=1
	s_mov_b32 s56, 0
	s_mov_b32 s45, exec_lo
	v_cmpx_lt_u32_e64 v147, v10
	s_cbranch_execz .LBB691_660
; %bb.659:                              ;   in Loop: Header=BB691_554 Depth=1
	v_and_b32_e32 v148, 0xff, v144
	v_and_b32_e32 v149, 0xff, v145
	v_mul_lo_u16 v148, 0xcd, v148
	v_mul_lo_u16 v149, 0xcd, v149
	v_lshrrev_b16 v148, 11, v148
	v_lshrrev_b16 v149, 11, v149
	v_cmp_ge_u16_e64 s6, v148, v149
	s_and_b32 s56, s6, exec_lo
.LBB691_660:                            ;   in Loop: Header=BB691_554 Depth=1
	s_or_b32 exec_lo, exec_lo, s45
	s_orn2_b32 s45, s56, exec_lo
.LBB691_661:                            ;   in Loop: Header=BB691_554 Depth=1
	s_or_b32 exec_lo, exec_lo, s47
	v_cndmask_b32_e64 v148, v146, v147, s45
	v_cndmask_b32_e64 v149, v11, v10, s45
	s_mov_b32 s47, -1
	s_mov_b32 s56, -1
	s_mov_b32 s57, exec_lo
	v_add_nc_u32_e32 v150, 1, v148
	v_add_nc_u32_e32 v148, -1, v149
	v_cndmask_b32_e64 v149, v147, v150, s45
	v_min_u32_e32 v148, v150, v148
	ds_read_u8 v151, v148
	v_cndmask_b32_e64 v148, v150, v146, s45
	s_waitcnt lgkmcnt(0)
	v_cndmask_b32_e64 v146, v151, v144, s45
	v_cndmask_b32_e64 v147, v145, v151, s45
	v_cmpx_lt_u32_e64 v148, v11
	s_cbranch_execz .LBB691_665
; %bb.662:                              ;   in Loop: Header=BB691_554 Depth=1
	s_mov_b32 s58, 0
	s_mov_b32 s56, exec_lo
	v_cmpx_lt_u32_e64 v149, v10
	s_cbranch_execz .LBB691_664
; %bb.663:                              ;   in Loop: Header=BB691_554 Depth=1
	v_and_b32_e32 v150, 0xff, v146
	v_and_b32_e32 v151, 0xff, v147
	v_mul_lo_u16 v150, 0xcd, v150
	v_mul_lo_u16 v151, 0xcd, v151
	v_lshrrev_b16 v150, 11, v150
	v_lshrrev_b16 v151, 11, v151
	v_cmp_ge_u16_e64 s6, v150, v151
	s_and_b32 s58, s6, exec_lo
.LBB691_664:                            ;   in Loop: Header=BB691_554 Depth=1
	s_or_b32 exec_lo, exec_lo, s56
	s_orn2_b32 s56, s58, exec_lo
.LBB691_665:                            ;   in Loop: Header=BB691_554 Depth=1
	s_or_b32 exec_lo, exec_lo, s57
	v_cndmask_b32_e64 v150, v148, v149, s56
	v_cndmask_b32_e64 v151, v11, v10, s56
	s_mov_b32 s57, exec_lo
	v_add_nc_u32_e32 v160, 1, v150
	v_add_nc_u32_e32 v150, -1, v151
	v_cndmask_b32_e64 v151, v149, v160, s56
	v_min_u32_e32 v150, v160, v150
	ds_read_u8 v161, v150
	v_cndmask_b32_e64 v150, v160, v148, s56
	s_waitcnt lgkmcnt(0)
	v_cndmask_b32_e64 v148, v161, v146, s56
	v_cndmask_b32_e64 v149, v147, v161, s56
	v_cmpx_lt_u32_e64 v150, v11
	s_cbranch_execz .LBB691_669
; %bb.666:                              ;   in Loop: Header=BB691_554 Depth=1
	s_mov_b32 s58, 0
	s_mov_b32 s47, exec_lo
	v_cmpx_lt_u32_e64 v151, v10
	s_cbranch_execz .LBB691_668
; %bb.667:                              ;   in Loop: Header=BB691_554 Depth=1
	v_and_b32_e32 v160, 0xff, v148
	v_and_b32_e32 v161, 0xff, v149
	v_mul_lo_u16 v160, 0xcd, v160
	v_mul_lo_u16 v161, 0xcd, v161
	v_lshrrev_b16 v160, 11, v160
	v_lshrrev_b16 v161, 11, v161
	v_cmp_ge_u16_e64 s6, v160, v161
	s_and_b32 s58, s6, exec_lo
.LBB691_668:                            ;   in Loop: Header=BB691_554 Depth=1
	s_or_b32 exec_lo, exec_lo, s47
	s_orn2_b32 s47, s58, exec_lo
.LBB691_669:                            ;   in Loop: Header=BB691_554 Depth=1
	s_or_b32 exec_lo, exec_lo, s57
	v_cndmask_b32_e64 v160, v150, v151, s47
	v_cndmask_b32_e64 v161, v11, v10, s47
	s_mov_b32 s57, -1
	s_mov_b32 s58, -1
	s_mov_b32 s59, exec_lo
	v_add_nc_u32_e32 v162, 1, v160
	v_add_nc_u32_e32 v160, -1, v161
	v_cndmask_b32_e64 v161, v151, v162, s47
	v_min_u32_e32 v160, v162, v160
	ds_read_u8 v163, v160
	v_cndmask_b32_e64 v160, v162, v150, s47
	s_waitcnt lgkmcnt(0)
	v_cndmask_b32_e64 v150, v163, v148, s47
	v_cndmask_b32_e64 v151, v149, v163, s47
	v_cmpx_lt_u32_e64 v160, v11
	s_cbranch_execz .LBB691_673
; %bb.670:                              ;   in Loop: Header=BB691_554 Depth=1
	s_mov_b32 s60, 0
	s_mov_b32 s58, exec_lo
	v_cmpx_lt_u32_e64 v161, v10
	s_cbranch_execz .LBB691_672
; %bb.671:                              ;   in Loop: Header=BB691_554 Depth=1
	v_and_b32_e32 v162, 0xff, v150
	v_and_b32_e32 v163, 0xff, v151
	v_mul_lo_u16 v162, 0xcd, v162
	v_mul_lo_u16 v163, 0xcd, v163
	v_lshrrev_b16 v162, 11, v162
	v_lshrrev_b16 v163, 11, v163
	v_cmp_ge_u16_e64 s6, v162, v163
	s_and_b32 s60, s6, exec_lo
.LBB691_672:                            ;   in Loop: Header=BB691_554 Depth=1
	s_or_b32 exec_lo, exec_lo, s58
	s_orn2_b32 s58, s60, exec_lo
.LBB691_673:                            ;   in Loop: Header=BB691_554 Depth=1
	s_or_b32 exec_lo, exec_lo, s59
	v_cndmask_b32_e64 v162, v160, v161, s58
	v_cndmask_b32_e64 v163, v11, v10, s58
	s_mov_b32 s59, exec_lo
	v_add_nc_u32_e32 v164, 1, v162
	v_add_nc_u32_e32 v162, -1, v163
	v_cndmask_b32_e64 v163, v161, v164, s58
	v_min_u32_e32 v162, v164, v162
	ds_read_u8 v165, v162
	v_cndmask_b32_e64 v162, v164, v160, s58
	s_waitcnt lgkmcnt(0)
	v_cndmask_b32_e64 v160, v165, v150, s58
	v_cndmask_b32_e64 v161, v151, v165, s58
	v_cmpx_lt_u32_e64 v162, v11
	s_cbranch_execz .LBB691_677
; %bb.674:                              ;   in Loop: Header=BB691_554 Depth=1
	s_mov_b32 s60, 0
	s_mov_b32 s57, exec_lo
	v_cmpx_lt_u32_e64 v163, v10
	s_cbranch_execz .LBB691_676
; %bb.675:                              ;   in Loop: Header=BB691_554 Depth=1
	v_and_b32_e32 v164, 0xff, v160
	v_and_b32_e32 v165, 0xff, v161
	v_mul_lo_u16 v164, 0xcd, v164
	v_mul_lo_u16 v165, 0xcd, v165
	v_lshrrev_b16 v164, 11, v164
	v_lshrrev_b16 v165, 11, v165
	v_cmp_ge_u16_e64 s6, v164, v165
	s_and_b32 s60, s6, exec_lo
.LBB691_676:                            ;   in Loop: Header=BB691_554 Depth=1
	s_or_b32 exec_lo, exec_lo, s57
	s_orn2_b32 s57, s60, exec_lo
.LBB691_677:                            ;   in Loop: Header=BB691_554 Depth=1
	s_or_b32 exec_lo, exec_lo, s59
	v_cndmask_b32_e64 v164, v162, v163, s57
	v_cndmask_b32_e64 v165, v11, v10, s57
	s_mov_b32 s59, -1
	s_mov_b32 s60, -1
	s_mov_b32 s61, exec_lo
	v_add_nc_u32_e32 v166, 1, v164
	v_add_nc_u32_e32 v164, -1, v165
	v_cndmask_b32_e64 v165, v163, v166, s57
	v_min_u32_e32 v164, v166, v164
	ds_read_u8 v167, v164
	v_cndmask_b32_e64 v164, v166, v162, s57
	s_waitcnt lgkmcnt(0)
	v_cndmask_b32_e64 v162, v167, v160, s57
	v_cndmask_b32_e64 v163, v161, v167, s57
	v_cmpx_lt_u32_e64 v164, v11
	s_cbranch_execz .LBB691_681
; %bb.678:                              ;   in Loop: Header=BB691_554 Depth=1
	s_mov_b32 s62, 0
	s_mov_b32 s60, exec_lo
	v_cmpx_lt_u32_e64 v165, v10
	s_cbranch_execz .LBB691_680
; %bb.679:                              ;   in Loop: Header=BB691_554 Depth=1
	v_and_b32_e32 v166, 0xff, v162
	v_and_b32_e32 v167, 0xff, v163
	v_mul_lo_u16 v166, 0xcd, v166
	v_mul_lo_u16 v167, 0xcd, v167
	v_lshrrev_b16 v166, 11, v166
	v_lshrrev_b16 v167, 11, v167
	v_cmp_ge_u16_e64 s6, v166, v167
	s_and_b32 s62, s6, exec_lo
.LBB691_680:                            ;   in Loop: Header=BB691_554 Depth=1
	s_or_b32 exec_lo, exec_lo, s60
	s_orn2_b32 s60, s62, exec_lo
.LBB691_681:                            ;   in Loop: Header=BB691_554 Depth=1
	s_or_b32 exec_lo, exec_lo, s61
	v_cndmask_b32_e64 v166, v164, v165, s60
	v_cndmask_b32_e64 v167, v11, v10, s60
	s_mov_b32 s61, exec_lo
	v_add_nc_u32_e32 v176, 1, v166
	v_add_nc_u32_e32 v166, -1, v167
	v_cndmask_b32_e64 v167, v165, v176, s60
	v_min_u32_e32 v166, v176, v166
	ds_read_u8 v177, v166
	v_cndmask_b32_e64 v166, v176, v164, s60
	s_waitcnt lgkmcnt(0)
	v_cndmask_b32_e64 v164, v177, v162, s60
	v_cndmask_b32_e64 v165, v163, v177, s60
	v_cmpx_lt_u32_e64 v166, v11
	s_cbranch_execz .LBB691_685
; %bb.682:                              ;   in Loop: Header=BB691_554 Depth=1
	s_mov_b32 s62, 0
	s_mov_b32 s59, exec_lo
	v_cmpx_lt_u32_e64 v167, v10
	s_cbranch_execz .LBB691_684
; %bb.683:                              ;   in Loop: Header=BB691_554 Depth=1
	v_and_b32_e32 v176, 0xff, v164
	v_and_b32_e32 v177, 0xff, v165
	v_mul_lo_u16 v176, 0xcd, v176
	v_mul_lo_u16 v177, 0xcd, v177
	v_lshrrev_b16 v176, 11, v176
	v_lshrrev_b16 v177, 11, v177
	v_cmp_ge_u16_e64 s6, v176, v177
	s_and_b32 s62, s6, exec_lo
.LBB691_684:                            ;   in Loop: Header=BB691_554 Depth=1
	s_or_b32 exec_lo, exec_lo, s59
	s_orn2_b32 s59, s62, exec_lo
.LBB691_685:                            ;   in Loop: Header=BB691_554 Depth=1
	s_or_b32 exec_lo, exec_lo, s61
	v_cndmask_b32_e64 v176, v166, v167, s59
	v_cndmask_b32_e64 v177, v11, v10, s59
	s_mov_b32 s61, exec_lo
	v_add_nc_u32_e32 v176, 1, v176
	v_add_nc_u32_e32 v177, -1, v177
	v_cndmask_b32_e64 v178, v176, v166, s59
	v_min_u32_e32 v177, v176, v177
	ds_read_u8 v177, v177
	s_waitcnt lgkmcnt(0)
	v_cndmask_b32_e64 v166, v165, v177, s59
	v_cmpx_lt_u32_e64 v178, v11
	s_cbranch_execz .LBB691_689
; %bb.686:                              ;   in Loop: Header=BB691_554 Depth=1
	v_cndmask_b32_e64 v167, v167, v176, s59
	v_cndmask_b32_e64 v11, v177, v164, s59
	s_mov_b32 s62, exec_lo
	v_cmpx_lt_u32_e64 v167, v10
	s_cbranch_execz .LBB691_688
; %bb.687:                              ;   in Loop: Header=BB691_554 Depth=1
	v_and_b32_e32 v10, 0xff, v11
	v_and_b32_e32 v167, 0xff, v166
	v_mul_lo_u16 v10, 0xcd, v10
	v_mul_lo_u16 v167, 0xcd, v167
	v_lshrrev_b16 v10, 11, v10
	v_lshrrev_b16 v167, 11, v167
	v_cmp_lt_u16_e64 s6, v10, v167
	v_cndmask_b32_e64 v11, v166, v11, s6
.LBB691_688:                            ;   in Loop: Header=BB691_554 Depth=1
	s_or_b32 exec_lo, exec_lo, s62
	v_mov_b32_e32 v166, v11
.LBB691_689:                            ;   in Loop: Header=BB691_554 Depth=1
	s_or_b32 exec_lo, exec_lo, s61
	v_cndmask_b32_sdwa v3, v2, v3, vcc_lo dst_sel:BYTE_1 dst_unused:UNUSED_PAD src0_sel:DWORD src1_sel:DWORD
	s_mov_b32 vcc_lo, s4
	v_cndmask_b32_e64 v6, v6, v7, s15
	v_cndmask_b32_sdwa v7, v8, v9, vcc_lo dst_sel:BYTE_1 dst_unused:UNUSED_PAD src0_sel:DWORD src1_sel:DWORD
	s_mov_b32 vcc_lo, s5
	v_cndmask_b32_e64 v8, v12, v13, s16
	v_cndmask_b32_sdwa v9, v14, v67, vcc_lo dst_sel:BYTE_1 dst_unused:UNUSED_PAD src0_sel:DWORD src1_sel:DWORD
	v_cndmask_b32_e64 v11, v68, v69, s17
	v_cndmask_b32_e64 v13, v80, v81, s18
	;; [unrolled: 1-line block ×14, first 2 shown]
	v_lshlrev_b16 v84, 8, v84
	v_lshlrev_b16 v86, 8, v86
	;; [unrolled: 1-line block ×4, first 2 shown]
	v_cndmask_b32_e64 v0, v98, v99, s26
	v_cndmask_b32_e64 v83, v146, v147, s56
	;; [unrolled: 1-line block ×3, first 2 shown]
	v_or_b32_sdwa v82, v82, v84 dst_sel:DWORD dst_unused:UNUSED_PAD src0_sel:BYTE_0 src1_sel:DWORD
	v_or_b32_sdwa v84, v85, v86 dst_sel:WORD_1 dst_unused:UNUSED_PAD src0_sel:BYTE_0 src1_sel:DWORD
	v_or_b32_sdwa v85, v1, v2 dst_sel:DWORD dst_unused:UNUSED_PAD src0_sel:BYTE_0 src1_sel:DWORD
	v_or_b32_sdwa v80, v80, v81 dst_sel:WORD_1 dst_unused:UNUSED_PAD src0_sel:BYTE_0 src1_sel:DWORD
	v_cndmask_b32_e64 v12, v70, v71, s20
	v_cndmask_b32_e64 v69, v96, v97, s23
	;; [unrolled: 1-line block ×4, first 2 shown]
	v_lshlrev_b16 v83, 8, v83
	v_cndmask_b32_e64 v96, v150, v151, s58
	v_cndmask_b32_e64 v98, v160, v161, s57
	v_lshlrev_b16 v86, 8, v0
	v_or_b32_sdwa v0, v85, v80 dst_sel:DWORD dst_unused:UNUSED_PAD src0_sel:WORD_0 src1_sel:DWORD
	v_lshlrev_b16 v14, 8, v14
	v_lshlrev_b16 v68, 8, v68
	;; [unrolled: 1-line block ×3, first 2 shown]
	v_cndmask_b32_e64 v70, v100, v101, s25
	v_cndmask_b32_e64 v97, v148, v149, s47
	v_or_b32_sdwa v83, v87, v83 dst_sel:DWORD dst_unused:UNUSED_PAD src0_sel:BYTE_0 src1_sel:DWORD
	v_lshlrev_b16 v87, 8, v96
	v_cndmask_b32_e64 v81, v164, v165, s59
	v_lshlrev_b16 v71, 8, v71
	v_lshlrev_b16 v12, 8, v12
	v_or_b32_sdwa v13, v13, v14 dst_sel:DWORD dst_unused:UNUSED_PAD src0_sel:BYTE_0 src1_sel:DWORD
	v_or_b32_sdwa v14, v67, v68 dst_sel:WORD_1 dst_unused:UNUSED_PAD src0_sel:BYTE_0 src1_sel:DWORD
	v_or_b32_sdwa v67, v98, v80 dst_sel:DWORD dst_unused:UNUSED_PAD src0_sel:BYTE_0 src1_sel:DWORD
	v_or_b32_sdwa v87, v97, v87 dst_sel:WORD_1 dst_unused:UNUSED_PAD src0_sel:BYTE_0 src1_sel:DWORD
	;; [unrolled: 2-line block ×5, first 2 shown]
	v_and_b32_e32 v10, 0xffff, v67
	v_perm_b32 v12, v81, v166, 0xc0c0004
	v_or_b32_sdwa v2, v83, v87 dst_sel:DWORD dst_unused:UNUSED_PAD src0_sel:WORD_0 src1_sel:DWORD
	v_or_b32_sdwa v1, v82, v84 dst_sel:DWORD dst_unused:UNUSED_PAD src0_sel:WORD_0 src1_sel:DWORD
	;; [unrolled: 1-line block ×6, first 2 shown]
	v_lshl_or_b32 v3, v12, 16, v10
.LBB691_690:                            ;   in Loop: Header=BB691_554 Depth=1
	s_or_b32 exec_lo, exec_lo, s11
	s_cmpk_lt_u32 s7, 0x1000
	s_barrier
	buffer_gl0_inv
	s_cbranch_scc0 .LBB691_692
; %bb.691:                              ;   in Loop: Header=BB691_554 Depth=1
	s_mov_b32 s7, s10
	s_branch .LBB691_554
.LBB691_692:
	s_barrier
	buffer_gl0_inv
	ds_write2_b32 v19, v6, v7 offset1:1
	ds_write2_b32 v19, v8, v9 offset0:2 offset1:3
	ds_write2_b32 v19, v0, v1 offset0:4 offset1:5
	;; [unrolled: 1-line block ×3, first 2 shown]
	s_waitcnt lgkmcnt(0)
	s_barrier
	buffer_gl0_inv
	ds_read_u8 v2, v16
	ds_read_u8 v3, v28 offset:256
	ds_read_u8 v7, v29 offset:512
	;; [unrolled: 1-line block ×31, first 2 shown]
	v_add_co_u32 v0, vcc_lo, v4, v17
	v_add_co_ci_u32_e64 v1, null, 0, v5, vcc_lo
	s_waitcnt lgkmcnt(31)
	flat_store_byte v[0:1], v2
	s_waitcnt lgkmcnt(31)
	flat_store_byte v[0:1], v3 offset:256
	s_waitcnt lgkmcnt(31)
	flat_store_byte v[0:1], v7 offset:512
	;; [unrolled: 2-line block ×3, first 2 shown]
	v_add_co_u32 v2, vcc_lo, 0x800, v0
	v_add_co_ci_u32_e64 v3, null, 0, v1, vcc_lo
	v_add_co_u32 v7, vcc_lo, 0x1000, v0
	v_add_co_ci_u32_e64 v8, null, 0, v1, vcc_lo
	s_waitcnt lgkmcnt(31)
	flat_store_byte v[0:1], v9 offset:1024
	s_waitcnt lgkmcnt(31)
	flat_store_byte v[0:1], v10 offset:1280
	;; [unrolled: 2-line block ×4, first 2 shown]
	s_waitcnt lgkmcnt(31)
	flat_store_byte v[2:3], v13
	s_waitcnt lgkmcnt(31)
	flat_store_byte v[2:3], v14 offset:256
	s_waitcnt lgkmcnt(31)
	flat_store_byte v[2:3], v16 offset:512
	;; [unrolled: 2-line block ×3, first 2 shown]
	v_add_co_u32 v0, vcc_lo, 0x1800, v0
	s_mov_b32 s37, exec_lo
	v_add_co_ci_u32_e64 v1, null, 0, v1, vcc_lo
	s_waitcnt lgkmcnt(31)
	flat_store_byte v[2:3], v19 offset:1024
	s_waitcnt lgkmcnt(31)
	flat_store_byte v[2:3], v28 offset:1280
	;; [unrolled: 2-line block ×4, first 2 shown]
	s_waitcnt lgkmcnt(31)
	flat_store_byte v[7:8], v31
	s_waitcnt lgkmcnt(31)
	flat_store_byte v[7:8], v32 offset:256
	s_waitcnt lgkmcnt(31)
	flat_store_byte v[7:8], v33 offset:512
	;; [unrolled: 2-line block ×7, first 2 shown]
	s_waitcnt lgkmcnt(31)
	flat_store_byte v[0:1], v20
	s_waitcnt lgkmcnt(31)
	flat_store_byte v[0:1], v21 offset:256
	s_waitcnt lgkmcnt(31)
	flat_store_byte v[0:1], v22 offset:512
	;; [unrolled: 2-line block ×6, first 2 shown]
                                        ; implicit-def: $vgpr0
                                        ; implicit-def: $vgpr2
                                        ; implicit-def: $vgpr3
                                        ; implicit-def: $vgpr1
                                        ; implicit-def: $vgpr14
                                        ; implicit-def: $vgpr24
                                        ; implicit-def: $vgpr25
                                        ; implicit-def: $vgpr21
                                        ; implicit-def: $vgpr20
                                        ; implicit-def: $vgpr19
                                        ; implicit-def: $vgpr23
                                        ; implicit-def: $vgpr22
                                        ; implicit-def: $vgpr29
                                        ; implicit-def: $vgpr28
                                        ; implicit-def: $vgpr27
                                        ; implicit-def: $vgpr26
                                        ; implicit-def: $vgpr33
                                        ; implicit-def: $vgpr32
                                        ; implicit-def: $vgpr31
                                        ; implicit-def: $vgpr30
                                        ; implicit-def: $vgpr37
                                        ; implicit-def: $vgpr36
                                        ; implicit-def: $vgpr35
                                        ; implicit-def: $vgpr34
                                        ; implicit-def: $vgpr49
                                        ; implicit-def: $vgpr48
                                        ; implicit-def: $vgpr39
                                        ; implicit-def: $vgpr38
                                        ; implicit-def: $vgpr66
                                        ; implicit-def: $vgpr53
                                        ; implicit-def: $vgpr51
                                        ; implicit-def: $vgpr50
                                        ; implicit-def: $vgpr52
                                        ; implicit-def: $vgpr54
                                        ; implicit-def: $vgpr65
                                        ; implicit-def: $vgpr64
                                        ; implicit-def: $vgpr55
                                        ; implicit-def: $vgpr18
                                        ; implicit-def: $vgpr16
	s_andn2_saveexec_b32 s38, s19
	s_cbranch_execz .LBB691_2
.LBB691_693:
	s_waitcnt lgkmcnt(31)
	v_mov_b32_e32 v6, 0
	v_cmp_lt_u32_e64 s4, v17, v0
	v_mov_b32_e32 v7, v6
	v_mov_b32_e32 v8, v6
	v_mov_b32_e32 v9, v6
	v_mov_b32_e32 v10, v6
	v_mov_b32_e32 v11, v6
	v_mov_b32_e32 v12, v6
	v_mov_b32_e32 v13, v6
	s_and_saveexec_b32 s5, s4
	s_cbranch_execnz .LBB691_742
; %bb.694:
	s_or_b32 exec_lo, exec_lo, s5
	v_cmp_lt_u32_e64 s5, v25, v0
	s_and_saveexec_b32 s6, s5
	s_cbranch_execnz .LBB691_743
.LBB691_695:
	s_or_b32 exec_lo, exec_lo, s6
	v_cmp_lt_u32_e64 s6, v21, v0
	s_and_saveexec_b32 s7, s6
	s_cbranch_execnz .LBB691_744
.LBB691_696:
	s_or_b32 exec_lo, exec_lo, s7
	v_cmp_lt_u32_e64 s7, v20, v0
	s_and_saveexec_b32 s10, s7
	s_cbranch_execnz .LBB691_745
.LBB691_697:
	s_or_b32 exec_lo, exec_lo, s10
	v_cmp_lt_u32_e64 s10, v19, v0
	s_and_saveexec_b32 s11, s10
	s_cbranch_execnz .LBB691_746
.LBB691_698:
	s_or_b32 exec_lo, exec_lo, s11
	v_cmp_lt_u32_e64 s11, v23, v0
	s_and_saveexec_b32 s14, s11
	s_cbranch_execnz .LBB691_747
.LBB691_699:
	s_or_b32 exec_lo, exec_lo, s14
	v_cmp_lt_u32_e64 s35, v22, v0
	s_and_saveexec_b32 s14, s35
	s_cbranch_execnz .LBB691_748
.LBB691_700:
	s_or_b32 exec_lo, exec_lo, s14
	v_cmp_lt_u32_e64 s36, v29, v0
	s_and_saveexec_b32 s14, s36
	s_cbranch_execnz .LBB691_749
.LBB691_701:
	s_or_b32 exec_lo, exec_lo, s14
	v_cmp_lt_u32_e64 s14, v28, v0
	s_and_saveexec_b32 s15, s14
	s_cbranch_execnz .LBB691_750
.LBB691_702:
	s_or_b32 exec_lo, exec_lo, s15
	v_cmp_lt_u32_e64 s15, v27, v0
	s_and_saveexec_b32 s16, s15
	s_cbranch_execnz .LBB691_751
.LBB691_703:
	s_or_b32 exec_lo, exec_lo, s16
	v_cmp_lt_u32_e64 s16, v26, v0
	s_and_saveexec_b32 s17, s16
	s_cbranch_execnz .LBB691_752
.LBB691_704:
	s_or_b32 exec_lo, exec_lo, s17
	v_cmp_lt_u32_e64 s17, v33, v0
	s_and_saveexec_b32 s18, s17
	s_cbranch_execnz .LBB691_753
.LBB691_705:
	s_or_b32 exec_lo, exec_lo, s18
	v_cmp_lt_u32_e64 s18, v32, v0
	s_and_saveexec_b32 s19, s18
	s_cbranch_execnz .LBB691_754
.LBB691_706:
	s_or_b32 exec_lo, exec_lo, s19
	v_cmp_lt_u32_e64 s19, v31, v0
	s_and_saveexec_b32 s20, s19
	s_cbranch_execnz .LBB691_755
.LBB691_707:
	s_or_b32 exec_lo, exec_lo, s20
	v_cmp_lt_u32_e64 s20, v30, v0
	s_and_saveexec_b32 s21, s20
	s_cbranch_execnz .LBB691_756
.LBB691_708:
	s_or_b32 exec_lo, exec_lo, s21
	v_cmp_lt_u32_e64 s21, v37, v0
	s_and_saveexec_b32 s22, s21
	s_cbranch_execnz .LBB691_757
.LBB691_709:
	s_or_b32 exec_lo, exec_lo, s22
	v_cmp_lt_u32_e64 s22, v36, v0
	s_and_saveexec_b32 s23, s22
	s_cbranch_execnz .LBB691_758
.LBB691_710:
	s_or_b32 exec_lo, exec_lo, s23
	v_cmp_lt_u32_e64 s23, v35, v0
	s_and_saveexec_b32 s24, s23
	s_cbranch_execnz .LBB691_759
.LBB691_711:
	s_or_b32 exec_lo, exec_lo, s24
	v_cmp_lt_u32_e64 s24, v34, v0
	s_and_saveexec_b32 s25, s24
	s_cbranch_execnz .LBB691_760
.LBB691_712:
	s_or_b32 exec_lo, exec_lo, s25
	v_cmp_lt_u32_e64 s25, v49, v0
	s_and_saveexec_b32 s26, s25
	s_cbranch_execnz .LBB691_761
.LBB691_713:
	s_or_b32 exec_lo, exec_lo, s26
	v_cmp_lt_u32_e64 s26, v48, v0
	s_and_saveexec_b32 s27, s26
	s_cbranch_execnz .LBB691_762
.LBB691_714:
	s_or_b32 exec_lo, exec_lo, s27
	v_cmp_lt_u32_e64 s27, v39, v0
	s_and_saveexec_b32 s28, s27
	s_cbranch_execnz .LBB691_763
.LBB691_715:
	s_or_b32 exec_lo, exec_lo, s28
	v_cmp_lt_u32_e64 s28, v38, v0
	s_and_saveexec_b32 s29, s28
	s_cbranch_execnz .LBB691_764
.LBB691_716:
	s_or_b32 exec_lo, exec_lo, s29
	v_cmp_lt_u32_e64 s29, v66, v0
	s_and_saveexec_b32 s40, s29
	s_cbranch_execnz .LBB691_765
.LBB691_717:
	s_or_b32 exec_lo, exec_lo, s40
	v_cmp_lt_u32_e64 s40, v53, v0
	s_and_saveexec_b32 s41, s40
	s_cbranch_execnz .LBB691_766
.LBB691_718:
	s_or_b32 exec_lo, exec_lo, s41
	v_cmp_lt_u32_e64 s41, v51, v0
	s_and_saveexec_b32 s42, s41
	s_cbranch_execnz .LBB691_767
.LBB691_719:
	s_or_b32 exec_lo, exec_lo, s42
	v_cmp_lt_u32_e64 s42, v50, v0
	s_and_saveexec_b32 s43, s42
	s_cbranch_execnz .LBB691_768
.LBB691_720:
	s_or_b32 exec_lo, exec_lo, s43
	v_cmp_lt_u32_e64 s43, v52, v0
	s_and_saveexec_b32 s44, s43
	s_cbranch_execnz .LBB691_769
.LBB691_721:
	s_or_b32 exec_lo, exec_lo, s44
	v_cmp_lt_u32_e64 s44, v54, v0
	s_and_saveexec_b32 s45, s44
	s_cbranch_execnz .LBB691_770
.LBB691_722:
	s_or_b32 exec_lo, exec_lo, s45
	v_cmp_lt_u32_e64 s45, v65, v0
	s_and_saveexec_b32 s46, s45
	s_cbranch_execnz .LBB691_771
.LBB691_723:
	s_or_b32 exec_lo, exec_lo, s46
	v_cmp_lt_u32_e64 s46, v64, v0
	s_and_saveexec_b32 s47, s46
	s_cbranch_execnz .LBB691_772
.LBB691_724:
	s_or_b32 exec_lo, exec_lo, s47
	v_cmp_lt_u32_e64 s47, v55, v0
	s_and_saveexec_b32 s56, s47
	s_cbranch_execz .LBB691_726
.LBB691_725:
	v_add_co_u32 v2, vcc_lo, v2, v55
	v_add_co_ci_u32_e64 v3, null, 0, v3, vcc_lo
	flat_load_ubyte v2, v[2:3]
	s_waitcnt vmcnt(0) lgkmcnt(0)
	v_perm_b32 v13, v13, v2, 0x60504
.LBB691_726:
	s_or_b32 exec_lo, exec_lo, s56
	v_lshrrev_b32_e32 v2, 5, v25
	v_lshrrev_b32_e32 v3, 5, v21
	v_and_b32_e32 v15, 28, v24
	v_lshrrev_b32_e32 v25, 5, v20
	v_lshrrev_b32_e32 v67, 5, v19
	v_and_b32_e32 v2, 60, v2
	v_and_b32_e32 v3, 60, v3
	v_add_nc_u32_e32 v19, v15, v17
	v_lshrrev_b32_e32 v15, 5, v22
	v_lshrrev_b32_e32 v24, 8, v6
	v_add_nc_u32_e32 v20, v2, v17
	v_lshrrev_b32_e32 v2, 5, v23
	v_add_nc_u32_e32 v21, v3, v17
	v_and_b32_e32 v3, 60, v25
	ds_write_b8 v19, v6
	ds_write_b8 v20, v24 offset:256
	ds_write_b8_d16_hi v21, v6 offset:512
	v_and_b32_e32 v2, 0x7c, v2
	v_lshrrev_b32_e32 v6, 24, v6
	v_add_nc_u32_e32 v22, v3, v17
	v_and_b32_e32 v3, 0x7c, v15
	v_lshrrev_b32_e32 v15, 8, v7
	v_add_nc_u32_e32 v24, v2, v17
	v_lshrrev_b32_e32 v2, 5, v29
	v_and_b32_e32 v23, 60, v67
	ds_write_b8 v22, v6 offset:768
	v_add_nc_u32_e32 v25, v3, v17
	ds_write_b8 v24, v15 offset:1280
	v_lshrrev_b32_e32 v3, 5, v28
	v_lshrrev_b32_e32 v6, 5, v27
	v_and_b32_e32 v2, 0x7c, v2
	v_lshrrev_b32_e32 v15, 5, v26
	v_add_nc_u32_e32 v23, v23, v17
	v_and_b32_e32 v3, 0x5c, v3
	v_and_b32_e32 v6, 0x7c, v6
	v_add_nc_u32_e32 v26, v2, v17
	v_and_b32_e32 v2, 0x7c, v15
	ds_write_b8 v23, v7 offset:1024
	ds_write_b8_d16_hi v25, v7 offset:1536
	v_lshrrev_b32_e32 v7, 24, v7
	v_add_nc_u32_e32 v27, v3, v17
	v_lshrrev_b32_e32 v3, 8, v8
	v_add_nc_u32_e32 v28, v6, v17
	v_add_nc_u32_e32 v29, v2, v17
	v_lshrrev_b32_e32 v2, 5, v33
	ds_write_b8 v26, v7 offset:1792
	v_lshrrev_b32_e32 v6, 5, v31
	ds_write_b8 v28, v3 offset:2304
	v_lshrrev_b32_e32 v3, 5, v32
	v_and_b32_e32 v2, 0x7c, v2
	v_lshrrev_b32_e32 v7, 5, v30
	v_and_b32_e32 v6, 0xfc, v6
	ds_write_b8 v27, v8 offset:2048
	v_and_b32_e32 v3, 0x7c, v3
	v_add_nc_u32_e32 v30, v2, v17
	v_and_b32_e32 v2, 0xfc, v7
	v_add_nc_u32_e32 v32, v6, v17
	v_lshrrev_b32_e32 v6, 5, v35
	v_add_nc_u32_e32 v31, v3, v17
	v_lshrrev_b32_e32 v3, 8, v9
	;; [unrolled: 2-line block ×3, first 2 shown]
	v_lshrrev_b32_e32 v7, 5, v34
	v_and_b32_e32 v6, 0xbc, v6
	ds_write_b8 v32, v3 offset:3328
	v_lshrrev_b32_e32 v3, 5, v36
	v_and_b32_e32 v2, 0xfc, v2
	ds_write_b8_d16_hi v29, v8 offset:2560
	v_add_nc_u32_e32 v36, v6, v17
	v_lshrrev_b32_e32 v8, 24, v8
	v_and_b32_e32 v3, 0x9c, v3
	v_add_nc_u32_e32 v34, v2, v17
	v_and_b32_e32 v2, 0xbc, v7
	v_lshrrev_b32_e32 v7, 5, v38
	v_lshrrev_b32_e32 v6, 5, v39
	v_add_nc_u32_e32 v35, v3, v17
	v_lshrrev_b32_e32 v3, 8, v10
	v_add_nc_u32_e32 v37, v2, v17
	v_lshrrev_b32_e32 v2, 5, v49
	ds_write_b8 v30, v8 offset:2816
	v_lshrrev_b32_e32 v8, 24, v9
	ds_write_b8 v36, v3 offset:4352
	v_lshrrev_b32_e32 v3, 5, v48
	v_and_b32_e32 v2, 0xbc, v2
	v_and_b32_e32 v6, 0xfc, v6
	ds_write_b8 v34, v8 offset:3840
	v_lshrrev_b32_e32 v8, 24, v10
	v_and_b32_e32 v3, 0xbc, v3
	v_add_nc_u32_e32 v38, v2, v17
	v_and_b32_e32 v2, 0xfc, v7
	v_add_nc_u32_e32 v48, v6, v17
	ds_write_b8 v31, v9 offset:3072
	v_add_nc_u32_e32 v39, v3, v17
	v_lshrrev_b32_e32 v3, 8, v11
	v_add_nc_u32_e32 v49, v2, v17
	v_lshrrev_b32_e32 v2, 5, v66
	ds_write_b8_d16_hi v33, v9 offset:3584
	ds_write_b8 v35, v10 offset:4096
	ds_write_b8_d16_hi v37, v10 offset:4608
	ds_write_b8 v38, v8 offset:4864
	ds_write_b8 v39, v11 offset:5120
	;; [unrolled: 1-line block ×3, first 2 shown]
	v_lshrrev_b32_e32 v3, 5, v53
	v_and_b32_e32 v2, 0xfc, v2
	v_lshrrev_b32_e32 v6, 5, v51
	v_lshrrev_b32_e32 v7, 5, v50
	;; [unrolled: 1-line block ×3, first 2 shown]
	v_and_b32_e32 v3, 0xdc, v3
	v_add_nc_u32_e32 v50, v2, v17
	v_and_b32_e32 v2, 0xfc, v6
	v_and_b32_e32 v6, 0xfc, v7
	v_lshrrev_b32_e32 v7, 5, v52
	v_add_nc_u32_e32 v51, v3, v17
	v_lshrrev_b32_e32 v3, 8, v12
	v_add_nc_u32_e32 v52, v2, v17
	v_add_nc_u32_e32 v53, v6, v17
	ds_write_b8_d16_hi v49, v11 offset:5632
	ds_write_b8 v50, v8 offset:5888
	ds_write_b8 v51, v12 offset:6144
	v_and_b32_e32 v2, 0xfc, v7
	ds_write_b8 v52, v3 offset:6400
	ds_write_b8_d16_hi v53, v12 offset:6656
	v_lshrrev_b32_e32 v3, 5, v54
	v_lshrrev_b32_e32 v8, 5, v55
	;; [unrolled: 1-line block ×3, first 2 shown]
	v_add_nc_u32_e32 v54, v2, v17
	v_lshrrev_b32_e32 v2, 5, v65
	v_and_b32_e32 v3, 0xfc, v3
	v_lshrrev_b32_e32 v7, 5, v64
	v_add_nc_u32_e32 v67, v16, v18
	ds_write_b8 v54, v6 offset:6912
	v_and_b32_e32 v2, 0x1fc, v2
	v_add_nc_u32_e32 v55, v3, v17
	v_and_b32_e32 v3, 0x1fc, v8
	v_and_b32_e32 v6, 0x1fc, v7
	v_lshrrev_b32_e32 v7, 8, v13
	v_add_nc_u32_e32 v64, v2, v17
	v_lshrrev_b32_e32 v2, 24, v13
	v_add_nc_u32_e32 v66, v3, v17
	v_add_nc_u32_e32 v65, v6, v17
	ds_write_b8 v55, v13 offset:7168
	ds_write_b8 v64, v7 offset:7424
	ds_write_b8_d16_hi v65, v13 offset:7680
	ds_write_b8 v66, v2 offset:7936
	s_waitcnt lgkmcnt(0)
	s_waitcnt_vscnt null, 0x0
	s_barrier
	buffer_gl0_inv
	ds_read_u16_d16 v2, v67
	ds_read_b128 v[9:12], v67 offset:2
	ds_read_b96 v[69:71], v67 offset:18
	ds_read_u16 v8, v67 offset:30
	s_waitcnt lgkmcnt(0)
	s_barrier
	buffer_gl0_inv
	s_load_dwordx2 s[56:57], s[8:9], 0x0
	v_mov_b32_e32 v3, 0
	v_perm_b32 v7, v9, v10, 0x1000706
	v_perm_b32 v10, v10, v11, 0x1000706
	;; [unrolled: 1-line block ×6, first 2 shown]
	s_waitcnt lgkmcnt(0)
	s_cmp_lt_u32 s13, s57
	v_perm_b32 v71, v71, v8, 0x1000706
	s_cselect_b32 s13, 14, 20
	s_add_u32 s58, s8, s13
	s_addc_u32 s59, s9, 0
	s_cmp_lt_u32 s12, s56
	global_load_ushort v6, v3, s[58:59]
	s_cselect_b32 s12, 12, 18
	s_add_u32 s8, s8, s12
	s_addc_u32 s9, s9, 0
	global_load_ushort v3, v3, s[8:9]
	s_waitcnt vmcnt(1)
	v_mad_u32_u24 v1, v14, v6, v1
	v_perm_b32 v6, v2, v9, 0x1000504
	s_waitcnt vmcnt(0)
	v_mul_lo_u32 v1, v1, v3
	v_add_lshl_u32 v1, v1, v17, 5
	v_sub_nc_u32_e64 v3, v0, v1 clamp
	v_cmp_lt_u32_e64 s91, 1, v3
	s_and_saveexec_b32 s8, s91
	s_cbranch_execnz .LBB691_773
; %bb.727:
	s_or_b32 exec_lo, exec_lo, s8
	v_cmp_lt_u32_e64 s88, 3, v3
	s_and_saveexec_b32 s8, s88
	s_cbranch_execnz .LBB691_776
.LBB691_728:
	s_or_b32 exec_lo, exec_lo, s8
	v_cmp_lt_u32_e64 s79, 5, v3
	s_and_saveexec_b32 s8, s79
	s_cbranch_execnz .LBB691_779
.LBB691_729:
	s_or_b32 exec_lo, exec_lo, s8
	v_cmp_lt_u32_e64 s78, 7, v3
	s_and_saveexec_b32 s8, s78
	s_cbranch_execnz .LBB691_782
.LBB691_730:
	s_or_b32 exec_lo, exec_lo, s8
	v_cmp_lt_u32_e64 s76, 9, v3
	s_and_saveexec_b32 s8, s76
	s_cbranch_execnz .LBB691_785
.LBB691_731:
	s_or_b32 exec_lo, exec_lo, s8
	v_cmp_lt_u32_e64 s75, 11, v3
	s_and_saveexec_b32 s8, s75
	s_cbranch_execnz .LBB691_788
.LBB691_732:
	s_or_b32 exec_lo, exec_lo, s8
	v_cmp_lt_u32_e64 s74, 13, v3
	s_and_saveexec_b32 s8, s74
	s_cbranch_execnz .LBB691_791
.LBB691_733:
	s_or_b32 exec_lo, exec_lo, s8
	v_cmp_lt_u32_e64 s73, 15, v3
	s_and_saveexec_b32 s8, s73
	s_cbranch_execnz .LBB691_794
.LBB691_734:
	s_or_b32 exec_lo, exec_lo, s8
	v_cmp_lt_u32_e64 s72, 17, v3
	s_and_saveexec_b32 s8, s72
	s_cbranch_execnz .LBB691_797
.LBB691_735:
	s_or_b32 exec_lo, exec_lo, s8
	v_cmp_lt_u32_e64 s62, 19, v3
	s_and_saveexec_b32 s8, s62
	s_cbranch_execnz .LBB691_800
.LBB691_736:
	s_or_b32 exec_lo, exec_lo, s8
	v_cmp_lt_u32_e64 s61, 21, v3
	s_and_saveexec_b32 s8, s61
	s_cbranch_execnz .LBB691_803
.LBB691_737:
	s_or_b32 exec_lo, exec_lo, s8
	v_cmp_lt_u32_e64 s60, 23, v3
	s_and_saveexec_b32 s8, s60
	s_cbranch_execnz .LBB691_806
.LBB691_738:
	s_or_b32 exec_lo, exec_lo, s8
	v_cmp_lt_u32_e64 s59, 25, v3
	s_and_saveexec_b32 s8, s59
	s_cbranch_execnz .LBB691_809
.LBB691_739:
	s_or_b32 exec_lo, exec_lo, s8
	v_cmp_lt_u32_e64 s57, 27, v3
	s_and_saveexec_b32 s8, s57
	s_cbranch_execnz .LBB691_812
.LBB691_740:
	s_or_b32 exec_lo, exec_lo, s8
	v_cmp_lt_u32_e64 s56, 29, v3
	s_and_saveexec_b32 s8, s56
	s_cbranch_execnz .LBB691_815
.LBB691_741:
	s_or_b32 exec_lo, exec_lo, s8
	v_cmp_lt_u32_e64 s9, 31, v3
	s_and_saveexec_b32 s8, s9
	s_cbranch_execnz .LBB691_818
	s_branch .LBB691_821
.LBB691_742:
	v_add_co_u32 v7, vcc_lo, v2, v17
	v_add_co_ci_u32_e64 v8, null, 0, v3, vcc_lo
	v_mov_b32_e32 v81, v6
	v_mov_b32_e32 v82, v6
	;; [unrolled: 1-line block ×3, first 2 shown]
	flat_load_ubyte v80, v[7:8]
	v_mov_b32_e32 v84, v6
	v_mov_b32_e32 v85, v6
	v_mov_b32_e32 v86, v6
	v_mov_b32_e32 v87, v6
	s_waitcnt vmcnt(0) lgkmcnt(0)
	v_mov_b32_e32 v6, v80
	v_mov_b32_e32 v7, v81
	v_mov_b32_e32 v8, v82
	v_mov_b32_e32 v9, v83
	v_mov_b32_e32 v10, v84
	v_mov_b32_e32 v11, v85
	v_mov_b32_e32 v12, v86
	v_mov_b32_e32 v13, v87
	s_or_b32 exec_lo, exec_lo, s5
	v_cmp_lt_u32_e64 s5, v25, v0
	s_and_saveexec_b32 s6, s5
	s_cbranch_execz .LBB691_695
.LBB691_743:
	v_add_co_u32 v67, vcc_lo, v2, v17
	v_add_co_ci_u32_e64 v68, null, 0, v3, vcc_lo
	flat_load_ubyte v15, v[67:68] offset:256
	s_waitcnt vmcnt(0) lgkmcnt(0)
	v_perm_b32 v6, v6, v15, 0x7060004
	s_or_b32 exec_lo, exec_lo, s6
	v_cmp_lt_u32_e64 s6, v21, v0
	s_and_saveexec_b32 s7, s6
	s_cbranch_execz .LBB691_696
.LBB691_744:
	v_add_co_u32 v67, vcc_lo, v2, v17
	v_add_co_ci_u32_e64 v68, null, 0, v3, vcc_lo
	flat_load_ubyte v15, v[67:68] offset:512
	s_waitcnt vmcnt(0) lgkmcnt(0)
	v_perm_b32 v6, v6, v15, 0x7000504
	s_or_b32 exec_lo, exec_lo, s7
	v_cmp_lt_u32_e64 s7, v20, v0
	s_and_saveexec_b32 s10, s7
	s_cbranch_execz .LBB691_697
.LBB691_745:
	v_add_co_u32 v67, vcc_lo, v2, v17
	v_add_co_ci_u32_e64 v68, null, 0, v3, vcc_lo
	flat_load_ubyte v15, v[67:68] offset:768
	s_waitcnt vmcnt(0) lgkmcnt(0)
	v_perm_b32 v6, v6, v15, 0x60504
	s_or_b32 exec_lo, exec_lo, s10
	v_cmp_lt_u32_e64 s10, v19, v0
	s_and_saveexec_b32 s11, s10
	s_cbranch_execz .LBB691_698
.LBB691_746:
	v_add_co_u32 v67, vcc_lo, v2, v17
	v_add_co_ci_u32_e64 v68, null, 0, v3, vcc_lo
	flat_load_ubyte v15, v[67:68] offset:1024
	s_waitcnt vmcnt(0) lgkmcnt(0)
	v_perm_b32 v7, v15, v7, 0x3020104
	s_or_b32 exec_lo, exec_lo, s11
	v_cmp_lt_u32_e64 s11, v23, v0
	s_and_saveexec_b32 s14, s11
	s_cbranch_execz .LBB691_699
.LBB691_747:
	v_add_co_u32 v67, vcc_lo, v2, v17
	v_add_co_ci_u32_e64 v68, null, 0, v3, vcc_lo
	flat_load_ubyte v15, v[67:68] offset:1280
	s_waitcnt vmcnt(0) lgkmcnt(0)
	v_perm_b32 v7, v7, v15, 0x7060004
	s_or_b32 exec_lo, exec_lo, s14
	v_cmp_lt_u32_e64 s35, v22, v0
	s_and_saveexec_b32 s14, s35
	s_cbranch_execz .LBB691_700
.LBB691_748:
	v_add_co_u32 v67, vcc_lo, v2, v17
	v_add_co_ci_u32_e64 v68, null, 0, v3, vcc_lo
	flat_load_ubyte v15, v[67:68] offset:1536
	s_waitcnt vmcnt(0) lgkmcnt(0)
	v_perm_b32 v7, v7, v15, 0x7000504
	s_or_b32 exec_lo, exec_lo, s14
	v_cmp_lt_u32_e64 s36, v29, v0
	s_and_saveexec_b32 s14, s36
	s_cbranch_execz .LBB691_701
.LBB691_749:
	v_add_co_u32 v67, vcc_lo, v2, v17
	v_add_co_ci_u32_e64 v68, null, 0, v3, vcc_lo
	flat_load_ubyte v15, v[67:68] offset:1792
	s_waitcnt vmcnt(0) lgkmcnt(0)
	v_perm_b32 v7, v7, v15, 0x60504
	s_or_b32 exec_lo, exec_lo, s14
	v_cmp_lt_u32_e64 s14, v28, v0
	s_and_saveexec_b32 s15, s14
	s_cbranch_execz .LBB691_702
.LBB691_750:
	v_add_co_u32 v67, vcc_lo, v2, v28
	v_add_co_ci_u32_e64 v68, null, 0, v3, vcc_lo
	flat_load_ubyte v15, v[67:68]
	s_waitcnt vmcnt(0) lgkmcnt(0)
	v_perm_b32 v8, v15, v8, 0x3020104
	s_or_b32 exec_lo, exec_lo, s15
	v_cmp_lt_u32_e64 s15, v27, v0
	s_and_saveexec_b32 s16, s15
	s_cbranch_execz .LBB691_703
.LBB691_751:
	v_add_co_u32 v67, vcc_lo, v2, v27
	v_add_co_ci_u32_e64 v68, null, 0, v3, vcc_lo
	flat_load_ubyte v15, v[67:68]
	s_waitcnt vmcnt(0) lgkmcnt(0)
	v_perm_b32 v8, v8, v15, 0x7060004
	s_or_b32 exec_lo, exec_lo, s16
	v_cmp_lt_u32_e64 s16, v26, v0
	s_and_saveexec_b32 s17, s16
	s_cbranch_execz .LBB691_704
.LBB691_752:
	v_add_co_u32 v67, vcc_lo, v2, v26
	v_add_co_ci_u32_e64 v68, null, 0, v3, vcc_lo
	flat_load_ubyte v15, v[67:68]
	s_waitcnt vmcnt(0) lgkmcnt(0)
	v_perm_b32 v8, v8, v15, 0x7000504
	s_or_b32 exec_lo, exec_lo, s17
	v_cmp_lt_u32_e64 s17, v33, v0
	s_and_saveexec_b32 s18, s17
	s_cbranch_execz .LBB691_705
.LBB691_753:
	v_add_co_u32 v67, vcc_lo, v2, v33
	v_add_co_ci_u32_e64 v68, null, 0, v3, vcc_lo
	flat_load_ubyte v15, v[67:68]
	s_waitcnt vmcnt(0) lgkmcnt(0)
	v_perm_b32 v8, v8, v15, 0x60504
	s_or_b32 exec_lo, exec_lo, s18
	v_cmp_lt_u32_e64 s18, v32, v0
	s_and_saveexec_b32 s19, s18
	s_cbranch_execz .LBB691_706
.LBB691_754:
	v_add_co_u32 v67, vcc_lo, v2, v32
	v_add_co_ci_u32_e64 v68, null, 0, v3, vcc_lo
	flat_load_ubyte v15, v[67:68]
	s_waitcnt vmcnt(0) lgkmcnt(0)
	v_perm_b32 v9, v15, v9, 0x3020104
	s_or_b32 exec_lo, exec_lo, s19
	v_cmp_lt_u32_e64 s19, v31, v0
	s_and_saveexec_b32 s20, s19
	s_cbranch_execz .LBB691_707
.LBB691_755:
	v_add_co_u32 v67, vcc_lo, v2, v31
	v_add_co_ci_u32_e64 v68, null, 0, v3, vcc_lo
	flat_load_ubyte v15, v[67:68]
	s_waitcnt vmcnt(0) lgkmcnt(0)
	v_perm_b32 v9, v9, v15, 0x7060004
	s_or_b32 exec_lo, exec_lo, s20
	v_cmp_lt_u32_e64 s20, v30, v0
	s_and_saveexec_b32 s21, s20
	s_cbranch_execz .LBB691_708
.LBB691_756:
	v_add_co_u32 v67, vcc_lo, v2, v30
	v_add_co_ci_u32_e64 v68, null, 0, v3, vcc_lo
	flat_load_ubyte v15, v[67:68]
	s_waitcnt vmcnt(0) lgkmcnt(0)
	v_perm_b32 v9, v9, v15, 0x7000504
	s_or_b32 exec_lo, exec_lo, s21
	v_cmp_lt_u32_e64 s21, v37, v0
	s_and_saveexec_b32 s22, s21
	s_cbranch_execz .LBB691_709
.LBB691_757:
	v_add_co_u32 v67, vcc_lo, v2, v37
	v_add_co_ci_u32_e64 v68, null, 0, v3, vcc_lo
	flat_load_ubyte v15, v[67:68]
	s_waitcnt vmcnt(0) lgkmcnt(0)
	v_perm_b32 v9, v9, v15, 0x60504
	s_or_b32 exec_lo, exec_lo, s22
	v_cmp_lt_u32_e64 s22, v36, v0
	s_and_saveexec_b32 s23, s22
	s_cbranch_execz .LBB691_710
.LBB691_758:
	v_add_co_u32 v67, vcc_lo, v2, v36
	v_add_co_ci_u32_e64 v68, null, 0, v3, vcc_lo
	flat_load_ubyte v15, v[67:68]
	s_waitcnt vmcnt(0) lgkmcnt(0)
	v_perm_b32 v10, v15, v10, 0x3020104
	s_or_b32 exec_lo, exec_lo, s23
	v_cmp_lt_u32_e64 s23, v35, v0
	s_and_saveexec_b32 s24, s23
	s_cbranch_execz .LBB691_711
.LBB691_759:
	v_add_co_u32 v67, vcc_lo, v2, v35
	v_add_co_ci_u32_e64 v68, null, 0, v3, vcc_lo
	flat_load_ubyte v15, v[67:68]
	s_waitcnt vmcnt(0) lgkmcnt(0)
	v_perm_b32 v10, v10, v15, 0x7060004
	s_or_b32 exec_lo, exec_lo, s24
	v_cmp_lt_u32_e64 s24, v34, v0
	s_and_saveexec_b32 s25, s24
	s_cbranch_execz .LBB691_712
.LBB691_760:
	v_add_co_u32 v67, vcc_lo, v2, v34
	v_add_co_ci_u32_e64 v68, null, 0, v3, vcc_lo
	flat_load_ubyte v15, v[67:68]
	s_waitcnt vmcnt(0) lgkmcnt(0)
	v_perm_b32 v10, v10, v15, 0x7000504
	s_or_b32 exec_lo, exec_lo, s25
	v_cmp_lt_u32_e64 s25, v49, v0
	s_and_saveexec_b32 s26, s25
	s_cbranch_execz .LBB691_713
.LBB691_761:
	v_add_co_u32 v67, vcc_lo, v2, v49
	v_add_co_ci_u32_e64 v68, null, 0, v3, vcc_lo
	flat_load_ubyte v15, v[67:68]
	s_waitcnt vmcnt(0) lgkmcnt(0)
	v_perm_b32 v10, v10, v15, 0x60504
	s_or_b32 exec_lo, exec_lo, s26
	v_cmp_lt_u32_e64 s26, v48, v0
	s_and_saveexec_b32 s27, s26
	s_cbranch_execz .LBB691_714
.LBB691_762:
	v_add_co_u32 v67, vcc_lo, v2, v48
	v_add_co_ci_u32_e64 v68, null, 0, v3, vcc_lo
	flat_load_ubyte v15, v[67:68]
	s_waitcnt vmcnt(0) lgkmcnt(0)
	v_perm_b32 v11, v15, v11, 0x3020104
	s_or_b32 exec_lo, exec_lo, s27
	v_cmp_lt_u32_e64 s27, v39, v0
	s_and_saveexec_b32 s28, s27
	s_cbranch_execz .LBB691_715
.LBB691_763:
	v_add_co_u32 v67, vcc_lo, v2, v39
	v_add_co_ci_u32_e64 v68, null, 0, v3, vcc_lo
	flat_load_ubyte v15, v[67:68]
	s_waitcnt vmcnt(0) lgkmcnt(0)
	v_perm_b32 v11, v11, v15, 0x7060004
	s_or_b32 exec_lo, exec_lo, s28
	v_cmp_lt_u32_e64 s28, v38, v0
	s_and_saveexec_b32 s29, s28
	s_cbranch_execz .LBB691_716
.LBB691_764:
	v_add_co_u32 v67, vcc_lo, v2, v38
	v_add_co_ci_u32_e64 v68, null, 0, v3, vcc_lo
	flat_load_ubyte v15, v[67:68]
	s_waitcnt vmcnt(0) lgkmcnt(0)
	v_perm_b32 v11, v11, v15, 0x7000504
	s_or_b32 exec_lo, exec_lo, s29
	v_cmp_lt_u32_e64 s29, v66, v0
	s_and_saveexec_b32 s40, s29
	s_cbranch_execz .LBB691_717
.LBB691_765:
	v_add_co_u32 v67, vcc_lo, v2, v66
	v_add_co_ci_u32_e64 v68, null, 0, v3, vcc_lo
	flat_load_ubyte v15, v[67:68]
	s_waitcnt vmcnt(0) lgkmcnt(0)
	v_perm_b32 v11, v11, v15, 0x60504
	s_or_b32 exec_lo, exec_lo, s40
	v_cmp_lt_u32_e64 s40, v53, v0
	s_and_saveexec_b32 s41, s40
	s_cbranch_execz .LBB691_718
.LBB691_766:
	v_add_co_u32 v67, vcc_lo, v2, v53
	v_add_co_ci_u32_e64 v68, null, 0, v3, vcc_lo
	flat_load_ubyte v15, v[67:68]
	s_waitcnt vmcnt(0) lgkmcnt(0)
	v_perm_b32 v12, v15, v12, 0x3020104
	s_or_b32 exec_lo, exec_lo, s41
	v_cmp_lt_u32_e64 s41, v51, v0
	s_and_saveexec_b32 s42, s41
	s_cbranch_execz .LBB691_719
.LBB691_767:
	v_add_co_u32 v67, vcc_lo, v2, v51
	v_add_co_ci_u32_e64 v68, null, 0, v3, vcc_lo
	flat_load_ubyte v15, v[67:68]
	s_waitcnt vmcnt(0) lgkmcnt(0)
	v_perm_b32 v12, v12, v15, 0x7060004
	s_or_b32 exec_lo, exec_lo, s42
	v_cmp_lt_u32_e64 s42, v50, v0
	s_and_saveexec_b32 s43, s42
	s_cbranch_execz .LBB691_720
.LBB691_768:
	v_add_co_u32 v67, vcc_lo, v2, v50
	v_add_co_ci_u32_e64 v68, null, 0, v3, vcc_lo
	flat_load_ubyte v15, v[67:68]
	s_waitcnt vmcnt(0) lgkmcnt(0)
	v_perm_b32 v12, v12, v15, 0x7000504
	s_or_b32 exec_lo, exec_lo, s43
	v_cmp_lt_u32_e64 s43, v52, v0
	s_and_saveexec_b32 s44, s43
	s_cbranch_execz .LBB691_721
.LBB691_769:
	v_add_co_u32 v67, vcc_lo, v2, v52
	v_add_co_ci_u32_e64 v68, null, 0, v3, vcc_lo
	flat_load_ubyte v15, v[67:68]
	s_waitcnt vmcnt(0) lgkmcnt(0)
	v_perm_b32 v12, v12, v15, 0x60504
	s_or_b32 exec_lo, exec_lo, s44
	v_cmp_lt_u32_e64 s44, v54, v0
	s_and_saveexec_b32 s45, s44
	s_cbranch_execz .LBB691_722
.LBB691_770:
	v_add_co_u32 v67, vcc_lo, v2, v54
	v_add_co_ci_u32_e64 v68, null, 0, v3, vcc_lo
	flat_load_ubyte v15, v[67:68]
	s_waitcnt vmcnt(0) lgkmcnt(0)
	v_perm_b32 v13, v15, v13, 0x3020104
	s_or_b32 exec_lo, exec_lo, s45
	v_cmp_lt_u32_e64 s45, v65, v0
	s_and_saveexec_b32 s46, s45
	s_cbranch_execz .LBB691_723
.LBB691_771:
	v_add_co_u32 v67, vcc_lo, v2, v65
	v_add_co_ci_u32_e64 v68, null, 0, v3, vcc_lo
	flat_load_ubyte v15, v[67:68]
	s_waitcnt vmcnt(0) lgkmcnt(0)
	v_perm_b32 v13, v13, v15, 0x7060004
	s_or_b32 exec_lo, exec_lo, s46
	v_cmp_lt_u32_e64 s46, v64, v0
	s_and_saveexec_b32 s47, s46
	s_cbranch_execz .LBB691_724
.LBB691_772:
	v_add_co_u32 v67, vcc_lo, v2, v64
	v_add_co_ci_u32_e64 v68, null, 0, v3, vcc_lo
	flat_load_ubyte v15, v[67:68]
	s_waitcnt vmcnt(0) lgkmcnt(0)
	v_perm_b32 v13, v13, v15, 0x7000504
	s_or_b32 exec_lo, exec_lo, s47
	v_cmp_lt_u32_e64 s47, v55, v0
	s_and_saveexec_b32 s56, s47
	s_cbranch_execnz .LBB691_725
	s_branch .LBB691_726
.LBB691_773:
	v_lshrrev_b16 v8, 8, v2
	v_and_b32_e32 v9, 0xff, v2
	s_mov_b32 s9, exec_lo
	v_mul_lo_u16 v8, 0xcd, v8
	v_mul_lo_u16 v9, 0xcd, v9
	v_lshrrev_b16 v8, 11, v8
	v_lshrrev_b16 v9, 11, v9
	v_cmpx_lt_u16_e64 v8, v9
; %bb.774:
	v_perm_b32 v6, v2, v6, 0x3020405
	v_perm_b32 v7, v7, v7, 0x3060504
; %bb.775:
	s_or_b32 exec_lo, exec_lo, s9
	s_or_b32 exec_lo, exec_lo, s8
	v_cmp_lt_u32_e64 s88, 3, v3
	s_and_saveexec_b32 s8, s88
	s_cbranch_execz .LBB691_728
.LBB691_776:
	v_mov_b32_e32 v2, 0xff
	v_lshrrev_b32_e32 v8, 24, v6
	s_mov_b32 s9, exec_lo
	v_and_b32_sdwa v2, v6, v2 dst_sel:DWORD dst_unused:UNUSED_PAD src0_sel:WORD_1 src1_sel:DWORD
	v_mul_lo_u16 v8, 0xcd, v8
	v_mul_lo_u16 v2, 0xcd, v2
	v_lshrrev_b16 v8, 11, v8
	v_lshrrev_b16 v2, 11, v2
	v_cmpx_lt_u16_e64 v8, v2
; %bb.777:
	v_perm_b32 v6, v6, v6, 0x6070504
	v_perm_b32 v7, v7, v7, 0x3060504
; %bb.778:
	s_or_b32 exec_lo, exec_lo, s9
	s_or_b32 exec_lo, exec_lo, s8
	v_cmp_lt_u32_e64 s79, 5, v3
	s_and_saveexec_b32 s8, s79
	s_cbranch_execz .LBB691_729
.LBB691_779:
	v_lshrrev_b32_e32 v2, 8, v7
	v_and_b32_e32 v8, 0xff, v7
	s_mov_b32 s9, exec_lo
	v_and_b32_e32 v2, 0xff, v2
	v_mul_lo_u16 v8, 0xcd, v8
	v_mul_lo_u16 v2, 0xcd, v2
	v_lshrrev_b16 v8, 11, v8
	v_lshrrev_b16 v2, 11, v2
	v_cmpx_lt_u16_e64 v2, v8
; %bb.780:
	v_perm_b32 v7, v7, v7, 0x7060405
; %bb.781:
	s_or_b32 exec_lo, exec_lo, s9
	s_or_b32 exec_lo, exec_lo, s8
	v_cmp_lt_u32_e64 s78, 7, v3
	s_and_saveexec_b32 s8, s78
	s_cbranch_execz .LBB691_730
.LBB691_782:
	v_mov_b32_e32 v2, 0xff
	v_lshrrev_b32_e32 v8, 24, v7
	s_mov_b32 s9, exec_lo
	v_and_b32_sdwa v2, v7, v2 dst_sel:DWORD dst_unused:UNUSED_PAD src0_sel:WORD_1 src1_sel:DWORD
	v_mul_lo_u16 v8, 0xcd, v8
	v_mul_lo_u16 v2, 0xcd, v2
	v_lshrrev_b16 v8, 11, v8
	v_lshrrev_b16 v2, 11, v2
	v_cmpx_lt_u16_e64 v8, v2
; %bb.783:
	v_perm_b32 v7, v7, v7, 0x6070504
; %bb.784:
	s_or_b32 exec_lo, exec_lo, s9
	s_or_b32 exec_lo, exec_lo, s8
	v_cmp_lt_u32_e64 s76, 9, v3
	s_and_saveexec_b32 s8, s76
	s_cbranch_execz .LBB691_731
.LBB691_785:
	v_lshrrev_b32_e32 v2, 8, v10
	v_and_b32_e32 v8, 0xff, v10
	s_mov_b32 s9, exec_lo
	v_and_b32_e32 v2, 0xff, v2
	v_mul_lo_u16 v8, 0xcd, v8
	v_mul_lo_u16 v2, 0xcd, v2
	v_lshrrev_b16 v8, 11, v8
	v_lshrrev_b16 v2, 11, v2
	v_cmpx_lt_u16_e64 v2, v8
; %bb.786:
	v_perm_b32 v10, v10, v10, 0x7060405
	v_perm_b32 v11, v11, v11, 0x3060504
; %bb.787:
	s_or_b32 exec_lo, exec_lo, s9
	s_or_b32 exec_lo, exec_lo, s8
	v_cmp_lt_u32_e64 s75, 11, v3
	s_and_saveexec_b32 s8, s75
	s_cbranch_execz .LBB691_732
.LBB691_788:
	v_mov_b32_e32 v2, 0xff
	v_lshrrev_b32_e32 v8, 24, v10
	s_mov_b32 s9, exec_lo
	v_and_b32_sdwa v2, v10, v2 dst_sel:DWORD dst_unused:UNUSED_PAD src0_sel:WORD_1 src1_sel:DWORD
	v_mul_lo_u16 v8, 0xcd, v8
	v_mul_lo_u16 v2, 0xcd, v2
	v_lshrrev_b16 v8, 11, v8
	v_lshrrev_b16 v2, 11, v2
	v_cmpx_lt_u16_e64 v8, v2
; %bb.789:
	v_perm_b32 v10, v10, v10, 0x6070504
	v_perm_b32 v11, v11, v11, 0x3060504
; %bb.790:
	s_or_b32 exec_lo, exec_lo, s9
	s_or_b32 exec_lo, exec_lo, s8
	v_cmp_lt_u32_e64 s74, 13, v3
	s_and_saveexec_b32 s8, s74
	s_cbranch_execz .LBB691_733
.LBB691_791:
	v_lshrrev_b32_e32 v2, 8, v11
	v_and_b32_e32 v8, 0xff, v11
	s_mov_b32 s9, exec_lo
	v_and_b32_e32 v2, 0xff, v2
	v_mul_lo_u16 v8, 0xcd, v8
	v_mul_lo_u16 v2, 0xcd, v2
	v_lshrrev_b16 v8, 11, v8
	v_lshrrev_b16 v2, 11, v2
	v_cmpx_lt_u16_e64 v2, v8
; %bb.792:
	v_perm_b32 v11, v11, v11, 0x7060405
; %bb.793:
	s_or_b32 exec_lo, exec_lo, s9
	s_or_b32 exec_lo, exec_lo, s8
	v_cmp_lt_u32_e64 s73, 15, v3
	s_and_saveexec_b32 s8, s73
	s_cbranch_execz .LBB691_734
.LBB691_794:
	v_mov_b32_e32 v2, 0xff
	v_lshrrev_b32_e32 v8, 24, v11
	s_mov_b32 s9, exec_lo
	v_and_b32_sdwa v2, v11, v2 dst_sel:DWORD dst_unused:UNUSED_PAD src0_sel:WORD_1 src1_sel:DWORD
	v_mul_lo_u16 v8, 0xcd, v8
	v_mul_lo_u16 v2, 0xcd, v2
	v_lshrrev_b16 v8, 11, v8
	v_lshrrev_b16 v2, 11, v2
	v_cmpx_lt_u16_e64 v8, v2
; %bb.795:
	v_perm_b32 v11, v11, v11, 0x6070504
; %bb.796:
	s_or_b32 exec_lo, exec_lo, s9
	s_or_b32 exec_lo, exec_lo, s8
	v_cmp_lt_u32_e64 s72, 17, v3
	s_and_saveexec_b32 s8, s72
	s_cbranch_execz .LBB691_735
.LBB691_797:
	v_lshrrev_b32_e32 v2, 8, v13
	v_and_b32_e32 v8, 0xff, v13
	s_mov_b32 s9, exec_lo
	v_and_b32_e32 v2, 0xff, v2
	v_mul_lo_u16 v8, 0xcd, v8
	v_mul_lo_u16 v2, 0xcd, v2
	v_lshrrev_b16 v8, 11, v8
	v_lshrrev_b16 v2, 11, v2
	v_cmpx_lt_u16_e64 v2, v8
; %bb.798:
	v_perm_b32 v13, v13, v13, 0x7060405
	v_perm_b32 v69, v69, v69, 0x3060504
; %bb.799:
	s_or_b32 exec_lo, exec_lo, s9
	s_or_b32 exec_lo, exec_lo, s8
	v_cmp_lt_u32_e64 s62, 19, v3
	s_and_saveexec_b32 s8, s62
	s_cbranch_execz .LBB691_736
.LBB691_800:
	v_mov_b32_e32 v2, 0xff
	v_lshrrev_b32_e32 v8, 24, v13
	s_mov_b32 s9, exec_lo
	v_and_b32_sdwa v2, v13, v2 dst_sel:DWORD dst_unused:UNUSED_PAD src0_sel:WORD_1 src1_sel:DWORD
	v_mul_lo_u16 v8, 0xcd, v8
	v_mul_lo_u16 v2, 0xcd, v2
	v_lshrrev_b16 v8, 11, v8
	v_lshrrev_b16 v2, 11, v2
	v_cmpx_lt_u16_e64 v8, v2
; %bb.801:
	v_perm_b32 v13, v13, v13, 0x6070504
	v_perm_b32 v69, v69, v69, 0x3060504
; %bb.802:
	s_or_b32 exec_lo, exec_lo, s9
	s_or_b32 exec_lo, exec_lo, s8
	v_cmp_lt_u32_e64 s61, 21, v3
	s_and_saveexec_b32 s8, s61
	s_cbranch_execz .LBB691_737
.LBB691_803:
	v_lshrrev_b32_e32 v2, 8, v69
	v_and_b32_e32 v8, 0xff, v69
	s_mov_b32 s9, exec_lo
	v_and_b32_e32 v2, 0xff, v2
	v_mul_lo_u16 v8, 0xcd, v8
	v_mul_lo_u16 v2, 0xcd, v2
	v_lshrrev_b16 v8, 11, v8
	v_lshrrev_b16 v2, 11, v2
	v_cmpx_lt_u16_e64 v2, v8
; %bb.804:
	v_perm_b32 v69, v69, v69, 0x7060405
; %bb.805:
	s_or_b32 exec_lo, exec_lo, s9
	s_or_b32 exec_lo, exec_lo, s8
	v_cmp_lt_u32_e64 s60, 23, v3
	s_and_saveexec_b32 s8, s60
	s_cbranch_execz .LBB691_738
.LBB691_806:
	v_mov_b32_e32 v2, 0xff
	v_lshrrev_b32_e32 v8, 24, v69
	s_mov_b32 s9, exec_lo
	v_and_b32_sdwa v2, v69, v2 dst_sel:DWORD dst_unused:UNUSED_PAD src0_sel:WORD_1 src1_sel:DWORD
	v_mul_lo_u16 v8, 0xcd, v8
	v_mul_lo_u16 v2, 0xcd, v2
	v_lshrrev_b16 v8, 11, v8
	v_lshrrev_b16 v2, 11, v2
	v_cmpx_lt_u16_e64 v8, v2
; %bb.807:
	v_perm_b32 v69, v69, v69, 0x6070504
; %bb.808:
	s_or_b32 exec_lo, exec_lo, s9
	s_or_b32 exec_lo, exec_lo, s8
	v_cmp_lt_u32_e64 s59, 25, v3
	s_and_saveexec_b32 s8, s59
	s_cbranch_execz .LBB691_739
.LBB691_809:
	v_lshrrev_b32_e32 v2, 8, v70
	v_and_b32_e32 v8, 0xff, v70
	s_mov_b32 s9, exec_lo
	v_and_b32_e32 v2, 0xff, v2
	v_mul_lo_u16 v8, 0xcd, v8
	v_mul_lo_u16 v2, 0xcd, v2
	v_lshrrev_b16 v8, 11, v8
	v_lshrrev_b16 v2, 11, v2
	v_cmpx_lt_u16_e64 v2, v8
; %bb.810:
	v_perm_b32 v70, v70, v70, 0x7060405
	v_perm_b32 v71, v71, v71, 0x3060504
; %bb.811:
	s_or_b32 exec_lo, exec_lo, s9
	s_or_b32 exec_lo, exec_lo, s8
	v_cmp_lt_u32_e64 s57, 27, v3
	s_and_saveexec_b32 s8, s57
	s_cbranch_execz .LBB691_740
.LBB691_812:
	v_mov_b32_e32 v2, 0xff
	v_lshrrev_b32_e32 v8, 24, v70
	s_mov_b32 s9, exec_lo
	v_and_b32_sdwa v2, v70, v2 dst_sel:DWORD dst_unused:UNUSED_PAD src0_sel:WORD_1 src1_sel:DWORD
	v_mul_lo_u16 v8, 0xcd, v8
	v_mul_lo_u16 v2, 0xcd, v2
	v_lshrrev_b16 v8, 11, v8
	v_lshrrev_b16 v2, 11, v2
	v_cmpx_lt_u16_e64 v8, v2
; %bb.813:
	v_perm_b32 v70, v70, v70, 0x6070504
	v_perm_b32 v71, v71, v71, 0x3060504
; %bb.814:
	s_or_b32 exec_lo, exec_lo, s9
	s_or_b32 exec_lo, exec_lo, s8
	v_cmp_lt_u32_e64 s56, 29, v3
	s_and_saveexec_b32 s8, s56
	s_cbranch_execz .LBB691_741
.LBB691_815:
	v_lshrrev_b32_e32 v2, 8, v71
	v_and_b32_e32 v8, 0xff, v71
	s_mov_b32 s9, exec_lo
	v_and_b32_e32 v2, 0xff, v2
	v_mul_lo_u16 v8, 0xcd, v8
	v_mul_lo_u16 v2, 0xcd, v2
	v_lshrrev_b16 v8, 11, v8
	v_lshrrev_b16 v2, 11, v2
	v_cmpx_lt_u16_e64 v2, v8
; %bb.816:
	v_perm_b32 v71, v71, v71, 0x7060405
; %bb.817:
	s_or_b32 exec_lo, exec_lo, s9
	s_or_b32 exec_lo, exec_lo, s8
	v_cmp_lt_u32_e64 s9, 31, v3
	s_and_saveexec_b32 s8, s9
	s_cbranch_execz .LBB691_821
.LBB691_818:
	v_mov_b32_e32 v2, 0xff
	v_lshrrev_b32_e32 v8, 24, v71
	s_mov_b32 s12, exec_lo
	v_and_b32_sdwa v2, v71, v2 dst_sel:DWORD dst_unused:UNUSED_PAD src0_sel:WORD_1 src1_sel:DWORD
	v_mul_lo_u16 v8, 0xcd, v8
	v_mul_lo_u16 v2, 0xcd, v2
	v_lshrrev_b16 v8, 11, v8
	v_lshrrev_b16 v2, 11, v2
	v_cmpx_lt_u16_e64 v8, v2
; %bb.819:
	v_perm_b32 v71, v71, v71, 0x6070504
; %bb.820:
	s_or_b32 exec_lo, exec_lo, s12
.LBB691_821:
	s_or_b32 exec_lo, exec_lo, s8
	v_cmp_lt_u32_e32 vcc_lo, 2, v3
	v_mov_b32_e32 v8, v6
	v_mov_b32_e32 v2, v7
	;; [unrolled: 1-line block ×8, first 2 shown]
	s_and_saveexec_b32 s8, vcc_lo
	s_xor_b32 s12, exec_lo, s8
	s_cbranch_execnz .LBB691_956
; %bb.822:
	s_or_b32 exec_lo, exec_lo, s12
	v_cmp_lt_u32_e64 s8, 4, v3
	s_and_saveexec_b32 s13, s8
	s_cbranch_execnz .LBB691_959
.LBB691_823:
	s_or_b32 exec_lo, exec_lo, s13
	v_cmp_lt_u32_e64 s58, 6, v3
	s_and_saveexec_b32 s13, s58
	s_cbranch_execnz .LBB691_962
.LBB691_824:
	s_or_b32 exec_lo, exec_lo, s13
	v_cmp_lt_u32_e64 s63, 8, v3
	s_and_saveexec_b32 s13, s63
	s_cbranch_execnz .LBB691_965
.LBB691_825:
	s_or_b32 exec_lo, exec_lo, s13
	v_cmp_lt_u32_e64 s77, 10, v3
	s_and_saveexec_b32 s13, s77
	s_cbranch_execnz .LBB691_968
.LBB691_826:
	s_or_b32 exec_lo, exec_lo, s13
	v_cmp_lt_u32_e64 s89, 12, v3
	s_and_saveexec_b32 s13, s89
	s_cbranch_execnz .LBB691_971
.LBB691_827:
	s_or_b32 exec_lo, exec_lo, s13
	v_cmp_lt_u32_e64 s90, 14, v3
	s_and_saveexec_b32 s13, s90
	s_cbranch_execnz .LBB691_974
.LBB691_828:
	s_or_b32 exec_lo, exec_lo, s13
	v_cmp_lt_u32_e64 s92, 16, v3
	s_and_saveexec_b32 s13, s92
	s_cbranch_execnz .LBB691_977
.LBB691_829:
	s_or_b32 exec_lo, exec_lo, s13
	v_cmp_lt_u32_e64 s93, 18, v3
	s_and_saveexec_b32 s13, s93
	s_cbranch_execnz .LBB691_980
.LBB691_830:
	s_or_b32 exec_lo, exec_lo, s13
	v_cmp_lt_u32_e64 s94, 20, v3
	s_and_saveexec_b32 s13, s94
	s_cbranch_execnz .LBB691_983
.LBB691_831:
	s_or_b32 exec_lo, exec_lo, s13
	v_cmp_lt_u32_e64 s95, 22, v3
	s_and_saveexec_b32 s13, s95
	s_cbranch_execnz .LBB691_986
.LBB691_832:
	s_or_b32 exec_lo, exec_lo, s13
	v_cmp_lt_u32_e64 vcc_hi, 24, v3
	s_and_saveexec_b32 s13, vcc_hi
	s_cbranch_execnz .LBB691_989
.LBB691_833:
	s_or_b32 exec_lo, exec_lo, s13
	v_cmp_lt_u32_e64 s30, 26, v3
	s_and_saveexec_b32 s13, s30
	s_cbranch_execnz .LBB691_992
.LBB691_834:
	s_or_b32 exec_lo, exec_lo, s13
	v_cmp_lt_u32_e64 s31, 28, v3
	s_and_saveexec_b32 s13, s31
	s_cbranch_execnz .LBB691_995
.LBB691_835:
	s_or_b32 exec_lo, exec_lo, s13
	v_cmp_lt_u32_e64 s34, 30, v3
	s_and_saveexec_b32 s13, s34
	s_cbranch_execnz .LBB691_998
.LBB691_836:
	s_or_b32 exec_lo, exec_lo, s13
	s_and_saveexec_b32 s13, s91
	s_cbranch_execnz .LBB691_1001
.LBB691_837:
	s_or_b32 exec_lo, exec_lo, s13
	s_and_saveexec_b32 s13, s88
	s_cbranch_execnz .LBB691_1004
.LBB691_838:
	s_or_b32 exec_lo, exec_lo, s13
	s_and_saveexec_b32 s13, s79
	s_cbranch_execnz .LBB691_1007
.LBB691_839:
	s_or_b32 exec_lo, exec_lo, s13
	s_and_saveexec_b32 s13, s78
	s_cbranch_execnz .LBB691_1010
.LBB691_840:
	s_or_b32 exec_lo, exec_lo, s13
	s_and_saveexec_b32 s13, s76
	s_cbranch_execnz .LBB691_1013
.LBB691_841:
	s_or_b32 exec_lo, exec_lo, s13
	s_and_saveexec_b32 s13, s75
	s_cbranch_execnz .LBB691_1016
.LBB691_842:
	s_or_b32 exec_lo, exec_lo, s13
	s_and_saveexec_b32 s13, s74
	s_cbranch_execnz .LBB691_1019
.LBB691_843:
	s_or_b32 exec_lo, exec_lo, s13
	s_and_saveexec_b32 s13, s73
	s_cbranch_execnz .LBB691_1022
.LBB691_844:
	s_or_b32 exec_lo, exec_lo, s13
	s_and_saveexec_b32 s13, s72
	s_cbranch_execnz .LBB691_1025
.LBB691_845:
	s_or_b32 exec_lo, exec_lo, s13
	s_and_saveexec_b32 s13, s62
	s_cbranch_execnz .LBB691_1028
.LBB691_846:
	s_or_b32 exec_lo, exec_lo, s13
	s_and_saveexec_b32 s13, s61
	s_cbranch_execnz .LBB691_1031
.LBB691_847:
	s_or_b32 exec_lo, exec_lo, s13
	s_and_saveexec_b32 s13, s60
	s_cbranch_execnz .LBB691_1034
.LBB691_848:
	s_or_b32 exec_lo, exec_lo, s13
	s_and_saveexec_b32 s13, s59
	s_cbranch_execnz .LBB691_1037
.LBB691_849:
	s_or_b32 exec_lo, exec_lo, s13
	s_and_saveexec_b32 s13, s57
	s_cbranch_execnz .LBB691_1040
.LBB691_850:
	s_or_b32 exec_lo, exec_lo, s13
	s_and_saveexec_b32 s13, s56
	s_cbranch_execnz .LBB691_1043
.LBB691_851:
	s_or_b32 exec_lo, exec_lo, s13
	s_and_saveexec_b32 s13, s9
	s_cbranch_execnz .LBB691_1046
.LBB691_852:
	s_or_b32 exec_lo, exec_lo, s13
	s_and_saveexec_b32 s13, vcc_lo
	s_cbranch_execnz .LBB691_1049
.LBB691_853:
	s_or_b32 exec_lo, exec_lo, s13
	s_and_saveexec_b32 s13, s8
	s_cbranch_execnz .LBB691_1052
.LBB691_854:
	s_or_b32 exec_lo, exec_lo, s13
	s_and_saveexec_b32 s13, s58
	s_cbranch_execnz .LBB691_1055
.LBB691_855:
	s_or_b32 exec_lo, exec_lo, s13
	s_and_saveexec_b32 s13, s63
	s_cbranch_execnz .LBB691_1058
.LBB691_856:
	s_or_b32 exec_lo, exec_lo, s13
	s_and_saveexec_b32 s13, s77
	s_cbranch_execnz .LBB691_1061
.LBB691_857:
	s_or_b32 exec_lo, exec_lo, s13
	s_and_saveexec_b32 s13, s89
	s_cbranch_execnz .LBB691_1064
.LBB691_858:
	s_or_b32 exec_lo, exec_lo, s13
	s_and_saveexec_b32 s13, s90
	s_cbranch_execnz .LBB691_1067
.LBB691_859:
	s_or_b32 exec_lo, exec_lo, s13
	s_and_saveexec_b32 s13, s92
	s_cbranch_execnz .LBB691_1070
.LBB691_860:
	s_or_b32 exec_lo, exec_lo, s13
	s_and_saveexec_b32 s13, s93
	s_cbranch_execnz .LBB691_1073
.LBB691_861:
	s_or_b32 exec_lo, exec_lo, s13
	s_and_saveexec_b32 s13, s94
	s_cbranch_execnz .LBB691_1076
.LBB691_862:
	s_or_b32 exec_lo, exec_lo, s13
	s_and_saveexec_b32 s13, s95
	s_cbranch_execnz .LBB691_1079
.LBB691_863:
	s_or_b32 exec_lo, exec_lo, s13
	s_and_saveexec_b32 s13, vcc_hi
	s_cbranch_execnz .LBB691_1082
.LBB691_864:
	s_or_b32 exec_lo, exec_lo, s13
	s_and_saveexec_b32 s13, s30
	s_cbranch_execnz .LBB691_1085
.LBB691_865:
	s_or_b32 exec_lo, exec_lo, s13
	s_and_saveexec_b32 s13, s31
	s_cbranch_execnz .LBB691_1088
.LBB691_866:
	s_or_b32 exec_lo, exec_lo, s13
	s_and_saveexec_b32 s13, s34
	s_cbranch_execnz .LBB691_1091
.LBB691_867:
	s_or_b32 exec_lo, exec_lo, s13
	s_and_saveexec_b32 s13, s91
	s_cbranch_execnz .LBB691_1094
.LBB691_868:
	s_or_b32 exec_lo, exec_lo, s13
	s_and_saveexec_b32 s13, s88
	s_cbranch_execnz .LBB691_1097
.LBB691_869:
	s_or_b32 exec_lo, exec_lo, s13
	s_and_saveexec_b32 s13, s79
	s_cbranch_execnz .LBB691_1100
.LBB691_870:
	s_or_b32 exec_lo, exec_lo, s13
	s_and_saveexec_b32 s13, s78
	s_cbranch_execnz .LBB691_1103
.LBB691_871:
	s_or_b32 exec_lo, exec_lo, s13
	s_and_saveexec_b32 s13, s76
	s_cbranch_execnz .LBB691_1106
.LBB691_872:
	s_or_b32 exec_lo, exec_lo, s13
	s_and_saveexec_b32 s13, s75
	s_cbranch_execnz .LBB691_1109
.LBB691_873:
	s_or_b32 exec_lo, exec_lo, s13
	s_and_saveexec_b32 s13, s74
	s_cbranch_execnz .LBB691_1112
.LBB691_874:
	s_or_b32 exec_lo, exec_lo, s13
	s_and_saveexec_b32 s13, s73
	s_cbranch_execnz .LBB691_1115
.LBB691_875:
	s_or_b32 exec_lo, exec_lo, s13
	s_and_saveexec_b32 s13, s72
	s_cbranch_execnz .LBB691_1118
.LBB691_876:
	s_or_b32 exec_lo, exec_lo, s13
	s_and_saveexec_b32 s13, s62
	s_cbranch_execnz .LBB691_1121
.LBB691_877:
	s_or_b32 exec_lo, exec_lo, s13
	s_and_saveexec_b32 s13, s61
	s_cbranch_execnz .LBB691_1124
.LBB691_878:
	s_or_b32 exec_lo, exec_lo, s13
	s_and_saveexec_b32 s13, s60
	s_cbranch_execnz .LBB691_1127
.LBB691_879:
	s_or_b32 exec_lo, exec_lo, s13
	s_and_saveexec_b32 s13, s59
	s_cbranch_execnz .LBB691_1130
.LBB691_880:
	s_or_b32 exec_lo, exec_lo, s13
	s_and_saveexec_b32 s13, s57
	s_cbranch_execnz .LBB691_1133
.LBB691_881:
	s_or_b32 exec_lo, exec_lo, s13
	s_and_saveexec_b32 s13, s56
	s_cbranch_execnz .LBB691_1136
.LBB691_882:
	s_or_b32 exec_lo, exec_lo, s13
	s_and_saveexec_b32 s13, s9
	s_cbranch_execnz .LBB691_1139
.LBB691_883:
	s_or_b32 exec_lo, exec_lo, s13
	s_and_saveexec_b32 s13, vcc_lo
	s_cbranch_execnz .LBB691_1142
.LBB691_884:
	s_or_b32 exec_lo, exec_lo, s13
	s_and_saveexec_b32 s13, s8
	s_cbranch_execnz .LBB691_1145
.LBB691_885:
	s_or_b32 exec_lo, exec_lo, s13
	s_and_saveexec_b32 s13, s58
	s_cbranch_execnz .LBB691_1148
.LBB691_886:
	s_or_b32 exec_lo, exec_lo, s13
	s_and_saveexec_b32 s13, s63
	s_cbranch_execnz .LBB691_1151
.LBB691_887:
	s_or_b32 exec_lo, exec_lo, s13
	s_and_saveexec_b32 s13, s77
	s_cbranch_execnz .LBB691_1154
.LBB691_888:
	s_or_b32 exec_lo, exec_lo, s13
	s_and_saveexec_b32 s13, s89
	s_cbranch_execnz .LBB691_1157
.LBB691_889:
	s_or_b32 exec_lo, exec_lo, s13
	s_and_saveexec_b32 s13, s90
	s_cbranch_execnz .LBB691_1160
.LBB691_890:
	s_or_b32 exec_lo, exec_lo, s13
	s_and_saveexec_b32 s13, s92
	s_cbranch_execnz .LBB691_1163
.LBB691_891:
	s_or_b32 exec_lo, exec_lo, s13
	s_and_saveexec_b32 s13, s93
	s_cbranch_execnz .LBB691_1166
.LBB691_892:
	s_or_b32 exec_lo, exec_lo, s13
	s_and_saveexec_b32 s13, s94
	s_cbranch_execnz .LBB691_1169
.LBB691_893:
	s_or_b32 exec_lo, exec_lo, s13
	s_and_saveexec_b32 s13, s95
	s_cbranch_execnz .LBB691_1172
.LBB691_894:
	s_or_b32 exec_lo, exec_lo, s13
	s_and_saveexec_b32 s13, vcc_hi
	s_cbranch_execnz .LBB691_1175
.LBB691_895:
	s_or_b32 exec_lo, exec_lo, s13
	s_and_saveexec_b32 s13, s30
	s_cbranch_execnz .LBB691_1178
.LBB691_896:
	s_or_b32 exec_lo, exec_lo, s13
	s_and_saveexec_b32 s13, s31
	s_cbranch_execnz .LBB691_1181
.LBB691_897:
	s_or_b32 exec_lo, exec_lo, s13
	s_and_saveexec_b32 s13, s34
	s_cbranch_execnz .LBB691_1184
.LBB691_898:
	s_or_b32 exec_lo, exec_lo, s13
	s_and_saveexec_b32 s13, s91
	s_cbranch_execnz .LBB691_1187
.LBB691_899:
	s_or_b32 exec_lo, exec_lo, s13
	s_and_saveexec_b32 s13, s88
	s_cbranch_execnz .LBB691_1190
.LBB691_900:
	s_or_b32 exec_lo, exec_lo, s13
	s_and_saveexec_b32 s13, s79
	s_cbranch_execnz .LBB691_1193
.LBB691_901:
	s_or_b32 exec_lo, exec_lo, s13
	s_and_saveexec_b32 s13, s78
	s_cbranch_execnz .LBB691_1196
.LBB691_902:
	s_or_b32 exec_lo, exec_lo, s13
	s_and_saveexec_b32 s13, s76
	s_cbranch_execnz .LBB691_1199
.LBB691_903:
	s_or_b32 exec_lo, exec_lo, s13
	s_and_saveexec_b32 s13, s75
	s_cbranch_execnz .LBB691_1202
.LBB691_904:
	s_or_b32 exec_lo, exec_lo, s13
	s_and_saveexec_b32 s13, s74
	s_cbranch_execnz .LBB691_1205
.LBB691_905:
	s_or_b32 exec_lo, exec_lo, s13
	s_and_saveexec_b32 s13, s73
	s_cbranch_execnz .LBB691_1208
.LBB691_906:
	s_or_b32 exec_lo, exec_lo, s13
	s_and_saveexec_b32 s13, s72
	s_cbranch_execnz .LBB691_1211
.LBB691_907:
	s_or_b32 exec_lo, exec_lo, s13
	s_and_saveexec_b32 s13, s62
	s_cbranch_execnz .LBB691_1214
.LBB691_908:
	s_or_b32 exec_lo, exec_lo, s13
	s_and_saveexec_b32 s13, s61
	s_cbranch_execnz .LBB691_1217
.LBB691_909:
	s_or_b32 exec_lo, exec_lo, s13
	s_and_saveexec_b32 s13, s60
	s_cbranch_execnz .LBB691_1220
.LBB691_910:
	s_or_b32 exec_lo, exec_lo, s13
	s_and_saveexec_b32 s13, s59
	s_cbranch_execnz .LBB691_1223
.LBB691_911:
	s_or_b32 exec_lo, exec_lo, s13
	s_and_saveexec_b32 s13, s57
	s_cbranch_execnz .LBB691_1226
.LBB691_912:
	s_or_b32 exec_lo, exec_lo, s13
	s_and_saveexec_b32 s13, s56
	s_cbranch_execnz .LBB691_1229
.LBB691_913:
	s_or_b32 exec_lo, exec_lo, s13
	s_and_saveexec_b32 s13, s9
	s_cbranch_execnz .LBB691_1232
.LBB691_914:
	s_or_b32 exec_lo, exec_lo, s13
	s_and_saveexec_b32 s13, vcc_lo
	s_cbranch_execnz .LBB691_1235
.LBB691_915:
	s_or_b32 exec_lo, exec_lo, s13
	s_and_saveexec_b32 s13, s8
	s_cbranch_execnz .LBB691_1238
.LBB691_916:
	s_or_b32 exec_lo, exec_lo, s13
	s_and_saveexec_b32 s13, s58
	s_cbranch_execnz .LBB691_1241
.LBB691_917:
	s_or_b32 exec_lo, exec_lo, s13
	s_and_saveexec_b32 s13, s63
	s_cbranch_execnz .LBB691_1244
.LBB691_918:
	s_or_b32 exec_lo, exec_lo, s13
	s_and_saveexec_b32 s13, s77
	s_cbranch_execnz .LBB691_1247
.LBB691_919:
	s_or_b32 exec_lo, exec_lo, s13
	s_and_saveexec_b32 s13, s89
	s_cbranch_execnz .LBB691_1250
.LBB691_920:
	s_or_b32 exec_lo, exec_lo, s13
	s_and_saveexec_b32 s13, s90
	s_cbranch_execnz .LBB691_1253
.LBB691_921:
	s_or_b32 exec_lo, exec_lo, s13
	s_and_saveexec_b32 s13, s92
	s_cbranch_execnz .LBB691_1256
.LBB691_922:
	s_or_b32 exec_lo, exec_lo, s13
	s_and_saveexec_b32 s13, s93
	s_cbranch_execnz .LBB691_1259
.LBB691_923:
	s_or_b32 exec_lo, exec_lo, s13
	s_and_saveexec_b32 s13, s94
	s_cbranch_execnz .LBB691_1262
.LBB691_924:
	s_or_b32 exec_lo, exec_lo, s13
	s_and_saveexec_b32 s13, s95
	s_cbranch_execnz .LBB691_1265
.LBB691_925:
	s_or_b32 exec_lo, exec_lo, s13
	s_and_saveexec_b32 s13, vcc_hi
	s_cbranch_execnz .LBB691_1268
.LBB691_926:
	s_or_b32 exec_lo, exec_lo, s13
	s_and_saveexec_b32 s13, s30
	s_cbranch_execnz .LBB691_1271
.LBB691_927:
	s_or_b32 exec_lo, exec_lo, s13
	s_and_saveexec_b32 s13, s31
	s_cbranch_execnz .LBB691_1274
.LBB691_928:
	s_or_b32 exec_lo, exec_lo, s13
	s_and_saveexec_b32 s13, s34
	s_cbranch_execnz .LBB691_1277
.LBB691_929:
	s_or_b32 exec_lo, exec_lo, s13
	s_and_saveexec_b32 s13, s91
	s_cbranch_execnz .LBB691_1280
.LBB691_930:
	s_or_b32 exec_lo, exec_lo, s13
	s_and_saveexec_b32 s13, s88
	s_cbranch_execnz .LBB691_1283
.LBB691_931:
	s_or_b32 exec_lo, exec_lo, s13
	s_and_saveexec_b32 s13, s79
	s_cbranch_execnz .LBB691_1286
.LBB691_932:
	s_or_b32 exec_lo, exec_lo, s13
	s_and_saveexec_b32 s13, s78
	s_cbranch_execnz .LBB691_1289
.LBB691_933:
	s_or_b32 exec_lo, exec_lo, s13
	s_and_saveexec_b32 s13, s76
	s_cbranch_execnz .LBB691_1292
.LBB691_934:
	s_or_b32 exec_lo, exec_lo, s13
	s_and_saveexec_b32 s13, s75
	s_cbranch_execnz .LBB691_1295
.LBB691_935:
	s_or_b32 exec_lo, exec_lo, s13
	s_and_saveexec_b32 s13, s74
	s_cbranch_execnz .LBB691_1298
.LBB691_936:
	s_or_b32 exec_lo, exec_lo, s13
	s_and_saveexec_b32 s13, s73
	s_cbranch_execnz .LBB691_1301
.LBB691_937:
	s_or_b32 exec_lo, exec_lo, s13
	s_and_saveexec_b32 s13, s72
	s_cbranch_execnz .LBB691_1304
.LBB691_938:
	s_or_b32 exec_lo, exec_lo, s13
	s_and_saveexec_b32 s13, s62
	s_cbranch_execnz .LBB691_1307
.LBB691_939:
	s_or_b32 exec_lo, exec_lo, s13
	s_and_saveexec_b32 s13, s61
	s_cbranch_execnz .LBB691_1310
.LBB691_940:
	s_or_b32 exec_lo, exec_lo, s13
	s_and_saveexec_b32 s13, s60
	s_cbranch_execnz .LBB691_1313
.LBB691_941:
	s_or_b32 exec_lo, exec_lo, s13
	s_and_saveexec_b32 s13, s59
	s_cbranch_execnz .LBB691_1316
.LBB691_942:
	s_or_b32 exec_lo, exec_lo, s13
	s_and_saveexec_b32 s13, s57
	s_cbranch_execnz .LBB691_1319
.LBB691_943:
	s_or_b32 exec_lo, exec_lo, s13
	s_and_saveexec_b32 s13, s56
	s_cbranch_execnz .LBB691_1322
.LBB691_944:
	s_or_b32 exec_lo, exec_lo, s13
	s_and_saveexec_b32 s13, s9
	s_cbranch_execnz .LBB691_1325
.LBB691_945:
	s_or_b32 exec_lo, exec_lo, s13
	s_and_saveexec_b32 s13, vcc_lo
	s_cbranch_execnz .LBB691_1328
.LBB691_946:
	s_or_b32 exec_lo, exec_lo, s13
	s_and_saveexec_b32 s13, s8
	s_cbranch_execnz .LBB691_1331
.LBB691_947:
	s_or_b32 exec_lo, exec_lo, s13
	s_and_saveexec_b32 s13, s58
	s_cbranch_execnz .LBB691_1334
.LBB691_948:
	s_or_b32 exec_lo, exec_lo, s13
	s_and_saveexec_b32 s13, s63
	s_cbranch_execnz .LBB691_1337
.LBB691_949:
	s_or_b32 exec_lo, exec_lo, s13
	s_and_saveexec_b32 s13, s77
	s_cbranch_execnz .LBB691_1340
.LBB691_950:
	s_or_b32 exec_lo, exec_lo, s13
	s_and_saveexec_b32 s13, s89
	s_cbranch_execnz .LBB691_1343
.LBB691_951:
	s_or_b32 exec_lo, exec_lo, s13
	s_and_saveexec_b32 s13, s90
	s_cbranch_execnz .LBB691_1346
.LBB691_952:
	s_or_b32 exec_lo, exec_lo, s13
	s_and_saveexec_b32 s13, s92
	s_cbranch_execnz .LBB691_1349
.LBB691_953:
	s_or_b32 exec_lo, exec_lo, s13
	s_and_saveexec_b32 s13, s93
	s_cbranch_execnz .LBB691_1352
.LBB691_954:
	s_or_b32 exec_lo, exec_lo, s13
	s_and_saveexec_b32 s13, s94
	s_cbranch_execnz .LBB691_1355
.LBB691_955:
	s_or_b32 exec_lo, exec_lo, s13
	s_and_saveexec_b32 s13, s95
	s_cbranch_execnz .LBB691_1358
	s_branch .LBB691_1361
.LBB691_956:
	v_mov_b32_e32 v2, 0xff
	v_lshrrev_b32_e32 v8, 8, v6
	s_mov_b32 s13, exec_lo
	v_and_b32_sdwa v2, v6, v2 dst_sel:DWORD dst_unused:UNUSED_PAD src0_sel:WORD_1 src1_sel:DWORD
	v_and_b32_e32 v8, 0xff, v8
	v_mul_lo_u16 v2, 0xcd, v2
	v_mul_lo_u16 v8, 0xcd, v8
	v_lshrrev_b16 v2, 11, v2
	v_lshrrev_b16 v8, 11, v8
	v_cmpx_lt_u16_e64 v2, v8
; %bb.957:
	v_perm_b32 v6, v6, v6, 0x7050604
	v_perm_b32 v7, v7, v7, 0x3060504
; %bb.958:
	s_or_b32 exec_lo, exec_lo, s13
	v_mov_b32_e32 v8, v6
	v_mov_b32_e32 v2, v7
	;; [unrolled: 1-line block ×8, first 2 shown]
	s_or_b32 exec_lo, exec_lo, s12
	v_cmp_lt_u32_e64 s8, 4, v3
	s_and_saveexec_b32 s13, s8
	s_cbranch_execz .LBB691_823
.LBB691_959:
	v_and_b32_e32 v6, 0xff, v2
	v_lshrrev_b32_e32 v7, 24, v8
	s_mov_b32 s58, exec_lo
	v_mul_lo_u16 v6, 0xcd, v6
	v_mul_lo_u16 v7, 0xcd, v7
	v_lshrrev_b16 v6, 11, v6
	v_lshrrev_b16 v7, 11, v7
	v_cmpx_lt_u16_e64 v6, v7
; %bb.960:
	v_perm_b32 v6, v8, v2, 0x3020107
	v_perm_b32 v8, v8, v2, 0x60504
	v_mov_b32_e32 v2, v6
; %bb.961:
	s_or_b32 exec_lo, exec_lo, s58
	s_or_b32 exec_lo, exec_lo, s13
	v_cmp_lt_u32_e64 s58, 6, v3
	s_and_saveexec_b32 s13, s58
	s_cbranch_execz .LBB691_824
.LBB691_962:
	v_mov_b32_e32 v6, 0xff
	v_lshrrev_b32_e32 v7, 8, v2
	s_mov_b32 s63, exec_lo
	v_and_b32_sdwa v6, v2, v6 dst_sel:DWORD dst_unused:UNUSED_PAD src0_sel:WORD_1 src1_sel:DWORD
	v_and_b32_e32 v7, 0xff, v7
	v_mul_lo_u16 v6, 0xcd, v6
	v_mul_lo_u16 v7, 0xcd, v7
	v_lshrrev_b16 v6, 11, v6
	v_lshrrev_b16 v7, 11, v7
	v_cmpx_lt_u16_e64 v6, v7
; %bb.963:
	v_perm_b32 v2, v2, v2, 0x7050604
; %bb.964:
	s_or_b32 exec_lo, exec_lo, s63
	s_or_b32 exec_lo, exec_lo, s13
	v_cmp_lt_u32_e64 s63, 8, v3
	s_and_saveexec_b32 s13, s63
	s_cbranch_execz .LBB691_825
.LBB691_965:
	v_and_b32_e32 v6, 0xff, v14
	v_lshrrev_b32_e32 v7, 24, v2
	s_mov_b32 s77, exec_lo
	v_mul_lo_u16 v6, 0xcd, v6
	v_mul_lo_u16 v7, 0xcd, v7
	v_lshrrev_b16 v6, 11, v6
	v_lshrrev_b16 v7, 11, v7
	v_cmpx_lt_u16_e64 v6, v7
; %bb.966:
	v_perm_b32 v6, v2, v14, 0x3020107
	v_perm_b32 v2, v2, v14, 0x60504
	v_perm_b32 v9, v9, v9, 0x3060504
	v_mov_b32_e32 v14, v6
; %bb.967:
	s_or_b32 exec_lo, exec_lo, s77
	s_or_b32 exec_lo, exec_lo, s13
	v_cmp_lt_u32_e64 s77, 10, v3
	s_and_saveexec_b32 s13, s77
	s_cbranch_execz .LBB691_826
.LBB691_968:
	v_mov_b32_e32 v6, 0xff
	v_lshrrev_b32_e32 v7, 8, v14
	s_mov_b32 s89, exec_lo
	v_and_b32_sdwa v6, v14, v6 dst_sel:DWORD dst_unused:UNUSED_PAD src0_sel:WORD_1 src1_sel:DWORD
	v_and_b32_e32 v7, 0xff, v7
	v_mul_lo_u16 v6, 0xcd, v6
	v_mul_lo_u16 v7, 0xcd, v7
	v_lshrrev_b16 v6, 11, v6
	v_lshrrev_b16 v7, 11, v7
	v_cmpx_lt_u16_e64 v6, v7
; %bb.969:
	v_perm_b32 v14, v14, v14, 0x7050604
	v_perm_b32 v9, v9, v9, 0x3060504
; %bb.970:
	s_or_b32 exec_lo, exec_lo, s89
	s_or_b32 exec_lo, exec_lo, s13
	v_cmp_lt_u32_e64 s89, 12, v3
	s_and_saveexec_b32 s13, s89
	s_cbranch_execz .LBB691_827
.LBB691_971:
	v_and_b32_e32 v6, 0xff, v9
	v_lshrrev_b32_e32 v7, 24, v14
	s_mov_b32 s90, exec_lo
	v_mul_lo_u16 v6, 0xcd, v6
	v_mul_lo_u16 v7, 0xcd, v7
	v_lshrrev_b16 v6, 11, v6
	v_lshrrev_b16 v7, 11, v7
	v_cmpx_lt_u16_e64 v6, v7
; %bb.972:
	v_perm_b32 v6, v14, v9, 0x3020107
	v_perm_b32 v14, v14, v9, 0x60504
	v_mov_b32_e32 v9, v6
; %bb.973:
	s_or_b32 exec_lo, exec_lo, s90
	s_or_b32 exec_lo, exec_lo, s13
	v_cmp_lt_u32_e64 s90, 14, v3
	s_and_saveexec_b32 s13, s90
	s_cbranch_execz .LBB691_828
.LBB691_974:
	v_mov_b32_e32 v6, 0xff
	v_lshrrev_b32_e32 v7, 8, v9
	s_mov_b32 s92, exec_lo
	v_and_b32_sdwa v6, v9, v6 dst_sel:DWORD dst_unused:UNUSED_PAD src0_sel:WORD_1 src1_sel:DWORD
	v_and_b32_e32 v7, 0xff, v7
	v_mul_lo_u16 v6, 0xcd, v6
	v_mul_lo_u16 v7, 0xcd, v7
	v_lshrrev_b16 v6, 11, v6
	v_lshrrev_b16 v7, 11, v7
	v_cmpx_lt_u16_e64 v6, v7
; %bb.975:
	v_perm_b32 v9, v9, v9, 0x7050604
; %bb.976:
	s_or_b32 exec_lo, exec_lo, s92
	s_or_b32 exec_lo, exec_lo, s13
	v_cmp_lt_u32_e64 s92, 16, v3
	s_and_saveexec_b32 s13, s92
	s_cbranch_execz .LBB691_829
.LBB691_977:
	v_and_b32_e32 v6, 0xff, v68
	v_lshrrev_b32_e32 v7, 24, v9
	s_mov_b32 s93, exec_lo
	v_mul_lo_u16 v6, 0xcd, v6
	v_mul_lo_u16 v7, 0xcd, v7
	v_lshrrev_b16 v6, 11, v6
	v_lshrrev_b16 v7, 11, v7
	v_cmpx_lt_u16_e64 v6, v7
; %bb.978:
	v_perm_b32 v6, v9, v68, 0x3020107
	v_perm_b32 v9, v9, v68, 0x60504
	;; [unrolled: 1-line block ×3, first 2 shown]
	v_mov_b32_e32 v68, v6
; %bb.979:
	s_or_b32 exec_lo, exec_lo, s93
	s_or_b32 exec_lo, exec_lo, s13
	v_cmp_lt_u32_e64 s93, 18, v3
	s_and_saveexec_b32 s13, s93
	s_cbranch_execz .LBB691_830
.LBB691_980:
	v_mov_b32_e32 v6, 0xff
	v_lshrrev_b32_e32 v7, 8, v68
	s_mov_b32 s94, exec_lo
	v_and_b32_sdwa v6, v68, v6 dst_sel:DWORD dst_unused:UNUSED_PAD src0_sel:WORD_1 src1_sel:DWORD
	v_and_b32_e32 v7, 0xff, v7
	v_mul_lo_u16 v6, 0xcd, v6
	v_mul_lo_u16 v7, 0xcd, v7
	v_lshrrev_b16 v6, 11, v6
	v_lshrrev_b16 v7, 11, v7
	v_cmpx_lt_u16_e64 v6, v7
; %bb.981:
	v_perm_b32 v68, v68, v68, 0x7050604
	v_perm_b32 v12, v12, v12, 0x3060504
; %bb.982:
	s_or_b32 exec_lo, exec_lo, s94
	s_or_b32 exec_lo, exec_lo, s13
	v_cmp_lt_u32_e64 s94, 20, v3
	s_and_saveexec_b32 s13, s94
	s_cbranch_execz .LBB691_831
.LBB691_983:
	v_and_b32_e32 v6, 0xff, v12
	v_lshrrev_b32_e32 v7, 24, v68
	s_mov_b32 s95, exec_lo
	v_mul_lo_u16 v6, 0xcd, v6
	v_mul_lo_u16 v7, 0xcd, v7
	v_lshrrev_b16 v6, 11, v6
	v_lshrrev_b16 v7, 11, v7
	v_cmpx_lt_u16_e64 v6, v7
; %bb.984:
	v_perm_b32 v6, v68, v12, 0x3020107
	v_perm_b32 v68, v68, v12, 0x60504
	v_mov_b32_e32 v12, v6
; %bb.985:
	s_or_b32 exec_lo, exec_lo, s95
	s_or_b32 exec_lo, exec_lo, s13
	v_cmp_lt_u32_e64 s95, 22, v3
	s_and_saveexec_b32 s13, s95
	s_cbranch_execz .LBB691_832
.LBB691_986:
	v_mov_b32_e32 v6, 0xff
	v_lshrrev_b32_e32 v7, 8, v12
	s_mov_b32 vcc_hi, exec_lo
	v_and_b32_sdwa v6, v12, v6 dst_sel:DWORD dst_unused:UNUSED_PAD src0_sel:WORD_1 src1_sel:DWORD
	v_and_b32_e32 v7, 0xff, v7
	v_mul_lo_u16 v6, 0xcd, v6
	v_mul_lo_u16 v7, 0xcd, v7
	v_lshrrev_b16 v6, 11, v6
	v_lshrrev_b16 v7, 11, v7
	v_cmpx_lt_u16_e64 v6, v7
; %bb.987:
	v_perm_b32 v12, v12, v12, 0x7050604
; %bb.988:
	s_or_b32 exec_lo, exec_lo, vcc_hi
	s_or_b32 exec_lo, exec_lo, s13
	v_cmp_lt_u32_e64 vcc_hi, 24, v3
	s_and_saveexec_b32 s13, vcc_hi
	s_cbranch_execz .LBB691_833
.LBB691_989:
	v_and_b32_e32 v6, 0xff, v16
	v_lshrrev_b32_e32 v7, 24, v12
	s_mov_b32 s30, exec_lo
	v_mul_lo_u16 v6, 0xcd, v6
	v_mul_lo_u16 v7, 0xcd, v7
	v_lshrrev_b16 v6, 11, v6
	v_lshrrev_b16 v7, 11, v7
	v_cmpx_lt_u16_e64 v6, v7
; %bb.990:
	v_perm_b32 v6, v12, v16, 0x3020107
	v_perm_b32 v12, v12, v16, 0x60504
	;; [unrolled: 1-line block ×3, first 2 shown]
	v_mov_b32_e32 v16, v6
; %bb.991:
	s_or_b32 exec_lo, exec_lo, s30
	s_or_b32 exec_lo, exec_lo, s13
	v_cmp_lt_u32_e64 s30, 26, v3
	s_and_saveexec_b32 s13, s30
	s_cbranch_execz .LBB691_834
.LBB691_992:
	v_mov_b32_e32 v6, 0xff
	v_lshrrev_b32_e32 v7, 8, v16
	s_mov_b32 s31, exec_lo
	v_and_b32_sdwa v6, v16, v6 dst_sel:DWORD dst_unused:UNUSED_PAD src0_sel:WORD_1 src1_sel:DWORD
	v_and_b32_e32 v7, 0xff, v7
	v_mul_lo_u16 v6, 0xcd, v6
	v_mul_lo_u16 v7, 0xcd, v7
	v_lshrrev_b16 v6, 11, v6
	v_lshrrev_b16 v7, 11, v7
	v_cmpx_lt_u16_e64 v6, v7
; %bb.993:
	v_perm_b32 v16, v16, v16, 0x7050604
	v_perm_b32 v15, v15, v15, 0x3060504
; %bb.994:
	s_or_b32 exec_lo, exec_lo, s31
	s_or_b32 exec_lo, exec_lo, s13
	v_cmp_lt_u32_e64 s31, 28, v3
	s_and_saveexec_b32 s13, s31
	s_cbranch_execz .LBB691_835
.LBB691_995:
	v_and_b32_e32 v6, 0xff, v15
	v_lshrrev_b32_e32 v7, 24, v16
	s_mov_b32 s34, exec_lo
	v_mul_lo_u16 v6, 0xcd, v6
	v_mul_lo_u16 v7, 0xcd, v7
	v_lshrrev_b16 v6, 11, v6
	v_lshrrev_b16 v7, 11, v7
	v_cmpx_lt_u16_e64 v6, v7
; %bb.996:
	v_perm_b32 v6, v16, v15, 0x3020107
	v_perm_b32 v16, v16, v15, 0x60504
	v_mov_b32_e32 v15, v6
; %bb.997:
	s_or_b32 exec_lo, exec_lo, s34
	s_or_b32 exec_lo, exec_lo, s13
	v_cmp_lt_u32_e64 s34, 30, v3
	s_and_saveexec_b32 s13, s34
	s_cbranch_execz .LBB691_836
.LBB691_998:
	v_mov_b32_e32 v3, 0xff
	v_lshrrev_b32_e32 v6, 8, v15
	s_mov_b32 s39, exec_lo
	v_and_b32_sdwa v3, v15, v3 dst_sel:DWORD dst_unused:UNUSED_PAD src0_sel:WORD_1 src1_sel:DWORD
	v_and_b32_e32 v6, 0xff, v6
	v_mul_lo_u16 v3, 0xcd, v3
	v_mul_lo_u16 v6, 0xcd, v6
	v_lshrrev_b16 v3, 11, v3
	v_lshrrev_b16 v6, 11, v6
	v_cmpx_lt_u16_e64 v3, v6
; %bb.999:
	v_perm_b32 v15, v15, v15, 0x7050604
; %bb.1000:
	s_or_b32 exec_lo, exec_lo, s39
	s_or_b32 exec_lo, exec_lo, s13
	s_and_saveexec_b32 s13, s91
	s_cbranch_execz .LBB691_837
.LBB691_1001:
	v_lshrrev_b32_e32 v3, 8, v8
	v_and_b32_e32 v6, 0xff, v8
	s_mov_b32 s39, exec_lo
	v_and_b32_e32 v3, 0xff, v3
	v_mul_lo_u16 v6, 0xcd, v6
	v_mul_lo_u16 v3, 0xcd, v3
	v_lshrrev_b16 v6, 11, v6
	v_lshrrev_b16 v3, 11, v3
	v_cmpx_lt_u16_e64 v3, v6
; %bb.1002:
	v_perm_b32 v8, v8, v8, 0x7060405
	v_perm_b32 v2, v2, v2, 0x3060504
; %bb.1003:
	s_or_b32 exec_lo, exec_lo, s39
	s_or_b32 exec_lo, exec_lo, s13
	s_and_saveexec_b32 s13, s88
	s_cbranch_execz .LBB691_838
.LBB691_1004:
	v_mov_b32_e32 v3, 0xff
	v_lshrrev_b32_e32 v6, 24, v8
	s_mov_b32 s39, exec_lo
	v_and_b32_sdwa v3, v8, v3 dst_sel:DWORD dst_unused:UNUSED_PAD src0_sel:WORD_1 src1_sel:DWORD
	v_mul_lo_u16 v6, 0xcd, v6
	v_mul_lo_u16 v3, 0xcd, v3
	v_lshrrev_b16 v6, 11, v6
	v_lshrrev_b16 v3, 11, v3
	v_cmpx_lt_u16_e64 v6, v3
; %bb.1005:
	v_perm_b32 v8, v8, v8, 0x6070504
	v_perm_b32 v2, v2, v2, 0x3060504
; %bb.1006:
	s_or_b32 exec_lo, exec_lo, s39
	s_or_b32 exec_lo, exec_lo, s13
	s_and_saveexec_b32 s13, s79
	s_cbranch_execz .LBB691_839
.LBB691_1007:
	v_lshrrev_b32_e32 v3, 8, v2
	v_and_b32_e32 v6, 0xff, v2
	s_mov_b32 s39, exec_lo
	v_and_b32_e32 v3, 0xff, v3
	v_mul_lo_u16 v6, 0xcd, v6
	v_mul_lo_u16 v3, 0xcd, v3
	v_lshrrev_b16 v6, 11, v6
	v_lshrrev_b16 v3, 11, v3
	v_cmpx_lt_u16_e64 v3, v6
; %bb.1008:
	v_perm_b32 v2, v2, v2, 0x7060405
; %bb.1009:
	s_or_b32 exec_lo, exec_lo, s39
	s_or_b32 exec_lo, exec_lo, s13
	s_and_saveexec_b32 s13, s78
	s_cbranch_execz .LBB691_840
.LBB691_1010:
	v_mov_b32_e32 v3, 0xff
	v_lshrrev_b32_e32 v6, 24, v2
	s_mov_b32 s39, exec_lo
	v_and_b32_sdwa v3, v2, v3 dst_sel:DWORD dst_unused:UNUSED_PAD src0_sel:WORD_1 src1_sel:DWORD
	v_mul_lo_u16 v6, 0xcd, v6
	v_mul_lo_u16 v3, 0xcd, v3
	v_lshrrev_b16 v6, 11, v6
	v_lshrrev_b16 v3, 11, v3
	v_cmpx_lt_u16_e64 v6, v3
; %bb.1011:
	v_perm_b32 v2, v2, v2, 0x6070504
; %bb.1012:
	s_or_b32 exec_lo, exec_lo, s39
	s_or_b32 exec_lo, exec_lo, s13
	s_and_saveexec_b32 s13, s76
	s_cbranch_execz .LBB691_841
.LBB691_1013:
	v_lshrrev_b32_e32 v3, 8, v14
	v_and_b32_e32 v6, 0xff, v14
	s_mov_b32 s39, exec_lo
	v_and_b32_e32 v3, 0xff, v3
	v_mul_lo_u16 v6, 0xcd, v6
	v_mul_lo_u16 v3, 0xcd, v3
	v_lshrrev_b16 v6, 11, v6
	v_lshrrev_b16 v3, 11, v3
	v_cmpx_lt_u16_e64 v3, v6
; %bb.1014:
	v_perm_b32 v14, v14, v14, 0x7060405
	v_perm_b32 v9, v9, v9, 0x3060504
; %bb.1015:
	s_or_b32 exec_lo, exec_lo, s39
	s_or_b32 exec_lo, exec_lo, s13
	s_and_saveexec_b32 s13, s75
	s_cbranch_execz .LBB691_842
.LBB691_1016:
	v_mov_b32_e32 v3, 0xff
	v_lshrrev_b32_e32 v6, 24, v14
	s_mov_b32 s39, exec_lo
	v_and_b32_sdwa v3, v14, v3 dst_sel:DWORD dst_unused:UNUSED_PAD src0_sel:WORD_1 src1_sel:DWORD
	v_mul_lo_u16 v6, 0xcd, v6
	v_mul_lo_u16 v3, 0xcd, v3
	v_lshrrev_b16 v6, 11, v6
	v_lshrrev_b16 v3, 11, v3
	v_cmpx_lt_u16_e64 v6, v3
; %bb.1017:
	v_perm_b32 v14, v14, v14, 0x6070504
	v_perm_b32 v9, v9, v9, 0x3060504
; %bb.1018:
	s_or_b32 exec_lo, exec_lo, s39
	s_or_b32 exec_lo, exec_lo, s13
	s_and_saveexec_b32 s13, s74
	s_cbranch_execz .LBB691_843
.LBB691_1019:
	v_lshrrev_b32_e32 v3, 8, v9
	v_and_b32_e32 v6, 0xff, v9
	s_mov_b32 s39, exec_lo
	v_and_b32_e32 v3, 0xff, v3
	v_mul_lo_u16 v6, 0xcd, v6
	v_mul_lo_u16 v3, 0xcd, v3
	v_lshrrev_b16 v6, 11, v6
	v_lshrrev_b16 v3, 11, v3
	v_cmpx_lt_u16_e64 v3, v6
; %bb.1020:
	v_perm_b32 v9, v9, v9, 0x7060405
; %bb.1021:
	s_or_b32 exec_lo, exec_lo, s39
	s_or_b32 exec_lo, exec_lo, s13
	s_and_saveexec_b32 s13, s73
	s_cbranch_execz .LBB691_844
.LBB691_1022:
	v_mov_b32_e32 v3, 0xff
	v_lshrrev_b32_e32 v6, 24, v9
	s_mov_b32 s39, exec_lo
	v_and_b32_sdwa v3, v9, v3 dst_sel:DWORD dst_unused:UNUSED_PAD src0_sel:WORD_1 src1_sel:DWORD
	v_mul_lo_u16 v6, 0xcd, v6
	v_mul_lo_u16 v3, 0xcd, v3
	v_lshrrev_b16 v6, 11, v6
	v_lshrrev_b16 v3, 11, v3
	v_cmpx_lt_u16_e64 v6, v3
; %bb.1023:
	v_perm_b32 v9, v9, v9, 0x6070504
; %bb.1024:
	s_or_b32 exec_lo, exec_lo, s39
	s_or_b32 exec_lo, exec_lo, s13
	s_and_saveexec_b32 s13, s72
	s_cbranch_execz .LBB691_845
.LBB691_1025:
	v_lshrrev_b32_e32 v3, 8, v68
	v_and_b32_e32 v6, 0xff, v68
	s_mov_b32 s39, exec_lo
	v_and_b32_e32 v3, 0xff, v3
	v_mul_lo_u16 v6, 0xcd, v6
	v_mul_lo_u16 v3, 0xcd, v3
	v_lshrrev_b16 v6, 11, v6
	v_lshrrev_b16 v3, 11, v3
	v_cmpx_lt_u16_e64 v3, v6
; %bb.1026:
	v_perm_b32 v68, v68, v68, 0x7060405
	v_perm_b32 v12, v12, v12, 0x3060504
; %bb.1027:
	s_or_b32 exec_lo, exec_lo, s39
	s_or_b32 exec_lo, exec_lo, s13
	s_and_saveexec_b32 s13, s62
	s_cbranch_execz .LBB691_846
.LBB691_1028:
	v_mov_b32_e32 v3, 0xff
	v_lshrrev_b32_e32 v6, 24, v68
	s_mov_b32 s39, exec_lo
	v_and_b32_sdwa v3, v68, v3 dst_sel:DWORD dst_unused:UNUSED_PAD src0_sel:WORD_1 src1_sel:DWORD
	v_mul_lo_u16 v6, 0xcd, v6
	v_mul_lo_u16 v3, 0xcd, v3
	v_lshrrev_b16 v6, 11, v6
	v_lshrrev_b16 v3, 11, v3
	v_cmpx_lt_u16_e64 v6, v3
; %bb.1029:
	v_perm_b32 v68, v68, v68, 0x6070504
	v_perm_b32 v12, v12, v12, 0x3060504
; %bb.1030:
	s_or_b32 exec_lo, exec_lo, s39
	s_or_b32 exec_lo, exec_lo, s13
	s_and_saveexec_b32 s13, s61
	s_cbranch_execz .LBB691_847
.LBB691_1031:
	v_lshrrev_b32_e32 v3, 8, v12
	v_and_b32_e32 v6, 0xff, v12
	s_mov_b32 s39, exec_lo
	v_and_b32_e32 v3, 0xff, v3
	v_mul_lo_u16 v6, 0xcd, v6
	v_mul_lo_u16 v3, 0xcd, v3
	v_lshrrev_b16 v6, 11, v6
	v_lshrrev_b16 v3, 11, v3
	v_cmpx_lt_u16_e64 v3, v6
; %bb.1032:
	v_perm_b32 v12, v12, v12, 0x7060405
; %bb.1033:
	s_or_b32 exec_lo, exec_lo, s39
	s_or_b32 exec_lo, exec_lo, s13
	s_and_saveexec_b32 s13, s60
	s_cbranch_execz .LBB691_848
.LBB691_1034:
	v_mov_b32_e32 v3, 0xff
	v_lshrrev_b32_e32 v6, 24, v12
	s_mov_b32 s39, exec_lo
	v_and_b32_sdwa v3, v12, v3 dst_sel:DWORD dst_unused:UNUSED_PAD src0_sel:WORD_1 src1_sel:DWORD
	v_mul_lo_u16 v6, 0xcd, v6
	v_mul_lo_u16 v3, 0xcd, v3
	v_lshrrev_b16 v6, 11, v6
	v_lshrrev_b16 v3, 11, v3
	v_cmpx_lt_u16_e64 v6, v3
; %bb.1035:
	v_perm_b32 v12, v12, v12, 0x6070504
; %bb.1036:
	s_or_b32 exec_lo, exec_lo, s39
	s_or_b32 exec_lo, exec_lo, s13
	s_and_saveexec_b32 s13, s59
	s_cbranch_execz .LBB691_849
.LBB691_1037:
	v_lshrrev_b32_e32 v3, 8, v16
	v_and_b32_e32 v6, 0xff, v16
	s_mov_b32 s39, exec_lo
	v_and_b32_e32 v3, 0xff, v3
	v_mul_lo_u16 v6, 0xcd, v6
	v_mul_lo_u16 v3, 0xcd, v3
	v_lshrrev_b16 v6, 11, v6
	v_lshrrev_b16 v3, 11, v3
	v_cmpx_lt_u16_e64 v3, v6
; %bb.1038:
	v_perm_b32 v16, v16, v16, 0x7060405
	v_perm_b32 v15, v15, v15, 0x3060504
; %bb.1039:
	s_or_b32 exec_lo, exec_lo, s39
	s_or_b32 exec_lo, exec_lo, s13
	s_and_saveexec_b32 s13, s57
	s_cbranch_execz .LBB691_850
.LBB691_1040:
	v_mov_b32_e32 v3, 0xff
	v_lshrrev_b32_e32 v6, 24, v16
	s_mov_b32 s39, exec_lo
	v_and_b32_sdwa v3, v16, v3 dst_sel:DWORD dst_unused:UNUSED_PAD src0_sel:WORD_1 src1_sel:DWORD
	v_mul_lo_u16 v6, 0xcd, v6
	v_mul_lo_u16 v3, 0xcd, v3
	v_lshrrev_b16 v6, 11, v6
	v_lshrrev_b16 v3, 11, v3
	v_cmpx_lt_u16_e64 v6, v3
; %bb.1041:
	v_perm_b32 v16, v16, v16, 0x6070504
	v_perm_b32 v15, v15, v15, 0x3060504
; %bb.1042:
	s_or_b32 exec_lo, exec_lo, s39
	s_or_b32 exec_lo, exec_lo, s13
	s_and_saveexec_b32 s13, s56
	s_cbranch_execz .LBB691_851
.LBB691_1043:
	v_lshrrev_b32_e32 v3, 8, v15
	v_and_b32_e32 v6, 0xff, v15
	s_mov_b32 s39, exec_lo
	v_and_b32_e32 v3, 0xff, v3
	v_mul_lo_u16 v6, 0xcd, v6
	v_mul_lo_u16 v3, 0xcd, v3
	v_lshrrev_b16 v6, 11, v6
	v_lshrrev_b16 v3, 11, v3
	v_cmpx_lt_u16_e64 v3, v6
; %bb.1044:
	v_perm_b32 v15, v15, v15, 0x7060405
; %bb.1045:
	s_or_b32 exec_lo, exec_lo, s39
	s_or_b32 exec_lo, exec_lo, s13
	s_and_saveexec_b32 s13, s9
	s_cbranch_execz .LBB691_852
.LBB691_1046:
	v_mov_b32_e32 v3, 0xff
	v_lshrrev_b32_e32 v6, 24, v15
	s_mov_b32 s39, exec_lo
	v_and_b32_sdwa v3, v15, v3 dst_sel:DWORD dst_unused:UNUSED_PAD src0_sel:WORD_1 src1_sel:DWORD
	v_mul_lo_u16 v6, 0xcd, v6
	v_mul_lo_u16 v3, 0xcd, v3
	v_lshrrev_b16 v6, 11, v6
	v_lshrrev_b16 v3, 11, v3
	v_cmpx_lt_u16_e64 v6, v3
; %bb.1047:
	v_perm_b32 v15, v15, v15, 0x6070504
; %bb.1048:
	s_or_b32 exec_lo, exec_lo, s39
	s_or_b32 exec_lo, exec_lo, s13
	s_and_saveexec_b32 s13, vcc_lo
	s_cbranch_execz .LBB691_853
.LBB691_1049:
	v_mov_b32_e32 v3, 0xff
	v_lshrrev_b32_e32 v6, 8, v8
	s_mov_b32 s39, exec_lo
	v_and_b32_sdwa v3, v8, v3 dst_sel:DWORD dst_unused:UNUSED_PAD src0_sel:WORD_1 src1_sel:DWORD
	v_and_b32_e32 v6, 0xff, v6
	v_mul_lo_u16 v3, 0xcd, v3
	v_mul_lo_u16 v6, 0xcd, v6
	v_lshrrev_b16 v3, 11, v3
	v_lshrrev_b16 v6, 11, v6
	v_cmpx_lt_u16_e64 v3, v6
; %bb.1050:
	v_perm_b32 v8, v8, v8, 0x7050604
	v_perm_b32 v2, v2, v2, 0x3060504
; %bb.1051:
	s_or_b32 exec_lo, exec_lo, s39
	s_or_b32 exec_lo, exec_lo, s13
	s_and_saveexec_b32 s13, s8
	s_cbranch_execz .LBB691_854
.LBB691_1052:
	v_and_b32_e32 v3, 0xff, v2
	v_lshrrev_b32_e32 v6, 24, v8
	s_mov_b32 s39, exec_lo
	v_mul_lo_u16 v3, 0xcd, v3
	v_mul_lo_u16 v6, 0xcd, v6
	v_lshrrev_b16 v3, 11, v3
	v_lshrrev_b16 v6, 11, v6
	v_cmpx_lt_u16_e64 v3, v6
; %bb.1053:
	v_perm_b32 v3, v8, v2, 0x3020107
	v_perm_b32 v8, v8, v2, 0x60504
	v_mov_b32_e32 v2, v3
; %bb.1054:
	s_or_b32 exec_lo, exec_lo, s39
	s_or_b32 exec_lo, exec_lo, s13
	s_and_saveexec_b32 s13, s58
	s_cbranch_execz .LBB691_855
.LBB691_1055:
	v_mov_b32_e32 v3, 0xff
	v_lshrrev_b32_e32 v6, 8, v2
	s_mov_b32 s39, exec_lo
	v_and_b32_sdwa v3, v2, v3 dst_sel:DWORD dst_unused:UNUSED_PAD src0_sel:WORD_1 src1_sel:DWORD
	v_and_b32_e32 v6, 0xff, v6
	v_mul_lo_u16 v3, 0xcd, v3
	v_mul_lo_u16 v6, 0xcd, v6
	v_lshrrev_b16 v3, 11, v3
	v_lshrrev_b16 v6, 11, v6
	v_cmpx_lt_u16_e64 v3, v6
; %bb.1056:
	v_perm_b32 v2, v2, v2, 0x7050604
; %bb.1057:
	s_or_b32 exec_lo, exec_lo, s39
	s_or_b32 exec_lo, exec_lo, s13
	s_and_saveexec_b32 s13, s63
	s_cbranch_execz .LBB691_856
.LBB691_1058:
	v_and_b32_e32 v3, 0xff, v14
	v_lshrrev_b32_e32 v6, 24, v2
	s_mov_b32 s39, exec_lo
	v_mul_lo_u16 v3, 0xcd, v3
	v_mul_lo_u16 v6, 0xcd, v6
	v_lshrrev_b16 v3, 11, v3
	v_lshrrev_b16 v6, 11, v6
	v_cmpx_lt_u16_e64 v3, v6
; %bb.1059:
	v_perm_b32 v3, v2, v14, 0x3020107
	v_perm_b32 v2, v2, v14, 0x60504
	;; [unrolled: 1-line block ×3, first 2 shown]
	v_mov_b32_e32 v14, v3
; %bb.1060:
	s_or_b32 exec_lo, exec_lo, s39
	s_or_b32 exec_lo, exec_lo, s13
	s_and_saveexec_b32 s13, s77
	s_cbranch_execz .LBB691_857
.LBB691_1061:
	v_mov_b32_e32 v3, 0xff
	v_lshrrev_b32_e32 v6, 8, v14
	s_mov_b32 s39, exec_lo
	v_and_b32_sdwa v3, v14, v3 dst_sel:DWORD dst_unused:UNUSED_PAD src0_sel:WORD_1 src1_sel:DWORD
	v_and_b32_e32 v6, 0xff, v6
	v_mul_lo_u16 v3, 0xcd, v3
	v_mul_lo_u16 v6, 0xcd, v6
	v_lshrrev_b16 v3, 11, v3
	v_lshrrev_b16 v6, 11, v6
	v_cmpx_lt_u16_e64 v3, v6
; %bb.1062:
	v_perm_b32 v14, v14, v14, 0x7050604
	v_perm_b32 v9, v9, v9, 0x3060504
; %bb.1063:
	s_or_b32 exec_lo, exec_lo, s39
	s_or_b32 exec_lo, exec_lo, s13
	s_and_saveexec_b32 s13, s89
	s_cbranch_execz .LBB691_858
.LBB691_1064:
	v_and_b32_e32 v3, 0xff, v9
	v_lshrrev_b32_e32 v6, 24, v14
	s_mov_b32 s39, exec_lo
	v_mul_lo_u16 v3, 0xcd, v3
	v_mul_lo_u16 v6, 0xcd, v6
	v_lshrrev_b16 v3, 11, v3
	v_lshrrev_b16 v6, 11, v6
	v_cmpx_lt_u16_e64 v3, v6
; %bb.1065:
	v_perm_b32 v3, v14, v9, 0x3020107
	v_perm_b32 v14, v14, v9, 0x60504
	v_mov_b32_e32 v9, v3
; %bb.1066:
	s_or_b32 exec_lo, exec_lo, s39
	s_or_b32 exec_lo, exec_lo, s13
	s_and_saveexec_b32 s13, s90
	s_cbranch_execz .LBB691_859
.LBB691_1067:
	v_mov_b32_e32 v3, 0xff
	v_lshrrev_b32_e32 v6, 8, v9
	s_mov_b32 s39, exec_lo
	v_and_b32_sdwa v3, v9, v3 dst_sel:DWORD dst_unused:UNUSED_PAD src0_sel:WORD_1 src1_sel:DWORD
	v_and_b32_e32 v6, 0xff, v6
	v_mul_lo_u16 v3, 0xcd, v3
	v_mul_lo_u16 v6, 0xcd, v6
	v_lshrrev_b16 v3, 11, v3
	v_lshrrev_b16 v6, 11, v6
	v_cmpx_lt_u16_e64 v3, v6
; %bb.1068:
	v_perm_b32 v9, v9, v9, 0x7050604
; %bb.1069:
	s_or_b32 exec_lo, exec_lo, s39
	s_or_b32 exec_lo, exec_lo, s13
	s_and_saveexec_b32 s13, s92
	s_cbranch_execz .LBB691_860
.LBB691_1070:
	v_and_b32_e32 v3, 0xff, v68
	v_lshrrev_b32_e32 v6, 24, v9
	s_mov_b32 s39, exec_lo
	v_mul_lo_u16 v3, 0xcd, v3
	v_mul_lo_u16 v6, 0xcd, v6
	v_lshrrev_b16 v3, 11, v3
	v_lshrrev_b16 v6, 11, v6
	v_cmpx_lt_u16_e64 v3, v6
; %bb.1071:
	v_perm_b32 v3, v9, v68, 0x3020107
	v_perm_b32 v9, v9, v68, 0x60504
	;; [unrolled: 1-line block ×3, first 2 shown]
	v_mov_b32_e32 v68, v3
; %bb.1072:
	s_or_b32 exec_lo, exec_lo, s39
	s_or_b32 exec_lo, exec_lo, s13
	s_and_saveexec_b32 s13, s93
	s_cbranch_execz .LBB691_861
.LBB691_1073:
	v_mov_b32_e32 v3, 0xff
	v_lshrrev_b32_e32 v6, 8, v68
	s_mov_b32 s39, exec_lo
	v_and_b32_sdwa v3, v68, v3 dst_sel:DWORD dst_unused:UNUSED_PAD src0_sel:WORD_1 src1_sel:DWORD
	v_and_b32_e32 v6, 0xff, v6
	v_mul_lo_u16 v3, 0xcd, v3
	v_mul_lo_u16 v6, 0xcd, v6
	v_lshrrev_b16 v3, 11, v3
	v_lshrrev_b16 v6, 11, v6
	v_cmpx_lt_u16_e64 v3, v6
; %bb.1074:
	v_perm_b32 v68, v68, v68, 0x7050604
	v_perm_b32 v12, v12, v12, 0x3060504
; %bb.1075:
	s_or_b32 exec_lo, exec_lo, s39
	s_or_b32 exec_lo, exec_lo, s13
	s_and_saveexec_b32 s13, s94
	s_cbranch_execz .LBB691_862
.LBB691_1076:
	v_and_b32_e32 v3, 0xff, v12
	v_lshrrev_b32_e32 v6, 24, v68
	s_mov_b32 s39, exec_lo
	v_mul_lo_u16 v3, 0xcd, v3
	v_mul_lo_u16 v6, 0xcd, v6
	v_lshrrev_b16 v3, 11, v3
	v_lshrrev_b16 v6, 11, v6
	v_cmpx_lt_u16_e64 v3, v6
; %bb.1077:
	v_perm_b32 v3, v68, v12, 0x3020107
	v_perm_b32 v68, v68, v12, 0x60504
	v_mov_b32_e32 v12, v3
; %bb.1078:
	s_or_b32 exec_lo, exec_lo, s39
	s_or_b32 exec_lo, exec_lo, s13
	s_and_saveexec_b32 s13, s95
	s_cbranch_execz .LBB691_863
.LBB691_1079:
	v_mov_b32_e32 v3, 0xff
	v_lshrrev_b32_e32 v6, 8, v12
	s_mov_b32 s39, exec_lo
	v_and_b32_sdwa v3, v12, v3 dst_sel:DWORD dst_unused:UNUSED_PAD src0_sel:WORD_1 src1_sel:DWORD
	v_and_b32_e32 v6, 0xff, v6
	v_mul_lo_u16 v3, 0xcd, v3
	v_mul_lo_u16 v6, 0xcd, v6
	v_lshrrev_b16 v3, 11, v3
	v_lshrrev_b16 v6, 11, v6
	v_cmpx_lt_u16_e64 v3, v6
; %bb.1080:
	v_perm_b32 v12, v12, v12, 0x7050604
; %bb.1081:
	s_or_b32 exec_lo, exec_lo, s39
	s_or_b32 exec_lo, exec_lo, s13
	s_and_saveexec_b32 s13, vcc_hi
	s_cbranch_execz .LBB691_864
.LBB691_1082:
	v_and_b32_e32 v3, 0xff, v16
	v_lshrrev_b32_e32 v6, 24, v12
	s_mov_b32 s39, exec_lo
	v_mul_lo_u16 v3, 0xcd, v3
	v_mul_lo_u16 v6, 0xcd, v6
	v_lshrrev_b16 v3, 11, v3
	v_lshrrev_b16 v6, 11, v6
	v_cmpx_lt_u16_e64 v3, v6
; %bb.1083:
	v_perm_b32 v3, v12, v16, 0x3020107
	v_perm_b32 v12, v12, v16, 0x60504
	v_perm_b32 v15, v15, v15, 0x3060504
	v_mov_b32_e32 v16, v3
; %bb.1084:
	s_or_b32 exec_lo, exec_lo, s39
	s_or_b32 exec_lo, exec_lo, s13
	s_and_saveexec_b32 s13, s30
	s_cbranch_execz .LBB691_865
.LBB691_1085:
	v_mov_b32_e32 v3, 0xff
	v_lshrrev_b32_e32 v6, 8, v16
	s_mov_b32 s39, exec_lo
	v_and_b32_sdwa v3, v16, v3 dst_sel:DWORD dst_unused:UNUSED_PAD src0_sel:WORD_1 src1_sel:DWORD
	v_and_b32_e32 v6, 0xff, v6
	v_mul_lo_u16 v3, 0xcd, v3
	v_mul_lo_u16 v6, 0xcd, v6
	v_lshrrev_b16 v3, 11, v3
	v_lshrrev_b16 v6, 11, v6
	v_cmpx_lt_u16_e64 v3, v6
; %bb.1086:
	v_perm_b32 v16, v16, v16, 0x7050604
	v_perm_b32 v15, v15, v15, 0x3060504
; %bb.1087:
	s_or_b32 exec_lo, exec_lo, s39
	s_or_b32 exec_lo, exec_lo, s13
	s_and_saveexec_b32 s13, s31
	s_cbranch_execz .LBB691_866
.LBB691_1088:
	v_and_b32_e32 v3, 0xff, v15
	v_lshrrev_b32_e32 v6, 24, v16
	s_mov_b32 s39, exec_lo
	v_mul_lo_u16 v3, 0xcd, v3
	v_mul_lo_u16 v6, 0xcd, v6
	v_lshrrev_b16 v3, 11, v3
	v_lshrrev_b16 v6, 11, v6
	v_cmpx_lt_u16_e64 v3, v6
; %bb.1089:
	v_perm_b32 v3, v16, v15, 0x3020107
	v_perm_b32 v16, v16, v15, 0x60504
	v_mov_b32_e32 v15, v3
; %bb.1090:
	s_or_b32 exec_lo, exec_lo, s39
	s_or_b32 exec_lo, exec_lo, s13
	s_and_saveexec_b32 s13, s34
	s_cbranch_execz .LBB691_867
.LBB691_1091:
	v_mov_b32_e32 v3, 0xff
	v_lshrrev_b32_e32 v6, 8, v15
	s_mov_b32 s39, exec_lo
	v_and_b32_sdwa v3, v15, v3 dst_sel:DWORD dst_unused:UNUSED_PAD src0_sel:WORD_1 src1_sel:DWORD
	v_and_b32_e32 v6, 0xff, v6
	v_mul_lo_u16 v3, 0xcd, v3
	v_mul_lo_u16 v6, 0xcd, v6
	v_lshrrev_b16 v3, 11, v3
	v_lshrrev_b16 v6, 11, v6
	v_cmpx_lt_u16_e64 v3, v6
; %bb.1092:
	v_perm_b32 v15, v15, v15, 0x7050604
; %bb.1093:
	s_or_b32 exec_lo, exec_lo, s39
	s_or_b32 exec_lo, exec_lo, s13
	s_and_saveexec_b32 s13, s91
	s_cbranch_execz .LBB691_868
.LBB691_1094:
	v_lshrrev_b32_e32 v3, 8, v8
	v_and_b32_e32 v6, 0xff, v8
	s_mov_b32 s39, exec_lo
	v_and_b32_e32 v3, 0xff, v3
	v_mul_lo_u16 v6, 0xcd, v6
	v_mul_lo_u16 v3, 0xcd, v3
	v_lshrrev_b16 v6, 11, v6
	v_lshrrev_b16 v3, 11, v3
	v_cmpx_lt_u16_e64 v3, v6
; %bb.1095:
	v_perm_b32 v8, v8, v8, 0x7060405
	v_perm_b32 v2, v2, v2, 0x3060504
; %bb.1096:
	s_or_b32 exec_lo, exec_lo, s39
	s_or_b32 exec_lo, exec_lo, s13
	s_and_saveexec_b32 s13, s88
	s_cbranch_execz .LBB691_869
.LBB691_1097:
	v_mov_b32_e32 v3, 0xff
	v_lshrrev_b32_e32 v6, 24, v8
	s_mov_b32 s39, exec_lo
	v_and_b32_sdwa v3, v8, v3 dst_sel:DWORD dst_unused:UNUSED_PAD src0_sel:WORD_1 src1_sel:DWORD
	v_mul_lo_u16 v6, 0xcd, v6
	v_mul_lo_u16 v3, 0xcd, v3
	v_lshrrev_b16 v6, 11, v6
	v_lshrrev_b16 v3, 11, v3
	v_cmpx_lt_u16_e64 v6, v3
; %bb.1098:
	v_perm_b32 v8, v8, v8, 0x6070504
	v_perm_b32 v2, v2, v2, 0x3060504
; %bb.1099:
	s_or_b32 exec_lo, exec_lo, s39
	s_or_b32 exec_lo, exec_lo, s13
	s_and_saveexec_b32 s13, s79
	s_cbranch_execz .LBB691_870
.LBB691_1100:
	v_lshrrev_b32_e32 v3, 8, v2
	v_and_b32_e32 v6, 0xff, v2
	s_mov_b32 s39, exec_lo
	v_and_b32_e32 v3, 0xff, v3
	v_mul_lo_u16 v6, 0xcd, v6
	v_mul_lo_u16 v3, 0xcd, v3
	v_lshrrev_b16 v6, 11, v6
	v_lshrrev_b16 v3, 11, v3
	v_cmpx_lt_u16_e64 v3, v6
; %bb.1101:
	v_perm_b32 v2, v2, v2, 0x7060405
; %bb.1102:
	s_or_b32 exec_lo, exec_lo, s39
	s_or_b32 exec_lo, exec_lo, s13
	s_and_saveexec_b32 s13, s78
	s_cbranch_execz .LBB691_871
.LBB691_1103:
	v_mov_b32_e32 v3, 0xff
	v_lshrrev_b32_e32 v6, 24, v2
	s_mov_b32 s39, exec_lo
	v_and_b32_sdwa v3, v2, v3 dst_sel:DWORD dst_unused:UNUSED_PAD src0_sel:WORD_1 src1_sel:DWORD
	v_mul_lo_u16 v6, 0xcd, v6
	v_mul_lo_u16 v3, 0xcd, v3
	v_lshrrev_b16 v6, 11, v6
	v_lshrrev_b16 v3, 11, v3
	v_cmpx_lt_u16_e64 v6, v3
; %bb.1104:
	v_perm_b32 v2, v2, v2, 0x6070504
; %bb.1105:
	s_or_b32 exec_lo, exec_lo, s39
	s_or_b32 exec_lo, exec_lo, s13
	s_and_saveexec_b32 s13, s76
	s_cbranch_execz .LBB691_872
.LBB691_1106:
	v_lshrrev_b32_e32 v3, 8, v14
	v_and_b32_e32 v6, 0xff, v14
	s_mov_b32 s39, exec_lo
	v_and_b32_e32 v3, 0xff, v3
	v_mul_lo_u16 v6, 0xcd, v6
	v_mul_lo_u16 v3, 0xcd, v3
	v_lshrrev_b16 v6, 11, v6
	v_lshrrev_b16 v3, 11, v3
	v_cmpx_lt_u16_e64 v3, v6
; %bb.1107:
	v_perm_b32 v14, v14, v14, 0x7060405
	v_perm_b32 v9, v9, v9, 0x3060504
; %bb.1108:
	s_or_b32 exec_lo, exec_lo, s39
	s_or_b32 exec_lo, exec_lo, s13
	s_and_saveexec_b32 s13, s75
	s_cbranch_execz .LBB691_873
.LBB691_1109:
	v_mov_b32_e32 v3, 0xff
	v_lshrrev_b32_e32 v6, 24, v14
	s_mov_b32 s39, exec_lo
	v_and_b32_sdwa v3, v14, v3 dst_sel:DWORD dst_unused:UNUSED_PAD src0_sel:WORD_1 src1_sel:DWORD
	v_mul_lo_u16 v6, 0xcd, v6
	v_mul_lo_u16 v3, 0xcd, v3
	v_lshrrev_b16 v6, 11, v6
	v_lshrrev_b16 v3, 11, v3
	v_cmpx_lt_u16_e64 v6, v3
; %bb.1110:
	v_perm_b32 v14, v14, v14, 0x6070504
	v_perm_b32 v9, v9, v9, 0x3060504
; %bb.1111:
	s_or_b32 exec_lo, exec_lo, s39
	s_or_b32 exec_lo, exec_lo, s13
	s_and_saveexec_b32 s13, s74
	s_cbranch_execz .LBB691_874
.LBB691_1112:
	v_lshrrev_b32_e32 v3, 8, v9
	v_and_b32_e32 v6, 0xff, v9
	s_mov_b32 s39, exec_lo
	v_and_b32_e32 v3, 0xff, v3
	v_mul_lo_u16 v6, 0xcd, v6
	v_mul_lo_u16 v3, 0xcd, v3
	v_lshrrev_b16 v6, 11, v6
	v_lshrrev_b16 v3, 11, v3
	v_cmpx_lt_u16_e64 v3, v6
; %bb.1113:
	v_perm_b32 v9, v9, v9, 0x7060405
; %bb.1114:
	s_or_b32 exec_lo, exec_lo, s39
	s_or_b32 exec_lo, exec_lo, s13
	s_and_saveexec_b32 s13, s73
	s_cbranch_execz .LBB691_875
.LBB691_1115:
	v_mov_b32_e32 v3, 0xff
	v_lshrrev_b32_e32 v6, 24, v9
	s_mov_b32 s39, exec_lo
	v_and_b32_sdwa v3, v9, v3 dst_sel:DWORD dst_unused:UNUSED_PAD src0_sel:WORD_1 src1_sel:DWORD
	v_mul_lo_u16 v6, 0xcd, v6
	v_mul_lo_u16 v3, 0xcd, v3
	v_lshrrev_b16 v6, 11, v6
	v_lshrrev_b16 v3, 11, v3
	v_cmpx_lt_u16_e64 v6, v3
; %bb.1116:
	v_perm_b32 v9, v9, v9, 0x6070504
; %bb.1117:
	s_or_b32 exec_lo, exec_lo, s39
	s_or_b32 exec_lo, exec_lo, s13
	s_and_saveexec_b32 s13, s72
	s_cbranch_execz .LBB691_876
.LBB691_1118:
	v_lshrrev_b32_e32 v3, 8, v68
	v_and_b32_e32 v6, 0xff, v68
	s_mov_b32 s39, exec_lo
	v_and_b32_e32 v3, 0xff, v3
	v_mul_lo_u16 v6, 0xcd, v6
	v_mul_lo_u16 v3, 0xcd, v3
	v_lshrrev_b16 v6, 11, v6
	v_lshrrev_b16 v3, 11, v3
	v_cmpx_lt_u16_e64 v3, v6
; %bb.1119:
	v_perm_b32 v68, v68, v68, 0x7060405
	v_perm_b32 v12, v12, v12, 0x3060504
; %bb.1120:
	s_or_b32 exec_lo, exec_lo, s39
	s_or_b32 exec_lo, exec_lo, s13
	s_and_saveexec_b32 s13, s62
	s_cbranch_execz .LBB691_877
.LBB691_1121:
	v_mov_b32_e32 v3, 0xff
	v_lshrrev_b32_e32 v6, 24, v68
	s_mov_b32 s39, exec_lo
	v_and_b32_sdwa v3, v68, v3 dst_sel:DWORD dst_unused:UNUSED_PAD src0_sel:WORD_1 src1_sel:DWORD
	v_mul_lo_u16 v6, 0xcd, v6
	v_mul_lo_u16 v3, 0xcd, v3
	v_lshrrev_b16 v6, 11, v6
	v_lshrrev_b16 v3, 11, v3
	v_cmpx_lt_u16_e64 v6, v3
; %bb.1122:
	v_perm_b32 v68, v68, v68, 0x6070504
	v_perm_b32 v12, v12, v12, 0x3060504
; %bb.1123:
	s_or_b32 exec_lo, exec_lo, s39
	s_or_b32 exec_lo, exec_lo, s13
	s_and_saveexec_b32 s13, s61
	s_cbranch_execz .LBB691_878
.LBB691_1124:
	v_lshrrev_b32_e32 v3, 8, v12
	v_and_b32_e32 v6, 0xff, v12
	s_mov_b32 s39, exec_lo
	v_and_b32_e32 v3, 0xff, v3
	v_mul_lo_u16 v6, 0xcd, v6
	v_mul_lo_u16 v3, 0xcd, v3
	v_lshrrev_b16 v6, 11, v6
	v_lshrrev_b16 v3, 11, v3
	v_cmpx_lt_u16_e64 v3, v6
; %bb.1125:
	v_perm_b32 v12, v12, v12, 0x7060405
; %bb.1126:
	s_or_b32 exec_lo, exec_lo, s39
	s_or_b32 exec_lo, exec_lo, s13
	s_and_saveexec_b32 s13, s60
	s_cbranch_execz .LBB691_879
.LBB691_1127:
	v_mov_b32_e32 v3, 0xff
	v_lshrrev_b32_e32 v6, 24, v12
	s_mov_b32 s39, exec_lo
	v_and_b32_sdwa v3, v12, v3 dst_sel:DWORD dst_unused:UNUSED_PAD src0_sel:WORD_1 src1_sel:DWORD
	v_mul_lo_u16 v6, 0xcd, v6
	v_mul_lo_u16 v3, 0xcd, v3
	v_lshrrev_b16 v6, 11, v6
	v_lshrrev_b16 v3, 11, v3
	v_cmpx_lt_u16_e64 v6, v3
; %bb.1128:
	v_perm_b32 v12, v12, v12, 0x6070504
; %bb.1129:
	s_or_b32 exec_lo, exec_lo, s39
	s_or_b32 exec_lo, exec_lo, s13
	s_and_saveexec_b32 s13, s59
	s_cbranch_execz .LBB691_880
.LBB691_1130:
	v_lshrrev_b32_e32 v3, 8, v16
	v_and_b32_e32 v6, 0xff, v16
	s_mov_b32 s39, exec_lo
	v_and_b32_e32 v3, 0xff, v3
	v_mul_lo_u16 v6, 0xcd, v6
	v_mul_lo_u16 v3, 0xcd, v3
	v_lshrrev_b16 v6, 11, v6
	v_lshrrev_b16 v3, 11, v3
	v_cmpx_lt_u16_e64 v3, v6
; %bb.1131:
	v_perm_b32 v16, v16, v16, 0x7060405
	v_perm_b32 v15, v15, v15, 0x3060504
; %bb.1132:
	s_or_b32 exec_lo, exec_lo, s39
	s_or_b32 exec_lo, exec_lo, s13
	s_and_saveexec_b32 s13, s57
	s_cbranch_execz .LBB691_881
.LBB691_1133:
	v_mov_b32_e32 v3, 0xff
	v_lshrrev_b32_e32 v6, 24, v16
	s_mov_b32 s39, exec_lo
	v_and_b32_sdwa v3, v16, v3 dst_sel:DWORD dst_unused:UNUSED_PAD src0_sel:WORD_1 src1_sel:DWORD
	v_mul_lo_u16 v6, 0xcd, v6
	v_mul_lo_u16 v3, 0xcd, v3
	v_lshrrev_b16 v6, 11, v6
	v_lshrrev_b16 v3, 11, v3
	v_cmpx_lt_u16_e64 v6, v3
; %bb.1134:
	v_perm_b32 v16, v16, v16, 0x6070504
	v_perm_b32 v15, v15, v15, 0x3060504
; %bb.1135:
	s_or_b32 exec_lo, exec_lo, s39
	s_or_b32 exec_lo, exec_lo, s13
	s_and_saveexec_b32 s13, s56
	s_cbranch_execz .LBB691_882
.LBB691_1136:
	v_lshrrev_b32_e32 v3, 8, v15
	v_and_b32_e32 v6, 0xff, v15
	s_mov_b32 s39, exec_lo
	v_and_b32_e32 v3, 0xff, v3
	v_mul_lo_u16 v6, 0xcd, v6
	v_mul_lo_u16 v3, 0xcd, v3
	v_lshrrev_b16 v6, 11, v6
	v_lshrrev_b16 v3, 11, v3
	v_cmpx_lt_u16_e64 v3, v6
; %bb.1137:
	v_perm_b32 v15, v15, v15, 0x7060405
; %bb.1138:
	s_or_b32 exec_lo, exec_lo, s39
	s_or_b32 exec_lo, exec_lo, s13
	s_and_saveexec_b32 s13, s9
	s_cbranch_execz .LBB691_883
.LBB691_1139:
	v_mov_b32_e32 v3, 0xff
	v_lshrrev_b32_e32 v6, 24, v15
	s_mov_b32 s39, exec_lo
	v_and_b32_sdwa v3, v15, v3 dst_sel:DWORD dst_unused:UNUSED_PAD src0_sel:WORD_1 src1_sel:DWORD
	v_mul_lo_u16 v6, 0xcd, v6
	v_mul_lo_u16 v3, 0xcd, v3
	v_lshrrev_b16 v6, 11, v6
	v_lshrrev_b16 v3, 11, v3
	v_cmpx_lt_u16_e64 v6, v3
; %bb.1140:
	v_perm_b32 v15, v15, v15, 0x6070504
; %bb.1141:
	s_or_b32 exec_lo, exec_lo, s39
	s_or_b32 exec_lo, exec_lo, s13
	s_and_saveexec_b32 s13, vcc_lo
	s_cbranch_execz .LBB691_884
.LBB691_1142:
	v_mov_b32_e32 v3, 0xff
	v_lshrrev_b32_e32 v6, 8, v8
	s_mov_b32 s39, exec_lo
	v_and_b32_sdwa v3, v8, v3 dst_sel:DWORD dst_unused:UNUSED_PAD src0_sel:WORD_1 src1_sel:DWORD
	v_and_b32_e32 v6, 0xff, v6
	v_mul_lo_u16 v3, 0xcd, v3
	v_mul_lo_u16 v6, 0xcd, v6
	v_lshrrev_b16 v3, 11, v3
	v_lshrrev_b16 v6, 11, v6
	v_cmpx_lt_u16_e64 v3, v6
; %bb.1143:
	v_perm_b32 v8, v8, v8, 0x7050604
	v_perm_b32 v2, v2, v2, 0x3060504
; %bb.1144:
	s_or_b32 exec_lo, exec_lo, s39
	s_or_b32 exec_lo, exec_lo, s13
	s_and_saveexec_b32 s13, s8
	s_cbranch_execz .LBB691_885
.LBB691_1145:
	v_and_b32_e32 v3, 0xff, v2
	v_lshrrev_b32_e32 v6, 24, v8
	s_mov_b32 s39, exec_lo
	v_mul_lo_u16 v3, 0xcd, v3
	v_mul_lo_u16 v6, 0xcd, v6
	v_lshrrev_b16 v3, 11, v3
	v_lshrrev_b16 v6, 11, v6
	v_cmpx_lt_u16_e64 v3, v6
; %bb.1146:
	v_perm_b32 v3, v8, v2, 0x3020107
	v_perm_b32 v8, v8, v2, 0x60504
	v_mov_b32_e32 v2, v3
; %bb.1147:
	s_or_b32 exec_lo, exec_lo, s39
	s_or_b32 exec_lo, exec_lo, s13
	s_and_saveexec_b32 s13, s58
	s_cbranch_execz .LBB691_886
.LBB691_1148:
	v_mov_b32_e32 v3, 0xff
	v_lshrrev_b32_e32 v6, 8, v2
	s_mov_b32 s39, exec_lo
	v_and_b32_sdwa v3, v2, v3 dst_sel:DWORD dst_unused:UNUSED_PAD src0_sel:WORD_1 src1_sel:DWORD
	v_and_b32_e32 v6, 0xff, v6
	v_mul_lo_u16 v3, 0xcd, v3
	v_mul_lo_u16 v6, 0xcd, v6
	v_lshrrev_b16 v3, 11, v3
	v_lshrrev_b16 v6, 11, v6
	v_cmpx_lt_u16_e64 v3, v6
; %bb.1149:
	v_perm_b32 v2, v2, v2, 0x7050604
; %bb.1150:
	s_or_b32 exec_lo, exec_lo, s39
	s_or_b32 exec_lo, exec_lo, s13
	s_and_saveexec_b32 s13, s63
	s_cbranch_execz .LBB691_887
.LBB691_1151:
	v_and_b32_e32 v3, 0xff, v14
	v_lshrrev_b32_e32 v6, 24, v2
	s_mov_b32 s39, exec_lo
	v_mul_lo_u16 v3, 0xcd, v3
	v_mul_lo_u16 v6, 0xcd, v6
	v_lshrrev_b16 v3, 11, v3
	v_lshrrev_b16 v6, 11, v6
	v_cmpx_lt_u16_e64 v3, v6
; %bb.1152:
	v_perm_b32 v3, v2, v14, 0x3020107
	v_perm_b32 v2, v2, v14, 0x60504
	;; [unrolled: 1-line block ×3, first 2 shown]
	v_mov_b32_e32 v14, v3
; %bb.1153:
	s_or_b32 exec_lo, exec_lo, s39
	s_or_b32 exec_lo, exec_lo, s13
	s_and_saveexec_b32 s13, s77
	s_cbranch_execz .LBB691_888
.LBB691_1154:
	v_mov_b32_e32 v3, 0xff
	v_lshrrev_b32_e32 v6, 8, v14
	s_mov_b32 s39, exec_lo
	v_and_b32_sdwa v3, v14, v3 dst_sel:DWORD dst_unused:UNUSED_PAD src0_sel:WORD_1 src1_sel:DWORD
	v_and_b32_e32 v6, 0xff, v6
	v_mul_lo_u16 v3, 0xcd, v3
	v_mul_lo_u16 v6, 0xcd, v6
	v_lshrrev_b16 v3, 11, v3
	v_lshrrev_b16 v6, 11, v6
	v_cmpx_lt_u16_e64 v3, v6
; %bb.1155:
	v_perm_b32 v14, v14, v14, 0x7050604
	v_perm_b32 v9, v9, v9, 0x3060504
; %bb.1156:
	s_or_b32 exec_lo, exec_lo, s39
	s_or_b32 exec_lo, exec_lo, s13
	s_and_saveexec_b32 s13, s89
	s_cbranch_execz .LBB691_889
.LBB691_1157:
	v_and_b32_e32 v3, 0xff, v9
	v_lshrrev_b32_e32 v6, 24, v14
	s_mov_b32 s39, exec_lo
	v_mul_lo_u16 v3, 0xcd, v3
	v_mul_lo_u16 v6, 0xcd, v6
	v_lshrrev_b16 v3, 11, v3
	v_lshrrev_b16 v6, 11, v6
	v_cmpx_lt_u16_e64 v3, v6
; %bb.1158:
	v_perm_b32 v3, v14, v9, 0x3020107
	v_perm_b32 v14, v14, v9, 0x60504
	v_mov_b32_e32 v9, v3
; %bb.1159:
	s_or_b32 exec_lo, exec_lo, s39
	s_or_b32 exec_lo, exec_lo, s13
	s_and_saveexec_b32 s13, s90
	s_cbranch_execz .LBB691_890
.LBB691_1160:
	v_mov_b32_e32 v3, 0xff
	v_lshrrev_b32_e32 v6, 8, v9
	s_mov_b32 s39, exec_lo
	v_and_b32_sdwa v3, v9, v3 dst_sel:DWORD dst_unused:UNUSED_PAD src0_sel:WORD_1 src1_sel:DWORD
	v_and_b32_e32 v6, 0xff, v6
	v_mul_lo_u16 v3, 0xcd, v3
	v_mul_lo_u16 v6, 0xcd, v6
	v_lshrrev_b16 v3, 11, v3
	v_lshrrev_b16 v6, 11, v6
	v_cmpx_lt_u16_e64 v3, v6
; %bb.1161:
	v_perm_b32 v9, v9, v9, 0x7050604
; %bb.1162:
	s_or_b32 exec_lo, exec_lo, s39
	s_or_b32 exec_lo, exec_lo, s13
	s_and_saveexec_b32 s13, s92
	s_cbranch_execz .LBB691_891
.LBB691_1163:
	v_and_b32_e32 v3, 0xff, v68
	v_lshrrev_b32_e32 v6, 24, v9
	s_mov_b32 s39, exec_lo
	v_mul_lo_u16 v3, 0xcd, v3
	v_mul_lo_u16 v6, 0xcd, v6
	v_lshrrev_b16 v3, 11, v3
	v_lshrrev_b16 v6, 11, v6
	v_cmpx_lt_u16_e64 v3, v6
; %bb.1164:
	v_perm_b32 v3, v9, v68, 0x3020107
	v_perm_b32 v9, v9, v68, 0x60504
	;; [unrolled: 1-line block ×3, first 2 shown]
	v_mov_b32_e32 v68, v3
; %bb.1165:
	s_or_b32 exec_lo, exec_lo, s39
	s_or_b32 exec_lo, exec_lo, s13
	s_and_saveexec_b32 s13, s93
	s_cbranch_execz .LBB691_892
.LBB691_1166:
	v_mov_b32_e32 v3, 0xff
	v_lshrrev_b32_e32 v6, 8, v68
	s_mov_b32 s39, exec_lo
	v_and_b32_sdwa v3, v68, v3 dst_sel:DWORD dst_unused:UNUSED_PAD src0_sel:WORD_1 src1_sel:DWORD
	v_and_b32_e32 v6, 0xff, v6
	v_mul_lo_u16 v3, 0xcd, v3
	v_mul_lo_u16 v6, 0xcd, v6
	v_lshrrev_b16 v3, 11, v3
	v_lshrrev_b16 v6, 11, v6
	v_cmpx_lt_u16_e64 v3, v6
; %bb.1167:
	v_perm_b32 v68, v68, v68, 0x7050604
	v_perm_b32 v12, v12, v12, 0x3060504
; %bb.1168:
	s_or_b32 exec_lo, exec_lo, s39
	s_or_b32 exec_lo, exec_lo, s13
	s_and_saveexec_b32 s13, s94
	s_cbranch_execz .LBB691_893
.LBB691_1169:
	v_and_b32_e32 v3, 0xff, v12
	v_lshrrev_b32_e32 v6, 24, v68
	s_mov_b32 s39, exec_lo
	v_mul_lo_u16 v3, 0xcd, v3
	v_mul_lo_u16 v6, 0xcd, v6
	v_lshrrev_b16 v3, 11, v3
	v_lshrrev_b16 v6, 11, v6
	v_cmpx_lt_u16_e64 v3, v6
; %bb.1170:
	v_perm_b32 v3, v68, v12, 0x3020107
	v_perm_b32 v68, v68, v12, 0x60504
	v_mov_b32_e32 v12, v3
; %bb.1171:
	s_or_b32 exec_lo, exec_lo, s39
	s_or_b32 exec_lo, exec_lo, s13
	s_and_saveexec_b32 s13, s95
	s_cbranch_execz .LBB691_894
.LBB691_1172:
	v_mov_b32_e32 v3, 0xff
	v_lshrrev_b32_e32 v6, 8, v12
	s_mov_b32 s39, exec_lo
	v_and_b32_sdwa v3, v12, v3 dst_sel:DWORD dst_unused:UNUSED_PAD src0_sel:WORD_1 src1_sel:DWORD
	v_and_b32_e32 v6, 0xff, v6
	v_mul_lo_u16 v3, 0xcd, v3
	v_mul_lo_u16 v6, 0xcd, v6
	v_lshrrev_b16 v3, 11, v3
	v_lshrrev_b16 v6, 11, v6
	v_cmpx_lt_u16_e64 v3, v6
; %bb.1173:
	v_perm_b32 v12, v12, v12, 0x7050604
; %bb.1174:
	s_or_b32 exec_lo, exec_lo, s39
	s_or_b32 exec_lo, exec_lo, s13
	s_and_saveexec_b32 s13, vcc_hi
	s_cbranch_execz .LBB691_895
.LBB691_1175:
	v_and_b32_e32 v3, 0xff, v16
	v_lshrrev_b32_e32 v6, 24, v12
	s_mov_b32 s39, exec_lo
	v_mul_lo_u16 v3, 0xcd, v3
	v_mul_lo_u16 v6, 0xcd, v6
	v_lshrrev_b16 v3, 11, v3
	v_lshrrev_b16 v6, 11, v6
	v_cmpx_lt_u16_e64 v3, v6
; %bb.1176:
	v_perm_b32 v3, v12, v16, 0x3020107
	v_perm_b32 v12, v12, v16, 0x60504
	;; [unrolled: 1-line block ×3, first 2 shown]
	v_mov_b32_e32 v16, v3
; %bb.1177:
	s_or_b32 exec_lo, exec_lo, s39
	s_or_b32 exec_lo, exec_lo, s13
	s_and_saveexec_b32 s13, s30
	s_cbranch_execz .LBB691_896
.LBB691_1178:
	v_mov_b32_e32 v3, 0xff
	v_lshrrev_b32_e32 v6, 8, v16
	s_mov_b32 s39, exec_lo
	v_and_b32_sdwa v3, v16, v3 dst_sel:DWORD dst_unused:UNUSED_PAD src0_sel:WORD_1 src1_sel:DWORD
	v_and_b32_e32 v6, 0xff, v6
	v_mul_lo_u16 v3, 0xcd, v3
	v_mul_lo_u16 v6, 0xcd, v6
	v_lshrrev_b16 v3, 11, v3
	v_lshrrev_b16 v6, 11, v6
	v_cmpx_lt_u16_e64 v3, v6
; %bb.1179:
	v_perm_b32 v16, v16, v16, 0x7050604
	v_perm_b32 v15, v15, v15, 0x3060504
; %bb.1180:
	s_or_b32 exec_lo, exec_lo, s39
	s_or_b32 exec_lo, exec_lo, s13
	s_and_saveexec_b32 s13, s31
	s_cbranch_execz .LBB691_897
.LBB691_1181:
	v_and_b32_e32 v3, 0xff, v15
	v_lshrrev_b32_e32 v6, 24, v16
	s_mov_b32 s39, exec_lo
	v_mul_lo_u16 v3, 0xcd, v3
	v_mul_lo_u16 v6, 0xcd, v6
	v_lshrrev_b16 v3, 11, v3
	v_lshrrev_b16 v6, 11, v6
	v_cmpx_lt_u16_e64 v3, v6
; %bb.1182:
	v_perm_b32 v3, v16, v15, 0x3020107
	v_perm_b32 v16, v16, v15, 0x60504
	v_mov_b32_e32 v15, v3
; %bb.1183:
	s_or_b32 exec_lo, exec_lo, s39
	s_or_b32 exec_lo, exec_lo, s13
	s_and_saveexec_b32 s13, s34
	s_cbranch_execz .LBB691_898
.LBB691_1184:
	v_mov_b32_e32 v3, 0xff
	v_lshrrev_b32_e32 v6, 8, v15
	s_mov_b32 s39, exec_lo
	v_and_b32_sdwa v3, v15, v3 dst_sel:DWORD dst_unused:UNUSED_PAD src0_sel:WORD_1 src1_sel:DWORD
	v_and_b32_e32 v6, 0xff, v6
	v_mul_lo_u16 v3, 0xcd, v3
	v_mul_lo_u16 v6, 0xcd, v6
	v_lshrrev_b16 v3, 11, v3
	v_lshrrev_b16 v6, 11, v6
	v_cmpx_lt_u16_e64 v3, v6
; %bb.1185:
	v_perm_b32 v15, v15, v15, 0x7050604
; %bb.1186:
	s_or_b32 exec_lo, exec_lo, s39
	s_or_b32 exec_lo, exec_lo, s13
	s_and_saveexec_b32 s13, s91
	s_cbranch_execz .LBB691_899
.LBB691_1187:
	v_lshrrev_b32_e32 v3, 8, v8
	v_and_b32_e32 v6, 0xff, v8
	s_mov_b32 s39, exec_lo
	v_and_b32_e32 v3, 0xff, v3
	v_mul_lo_u16 v6, 0xcd, v6
	v_mul_lo_u16 v3, 0xcd, v3
	v_lshrrev_b16 v6, 11, v6
	v_lshrrev_b16 v3, 11, v3
	v_cmpx_lt_u16_e64 v3, v6
; %bb.1188:
	v_perm_b32 v8, v8, v8, 0x7060405
	v_perm_b32 v2, v2, v2, 0x3060504
; %bb.1189:
	s_or_b32 exec_lo, exec_lo, s39
	s_or_b32 exec_lo, exec_lo, s13
	s_and_saveexec_b32 s13, s88
	s_cbranch_execz .LBB691_900
.LBB691_1190:
	v_mov_b32_e32 v3, 0xff
	v_lshrrev_b32_e32 v6, 24, v8
	s_mov_b32 s39, exec_lo
	v_and_b32_sdwa v3, v8, v3 dst_sel:DWORD dst_unused:UNUSED_PAD src0_sel:WORD_1 src1_sel:DWORD
	v_mul_lo_u16 v6, 0xcd, v6
	v_mul_lo_u16 v3, 0xcd, v3
	v_lshrrev_b16 v6, 11, v6
	v_lshrrev_b16 v3, 11, v3
	v_cmpx_lt_u16_e64 v6, v3
; %bb.1191:
	v_perm_b32 v8, v8, v8, 0x6070504
	v_perm_b32 v2, v2, v2, 0x3060504
; %bb.1192:
	s_or_b32 exec_lo, exec_lo, s39
	s_or_b32 exec_lo, exec_lo, s13
	s_and_saveexec_b32 s13, s79
	s_cbranch_execz .LBB691_901
.LBB691_1193:
	v_lshrrev_b32_e32 v3, 8, v2
	v_and_b32_e32 v6, 0xff, v2
	s_mov_b32 s39, exec_lo
	v_and_b32_e32 v3, 0xff, v3
	v_mul_lo_u16 v6, 0xcd, v6
	v_mul_lo_u16 v3, 0xcd, v3
	v_lshrrev_b16 v6, 11, v6
	v_lshrrev_b16 v3, 11, v3
	v_cmpx_lt_u16_e64 v3, v6
; %bb.1194:
	v_perm_b32 v2, v2, v2, 0x7060405
; %bb.1195:
	s_or_b32 exec_lo, exec_lo, s39
	s_or_b32 exec_lo, exec_lo, s13
	s_and_saveexec_b32 s13, s78
	s_cbranch_execz .LBB691_902
.LBB691_1196:
	v_mov_b32_e32 v3, 0xff
	v_lshrrev_b32_e32 v6, 24, v2
	s_mov_b32 s39, exec_lo
	v_and_b32_sdwa v3, v2, v3 dst_sel:DWORD dst_unused:UNUSED_PAD src0_sel:WORD_1 src1_sel:DWORD
	v_mul_lo_u16 v6, 0xcd, v6
	v_mul_lo_u16 v3, 0xcd, v3
	v_lshrrev_b16 v6, 11, v6
	v_lshrrev_b16 v3, 11, v3
	v_cmpx_lt_u16_e64 v6, v3
; %bb.1197:
	v_perm_b32 v2, v2, v2, 0x6070504
; %bb.1198:
	s_or_b32 exec_lo, exec_lo, s39
	s_or_b32 exec_lo, exec_lo, s13
	s_and_saveexec_b32 s13, s76
	s_cbranch_execz .LBB691_903
.LBB691_1199:
	v_lshrrev_b32_e32 v3, 8, v14
	v_and_b32_e32 v6, 0xff, v14
	s_mov_b32 s39, exec_lo
	v_and_b32_e32 v3, 0xff, v3
	v_mul_lo_u16 v6, 0xcd, v6
	v_mul_lo_u16 v3, 0xcd, v3
	v_lshrrev_b16 v6, 11, v6
	v_lshrrev_b16 v3, 11, v3
	v_cmpx_lt_u16_e64 v3, v6
; %bb.1200:
	v_perm_b32 v14, v14, v14, 0x7060405
	v_perm_b32 v9, v9, v9, 0x3060504
; %bb.1201:
	s_or_b32 exec_lo, exec_lo, s39
	s_or_b32 exec_lo, exec_lo, s13
	s_and_saveexec_b32 s13, s75
	s_cbranch_execz .LBB691_904
.LBB691_1202:
	v_mov_b32_e32 v3, 0xff
	v_lshrrev_b32_e32 v6, 24, v14
	s_mov_b32 s39, exec_lo
	v_and_b32_sdwa v3, v14, v3 dst_sel:DWORD dst_unused:UNUSED_PAD src0_sel:WORD_1 src1_sel:DWORD
	v_mul_lo_u16 v6, 0xcd, v6
	v_mul_lo_u16 v3, 0xcd, v3
	v_lshrrev_b16 v6, 11, v6
	v_lshrrev_b16 v3, 11, v3
	v_cmpx_lt_u16_e64 v6, v3
; %bb.1203:
	v_perm_b32 v14, v14, v14, 0x6070504
	v_perm_b32 v9, v9, v9, 0x3060504
; %bb.1204:
	s_or_b32 exec_lo, exec_lo, s39
	s_or_b32 exec_lo, exec_lo, s13
	s_and_saveexec_b32 s13, s74
	s_cbranch_execz .LBB691_905
.LBB691_1205:
	v_lshrrev_b32_e32 v3, 8, v9
	v_and_b32_e32 v6, 0xff, v9
	s_mov_b32 s39, exec_lo
	v_and_b32_e32 v3, 0xff, v3
	v_mul_lo_u16 v6, 0xcd, v6
	v_mul_lo_u16 v3, 0xcd, v3
	v_lshrrev_b16 v6, 11, v6
	v_lshrrev_b16 v3, 11, v3
	v_cmpx_lt_u16_e64 v3, v6
; %bb.1206:
	v_perm_b32 v9, v9, v9, 0x7060405
; %bb.1207:
	s_or_b32 exec_lo, exec_lo, s39
	s_or_b32 exec_lo, exec_lo, s13
	s_and_saveexec_b32 s13, s73
	s_cbranch_execz .LBB691_906
.LBB691_1208:
	v_mov_b32_e32 v3, 0xff
	v_lshrrev_b32_e32 v6, 24, v9
	s_mov_b32 s39, exec_lo
	v_and_b32_sdwa v3, v9, v3 dst_sel:DWORD dst_unused:UNUSED_PAD src0_sel:WORD_1 src1_sel:DWORD
	v_mul_lo_u16 v6, 0xcd, v6
	v_mul_lo_u16 v3, 0xcd, v3
	v_lshrrev_b16 v6, 11, v6
	v_lshrrev_b16 v3, 11, v3
	v_cmpx_lt_u16_e64 v6, v3
; %bb.1209:
	v_perm_b32 v9, v9, v9, 0x6070504
; %bb.1210:
	s_or_b32 exec_lo, exec_lo, s39
	s_or_b32 exec_lo, exec_lo, s13
	s_and_saveexec_b32 s13, s72
	s_cbranch_execz .LBB691_907
.LBB691_1211:
	v_lshrrev_b32_e32 v3, 8, v68
	v_and_b32_e32 v6, 0xff, v68
	s_mov_b32 s39, exec_lo
	v_and_b32_e32 v3, 0xff, v3
	v_mul_lo_u16 v6, 0xcd, v6
	v_mul_lo_u16 v3, 0xcd, v3
	v_lshrrev_b16 v6, 11, v6
	v_lshrrev_b16 v3, 11, v3
	v_cmpx_lt_u16_e64 v3, v6
; %bb.1212:
	v_perm_b32 v68, v68, v68, 0x7060405
	v_perm_b32 v12, v12, v12, 0x3060504
; %bb.1213:
	s_or_b32 exec_lo, exec_lo, s39
	s_or_b32 exec_lo, exec_lo, s13
	s_and_saveexec_b32 s13, s62
	s_cbranch_execz .LBB691_908
.LBB691_1214:
	v_mov_b32_e32 v3, 0xff
	v_lshrrev_b32_e32 v6, 24, v68
	s_mov_b32 s39, exec_lo
	v_and_b32_sdwa v3, v68, v3 dst_sel:DWORD dst_unused:UNUSED_PAD src0_sel:WORD_1 src1_sel:DWORD
	v_mul_lo_u16 v6, 0xcd, v6
	v_mul_lo_u16 v3, 0xcd, v3
	v_lshrrev_b16 v6, 11, v6
	v_lshrrev_b16 v3, 11, v3
	v_cmpx_lt_u16_e64 v6, v3
; %bb.1215:
	v_perm_b32 v68, v68, v68, 0x6070504
	v_perm_b32 v12, v12, v12, 0x3060504
; %bb.1216:
	s_or_b32 exec_lo, exec_lo, s39
	s_or_b32 exec_lo, exec_lo, s13
	s_and_saveexec_b32 s13, s61
	s_cbranch_execz .LBB691_909
.LBB691_1217:
	v_lshrrev_b32_e32 v3, 8, v12
	v_and_b32_e32 v6, 0xff, v12
	s_mov_b32 s39, exec_lo
	v_and_b32_e32 v3, 0xff, v3
	v_mul_lo_u16 v6, 0xcd, v6
	v_mul_lo_u16 v3, 0xcd, v3
	v_lshrrev_b16 v6, 11, v6
	v_lshrrev_b16 v3, 11, v3
	v_cmpx_lt_u16_e64 v3, v6
; %bb.1218:
	v_perm_b32 v12, v12, v12, 0x7060405
; %bb.1219:
	s_or_b32 exec_lo, exec_lo, s39
	s_or_b32 exec_lo, exec_lo, s13
	s_and_saveexec_b32 s13, s60
	s_cbranch_execz .LBB691_910
.LBB691_1220:
	v_mov_b32_e32 v3, 0xff
	v_lshrrev_b32_e32 v6, 24, v12
	s_mov_b32 s39, exec_lo
	v_and_b32_sdwa v3, v12, v3 dst_sel:DWORD dst_unused:UNUSED_PAD src0_sel:WORD_1 src1_sel:DWORD
	v_mul_lo_u16 v6, 0xcd, v6
	v_mul_lo_u16 v3, 0xcd, v3
	v_lshrrev_b16 v6, 11, v6
	v_lshrrev_b16 v3, 11, v3
	v_cmpx_lt_u16_e64 v6, v3
; %bb.1221:
	v_perm_b32 v12, v12, v12, 0x6070504
; %bb.1222:
	s_or_b32 exec_lo, exec_lo, s39
	s_or_b32 exec_lo, exec_lo, s13
	s_and_saveexec_b32 s13, s59
	s_cbranch_execz .LBB691_911
.LBB691_1223:
	v_lshrrev_b32_e32 v3, 8, v16
	v_and_b32_e32 v6, 0xff, v16
	s_mov_b32 s39, exec_lo
	v_and_b32_e32 v3, 0xff, v3
	v_mul_lo_u16 v6, 0xcd, v6
	v_mul_lo_u16 v3, 0xcd, v3
	v_lshrrev_b16 v6, 11, v6
	v_lshrrev_b16 v3, 11, v3
	v_cmpx_lt_u16_e64 v3, v6
; %bb.1224:
	v_perm_b32 v16, v16, v16, 0x7060405
	v_perm_b32 v15, v15, v15, 0x3060504
; %bb.1225:
	s_or_b32 exec_lo, exec_lo, s39
	s_or_b32 exec_lo, exec_lo, s13
	s_and_saveexec_b32 s13, s57
	s_cbranch_execz .LBB691_912
.LBB691_1226:
	v_mov_b32_e32 v3, 0xff
	v_lshrrev_b32_e32 v6, 24, v16
	s_mov_b32 s39, exec_lo
	v_and_b32_sdwa v3, v16, v3 dst_sel:DWORD dst_unused:UNUSED_PAD src0_sel:WORD_1 src1_sel:DWORD
	v_mul_lo_u16 v6, 0xcd, v6
	v_mul_lo_u16 v3, 0xcd, v3
	v_lshrrev_b16 v6, 11, v6
	v_lshrrev_b16 v3, 11, v3
	v_cmpx_lt_u16_e64 v6, v3
; %bb.1227:
	v_perm_b32 v16, v16, v16, 0x6070504
	v_perm_b32 v15, v15, v15, 0x3060504
; %bb.1228:
	s_or_b32 exec_lo, exec_lo, s39
	s_or_b32 exec_lo, exec_lo, s13
	s_and_saveexec_b32 s13, s56
	s_cbranch_execz .LBB691_913
.LBB691_1229:
	v_lshrrev_b32_e32 v3, 8, v15
	v_and_b32_e32 v6, 0xff, v15
	s_mov_b32 s39, exec_lo
	v_and_b32_e32 v3, 0xff, v3
	v_mul_lo_u16 v6, 0xcd, v6
	v_mul_lo_u16 v3, 0xcd, v3
	v_lshrrev_b16 v6, 11, v6
	v_lshrrev_b16 v3, 11, v3
	v_cmpx_lt_u16_e64 v3, v6
; %bb.1230:
	v_perm_b32 v15, v15, v15, 0x7060405
; %bb.1231:
	s_or_b32 exec_lo, exec_lo, s39
	s_or_b32 exec_lo, exec_lo, s13
	s_and_saveexec_b32 s13, s9
	s_cbranch_execz .LBB691_914
.LBB691_1232:
	v_mov_b32_e32 v3, 0xff
	v_lshrrev_b32_e32 v6, 24, v15
	s_mov_b32 s39, exec_lo
	v_and_b32_sdwa v3, v15, v3 dst_sel:DWORD dst_unused:UNUSED_PAD src0_sel:WORD_1 src1_sel:DWORD
	v_mul_lo_u16 v6, 0xcd, v6
	v_mul_lo_u16 v3, 0xcd, v3
	v_lshrrev_b16 v6, 11, v6
	v_lshrrev_b16 v3, 11, v3
	v_cmpx_lt_u16_e64 v6, v3
; %bb.1233:
	v_perm_b32 v15, v15, v15, 0x6070504
; %bb.1234:
	s_or_b32 exec_lo, exec_lo, s39
	s_or_b32 exec_lo, exec_lo, s13
	s_and_saveexec_b32 s13, vcc_lo
	s_cbranch_execz .LBB691_915
.LBB691_1235:
	v_mov_b32_e32 v3, 0xff
	v_lshrrev_b32_e32 v6, 8, v8
	s_mov_b32 s39, exec_lo
	v_and_b32_sdwa v3, v8, v3 dst_sel:DWORD dst_unused:UNUSED_PAD src0_sel:WORD_1 src1_sel:DWORD
	v_and_b32_e32 v6, 0xff, v6
	v_mul_lo_u16 v3, 0xcd, v3
	v_mul_lo_u16 v6, 0xcd, v6
	v_lshrrev_b16 v3, 11, v3
	v_lshrrev_b16 v6, 11, v6
	v_cmpx_lt_u16_e64 v3, v6
; %bb.1236:
	v_perm_b32 v8, v8, v8, 0x7050604
	v_perm_b32 v2, v2, v2, 0x3060504
; %bb.1237:
	s_or_b32 exec_lo, exec_lo, s39
	s_or_b32 exec_lo, exec_lo, s13
	s_and_saveexec_b32 s13, s8
	s_cbranch_execz .LBB691_916
.LBB691_1238:
	v_and_b32_e32 v3, 0xff, v2
	v_lshrrev_b32_e32 v6, 24, v8
	s_mov_b32 s39, exec_lo
	v_mul_lo_u16 v3, 0xcd, v3
	v_mul_lo_u16 v6, 0xcd, v6
	v_lshrrev_b16 v3, 11, v3
	v_lshrrev_b16 v6, 11, v6
	v_cmpx_lt_u16_e64 v3, v6
; %bb.1239:
	v_perm_b32 v3, v8, v2, 0x3020107
	v_perm_b32 v8, v8, v2, 0x60504
	v_mov_b32_e32 v2, v3
; %bb.1240:
	s_or_b32 exec_lo, exec_lo, s39
	s_or_b32 exec_lo, exec_lo, s13
	s_and_saveexec_b32 s13, s58
	s_cbranch_execz .LBB691_917
.LBB691_1241:
	v_mov_b32_e32 v3, 0xff
	v_lshrrev_b32_e32 v6, 8, v2
	s_mov_b32 s39, exec_lo
	v_and_b32_sdwa v3, v2, v3 dst_sel:DWORD dst_unused:UNUSED_PAD src0_sel:WORD_1 src1_sel:DWORD
	v_and_b32_e32 v6, 0xff, v6
	v_mul_lo_u16 v3, 0xcd, v3
	v_mul_lo_u16 v6, 0xcd, v6
	v_lshrrev_b16 v3, 11, v3
	v_lshrrev_b16 v6, 11, v6
	v_cmpx_lt_u16_e64 v3, v6
; %bb.1242:
	v_perm_b32 v2, v2, v2, 0x7050604
; %bb.1243:
	s_or_b32 exec_lo, exec_lo, s39
	s_or_b32 exec_lo, exec_lo, s13
	s_and_saveexec_b32 s13, s63
	s_cbranch_execz .LBB691_918
.LBB691_1244:
	v_and_b32_e32 v3, 0xff, v14
	v_lshrrev_b32_e32 v6, 24, v2
	s_mov_b32 s39, exec_lo
	v_mul_lo_u16 v3, 0xcd, v3
	v_mul_lo_u16 v6, 0xcd, v6
	v_lshrrev_b16 v3, 11, v3
	v_lshrrev_b16 v6, 11, v6
	v_cmpx_lt_u16_e64 v3, v6
; %bb.1245:
	v_perm_b32 v3, v2, v14, 0x3020107
	v_perm_b32 v2, v2, v14, 0x60504
	;; [unrolled: 1-line block ×3, first 2 shown]
	v_mov_b32_e32 v14, v3
; %bb.1246:
	s_or_b32 exec_lo, exec_lo, s39
	s_or_b32 exec_lo, exec_lo, s13
	s_and_saveexec_b32 s13, s77
	s_cbranch_execz .LBB691_919
.LBB691_1247:
	v_mov_b32_e32 v3, 0xff
	v_lshrrev_b32_e32 v6, 8, v14
	s_mov_b32 s39, exec_lo
	v_and_b32_sdwa v3, v14, v3 dst_sel:DWORD dst_unused:UNUSED_PAD src0_sel:WORD_1 src1_sel:DWORD
	v_and_b32_e32 v6, 0xff, v6
	v_mul_lo_u16 v3, 0xcd, v3
	v_mul_lo_u16 v6, 0xcd, v6
	v_lshrrev_b16 v3, 11, v3
	v_lshrrev_b16 v6, 11, v6
	v_cmpx_lt_u16_e64 v3, v6
; %bb.1248:
	v_perm_b32 v14, v14, v14, 0x7050604
	v_perm_b32 v9, v9, v9, 0x3060504
; %bb.1249:
	s_or_b32 exec_lo, exec_lo, s39
	s_or_b32 exec_lo, exec_lo, s13
	s_and_saveexec_b32 s13, s89
	s_cbranch_execz .LBB691_920
.LBB691_1250:
	v_and_b32_e32 v3, 0xff, v9
	v_lshrrev_b32_e32 v6, 24, v14
	s_mov_b32 s39, exec_lo
	v_mul_lo_u16 v3, 0xcd, v3
	v_mul_lo_u16 v6, 0xcd, v6
	v_lshrrev_b16 v3, 11, v3
	v_lshrrev_b16 v6, 11, v6
	v_cmpx_lt_u16_e64 v3, v6
; %bb.1251:
	v_perm_b32 v3, v14, v9, 0x3020107
	v_perm_b32 v14, v14, v9, 0x60504
	v_mov_b32_e32 v9, v3
; %bb.1252:
	s_or_b32 exec_lo, exec_lo, s39
	s_or_b32 exec_lo, exec_lo, s13
	s_and_saveexec_b32 s13, s90
	s_cbranch_execz .LBB691_921
.LBB691_1253:
	v_mov_b32_e32 v3, 0xff
	v_lshrrev_b32_e32 v6, 8, v9
	s_mov_b32 s39, exec_lo
	v_and_b32_sdwa v3, v9, v3 dst_sel:DWORD dst_unused:UNUSED_PAD src0_sel:WORD_1 src1_sel:DWORD
	v_and_b32_e32 v6, 0xff, v6
	v_mul_lo_u16 v3, 0xcd, v3
	v_mul_lo_u16 v6, 0xcd, v6
	v_lshrrev_b16 v3, 11, v3
	v_lshrrev_b16 v6, 11, v6
	v_cmpx_lt_u16_e64 v3, v6
; %bb.1254:
	v_perm_b32 v9, v9, v9, 0x7050604
; %bb.1255:
	s_or_b32 exec_lo, exec_lo, s39
	s_or_b32 exec_lo, exec_lo, s13
	s_and_saveexec_b32 s13, s92
	s_cbranch_execz .LBB691_922
.LBB691_1256:
	v_and_b32_e32 v3, 0xff, v68
	v_lshrrev_b32_e32 v6, 24, v9
	s_mov_b32 s39, exec_lo
	v_mul_lo_u16 v3, 0xcd, v3
	v_mul_lo_u16 v6, 0xcd, v6
	v_lshrrev_b16 v3, 11, v3
	v_lshrrev_b16 v6, 11, v6
	v_cmpx_lt_u16_e64 v3, v6
; %bb.1257:
	v_perm_b32 v3, v9, v68, 0x3020107
	v_perm_b32 v9, v9, v68, 0x60504
	;; [unrolled: 1-line block ×3, first 2 shown]
	v_mov_b32_e32 v68, v3
; %bb.1258:
	s_or_b32 exec_lo, exec_lo, s39
	s_or_b32 exec_lo, exec_lo, s13
	s_and_saveexec_b32 s13, s93
	s_cbranch_execz .LBB691_923
.LBB691_1259:
	v_mov_b32_e32 v3, 0xff
	v_lshrrev_b32_e32 v6, 8, v68
	s_mov_b32 s39, exec_lo
	v_and_b32_sdwa v3, v68, v3 dst_sel:DWORD dst_unused:UNUSED_PAD src0_sel:WORD_1 src1_sel:DWORD
	v_and_b32_e32 v6, 0xff, v6
	v_mul_lo_u16 v3, 0xcd, v3
	v_mul_lo_u16 v6, 0xcd, v6
	v_lshrrev_b16 v3, 11, v3
	v_lshrrev_b16 v6, 11, v6
	v_cmpx_lt_u16_e64 v3, v6
; %bb.1260:
	v_perm_b32 v68, v68, v68, 0x7050604
	v_perm_b32 v12, v12, v12, 0x3060504
; %bb.1261:
	s_or_b32 exec_lo, exec_lo, s39
	s_or_b32 exec_lo, exec_lo, s13
	s_and_saveexec_b32 s13, s94
	s_cbranch_execz .LBB691_924
.LBB691_1262:
	v_and_b32_e32 v3, 0xff, v12
	v_lshrrev_b32_e32 v6, 24, v68
	s_mov_b32 s39, exec_lo
	v_mul_lo_u16 v3, 0xcd, v3
	v_mul_lo_u16 v6, 0xcd, v6
	v_lshrrev_b16 v3, 11, v3
	v_lshrrev_b16 v6, 11, v6
	v_cmpx_lt_u16_e64 v3, v6
; %bb.1263:
	v_perm_b32 v3, v68, v12, 0x3020107
	v_perm_b32 v68, v68, v12, 0x60504
	v_mov_b32_e32 v12, v3
; %bb.1264:
	s_or_b32 exec_lo, exec_lo, s39
	s_or_b32 exec_lo, exec_lo, s13
	s_and_saveexec_b32 s13, s95
	s_cbranch_execz .LBB691_925
.LBB691_1265:
	v_mov_b32_e32 v3, 0xff
	v_lshrrev_b32_e32 v6, 8, v12
	s_mov_b32 s39, exec_lo
	v_and_b32_sdwa v3, v12, v3 dst_sel:DWORD dst_unused:UNUSED_PAD src0_sel:WORD_1 src1_sel:DWORD
	v_and_b32_e32 v6, 0xff, v6
	v_mul_lo_u16 v3, 0xcd, v3
	v_mul_lo_u16 v6, 0xcd, v6
	v_lshrrev_b16 v3, 11, v3
	v_lshrrev_b16 v6, 11, v6
	v_cmpx_lt_u16_e64 v3, v6
; %bb.1266:
	v_perm_b32 v12, v12, v12, 0x7050604
; %bb.1267:
	s_or_b32 exec_lo, exec_lo, s39
	s_or_b32 exec_lo, exec_lo, s13
	s_and_saveexec_b32 s13, vcc_hi
	s_cbranch_execz .LBB691_926
.LBB691_1268:
	v_and_b32_e32 v3, 0xff, v16
	v_lshrrev_b32_e32 v6, 24, v12
	s_mov_b32 s39, exec_lo
	v_mul_lo_u16 v3, 0xcd, v3
	v_mul_lo_u16 v6, 0xcd, v6
	v_lshrrev_b16 v3, 11, v3
	v_lshrrev_b16 v6, 11, v6
	v_cmpx_lt_u16_e64 v3, v6
; %bb.1269:
	v_perm_b32 v3, v12, v16, 0x3020107
	v_perm_b32 v12, v12, v16, 0x60504
	;; [unrolled: 1-line block ×3, first 2 shown]
	v_mov_b32_e32 v16, v3
; %bb.1270:
	s_or_b32 exec_lo, exec_lo, s39
	s_or_b32 exec_lo, exec_lo, s13
	s_and_saveexec_b32 s13, s30
	s_cbranch_execz .LBB691_927
.LBB691_1271:
	v_mov_b32_e32 v3, 0xff
	v_lshrrev_b32_e32 v6, 8, v16
	s_mov_b32 s39, exec_lo
	v_and_b32_sdwa v3, v16, v3 dst_sel:DWORD dst_unused:UNUSED_PAD src0_sel:WORD_1 src1_sel:DWORD
	v_and_b32_e32 v6, 0xff, v6
	v_mul_lo_u16 v3, 0xcd, v3
	v_mul_lo_u16 v6, 0xcd, v6
	v_lshrrev_b16 v3, 11, v3
	v_lshrrev_b16 v6, 11, v6
	v_cmpx_lt_u16_e64 v3, v6
; %bb.1272:
	v_perm_b32 v16, v16, v16, 0x7050604
	v_perm_b32 v15, v15, v15, 0x3060504
; %bb.1273:
	s_or_b32 exec_lo, exec_lo, s39
	s_or_b32 exec_lo, exec_lo, s13
	s_and_saveexec_b32 s13, s31
	s_cbranch_execz .LBB691_928
.LBB691_1274:
	v_and_b32_e32 v3, 0xff, v15
	v_lshrrev_b32_e32 v6, 24, v16
	s_mov_b32 s39, exec_lo
	v_mul_lo_u16 v3, 0xcd, v3
	v_mul_lo_u16 v6, 0xcd, v6
	v_lshrrev_b16 v3, 11, v3
	v_lshrrev_b16 v6, 11, v6
	v_cmpx_lt_u16_e64 v3, v6
; %bb.1275:
	v_perm_b32 v3, v16, v15, 0x3020107
	v_perm_b32 v16, v16, v15, 0x60504
	v_mov_b32_e32 v15, v3
; %bb.1276:
	s_or_b32 exec_lo, exec_lo, s39
	s_or_b32 exec_lo, exec_lo, s13
	s_and_saveexec_b32 s13, s34
	s_cbranch_execz .LBB691_929
.LBB691_1277:
	v_mov_b32_e32 v3, 0xff
	v_lshrrev_b32_e32 v6, 8, v15
	s_mov_b32 s39, exec_lo
	v_and_b32_sdwa v3, v15, v3 dst_sel:DWORD dst_unused:UNUSED_PAD src0_sel:WORD_1 src1_sel:DWORD
	v_and_b32_e32 v6, 0xff, v6
	v_mul_lo_u16 v3, 0xcd, v3
	v_mul_lo_u16 v6, 0xcd, v6
	v_lshrrev_b16 v3, 11, v3
	v_lshrrev_b16 v6, 11, v6
	v_cmpx_lt_u16_e64 v3, v6
; %bb.1278:
	v_perm_b32 v15, v15, v15, 0x7050604
; %bb.1279:
	s_or_b32 exec_lo, exec_lo, s39
	s_or_b32 exec_lo, exec_lo, s13
	s_and_saveexec_b32 s13, s91
	s_cbranch_execz .LBB691_930
.LBB691_1280:
	v_lshrrev_b32_e32 v3, 8, v8
	v_and_b32_e32 v6, 0xff, v8
	s_mov_b32 s39, exec_lo
	v_and_b32_e32 v3, 0xff, v3
	v_mul_lo_u16 v6, 0xcd, v6
	v_mul_lo_u16 v3, 0xcd, v3
	v_lshrrev_b16 v6, 11, v6
	v_lshrrev_b16 v3, 11, v3
	v_cmpx_lt_u16_e64 v3, v6
; %bb.1281:
	v_perm_b32 v8, v8, v8, 0x7060405
	v_perm_b32 v2, v2, v2, 0x3060504
; %bb.1282:
	s_or_b32 exec_lo, exec_lo, s39
	s_or_b32 exec_lo, exec_lo, s13
	s_and_saveexec_b32 s13, s88
	s_cbranch_execz .LBB691_931
.LBB691_1283:
	v_mov_b32_e32 v3, 0xff
	v_lshrrev_b32_e32 v6, 24, v8
	s_mov_b32 s39, exec_lo
	v_and_b32_sdwa v3, v8, v3 dst_sel:DWORD dst_unused:UNUSED_PAD src0_sel:WORD_1 src1_sel:DWORD
	v_mul_lo_u16 v6, 0xcd, v6
	v_mul_lo_u16 v3, 0xcd, v3
	v_lshrrev_b16 v6, 11, v6
	v_lshrrev_b16 v3, 11, v3
	v_cmpx_lt_u16_e64 v6, v3
; %bb.1284:
	v_perm_b32 v8, v8, v8, 0x6070504
	v_perm_b32 v2, v2, v2, 0x3060504
; %bb.1285:
	s_or_b32 exec_lo, exec_lo, s39
	s_or_b32 exec_lo, exec_lo, s13
	s_and_saveexec_b32 s13, s79
	s_cbranch_execz .LBB691_932
.LBB691_1286:
	v_lshrrev_b32_e32 v3, 8, v2
	v_and_b32_e32 v6, 0xff, v2
	s_mov_b32 s39, exec_lo
	v_and_b32_e32 v3, 0xff, v3
	v_mul_lo_u16 v6, 0xcd, v6
	v_mul_lo_u16 v3, 0xcd, v3
	v_lshrrev_b16 v6, 11, v6
	v_lshrrev_b16 v3, 11, v3
	v_cmpx_lt_u16_e64 v3, v6
; %bb.1287:
	v_perm_b32 v2, v2, v2, 0x7060405
; %bb.1288:
	s_or_b32 exec_lo, exec_lo, s39
	s_or_b32 exec_lo, exec_lo, s13
	s_and_saveexec_b32 s13, s78
	s_cbranch_execz .LBB691_933
.LBB691_1289:
	v_mov_b32_e32 v3, 0xff
	v_lshrrev_b32_e32 v6, 24, v2
	s_mov_b32 s39, exec_lo
	v_and_b32_sdwa v3, v2, v3 dst_sel:DWORD dst_unused:UNUSED_PAD src0_sel:WORD_1 src1_sel:DWORD
	v_mul_lo_u16 v6, 0xcd, v6
	v_mul_lo_u16 v3, 0xcd, v3
	v_lshrrev_b16 v6, 11, v6
	v_lshrrev_b16 v3, 11, v3
	v_cmpx_lt_u16_e64 v6, v3
; %bb.1290:
	v_perm_b32 v2, v2, v2, 0x6070504
; %bb.1291:
	s_or_b32 exec_lo, exec_lo, s39
	s_or_b32 exec_lo, exec_lo, s13
	s_and_saveexec_b32 s13, s76
	s_cbranch_execz .LBB691_934
.LBB691_1292:
	v_lshrrev_b32_e32 v3, 8, v14
	v_and_b32_e32 v6, 0xff, v14
	s_mov_b32 s39, exec_lo
	v_and_b32_e32 v3, 0xff, v3
	v_mul_lo_u16 v6, 0xcd, v6
	v_mul_lo_u16 v3, 0xcd, v3
	v_lshrrev_b16 v6, 11, v6
	v_lshrrev_b16 v3, 11, v3
	v_cmpx_lt_u16_e64 v3, v6
; %bb.1293:
	v_perm_b32 v14, v14, v14, 0x7060405
	v_perm_b32 v9, v9, v9, 0x3060504
; %bb.1294:
	s_or_b32 exec_lo, exec_lo, s39
	s_or_b32 exec_lo, exec_lo, s13
	s_and_saveexec_b32 s13, s75
	s_cbranch_execz .LBB691_935
.LBB691_1295:
	v_mov_b32_e32 v3, 0xff
	v_lshrrev_b32_e32 v6, 24, v14
	s_mov_b32 s39, exec_lo
	v_and_b32_sdwa v3, v14, v3 dst_sel:DWORD dst_unused:UNUSED_PAD src0_sel:WORD_1 src1_sel:DWORD
	v_mul_lo_u16 v6, 0xcd, v6
	v_mul_lo_u16 v3, 0xcd, v3
	v_lshrrev_b16 v6, 11, v6
	v_lshrrev_b16 v3, 11, v3
	v_cmpx_lt_u16_e64 v6, v3
; %bb.1296:
	v_perm_b32 v14, v14, v14, 0x6070504
	v_perm_b32 v9, v9, v9, 0x3060504
; %bb.1297:
	s_or_b32 exec_lo, exec_lo, s39
	s_or_b32 exec_lo, exec_lo, s13
	s_and_saveexec_b32 s13, s74
	s_cbranch_execz .LBB691_936
.LBB691_1298:
	v_lshrrev_b32_e32 v3, 8, v9
	v_and_b32_e32 v6, 0xff, v9
	s_mov_b32 s39, exec_lo
	v_and_b32_e32 v3, 0xff, v3
	v_mul_lo_u16 v6, 0xcd, v6
	v_mul_lo_u16 v3, 0xcd, v3
	v_lshrrev_b16 v6, 11, v6
	v_lshrrev_b16 v3, 11, v3
	v_cmpx_lt_u16_e64 v3, v6
; %bb.1299:
	v_perm_b32 v9, v9, v9, 0x7060405
; %bb.1300:
	s_or_b32 exec_lo, exec_lo, s39
	s_or_b32 exec_lo, exec_lo, s13
	s_and_saveexec_b32 s13, s73
	s_cbranch_execz .LBB691_937
.LBB691_1301:
	v_mov_b32_e32 v3, 0xff
	v_lshrrev_b32_e32 v6, 24, v9
	s_mov_b32 s39, exec_lo
	v_and_b32_sdwa v3, v9, v3 dst_sel:DWORD dst_unused:UNUSED_PAD src0_sel:WORD_1 src1_sel:DWORD
	v_mul_lo_u16 v6, 0xcd, v6
	v_mul_lo_u16 v3, 0xcd, v3
	v_lshrrev_b16 v6, 11, v6
	v_lshrrev_b16 v3, 11, v3
	v_cmpx_lt_u16_e64 v6, v3
; %bb.1302:
	v_perm_b32 v9, v9, v9, 0x6070504
; %bb.1303:
	s_or_b32 exec_lo, exec_lo, s39
	s_or_b32 exec_lo, exec_lo, s13
	s_and_saveexec_b32 s13, s72
	s_cbranch_execz .LBB691_938
.LBB691_1304:
	v_lshrrev_b32_e32 v3, 8, v68
	v_and_b32_e32 v6, 0xff, v68
	s_mov_b32 s39, exec_lo
	v_and_b32_e32 v3, 0xff, v3
	v_mul_lo_u16 v6, 0xcd, v6
	v_mul_lo_u16 v3, 0xcd, v3
	v_lshrrev_b16 v6, 11, v6
	v_lshrrev_b16 v3, 11, v3
	v_cmpx_lt_u16_e64 v3, v6
; %bb.1305:
	v_perm_b32 v68, v68, v68, 0x7060405
	v_perm_b32 v12, v12, v12, 0x3060504
; %bb.1306:
	s_or_b32 exec_lo, exec_lo, s39
	s_or_b32 exec_lo, exec_lo, s13
	s_and_saveexec_b32 s13, s62
	s_cbranch_execz .LBB691_939
.LBB691_1307:
	v_mov_b32_e32 v3, 0xff
	v_lshrrev_b32_e32 v6, 24, v68
	s_mov_b32 s39, exec_lo
	v_and_b32_sdwa v3, v68, v3 dst_sel:DWORD dst_unused:UNUSED_PAD src0_sel:WORD_1 src1_sel:DWORD
	v_mul_lo_u16 v6, 0xcd, v6
	v_mul_lo_u16 v3, 0xcd, v3
	v_lshrrev_b16 v6, 11, v6
	v_lshrrev_b16 v3, 11, v3
	v_cmpx_lt_u16_e64 v6, v3
; %bb.1308:
	v_perm_b32 v68, v68, v68, 0x6070504
	v_perm_b32 v12, v12, v12, 0x3060504
; %bb.1309:
	s_or_b32 exec_lo, exec_lo, s39
	s_or_b32 exec_lo, exec_lo, s13
	s_and_saveexec_b32 s13, s61
	s_cbranch_execz .LBB691_940
.LBB691_1310:
	v_lshrrev_b32_e32 v3, 8, v12
	v_and_b32_e32 v6, 0xff, v12
	s_mov_b32 s39, exec_lo
	v_and_b32_e32 v3, 0xff, v3
	v_mul_lo_u16 v6, 0xcd, v6
	v_mul_lo_u16 v3, 0xcd, v3
	v_lshrrev_b16 v6, 11, v6
	v_lshrrev_b16 v3, 11, v3
	v_cmpx_lt_u16_e64 v3, v6
; %bb.1311:
	v_perm_b32 v12, v12, v12, 0x7060405
; %bb.1312:
	s_or_b32 exec_lo, exec_lo, s39
	s_or_b32 exec_lo, exec_lo, s13
	s_and_saveexec_b32 s13, s60
	s_cbranch_execz .LBB691_941
.LBB691_1313:
	v_mov_b32_e32 v3, 0xff
	v_lshrrev_b32_e32 v6, 24, v12
	s_mov_b32 s39, exec_lo
	v_and_b32_sdwa v3, v12, v3 dst_sel:DWORD dst_unused:UNUSED_PAD src0_sel:WORD_1 src1_sel:DWORD
	v_mul_lo_u16 v6, 0xcd, v6
	v_mul_lo_u16 v3, 0xcd, v3
	v_lshrrev_b16 v6, 11, v6
	v_lshrrev_b16 v3, 11, v3
	v_cmpx_lt_u16_e64 v6, v3
; %bb.1314:
	v_perm_b32 v12, v12, v12, 0x6070504
; %bb.1315:
	s_or_b32 exec_lo, exec_lo, s39
	s_or_b32 exec_lo, exec_lo, s13
	s_and_saveexec_b32 s13, s59
	s_cbranch_execz .LBB691_942
.LBB691_1316:
	v_lshrrev_b32_e32 v3, 8, v16
	v_and_b32_e32 v6, 0xff, v16
	s_mov_b32 s39, exec_lo
	v_and_b32_e32 v3, 0xff, v3
	v_mul_lo_u16 v6, 0xcd, v6
	v_mul_lo_u16 v3, 0xcd, v3
	v_lshrrev_b16 v6, 11, v6
	v_lshrrev_b16 v3, 11, v3
	v_cmpx_lt_u16_e64 v3, v6
; %bb.1317:
	v_perm_b32 v16, v16, v16, 0x7060405
	v_perm_b32 v15, v15, v15, 0x3060504
; %bb.1318:
	s_or_b32 exec_lo, exec_lo, s39
	s_or_b32 exec_lo, exec_lo, s13
	s_and_saveexec_b32 s13, s57
	s_cbranch_execz .LBB691_943
.LBB691_1319:
	v_mov_b32_e32 v3, 0xff
	v_lshrrev_b32_e32 v6, 24, v16
	s_mov_b32 s39, exec_lo
	v_and_b32_sdwa v3, v16, v3 dst_sel:DWORD dst_unused:UNUSED_PAD src0_sel:WORD_1 src1_sel:DWORD
	v_mul_lo_u16 v6, 0xcd, v6
	v_mul_lo_u16 v3, 0xcd, v3
	v_lshrrev_b16 v6, 11, v6
	v_lshrrev_b16 v3, 11, v3
	v_cmpx_lt_u16_e64 v6, v3
; %bb.1320:
	v_perm_b32 v16, v16, v16, 0x6070504
	v_perm_b32 v15, v15, v15, 0x3060504
; %bb.1321:
	s_or_b32 exec_lo, exec_lo, s39
	s_or_b32 exec_lo, exec_lo, s13
	s_and_saveexec_b32 s13, s56
	s_cbranch_execz .LBB691_944
.LBB691_1322:
	v_lshrrev_b32_e32 v3, 8, v15
	v_and_b32_e32 v6, 0xff, v15
	s_mov_b32 s39, exec_lo
	v_and_b32_e32 v3, 0xff, v3
	v_mul_lo_u16 v6, 0xcd, v6
	v_mul_lo_u16 v3, 0xcd, v3
	v_lshrrev_b16 v6, 11, v6
	v_lshrrev_b16 v3, 11, v3
	v_cmpx_lt_u16_e64 v3, v6
; %bb.1323:
	v_perm_b32 v15, v15, v15, 0x7060405
; %bb.1324:
	s_or_b32 exec_lo, exec_lo, s39
	s_or_b32 exec_lo, exec_lo, s13
	s_and_saveexec_b32 s13, s9
	s_cbranch_execz .LBB691_945
.LBB691_1325:
	v_mov_b32_e32 v3, 0xff
	v_lshrrev_b32_e32 v6, 24, v15
	s_mov_b32 s39, exec_lo
	v_and_b32_sdwa v3, v15, v3 dst_sel:DWORD dst_unused:UNUSED_PAD src0_sel:WORD_1 src1_sel:DWORD
	v_mul_lo_u16 v6, 0xcd, v6
	v_mul_lo_u16 v3, 0xcd, v3
	v_lshrrev_b16 v6, 11, v6
	v_lshrrev_b16 v3, 11, v3
	v_cmpx_lt_u16_e64 v6, v3
; %bb.1326:
	v_perm_b32 v15, v15, v15, 0x6070504
; %bb.1327:
	s_or_b32 exec_lo, exec_lo, s39
	s_or_b32 exec_lo, exec_lo, s13
	s_and_saveexec_b32 s13, vcc_lo
	s_cbranch_execz .LBB691_946
.LBB691_1328:
	v_mov_b32_e32 v3, 0xff
	v_lshrrev_b32_e32 v6, 8, v8
	s_mov_b32 s39, exec_lo
	v_and_b32_sdwa v3, v8, v3 dst_sel:DWORD dst_unused:UNUSED_PAD src0_sel:WORD_1 src1_sel:DWORD
	v_and_b32_e32 v6, 0xff, v6
	v_mul_lo_u16 v3, 0xcd, v3
	v_mul_lo_u16 v6, 0xcd, v6
	v_lshrrev_b16 v3, 11, v3
	v_lshrrev_b16 v6, 11, v6
	v_cmpx_lt_u16_e64 v3, v6
; %bb.1329:
	v_perm_b32 v8, v8, v8, 0x7050604
	v_perm_b32 v2, v2, v2, 0x3060504
; %bb.1330:
	s_or_b32 exec_lo, exec_lo, s39
	s_or_b32 exec_lo, exec_lo, s13
	s_and_saveexec_b32 s13, s8
	s_cbranch_execz .LBB691_947
.LBB691_1331:
	v_and_b32_e32 v3, 0xff, v2
	v_lshrrev_b32_e32 v6, 24, v8
	s_mov_b32 s39, exec_lo
	v_mul_lo_u16 v3, 0xcd, v3
	v_mul_lo_u16 v6, 0xcd, v6
	v_lshrrev_b16 v3, 11, v3
	v_lshrrev_b16 v6, 11, v6
	v_cmpx_lt_u16_e64 v3, v6
; %bb.1332:
	v_perm_b32 v3, v8, v2, 0x3020107
	v_perm_b32 v8, v8, v2, 0x60504
	v_mov_b32_e32 v2, v3
; %bb.1333:
	s_or_b32 exec_lo, exec_lo, s39
	s_or_b32 exec_lo, exec_lo, s13
	s_and_saveexec_b32 s13, s58
	s_cbranch_execz .LBB691_948
.LBB691_1334:
	v_mov_b32_e32 v3, 0xff
	v_lshrrev_b32_e32 v6, 8, v2
	s_mov_b32 s39, exec_lo
	v_and_b32_sdwa v3, v2, v3 dst_sel:DWORD dst_unused:UNUSED_PAD src0_sel:WORD_1 src1_sel:DWORD
	v_and_b32_e32 v6, 0xff, v6
	v_mul_lo_u16 v3, 0xcd, v3
	v_mul_lo_u16 v6, 0xcd, v6
	v_lshrrev_b16 v3, 11, v3
	v_lshrrev_b16 v6, 11, v6
	v_cmpx_lt_u16_e64 v3, v6
; %bb.1335:
	v_perm_b32 v2, v2, v2, 0x7050604
; %bb.1336:
	s_or_b32 exec_lo, exec_lo, s39
	s_or_b32 exec_lo, exec_lo, s13
	s_and_saveexec_b32 s13, s63
	s_cbranch_execz .LBB691_949
.LBB691_1337:
	v_and_b32_e32 v3, 0xff, v14
	v_lshrrev_b32_e32 v6, 24, v2
	s_mov_b32 s39, exec_lo
	v_mul_lo_u16 v3, 0xcd, v3
	v_mul_lo_u16 v6, 0xcd, v6
	v_lshrrev_b16 v3, 11, v3
	v_lshrrev_b16 v6, 11, v6
	v_cmpx_lt_u16_e64 v3, v6
; %bb.1338:
	v_perm_b32 v3, v2, v14, 0x3020107
	v_perm_b32 v2, v2, v14, 0x60504
	;; [unrolled: 1-line block ×3, first 2 shown]
	v_mov_b32_e32 v14, v3
; %bb.1339:
	s_or_b32 exec_lo, exec_lo, s39
	s_or_b32 exec_lo, exec_lo, s13
	s_and_saveexec_b32 s13, s77
	s_cbranch_execz .LBB691_950
.LBB691_1340:
	v_mov_b32_e32 v3, 0xff
	v_lshrrev_b32_e32 v6, 8, v14
	s_mov_b32 s39, exec_lo
	v_and_b32_sdwa v3, v14, v3 dst_sel:DWORD dst_unused:UNUSED_PAD src0_sel:WORD_1 src1_sel:DWORD
	v_and_b32_e32 v6, 0xff, v6
	v_mul_lo_u16 v3, 0xcd, v3
	v_mul_lo_u16 v6, 0xcd, v6
	v_lshrrev_b16 v3, 11, v3
	v_lshrrev_b16 v6, 11, v6
	v_cmpx_lt_u16_e64 v3, v6
; %bb.1341:
	v_perm_b32 v14, v14, v14, 0x7050604
	v_perm_b32 v9, v9, v9, 0x3060504
; %bb.1342:
	s_or_b32 exec_lo, exec_lo, s39
	s_or_b32 exec_lo, exec_lo, s13
	s_and_saveexec_b32 s13, s89
	s_cbranch_execz .LBB691_951
.LBB691_1343:
	v_and_b32_e32 v3, 0xff, v9
	v_lshrrev_b32_e32 v6, 24, v14
	s_mov_b32 s39, exec_lo
	v_mul_lo_u16 v3, 0xcd, v3
	v_mul_lo_u16 v6, 0xcd, v6
	v_lshrrev_b16 v3, 11, v3
	v_lshrrev_b16 v6, 11, v6
	v_cmpx_lt_u16_e64 v3, v6
; %bb.1344:
	v_perm_b32 v3, v14, v9, 0x3020107
	v_perm_b32 v14, v14, v9, 0x60504
	v_mov_b32_e32 v9, v3
; %bb.1345:
	s_or_b32 exec_lo, exec_lo, s39
	s_or_b32 exec_lo, exec_lo, s13
	s_and_saveexec_b32 s13, s90
	s_cbranch_execz .LBB691_952
.LBB691_1346:
	v_mov_b32_e32 v3, 0xff
	v_lshrrev_b32_e32 v6, 8, v9
	s_mov_b32 s39, exec_lo
	v_and_b32_sdwa v3, v9, v3 dst_sel:DWORD dst_unused:UNUSED_PAD src0_sel:WORD_1 src1_sel:DWORD
	v_and_b32_e32 v6, 0xff, v6
	v_mul_lo_u16 v3, 0xcd, v3
	v_mul_lo_u16 v6, 0xcd, v6
	v_lshrrev_b16 v3, 11, v3
	v_lshrrev_b16 v6, 11, v6
	v_cmpx_lt_u16_e64 v3, v6
; %bb.1347:
	v_perm_b32 v9, v9, v9, 0x7050604
; %bb.1348:
	s_or_b32 exec_lo, exec_lo, s39
	s_or_b32 exec_lo, exec_lo, s13
	s_and_saveexec_b32 s13, s92
	s_cbranch_execz .LBB691_953
.LBB691_1349:
	v_and_b32_e32 v3, 0xff, v68
	v_lshrrev_b32_e32 v6, 24, v9
	s_mov_b32 s39, exec_lo
	v_mul_lo_u16 v3, 0xcd, v3
	v_mul_lo_u16 v6, 0xcd, v6
	v_lshrrev_b16 v3, 11, v3
	v_lshrrev_b16 v6, 11, v6
	v_cmpx_lt_u16_e64 v3, v6
; %bb.1350:
	v_perm_b32 v3, v9, v68, 0x3020107
	v_perm_b32 v9, v9, v68, 0x60504
	;; [unrolled: 1-line block ×3, first 2 shown]
	v_mov_b32_e32 v68, v3
; %bb.1351:
	s_or_b32 exec_lo, exec_lo, s39
	s_or_b32 exec_lo, exec_lo, s13
	s_and_saveexec_b32 s13, s93
	s_cbranch_execz .LBB691_954
.LBB691_1352:
	v_mov_b32_e32 v3, 0xff
	v_lshrrev_b32_e32 v6, 8, v68
	s_mov_b32 s39, exec_lo
	v_and_b32_sdwa v3, v68, v3 dst_sel:DWORD dst_unused:UNUSED_PAD src0_sel:WORD_1 src1_sel:DWORD
	v_and_b32_e32 v6, 0xff, v6
	v_mul_lo_u16 v3, 0xcd, v3
	v_mul_lo_u16 v6, 0xcd, v6
	v_lshrrev_b16 v3, 11, v3
	v_lshrrev_b16 v6, 11, v6
	v_cmpx_lt_u16_e64 v3, v6
; %bb.1353:
	v_perm_b32 v68, v68, v68, 0x7050604
	v_perm_b32 v12, v12, v12, 0x3060504
; %bb.1354:
	s_or_b32 exec_lo, exec_lo, s39
	s_or_b32 exec_lo, exec_lo, s13
	s_and_saveexec_b32 s13, s94
	s_cbranch_execz .LBB691_955
.LBB691_1355:
	v_and_b32_e32 v3, 0xff, v12
	v_lshrrev_b32_e32 v6, 24, v68
	s_mov_b32 s39, exec_lo
	v_mul_lo_u16 v3, 0xcd, v3
	v_mul_lo_u16 v6, 0xcd, v6
	v_lshrrev_b16 v3, 11, v3
	v_lshrrev_b16 v6, 11, v6
	v_cmpx_lt_u16_e64 v3, v6
; %bb.1356:
	v_perm_b32 v3, v68, v12, 0x3020107
	v_perm_b32 v68, v68, v12, 0x60504
	v_mov_b32_e32 v12, v3
; %bb.1357:
	s_or_b32 exec_lo, exec_lo, s39
	s_or_b32 exec_lo, exec_lo, s13
	s_and_saveexec_b32 s13, s95
	s_cbranch_execz .LBB691_1361
.LBB691_1358:
	v_mov_b32_e32 v3, 0xff
	v_lshrrev_b32_e32 v6, 8, v12
	s_mov_b32 s39, exec_lo
	v_and_b32_sdwa v3, v12, v3 dst_sel:DWORD dst_unused:UNUSED_PAD src0_sel:WORD_1 src1_sel:DWORD
	v_and_b32_e32 v6, 0xff, v6
	v_mul_lo_u16 v3, 0xcd, v3
	v_mul_lo_u16 v6, 0xcd, v6
	v_lshrrev_b16 v3, 11, v3
	v_lshrrev_b16 v6, 11, v6
	v_cmpx_lt_u16_e64 v3, v6
; %bb.1359:
	v_perm_b32 v12, v12, v12, 0x7050604
; %bb.1360:
	s_or_b32 exec_lo, exec_lo, s39
.LBB691_1361:
	s_or_b32 exec_lo, exec_lo, s13
	v_mov_b32_e32 v6, v8
	v_mov_b32_e32 v3, v2
	;; [unrolled: 1-line block ×8, first 2 shown]
	s_and_saveexec_b32 s13, vcc_hi
	s_cbranch_execnz .LBB691_1496
; %bb.1362:
	s_or_b32 exec_lo, exec_lo, s13
	s_and_saveexec_b32 s13, s30
	s_cbranch_execnz .LBB691_1499
.LBB691_1363:
	s_or_b32 exec_lo, exec_lo, s13
	s_and_saveexec_b32 s13, s31
	s_cbranch_execnz .LBB691_1502
.LBB691_1364:
	s_or_b32 exec_lo, exec_lo, s13
	s_and_saveexec_b32 s13, s34
	s_cbranch_execnz .LBB691_1505
.LBB691_1365:
	s_or_b32 exec_lo, exec_lo, s13
	s_and_saveexec_b32 s13, s91
	s_cbranch_execnz .LBB691_1508
.LBB691_1366:
	s_or_b32 exec_lo, exec_lo, s13
	s_and_saveexec_b32 s13, s88
	s_cbranch_execnz .LBB691_1511
.LBB691_1367:
	s_or_b32 exec_lo, exec_lo, s13
	s_and_saveexec_b32 s13, s79
	s_cbranch_execnz .LBB691_1514
.LBB691_1368:
	s_or_b32 exec_lo, exec_lo, s13
	s_and_saveexec_b32 s13, s78
	s_cbranch_execnz .LBB691_1517
.LBB691_1369:
	s_or_b32 exec_lo, exec_lo, s13
	s_and_saveexec_b32 s13, s76
	s_cbranch_execnz .LBB691_1520
.LBB691_1370:
	s_or_b32 exec_lo, exec_lo, s13
	s_and_saveexec_b32 s13, s75
	s_cbranch_execnz .LBB691_1523
.LBB691_1371:
	s_or_b32 exec_lo, exec_lo, s13
	s_and_saveexec_b32 s13, s74
	s_cbranch_execnz .LBB691_1526
.LBB691_1372:
	s_or_b32 exec_lo, exec_lo, s13
	s_and_saveexec_b32 s13, s73
	s_cbranch_execnz .LBB691_1529
.LBB691_1373:
	s_or_b32 exec_lo, exec_lo, s13
	s_and_saveexec_b32 s13, s72
	s_cbranch_execnz .LBB691_1532
.LBB691_1374:
	s_or_b32 exec_lo, exec_lo, s13
	s_and_saveexec_b32 s13, s62
	s_cbranch_execnz .LBB691_1535
.LBB691_1375:
	s_or_b32 exec_lo, exec_lo, s13
	s_and_saveexec_b32 s13, s61
	s_cbranch_execnz .LBB691_1538
.LBB691_1376:
	s_or_b32 exec_lo, exec_lo, s13
	s_and_saveexec_b32 s13, s60
	s_cbranch_execnz .LBB691_1541
.LBB691_1377:
	s_or_b32 exec_lo, exec_lo, s13
	s_and_saveexec_b32 s13, s59
	s_cbranch_execnz .LBB691_1544
.LBB691_1378:
	s_or_b32 exec_lo, exec_lo, s13
	s_and_saveexec_b32 s13, s57
	s_cbranch_execnz .LBB691_1547
.LBB691_1379:
	s_or_b32 exec_lo, exec_lo, s13
	s_and_saveexec_b32 s13, s56
	s_cbranch_execnz .LBB691_1550
.LBB691_1380:
	s_or_b32 exec_lo, exec_lo, s13
	s_and_saveexec_b32 s13, s9
	s_cbranch_execnz .LBB691_1553
.LBB691_1381:
	s_or_b32 exec_lo, exec_lo, s13
	s_and_saveexec_b32 s13, vcc_lo
	s_cbranch_execnz .LBB691_1556
.LBB691_1382:
	s_or_b32 exec_lo, exec_lo, s13
	s_and_saveexec_b32 s13, s8
	s_cbranch_execnz .LBB691_1559
.LBB691_1383:
	s_or_b32 exec_lo, exec_lo, s13
	s_and_saveexec_b32 s13, s58
	s_cbranch_execnz .LBB691_1562
.LBB691_1384:
	s_or_b32 exec_lo, exec_lo, s13
	s_and_saveexec_b32 s13, s63
	s_cbranch_execnz .LBB691_1565
.LBB691_1385:
	s_or_b32 exec_lo, exec_lo, s13
	s_and_saveexec_b32 s13, s77
	s_cbranch_execnz .LBB691_1568
.LBB691_1386:
	s_or_b32 exec_lo, exec_lo, s13
	s_and_saveexec_b32 s13, s89
	s_cbranch_execnz .LBB691_1571
.LBB691_1387:
	s_or_b32 exec_lo, exec_lo, s13
	s_and_saveexec_b32 s13, s90
	s_cbranch_execnz .LBB691_1574
.LBB691_1388:
	s_or_b32 exec_lo, exec_lo, s13
	s_and_saveexec_b32 s13, s92
	s_cbranch_execnz .LBB691_1577
.LBB691_1389:
	s_or_b32 exec_lo, exec_lo, s13
	s_and_saveexec_b32 s13, s93
	s_cbranch_execnz .LBB691_1580
.LBB691_1390:
	s_or_b32 exec_lo, exec_lo, s13
	s_and_saveexec_b32 s13, s94
	s_cbranch_execnz .LBB691_1583
.LBB691_1391:
	s_or_b32 exec_lo, exec_lo, s13
	s_and_saveexec_b32 s13, s95
	s_cbranch_execnz .LBB691_1586
.LBB691_1392:
	s_or_b32 exec_lo, exec_lo, s13
	s_and_saveexec_b32 s13, vcc_hi
	s_cbranch_execnz .LBB691_1589
.LBB691_1393:
	s_or_b32 exec_lo, exec_lo, s13
	s_and_saveexec_b32 s13, s30
	s_cbranch_execnz .LBB691_1592
.LBB691_1394:
	s_or_b32 exec_lo, exec_lo, s13
	s_and_saveexec_b32 s13, s31
	s_cbranch_execnz .LBB691_1595
.LBB691_1395:
	s_or_b32 exec_lo, exec_lo, s13
	s_and_saveexec_b32 s13, s34
	s_cbranch_execnz .LBB691_1598
.LBB691_1396:
	s_or_b32 exec_lo, exec_lo, s13
	s_and_saveexec_b32 s13, s91
	s_cbranch_execnz .LBB691_1601
.LBB691_1397:
	s_or_b32 exec_lo, exec_lo, s13
	s_and_saveexec_b32 s13, s88
	s_cbranch_execnz .LBB691_1604
.LBB691_1398:
	s_or_b32 exec_lo, exec_lo, s13
	s_and_saveexec_b32 s13, s79
	s_cbranch_execnz .LBB691_1607
.LBB691_1399:
	s_or_b32 exec_lo, exec_lo, s13
	s_and_saveexec_b32 s13, s78
	s_cbranch_execnz .LBB691_1610
.LBB691_1400:
	s_or_b32 exec_lo, exec_lo, s13
	s_and_saveexec_b32 s13, s76
	s_cbranch_execnz .LBB691_1613
.LBB691_1401:
	s_or_b32 exec_lo, exec_lo, s13
	s_and_saveexec_b32 s13, s75
	s_cbranch_execnz .LBB691_1616
.LBB691_1402:
	s_or_b32 exec_lo, exec_lo, s13
	s_and_saveexec_b32 s13, s74
	s_cbranch_execnz .LBB691_1619
.LBB691_1403:
	s_or_b32 exec_lo, exec_lo, s13
	s_and_saveexec_b32 s13, s73
	s_cbranch_execnz .LBB691_1622
.LBB691_1404:
	s_or_b32 exec_lo, exec_lo, s13
	s_and_saveexec_b32 s13, s72
	s_cbranch_execnz .LBB691_1625
.LBB691_1405:
	s_or_b32 exec_lo, exec_lo, s13
	s_and_saveexec_b32 s13, s62
	s_cbranch_execnz .LBB691_1628
.LBB691_1406:
	s_or_b32 exec_lo, exec_lo, s13
	s_and_saveexec_b32 s13, s61
	s_cbranch_execnz .LBB691_1631
.LBB691_1407:
	s_or_b32 exec_lo, exec_lo, s13
	s_and_saveexec_b32 s13, s60
	s_cbranch_execnz .LBB691_1634
.LBB691_1408:
	s_or_b32 exec_lo, exec_lo, s13
	s_and_saveexec_b32 s13, s59
	s_cbranch_execnz .LBB691_1637
.LBB691_1409:
	s_or_b32 exec_lo, exec_lo, s13
	s_and_saveexec_b32 s13, s57
	s_cbranch_execnz .LBB691_1640
.LBB691_1410:
	s_or_b32 exec_lo, exec_lo, s13
	s_and_saveexec_b32 s13, s56
	s_cbranch_execnz .LBB691_1643
.LBB691_1411:
	s_or_b32 exec_lo, exec_lo, s13
	s_and_saveexec_b32 s13, s9
	s_cbranch_execnz .LBB691_1646
.LBB691_1412:
	s_or_b32 exec_lo, exec_lo, s13
	s_and_saveexec_b32 s13, vcc_lo
	s_cbranch_execnz .LBB691_1649
.LBB691_1413:
	s_or_b32 exec_lo, exec_lo, s13
	s_and_saveexec_b32 s13, s8
	s_cbranch_execnz .LBB691_1652
.LBB691_1414:
	s_or_b32 exec_lo, exec_lo, s13
	s_and_saveexec_b32 s13, s58
	s_cbranch_execnz .LBB691_1655
.LBB691_1415:
	s_or_b32 exec_lo, exec_lo, s13
	s_and_saveexec_b32 s13, s63
	s_cbranch_execnz .LBB691_1658
.LBB691_1416:
	s_or_b32 exec_lo, exec_lo, s13
	s_and_saveexec_b32 s13, s77
	s_cbranch_execnz .LBB691_1661
.LBB691_1417:
	s_or_b32 exec_lo, exec_lo, s13
	s_and_saveexec_b32 s13, s89
	s_cbranch_execnz .LBB691_1664
.LBB691_1418:
	s_or_b32 exec_lo, exec_lo, s13
	s_and_saveexec_b32 s13, s90
	s_cbranch_execnz .LBB691_1667
.LBB691_1419:
	s_or_b32 exec_lo, exec_lo, s13
	s_and_saveexec_b32 s13, s92
	s_cbranch_execnz .LBB691_1670
.LBB691_1420:
	s_or_b32 exec_lo, exec_lo, s13
	s_and_saveexec_b32 s13, s93
	s_cbranch_execnz .LBB691_1673
.LBB691_1421:
	s_or_b32 exec_lo, exec_lo, s13
	s_and_saveexec_b32 s13, s94
	s_cbranch_execnz .LBB691_1676
.LBB691_1422:
	s_or_b32 exec_lo, exec_lo, s13
	s_and_saveexec_b32 s13, s95
	s_cbranch_execnz .LBB691_1679
.LBB691_1423:
	s_or_b32 exec_lo, exec_lo, s13
	s_and_saveexec_b32 s13, vcc_hi
	s_cbranch_execnz .LBB691_1682
.LBB691_1424:
	s_or_b32 exec_lo, exec_lo, s13
	s_and_saveexec_b32 s13, s30
	s_cbranch_execnz .LBB691_1685
.LBB691_1425:
	s_or_b32 exec_lo, exec_lo, s13
	s_and_saveexec_b32 s13, s31
	s_cbranch_execnz .LBB691_1688
.LBB691_1426:
	s_or_b32 exec_lo, exec_lo, s13
	s_and_saveexec_b32 s13, s34
	s_cbranch_execnz .LBB691_1691
.LBB691_1427:
	s_or_b32 exec_lo, exec_lo, s13
	s_and_saveexec_b32 s13, s91
	s_cbranch_execnz .LBB691_1694
.LBB691_1428:
	s_or_b32 exec_lo, exec_lo, s13
	s_and_saveexec_b32 s13, s88
	s_cbranch_execnz .LBB691_1697
.LBB691_1429:
	s_or_b32 exec_lo, exec_lo, s13
	s_and_saveexec_b32 s13, s79
	s_cbranch_execnz .LBB691_1700
.LBB691_1430:
	s_or_b32 exec_lo, exec_lo, s13
	s_and_saveexec_b32 s13, s78
	s_cbranch_execnz .LBB691_1703
.LBB691_1431:
	s_or_b32 exec_lo, exec_lo, s13
	s_and_saveexec_b32 s13, s76
	s_cbranch_execnz .LBB691_1706
.LBB691_1432:
	s_or_b32 exec_lo, exec_lo, s13
	s_and_saveexec_b32 s13, s75
	s_cbranch_execnz .LBB691_1709
.LBB691_1433:
	s_or_b32 exec_lo, exec_lo, s13
	s_and_saveexec_b32 s13, s74
	s_cbranch_execnz .LBB691_1712
.LBB691_1434:
	s_or_b32 exec_lo, exec_lo, s13
	s_and_saveexec_b32 s13, s73
	s_cbranch_execnz .LBB691_1715
.LBB691_1435:
	s_or_b32 exec_lo, exec_lo, s13
	s_and_saveexec_b32 s13, s72
	s_cbranch_execnz .LBB691_1718
.LBB691_1436:
	s_or_b32 exec_lo, exec_lo, s13
	s_and_saveexec_b32 s13, s62
	s_cbranch_execnz .LBB691_1721
.LBB691_1437:
	s_or_b32 exec_lo, exec_lo, s13
	s_and_saveexec_b32 s13, s61
	s_cbranch_execnz .LBB691_1724
.LBB691_1438:
	s_or_b32 exec_lo, exec_lo, s13
	s_and_saveexec_b32 s13, s60
	s_cbranch_execnz .LBB691_1727
.LBB691_1439:
	s_or_b32 exec_lo, exec_lo, s13
	s_and_saveexec_b32 s13, s59
	s_cbranch_execnz .LBB691_1730
.LBB691_1440:
	s_or_b32 exec_lo, exec_lo, s13
	s_and_saveexec_b32 s13, s57
	s_cbranch_execnz .LBB691_1733
.LBB691_1441:
	s_or_b32 exec_lo, exec_lo, s13
	s_and_saveexec_b32 s13, s56
	s_cbranch_execnz .LBB691_1736
.LBB691_1442:
	s_or_b32 exec_lo, exec_lo, s13
	s_and_saveexec_b32 s13, s9
	s_cbranch_execnz .LBB691_1739
.LBB691_1443:
	s_or_b32 exec_lo, exec_lo, s13
	s_and_saveexec_b32 s13, vcc_lo
	s_cbranch_execnz .LBB691_1742
.LBB691_1444:
	s_or_b32 exec_lo, exec_lo, s13
	s_and_saveexec_b32 s13, s8
	s_cbranch_execnz .LBB691_1745
.LBB691_1445:
	s_or_b32 exec_lo, exec_lo, s13
	s_and_saveexec_b32 s13, s58
	s_cbranch_execnz .LBB691_1748
.LBB691_1446:
	s_or_b32 exec_lo, exec_lo, s13
	s_and_saveexec_b32 s13, s63
	s_cbranch_execnz .LBB691_1751
.LBB691_1447:
	s_or_b32 exec_lo, exec_lo, s13
	s_and_saveexec_b32 s13, s77
	s_cbranch_execnz .LBB691_1754
.LBB691_1448:
	s_or_b32 exec_lo, exec_lo, s13
	s_and_saveexec_b32 s13, s89
	s_cbranch_execnz .LBB691_1757
.LBB691_1449:
	s_or_b32 exec_lo, exec_lo, s13
	s_and_saveexec_b32 s13, s90
	s_cbranch_execnz .LBB691_1760
.LBB691_1450:
	s_or_b32 exec_lo, exec_lo, s13
	s_and_saveexec_b32 s13, s92
	s_cbranch_execnz .LBB691_1763
.LBB691_1451:
	s_or_b32 exec_lo, exec_lo, s13
	s_and_saveexec_b32 s13, s93
	s_cbranch_execnz .LBB691_1766
.LBB691_1452:
	s_or_b32 exec_lo, exec_lo, s13
	s_and_saveexec_b32 s13, s94
	s_cbranch_execnz .LBB691_1769
.LBB691_1453:
	s_or_b32 exec_lo, exec_lo, s13
	s_and_saveexec_b32 s13, s95
	s_cbranch_execnz .LBB691_1772
.LBB691_1454:
	s_or_b32 exec_lo, exec_lo, s13
	s_and_saveexec_b32 s13, vcc_hi
	s_cbranch_execnz .LBB691_1775
.LBB691_1455:
	s_or_b32 exec_lo, exec_lo, s13
	s_and_saveexec_b32 s13, s30
	s_cbranch_execnz .LBB691_1778
.LBB691_1456:
	s_or_b32 exec_lo, exec_lo, s13
	s_and_saveexec_b32 s13, s31
	s_cbranch_execnz .LBB691_1781
.LBB691_1457:
	s_or_b32 exec_lo, exec_lo, s13
	s_and_saveexec_b32 s13, s34
	s_cbranch_execnz .LBB691_1784
.LBB691_1458:
	s_or_b32 exec_lo, exec_lo, s13
	s_and_saveexec_b32 s13, s91
	s_cbranch_execnz .LBB691_1787
.LBB691_1459:
	s_or_b32 exec_lo, exec_lo, s13
	s_and_saveexec_b32 s13, s88
	s_cbranch_execnz .LBB691_1790
.LBB691_1460:
	s_or_b32 exec_lo, exec_lo, s13
	s_and_saveexec_b32 s13, s79
	s_cbranch_execnz .LBB691_1793
.LBB691_1461:
	s_or_b32 exec_lo, exec_lo, s13
	s_and_saveexec_b32 s13, s78
	s_cbranch_execnz .LBB691_1796
.LBB691_1462:
	s_or_b32 exec_lo, exec_lo, s13
	s_and_saveexec_b32 s13, s76
	s_cbranch_execnz .LBB691_1799
.LBB691_1463:
	s_or_b32 exec_lo, exec_lo, s13
	s_and_saveexec_b32 s13, s75
	s_cbranch_execnz .LBB691_1802
.LBB691_1464:
	s_or_b32 exec_lo, exec_lo, s13
	s_and_saveexec_b32 s13, s74
	s_cbranch_execnz .LBB691_1805
.LBB691_1465:
	s_or_b32 exec_lo, exec_lo, s13
	s_and_saveexec_b32 s13, s73
	s_cbranch_execnz .LBB691_1808
.LBB691_1466:
	s_or_b32 exec_lo, exec_lo, s13
	s_and_saveexec_b32 s13, s72
	s_cbranch_execnz .LBB691_1811
.LBB691_1467:
	s_or_b32 exec_lo, exec_lo, s13
	s_and_saveexec_b32 s13, s62
	s_cbranch_execnz .LBB691_1814
.LBB691_1468:
	s_or_b32 exec_lo, exec_lo, s13
	s_and_saveexec_b32 s13, s61
	s_cbranch_execnz .LBB691_1817
.LBB691_1469:
	s_or_b32 exec_lo, exec_lo, s13
	s_and_saveexec_b32 s13, s60
	s_cbranch_execnz .LBB691_1820
.LBB691_1470:
	s_or_b32 exec_lo, exec_lo, s13
	s_and_saveexec_b32 s13, s59
	s_cbranch_execnz .LBB691_1823
.LBB691_1471:
	s_or_b32 exec_lo, exec_lo, s13
	s_and_saveexec_b32 s13, s57
	s_cbranch_execnz .LBB691_1826
.LBB691_1472:
	s_or_b32 exec_lo, exec_lo, s13
	s_and_saveexec_b32 s13, s56
	s_cbranch_execnz .LBB691_1829
.LBB691_1473:
	s_or_b32 exec_lo, exec_lo, s13
	s_and_saveexec_b32 s13, s9
	s_cbranch_execnz .LBB691_1832
.LBB691_1474:
	s_or_b32 exec_lo, exec_lo, s13
	s_and_saveexec_b32 s13, vcc_lo
	s_cbranch_execnz .LBB691_1835
.LBB691_1475:
	s_or_b32 exec_lo, exec_lo, s13
	s_and_saveexec_b32 s13, s8
	s_cbranch_execnz .LBB691_1838
.LBB691_1476:
	s_or_b32 exec_lo, exec_lo, s13
	s_and_saveexec_b32 s13, s58
	s_cbranch_execnz .LBB691_1841
.LBB691_1477:
	s_or_b32 exec_lo, exec_lo, s13
	s_and_saveexec_b32 s13, s63
	s_cbranch_execnz .LBB691_1844
.LBB691_1478:
	s_or_b32 exec_lo, exec_lo, s13
	s_and_saveexec_b32 s13, s77
	s_cbranch_execnz .LBB691_1847
.LBB691_1479:
	s_or_b32 exec_lo, exec_lo, s13
	s_and_saveexec_b32 s13, s89
	s_cbranch_execnz .LBB691_1850
.LBB691_1480:
	s_or_b32 exec_lo, exec_lo, s13
	s_and_saveexec_b32 s13, s90
	s_cbranch_execnz .LBB691_1853
.LBB691_1481:
	s_or_b32 exec_lo, exec_lo, s13
	s_and_saveexec_b32 s13, s92
	s_cbranch_execnz .LBB691_1856
.LBB691_1482:
	s_or_b32 exec_lo, exec_lo, s13
	s_and_saveexec_b32 s13, s93
	s_cbranch_execnz .LBB691_1859
.LBB691_1483:
	s_or_b32 exec_lo, exec_lo, s13
	s_and_saveexec_b32 s13, s94
	s_cbranch_execnz .LBB691_1862
.LBB691_1484:
	s_or_b32 exec_lo, exec_lo, s13
	s_and_saveexec_b32 s13, s95
	s_cbranch_execnz .LBB691_1865
.LBB691_1485:
	s_or_b32 exec_lo, exec_lo, s13
	s_and_saveexec_b32 s13, vcc_hi
	s_cbranch_execnz .LBB691_1868
.LBB691_1486:
	s_or_b32 exec_lo, exec_lo, s13
	s_and_saveexec_b32 s13, s30
	s_cbranch_execnz .LBB691_1871
.LBB691_1487:
	s_or_b32 exec_lo, exec_lo, s13
	s_and_saveexec_b32 s13, s31
	s_cbranch_execnz .LBB691_1874
.LBB691_1488:
	s_or_b32 exec_lo, exec_lo, s13
	s_and_saveexec_b32 s13, s34
	s_cbranch_execnz .LBB691_1877
.LBB691_1489:
	s_or_b32 exec_lo, exec_lo, s13
	s_and_saveexec_b32 s13, s91
	s_cbranch_execnz .LBB691_1880
.LBB691_1490:
	s_or_b32 exec_lo, exec_lo, s13
	s_and_saveexec_b32 s13, s88
	s_cbranch_execnz .LBB691_1883
.LBB691_1491:
	s_or_b32 exec_lo, exec_lo, s13
	s_and_saveexec_b32 s13, s79
	s_cbranch_execnz .LBB691_1886
.LBB691_1492:
	s_or_b32 exec_lo, exec_lo, s13
	s_and_saveexec_b32 s13, s78
	s_cbranch_execnz .LBB691_1889
.LBB691_1493:
	s_or_b32 exec_lo, exec_lo, s13
	s_and_saveexec_b32 s13, s76
	s_cbranch_execnz .LBB691_1892
.LBB691_1494:
	s_or_b32 exec_lo, exec_lo, s13
	s_and_saveexec_b32 s13, s75
	s_cbranch_execnz .LBB691_1895
.LBB691_1495:
	s_or_b32 exec_lo, exec_lo, s13
	s_and_saveexec_b32 s13, s74
	s_cbranch_execnz .LBB691_1898
	s_branch .LBB691_1901
.LBB691_1496:
	v_and_b32_e32 v69, 0xff, v16
	v_lshrrev_b32_e32 v71, 24, v12
	s_mov_b32 s39, exec_lo
	v_mul_lo_u16 v69, 0xcd, v69
	v_mul_lo_u16 v71, 0xcd, v71
	v_lshrrev_b16 v69, 11, v69
	v_lshrrev_b16 v71, 11, v71
	v_cmpx_lt_u16_e64 v69, v71
	s_cbranch_execz .LBB691_1498
; %bb.1497:
	v_perm_b32 v70, v12, v16, 0x3020107
	v_perm_b32 v10, v12, v16, 0x60504
	;; [unrolled: 1-line block ×3, first 2 shown]
	v_mov_b32_e32 v6, v8
	v_mov_b32_e32 v3, v2
	;; [unrolled: 1-line block ×5, first 2 shown]
.LBB691_1498:
	s_or_b32 exec_lo, exec_lo, s39
	s_or_b32 exec_lo, exec_lo, s13
	s_and_saveexec_b32 s13, s30
	s_cbranch_execz .LBB691_1363
.LBB691_1499:
	v_mov_b32_e32 v2, 0xff
	v_lshrrev_b32_e32 v8, 8, v70
	s_mov_b32 s39, exec_lo
	v_and_b32_sdwa v2, v70, v2 dst_sel:DWORD dst_unused:UNUSED_PAD src0_sel:WORD_1 src1_sel:DWORD
	v_and_b32_e32 v8, 0xff, v8
	v_mul_lo_u16 v2, 0xcd, v2
	v_mul_lo_u16 v8, 0xcd, v8
	v_lshrrev_b16 v2, 11, v2
	v_lshrrev_b16 v8, 11, v8
	v_cmpx_lt_u16_e64 v2, v8
; %bb.1500:
	v_perm_b32 v70, v70, v70, 0x7050604
	v_perm_b32 v13, v13, v13, 0x3060504
; %bb.1501:
	s_or_b32 exec_lo, exec_lo, s39
	s_or_b32 exec_lo, exec_lo, s13
	s_and_saveexec_b32 s13, s31
	s_cbranch_execz .LBB691_1364
.LBB691_1502:
	v_and_b32_e32 v2, 0xff, v13
	v_lshrrev_b32_e32 v8, 24, v70
	s_mov_b32 s39, exec_lo
	v_mul_lo_u16 v2, 0xcd, v2
	v_mul_lo_u16 v8, 0xcd, v8
	v_lshrrev_b16 v2, 11, v2
	v_lshrrev_b16 v8, 11, v8
	v_cmpx_lt_u16_e64 v2, v8
; %bb.1503:
	v_perm_b32 v2, v70, v13, 0x3020107
	v_perm_b32 v70, v70, v13, 0x60504
	v_mov_b32_e32 v13, v2
; %bb.1504:
	s_or_b32 exec_lo, exec_lo, s39
	s_or_b32 exec_lo, exec_lo, s13
	s_and_saveexec_b32 s13, s34
	s_cbranch_execz .LBB691_1365
.LBB691_1505:
	v_mov_b32_e32 v2, 0xff
	v_lshrrev_b32_e32 v8, 8, v13
	s_mov_b32 s39, exec_lo
	v_and_b32_sdwa v2, v13, v2 dst_sel:DWORD dst_unused:UNUSED_PAD src0_sel:WORD_1 src1_sel:DWORD
	v_and_b32_e32 v8, 0xff, v8
	v_mul_lo_u16 v2, 0xcd, v2
	v_mul_lo_u16 v8, 0xcd, v8
	v_lshrrev_b16 v2, 11, v2
	v_lshrrev_b16 v8, 11, v8
	v_cmpx_lt_u16_e64 v2, v8
; %bb.1506:
	v_perm_b32 v13, v13, v13, 0x7050604
; %bb.1507:
	s_or_b32 exec_lo, exec_lo, s39
	s_or_b32 exec_lo, exec_lo, s13
	s_and_saveexec_b32 s13, s91
	s_cbranch_execz .LBB691_1366
.LBB691_1508:
	v_lshrrev_b32_e32 v2, 8, v6
	v_and_b32_e32 v8, 0xff, v6
	s_mov_b32 s39, exec_lo
	v_and_b32_e32 v2, 0xff, v2
	v_mul_lo_u16 v8, 0xcd, v8
	v_mul_lo_u16 v2, 0xcd, v2
	v_lshrrev_b16 v8, 11, v8
	v_lshrrev_b16 v2, 11, v2
	v_cmpx_lt_u16_e64 v2, v8
; %bb.1509:
	v_perm_b32 v6, v6, v6, 0x7060405
	v_perm_b32 v3, v3, v3, 0x3060504
; %bb.1510:
	s_or_b32 exec_lo, exec_lo, s39
	s_or_b32 exec_lo, exec_lo, s13
	s_and_saveexec_b32 s13, s88
	s_cbranch_execz .LBB691_1367
.LBB691_1511:
	v_mov_b32_e32 v2, 0xff
	v_lshrrev_b32_e32 v8, 24, v6
	s_mov_b32 s39, exec_lo
	v_and_b32_sdwa v2, v6, v2 dst_sel:DWORD dst_unused:UNUSED_PAD src0_sel:WORD_1 src1_sel:DWORD
	v_mul_lo_u16 v8, 0xcd, v8
	v_mul_lo_u16 v2, 0xcd, v2
	v_lshrrev_b16 v8, 11, v8
	v_lshrrev_b16 v2, 11, v2
	v_cmpx_lt_u16_e64 v8, v2
; %bb.1512:
	v_perm_b32 v6, v6, v6, 0x6070504
	v_perm_b32 v3, v3, v3, 0x3060504
; %bb.1513:
	s_or_b32 exec_lo, exec_lo, s39
	s_or_b32 exec_lo, exec_lo, s13
	s_and_saveexec_b32 s13, s79
	s_cbranch_execz .LBB691_1368
.LBB691_1514:
	v_lshrrev_b32_e32 v2, 8, v3
	v_and_b32_e32 v8, 0xff, v3
	s_mov_b32 s39, exec_lo
	v_and_b32_e32 v2, 0xff, v2
	v_mul_lo_u16 v8, 0xcd, v8
	v_mul_lo_u16 v2, 0xcd, v2
	v_lshrrev_b16 v8, 11, v8
	v_lshrrev_b16 v2, 11, v2
	v_cmpx_lt_u16_e64 v2, v8
; %bb.1515:
	v_perm_b32 v3, v3, v3, 0x7060405
; %bb.1516:
	s_or_b32 exec_lo, exec_lo, s39
	s_or_b32 exec_lo, exec_lo, s13
	s_and_saveexec_b32 s13, s78
	s_cbranch_execz .LBB691_1369
.LBB691_1517:
	v_mov_b32_e32 v2, 0xff
	v_lshrrev_b32_e32 v8, 24, v3
	s_mov_b32 s39, exec_lo
	v_and_b32_sdwa v2, v3, v2 dst_sel:DWORD dst_unused:UNUSED_PAD src0_sel:WORD_1 src1_sel:DWORD
	v_mul_lo_u16 v8, 0xcd, v8
	v_mul_lo_u16 v2, 0xcd, v2
	v_lshrrev_b16 v8, 11, v8
	v_lshrrev_b16 v2, 11, v2
	v_cmpx_lt_u16_e64 v8, v2
; %bb.1518:
	v_perm_b32 v3, v3, v3, 0x6070504
; %bb.1519:
	s_or_b32 exec_lo, exec_lo, s39
	s_or_b32 exec_lo, exec_lo, s13
	s_and_saveexec_b32 s13, s76
	s_cbranch_execz .LBB691_1370
.LBB691_1520:
	v_lshrrev_b32_e32 v2, 8, v11
	v_and_b32_e32 v8, 0xff, v11
	s_mov_b32 s39, exec_lo
	v_and_b32_e32 v2, 0xff, v2
	v_mul_lo_u16 v8, 0xcd, v8
	v_mul_lo_u16 v2, 0xcd, v2
	v_lshrrev_b16 v8, 11, v8
	v_lshrrev_b16 v2, 11, v2
	v_cmpx_lt_u16_e64 v2, v8
; %bb.1521:
	v_perm_b32 v11, v11, v11, 0x7060405
	v_perm_b32 v7, v7, v7, 0x3060504
; %bb.1522:
	s_or_b32 exec_lo, exec_lo, s39
	s_or_b32 exec_lo, exec_lo, s13
	s_and_saveexec_b32 s13, s75
	s_cbranch_execz .LBB691_1371
.LBB691_1523:
	v_mov_b32_e32 v2, 0xff
	v_lshrrev_b32_e32 v8, 24, v11
	s_mov_b32 s39, exec_lo
	v_and_b32_sdwa v2, v11, v2 dst_sel:DWORD dst_unused:UNUSED_PAD src0_sel:WORD_1 src1_sel:DWORD
	v_mul_lo_u16 v8, 0xcd, v8
	v_mul_lo_u16 v2, 0xcd, v2
	v_lshrrev_b16 v8, 11, v8
	v_lshrrev_b16 v2, 11, v2
	v_cmpx_lt_u16_e64 v8, v2
; %bb.1524:
	v_perm_b32 v11, v11, v11, 0x6070504
	v_perm_b32 v7, v7, v7, 0x3060504
; %bb.1525:
	s_or_b32 exec_lo, exec_lo, s39
	s_or_b32 exec_lo, exec_lo, s13
	s_and_saveexec_b32 s13, s74
	s_cbranch_execz .LBB691_1372
.LBB691_1526:
	v_lshrrev_b32_e32 v2, 8, v7
	v_and_b32_e32 v8, 0xff, v7
	s_mov_b32 s39, exec_lo
	v_and_b32_e32 v2, 0xff, v2
	v_mul_lo_u16 v8, 0xcd, v8
	v_mul_lo_u16 v2, 0xcd, v2
	v_lshrrev_b16 v8, 11, v8
	v_lshrrev_b16 v2, 11, v2
	v_cmpx_lt_u16_e64 v2, v8
; %bb.1527:
	v_perm_b32 v7, v7, v7, 0x7060405
; %bb.1528:
	s_or_b32 exec_lo, exec_lo, s39
	s_or_b32 exec_lo, exec_lo, s13
	s_and_saveexec_b32 s13, s73
	s_cbranch_execz .LBB691_1373
.LBB691_1529:
	v_mov_b32_e32 v2, 0xff
	v_lshrrev_b32_e32 v8, 24, v7
	s_mov_b32 s39, exec_lo
	v_and_b32_sdwa v2, v7, v2 dst_sel:DWORD dst_unused:UNUSED_PAD src0_sel:WORD_1 src1_sel:DWORD
	v_mul_lo_u16 v8, 0xcd, v8
	v_mul_lo_u16 v2, 0xcd, v2
	v_lshrrev_b16 v8, 11, v8
	v_lshrrev_b16 v2, 11, v2
	v_cmpx_lt_u16_e64 v8, v2
; %bb.1530:
	v_perm_b32 v7, v7, v7, 0x6070504
; %bb.1531:
	s_or_b32 exec_lo, exec_lo, s39
	s_or_b32 exec_lo, exec_lo, s13
	s_and_saveexec_b32 s13, s72
	s_cbranch_execz .LBB691_1374
.LBB691_1532:
	v_lshrrev_b32_e32 v2, 8, v81
	v_and_b32_e32 v8, 0xff, v81
	s_mov_b32 s39, exec_lo
	v_and_b32_e32 v2, 0xff, v2
	v_mul_lo_u16 v8, 0xcd, v8
	v_mul_lo_u16 v2, 0xcd, v2
	v_lshrrev_b16 v8, 11, v8
	v_lshrrev_b16 v2, 11, v2
	v_cmpx_lt_u16_e64 v2, v8
; %bb.1533:
	v_perm_b32 v81, v81, v81, 0x7060405
	v_perm_b32 v10, v10, v10, 0x3060504
; %bb.1534:
	s_or_b32 exec_lo, exec_lo, s39
	s_or_b32 exec_lo, exec_lo, s13
	s_and_saveexec_b32 s13, s62
	s_cbranch_execz .LBB691_1375
.LBB691_1535:
	v_mov_b32_e32 v2, 0xff
	v_lshrrev_b32_e32 v8, 24, v81
	s_mov_b32 s39, exec_lo
	v_and_b32_sdwa v2, v81, v2 dst_sel:DWORD dst_unused:UNUSED_PAD src0_sel:WORD_1 src1_sel:DWORD
	v_mul_lo_u16 v8, 0xcd, v8
	v_mul_lo_u16 v2, 0xcd, v2
	v_lshrrev_b16 v8, 11, v8
	v_lshrrev_b16 v2, 11, v2
	v_cmpx_lt_u16_e64 v8, v2
; %bb.1536:
	v_perm_b32 v81, v81, v81, 0x6070504
	v_perm_b32 v10, v10, v10, 0x3060504
; %bb.1537:
	s_or_b32 exec_lo, exec_lo, s39
	s_or_b32 exec_lo, exec_lo, s13
	s_and_saveexec_b32 s13, s61
	s_cbranch_execz .LBB691_1376
.LBB691_1538:
	v_lshrrev_b32_e32 v2, 8, v10
	v_and_b32_e32 v8, 0xff, v10
	s_mov_b32 s39, exec_lo
	v_and_b32_e32 v2, 0xff, v2
	v_mul_lo_u16 v8, 0xcd, v8
	v_mul_lo_u16 v2, 0xcd, v2
	v_lshrrev_b16 v8, 11, v8
	v_lshrrev_b16 v2, 11, v2
	v_cmpx_lt_u16_e64 v2, v8
; %bb.1539:
	v_perm_b32 v10, v10, v10, 0x7060405
; %bb.1540:
	s_or_b32 exec_lo, exec_lo, s39
	s_or_b32 exec_lo, exec_lo, s13
	s_and_saveexec_b32 s13, s60
	s_cbranch_execz .LBB691_1377
.LBB691_1541:
	v_mov_b32_e32 v2, 0xff
	v_lshrrev_b32_e32 v8, 24, v10
	s_mov_b32 s39, exec_lo
	v_and_b32_sdwa v2, v10, v2 dst_sel:DWORD dst_unused:UNUSED_PAD src0_sel:WORD_1 src1_sel:DWORD
	v_mul_lo_u16 v8, 0xcd, v8
	v_mul_lo_u16 v2, 0xcd, v2
	v_lshrrev_b16 v8, 11, v8
	v_lshrrev_b16 v2, 11, v2
	v_cmpx_lt_u16_e64 v8, v2
; %bb.1542:
	v_perm_b32 v10, v10, v10, 0x6070504
; %bb.1543:
	s_or_b32 exec_lo, exec_lo, s39
	s_or_b32 exec_lo, exec_lo, s13
	s_and_saveexec_b32 s13, s59
	s_cbranch_execz .LBB691_1378
.LBB691_1544:
	v_lshrrev_b32_e32 v2, 8, v70
	v_and_b32_e32 v8, 0xff, v70
	s_mov_b32 s39, exec_lo
	v_and_b32_e32 v2, 0xff, v2
	v_mul_lo_u16 v8, 0xcd, v8
	v_mul_lo_u16 v2, 0xcd, v2
	v_lshrrev_b16 v8, 11, v8
	v_lshrrev_b16 v2, 11, v2
	v_cmpx_lt_u16_e64 v2, v8
; %bb.1545:
	v_perm_b32 v70, v70, v70, 0x7060405
	v_perm_b32 v13, v13, v13, 0x3060504
; %bb.1546:
	s_or_b32 exec_lo, exec_lo, s39
	s_or_b32 exec_lo, exec_lo, s13
	s_and_saveexec_b32 s13, s57
	s_cbranch_execz .LBB691_1379
.LBB691_1547:
	v_mov_b32_e32 v2, 0xff
	v_lshrrev_b32_e32 v8, 24, v70
	s_mov_b32 s39, exec_lo
	v_and_b32_sdwa v2, v70, v2 dst_sel:DWORD dst_unused:UNUSED_PAD src0_sel:WORD_1 src1_sel:DWORD
	v_mul_lo_u16 v8, 0xcd, v8
	v_mul_lo_u16 v2, 0xcd, v2
	v_lshrrev_b16 v8, 11, v8
	v_lshrrev_b16 v2, 11, v2
	v_cmpx_lt_u16_e64 v8, v2
; %bb.1548:
	v_perm_b32 v70, v70, v70, 0x6070504
	v_perm_b32 v13, v13, v13, 0x3060504
; %bb.1549:
	s_or_b32 exec_lo, exec_lo, s39
	s_or_b32 exec_lo, exec_lo, s13
	s_and_saveexec_b32 s13, s56
	s_cbranch_execz .LBB691_1380
.LBB691_1550:
	v_lshrrev_b32_e32 v2, 8, v13
	v_and_b32_e32 v8, 0xff, v13
	s_mov_b32 s39, exec_lo
	v_and_b32_e32 v2, 0xff, v2
	v_mul_lo_u16 v8, 0xcd, v8
	v_mul_lo_u16 v2, 0xcd, v2
	v_lshrrev_b16 v8, 11, v8
	v_lshrrev_b16 v2, 11, v2
	v_cmpx_lt_u16_e64 v2, v8
; %bb.1551:
	v_perm_b32 v13, v13, v13, 0x7060405
; %bb.1552:
	s_or_b32 exec_lo, exec_lo, s39
	s_or_b32 exec_lo, exec_lo, s13
	s_and_saveexec_b32 s13, s9
	s_cbranch_execz .LBB691_1381
.LBB691_1553:
	v_mov_b32_e32 v2, 0xff
	v_lshrrev_b32_e32 v8, 24, v13
	s_mov_b32 s39, exec_lo
	v_and_b32_sdwa v2, v13, v2 dst_sel:DWORD dst_unused:UNUSED_PAD src0_sel:WORD_1 src1_sel:DWORD
	v_mul_lo_u16 v8, 0xcd, v8
	v_mul_lo_u16 v2, 0xcd, v2
	v_lshrrev_b16 v8, 11, v8
	v_lshrrev_b16 v2, 11, v2
	v_cmpx_lt_u16_e64 v8, v2
; %bb.1554:
	v_perm_b32 v13, v13, v13, 0x6070504
; %bb.1555:
	s_or_b32 exec_lo, exec_lo, s39
	s_or_b32 exec_lo, exec_lo, s13
	s_and_saveexec_b32 s13, vcc_lo
	s_cbranch_execz .LBB691_1382
.LBB691_1556:
	v_mov_b32_e32 v2, 0xff
	v_lshrrev_b32_e32 v8, 8, v6
	s_mov_b32 s39, exec_lo
	v_and_b32_sdwa v2, v6, v2 dst_sel:DWORD dst_unused:UNUSED_PAD src0_sel:WORD_1 src1_sel:DWORD
	v_and_b32_e32 v8, 0xff, v8
	v_mul_lo_u16 v2, 0xcd, v2
	v_mul_lo_u16 v8, 0xcd, v8
	v_lshrrev_b16 v2, 11, v2
	v_lshrrev_b16 v8, 11, v8
	v_cmpx_lt_u16_e64 v2, v8
; %bb.1557:
	v_perm_b32 v6, v6, v6, 0x7050604
	v_perm_b32 v3, v3, v3, 0x3060504
; %bb.1558:
	s_or_b32 exec_lo, exec_lo, s39
	s_or_b32 exec_lo, exec_lo, s13
	s_and_saveexec_b32 s13, s8
	s_cbranch_execz .LBB691_1383
.LBB691_1559:
	v_and_b32_e32 v2, 0xff, v3
	v_lshrrev_b32_e32 v8, 24, v6
	s_mov_b32 s39, exec_lo
	v_mul_lo_u16 v2, 0xcd, v2
	v_mul_lo_u16 v8, 0xcd, v8
	v_lshrrev_b16 v2, 11, v2
	v_lshrrev_b16 v8, 11, v8
	v_cmpx_lt_u16_e64 v2, v8
; %bb.1560:
	v_perm_b32 v2, v6, v3, 0x3020107
	v_perm_b32 v6, v6, v3, 0x60504
	v_mov_b32_e32 v3, v2
; %bb.1561:
	s_or_b32 exec_lo, exec_lo, s39
	s_or_b32 exec_lo, exec_lo, s13
	s_and_saveexec_b32 s13, s58
	s_cbranch_execz .LBB691_1384
.LBB691_1562:
	v_mov_b32_e32 v2, 0xff
	v_lshrrev_b32_e32 v8, 8, v3
	s_mov_b32 s39, exec_lo
	v_and_b32_sdwa v2, v3, v2 dst_sel:DWORD dst_unused:UNUSED_PAD src0_sel:WORD_1 src1_sel:DWORD
	v_and_b32_e32 v8, 0xff, v8
	v_mul_lo_u16 v2, 0xcd, v2
	v_mul_lo_u16 v8, 0xcd, v8
	v_lshrrev_b16 v2, 11, v2
	v_lshrrev_b16 v8, 11, v8
	v_cmpx_lt_u16_e64 v2, v8
; %bb.1563:
	v_perm_b32 v3, v3, v3, 0x7050604
; %bb.1564:
	s_or_b32 exec_lo, exec_lo, s39
	s_or_b32 exec_lo, exec_lo, s13
	s_and_saveexec_b32 s13, s63
	s_cbranch_execz .LBB691_1385
.LBB691_1565:
	v_and_b32_e32 v2, 0xff, v11
	v_lshrrev_b32_e32 v8, 24, v3
	s_mov_b32 s39, exec_lo
	v_mul_lo_u16 v2, 0xcd, v2
	v_mul_lo_u16 v8, 0xcd, v8
	v_lshrrev_b16 v2, 11, v2
	v_lshrrev_b16 v8, 11, v8
	v_cmpx_lt_u16_e64 v2, v8
; %bb.1566:
	v_perm_b32 v2, v3, v11, 0x3020107
	v_perm_b32 v3, v3, v11, 0x60504
	v_perm_b32 v7, v7, v7, 0x3060504
	v_mov_b32_e32 v11, v2
; %bb.1567:
	s_or_b32 exec_lo, exec_lo, s39
	s_or_b32 exec_lo, exec_lo, s13
	s_and_saveexec_b32 s13, s77
	s_cbranch_execz .LBB691_1386
.LBB691_1568:
	v_mov_b32_e32 v2, 0xff
	v_lshrrev_b32_e32 v8, 8, v11
	s_mov_b32 s39, exec_lo
	v_and_b32_sdwa v2, v11, v2 dst_sel:DWORD dst_unused:UNUSED_PAD src0_sel:WORD_1 src1_sel:DWORD
	v_and_b32_e32 v8, 0xff, v8
	v_mul_lo_u16 v2, 0xcd, v2
	v_mul_lo_u16 v8, 0xcd, v8
	v_lshrrev_b16 v2, 11, v2
	v_lshrrev_b16 v8, 11, v8
	v_cmpx_lt_u16_e64 v2, v8
; %bb.1569:
	v_perm_b32 v11, v11, v11, 0x7050604
	v_perm_b32 v7, v7, v7, 0x3060504
; %bb.1570:
	s_or_b32 exec_lo, exec_lo, s39
	s_or_b32 exec_lo, exec_lo, s13
	s_and_saveexec_b32 s13, s89
	s_cbranch_execz .LBB691_1387
.LBB691_1571:
	v_and_b32_e32 v2, 0xff, v7
	v_lshrrev_b32_e32 v8, 24, v11
	s_mov_b32 s39, exec_lo
	v_mul_lo_u16 v2, 0xcd, v2
	v_mul_lo_u16 v8, 0xcd, v8
	v_lshrrev_b16 v2, 11, v2
	v_lshrrev_b16 v8, 11, v8
	v_cmpx_lt_u16_e64 v2, v8
; %bb.1572:
	v_perm_b32 v2, v11, v7, 0x3020107
	v_perm_b32 v11, v11, v7, 0x60504
	v_mov_b32_e32 v7, v2
; %bb.1573:
	s_or_b32 exec_lo, exec_lo, s39
	s_or_b32 exec_lo, exec_lo, s13
	s_and_saveexec_b32 s13, s90
	s_cbranch_execz .LBB691_1388
.LBB691_1574:
	v_mov_b32_e32 v2, 0xff
	v_lshrrev_b32_e32 v8, 8, v7
	s_mov_b32 s39, exec_lo
	v_and_b32_sdwa v2, v7, v2 dst_sel:DWORD dst_unused:UNUSED_PAD src0_sel:WORD_1 src1_sel:DWORD
	v_and_b32_e32 v8, 0xff, v8
	v_mul_lo_u16 v2, 0xcd, v2
	v_mul_lo_u16 v8, 0xcd, v8
	v_lshrrev_b16 v2, 11, v2
	v_lshrrev_b16 v8, 11, v8
	v_cmpx_lt_u16_e64 v2, v8
; %bb.1575:
	v_perm_b32 v7, v7, v7, 0x7050604
; %bb.1576:
	s_or_b32 exec_lo, exec_lo, s39
	s_or_b32 exec_lo, exec_lo, s13
	s_and_saveexec_b32 s13, s92
	s_cbranch_execz .LBB691_1389
.LBB691_1577:
	v_and_b32_e32 v2, 0xff, v81
	v_lshrrev_b32_e32 v8, 24, v7
	s_mov_b32 s39, exec_lo
	v_mul_lo_u16 v2, 0xcd, v2
	v_mul_lo_u16 v8, 0xcd, v8
	v_lshrrev_b16 v2, 11, v2
	v_lshrrev_b16 v8, 11, v8
	v_cmpx_lt_u16_e64 v2, v8
; %bb.1578:
	v_perm_b32 v2, v7, v81, 0x3020107
	v_perm_b32 v7, v7, v81, 0x60504
	v_perm_b32 v10, v10, v10, 0x3060504
	v_mov_b32_e32 v81, v2
; %bb.1579:
	s_or_b32 exec_lo, exec_lo, s39
	s_or_b32 exec_lo, exec_lo, s13
	s_and_saveexec_b32 s13, s93
	s_cbranch_execz .LBB691_1390
.LBB691_1580:
	v_mov_b32_e32 v2, 0xff
	v_lshrrev_b32_e32 v8, 8, v81
	s_mov_b32 s39, exec_lo
	v_and_b32_sdwa v2, v81, v2 dst_sel:DWORD dst_unused:UNUSED_PAD src0_sel:WORD_1 src1_sel:DWORD
	v_and_b32_e32 v8, 0xff, v8
	v_mul_lo_u16 v2, 0xcd, v2
	v_mul_lo_u16 v8, 0xcd, v8
	v_lshrrev_b16 v2, 11, v2
	v_lshrrev_b16 v8, 11, v8
	v_cmpx_lt_u16_e64 v2, v8
; %bb.1581:
	v_perm_b32 v81, v81, v81, 0x7050604
	v_perm_b32 v10, v10, v10, 0x3060504
; %bb.1582:
	s_or_b32 exec_lo, exec_lo, s39
	s_or_b32 exec_lo, exec_lo, s13
	s_and_saveexec_b32 s13, s94
	s_cbranch_execz .LBB691_1391
.LBB691_1583:
	v_and_b32_e32 v2, 0xff, v10
	v_lshrrev_b32_e32 v8, 24, v81
	s_mov_b32 s39, exec_lo
	v_mul_lo_u16 v2, 0xcd, v2
	v_mul_lo_u16 v8, 0xcd, v8
	v_lshrrev_b16 v2, 11, v2
	v_lshrrev_b16 v8, 11, v8
	v_cmpx_lt_u16_e64 v2, v8
; %bb.1584:
	v_perm_b32 v2, v81, v10, 0x3020107
	v_perm_b32 v81, v81, v10, 0x60504
	v_mov_b32_e32 v10, v2
; %bb.1585:
	s_or_b32 exec_lo, exec_lo, s39
	s_or_b32 exec_lo, exec_lo, s13
	s_and_saveexec_b32 s13, s95
	s_cbranch_execz .LBB691_1392
.LBB691_1586:
	v_mov_b32_e32 v2, 0xff
	v_lshrrev_b32_e32 v8, 8, v10
	s_mov_b32 s39, exec_lo
	v_and_b32_sdwa v2, v10, v2 dst_sel:DWORD dst_unused:UNUSED_PAD src0_sel:WORD_1 src1_sel:DWORD
	v_and_b32_e32 v8, 0xff, v8
	v_mul_lo_u16 v2, 0xcd, v2
	v_mul_lo_u16 v8, 0xcd, v8
	v_lshrrev_b16 v2, 11, v2
	v_lshrrev_b16 v8, 11, v8
	v_cmpx_lt_u16_e64 v2, v8
; %bb.1587:
	v_perm_b32 v10, v10, v10, 0x7050604
; %bb.1588:
	s_or_b32 exec_lo, exec_lo, s39
	s_or_b32 exec_lo, exec_lo, s13
	s_and_saveexec_b32 s13, vcc_hi
	s_cbranch_execz .LBB691_1393
.LBB691_1589:
	v_and_b32_e32 v2, 0xff, v70
	v_lshrrev_b32_e32 v8, 24, v10
	s_mov_b32 s39, exec_lo
	v_mul_lo_u16 v2, 0xcd, v2
	v_mul_lo_u16 v8, 0xcd, v8
	v_lshrrev_b16 v2, 11, v2
	v_lshrrev_b16 v8, 11, v8
	v_cmpx_lt_u16_e64 v2, v8
; %bb.1590:
	v_perm_b32 v2, v10, v70, 0x3020107
	v_perm_b32 v10, v10, v70, 0x60504
	;; [unrolled: 1-line block ×3, first 2 shown]
	v_mov_b32_e32 v70, v2
; %bb.1591:
	s_or_b32 exec_lo, exec_lo, s39
	s_or_b32 exec_lo, exec_lo, s13
	s_and_saveexec_b32 s13, s30
	s_cbranch_execz .LBB691_1394
.LBB691_1592:
	v_mov_b32_e32 v2, 0xff
	v_lshrrev_b32_e32 v8, 8, v70
	s_mov_b32 s39, exec_lo
	v_and_b32_sdwa v2, v70, v2 dst_sel:DWORD dst_unused:UNUSED_PAD src0_sel:WORD_1 src1_sel:DWORD
	v_and_b32_e32 v8, 0xff, v8
	v_mul_lo_u16 v2, 0xcd, v2
	v_mul_lo_u16 v8, 0xcd, v8
	v_lshrrev_b16 v2, 11, v2
	v_lshrrev_b16 v8, 11, v8
	v_cmpx_lt_u16_e64 v2, v8
; %bb.1593:
	v_perm_b32 v70, v70, v70, 0x7050604
	v_perm_b32 v13, v13, v13, 0x3060504
; %bb.1594:
	s_or_b32 exec_lo, exec_lo, s39
	s_or_b32 exec_lo, exec_lo, s13
	s_and_saveexec_b32 s13, s31
	s_cbranch_execz .LBB691_1395
.LBB691_1595:
	v_and_b32_e32 v2, 0xff, v13
	v_lshrrev_b32_e32 v8, 24, v70
	s_mov_b32 s39, exec_lo
	v_mul_lo_u16 v2, 0xcd, v2
	v_mul_lo_u16 v8, 0xcd, v8
	v_lshrrev_b16 v2, 11, v2
	v_lshrrev_b16 v8, 11, v8
	v_cmpx_lt_u16_e64 v2, v8
; %bb.1596:
	v_perm_b32 v2, v70, v13, 0x3020107
	v_perm_b32 v70, v70, v13, 0x60504
	v_mov_b32_e32 v13, v2
; %bb.1597:
	s_or_b32 exec_lo, exec_lo, s39
	s_or_b32 exec_lo, exec_lo, s13
	s_and_saveexec_b32 s13, s34
	s_cbranch_execz .LBB691_1396
.LBB691_1598:
	v_mov_b32_e32 v2, 0xff
	v_lshrrev_b32_e32 v8, 8, v13
	s_mov_b32 s39, exec_lo
	v_and_b32_sdwa v2, v13, v2 dst_sel:DWORD dst_unused:UNUSED_PAD src0_sel:WORD_1 src1_sel:DWORD
	v_and_b32_e32 v8, 0xff, v8
	v_mul_lo_u16 v2, 0xcd, v2
	v_mul_lo_u16 v8, 0xcd, v8
	v_lshrrev_b16 v2, 11, v2
	v_lshrrev_b16 v8, 11, v8
	v_cmpx_lt_u16_e64 v2, v8
; %bb.1599:
	v_perm_b32 v13, v13, v13, 0x7050604
; %bb.1600:
	s_or_b32 exec_lo, exec_lo, s39
	s_or_b32 exec_lo, exec_lo, s13
	s_and_saveexec_b32 s13, s91
	s_cbranch_execz .LBB691_1397
.LBB691_1601:
	v_lshrrev_b32_e32 v2, 8, v6
	v_and_b32_e32 v8, 0xff, v6
	s_mov_b32 s39, exec_lo
	v_and_b32_e32 v2, 0xff, v2
	v_mul_lo_u16 v8, 0xcd, v8
	v_mul_lo_u16 v2, 0xcd, v2
	v_lshrrev_b16 v8, 11, v8
	v_lshrrev_b16 v2, 11, v2
	v_cmpx_lt_u16_e64 v2, v8
; %bb.1602:
	v_perm_b32 v6, v6, v6, 0x7060405
	v_perm_b32 v3, v3, v3, 0x3060504
; %bb.1603:
	s_or_b32 exec_lo, exec_lo, s39
	s_or_b32 exec_lo, exec_lo, s13
	s_and_saveexec_b32 s13, s88
	s_cbranch_execz .LBB691_1398
.LBB691_1604:
	v_mov_b32_e32 v2, 0xff
	v_lshrrev_b32_e32 v8, 24, v6
	s_mov_b32 s39, exec_lo
	v_and_b32_sdwa v2, v6, v2 dst_sel:DWORD dst_unused:UNUSED_PAD src0_sel:WORD_1 src1_sel:DWORD
	v_mul_lo_u16 v8, 0xcd, v8
	v_mul_lo_u16 v2, 0xcd, v2
	v_lshrrev_b16 v8, 11, v8
	v_lshrrev_b16 v2, 11, v2
	v_cmpx_lt_u16_e64 v8, v2
; %bb.1605:
	v_perm_b32 v6, v6, v6, 0x6070504
	v_perm_b32 v3, v3, v3, 0x3060504
; %bb.1606:
	s_or_b32 exec_lo, exec_lo, s39
	s_or_b32 exec_lo, exec_lo, s13
	s_and_saveexec_b32 s13, s79
	s_cbranch_execz .LBB691_1399
.LBB691_1607:
	v_lshrrev_b32_e32 v2, 8, v3
	v_and_b32_e32 v8, 0xff, v3
	s_mov_b32 s39, exec_lo
	v_and_b32_e32 v2, 0xff, v2
	v_mul_lo_u16 v8, 0xcd, v8
	v_mul_lo_u16 v2, 0xcd, v2
	v_lshrrev_b16 v8, 11, v8
	v_lshrrev_b16 v2, 11, v2
	v_cmpx_lt_u16_e64 v2, v8
; %bb.1608:
	v_perm_b32 v3, v3, v3, 0x7060405
; %bb.1609:
	s_or_b32 exec_lo, exec_lo, s39
	s_or_b32 exec_lo, exec_lo, s13
	s_and_saveexec_b32 s13, s78
	s_cbranch_execz .LBB691_1400
.LBB691_1610:
	v_mov_b32_e32 v2, 0xff
	v_lshrrev_b32_e32 v8, 24, v3
	s_mov_b32 s39, exec_lo
	v_and_b32_sdwa v2, v3, v2 dst_sel:DWORD dst_unused:UNUSED_PAD src0_sel:WORD_1 src1_sel:DWORD
	v_mul_lo_u16 v8, 0xcd, v8
	v_mul_lo_u16 v2, 0xcd, v2
	v_lshrrev_b16 v8, 11, v8
	v_lshrrev_b16 v2, 11, v2
	v_cmpx_lt_u16_e64 v8, v2
; %bb.1611:
	v_perm_b32 v3, v3, v3, 0x6070504
; %bb.1612:
	s_or_b32 exec_lo, exec_lo, s39
	s_or_b32 exec_lo, exec_lo, s13
	s_and_saveexec_b32 s13, s76
	s_cbranch_execz .LBB691_1401
.LBB691_1613:
	v_lshrrev_b32_e32 v2, 8, v11
	v_and_b32_e32 v8, 0xff, v11
	s_mov_b32 s39, exec_lo
	v_and_b32_e32 v2, 0xff, v2
	v_mul_lo_u16 v8, 0xcd, v8
	v_mul_lo_u16 v2, 0xcd, v2
	v_lshrrev_b16 v8, 11, v8
	v_lshrrev_b16 v2, 11, v2
	v_cmpx_lt_u16_e64 v2, v8
; %bb.1614:
	v_perm_b32 v11, v11, v11, 0x7060405
	v_perm_b32 v7, v7, v7, 0x3060504
; %bb.1615:
	s_or_b32 exec_lo, exec_lo, s39
	s_or_b32 exec_lo, exec_lo, s13
	s_and_saveexec_b32 s13, s75
	s_cbranch_execz .LBB691_1402
.LBB691_1616:
	v_mov_b32_e32 v2, 0xff
	v_lshrrev_b32_e32 v8, 24, v11
	s_mov_b32 s39, exec_lo
	v_and_b32_sdwa v2, v11, v2 dst_sel:DWORD dst_unused:UNUSED_PAD src0_sel:WORD_1 src1_sel:DWORD
	v_mul_lo_u16 v8, 0xcd, v8
	v_mul_lo_u16 v2, 0xcd, v2
	v_lshrrev_b16 v8, 11, v8
	v_lshrrev_b16 v2, 11, v2
	v_cmpx_lt_u16_e64 v8, v2
; %bb.1617:
	v_perm_b32 v11, v11, v11, 0x6070504
	v_perm_b32 v7, v7, v7, 0x3060504
; %bb.1618:
	s_or_b32 exec_lo, exec_lo, s39
	s_or_b32 exec_lo, exec_lo, s13
	s_and_saveexec_b32 s13, s74
	s_cbranch_execz .LBB691_1403
.LBB691_1619:
	v_lshrrev_b32_e32 v2, 8, v7
	v_and_b32_e32 v8, 0xff, v7
	s_mov_b32 s39, exec_lo
	v_and_b32_e32 v2, 0xff, v2
	v_mul_lo_u16 v8, 0xcd, v8
	v_mul_lo_u16 v2, 0xcd, v2
	v_lshrrev_b16 v8, 11, v8
	v_lshrrev_b16 v2, 11, v2
	v_cmpx_lt_u16_e64 v2, v8
; %bb.1620:
	v_perm_b32 v7, v7, v7, 0x7060405
; %bb.1621:
	s_or_b32 exec_lo, exec_lo, s39
	s_or_b32 exec_lo, exec_lo, s13
	s_and_saveexec_b32 s13, s73
	s_cbranch_execz .LBB691_1404
.LBB691_1622:
	v_mov_b32_e32 v2, 0xff
	v_lshrrev_b32_e32 v8, 24, v7
	s_mov_b32 s39, exec_lo
	v_and_b32_sdwa v2, v7, v2 dst_sel:DWORD dst_unused:UNUSED_PAD src0_sel:WORD_1 src1_sel:DWORD
	v_mul_lo_u16 v8, 0xcd, v8
	v_mul_lo_u16 v2, 0xcd, v2
	v_lshrrev_b16 v8, 11, v8
	v_lshrrev_b16 v2, 11, v2
	v_cmpx_lt_u16_e64 v8, v2
; %bb.1623:
	v_perm_b32 v7, v7, v7, 0x6070504
; %bb.1624:
	s_or_b32 exec_lo, exec_lo, s39
	s_or_b32 exec_lo, exec_lo, s13
	s_and_saveexec_b32 s13, s72
	s_cbranch_execz .LBB691_1405
.LBB691_1625:
	v_lshrrev_b32_e32 v2, 8, v81
	v_and_b32_e32 v8, 0xff, v81
	s_mov_b32 s39, exec_lo
	v_and_b32_e32 v2, 0xff, v2
	v_mul_lo_u16 v8, 0xcd, v8
	v_mul_lo_u16 v2, 0xcd, v2
	v_lshrrev_b16 v8, 11, v8
	v_lshrrev_b16 v2, 11, v2
	v_cmpx_lt_u16_e64 v2, v8
; %bb.1626:
	v_perm_b32 v81, v81, v81, 0x7060405
	v_perm_b32 v10, v10, v10, 0x3060504
; %bb.1627:
	s_or_b32 exec_lo, exec_lo, s39
	s_or_b32 exec_lo, exec_lo, s13
	s_and_saveexec_b32 s13, s62
	s_cbranch_execz .LBB691_1406
.LBB691_1628:
	v_mov_b32_e32 v2, 0xff
	v_lshrrev_b32_e32 v8, 24, v81
	s_mov_b32 s39, exec_lo
	v_and_b32_sdwa v2, v81, v2 dst_sel:DWORD dst_unused:UNUSED_PAD src0_sel:WORD_1 src1_sel:DWORD
	v_mul_lo_u16 v8, 0xcd, v8
	v_mul_lo_u16 v2, 0xcd, v2
	v_lshrrev_b16 v8, 11, v8
	v_lshrrev_b16 v2, 11, v2
	v_cmpx_lt_u16_e64 v8, v2
; %bb.1629:
	v_perm_b32 v81, v81, v81, 0x6070504
	v_perm_b32 v10, v10, v10, 0x3060504
; %bb.1630:
	s_or_b32 exec_lo, exec_lo, s39
	s_or_b32 exec_lo, exec_lo, s13
	s_and_saveexec_b32 s13, s61
	s_cbranch_execz .LBB691_1407
.LBB691_1631:
	v_lshrrev_b32_e32 v2, 8, v10
	v_and_b32_e32 v8, 0xff, v10
	s_mov_b32 s39, exec_lo
	v_and_b32_e32 v2, 0xff, v2
	v_mul_lo_u16 v8, 0xcd, v8
	v_mul_lo_u16 v2, 0xcd, v2
	v_lshrrev_b16 v8, 11, v8
	v_lshrrev_b16 v2, 11, v2
	v_cmpx_lt_u16_e64 v2, v8
; %bb.1632:
	v_perm_b32 v10, v10, v10, 0x7060405
; %bb.1633:
	s_or_b32 exec_lo, exec_lo, s39
	s_or_b32 exec_lo, exec_lo, s13
	s_and_saveexec_b32 s13, s60
	s_cbranch_execz .LBB691_1408
.LBB691_1634:
	v_mov_b32_e32 v2, 0xff
	v_lshrrev_b32_e32 v8, 24, v10
	s_mov_b32 s39, exec_lo
	v_and_b32_sdwa v2, v10, v2 dst_sel:DWORD dst_unused:UNUSED_PAD src0_sel:WORD_1 src1_sel:DWORD
	v_mul_lo_u16 v8, 0xcd, v8
	v_mul_lo_u16 v2, 0xcd, v2
	v_lshrrev_b16 v8, 11, v8
	v_lshrrev_b16 v2, 11, v2
	v_cmpx_lt_u16_e64 v8, v2
; %bb.1635:
	v_perm_b32 v10, v10, v10, 0x6070504
; %bb.1636:
	s_or_b32 exec_lo, exec_lo, s39
	s_or_b32 exec_lo, exec_lo, s13
	s_and_saveexec_b32 s13, s59
	s_cbranch_execz .LBB691_1409
.LBB691_1637:
	v_lshrrev_b32_e32 v2, 8, v70
	v_and_b32_e32 v8, 0xff, v70
	s_mov_b32 s39, exec_lo
	v_and_b32_e32 v2, 0xff, v2
	v_mul_lo_u16 v8, 0xcd, v8
	v_mul_lo_u16 v2, 0xcd, v2
	v_lshrrev_b16 v8, 11, v8
	v_lshrrev_b16 v2, 11, v2
	v_cmpx_lt_u16_e64 v2, v8
; %bb.1638:
	v_perm_b32 v70, v70, v70, 0x7060405
	v_perm_b32 v13, v13, v13, 0x3060504
; %bb.1639:
	s_or_b32 exec_lo, exec_lo, s39
	s_or_b32 exec_lo, exec_lo, s13
	s_and_saveexec_b32 s13, s57
	s_cbranch_execz .LBB691_1410
.LBB691_1640:
	v_mov_b32_e32 v2, 0xff
	v_lshrrev_b32_e32 v8, 24, v70
	s_mov_b32 s39, exec_lo
	v_and_b32_sdwa v2, v70, v2 dst_sel:DWORD dst_unused:UNUSED_PAD src0_sel:WORD_1 src1_sel:DWORD
	v_mul_lo_u16 v8, 0xcd, v8
	v_mul_lo_u16 v2, 0xcd, v2
	v_lshrrev_b16 v8, 11, v8
	v_lshrrev_b16 v2, 11, v2
	v_cmpx_lt_u16_e64 v8, v2
; %bb.1641:
	v_perm_b32 v70, v70, v70, 0x6070504
	v_perm_b32 v13, v13, v13, 0x3060504
; %bb.1642:
	s_or_b32 exec_lo, exec_lo, s39
	s_or_b32 exec_lo, exec_lo, s13
	s_and_saveexec_b32 s13, s56
	s_cbranch_execz .LBB691_1411
.LBB691_1643:
	v_lshrrev_b32_e32 v2, 8, v13
	v_and_b32_e32 v8, 0xff, v13
	s_mov_b32 s39, exec_lo
	v_and_b32_e32 v2, 0xff, v2
	v_mul_lo_u16 v8, 0xcd, v8
	v_mul_lo_u16 v2, 0xcd, v2
	v_lshrrev_b16 v8, 11, v8
	v_lshrrev_b16 v2, 11, v2
	v_cmpx_lt_u16_e64 v2, v8
; %bb.1644:
	v_perm_b32 v13, v13, v13, 0x7060405
; %bb.1645:
	s_or_b32 exec_lo, exec_lo, s39
	s_or_b32 exec_lo, exec_lo, s13
	s_and_saveexec_b32 s13, s9
	s_cbranch_execz .LBB691_1412
.LBB691_1646:
	v_mov_b32_e32 v2, 0xff
	v_lshrrev_b32_e32 v8, 24, v13
	s_mov_b32 s39, exec_lo
	v_and_b32_sdwa v2, v13, v2 dst_sel:DWORD dst_unused:UNUSED_PAD src0_sel:WORD_1 src1_sel:DWORD
	v_mul_lo_u16 v8, 0xcd, v8
	v_mul_lo_u16 v2, 0xcd, v2
	v_lshrrev_b16 v8, 11, v8
	v_lshrrev_b16 v2, 11, v2
	v_cmpx_lt_u16_e64 v8, v2
; %bb.1647:
	v_perm_b32 v13, v13, v13, 0x6070504
; %bb.1648:
	s_or_b32 exec_lo, exec_lo, s39
	s_or_b32 exec_lo, exec_lo, s13
	s_and_saveexec_b32 s13, vcc_lo
	s_cbranch_execz .LBB691_1413
.LBB691_1649:
	v_mov_b32_e32 v2, 0xff
	v_lshrrev_b32_e32 v8, 8, v6
	s_mov_b32 s39, exec_lo
	v_and_b32_sdwa v2, v6, v2 dst_sel:DWORD dst_unused:UNUSED_PAD src0_sel:WORD_1 src1_sel:DWORD
	v_and_b32_e32 v8, 0xff, v8
	v_mul_lo_u16 v2, 0xcd, v2
	v_mul_lo_u16 v8, 0xcd, v8
	v_lshrrev_b16 v2, 11, v2
	v_lshrrev_b16 v8, 11, v8
	v_cmpx_lt_u16_e64 v2, v8
; %bb.1650:
	v_perm_b32 v6, v6, v6, 0x7050604
	v_perm_b32 v3, v3, v3, 0x3060504
; %bb.1651:
	s_or_b32 exec_lo, exec_lo, s39
	s_or_b32 exec_lo, exec_lo, s13
	s_and_saveexec_b32 s13, s8
	s_cbranch_execz .LBB691_1414
.LBB691_1652:
	v_and_b32_e32 v2, 0xff, v3
	v_lshrrev_b32_e32 v8, 24, v6
	s_mov_b32 s39, exec_lo
	v_mul_lo_u16 v2, 0xcd, v2
	v_mul_lo_u16 v8, 0xcd, v8
	v_lshrrev_b16 v2, 11, v2
	v_lshrrev_b16 v8, 11, v8
	v_cmpx_lt_u16_e64 v2, v8
; %bb.1653:
	v_perm_b32 v2, v6, v3, 0x3020107
	v_perm_b32 v6, v6, v3, 0x60504
	v_mov_b32_e32 v3, v2
; %bb.1654:
	s_or_b32 exec_lo, exec_lo, s39
	s_or_b32 exec_lo, exec_lo, s13
	s_and_saveexec_b32 s13, s58
	s_cbranch_execz .LBB691_1415
.LBB691_1655:
	v_mov_b32_e32 v2, 0xff
	v_lshrrev_b32_e32 v8, 8, v3
	s_mov_b32 s39, exec_lo
	v_and_b32_sdwa v2, v3, v2 dst_sel:DWORD dst_unused:UNUSED_PAD src0_sel:WORD_1 src1_sel:DWORD
	v_and_b32_e32 v8, 0xff, v8
	v_mul_lo_u16 v2, 0xcd, v2
	v_mul_lo_u16 v8, 0xcd, v8
	v_lshrrev_b16 v2, 11, v2
	v_lshrrev_b16 v8, 11, v8
	v_cmpx_lt_u16_e64 v2, v8
; %bb.1656:
	v_perm_b32 v3, v3, v3, 0x7050604
; %bb.1657:
	s_or_b32 exec_lo, exec_lo, s39
	s_or_b32 exec_lo, exec_lo, s13
	s_and_saveexec_b32 s13, s63
	s_cbranch_execz .LBB691_1416
.LBB691_1658:
	v_and_b32_e32 v2, 0xff, v11
	v_lshrrev_b32_e32 v8, 24, v3
	s_mov_b32 s39, exec_lo
	v_mul_lo_u16 v2, 0xcd, v2
	v_mul_lo_u16 v8, 0xcd, v8
	v_lshrrev_b16 v2, 11, v2
	v_lshrrev_b16 v8, 11, v8
	v_cmpx_lt_u16_e64 v2, v8
; %bb.1659:
	v_perm_b32 v2, v3, v11, 0x3020107
	v_perm_b32 v3, v3, v11, 0x60504
	;; [unrolled: 1-line block ×3, first 2 shown]
	v_mov_b32_e32 v11, v2
; %bb.1660:
	s_or_b32 exec_lo, exec_lo, s39
	s_or_b32 exec_lo, exec_lo, s13
	s_and_saveexec_b32 s13, s77
	s_cbranch_execz .LBB691_1417
.LBB691_1661:
	v_mov_b32_e32 v2, 0xff
	v_lshrrev_b32_e32 v8, 8, v11
	s_mov_b32 s39, exec_lo
	v_and_b32_sdwa v2, v11, v2 dst_sel:DWORD dst_unused:UNUSED_PAD src0_sel:WORD_1 src1_sel:DWORD
	v_and_b32_e32 v8, 0xff, v8
	v_mul_lo_u16 v2, 0xcd, v2
	v_mul_lo_u16 v8, 0xcd, v8
	v_lshrrev_b16 v2, 11, v2
	v_lshrrev_b16 v8, 11, v8
	v_cmpx_lt_u16_e64 v2, v8
; %bb.1662:
	v_perm_b32 v11, v11, v11, 0x7050604
	v_perm_b32 v7, v7, v7, 0x3060504
; %bb.1663:
	s_or_b32 exec_lo, exec_lo, s39
	s_or_b32 exec_lo, exec_lo, s13
	s_and_saveexec_b32 s13, s89
	s_cbranch_execz .LBB691_1418
.LBB691_1664:
	v_and_b32_e32 v2, 0xff, v7
	v_lshrrev_b32_e32 v8, 24, v11
	s_mov_b32 s39, exec_lo
	v_mul_lo_u16 v2, 0xcd, v2
	v_mul_lo_u16 v8, 0xcd, v8
	v_lshrrev_b16 v2, 11, v2
	v_lshrrev_b16 v8, 11, v8
	v_cmpx_lt_u16_e64 v2, v8
; %bb.1665:
	v_perm_b32 v2, v11, v7, 0x3020107
	v_perm_b32 v11, v11, v7, 0x60504
	v_mov_b32_e32 v7, v2
; %bb.1666:
	s_or_b32 exec_lo, exec_lo, s39
	s_or_b32 exec_lo, exec_lo, s13
	s_and_saveexec_b32 s13, s90
	s_cbranch_execz .LBB691_1419
.LBB691_1667:
	v_mov_b32_e32 v2, 0xff
	v_lshrrev_b32_e32 v8, 8, v7
	s_mov_b32 s39, exec_lo
	v_and_b32_sdwa v2, v7, v2 dst_sel:DWORD dst_unused:UNUSED_PAD src0_sel:WORD_1 src1_sel:DWORD
	v_and_b32_e32 v8, 0xff, v8
	v_mul_lo_u16 v2, 0xcd, v2
	v_mul_lo_u16 v8, 0xcd, v8
	v_lshrrev_b16 v2, 11, v2
	v_lshrrev_b16 v8, 11, v8
	v_cmpx_lt_u16_e64 v2, v8
; %bb.1668:
	v_perm_b32 v7, v7, v7, 0x7050604
; %bb.1669:
	s_or_b32 exec_lo, exec_lo, s39
	s_or_b32 exec_lo, exec_lo, s13
	s_and_saveexec_b32 s13, s92
	s_cbranch_execz .LBB691_1420
.LBB691_1670:
	v_and_b32_e32 v2, 0xff, v81
	v_lshrrev_b32_e32 v8, 24, v7
	s_mov_b32 s39, exec_lo
	v_mul_lo_u16 v2, 0xcd, v2
	v_mul_lo_u16 v8, 0xcd, v8
	v_lshrrev_b16 v2, 11, v2
	v_lshrrev_b16 v8, 11, v8
	v_cmpx_lt_u16_e64 v2, v8
; %bb.1671:
	v_perm_b32 v2, v7, v81, 0x3020107
	v_perm_b32 v7, v7, v81, 0x60504
	;; [unrolled: 1-line block ×3, first 2 shown]
	v_mov_b32_e32 v81, v2
; %bb.1672:
	s_or_b32 exec_lo, exec_lo, s39
	s_or_b32 exec_lo, exec_lo, s13
	s_and_saveexec_b32 s13, s93
	s_cbranch_execz .LBB691_1421
.LBB691_1673:
	v_mov_b32_e32 v2, 0xff
	v_lshrrev_b32_e32 v8, 8, v81
	s_mov_b32 s39, exec_lo
	v_and_b32_sdwa v2, v81, v2 dst_sel:DWORD dst_unused:UNUSED_PAD src0_sel:WORD_1 src1_sel:DWORD
	v_and_b32_e32 v8, 0xff, v8
	v_mul_lo_u16 v2, 0xcd, v2
	v_mul_lo_u16 v8, 0xcd, v8
	v_lshrrev_b16 v2, 11, v2
	v_lshrrev_b16 v8, 11, v8
	v_cmpx_lt_u16_e64 v2, v8
; %bb.1674:
	v_perm_b32 v81, v81, v81, 0x7050604
	v_perm_b32 v10, v10, v10, 0x3060504
; %bb.1675:
	s_or_b32 exec_lo, exec_lo, s39
	s_or_b32 exec_lo, exec_lo, s13
	s_and_saveexec_b32 s13, s94
	s_cbranch_execz .LBB691_1422
.LBB691_1676:
	v_and_b32_e32 v2, 0xff, v10
	v_lshrrev_b32_e32 v8, 24, v81
	s_mov_b32 s39, exec_lo
	v_mul_lo_u16 v2, 0xcd, v2
	v_mul_lo_u16 v8, 0xcd, v8
	v_lshrrev_b16 v2, 11, v2
	v_lshrrev_b16 v8, 11, v8
	v_cmpx_lt_u16_e64 v2, v8
; %bb.1677:
	v_perm_b32 v2, v81, v10, 0x3020107
	v_perm_b32 v81, v81, v10, 0x60504
	v_mov_b32_e32 v10, v2
; %bb.1678:
	s_or_b32 exec_lo, exec_lo, s39
	s_or_b32 exec_lo, exec_lo, s13
	s_and_saveexec_b32 s13, s95
	s_cbranch_execz .LBB691_1423
.LBB691_1679:
	v_mov_b32_e32 v2, 0xff
	v_lshrrev_b32_e32 v8, 8, v10
	s_mov_b32 s39, exec_lo
	v_and_b32_sdwa v2, v10, v2 dst_sel:DWORD dst_unused:UNUSED_PAD src0_sel:WORD_1 src1_sel:DWORD
	v_and_b32_e32 v8, 0xff, v8
	v_mul_lo_u16 v2, 0xcd, v2
	v_mul_lo_u16 v8, 0xcd, v8
	v_lshrrev_b16 v2, 11, v2
	v_lshrrev_b16 v8, 11, v8
	v_cmpx_lt_u16_e64 v2, v8
; %bb.1680:
	v_perm_b32 v10, v10, v10, 0x7050604
; %bb.1681:
	s_or_b32 exec_lo, exec_lo, s39
	s_or_b32 exec_lo, exec_lo, s13
	s_and_saveexec_b32 s13, vcc_hi
	s_cbranch_execz .LBB691_1424
.LBB691_1682:
	v_and_b32_e32 v2, 0xff, v70
	v_lshrrev_b32_e32 v8, 24, v10
	s_mov_b32 s39, exec_lo
	v_mul_lo_u16 v2, 0xcd, v2
	v_mul_lo_u16 v8, 0xcd, v8
	v_lshrrev_b16 v2, 11, v2
	v_lshrrev_b16 v8, 11, v8
	v_cmpx_lt_u16_e64 v2, v8
; %bb.1683:
	v_perm_b32 v2, v10, v70, 0x3020107
	v_perm_b32 v10, v10, v70, 0x60504
	v_perm_b32 v13, v13, v13, 0x3060504
	v_mov_b32_e32 v70, v2
; %bb.1684:
	s_or_b32 exec_lo, exec_lo, s39
	s_or_b32 exec_lo, exec_lo, s13
	s_and_saveexec_b32 s13, s30
	s_cbranch_execz .LBB691_1425
.LBB691_1685:
	v_mov_b32_e32 v2, 0xff
	v_lshrrev_b32_e32 v8, 8, v70
	s_mov_b32 s39, exec_lo
	v_and_b32_sdwa v2, v70, v2 dst_sel:DWORD dst_unused:UNUSED_PAD src0_sel:WORD_1 src1_sel:DWORD
	v_and_b32_e32 v8, 0xff, v8
	v_mul_lo_u16 v2, 0xcd, v2
	v_mul_lo_u16 v8, 0xcd, v8
	v_lshrrev_b16 v2, 11, v2
	v_lshrrev_b16 v8, 11, v8
	v_cmpx_lt_u16_e64 v2, v8
; %bb.1686:
	v_perm_b32 v70, v70, v70, 0x7050604
	v_perm_b32 v13, v13, v13, 0x3060504
; %bb.1687:
	s_or_b32 exec_lo, exec_lo, s39
	s_or_b32 exec_lo, exec_lo, s13
	s_and_saveexec_b32 s13, s31
	s_cbranch_execz .LBB691_1426
.LBB691_1688:
	v_and_b32_e32 v2, 0xff, v13
	v_lshrrev_b32_e32 v8, 24, v70
	s_mov_b32 s39, exec_lo
	v_mul_lo_u16 v2, 0xcd, v2
	v_mul_lo_u16 v8, 0xcd, v8
	v_lshrrev_b16 v2, 11, v2
	v_lshrrev_b16 v8, 11, v8
	v_cmpx_lt_u16_e64 v2, v8
; %bb.1689:
	v_perm_b32 v2, v70, v13, 0x3020107
	v_perm_b32 v70, v70, v13, 0x60504
	v_mov_b32_e32 v13, v2
; %bb.1690:
	s_or_b32 exec_lo, exec_lo, s39
	s_or_b32 exec_lo, exec_lo, s13
	s_and_saveexec_b32 s13, s34
	s_cbranch_execz .LBB691_1427
.LBB691_1691:
	v_mov_b32_e32 v2, 0xff
	v_lshrrev_b32_e32 v8, 8, v13
	s_mov_b32 s39, exec_lo
	v_and_b32_sdwa v2, v13, v2 dst_sel:DWORD dst_unused:UNUSED_PAD src0_sel:WORD_1 src1_sel:DWORD
	v_and_b32_e32 v8, 0xff, v8
	v_mul_lo_u16 v2, 0xcd, v2
	v_mul_lo_u16 v8, 0xcd, v8
	v_lshrrev_b16 v2, 11, v2
	v_lshrrev_b16 v8, 11, v8
	v_cmpx_lt_u16_e64 v2, v8
; %bb.1692:
	v_perm_b32 v13, v13, v13, 0x7050604
; %bb.1693:
	s_or_b32 exec_lo, exec_lo, s39
	s_or_b32 exec_lo, exec_lo, s13
	s_and_saveexec_b32 s13, s91
	s_cbranch_execz .LBB691_1428
.LBB691_1694:
	v_lshrrev_b32_e32 v2, 8, v6
	v_and_b32_e32 v8, 0xff, v6
	s_mov_b32 s39, exec_lo
	v_and_b32_e32 v2, 0xff, v2
	v_mul_lo_u16 v8, 0xcd, v8
	v_mul_lo_u16 v2, 0xcd, v2
	v_lshrrev_b16 v8, 11, v8
	v_lshrrev_b16 v2, 11, v2
	v_cmpx_lt_u16_e64 v2, v8
; %bb.1695:
	v_perm_b32 v6, v6, v6, 0x7060405
	v_perm_b32 v3, v3, v3, 0x3060504
; %bb.1696:
	s_or_b32 exec_lo, exec_lo, s39
	s_or_b32 exec_lo, exec_lo, s13
	s_and_saveexec_b32 s13, s88
	s_cbranch_execz .LBB691_1429
.LBB691_1697:
	v_mov_b32_e32 v2, 0xff
	v_lshrrev_b32_e32 v8, 24, v6
	s_mov_b32 s39, exec_lo
	v_and_b32_sdwa v2, v6, v2 dst_sel:DWORD dst_unused:UNUSED_PAD src0_sel:WORD_1 src1_sel:DWORD
	v_mul_lo_u16 v8, 0xcd, v8
	v_mul_lo_u16 v2, 0xcd, v2
	v_lshrrev_b16 v8, 11, v8
	v_lshrrev_b16 v2, 11, v2
	v_cmpx_lt_u16_e64 v8, v2
; %bb.1698:
	v_perm_b32 v6, v6, v6, 0x6070504
	v_perm_b32 v3, v3, v3, 0x3060504
; %bb.1699:
	s_or_b32 exec_lo, exec_lo, s39
	s_or_b32 exec_lo, exec_lo, s13
	s_and_saveexec_b32 s13, s79
	s_cbranch_execz .LBB691_1430
.LBB691_1700:
	v_lshrrev_b32_e32 v2, 8, v3
	v_and_b32_e32 v8, 0xff, v3
	s_mov_b32 s39, exec_lo
	v_and_b32_e32 v2, 0xff, v2
	v_mul_lo_u16 v8, 0xcd, v8
	v_mul_lo_u16 v2, 0xcd, v2
	v_lshrrev_b16 v8, 11, v8
	v_lshrrev_b16 v2, 11, v2
	v_cmpx_lt_u16_e64 v2, v8
; %bb.1701:
	v_perm_b32 v3, v3, v3, 0x7060405
; %bb.1702:
	s_or_b32 exec_lo, exec_lo, s39
	s_or_b32 exec_lo, exec_lo, s13
	s_and_saveexec_b32 s13, s78
	s_cbranch_execz .LBB691_1431
.LBB691_1703:
	v_mov_b32_e32 v2, 0xff
	v_lshrrev_b32_e32 v8, 24, v3
	s_mov_b32 s39, exec_lo
	v_and_b32_sdwa v2, v3, v2 dst_sel:DWORD dst_unused:UNUSED_PAD src0_sel:WORD_1 src1_sel:DWORD
	v_mul_lo_u16 v8, 0xcd, v8
	v_mul_lo_u16 v2, 0xcd, v2
	v_lshrrev_b16 v8, 11, v8
	v_lshrrev_b16 v2, 11, v2
	v_cmpx_lt_u16_e64 v8, v2
; %bb.1704:
	v_perm_b32 v3, v3, v3, 0x6070504
; %bb.1705:
	s_or_b32 exec_lo, exec_lo, s39
	s_or_b32 exec_lo, exec_lo, s13
	s_and_saveexec_b32 s13, s76
	s_cbranch_execz .LBB691_1432
.LBB691_1706:
	v_lshrrev_b32_e32 v2, 8, v11
	v_and_b32_e32 v8, 0xff, v11
	s_mov_b32 s39, exec_lo
	v_and_b32_e32 v2, 0xff, v2
	v_mul_lo_u16 v8, 0xcd, v8
	v_mul_lo_u16 v2, 0xcd, v2
	v_lshrrev_b16 v8, 11, v8
	v_lshrrev_b16 v2, 11, v2
	v_cmpx_lt_u16_e64 v2, v8
; %bb.1707:
	v_perm_b32 v11, v11, v11, 0x7060405
	v_perm_b32 v7, v7, v7, 0x3060504
; %bb.1708:
	s_or_b32 exec_lo, exec_lo, s39
	s_or_b32 exec_lo, exec_lo, s13
	s_and_saveexec_b32 s13, s75
	s_cbranch_execz .LBB691_1433
.LBB691_1709:
	v_mov_b32_e32 v2, 0xff
	v_lshrrev_b32_e32 v8, 24, v11
	s_mov_b32 s39, exec_lo
	v_and_b32_sdwa v2, v11, v2 dst_sel:DWORD dst_unused:UNUSED_PAD src0_sel:WORD_1 src1_sel:DWORD
	v_mul_lo_u16 v8, 0xcd, v8
	v_mul_lo_u16 v2, 0xcd, v2
	v_lshrrev_b16 v8, 11, v8
	v_lshrrev_b16 v2, 11, v2
	v_cmpx_lt_u16_e64 v8, v2
; %bb.1710:
	v_perm_b32 v11, v11, v11, 0x6070504
	v_perm_b32 v7, v7, v7, 0x3060504
; %bb.1711:
	s_or_b32 exec_lo, exec_lo, s39
	s_or_b32 exec_lo, exec_lo, s13
	s_and_saveexec_b32 s13, s74
	s_cbranch_execz .LBB691_1434
.LBB691_1712:
	v_lshrrev_b32_e32 v2, 8, v7
	v_and_b32_e32 v8, 0xff, v7
	s_mov_b32 s39, exec_lo
	v_and_b32_e32 v2, 0xff, v2
	v_mul_lo_u16 v8, 0xcd, v8
	v_mul_lo_u16 v2, 0xcd, v2
	v_lshrrev_b16 v8, 11, v8
	v_lshrrev_b16 v2, 11, v2
	v_cmpx_lt_u16_e64 v2, v8
; %bb.1713:
	v_perm_b32 v7, v7, v7, 0x7060405
; %bb.1714:
	s_or_b32 exec_lo, exec_lo, s39
	s_or_b32 exec_lo, exec_lo, s13
	s_and_saveexec_b32 s13, s73
	s_cbranch_execz .LBB691_1435
.LBB691_1715:
	v_mov_b32_e32 v2, 0xff
	v_lshrrev_b32_e32 v8, 24, v7
	s_mov_b32 s39, exec_lo
	v_and_b32_sdwa v2, v7, v2 dst_sel:DWORD dst_unused:UNUSED_PAD src0_sel:WORD_1 src1_sel:DWORD
	v_mul_lo_u16 v8, 0xcd, v8
	v_mul_lo_u16 v2, 0xcd, v2
	v_lshrrev_b16 v8, 11, v8
	v_lshrrev_b16 v2, 11, v2
	v_cmpx_lt_u16_e64 v8, v2
; %bb.1716:
	v_perm_b32 v7, v7, v7, 0x6070504
; %bb.1717:
	s_or_b32 exec_lo, exec_lo, s39
	s_or_b32 exec_lo, exec_lo, s13
	s_and_saveexec_b32 s13, s72
	s_cbranch_execz .LBB691_1436
.LBB691_1718:
	v_lshrrev_b32_e32 v2, 8, v81
	v_and_b32_e32 v8, 0xff, v81
	s_mov_b32 s39, exec_lo
	v_and_b32_e32 v2, 0xff, v2
	v_mul_lo_u16 v8, 0xcd, v8
	v_mul_lo_u16 v2, 0xcd, v2
	v_lshrrev_b16 v8, 11, v8
	v_lshrrev_b16 v2, 11, v2
	v_cmpx_lt_u16_e64 v2, v8
; %bb.1719:
	v_perm_b32 v81, v81, v81, 0x7060405
	v_perm_b32 v10, v10, v10, 0x3060504
; %bb.1720:
	s_or_b32 exec_lo, exec_lo, s39
	s_or_b32 exec_lo, exec_lo, s13
	s_and_saveexec_b32 s13, s62
	s_cbranch_execz .LBB691_1437
.LBB691_1721:
	v_mov_b32_e32 v2, 0xff
	v_lshrrev_b32_e32 v8, 24, v81
	s_mov_b32 s39, exec_lo
	v_and_b32_sdwa v2, v81, v2 dst_sel:DWORD dst_unused:UNUSED_PAD src0_sel:WORD_1 src1_sel:DWORD
	v_mul_lo_u16 v8, 0xcd, v8
	v_mul_lo_u16 v2, 0xcd, v2
	v_lshrrev_b16 v8, 11, v8
	v_lshrrev_b16 v2, 11, v2
	v_cmpx_lt_u16_e64 v8, v2
; %bb.1722:
	v_perm_b32 v81, v81, v81, 0x6070504
	v_perm_b32 v10, v10, v10, 0x3060504
; %bb.1723:
	s_or_b32 exec_lo, exec_lo, s39
	s_or_b32 exec_lo, exec_lo, s13
	s_and_saveexec_b32 s13, s61
	s_cbranch_execz .LBB691_1438
.LBB691_1724:
	v_lshrrev_b32_e32 v2, 8, v10
	v_and_b32_e32 v8, 0xff, v10
	s_mov_b32 s39, exec_lo
	v_and_b32_e32 v2, 0xff, v2
	v_mul_lo_u16 v8, 0xcd, v8
	v_mul_lo_u16 v2, 0xcd, v2
	v_lshrrev_b16 v8, 11, v8
	v_lshrrev_b16 v2, 11, v2
	v_cmpx_lt_u16_e64 v2, v8
; %bb.1725:
	v_perm_b32 v10, v10, v10, 0x7060405
; %bb.1726:
	s_or_b32 exec_lo, exec_lo, s39
	s_or_b32 exec_lo, exec_lo, s13
	s_and_saveexec_b32 s13, s60
	s_cbranch_execz .LBB691_1439
.LBB691_1727:
	v_mov_b32_e32 v2, 0xff
	v_lshrrev_b32_e32 v8, 24, v10
	s_mov_b32 s39, exec_lo
	v_and_b32_sdwa v2, v10, v2 dst_sel:DWORD dst_unused:UNUSED_PAD src0_sel:WORD_1 src1_sel:DWORD
	v_mul_lo_u16 v8, 0xcd, v8
	v_mul_lo_u16 v2, 0xcd, v2
	v_lshrrev_b16 v8, 11, v8
	v_lshrrev_b16 v2, 11, v2
	v_cmpx_lt_u16_e64 v8, v2
; %bb.1728:
	v_perm_b32 v10, v10, v10, 0x6070504
; %bb.1729:
	s_or_b32 exec_lo, exec_lo, s39
	s_or_b32 exec_lo, exec_lo, s13
	s_and_saveexec_b32 s13, s59
	s_cbranch_execz .LBB691_1440
.LBB691_1730:
	v_lshrrev_b32_e32 v2, 8, v70
	v_and_b32_e32 v8, 0xff, v70
	s_mov_b32 s39, exec_lo
	v_and_b32_e32 v2, 0xff, v2
	v_mul_lo_u16 v8, 0xcd, v8
	v_mul_lo_u16 v2, 0xcd, v2
	v_lshrrev_b16 v8, 11, v8
	v_lshrrev_b16 v2, 11, v2
	v_cmpx_lt_u16_e64 v2, v8
; %bb.1731:
	v_perm_b32 v70, v70, v70, 0x7060405
	v_perm_b32 v13, v13, v13, 0x3060504
; %bb.1732:
	s_or_b32 exec_lo, exec_lo, s39
	s_or_b32 exec_lo, exec_lo, s13
	s_and_saveexec_b32 s13, s57
	s_cbranch_execz .LBB691_1441
.LBB691_1733:
	v_mov_b32_e32 v2, 0xff
	v_lshrrev_b32_e32 v8, 24, v70
	s_mov_b32 s39, exec_lo
	v_and_b32_sdwa v2, v70, v2 dst_sel:DWORD dst_unused:UNUSED_PAD src0_sel:WORD_1 src1_sel:DWORD
	v_mul_lo_u16 v8, 0xcd, v8
	v_mul_lo_u16 v2, 0xcd, v2
	v_lshrrev_b16 v8, 11, v8
	v_lshrrev_b16 v2, 11, v2
	v_cmpx_lt_u16_e64 v8, v2
; %bb.1734:
	v_perm_b32 v70, v70, v70, 0x6070504
	v_perm_b32 v13, v13, v13, 0x3060504
; %bb.1735:
	s_or_b32 exec_lo, exec_lo, s39
	s_or_b32 exec_lo, exec_lo, s13
	s_and_saveexec_b32 s13, s56
	s_cbranch_execz .LBB691_1442
.LBB691_1736:
	v_lshrrev_b32_e32 v2, 8, v13
	v_and_b32_e32 v8, 0xff, v13
	s_mov_b32 s39, exec_lo
	v_and_b32_e32 v2, 0xff, v2
	v_mul_lo_u16 v8, 0xcd, v8
	v_mul_lo_u16 v2, 0xcd, v2
	v_lshrrev_b16 v8, 11, v8
	v_lshrrev_b16 v2, 11, v2
	v_cmpx_lt_u16_e64 v2, v8
; %bb.1737:
	v_perm_b32 v13, v13, v13, 0x7060405
; %bb.1738:
	s_or_b32 exec_lo, exec_lo, s39
	s_or_b32 exec_lo, exec_lo, s13
	s_and_saveexec_b32 s13, s9
	s_cbranch_execz .LBB691_1443
.LBB691_1739:
	v_mov_b32_e32 v2, 0xff
	v_lshrrev_b32_e32 v8, 24, v13
	s_mov_b32 s39, exec_lo
	v_and_b32_sdwa v2, v13, v2 dst_sel:DWORD dst_unused:UNUSED_PAD src0_sel:WORD_1 src1_sel:DWORD
	v_mul_lo_u16 v8, 0xcd, v8
	v_mul_lo_u16 v2, 0xcd, v2
	v_lshrrev_b16 v8, 11, v8
	v_lshrrev_b16 v2, 11, v2
	v_cmpx_lt_u16_e64 v8, v2
; %bb.1740:
	v_perm_b32 v13, v13, v13, 0x6070504
; %bb.1741:
	s_or_b32 exec_lo, exec_lo, s39
	s_or_b32 exec_lo, exec_lo, s13
	s_and_saveexec_b32 s13, vcc_lo
	s_cbranch_execz .LBB691_1444
.LBB691_1742:
	v_mov_b32_e32 v2, 0xff
	v_lshrrev_b32_e32 v8, 8, v6
	s_mov_b32 s39, exec_lo
	v_and_b32_sdwa v2, v6, v2 dst_sel:DWORD dst_unused:UNUSED_PAD src0_sel:WORD_1 src1_sel:DWORD
	v_and_b32_e32 v8, 0xff, v8
	v_mul_lo_u16 v2, 0xcd, v2
	v_mul_lo_u16 v8, 0xcd, v8
	v_lshrrev_b16 v2, 11, v2
	v_lshrrev_b16 v8, 11, v8
	v_cmpx_lt_u16_e64 v2, v8
; %bb.1743:
	v_perm_b32 v6, v6, v6, 0x7050604
	v_perm_b32 v3, v3, v3, 0x3060504
; %bb.1744:
	s_or_b32 exec_lo, exec_lo, s39
	s_or_b32 exec_lo, exec_lo, s13
	s_and_saveexec_b32 s13, s8
	s_cbranch_execz .LBB691_1445
.LBB691_1745:
	v_and_b32_e32 v2, 0xff, v3
	v_lshrrev_b32_e32 v8, 24, v6
	s_mov_b32 s39, exec_lo
	v_mul_lo_u16 v2, 0xcd, v2
	v_mul_lo_u16 v8, 0xcd, v8
	v_lshrrev_b16 v2, 11, v2
	v_lshrrev_b16 v8, 11, v8
	v_cmpx_lt_u16_e64 v2, v8
; %bb.1746:
	v_perm_b32 v2, v6, v3, 0x3020107
	v_perm_b32 v6, v6, v3, 0x60504
	v_mov_b32_e32 v3, v2
; %bb.1747:
	s_or_b32 exec_lo, exec_lo, s39
	s_or_b32 exec_lo, exec_lo, s13
	s_and_saveexec_b32 s13, s58
	s_cbranch_execz .LBB691_1446
.LBB691_1748:
	v_mov_b32_e32 v2, 0xff
	v_lshrrev_b32_e32 v8, 8, v3
	s_mov_b32 s39, exec_lo
	v_and_b32_sdwa v2, v3, v2 dst_sel:DWORD dst_unused:UNUSED_PAD src0_sel:WORD_1 src1_sel:DWORD
	v_and_b32_e32 v8, 0xff, v8
	v_mul_lo_u16 v2, 0xcd, v2
	v_mul_lo_u16 v8, 0xcd, v8
	v_lshrrev_b16 v2, 11, v2
	v_lshrrev_b16 v8, 11, v8
	v_cmpx_lt_u16_e64 v2, v8
; %bb.1749:
	v_perm_b32 v3, v3, v3, 0x7050604
; %bb.1750:
	s_or_b32 exec_lo, exec_lo, s39
	s_or_b32 exec_lo, exec_lo, s13
	s_and_saveexec_b32 s13, s63
	s_cbranch_execz .LBB691_1447
.LBB691_1751:
	v_and_b32_e32 v2, 0xff, v11
	v_lshrrev_b32_e32 v8, 24, v3
	s_mov_b32 s39, exec_lo
	v_mul_lo_u16 v2, 0xcd, v2
	v_mul_lo_u16 v8, 0xcd, v8
	v_lshrrev_b16 v2, 11, v2
	v_lshrrev_b16 v8, 11, v8
	v_cmpx_lt_u16_e64 v2, v8
; %bb.1752:
	v_perm_b32 v2, v3, v11, 0x3020107
	v_perm_b32 v3, v3, v11, 0x60504
	;; [unrolled: 1-line block ×3, first 2 shown]
	v_mov_b32_e32 v11, v2
; %bb.1753:
	s_or_b32 exec_lo, exec_lo, s39
	s_or_b32 exec_lo, exec_lo, s13
	s_and_saveexec_b32 s13, s77
	s_cbranch_execz .LBB691_1448
.LBB691_1754:
	v_mov_b32_e32 v2, 0xff
	v_lshrrev_b32_e32 v8, 8, v11
	s_mov_b32 s39, exec_lo
	v_and_b32_sdwa v2, v11, v2 dst_sel:DWORD dst_unused:UNUSED_PAD src0_sel:WORD_1 src1_sel:DWORD
	v_and_b32_e32 v8, 0xff, v8
	v_mul_lo_u16 v2, 0xcd, v2
	v_mul_lo_u16 v8, 0xcd, v8
	v_lshrrev_b16 v2, 11, v2
	v_lshrrev_b16 v8, 11, v8
	v_cmpx_lt_u16_e64 v2, v8
; %bb.1755:
	v_perm_b32 v11, v11, v11, 0x7050604
	v_perm_b32 v7, v7, v7, 0x3060504
; %bb.1756:
	s_or_b32 exec_lo, exec_lo, s39
	s_or_b32 exec_lo, exec_lo, s13
	s_and_saveexec_b32 s13, s89
	s_cbranch_execz .LBB691_1449
.LBB691_1757:
	v_and_b32_e32 v2, 0xff, v7
	v_lshrrev_b32_e32 v8, 24, v11
	s_mov_b32 s39, exec_lo
	v_mul_lo_u16 v2, 0xcd, v2
	v_mul_lo_u16 v8, 0xcd, v8
	v_lshrrev_b16 v2, 11, v2
	v_lshrrev_b16 v8, 11, v8
	v_cmpx_lt_u16_e64 v2, v8
; %bb.1758:
	v_perm_b32 v2, v11, v7, 0x3020107
	v_perm_b32 v11, v11, v7, 0x60504
	v_mov_b32_e32 v7, v2
; %bb.1759:
	s_or_b32 exec_lo, exec_lo, s39
	s_or_b32 exec_lo, exec_lo, s13
	s_and_saveexec_b32 s13, s90
	s_cbranch_execz .LBB691_1450
.LBB691_1760:
	v_mov_b32_e32 v2, 0xff
	v_lshrrev_b32_e32 v8, 8, v7
	s_mov_b32 s39, exec_lo
	v_and_b32_sdwa v2, v7, v2 dst_sel:DWORD dst_unused:UNUSED_PAD src0_sel:WORD_1 src1_sel:DWORD
	v_and_b32_e32 v8, 0xff, v8
	v_mul_lo_u16 v2, 0xcd, v2
	v_mul_lo_u16 v8, 0xcd, v8
	v_lshrrev_b16 v2, 11, v2
	v_lshrrev_b16 v8, 11, v8
	v_cmpx_lt_u16_e64 v2, v8
; %bb.1761:
	v_perm_b32 v7, v7, v7, 0x7050604
; %bb.1762:
	s_or_b32 exec_lo, exec_lo, s39
	s_or_b32 exec_lo, exec_lo, s13
	s_and_saveexec_b32 s13, s92
	s_cbranch_execz .LBB691_1451
.LBB691_1763:
	v_and_b32_e32 v2, 0xff, v81
	v_lshrrev_b32_e32 v8, 24, v7
	s_mov_b32 s39, exec_lo
	v_mul_lo_u16 v2, 0xcd, v2
	v_mul_lo_u16 v8, 0xcd, v8
	v_lshrrev_b16 v2, 11, v2
	v_lshrrev_b16 v8, 11, v8
	v_cmpx_lt_u16_e64 v2, v8
; %bb.1764:
	v_perm_b32 v2, v7, v81, 0x3020107
	v_perm_b32 v7, v7, v81, 0x60504
	;; [unrolled: 1-line block ×3, first 2 shown]
	v_mov_b32_e32 v81, v2
; %bb.1765:
	s_or_b32 exec_lo, exec_lo, s39
	s_or_b32 exec_lo, exec_lo, s13
	s_and_saveexec_b32 s13, s93
	s_cbranch_execz .LBB691_1452
.LBB691_1766:
	v_mov_b32_e32 v2, 0xff
	v_lshrrev_b32_e32 v8, 8, v81
	s_mov_b32 s39, exec_lo
	v_and_b32_sdwa v2, v81, v2 dst_sel:DWORD dst_unused:UNUSED_PAD src0_sel:WORD_1 src1_sel:DWORD
	v_and_b32_e32 v8, 0xff, v8
	v_mul_lo_u16 v2, 0xcd, v2
	v_mul_lo_u16 v8, 0xcd, v8
	v_lshrrev_b16 v2, 11, v2
	v_lshrrev_b16 v8, 11, v8
	v_cmpx_lt_u16_e64 v2, v8
; %bb.1767:
	v_perm_b32 v81, v81, v81, 0x7050604
	v_perm_b32 v10, v10, v10, 0x3060504
; %bb.1768:
	s_or_b32 exec_lo, exec_lo, s39
	s_or_b32 exec_lo, exec_lo, s13
	s_and_saveexec_b32 s13, s94
	s_cbranch_execz .LBB691_1453
.LBB691_1769:
	v_and_b32_e32 v2, 0xff, v10
	v_lshrrev_b32_e32 v8, 24, v81
	s_mov_b32 s39, exec_lo
	v_mul_lo_u16 v2, 0xcd, v2
	v_mul_lo_u16 v8, 0xcd, v8
	v_lshrrev_b16 v2, 11, v2
	v_lshrrev_b16 v8, 11, v8
	v_cmpx_lt_u16_e64 v2, v8
; %bb.1770:
	v_perm_b32 v2, v81, v10, 0x3020107
	v_perm_b32 v81, v81, v10, 0x60504
	v_mov_b32_e32 v10, v2
; %bb.1771:
	s_or_b32 exec_lo, exec_lo, s39
	s_or_b32 exec_lo, exec_lo, s13
	s_and_saveexec_b32 s13, s95
	s_cbranch_execz .LBB691_1454
.LBB691_1772:
	v_mov_b32_e32 v2, 0xff
	v_lshrrev_b32_e32 v8, 8, v10
	s_mov_b32 s39, exec_lo
	v_and_b32_sdwa v2, v10, v2 dst_sel:DWORD dst_unused:UNUSED_PAD src0_sel:WORD_1 src1_sel:DWORD
	v_and_b32_e32 v8, 0xff, v8
	v_mul_lo_u16 v2, 0xcd, v2
	v_mul_lo_u16 v8, 0xcd, v8
	v_lshrrev_b16 v2, 11, v2
	v_lshrrev_b16 v8, 11, v8
	v_cmpx_lt_u16_e64 v2, v8
; %bb.1773:
	v_perm_b32 v10, v10, v10, 0x7050604
; %bb.1774:
	s_or_b32 exec_lo, exec_lo, s39
	s_or_b32 exec_lo, exec_lo, s13
	s_and_saveexec_b32 s13, vcc_hi
	s_cbranch_execz .LBB691_1455
.LBB691_1775:
	v_and_b32_e32 v2, 0xff, v70
	v_lshrrev_b32_e32 v8, 24, v10
	s_mov_b32 s39, exec_lo
	v_mul_lo_u16 v2, 0xcd, v2
	v_mul_lo_u16 v8, 0xcd, v8
	v_lshrrev_b16 v2, 11, v2
	v_lshrrev_b16 v8, 11, v8
	v_cmpx_lt_u16_e64 v2, v8
; %bb.1776:
	v_perm_b32 v2, v10, v70, 0x3020107
	v_perm_b32 v10, v10, v70, 0x60504
	;; [unrolled: 1-line block ×3, first 2 shown]
	v_mov_b32_e32 v70, v2
; %bb.1777:
	s_or_b32 exec_lo, exec_lo, s39
	s_or_b32 exec_lo, exec_lo, s13
	s_and_saveexec_b32 s13, s30
	s_cbranch_execz .LBB691_1456
.LBB691_1778:
	v_mov_b32_e32 v2, 0xff
	v_lshrrev_b32_e32 v8, 8, v70
	s_mov_b32 s39, exec_lo
	v_and_b32_sdwa v2, v70, v2 dst_sel:DWORD dst_unused:UNUSED_PAD src0_sel:WORD_1 src1_sel:DWORD
	v_and_b32_e32 v8, 0xff, v8
	v_mul_lo_u16 v2, 0xcd, v2
	v_mul_lo_u16 v8, 0xcd, v8
	v_lshrrev_b16 v2, 11, v2
	v_lshrrev_b16 v8, 11, v8
	v_cmpx_lt_u16_e64 v2, v8
; %bb.1779:
	v_perm_b32 v70, v70, v70, 0x7050604
	v_perm_b32 v13, v13, v13, 0x3060504
; %bb.1780:
	s_or_b32 exec_lo, exec_lo, s39
	s_or_b32 exec_lo, exec_lo, s13
	s_and_saveexec_b32 s13, s31
	s_cbranch_execz .LBB691_1457
.LBB691_1781:
	v_and_b32_e32 v2, 0xff, v13
	v_lshrrev_b32_e32 v8, 24, v70
	s_mov_b32 s39, exec_lo
	v_mul_lo_u16 v2, 0xcd, v2
	v_mul_lo_u16 v8, 0xcd, v8
	v_lshrrev_b16 v2, 11, v2
	v_lshrrev_b16 v8, 11, v8
	v_cmpx_lt_u16_e64 v2, v8
; %bb.1782:
	v_perm_b32 v2, v70, v13, 0x3020107
	v_perm_b32 v70, v70, v13, 0x60504
	v_mov_b32_e32 v13, v2
; %bb.1783:
	s_or_b32 exec_lo, exec_lo, s39
	s_or_b32 exec_lo, exec_lo, s13
	s_and_saveexec_b32 s13, s34
	s_cbranch_execz .LBB691_1458
.LBB691_1784:
	v_mov_b32_e32 v2, 0xff
	v_lshrrev_b32_e32 v8, 8, v13
	s_mov_b32 s39, exec_lo
	v_and_b32_sdwa v2, v13, v2 dst_sel:DWORD dst_unused:UNUSED_PAD src0_sel:WORD_1 src1_sel:DWORD
	v_and_b32_e32 v8, 0xff, v8
	v_mul_lo_u16 v2, 0xcd, v2
	v_mul_lo_u16 v8, 0xcd, v8
	v_lshrrev_b16 v2, 11, v2
	v_lshrrev_b16 v8, 11, v8
	v_cmpx_lt_u16_e64 v2, v8
; %bb.1785:
	v_perm_b32 v13, v13, v13, 0x7050604
; %bb.1786:
	s_or_b32 exec_lo, exec_lo, s39
	s_or_b32 exec_lo, exec_lo, s13
	s_and_saveexec_b32 s13, s91
	s_cbranch_execz .LBB691_1459
.LBB691_1787:
	v_lshrrev_b32_e32 v2, 8, v6
	v_and_b32_e32 v8, 0xff, v6
	s_mov_b32 s39, exec_lo
	v_and_b32_e32 v2, 0xff, v2
	v_mul_lo_u16 v8, 0xcd, v8
	v_mul_lo_u16 v2, 0xcd, v2
	v_lshrrev_b16 v8, 11, v8
	v_lshrrev_b16 v2, 11, v2
	v_cmpx_lt_u16_e64 v2, v8
; %bb.1788:
	v_perm_b32 v6, v6, v6, 0x7060405
	v_perm_b32 v3, v3, v3, 0x3060504
; %bb.1789:
	s_or_b32 exec_lo, exec_lo, s39
	s_or_b32 exec_lo, exec_lo, s13
	s_and_saveexec_b32 s13, s88
	s_cbranch_execz .LBB691_1460
.LBB691_1790:
	v_mov_b32_e32 v2, 0xff
	v_lshrrev_b32_e32 v8, 24, v6
	s_mov_b32 s39, exec_lo
	v_and_b32_sdwa v2, v6, v2 dst_sel:DWORD dst_unused:UNUSED_PAD src0_sel:WORD_1 src1_sel:DWORD
	v_mul_lo_u16 v8, 0xcd, v8
	v_mul_lo_u16 v2, 0xcd, v2
	v_lshrrev_b16 v8, 11, v8
	v_lshrrev_b16 v2, 11, v2
	v_cmpx_lt_u16_e64 v8, v2
; %bb.1791:
	v_perm_b32 v6, v6, v6, 0x6070504
	v_perm_b32 v3, v3, v3, 0x3060504
; %bb.1792:
	s_or_b32 exec_lo, exec_lo, s39
	s_or_b32 exec_lo, exec_lo, s13
	s_and_saveexec_b32 s13, s79
	s_cbranch_execz .LBB691_1461
.LBB691_1793:
	v_lshrrev_b32_e32 v2, 8, v3
	v_and_b32_e32 v8, 0xff, v3
	s_mov_b32 s39, exec_lo
	v_and_b32_e32 v2, 0xff, v2
	v_mul_lo_u16 v8, 0xcd, v8
	v_mul_lo_u16 v2, 0xcd, v2
	v_lshrrev_b16 v8, 11, v8
	v_lshrrev_b16 v2, 11, v2
	v_cmpx_lt_u16_e64 v2, v8
; %bb.1794:
	v_perm_b32 v3, v3, v3, 0x7060405
; %bb.1795:
	s_or_b32 exec_lo, exec_lo, s39
	s_or_b32 exec_lo, exec_lo, s13
	s_and_saveexec_b32 s13, s78
	s_cbranch_execz .LBB691_1462
.LBB691_1796:
	v_mov_b32_e32 v2, 0xff
	v_lshrrev_b32_e32 v8, 24, v3
	s_mov_b32 s39, exec_lo
	v_and_b32_sdwa v2, v3, v2 dst_sel:DWORD dst_unused:UNUSED_PAD src0_sel:WORD_1 src1_sel:DWORD
	v_mul_lo_u16 v8, 0xcd, v8
	v_mul_lo_u16 v2, 0xcd, v2
	v_lshrrev_b16 v8, 11, v8
	v_lshrrev_b16 v2, 11, v2
	v_cmpx_lt_u16_e64 v8, v2
; %bb.1797:
	v_perm_b32 v3, v3, v3, 0x6070504
; %bb.1798:
	s_or_b32 exec_lo, exec_lo, s39
	s_or_b32 exec_lo, exec_lo, s13
	s_and_saveexec_b32 s13, s76
	s_cbranch_execz .LBB691_1463
.LBB691_1799:
	v_lshrrev_b32_e32 v2, 8, v11
	v_and_b32_e32 v8, 0xff, v11
	s_mov_b32 s39, exec_lo
	v_and_b32_e32 v2, 0xff, v2
	v_mul_lo_u16 v8, 0xcd, v8
	v_mul_lo_u16 v2, 0xcd, v2
	v_lshrrev_b16 v8, 11, v8
	v_lshrrev_b16 v2, 11, v2
	v_cmpx_lt_u16_e64 v2, v8
; %bb.1800:
	v_perm_b32 v11, v11, v11, 0x7060405
	v_perm_b32 v7, v7, v7, 0x3060504
; %bb.1801:
	s_or_b32 exec_lo, exec_lo, s39
	s_or_b32 exec_lo, exec_lo, s13
	s_and_saveexec_b32 s13, s75
	s_cbranch_execz .LBB691_1464
.LBB691_1802:
	v_mov_b32_e32 v2, 0xff
	v_lshrrev_b32_e32 v8, 24, v11
	s_mov_b32 s39, exec_lo
	v_and_b32_sdwa v2, v11, v2 dst_sel:DWORD dst_unused:UNUSED_PAD src0_sel:WORD_1 src1_sel:DWORD
	v_mul_lo_u16 v8, 0xcd, v8
	v_mul_lo_u16 v2, 0xcd, v2
	v_lshrrev_b16 v8, 11, v8
	v_lshrrev_b16 v2, 11, v2
	v_cmpx_lt_u16_e64 v8, v2
; %bb.1803:
	v_perm_b32 v11, v11, v11, 0x6070504
	v_perm_b32 v7, v7, v7, 0x3060504
; %bb.1804:
	s_or_b32 exec_lo, exec_lo, s39
	s_or_b32 exec_lo, exec_lo, s13
	s_and_saveexec_b32 s13, s74
	s_cbranch_execz .LBB691_1465
.LBB691_1805:
	v_lshrrev_b32_e32 v2, 8, v7
	v_and_b32_e32 v8, 0xff, v7
	s_mov_b32 s39, exec_lo
	v_and_b32_e32 v2, 0xff, v2
	v_mul_lo_u16 v8, 0xcd, v8
	v_mul_lo_u16 v2, 0xcd, v2
	v_lshrrev_b16 v8, 11, v8
	v_lshrrev_b16 v2, 11, v2
	v_cmpx_lt_u16_e64 v2, v8
; %bb.1806:
	v_perm_b32 v7, v7, v7, 0x7060405
; %bb.1807:
	s_or_b32 exec_lo, exec_lo, s39
	s_or_b32 exec_lo, exec_lo, s13
	s_and_saveexec_b32 s13, s73
	s_cbranch_execz .LBB691_1466
.LBB691_1808:
	v_mov_b32_e32 v2, 0xff
	v_lshrrev_b32_e32 v8, 24, v7
	s_mov_b32 s39, exec_lo
	v_and_b32_sdwa v2, v7, v2 dst_sel:DWORD dst_unused:UNUSED_PAD src0_sel:WORD_1 src1_sel:DWORD
	v_mul_lo_u16 v8, 0xcd, v8
	v_mul_lo_u16 v2, 0xcd, v2
	v_lshrrev_b16 v8, 11, v8
	v_lshrrev_b16 v2, 11, v2
	v_cmpx_lt_u16_e64 v8, v2
; %bb.1809:
	v_perm_b32 v7, v7, v7, 0x6070504
; %bb.1810:
	s_or_b32 exec_lo, exec_lo, s39
	s_or_b32 exec_lo, exec_lo, s13
	s_and_saveexec_b32 s13, s72
	s_cbranch_execz .LBB691_1467
.LBB691_1811:
	v_lshrrev_b32_e32 v2, 8, v81
	v_and_b32_e32 v8, 0xff, v81
	s_mov_b32 s39, exec_lo
	v_and_b32_e32 v2, 0xff, v2
	v_mul_lo_u16 v8, 0xcd, v8
	v_mul_lo_u16 v2, 0xcd, v2
	v_lshrrev_b16 v8, 11, v8
	v_lshrrev_b16 v2, 11, v2
	v_cmpx_lt_u16_e64 v2, v8
; %bb.1812:
	v_perm_b32 v81, v81, v81, 0x7060405
	v_perm_b32 v10, v10, v10, 0x3060504
; %bb.1813:
	s_or_b32 exec_lo, exec_lo, s39
	s_or_b32 exec_lo, exec_lo, s13
	s_and_saveexec_b32 s13, s62
	s_cbranch_execz .LBB691_1468
.LBB691_1814:
	v_mov_b32_e32 v2, 0xff
	v_lshrrev_b32_e32 v8, 24, v81
	s_mov_b32 s39, exec_lo
	v_and_b32_sdwa v2, v81, v2 dst_sel:DWORD dst_unused:UNUSED_PAD src0_sel:WORD_1 src1_sel:DWORD
	v_mul_lo_u16 v8, 0xcd, v8
	v_mul_lo_u16 v2, 0xcd, v2
	v_lshrrev_b16 v8, 11, v8
	v_lshrrev_b16 v2, 11, v2
	v_cmpx_lt_u16_e64 v8, v2
; %bb.1815:
	v_perm_b32 v81, v81, v81, 0x6070504
	v_perm_b32 v10, v10, v10, 0x3060504
; %bb.1816:
	s_or_b32 exec_lo, exec_lo, s39
	s_or_b32 exec_lo, exec_lo, s13
	s_and_saveexec_b32 s13, s61
	s_cbranch_execz .LBB691_1469
.LBB691_1817:
	v_lshrrev_b32_e32 v2, 8, v10
	v_and_b32_e32 v8, 0xff, v10
	s_mov_b32 s39, exec_lo
	v_and_b32_e32 v2, 0xff, v2
	v_mul_lo_u16 v8, 0xcd, v8
	v_mul_lo_u16 v2, 0xcd, v2
	v_lshrrev_b16 v8, 11, v8
	v_lshrrev_b16 v2, 11, v2
	v_cmpx_lt_u16_e64 v2, v8
; %bb.1818:
	v_perm_b32 v10, v10, v10, 0x7060405
; %bb.1819:
	s_or_b32 exec_lo, exec_lo, s39
	s_or_b32 exec_lo, exec_lo, s13
	s_and_saveexec_b32 s13, s60
	s_cbranch_execz .LBB691_1470
.LBB691_1820:
	v_mov_b32_e32 v2, 0xff
	v_lshrrev_b32_e32 v8, 24, v10
	s_mov_b32 s39, exec_lo
	v_and_b32_sdwa v2, v10, v2 dst_sel:DWORD dst_unused:UNUSED_PAD src0_sel:WORD_1 src1_sel:DWORD
	v_mul_lo_u16 v8, 0xcd, v8
	v_mul_lo_u16 v2, 0xcd, v2
	v_lshrrev_b16 v8, 11, v8
	v_lshrrev_b16 v2, 11, v2
	v_cmpx_lt_u16_e64 v8, v2
; %bb.1821:
	v_perm_b32 v10, v10, v10, 0x6070504
; %bb.1822:
	s_or_b32 exec_lo, exec_lo, s39
	s_or_b32 exec_lo, exec_lo, s13
	s_and_saveexec_b32 s13, s59
	s_cbranch_execz .LBB691_1471
.LBB691_1823:
	v_lshrrev_b32_e32 v2, 8, v70
	v_and_b32_e32 v8, 0xff, v70
	s_mov_b32 s39, exec_lo
	v_and_b32_e32 v2, 0xff, v2
	v_mul_lo_u16 v8, 0xcd, v8
	v_mul_lo_u16 v2, 0xcd, v2
	v_lshrrev_b16 v8, 11, v8
	v_lshrrev_b16 v2, 11, v2
	v_cmpx_lt_u16_e64 v2, v8
; %bb.1824:
	v_perm_b32 v70, v70, v70, 0x7060405
	v_perm_b32 v13, v13, v13, 0x3060504
; %bb.1825:
	s_or_b32 exec_lo, exec_lo, s39
	s_or_b32 exec_lo, exec_lo, s13
	s_and_saveexec_b32 s13, s57
	s_cbranch_execz .LBB691_1472
.LBB691_1826:
	v_mov_b32_e32 v2, 0xff
	v_lshrrev_b32_e32 v8, 24, v70
	s_mov_b32 s39, exec_lo
	v_and_b32_sdwa v2, v70, v2 dst_sel:DWORD dst_unused:UNUSED_PAD src0_sel:WORD_1 src1_sel:DWORD
	v_mul_lo_u16 v8, 0xcd, v8
	v_mul_lo_u16 v2, 0xcd, v2
	v_lshrrev_b16 v8, 11, v8
	v_lshrrev_b16 v2, 11, v2
	v_cmpx_lt_u16_e64 v8, v2
; %bb.1827:
	v_perm_b32 v70, v70, v70, 0x6070504
	v_perm_b32 v13, v13, v13, 0x3060504
; %bb.1828:
	s_or_b32 exec_lo, exec_lo, s39
	s_or_b32 exec_lo, exec_lo, s13
	s_and_saveexec_b32 s13, s56
	s_cbranch_execz .LBB691_1473
.LBB691_1829:
	v_lshrrev_b32_e32 v2, 8, v13
	v_and_b32_e32 v8, 0xff, v13
	s_mov_b32 s39, exec_lo
	v_and_b32_e32 v2, 0xff, v2
	v_mul_lo_u16 v8, 0xcd, v8
	v_mul_lo_u16 v2, 0xcd, v2
	v_lshrrev_b16 v8, 11, v8
	v_lshrrev_b16 v2, 11, v2
	v_cmpx_lt_u16_e64 v2, v8
; %bb.1830:
	v_perm_b32 v13, v13, v13, 0x7060405
; %bb.1831:
	s_or_b32 exec_lo, exec_lo, s39
	s_or_b32 exec_lo, exec_lo, s13
	s_and_saveexec_b32 s13, s9
	s_cbranch_execz .LBB691_1474
.LBB691_1832:
	v_mov_b32_e32 v2, 0xff
	v_lshrrev_b32_e32 v8, 24, v13
	s_mov_b32 s39, exec_lo
	v_and_b32_sdwa v2, v13, v2 dst_sel:DWORD dst_unused:UNUSED_PAD src0_sel:WORD_1 src1_sel:DWORD
	v_mul_lo_u16 v8, 0xcd, v8
	v_mul_lo_u16 v2, 0xcd, v2
	v_lshrrev_b16 v8, 11, v8
	v_lshrrev_b16 v2, 11, v2
	v_cmpx_lt_u16_e64 v8, v2
; %bb.1833:
	v_perm_b32 v13, v13, v13, 0x6070504
; %bb.1834:
	s_or_b32 exec_lo, exec_lo, s39
	s_or_b32 exec_lo, exec_lo, s13
	s_and_saveexec_b32 s13, vcc_lo
	s_cbranch_execz .LBB691_1475
.LBB691_1835:
	v_mov_b32_e32 v2, 0xff
	v_lshrrev_b32_e32 v8, 8, v6
	s_mov_b32 s39, exec_lo
	v_and_b32_sdwa v2, v6, v2 dst_sel:DWORD dst_unused:UNUSED_PAD src0_sel:WORD_1 src1_sel:DWORD
	v_and_b32_e32 v8, 0xff, v8
	v_mul_lo_u16 v2, 0xcd, v2
	v_mul_lo_u16 v8, 0xcd, v8
	v_lshrrev_b16 v2, 11, v2
	v_lshrrev_b16 v8, 11, v8
	v_cmpx_lt_u16_e64 v2, v8
; %bb.1836:
	v_perm_b32 v6, v6, v6, 0x7050604
	v_perm_b32 v3, v3, v3, 0x3060504
; %bb.1837:
	s_or_b32 exec_lo, exec_lo, s39
	s_or_b32 exec_lo, exec_lo, s13
	s_and_saveexec_b32 s13, s8
	s_cbranch_execz .LBB691_1476
.LBB691_1838:
	v_and_b32_e32 v2, 0xff, v3
	v_lshrrev_b32_e32 v8, 24, v6
	s_mov_b32 s39, exec_lo
	v_mul_lo_u16 v2, 0xcd, v2
	v_mul_lo_u16 v8, 0xcd, v8
	v_lshrrev_b16 v2, 11, v2
	v_lshrrev_b16 v8, 11, v8
	v_cmpx_lt_u16_e64 v2, v8
; %bb.1839:
	v_perm_b32 v2, v6, v3, 0x3020107
	v_perm_b32 v6, v6, v3, 0x60504
	v_mov_b32_e32 v3, v2
; %bb.1840:
	s_or_b32 exec_lo, exec_lo, s39
	s_or_b32 exec_lo, exec_lo, s13
	s_and_saveexec_b32 s13, s58
	s_cbranch_execz .LBB691_1477
.LBB691_1841:
	v_mov_b32_e32 v2, 0xff
	v_lshrrev_b32_e32 v8, 8, v3
	s_mov_b32 s39, exec_lo
	v_and_b32_sdwa v2, v3, v2 dst_sel:DWORD dst_unused:UNUSED_PAD src0_sel:WORD_1 src1_sel:DWORD
	v_and_b32_e32 v8, 0xff, v8
	v_mul_lo_u16 v2, 0xcd, v2
	v_mul_lo_u16 v8, 0xcd, v8
	v_lshrrev_b16 v2, 11, v2
	v_lshrrev_b16 v8, 11, v8
	v_cmpx_lt_u16_e64 v2, v8
; %bb.1842:
	v_perm_b32 v3, v3, v3, 0x7050604
; %bb.1843:
	s_or_b32 exec_lo, exec_lo, s39
	s_or_b32 exec_lo, exec_lo, s13
	s_and_saveexec_b32 s13, s63
	s_cbranch_execz .LBB691_1478
.LBB691_1844:
	v_and_b32_e32 v2, 0xff, v11
	v_lshrrev_b32_e32 v8, 24, v3
	s_mov_b32 s39, exec_lo
	v_mul_lo_u16 v2, 0xcd, v2
	v_mul_lo_u16 v8, 0xcd, v8
	v_lshrrev_b16 v2, 11, v2
	v_lshrrev_b16 v8, 11, v8
	v_cmpx_lt_u16_e64 v2, v8
; %bb.1845:
	v_perm_b32 v2, v3, v11, 0x3020107
	v_perm_b32 v3, v3, v11, 0x60504
	;; [unrolled: 1-line block ×3, first 2 shown]
	v_mov_b32_e32 v11, v2
; %bb.1846:
	s_or_b32 exec_lo, exec_lo, s39
	s_or_b32 exec_lo, exec_lo, s13
	s_and_saveexec_b32 s13, s77
	s_cbranch_execz .LBB691_1479
.LBB691_1847:
	v_mov_b32_e32 v2, 0xff
	v_lshrrev_b32_e32 v8, 8, v11
	s_mov_b32 s39, exec_lo
	v_and_b32_sdwa v2, v11, v2 dst_sel:DWORD dst_unused:UNUSED_PAD src0_sel:WORD_1 src1_sel:DWORD
	v_and_b32_e32 v8, 0xff, v8
	v_mul_lo_u16 v2, 0xcd, v2
	v_mul_lo_u16 v8, 0xcd, v8
	v_lshrrev_b16 v2, 11, v2
	v_lshrrev_b16 v8, 11, v8
	v_cmpx_lt_u16_e64 v2, v8
; %bb.1848:
	v_perm_b32 v11, v11, v11, 0x7050604
	v_perm_b32 v7, v7, v7, 0x3060504
; %bb.1849:
	s_or_b32 exec_lo, exec_lo, s39
	s_or_b32 exec_lo, exec_lo, s13
	s_and_saveexec_b32 s13, s89
	s_cbranch_execz .LBB691_1480
.LBB691_1850:
	v_and_b32_e32 v2, 0xff, v7
	v_lshrrev_b32_e32 v8, 24, v11
	s_mov_b32 s39, exec_lo
	v_mul_lo_u16 v2, 0xcd, v2
	v_mul_lo_u16 v8, 0xcd, v8
	v_lshrrev_b16 v2, 11, v2
	v_lshrrev_b16 v8, 11, v8
	v_cmpx_lt_u16_e64 v2, v8
; %bb.1851:
	v_perm_b32 v2, v11, v7, 0x3020107
	v_perm_b32 v11, v11, v7, 0x60504
	v_mov_b32_e32 v7, v2
; %bb.1852:
	s_or_b32 exec_lo, exec_lo, s39
	s_or_b32 exec_lo, exec_lo, s13
	s_and_saveexec_b32 s13, s90
	s_cbranch_execz .LBB691_1481
.LBB691_1853:
	v_mov_b32_e32 v2, 0xff
	v_lshrrev_b32_e32 v8, 8, v7
	s_mov_b32 s39, exec_lo
	v_and_b32_sdwa v2, v7, v2 dst_sel:DWORD dst_unused:UNUSED_PAD src0_sel:WORD_1 src1_sel:DWORD
	v_and_b32_e32 v8, 0xff, v8
	v_mul_lo_u16 v2, 0xcd, v2
	v_mul_lo_u16 v8, 0xcd, v8
	v_lshrrev_b16 v2, 11, v2
	v_lshrrev_b16 v8, 11, v8
	v_cmpx_lt_u16_e64 v2, v8
; %bb.1854:
	v_perm_b32 v7, v7, v7, 0x7050604
; %bb.1855:
	s_or_b32 exec_lo, exec_lo, s39
	s_or_b32 exec_lo, exec_lo, s13
	s_and_saveexec_b32 s13, s92
	s_cbranch_execz .LBB691_1482
.LBB691_1856:
	v_and_b32_e32 v2, 0xff, v81
	v_lshrrev_b32_e32 v8, 24, v7
	s_mov_b32 s39, exec_lo
	v_mul_lo_u16 v2, 0xcd, v2
	v_mul_lo_u16 v8, 0xcd, v8
	v_lshrrev_b16 v2, 11, v2
	v_lshrrev_b16 v8, 11, v8
	v_cmpx_lt_u16_e64 v2, v8
; %bb.1857:
	v_perm_b32 v2, v7, v81, 0x3020107
	v_perm_b32 v7, v7, v81, 0x60504
	v_perm_b32 v10, v10, v10, 0x3060504
	v_mov_b32_e32 v81, v2
; %bb.1858:
	s_or_b32 exec_lo, exec_lo, s39
	s_or_b32 exec_lo, exec_lo, s13
	s_and_saveexec_b32 s13, s93
	s_cbranch_execz .LBB691_1483
.LBB691_1859:
	v_mov_b32_e32 v2, 0xff
	v_lshrrev_b32_e32 v8, 8, v81
	s_mov_b32 s39, exec_lo
	v_and_b32_sdwa v2, v81, v2 dst_sel:DWORD dst_unused:UNUSED_PAD src0_sel:WORD_1 src1_sel:DWORD
	v_and_b32_e32 v8, 0xff, v8
	v_mul_lo_u16 v2, 0xcd, v2
	v_mul_lo_u16 v8, 0xcd, v8
	v_lshrrev_b16 v2, 11, v2
	v_lshrrev_b16 v8, 11, v8
	v_cmpx_lt_u16_e64 v2, v8
; %bb.1860:
	v_perm_b32 v81, v81, v81, 0x7050604
	v_perm_b32 v10, v10, v10, 0x3060504
; %bb.1861:
	s_or_b32 exec_lo, exec_lo, s39
	s_or_b32 exec_lo, exec_lo, s13
	s_and_saveexec_b32 s13, s94
	s_cbranch_execz .LBB691_1484
.LBB691_1862:
	v_and_b32_e32 v2, 0xff, v10
	v_lshrrev_b32_e32 v8, 24, v81
	s_mov_b32 s39, exec_lo
	v_mul_lo_u16 v2, 0xcd, v2
	v_mul_lo_u16 v8, 0xcd, v8
	v_lshrrev_b16 v2, 11, v2
	v_lshrrev_b16 v8, 11, v8
	v_cmpx_lt_u16_e64 v2, v8
; %bb.1863:
	v_perm_b32 v2, v81, v10, 0x3020107
	v_perm_b32 v81, v81, v10, 0x60504
	v_mov_b32_e32 v10, v2
; %bb.1864:
	s_or_b32 exec_lo, exec_lo, s39
	s_or_b32 exec_lo, exec_lo, s13
	s_and_saveexec_b32 s13, s95
	s_cbranch_execz .LBB691_1485
.LBB691_1865:
	v_mov_b32_e32 v2, 0xff
	v_lshrrev_b32_e32 v8, 8, v10
	s_mov_b32 s39, exec_lo
	v_and_b32_sdwa v2, v10, v2 dst_sel:DWORD dst_unused:UNUSED_PAD src0_sel:WORD_1 src1_sel:DWORD
	v_and_b32_e32 v8, 0xff, v8
	v_mul_lo_u16 v2, 0xcd, v2
	v_mul_lo_u16 v8, 0xcd, v8
	v_lshrrev_b16 v2, 11, v2
	v_lshrrev_b16 v8, 11, v8
	v_cmpx_lt_u16_e64 v2, v8
; %bb.1866:
	v_perm_b32 v10, v10, v10, 0x7050604
; %bb.1867:
	s_or_b32 exec_lo, exec_lo, s39
	s_or_b32 exec_lo, exec_lo, s13
	s_and_saveexec_b32 s13, vcc_hi
	s_cbranch_execz .LBB691_1486
.LBB691_1868:
	v_and_b32_e32 v2, 0xff, v70
	v_lshrrev_b32_e32 v8, 24, v10
	s_mov_b32 s39, exec_lo
	v_mul_lo_u16 v2, 0xcd, v2
	v_mul_lo_u16 v8, 0xcd, v8
	v_lshrrev_b16 v2, 11, v2
	v_lshrrev_b16 v8, 11, v8
	v_cmpx_lt_u16_e64 v2, v8
; %bb.1869:
	v_perm_b32 v2, v10, v70, 0x3020107
	v_perm_b32 v10, v10, v70, 0x60504
	v_perm_b32 v13, v13, v13, 0x3060504
	v_mov_b32_e32 v70, v2
; %bb.1870:
	s_or_b32 exec_lo, exec_lo, s39
	s_or_b32 exec_lo, exec_lo, s13
	s_and_saveexec_b32 s13, s30
	s_cbranch_execz .LBB691_1487
.LBB691_1871:
	v_mov_b32_e32 v2, 0xff
	v_lshrrev_b32_e32 v8, 8, v70
	s_mov_b32 s39, exec_lo
	v_and_b32_sdwa v2, v70, v2 dst_sel:DWORD dst_unused:UNUSED_PAD src0_sel:WORD_1 src1_sel:DWORD
	v_and_b32_e32 v8, 0xff, v8
	v_mul_lo_u16 v2, 0xcd, v2
	v_mul_lo_u16 v8, 0xcd, v8
	v_lshrrev_b16 v2, 11, v2
	v_lshrrev_b16 v8, 11, v8
	v_cmpx_lt_u16_e64 v2, v8
; %bb.1872:
	v_perm_b32 v70, v70, v70, 0x7050604
	v_perm_b32 v13, v13, v13, 0x3060504
; %bb.1873:
	s_or_b32 exec_lo, exec_lo, s39
	s_or_b32 exec_lo, exec_lo, s13
	s_and_saveexec_b32 s13, s31
	s_cbranch_execz .LBB691_1488
.LBB691_1874:
	v_and_b32_e32 v2, 0xff, v13
	v_lshrrev_b32_e32 v8, 24, v70
	s_mov_b32 s39, exec_lo
	v_mul_lo_u16 v2, 0xcd, v2
	v_mul_lo_u16 v8, 0xcd, v8
	v_lshrrev_b16 v2, 11, v2
	v_lshrrev_b16 v8, 11, v8
	v_cmpx_lt_u16_e64 v2, v8
; %bb.1875:
	v_perm_b32 v2, v70, v13, 0x3020107
	v_perm_b32 v70, v70, v13, 0x60504
	v_mov_b32_e32 v13, v2
; %bb.1876:
	s_or_b32 exec_lo, exec_lo, s39
	s_or_b32 exec_lo, exec_lo, s13
	s_and_saveexec_b32 s13, s34
	s_cbranch_execz .LBB691_1489
.LBB691_1877:
	v_mov_b32_e32 v2, 0xff
	v_lshrrev_b32_e32 v8, 8, v13
	s_mov_b32 s39, exec_lo
	v_and_b32_sdwa v2, v13, v2 dst_sel:DWORD dst_unused:UNUSED_PAD src0_sel:WORD_1 src1_sel:DWORD
	v_and_b32_e32 v8, 0xff, v8
	v_mul_lo_u16 v2, 0xcd, v2
	v_mul_lo_u16 v8, 0xcd, v8
	v_lshrrev_b16 v2, 11, v2
	v_lshrrev_b16 v8, 11, v8
	v_cmpx_lt_u16_e64 v2, v8
; %bb.1878:
	v_perm_b32 v13, v13, v13, 0x7050604
; %bb.1879:
	s_or_b32 exec_lo, exec_lo, s39
	s_or_b32 exec_lo, exec_lo, s13
	s_and_saveexec_b32 s13, s91
	s_cbranch_execz .LBB691_1490
.LBB691_1880:
	v_lshrrev_b32_e32 v2, 8, v6
	v_and_b32_e32 v8, 0xff, v6
	s_mov_b32 s39, exec_lo
	v_and_b32_e32 v2, 0xff, v2
	v_mul_lo_u16 v8, 0xcd, v8
	v_mul_lo_u16 v2, 0xcd, v2
	v_lshrrev_b16 v8, 11, v8
	v_lshrrev_b16 v2, 11, v2
	v_cmpx_lt_u16_e64 v2, v8
; %bb.1881:
	v_perm_b32 v6, v6, v6, 0x7060405
	v_perm_b32 v3, v3, v3, 0x3060504
; %bb.1882:
	s_or_b32 exec_lo, exec_lo, s39
	s_or_b32 exec_lo, exec_lo, s13
	s_and_saveexec_b32 s13, s88
	s_cbranch_execz .LBB691_1491
.LBB691_1883:
	v_mov_b32_e32 v2, 0xff
	v_lshrrev_b32_e32 v8, 24, v6
	s_mov_b32 s39, exec_lo
	v_and_b32_sdwa v2, v6, v2 dst_sel:DWORD dst_unused:UNUSED_PAD src0_sel:WORD_1 src1_sel:DWORD
	v_mul_lo_u16 v8, 0xcd, v8
	v_mul_lo_u16 v2, 0xcd, v2
	v_lshrrev_b16 v8, 11, v8
	v_lshrrev_b16 v2, 11, v2
	v_cmpx_lt_u16_e64 v8, v2
; %bb.1884:
	v_perm_b32 v6, v6, v6, 0x6070504
	v_perm_b32 v3, v3, v3, 0x3060504
; %bb.1885:
	s_or_b32 exec_lo, exec_lo, s39
	s_or_b32 exec_lo, exec_lo, s13
	s_and_saveexec_b32 s13, s79
	s_cbranch_execz .LBB691_1492
.LBB691_1886:
	v_lshrrev_b32_e32 v2, 8, v3
	v_and_b32_e32 v8, 0xff, v3
	s_mov_b32 s39, exec_lo
	v_and_b32_e32 v2, 0xff, v2
	v_mul_lo_u16 v8, 0xcd, v8
	v_mul_lo_u16 v2, 0xcd, v2
	v_lshrrev_b16 v8, 11, v8
	v_lshrrev_b16 v2, 11, v2
	v_cmpx_lt_u16_e64 v2, v8
; %bb.1887:
	v_perm_b32 v3, v3, v3, 0x7060405
; %bb.1888:
	s_or_b32 exec_lo, exec_lo, s39
	s_or_b32 exec_lo, exec_lo, s13
	s_and_saveexec_b32 s13, s78
	s_cbranch_execz .LBB691_1493
.LBB691_1889:
	v_mov_b32_e32 v2, 0xff
	v_lshrrev_b32_e32 v8, 24, v3
	s_mov_b32 s39, exec_lo
	v_and_b32_sdwa v2, v3, v2 dst_sel:DWORD dst_unused:UNUSED_PAD src0_sel:WORD_1 src1_sel:DWORD
	v_mul_lo_u16 v8, 0xcd, v8
	v_mul_lo_u16 v2, 0xcd, v2
	v_lshrrev_b16 v8, 11, v8
	v_lshrrev_b16 v2, 11, v2
	v_cmpx_lt_u16_e64 v8, v2
; %bb.1890:
	v_perm_b32 v3, v3, v3, 0x6070504
; %bb.1891:
	s_or_b32 exec_lo, exec_lo, s39
	s_or_b32 exec_lo, exec_lo, s13
	s_and_saveexec_b32 s13, s76
	s_cbranch_execz .LBB691_1494
.LBB691_1892:
	v_lshrrev_b32_e32 v2, 8, v11
	v_and_b32_e32 v8, 0xff, v11
	s_mov_b32 s39, exec_lo
	v_and_b32_e32 v2, 0xff, v2
	v_mul_lo_u16 v8, 0xcd, v8
	v_mul_lo_u16 v2, 0xcd, v2
	v_lshrrev_b16 v8, 11, v8
	v_lshrrev_b16 v2, 11, v2
	v_cmpx_lt_u16_e64 v2, v8
; %bb.1893:
	v_perm_b32 v11, v11, v11, 0x7060405
	v_perm_b32 v7, v7, v7, 0x3060504
; %bb.1894:
	s_or_b32 exec_lo, exec_lo, s39
	s_or_b32 exec_lo, exec_lo, s13
	s_and_saveexec_b32 s13, s75
	s_cbranch_execz .LBB691_1495
.LBB691_1895:
	v_mov_b32_e32 v2, 0xff
	v_lshrrev_b32_e32 v8, 24, v11
	s_mov_b32 s39, exec_lo
	v_and_b32_sdwa v2, v11, v2 dst_sel:DWORD dst_unused:UNUSED_PAD src0_sel:WORD_1 src1_sel:DWORD
	v_mul_lo_u16 v8, 0xcd, v8
	v_mul_lo_u16 v2, 0xcd, v2
	v_lshrrev_b16 v8, 11, v8
	v_lshrrev_b16 v2, 11, v2
	v_cmpx_lt_u16_e64 v8, v2
; %bb.1896:
	v_perm_b32 v11, v11, v11, 0x6070504
	v_perm_b32 v7, v7, v7, 0x3060504
; %bb.1897:
	s_or_b32 exec_lo, exec_lo, s39
	s_or_b32 exec_lo, exec_lo, s13
	s_and_saveexec_b32 s13, s74
	s_cbranch_execz .LBB691_1901
.LBB691_1898:
	v_lshrrev_b32_e32 v2, 8, v7
	v_and_b32_e32 v8, 0xff, v7
	s_mov_b32 s39, exec_lo
	v_and_b32_e32 v2, 0xff, v2
	v_mul_lo_u16 v8, 0xcd, v8
	v_mul_lo_u16 v2, 0xcd, v2
	v_lshrrev_b16 v8, 11, v8
	v_lshrrev_b16 v2, 11, v2
	v_cmpx_lt_u16_e64 v2, v8
; %bb.1899:
	v_perm_b32 v7, v7, v7, 0x7060405
; %bb.1900:
	s_or_b32 exec_lo, exec_lo, s39
.LBB691_1901:
	s_or_b32 exec_lo, exec_lo, s13
	v_mov_b32_e32 v14, v6
	v_mov_b32_e32 v2, v3
	;; [unrolled: 1-line block ×8, first 2 shown]
	s_and_saveexec_b32 s13, s73
	s_cbranch_execnz .LBB691_2036
; %bb.1902:
	s_or_b32 exec_lo, exec_lo, s13
	s_and_saveexec_b32 s13, s72
	s_cbranch_execnz .LBB691_2039
.LBB691_1903:
	s_or_b32 exec_lo, exec_lo, s13
	s_and_saveexec_b32 s13, s62
	s_cbranch_execnz .LBB691_2042
.LBB691_1904:
	s_or_b32 exec_lo, exec_lo, s13
	s_and_saveexec_b32 s13, s61
	s_cbranch_execnz .LBB691_2045
.LBB691_1905:
	s_or_b32 exec_lo, exec_lo, s13
	s_and_saveexec_b32 s13, s60
	s_cbranch_execnz .LBB691_2048
.LBB691_1906:
	s_or_b32 exec_lo, exec_lo, s13
	s_and_saveexec_b32 s13, s59
	s_cbranch_execnz .LBB691_2051
.LBB691_1907:
	s_or_b32 exec_lo, exec_lo, s13
	s_and_saveexec_b32 s13, s57
	s_cbranch_execnz .LBB691_2054
.LBB691_1908:
	s_or_b32 exec_lo, exec_lo, s13
	s_and_saveexec_b32 s13, s56
	s_cbranch_execnz .LBB691_2057
.LBB691_1909:
	s_or_b32 exec_lo, exec_lo, s13
	s_and_saveexec_b32 s13, s9
	s_cbranch_execnz .LBB691_2060
.LBB691_1910:
	s_or_b32 exec_lo, exec_lo, s13
	s_and_saveexec_b32 s13, vcc_lo
	s_cbranch_execnz .LBB691_2063
.LBB691_1911:
	s_or_b32 exec_lo, exec_lo, s13
	s_and_saveexec_b32 s13, s8
	s_cbranch_execnz .LBB691_2066
.LBB691_1912:
	s_or_b32 exec_lo, exec_lo, s13
	s_and_saveexec_b32 s13, s58
	s_cbranch_execnz .LBB691_2069
.LBB691_1913:
	s_or_b32 exec_lo, exec_lo, s13
	s_and_saveexec_b32 s13, s63
	s_cbranch_execnz .LBB691_2072
.LBB691_1914:
	s_or_b32 exec_lo, exec_lo, s13
	s_and_saveexec_b32 s13, s77
	s_cbranch_execnz .LBB691_2075
.LBB691_1915:
	s_or_b32 exec_lo, exec_lo, s13
	s_and_saveexec_b32 s13, s89
	s_cbranch_execnz .LBB691_2078
.LBB691_1916:
	s_or_b32 exec_lo, exec_lo, s13
	s_and_saveexec_b32 s13, s90
	s_cbranch_execnz .LBB691_2081
.LBB691_1917:
	s_or_b32 exec_lo, exec_lo, s13
	s_and_saveexec_b32 s13, s92
	s_cbranch_execnz .LBB691_2084
.LBB691_1918:
	s_or_b32 exec_lo, exec_lo, s13
	s_and_saveexec_b32 s13, s93
	s_cbranch_execnz .LBB691_2087
.LBB691_1919:
	s_or_b32 exec_lo, exec_lo, s13
	s_and_saveexec_b32 s13, s94
	s_cbranch_execnz .LBB691_2090
.LBB691_1920:
	s_or_b32 exec_lo, exec_lo, s13
	s_and_saveexec_b32 s13, s95
	s_cbranch_execnz .LBB691_2093
.LBB691_1921:
	s_or_b32 exec_lo, exec_lo, s13
	s_and_saveexec_b32 s13, vcc_hi
	s_cbranch_execnz .LBB691_2096
.LBB691_1922:
	s_or_b32 exec_lo, exec_lo, s13
	s_and_saveexec_b32 s13, s30
	s_cbranch_execnz .LBB691_2099
.LBB691_1923:
	s_or_b32 exec_lo, exec_lo, s13
	s_and_saveexec_b32 s13, s31
	s_cbranch_execnz .LBB691_2102
.LBB691_1924:
	s_or_b32 exec_lo, exec_lo, s13
	s_and_saveexec_b32 s13, s34
	s_cbranch_execnz .LBB691_2105
.LBB691_1925:
	s_or_b32 exec_lo, exec_lo, s13
	s_and_saveexec_b32 s13, s91
	s_cbranch_execnz .LBB691_2108
.LBB691_1926:
	s_or_b32 exec_lo, exec_lo, s13
	s_and_saveexec_b32 s13, s88
	s_cbranch_execnz .LBB691_2111
.LBB691_1927:
	s_or_b32 exec_lo, exec_lo, s13
	s_and_saveexec_b32 s13, s79
	s_cbranch_execnz .LBB691_2114
.LBB691_1928:
	s_or_b32 exec_lo, exec_lo, s13
	s_and_saveexec_b32 s13, s78
	s_cbranch_execnz .LBB691_2117
.LBB691_1929:
	s_or_b32 exec_lo, exec_lo, s13
	s_and_saveexec_b32 s13, s76
	s_cbranch_execnz .LBB691_2120
.LBB691_1930:
	s_or_b32 exec_lo, exec_lo, s13
	s_and_saveexec_b32 s13, s75
	s_cbranch_execnz .LBB691_2123
.LBB691_1931:
	s_or_b32 exec_lo, exec_lo, s13
	s_and_saveexec_b32 s13, s74
	s_cbranch_execnz .LBB691_2126
.LBB691_1932:
	s_or_b32 exec_lo, exec_lo, s13
	s_and_saveexec_b32 s13, s73
	s_cbranch_execnz .LBB691_2129
.LBB691_1933:
	s_or_b32 exec_lo, exec_lo, s13
	s_and_saveexec_b32 s13, s72
	s_cbranch_execnz .LBB691_2132
.LBB691_1934:
	s_or_b32 exec_lo, exec_lo, s13
	s_and_saveexec_b32 s13, s62
	s_cbranch_execnz .LBB691_2135
.LBB691_1935:
	s_or_b32 exec_lo, exec_lo, s13
	s_and_saveexec_b32 s13, s61
	s_cbranch_execnz .LBB691_2138
.LBB691_1936:
	s_or_b32 exec_lo, exec_lo, s13
	s_and_saveexec_b32 s13, s60
	s_cbranch_execnz .LBB691_2141
.LBB691_1937:
	s_or_b32 exec_lo, exec_lo, s13
	s_and_saveexec_b32 s13, s59
	s_cbranch_execnz .LBB691_2144
.LBB691_1938:
	s_or_b32 exec_lo, exec_lo, s13
	s_and_saveexec_b32 s13, s57
	s_cbranch_execnz .LBB691_2147
.LBB691_1939:
	s_or_b32 exec_lo, exec_lo, s13
	s_and_saveexec_b32 s13, s56
	s_cbranch_execnz .LBB691_2150
.LBB691_1940:
	s_or_b32 exec_lo, exec_lo, s13
	s_and_saveexec_b32 s13, s9
	s_cbranch_execnz .LBB691_2153
.LBB691_1941:
	s_or_b32 exec_lo, exec_lo, s13
	s_and_saveexec_b32 s13, vcc_lo
	s_cbranch_execnz .LBB691_2156
.LBB691_1942:
	s_or_b32 exec_lo, exec_lo, s13
	s_and_saveexec_b32 s13, s8
	s_cbranch_execnz .LBB691_2159
.LBB691_1943:
	s_or_b32 exec_lo, exec_lo, s13
	s_and_saveexec_b32 s13, s58
	s_cbranch_execnz .LBB691_2162
.LBB691_1944:
	s_or_b32 exec_lo, exec_lo, s13
	s_and_saveexec_b32 s13, s63
	s_cbranch_execnz .LBB691_2165
.LBB691_1945:
	s_or_b32 exec_lo, exec_lo, s13
	s_and_saveexec_b32 s13, s77
	s_cbranch_execnz .LBB691_2168
.LBB691_1946:
	s_or_b32 exec_lo, exec_lo, s13
	s_and_saveexec_b32 s13, s89
	s_cbranch_execnz .LBB691_2171
.LBB691_1947:
	s_or_b32 exec_lo, exec_lo, s13
	s_and_saveexec_b32 s13, s90
	s_cbranch_execnz .LBB691_2174
.LBB691_1948:
	s_or_b32 exec_lo, exec_lo, s13
	s_and_saveexec_b32 s13, s92
	s_cbranch_execnz .LBB691_2177
.LBB691_1949:
	s_or_b32 exec_lo, exec_lo, s13
	s_and_saveexec_b32 s13, s93
	s_cbranch_execnz .LBB691_2180
.LBB691_1950:
	s_or_b32 exec_lo, exec_lo, s13
	s_and_saveexec_b32 s13, s94
	s_cbranch_execnz .LBB691_2183
.LBB691_1951:
	s_or_b32 exec_lo, exec_lo, s13
	s_and_saveexec_b32 s13, s95
	s_cbranch_execnz .LBB691_2186
.LBB691_1952:
	s_or_b32 exec_lo, exec_lo, s13
	s_and_saveexec_b32 s13, vcc_hi
	s_cbranch_execnz .LBB691_2189
.LBB691_1953:
	s_or_b32 exec_lo, exec_lo, s13
	s_and_saveexec_b32 s13, s30
	s_cbranch_execnz .LBB691_2192
.LBB691_1954:
	s_or_b32 exec_lo, exec_lo, s13
	s_and_saveexec_b32 s13, s31
	s_cbranch_execnz .LBB691_2195
.LBB691_1955:
	s_or_b32 exec_lo, exec_lo, s13
	s_and_saveexec_b32 s13, s34
	s_cbranch_execnz .LBB691_2198
.LBB691_1956:
	s_or_b32 exec_lo, exec_lo, s13
	s_and_saveexec_b32 s13, s91
	s_cbranch_execnz .LBB691_2201
.LBB691_1957:
	s_or_b32 exec_lo, exec_lo, s13
	s_and_saveexec_b32 s13, s88
	s_cbranch_execnz .LBB691_2204
.LBB691_1958:
	s_or_b32 exec_lo, exec_lo, s13
	s_and_saveexec_b32 s13, s79
	s_cbranch_execnz .LBB691_2207
.LBB691_1959:
	s_or_b32 exec_lo, exec_lo, s13
	s_and_saveexec_b32 s13, s78
	s_cbranch_execnz .LBB691_2210
.LBB691_1960:
	s_or_b32 exec_lo, exec_lo, s13
	s_and_saveexec_b32 s13, s76
	s_cbranch_execnz .LBB691_2213
.LBB691_1961:
	s_or_b32 exec_lo, exec_lo, s13
	s_and_saveexec_b32 s13, s75
	s_cbranch_execnz .LBB691_2216
.LBB691_1962:
	s_or_b32 exec_lo, exec_lo, s13
	s_and_saveexec_b32 s13, s74
	s_cbranch_execnz .LBB691_2219
.LBB691_1963:
	s_or_b32 exec_lo, exec_lo, s13
	s_and_saveexec_b32 s13, s73
	s_cbranch_execnz .LBB691_2222
.LBB691_1964:
	s_or_b32 exec_lo, exec_lo, s13
	s_and_saveexec_b32 s13, s72
	s_cbranch_execnz .LBB691_2225
.LBB691_1965:
	s_or_b32 exec_lo, exec_lo, s13
	s_and_saveexec_b32 s13, s62
	s_cbranch_execnz .LBB691_2228
.LBB691_1966:
	s_or_b32 exec_lo, exec_lo, s13
	s_and_saveexec_b32 s13, s61
	s_cbranch_execnz .LBB691_2231
.LBB691_1967:
	s_or_b32 exec_lo, exec_lo, s13
	s_and_saveexec_b32 s13, s60
	s_cbranch_execnz .LBB691_2234
.LBB691_1968:
	s_or_b32 exec_lo, exec_lo, s13
	s_and_saveexec_b32 s13, s59
	s_cbranch_execnz .LBB691_2237
.LBB691_1969:
	s_or_b32 exec_lo, exec_lo, s13
	s_and_saveexec_b32 s13, s57
	s_cbranch_execnz .LBB691_2240
.LBB691_1970:
	s_or_b32 exec_lo, exec_lo, s13
	s_and_saveexec_b32 s13, s56
	s_cbranch_execnz .LBB691_2243
.LBB691_1971:
	s_or_b32 exec_lo, exec_lo, s13
	s_and_saveexec_b32 s13, s9
	s_cbranch_execnz .LBB691_2246
.LBB691_1972:
	s_or_b32 exec_lo, exec_lo, s13
	s_and_saveexec_b32 s13, vcc_lo
	s_cbranch_execnz .LBB691_2249
.LBB691_1973:
	s_or_b32 exec_lo, exec_lo, s13
	s_and_saveexec_b32 s13, s8
	s_cbranch_execnz .LBB691_2252
.LBB691_1974:
	s_or_b32 exec_lo, exec_lo, s13
	s_and_saveexec_b32 s13, s58
	s_cbranch_execnz .LBB691_2255
.LBB691_1975:
	s_or_b32 exec_lo, exec_lo, s13
	s_and_saveexec_b32 s13, s63
	s_cbranch_execnz .LBB691_2258
.LBB691_1976:
	s_or_b32 exec_lo, exec_lo, s13
	s_and_saveexec_b32 s13, s77
	s_cbranch_execnz .LBB691_2261
.LBB691_1977:
	s_or_b32 exec_lo, exec_lo, s13
	s_and_saveexec_b32 s13, s89
	s_cbranch_execnz .LBB691_2264
.LBB691_1978:
	s_or_b32 exec_lo, exec_lo, s13
	s_and_saveexec_b32 s13, s90
	s_cbranch_execnz .LBB691_2267
.LBB691_1979:
	s_or_b32 exec_lo, exec_lo, s13
	s_and_saveexec_b32 s13, s92
	s_cbranch_execnz .LBB691_2270
.LBB691_1980:
	s_or_b32 exec_lo, exec_lo, s13
	s_and_saveexec_b32 s13, s93
	s_cbranch_execnz .LBB691_2273
.LBB691_1981:
	s_or_b32 exec_lo, exec_lo, s13
	s_and_saveexec_b32 s13, s94
	s_cbranch_execnz .LBB691_2276
.LBB691_1982:
	s_or_b32 exec_lo, exec_lo, s13
	s_and_saveexec_b32 s13, s95
	s_cbranch_execnz .LBB691_2279
.LBB691_1983:
	s_or_b32 exec_lo, exec_lo, s13
	s_and_saveexec_b32 s13, vcc_hi
	s_cbranch_execnz .LBB691_2282
.LBB691_1984:
	s_or_b32 exec_lo, exec_lo, s13
	s_and_saveexec_b32 s13, s30
	s_cbranch_execnz .LBB691_2285
.LBB691_1985:
	s_or_b32 exec_lo, exec_lo, s13
	s_and_saveexec_b32 s13, s31
	s_cbranch_execnz .LBB691_2288
.LBB691_1986:
	s_or_b32 exec_lo, exec_lo, s13
	s_and_saveexec_b32 s13, s34
	s_cbranch_execnz .LBB691_2291
.LBB691_1987:
	s_or_b32 exec_lo, exec_lo, s13
	s_and_saveexec_b32 s13, s91
	s_cbranch_execnz .LBB691_2294
.LBB691_1988:
	s_or_b32 exec_lo, exec_lo, s13
	s_and_saveexec_b32 s13, s88
	s_cbranch_execnz .LBB691_2297
.LBB691_1989:
	s_or_b32 exec_lo, exec_lo, s13
	s_and_saveexec_b32 s13, s79
	s_cbranch_execnz .LBB691_2300
.LBB691_1990:
	s_or_b32 exec_lo, exec_lo, s13
	s_and_saveexec_b32 s13, s78
	s_cbranch_execnz .LBB691_2303
.LBB691_1991:
	s_or_b32 exec_lo, exec_lo, s13
	s_and_saveexec_b32 s13, s76
	s_cbranch_execnz .LBB691_2306
.LBB691_1992:
	s_or_b32 exec_lo, exec_lo, s13
	s_and_saveexec_b32 s13, s75
	s_cbranch_execnz .LBB691_2309
.LBB691_1993:
	s_or_b32 exec_lo, exec_lo, s13
	s_and_saveexec_b32 s13, s74
	s_cbranch_execnz .LBB691_2312
.LBB691_1994:
	s_or_b32 exec_lo, exec_lo, s13
	s_and_saveexec_b32 s13, s73
	s_cbranch_execnz .LBB691_2315
.LBB691_1995:
	s_or_b32 exec_lo, exec_lo, s13
	s_and_saveexec_b32 s13, s72
	s_cbranch_execnz .LBB691_2318
.LBB691_1996:
	s_or_b32 exec_lo, exec_lo, s13
	s_and_saveexec_b32 s13, s62
	s_cbranch_execnz .LBB691_2321
.LBB691_1997:
	s_or_b32 exec_lo, exec_lo, s13
	s_and_saveexec_b32 s13, s61
	s_cbranch_execnz .LBB691_2324
.LBB691_1998:
	s_or_b32 exec_lo, exec_lo, s13
	s_and_saveexec_b32 s13, s60
	s_cbranch_execnz .LBB691_2327
.LBB691_1999:
	s_or_b32 exec_lo, exec_lo, s13
	s_and_saveexec_b32 s13, s59
	s_cbranch_execnz .LBB691_2330
.LBB691_2000:
	s_or_b32 exec_lo, exec_lo, s13
	s_and_saveexec_b32 s13, s57
	s_cbranch_execnz .LBB691_2333
.LBB691_2001:
	s_or_b32 exec_lo, exec_lo, s13
	s_and_saveexec_b32 s13, s56
	s_cbranch_execnz .LBB691_2336
.LBB691_2002:
	s_or_b32 exec_lo, exec_lo, s13
	s_and_saveexec_b32 s13, s9
	s_cbranch_execnz .LBB691_2339
.LBB691_2003:
	s_or_b32 exec_lo, exec_lo, s13
	s_and_saveexec_b32 s13, vcc_lo
	s_cbranch_execnz .LBB691_2342
.LBB691_2004:
	s_or_b32 exec_lo, exec_lo, s13
	s_and_saveexec_b32 s13, s8
	s_cbranch_execnz .LBB691_2345
.LBB691_2005:
	s_or_b32 exec_lo, exec_lo, s13
	s_and_saveexec_b32 s13, s58
	s_cbranch_execnz .LBB691_2348
.LBB691_2006:
	s_or_b32 exec_lo, exec_lo, s13
	s_and_saveexec_b32 s13, s63
	s_cbranch_execnz .LBB691_2351
.LBB691_2007:
	s_or_b32 exec_lo, exec_lo, s13
	s_and_saveexec_b32 s13, s77
	s_cbranch_execnz .LBB691_2354
.LBB691_2008:
	s_or_b32 exec_lo, exec_lo, s13
	s_and_saveexec_b32 s13, s89
	s_cbranch_execnz .LBB691_2357
.LBB691_2009:
	s_or_b32 exec_lo, exec_lo, s13
	s_and_saveexec_b32 s13, s90
	s_cbranch_execnz .LBB691_2360
.LBB691_2010:
	s_or_b32 exec_lo, exec_lo, s13
	s_and_saveexec_b32 s13, s92
	s_cbranch_execnz .LBB691_2363
.LBB691_2011:
	s_or_b32 exec_lo, exec_lo, s13
	s_and_saveexec_b32 s13, s93
	s_cbranch_execnz .LBB691_2366
.LBB691_2012:
	s_or_b32 exec_lo, exec_lo, s13
	s_and_saveexec_b32 s13, s94
	s_cbranch_execnz .LBB691_2369
.LBB691_2013:
	s_or_b32 exec_lo, exec_lo, s13
	s_and_saveexec_b32 s13, s95
	s_cbranch_execnz .LBB691_2372
.LBB691_2014:
	s_or_b32 exec_lo, exec_lo, s13
	s_and_saveexec_b32 s13, vcc_hi
	s_cbranch_execnz .LBB691_2375
.LBB691_2015:
	s_or_b32 exec_lo, exec_lo, s13
	s_and_saveexec_b32 s13, s30
	s_cbranch_execnz .LBB691_2378
.LBB691_2016:
	s_or_b32 exec_lo, exec_lo, s13
	s_and_saveexec_b32 s13, s31
	s_cbranch_execnz .LBB691_2381
.LBB691_2017:
	s_or_b32 exec_lo, exec_lo, s13
	s_and_saveexec_b32 s13, s34
	s_cbranch_execnz .LBB691_2384
.LBB691_2018:
	s_or_b32 exec_lo, exec_lo, s13
	s_and_saveexec_b32 s13, s91
	s_cbranch_execnz .LBB691_2387
.LBB691_2019:
	s_or_b32 exec_lo, exec_lo, s13
	s_and_saveexec_b32 s13, s88
	s_cbranch_execnz .LBB691_2390
.LBB691_2020:
	s_or_b32 exec_lo, exec_lo, s13
	s_and_saveexec_b32 s13, s79
	s_cbranch_execnz .LBB691_2393
.LBB691_2021:
	s_or_b32 exec_lo, exec_lo, s13
	s_and_saveexec_b32 s13, s78
	s_cbranch_execnz .LBB691_2396
.LBB691_2022:
	s_or_b32 exec_lo, exec_lo, s13
	s_and_saveexec_b32 s13, s76
	s_cbranch_execnz .LBB691_2399
.LBB691_2023:
	s_or_b32 exec_lo, exec_lo, s13
	s_and_saveexec_b32 s13, s75
	s_cbranch_execnz .LBB691_2402
.LBB691_2024:
	s_or_b32 exec_lo, exec_lo, s13
	s_and_saveexec_b32 s13, s74
	s_cbranch_execnz .LBB691_2405
.LBB691_2025:
	s_or_b32 exec_lo, exec_lo, s13
	s_and_saveexec_b32 s13, s73
	s_cbranch_execnz .LBB691_2408
.LBB691_2026:
	s_or_b32 exec_lo, exec_lo, s13
	s_and_saveexec_b32 s13, s72
	s_cbranch_execnz .LBB691_2411
.LBB691_2027:
	s_or_b32 exec_lo, exec_lo, s13
	s_and_saveexec_b32 s13, s62
	s_cbranch_execnz .LBB691_2414
.LBB691_2028:
	s_or_b32 exec_lo, exec_lo, s13
	s_and_saveexec_b32 s13, s61
	s_cbranch_execnz .LBB691_2417
.LBB691_2029:
	s_or_b32 exec_lo, exec_lo, s13
	s_and_saveexec_b32 s13, s60
	s_cbranch_execnz .LBB691_2420
.LBB691_2030:
	s_or_b32 exec_lo, exec_lo, s13
	s_and_saveexec_b32 s13, s59
	s_cbranch_execnz .LBB691_2423
.LBB691_2031:
	s_or_b32 exec_lo, exec_lo, s13
	s_and_saveexec_b32 s13, s57
	s_cbranch_execnz .LBB691_2426
.LBB691_2032:
	s_or_b32 exec_lo, exec_lo, s13
	s_and_saveexec_b32 s13, s56
	s_cbranch_execnz .LBB691_2429
.LBB691_2033:
	s_or_b32 exec_lo, exec_lo, s13
	s_and_saveexec_b32 s13, s9
	s_cbranch_execnz .LBB691_2432
.LBB691_2034:
	s_or_b32 exec_lo, exec_lo, s13
	s_and_saveexec_b32 s13, vcc_lo
	s_cbranch_execnz .LBB691_2435
.LBB691_2035:
	s_or_b32 exec_lo, exec_lo, s13
	s_and_saveexec_b32 s13, s8
	s_cbranch_execnz .LBB691_2438
	s_branch .LBB691_2441
.LBB691_2036:
	v_mov_b32_e32 v8, 0xff
	v_lshrrev_b32_e32 v9, 24, v7
	s_mov_b32 s39, exec_lo
	v_and_b32_sdwa v8, v7, v8 dst_sel:DWORD dst_unused:UNUSED_PAD src0_sel:WORD_1 src1_sel:DWORD
	v_mul_lo_u16 v9, 0xcd, v9
	v_mul_lo_u16 v8, 0xcd, v8
	v_lshrrev_b16 v9, 11, v9
	v_lshrrev_b16 v8, 11, v8
	v_cmpx_lt_u16_e64 v9, v8
	s_cbranch_execz .LBB691_2038
; %bb.2037:
	v_perm_b32 v15, v7, v7, 0x6070504
	v_mov_b32_e32 v14, v6
	v_mov_b32_e32 v2, v3
	;; [unrolled: 1-line block ×7, first 2 shown]
.LBB691_2038:
	s_or_b32 exec_lo, exec_lo, s39
	s_or_b32 exec_lo, exec_lo, s13
	s_and_saveexec_b32 s13, s72
	s_cbranch_execz .LBB691_1903
.LBB691_2039:
	v_lshrrev_b32_e32 v3, 8, v80
	v_and_b32_e32 v6, 0xff, v80
	s_mov_b32 s39, exec_lo
	v_and_b32_e32 v3, 0xff, v3
	v_mul_lo_u16 v6, 0xcd, v6
	v_mul_lo_u16 v3, 0xcd, v3
	v_lshrrev_b16 v6, 11, v6
	v_lshrrev_b16 v3, 11, v3
	v_cmpx_lt_u16_e64 v3, v6
; %bb.2040:
	v_perm_b32 v80, v80, v80, 0x7060405
	v_perm_b32 v16, v16, v16, 0x3060504
; %bb.2041:
	s_or_b32 exec_lo, exec_lo, s39
	s_or_b32 exec_lo, exec_lo, s13
	s_and_saveexec_b32 s13, s62
	s_cbranch_execz .LBB691_1904
.LBB691_2042:
	v_mov_b32_e32 v3, 0xff
	v_lshrrev_b32_e32 v6, 24, v80
	s_mov_b32 s39, exec_lo
	v_and_b32_sdwa v3, v80, v3 dst_sel:DWORD dst_unused:UNUSED_PAD src0_sel:WORD_1 src1_sel:DWORD
	v_mul_lo_u16 v6, 0xcd, v6
	v_mul_lo_u16 v3, 0xcd, v3
	v_lshrrev_b16 v6, 11, v6
	v_lshrrev_b16 v3, 11, v3
	v_cmpx_lt_u16_e64 v6, v3
; %bb.2043:
	v_perm_b32 v80, v80, v80, 0x6070504
	v_perm_b32 v16, v16, v16, 0x3060504
; %bb.2044:
	s_or_b32 exec_lo, exec_lo, s39
	s_or_b32 exec_lo, exec_lo, s13
	s_and_saveexec_b32 s13, s61
	s_cbranch_execz .LBB691_1905
.LBB691_2045:
	v_lshrrev_b32_e32 v3, 8, v16
	v_and_b32_e32 v6, 0xff, v16
	s_mov_b32 s39, exec_lo
	v_and_b32_e32 v3, 0xff, v3
	v_mul_lo_u16 v6, 0xcd, v6
	v_mul_lo_u16 v3, 0xcd, v3
	v_lshrrev_b16 v6, 11, v6
	v_lshrrev_b16 v3, 11, v3
	v_cmpx_lt_u16_e64 v3, v6
; %bb.2046:
	v_perm_b32 v16, v16, v16, 0x7060405
; %bb.2047:
	s_or_b32 exec_lo, exec_lo, s39
	s_or_b32 exec_lo, exec_lo, s13
	s_and_saveexec_b32 s13, s60
	s_cbranch_execz .LBB691_1906
.LBB691_2048:
	v_mov_b32_e32 v3, 0xff
	v_lshrrev_b32_e32 v6, 24, v16
	s_mov_b32 s39, exec_lo
	v_and_b32_sdwa v3, v16, v3 dst_sel:DWORD dst_unused:UNUSED_PAD src0_sel:WORD_1 src1_sel:DWORD
	v_mul_lo_u16 v6, 0xcd, v6
	v_mul_lo_u16 v3, 0xcd, v3
	v_lshrrev_b16 v6, 11, v6
	v_lshrrev_b16 v3, 11, v3
	v_cmpx_lt_u16_e64 v6, v3
; %bb.2049:
	v_perm_b32 v16, v16, v16, 0x6070504
; %bb.2050:
	s_or_b32 exec_lo, exec_lo, s39
	s_or_b32 exec_lo, exec_lo, s13
	s_and_saveexec_b32 s13, s59
	s_cbranch_execz .LBB691_1907
.LBB691_2051:
	v_lshrrev_b32_e32 v3, 8, v71
	v_and_b32_e32 v6, 0xff, v71
	s_mov_b32 s39, exec_lo
	v_and_b32_e32 v3, 0xff, v3
	v_mul_lo_u16 v6, 0xcd, v6
	v_mul_lo_u16 v3, 0xcd, v3
	v_lshrrev_b16 v6, 11, v6
	v_lshrrev_b16 v3, 11, v3
	v_cmpx_lt_u16_e64 v3, v6
; %bb.2052:
	v_perm_b32 v71, v71, v71, 0x7060405
	v_perm_b32 v69, v69, v69, 0x3060504
; %bb.2053:
	s_or_b32 exec_lo, exec_lo, s39
	s_or_b32 exec_lo, exec_lo, s13
	s_and_saveexec_b32 s13, s57
	s_cbranch_execz .LBB691_1908
.LBB691_2054:
	v_mov_b32_e32 v3, 0xff
	v_lshrrev_b32_e32 v6, 24, v71
	s_mov_b32 s39, exec_lo
	v_and_b32_sdwa v3, v71, v3 dst_sel:DWORD dst_unused:UNUSED_PAD src0_sel:WORD_1 src1_sel:DWORD
	v_mul_lo_u16 v6, 0xcd, v6
	v_mul_lo_u16 v3, 0xcd, v3
	v_lshrrev_b16 v6, 11, v6
	v_lshrrev_b16 v3, 11, v3
	v_cmpx_lt_u16_e64 v6, v3
; %bb.2055:
	v_perm_b32 v71, v71, v71, 0x6070504
	v_perm_b32 v69, v69, v69, 0x3060504
; %bb.2056:
	s_or_b32 exec_lo, exec_lo, s39
	s_or_b32 exec_lo, exec_lo, s13
	s_and_saveexec_b32 s13, s56
	s_cbranch_execz .LBB691_1909
.LBB691_2057:
	v_lshrrev_b32_e32 v3, 8, v69
	v_and_b32_e32 v6, 0xff, v69
	s_mov_b32 s39, exec_lo
	v_and_b32_e32 v3, 0xff, v3
	v_mul_lo_u16 v6, 0xcd, v6
	v_mul_lo_u16 v3, 0xcd, v3
	v_lshrrev_b16 v6, 11, v6
	v_lshrrev_b16 v3, 11, v3
	v_cmpx_lt_u16_e64 v3, v6
; %bb.2058:
	v_perm_b32 v69, v69, v69, 0x7060405
; %bb.2059:
	s_or_b32 exec_lo, exec_lo, s39
	s_or_b32 exec_lo, exec_lo, s13
	s_and_saveexec_b32 s13, s9
	s_cbranch_execz .LBB691_1910
.LBB691_2060:
	v_mov_b32_e32 v3, 0xff
	v_lshrrev_b32_e32 v6, 24, v69
	s_mov_b32 s39, exec_lo
	v_and_b32_sdwa v3, v69, v3 dst_sel:DWORD dst_unused:UNUSED_PAD src0_sel:WORD_1 src1_sel:DWORD
	v_mul_lo_u16 v6, 0xcd, v6
	v_mul_lo_u16 v3, 0xcd, v3
	v_lshrrev_b16 v6, 11, v6
	v_lshrrev_b16 v3, 11, v3
	v_cmpx_lt_u16_e64 v6, v3
; %bb.2061:
	v_perm_b32 v69, v69, v69, 0x6070504
; %bb.2062:
	s_or_b32 exec_lo, exec_lo, s39
	s_or_b32 exec_lo, exec_lo, s13
	s_and_saveexec_b32 s13, vcc_lo
	s_cbranch_execz .LBB691_1911
.LBB691_2063:
	v_mov_b32_e32 v3, 0xff
	v_lshrrev_b32_e32 v6, 8, v14
	s_mov_b32 s39, exec_lo
	v_and_b32_sdwa v3, v14, v3 dst_sel:DWORD dst_unused:UNUSED_PAD src0_sel:WORD_1 src1_sel:DWORD
	v_and_b32_e32 v6, 0xff, v6
	v_mul_lo_u16 v3, 0xcd, v3
	v_mul_lo_u16 v6, 0xcd, v6
	v_lshrrev_b16 v3, 11, v3
	v_lshrrev_b16 v6, 11, v6
	v_cmpx_lt_u16_e64 v3, v6
; %bb.2064:
	v_perm_b32 v14, v14, v14, 0x7050604
	v_perm_b32 v2, v2, v2, 0x3060504
; %bb.2065:
	s_or_b32 exec_lo, exec_lo, s39
	s_or_b32 exec_lo, exec_lo, s13
	s_and_saveexec_b32 s13, s8
	s_cbranch_execz .LBB691_1912
.LBB691_2066:
	v_and_b32_e32 v3, 0xff, v2
	v_lshrrev_b32_e32 v6, 24, v14
	s_mov_b32 s39, exec_lo
	v_mul_lo_u16 v3, 0xcd, v3
	v_mul_lo_u16 v6, 0xcd, v6
	v_lshrrev_b16 v3, 11, v3
	v_lshrrev_b16 v6, 11, v6
	v_cmpx_lt_u16_e64 v3, v6
; %bb.2067:
	v_perm_b32 v3, v14, v2, 0x3020107
	v_perm_b32 v14, v14, v2, 0x60504
	v_mov_b32_e32 v2, v3
; %bb.2068:
	s_or_b32 exec_lo, exec_lo, s39
	s_or_b32 exec_lo, exec_lo, s13
	s_and_saveexec_b32 s13, s58
	s_cbranch_execz .LBB691_1913
.LBB691_2069:
	v_mov_b32_e32 v3, 0xff
	v_lshrrev_b32_e32 v6, 8, v2
	s_mov_b32 s39, exec_lo
	v_and_b32_sdwa v3, v2, v3 dst_sel:DWORD dst_unused:UNUSED_PAD src0_sel:WORD_1 src1_sel:DWORD
	v_and_b32_e32 v6, 0xff, v6
	v_mul_lo_u16 v3, 0xcd, v3
	v_mul_lo_u16 v6, 0xcd, v6
	v_lshrrev_b16 v3, 11, v3
	v_lshrrev_b16 v6, 11, v6
	v_cmpx_lt_u16_e64 v3, v6
; %bb.2070:
	v_perm_b32 v2, v2, v2, 0x7050604
; %bb.2071:
	s_or_b32 exec_lo, exec_lo, s39
	s_or_b32 exec_lo, exec_lo, s13
	s_and_saveexec_b32 s13, s63
	s_cbranch_execz .LBB691_1914
.LBB691_2072:
	v_and_b32_e32 v3, 0xff, v68
	v_lshrrev_b32_e32 v6, 24, v2
	s_mov_b32 s39, exec_lo
	v_mul_lo_u16 v3, 0xcd, v3
	v_mul_lo_u16 v6, 0xcd, v6
	v_lshrrev_b16 v3, 11, v3
	v_lshrrev_b16 v6, 11, v6
	v_cmpx_lt_u16_e64 v3, v6
; %bb.2073:
	v_perm_b32 v3, v2, v68, 0x3020107
	v_perm_b32 v2, v2, v68, 0x60504
	;; [unrolled: 1-line block ×3, first 2 shown]
	v_mov_b32_e32 v68, v3
; %bb.2074:
	s_or_b32 exec_lo, exec_lo, s39
	s_or_b32 exec_lo, exec_lo, s13
	s_and_saveexec_b32 s13, s77
	s_cbranch_execz .LBB691_1915
.LBB691_2075:
	v_mov_b32_e32 v3, 0xff
	v_lshrrev_b32_e32 v6, 8, v68
	s_mov_b32 s39, exec_lo
	v_and_b32_sdwa v3, v68, v3 dst_sel:DWORD dst_unused:UNUSED_PAD src0_sel:WORD_1 src1_sel:DWORD
	v_and_b32_e32 v6, 0xff, v6
	v_mul_lo_u16 v3, 0xcd, v3
	v_mul_lo_u16 v6, 0xcd, v6
	v_lshrrev_b16 v3, 11, v3
	v_lshrrev_b16 v6, 11, v6
	v_cmpx_lt_u16_e64 v3, v6
; %bb.2076:
	v_perm_b32 v68, v68, v68, 0x7050604
	v_perm_b32 v15, v15, v15, 0x3060504
; %bb.2077:
	s_or_b32 exec_lo, exec_lo, s39
	s_or_b32 exec_lo, exec_lo, s13
	s_and_saveexec_b32 s13, s89
	s_cbranch_execz .LBB691_1916
.LBB691_2078:
	v_and_b32_e32 v3, 0xff, v15
	v_lshrrev_b32_e32 v6, 24, v68
	s_mov_b32 s39, exec_lo
	v_mul_lo_u16 v3, 0xcd, v3
	v_mul_lo_u16 v6, 0xcd, v6
	v_lshrrev_b16 v3, 11, v3
	v_lshrrev_b16 v6, 11, v6
	v_cmpx_lt_u16_e64 v3, v6
; %bb.2079:
	v_perm_b32 v3, v68, v15, 0x3020107
	v_perm_b32 v68, v68, v15, 0x60504
	v_mov_b32_e32 v15, v3
; %bb.2080:
	s_or_b32 exec_lo, exec_lo, s39
	s_or_b32 exec_lo, exec_lo, s13
	s_and_saveexec_b32 s13, s90
	s_cbranch_execz .LBB691_1917
.LBB691_2081:
	v_mov_b32_e32 v3, 0xff
	v_lshrrev_b32_e32 v6, 8, v15
	s_mov_b32 s39, exec_lo
	v_and_b32_sdwa v3, v15, v3 dst_sel:DWORD dst_unused:UNUSED_PAD src0_sel:WORD_1 src1_sel:DWORD
	v_and_b32_e32 v6, 0xff, v6
	v_mul_lo_u16 v3, 0xcd, v3
	v_mul_lo_u16 v6, 0xcd, v6
	v_lshrrev_b16 v3, 11, v3
	v_lshrrev_b16 v6, 11, v6
	v_cmpx_lt_u16_e64 v3, v6
; %bb.2082:
	v_perm_b32 v15, v15, v15, 0x7050604
; %bb.2083:
	s_or_b32 exec_lo, exec_lo, s39
	s_or_b32 exec_lo, exec_lo, s13
	s_and_saveexec_b32 s13, s92
	s_cbranch_execz .LBB691_1918
.LBB691_2084:
	v_and_b32_e32 v3, 0xff, v80
	v_lshrrev_b32_e32 v6, 24, v15
	s_mov_b32 s39, exec_lo
	v_mul_lo_u16 v3, 0xcd, v3
	v_mul_lo_u16 v6, 0xcd, v6
	v_lshrrev_b16 v3, 11, v3
	v_lshrrev_b16 v6, 11, v6
	v_cmpx_lt_u16_e64 v3, v6
; %bb.2085:
	v_perm_b32 v3, v15, v80, 0x3020107
	v_perm_b32 v15, v15, v80, 0x60504
	;; [unrolled: 1-line block ×3, first 2 shown]
	v_mov_b32_e32 v80, v3
; %bb.2086:
	s_or_b32 exec_lo, exec_lo, s39
	s_or_b32 exec_lo, exec_lo, s13
	s_and_saveexec_b32 s13, s93
	s_cbranch_execz .LBB691_1919
.LBB691_2087:
	v_mov_b32_e32 v3, 0xff
	v_lshrrev_b32_e32 v6, 8, v80
	s_mov_b32 s39, exec_lo
	v_and_b32_sdwa v3, v80, v3 dst_sel:DWORD dst_unused:UNUSED_PAD src0_sel:WORD_1 src1_sel:DWORD
	v_and_b32_e32 v6, 0xff, v6
	v_mul_lo_u16 v3, 0xcd, v3
	v_mul_lo_u16 v6, 0xcd, v6
	v_lshrrev_b16 v3, 11, v3
	v_lshrrev_b16 v6, 11, v6
	v_cmpx_lt_u16_e64 v3, v6
; %bb.2088:
	v_perm_b32 v80, v80, v80, 0x7050604
	v_perm_b32 v16, v16, v16, 0x3060504
; %bb.2089:
	s_or_b32 exec_lo, exec_lo, s39
	s_or_b32 exec_lo, exec_lo, s13
	s_and_saveexec_b32 s13, s94
	s_cbranch_execz .LBB691_1920
.LBB691_2090:
	v_and_b32_e32 v3, 0xff, v16
	v_lshrrev_b32_e32 v6, 24, v80
	s_mov_b32 s39, exec_lo
	v_mul_lo_u16 v3, 0xcd, v3
	v_mul_lo_u16 v6, 0xcd, v6
	v_lshrrev_b16 v3, 11, v3
	v_lshrrev_b16 v6, 11, v6
	v_cmpx_lt_u16_e64 v3, v6
; %bb.2091:
	v_perm_b32 v3, v80, v16, 0x3020107
	v_perm_b32 v80, v80, v16, 0x60504
	v_mov_b32_e32 v16, v3
; %bb.2092:
	s_or_b32 exec_lo, exec_lo, s39
	s_or_b32 exec_lo, exec_lo, s13
	s_and_saveexec_b32 s13, s95
	s_cbranch_execz .LBB691_1921
.LBB691_2093:
	v_mov_b32_e32 v3, 0xff
	v_lshrrev_b32_e32 v6, 8, v16
	s_mov_b32 s39, exec_lo
	v_and_b32_sdwa v3, v16, v3 dst_sel:DWORD dst_unused:UNUSED_PAD src0_sel:WORD_1 src1_sel:DWORD
	v_and_b32_e32 v6, 0xff, v6
	v_mul_lo_u16 v3, 0xcd, v3
	v_mul_lo_u16 v6, 0xcd, v6
	v_lshrrev_b16 v3, 11, v3
	v_lshrrev_b16 v6, 11, v6
	v_cmpx_lt_u16_e64 v3, v6
; %bb.2094:
	v_perm_b32 v16, v16, v16, 0x7050604
; %bb.2095:
	s_or_b32 exec_lo, exec_lo, s39
	s_or_b32 exec_lo, exec_lo, s13
	s_and_saveexec_b32 s13, vcc_hi
	s_cbranch_execz .LBB691_1922
.LBB691_2096:
	v_and_b32_e32 v3, 0xff, v71
	v_lshrrev_b32_e32 v6, 24, v16
	s_mov_b32 s39, exec_lo
	v_mul_lo_u16 v3, 0xcd, v3
	v_mul_lo_u16 v6, 0xcd, v6
	v_lshrrev_b16 v3, 11, v3
	v_lshrrev_b16 v6, 11, v6
	v_cmpx_lt_u16_e64 v3, v6
; %bb.2097:
	v_perm_b32 v3, v16, v71, 0x3020107
	v_perm_b32 v16, v16, v71, 0x60504
	;; [unrolled: 1-line block ×3, first 2 shown]
	v_mov_b32_e32 v71, v3
; %bb.2098:
	s_or_b32 exec_lo, exec_lo, s39
	s_or_b32 exec_lo, exec_lo, s13
	s_and_saveexec_b32 s13, s30
	s_cbranch_execz .LBB691_1923
.LBB691_2099:
	v_mov_b32_e32 v3, 0xff
	v_lshrrev_b32_e32 v6, 8, v71
	s_mov_b32 s39, exec_lo
	v_and_b32_sdwa v3, v71, v3 dst_sel:DWORD dst_unused:UNUSED_PAD src0_sel:WORD_1 src1_sel:DWORD
	v_and_b32_e32 v6, 0xff, v6
	v_mul_lo_u16 v3, 0xcd, v3
	v_mul_lo_u16 v6, 0xcd, v6
	v_lshrrev_b16 v3, 11, v3
	v_lshrrev_b16 v6, 11, v6
	v_cmpx_lt_u16_e64 v3, v6
; %bb.2100:
	v_perm_b32 v71, v71, v71, 0x7050604
	v_perm_b32 v69, v69, v69, 0x3060504
; %bb.2101:
	s_or_b32 exec_lo, exec_lo, s39
	s_or_b32 exec_lo, exec_lo, s13
	s_and_saveexec_b32 s13, s31
	s_cbranch_execz .LBB691_1924
.LBB691_2102:
	v_and_b32_e32 v3, 0xff, v69
	v_lshrrev_b32_e32 v6, 24, v71
	s_mov_b32 s39, exec_lo
	v_mul_lo_u16 v3, 0xcd, v3
	v_mul_lo_u16 v6, 0xcd, v6
	v_lshrrev_b16 v3, 11, v3
	v_lshrrev_b16 v6, 11, v6
	v_cmpx_lt_u16_e64 v3, v6
; %bb.2103:
	v_perm_b32 v3, v71, v69, 0x3020107
	v_perm_b32 v71, v71, v69, 0x60504
	v_mov_b32_e32 v69, v3
; %bb.2104:
	s_or_b32 exec_lo, exec_lo, s39
	s_or_b32 exec_lo, exec_lo, s13
	s_and_saveexec_b32 s13, s34
	s_cbranch_execz .LBB691_1925
.LBB691_2105:
	v_mov_b32_e32 v3, 0xff
	v_lshrrev_b32_e32 v6, 8, v69
	s_mov_b32 s39, exec_lo
	v_and_b32_sdwa v3, v69, v3 dst_sel:DWORD dst_unused:UNUSED_PAD src0_sel:WORD_1 src1_sel:DWORD
	v_and_b32_e32 v6, 0xff, v6
	v_mul_lo_u16 v3, 0xcd, v3
	v_mul_lo_u16 v6, 0xcd, v6
	v_lshrrev_b16 v3, 11, v3
	v_lshrrev_b16 v6, 11, v6
	v_cmpx_lt_u16_e64 v3, v6
; %bb.2106:
	v_perm_b32 v69, v69, v69, 0x7050604
; %bb.2107:
	s_or_b32 exec_lo, exec_lo, s39
	s_or_b32 exec_lo, exec_lo, s13
	s_and_saveexec_b32 s13, s91
	s_cbranch_execz .LBB691_1926
.LBB691_2108:
	v_lshrrev_b32_e32 v3, 8, v14
	v_and_b32_e32 v6, 0xff, v14
	s_mov_b32 s39, exec_lo
	v_and_b32_e32 v3, 0xff, v3
	v_mul_lo_u16 v6, 0xcd, v6
	v_mul_lo_u16 v3, 0xcd, v3
	v_lshrrev_b16 v6, 11, v6
	v_lshrrev_b16 v3, 11, v3
	v_cmpx_lt_u16_e64 v3, v6
; %bb.2109:
	v_perm_b32 v14, v14, v14, 0x7060405
	v_perm_b32 v2, v2, v2, 0x3060504
; %bb.2110:
	s_or_b32 exec_lo, exec_lo, s39
	s_or_b32 exec_lo, exec_lo, s13
	s_and_saveexec_b32 s13, s88
	s_cbranch_execz .LBB691_1927
.LBB691_2111:
	v_mov_b32_e32 v3, 0xff
	v_lshrrev_b32_e32 v6, 24, v14
	s_mov_b32 s39, exec_lo
	v_and_b32_sdwa v3, v14, v3 dst_sel:DWORD dst_unused:UNUSED_PAD src0_sel:WORD_1 src1_sel:DWORD
	v_mul_lo_u16 v6, 0xcd, v6
	v_mul_lo_u16 v3, 0xcd, v3
	v_lshrrev_b16 v6, 11, v6
	v_lshrrev_b16 v3, 11, v3
	v_cmpx_lt_u16_e64 v6, v3
; %bb.2112:
	v_perm_b32 v14, v14, v14, 0x6070504
	v_perm_b32 v2, v2, v2, 0x3060504
; %bb.2113:
	s_or_b32 exec_lo, exec_lo, s39
	s_or_b32 exec_lo, exec_lo, s13
	s_and_saveexec_b32 s13, s79
	s_cbranch_execz .LBB691_1928
.LBB691_2114:
	v_lshrrev_b32_e32 v3, 8, v2
	v_and_b32_e32 v6, 0xff, v2
	s_mov_b32 s39, exec_lo
	v_and_b32_e32 v3, 0xff, v3
	v_mul_lo_u16 v6, 0xcd, v6
	v_mul_lo_u16 v3, 0xcd, v3
	v_lshrrev_b16 v6, 11, v6
	v_lshrrev_b16 v3, 11, v3
	v_cmpx_lt_u16_e64 v3, v6
; %bb.2115:
	v_perm_b32 v2, v2, v2, 0x7060405
; %bb.2116:
	s_or_b32 exec_lo, exec_lo, s39
	s_or_b32 exec_lo, exec_lo, s13
	s_and_saveexec_b32 s13, s78
	s_cbranch_execz .LBB691_1929
.LBB691_2117:
	v_mov_b32_e32 v3, 0xff
	v_lshrrev_b32_e32 v6, 24, v2
	s_mov_b32 s39, exec_lo
	v_and_b32_sdwa v3, v2, v3 dst_sel:DWORD dst_unused:UNUSED_PAD src0_sel:WORD_1 src1_sel:DWORD
	v_mul_lo_u16 v6, 0xcd, v6
	v_mul_lo_u16 v3, 0xcd, v3
	v_lshrrev_b16 v6, 11, v6
	v_lshrrev_b16 v3, 11, v3
	v_cmpx_lt_u16_e64 v6, v3
; %bb.2118:
	v_perm_b32 v2, v2, v2, 0x6070504
; %bb.2119:
	s_or_b32 exec_lo, exec_lo, s39
	s_or_b32 exec_lo, exec_lo, s13
	s_and_saveexec_b32 s13, s76
	s_cbranch_execz .LBB691_1930
.LBB691_2120:
	v_lshrrev_b32_e32 v3, 8, v68
	v_and_b32_e32 v6, 0xff, v68
	s_mov_b32 s39, exec_lo
	v_and_b32_e32 v3, 0xff, v3
	v_mul_lo_u16 v6, 0xcd, v6
	v_mul_lo_u16 v3, 0xcd, v3
	v_lshrrev_b16 v6, 11, v6
	v_lshrrev_b16 v3, 11, v3
	v_cmpx_lt_u16_e64 v3, v6
; %bb.2121:
	v_perm_b32 v68, v68, v68, 0x7060405
	v_perm_b32 v15, v15, v15, 0x3060504
; %bb.2122:
	s_or_b32 exec_lo, exec_lo, s39
	s_or_b32 exec_lo, exec_lo, s13
	s_and_saveexec_b32 s13, s75
	s_cbranch_execz .LBB691_1931
.LBB691_2123:
	v_mov_b32_e32 v3, 0xff
	v_lshrrev_b32_e32 v6, 24, v68
	s_mov_b32 s39, exec_lo
	v_and_b32_sdwa v3, v68, v3 dst_sel:DWORD dst_unused:UNUSED_PAD src0_sel:WORD_1 src1_sel:DWORD
	v_mul_lo_u16 v6, 0xcd, v6
	v_mul_lo_u16 v3, 0xcd, v3
	v_lshrrev_b16 v6, 11, v6
	v_lshrrev_b16 v3, 11, v3
	v_cmpx_lt_u16_e64 v6, v3
; %bb.2124:
	v_perm_b32 v68, v68, v68, 0x6070504
	v_perm_b32 v15, v15, v15, 0x3060504
; %bb.2125:
	s_or_b32 exec_lo, exec_lo, s39
	s_or_b32 exec_lo, exec_lo, s13
	s_and_saveexec_b32 s13, s74
	s_cbranch_execz .LBB691_1932
.LBB691_2126:
	v_lshrrev_b32_e32 v3, 8, v15
	v_and_b32_e32 v6, 0xff, v15
	s_mov_b32 s39, exec_lo
	v_and_b32_e32 v3, 0xff, v3
	v_mul_lo_u16 v6, 0xcd, v6
	v_mul_lo_u16 v3, 0xcd, v3
	v_lshrrev_b16 v6, 11, v6
	v_lshrrev_b16 v3, 11, v3
	v_cmpx_lt_u16_e64 v3, v6
; %bb.2127:
	v_perm_b32 v15, v15, v15, 0x7060405
; %bb.2128:
	s_or_b32 exec_lo, exec_lo, s39
	s_or_b32 exec_lo, exec_lo, s13
	s_and_saveexec_b32 s13, s73
	s_cbranch_execz .LBB691_1933
.LBB691_2129:
	v_mov_b32_e32 v3, 0xff
	v_lshrrev_b32_e32 v6, 24, v15
	s_mov_b32 s39, exec_lo
	v_and_b32_sdwa v3, v15, v3 dst_sel:DWORD dst_unused:UNUSED_PAD src0_sel:WORD_1 src1_sel:DWORD
	v_mul_lo_u16 v6, 0xcd, v6
	v_mul_lo_u16 v3, 0xcd, v3
	v_lshrrev_b16 v6, 11, v6
	v_lshrrev_b16 v3, 11, v3
	v_cmpx_lt_u16_e64 v6, v3
; %bb.2130:
	v_perm_b32 v15, v15, v15, 0x6070504
; %bb.2131:
	s_or_b32 exec_lo, exec_lo, s39
	s_or_b32 exec_lo, exec_lo, s13
	s_and_saveexec_b32 s13, s72
	s_cbranch_execz .LBB691_1934
.LBB691_2132:
	v_lshrrev_b32_e32 v3, 8, v80
	v_and_b32_e32 v6, 0xff, v80
	s_mov_b32 s39, exec_lo
	v_and_b32_e32 v3, 0xff, v3
	v_mul_lo_u16 v6, 0xcd, v6
	v_mul_lo_u16 v3, 0xcd, v3
	v_lshrrev_b16 v6, 11, v6
	v_lshrrev_b16 v3, 11, v3
	v_cmpx_lt_u16_e64 v3, v6
; %bb.2133:
	v_perm_b32 v80, v80, v80, 0x7060405
	v_perm_b32 v16, v16, v16, 0x3060504
; %bb.2134:
	s_or_b32 exec_lo, exec_lo, s39
	s_or_b32 exec_lo, exec_lo, s13
	s_and_saveexec_b32 s13, s62
	s_cbranch_execz .LBB691_1935
.LBB691_2135:
	v_mov_b32_e32 v3, 0xff
	v_lshrrev_b32_e32 v6, 24, v80
	s_mov_b32 s39, exec_lo
	v_and_b32_sdwa v3, v80, v3 dst_sel:DWORD dst_unused:UNUSED_PAD src0_sel:WORD_1 src1_sel:DWORD
	v_mul_lo_u16 v6, 0xcd, v6
	v_mul_lo_u16 v3, 0xcd, v3
	v_lshrrev_b16 v6, 11, v6
	v_lshrrev_b16 v3, 11, v3
	v_cmpx_lt_u16_e64 v6, v3
; %bb.2136:
	v_perm_b32 v80, v80, v80, 0x6070504
	v_perm_b32 v16, v16, v16, 0x3060504
; %bb.2137:
	s_or_b32 exec_lo, exec_lo, s39
	s_or_b32 exec_lo, exec_lo, s13
	s_and_saveexec_b32 s13, s61
	s_cbranch_execz .LBB691_1936
.LBB691_2138:
	v_lshrrev_b32_e32 v3, 8, v16
	v_and_b32_e32 v6, 0xff, v16
	s_mov_b32 s39, exec_lo
	v_and_b32_e32 v3, 0xff, v3
	v_mul_lo_u16 v6, 0xcd, v6
	v_mul_lo_u16 v3, 0xcd, v3
	v_lshrrev_b16 v6, 11, v6
	v_lshrrev_b16 v3, 11, v3
	v_cmpx_lt_u16_e64 v3, v6
; %bb.2139:
	v_perm_b32 v16, v16, v16, 0x7060405
; %bb.2140:
	s_or_b32 exec_lo, exec_lo, s39
	s_or_b32 exec_lo, exec_lo, s13
	s_and_saveexec_b32 s13, s60
	s_cbranch_execz .LBB691_1937
.LBB691_2141:
	v_mov_b32_e32 v3, 0xff
	v_lshrrev_b32_e32 v6, 24, v16
	s_mov_b32 s39, exec_lo
	v_and_b32_sdwa v3, v16, v3 dst_sel:DWORD dst_unused:UNUSED_PAD src0_sel:WORD_1 src1_sel:DWORD
	v_mul_lo_u16 v6, 0xcd, v6
	v_mul_lo_u16 v3, 0xcd, v3
	v_lshrrev_b16 v6, 11, v6
	v_lshrrev_b16 v3, 11, v3
	v_cmpx_lt_u16_e64 v6, v3
; %bb.2142:
	v_perm_b32 v16, v16, v16, 0x6070504
; %bb.2143:
	s_or_b32 exec_lo, exec_lo, s39
	s_or_b32 exec_lo, exec_lo, s13
	s_and_saveexec_b32 s13, s59
	s_cbranch_execz .LBB691_1938
.LBB691_2144:
	v_lshrrev_b32_e32 v3, 8, v71
	v_and_b32_e32 v6, 0xff, v71
	s_mov_b32 s39, exec_lo
	v_and_b32_e32 v3, 0xff, v3
	v_mul_lo_u16 v6, 0xcd, v6
	v_mul_lo_u16 v3, 0xcd, v3
	v_lshrrev_b16 v6, 11, v6
	v_lshrrev_b16 v3, 11, v3
	v_cmpx_lt_u16_e64 v3, v6
; %bb.2145:
	v_perm_b32 v71, v71, v71, 0x7060405
	v_perm_b32 v69, v69, v69, 0x3060504
; %bb.2146:
	s_or_b32 exec_lo, exec_lo, s39
	s_or_b32 exec_lo, exec_lo, s13
	s_and_saveexec_b32 s13, s57
	s_cbranch_execz .LBB691_1939
.LBB691_2147:
	v_mov_b32_e32 v3, 0xff
	v_lshrrev_b32_e32 v6, 24, v71
	s_mov_b32 s39, exec_lo
	v_and_b32_sdwa v3, v71, v3 dst_sel:DWORD dst_unused:UNUSED_PAD src0_sel:WORD_1 src1_sel:DWORD
	v_mul_lo_u16 v6, 0xcd, v6
	v_mul_lo_u16 v3, 0xcd, v3
	v_lshrrev_b16 v6, 11, v6
	v_lshrrev_b16 v3, 11, v3
	v_cmpx_lt_u16_e64 v6, v3
; %bb.2148:
	v_perm_b32 v71, v71, v71, 0x6070504
	v_perm_b32 v69, v69, v69, 0x3060504
; %bb.2149:
	s_or_b32 exec_lo, exec_lo, s39
	s_or_b32 exec_lo, exec_lo, s13
	s_and_saveexec_b32 s13, s56
	s_cbranch_execz .LBB691_1940
.LBB691_2150:
	v_lshrrev_b32_e32 v3, 8, v69
	v_and_b32_e32 v6, 0xff, v69
	s_mov_b32 s39, exec_lo
	v_and_b32_e32 v3, 0xff, v3
	v_mul_lo_u16 v6, 0xcd, v6
	v_mul_lo_u16 v3, 0xcd, v3
	v_lshrrev_b16 v6, 11, v6
	v_lshrrev_b16 v3, 11, v3
	v_cmpx_lt_u16_e64 v3, v6
; %bb.2151:
	v_perm_b32 v69, v69, v69, 0x7060405
; %bb.2152:
	s_or_b32 exec_lo, exec_lo, s39
	s_or_b32 exec_lo, exec_lo, s13
	s_and_saveexec_b32 s13, s9
	s_cbranch_execz .LBB691_1941
.LBB691_2153:
	v_mov_b32_e32 v3, 0xff
	v_lshrrev_b32_e32 v6, 24, v69
	s_mov_b32 s39, exec_lo
	v_and_b32_sdwa v3, v69, v3 dst_sel:DWORD dst_unused:UNUSED_PAD src0_sel:WORD_1 src1_sel:DWORD
	v_mul_lo_u16 v6, 0xcd, v6
	v_mul_lo_u16 v3, 0xcd, v3
	v_lshrrev_b16 v6, 11, v6
	v_lshrrev_b16 v3, 11, v3
	v_cmpx_lt_u16_e64 v6, v3
; %bb.2154:
	v_perm_b32 v69, v69, v69, 0x6070504
; %bb.2155:
	s_or_b32 exec_lo, exec_lo, s39
	s_or_b32 exec_lo, exec_lo, s13
	s_and_saveexec_b32 s13, vcc_lo
	s_cbranch_execz .LBB691_1942
.LBB691_2156:
	v_mov_b32_e32 v3, 0xff
	v_lshrrev_b32_e32 v6, 8, v14
	s_mov_b32 s39, exec_lo
	v_and_b32_sdwa v3, v14, v3 dst_sel:DWORD dst_unused:UNUSED_PAD src0_sel:WORD_1 src1_sel:DWORD
	v_and_b32_e32 v6, 0xff, v6
	v_mul_lo_u16 v3, 0xcd, v3
	v_mul_lo_u16 v6, 0xcd, v6
	v_lshrrev_b16 v3, 11, v3
	v_lshrrev_b16 v6, 11, v6
	v_cmpx_lt_u16_e64 v3, v6
; %bb.2157:
	v_perm_b32 v14, v14, v14, 0x7050604
	v_perm_b32 v2, v2, v2, 0x3060504
; %bb.2158:
	s_or_b32 exec_lo, exec_lo, s39
	s_or_b32 exec_lo, exec_lo, s13
	s_and_saveexec_b32 s13, s8
	s_cbranch_execz .LBB691_1943
.LBB691_2159:
	v_and_b32_e32 v3, 0xff, v2
	v_lshrrev_b32_e32 v6, 24, v14
	s_mov_b32 s39, exec_lo
	v_mul_lo_u16 v3, 0xcd, v3
	v_mul_lo_u16 v6, 0xcd, v6
	v_lshrrev_b16 v3, 11, v3
	v_lshrrev_b16 v6, 11, v6
	v_cmpx_lt_u16_e64 v3, v6
; %bb.2160:
	v_perm_b32 v3, v14, v2, 0x3020107
	v_perm_b32 v14, v14, v2, 0x60504
	v_mov_b32_e32 v2, v3
; %bb.2161:
	s_or_b32 exec_lo, exec_lo, s39
	s_or_b32 exec_lo, exec_lo, s13
	s_and_saveexec_b32 s13, s58
	s_cbranch_execz .LBB691_1944
.LBB691_2162:
	v_mov_b32_e32 v3, 0xff
	v_lshrrev_b32_e32 v6, 8, v2
	s_mov_b32 s39, exec_lo
	v_and_b32_sdwa v3, v2, v3 dst_sel:DWORD dst_unused:UNUSED_PAD src0_sel:WORD_1 src1_sel:DWORD
	v_and_b32_e32 v6, 0xff, v6
	v_mul_lo_u16 v3, 0xcd, v3
	v_mul_lo_u16 v6, 0xcd, v6
	v_lshrrev_b16 v3, 11, v3
	v_lshrrev_b16 v6, 11, v6
	v_cmpx_lt_u16_e64 v3, v6
; %bb.2163:
	v_perm_b32 v2, v2, v2, 0x7050604
; %bb.2164:
	s_or_b32 exec_lo, exec_lo, s39
	s_or_b32 exec_lo, exec_lo, s13
	s_and_saveexec_b32 s13, s63
	s_cbranch_execz .LBB691_1945
.LBB691_2165:
	v_and_b32_e32 v3, 0xff, v68
	v_lshrrev_b32_e32 v6, 24, v2
	s_mov_b32 s39, exec_lo
	v_mul_lo_u16 v3, 0xcd, v3
	v_mul_lo_u16 v6, 0xcd, v6
	v_lshrrev_b16 v3, 11, v3
	v_lshrrev_b16 v6, 11, v6
	v_cmpx_lt_u16_e64 v3, v6
; %bb.2166:
	v_perm_b32 v3, v2, v68, 0x3020107
	v_perm_b32 v2, v2, v68, 0x60504
	;; [unrolled: 1-line block ×3, first 2 shown]
	v_mov_b32_e32 v68, v3
; %bb.2167:
	s_or_b32 exec_lo, exec_lo, s39
	s_or_b32 exec_lo, exec_lo, s13
	s_and_saveexec_b32 s13, s77
	s_cbranch_execz .LBB691_1946
.LBB691_2168:
	v_mov_b32_e32 v3, 0xff
	v_lshrrev_b32_e32 v6, 8, v68
	s_mov_b32 s39, exec_lo
	v_and_b32_sdwa v3, v68, v3 dst_sel:DWORD dst_unused:UNUSED_PAD src0_sel:WORD_1 src1_sel:DWORD
	v_and_b32_e32 v6, 0xff, v6
	v_mul_lo_u16 v3, 0xcd, v3
	v_mul_lo_u16 v6, 0xcd, v6
	v_lshrrev_b16 v3, 11, v3
	v_lshrrev_b16 v6, 11, v6
	v_cmpx_lt_u16_e64 v3, v6
; %bb.2169:
	v_perm_b32 v68, v68, v68, 0x7050604
	v_perm_b32 v15, v15, v15, 0x3060504
; %bb.2170:
	s_or_b32 exec_lo, exec_lo, s39
	s_or_b32 exec_lo, exec_lo, s13
	s_and_saveexec_b32 s13, s89
	s_cbranch_execz .LBB691_1947
.LBB691_2171:
	v_and_b32_e32 v3, 0xff, v15
	v_lshrrev_b32_e32 v6, 24, v68
	s_mov_b32 s39, exec_lo
	v_mul_lo_u16 v3, 0xcd, v3
	v_mul_lo_u16 v6, 0xcd, v6
	v_lshrrev_b16 v3, 11, v3
	v_lshrrev_b16 v6, 11, v6
	v_cmpx_lt_u16_e64 v3, v6
; %bb.2172:
	v_perm_b32 v3, v68, v15, 0x3020107
	v_perm_b32 v68, v68, v15, 0x60504
	v_mov_b32_e32 v15, v3
; %bb.2173:
	s_or_b32 exec_lo, exec_lo, s39
	s_or_b32 exec_lo, exec_lo, s13
	s_and_saveexec_b32 s13, s90
	s_cbranch_execz .LBB691_1948
.LBB691_2174:
	v_mov_b32_e32 v3, 0xff
	v_lshrrev_b32_e32 v6, 8, v15
	s_mov_b32 s39, exec_lo
	v_and_b32_sdwa v3, v15, v3 dst_sel:DWORD dst_unused:UNUSED_PAD src0_sel:WORD_1 src1_sel:DWORD
	v_and_b32_e32 v6, 0xff, v6
	v_mul_lo_u16 v3, 0xcd, v3
	v_mul_lo_u16 v6, 0xcd, v6
	v_lshrrev_b16 v3, 11, v3
	v_lshrrev_b16 v6, 11, v6
	v_cmpx_lt_u16_e64 v3, v6
; %bb.2175:
	v_perm_b32 v15, v15, v15, 0x7050604
; %bb.2176:
	s_or_b32 exec_lo, exec_lo, s39
	s_or_b32 exec_lo, exec_lo, s13
	s_and_saveexec_b32 s13, s92
	s_cbranch_execz .LBB691_1949
.LBB691_2177:
	v_and_b32_e32 v3, 0xff, v80
	v_lshrrev_b32_e32 v6, 24, v15
	s_mov_b32 s39, exec_lo
	v_mul_lo_u16 v3, 0xcd, v3
	v_mul_lo_u16 v6, 0xcd, v6
	v_lshrrev_b16 v3, 11, v3
	v_lshrrev_b16 v6, 11, v6
	v_cmpx_lt_u16_e64 v3, v6
; %bb.2178:
	v_perm_b32 v3, v15, v80, 0x3020107
	v_perm_b32 v15, v15, v80, 0x60504
	;; [unrolled: 1-line block ×3, first 2 shown]
	v_mov_b32_e32 v80, v3
; %bb.2179:
	s_or_b32 exec_lo, exec_lo, s39
	s_or_b32 exec_lo, exec_lo, s13
	s_and_saveexec_b32 s13, s93
	s_cbranch_execz .LBB691_1950
.LBB691_2180:
	v_mov_b32_e32 v3, 0xff
	v_lshrrev_b32_e32 v6, 8, v80
	s_mov_b32 s39, exec_lo
	v_and_b32_sdwa v3, v80, v3 dst_sel:DWORD dst_unused:UNUSED_PAD src0_sel:WORD_1 src1_sel:DWORD
	v_and_b32_e32 v6, 0xff, v6
	v_mul_lo_u16 v3, 0xcd, v3
	v_mul_lo_u16 v6, 0xcd, v6
	v_lshrrev_b16 v3, 11, v3
	v_lshrrev_b16 v6, 11, v6
	v_cmpx_lt_u16_e64 v3, v6
; %bb.2181:
	v_perm_b32 v80, v80, v80, 0x7050604
	v_perm_b32 v16, v16, v16, 0x3060504
; %bb.2182:
	s_or_b32 exec_lo, exec_lo, s39
	s_or_b32 exec_lo, exec_lo, s13
	s_and_saveexec_b32 s13, s94
	s_cbranch_execz .LBB691_1951
.LBB691_2183:
	v_and_b32_e32 v3, 0xff, v16
	v_lshrrev_b32_e32 v6, 24, v80
	s_mov_b32 s39, exec_lo
	v_mul_lo_u16 v3, 0xcd, v3
	v_mul_lo_u16 v6, 0xcd, v6
	v_lshrrev_b16 v3, 11, v3
	v_lshrrev_b16 v6, 11, v6
	v_cmpx_lt_u16_e64 v3, v6
; %bb.2184:
	v_perm_b32 v3, v80, v16, 0x3020107
	v_perm_b32 v80, v80, v16, 0x60504
	v_mov_b32_e32 v16, v3
; %bb.2185:
	s_or_b32 exec_lo, exec_lo, s39
	s_or_b32 exec_lo, exec_lo, s13
	s_and_saveexec_b32 s13, s95
	s_cbranch_execz .LBB691_1952
.LBB691_2186:
	v_mov_b32_e32 v3, 0xff
	v_lshrrev_b32_e32 v6, 8, v16
	s_mov_b32 s39, exec_lo
	v_and_b32_sdwa v3, v16, v3 dst_sel:DWORD dst_unused:UNUSED_PAD src0_sel:WORD_1 src1_sel:DWORD
	v_and_b32_e32 v6, 0xff, v6
	v_mul_lo_u16 v3, 0xcd, v3
	v_mul_lo_u16 v6, 0xcd, v6
	v_lshrrev_b16 v3, 11, v3
	v_lshrrev_b16 v6, 11, v6
	v_cmpx_lt_u16_e64 v3, v6
; %bb.2187:
	v_perm_b32 v16, v16, v16, 0x7050604
; %bb.2188:
	s_or_b32 exec_lo, exec_lo, s39
	s_or_b32 exec_lo, exec_lo, s13
	s_and_saveexec_b32 s13, vcc_hi
	s_cbranch_execz .LBB691_1953
.LBB691_2189:
	v_and_b32_e32 v3, 0xff, v71
	v_lshrrev_b32_e32 v6, 24, v16
	s_mov_b32 s39, exec_lo
	v_mul_lo_u16 v3, 0xcd, v3
	v_mul_lo_u16 v6, 0xcd, v6
	v_lshrrev_b16 v3, 11, v3
	v_lshrrev_b16 v6, 11, v6
	v_cmpx_lt_u16_e64 v3, v6
; %bb.2190:
	v_perm_b32 v3, v16, v71, 0x3020107
	v_perm_b32 v16, v16, v71, 0x60504
	v_perm_b32 v69, v69, v69, 0x3060504
	v_mov_b32_e32 v71, v3
; %bb.2191:
	s_or_b32 exec_lo, exec_lo, s39
	s_or_b32 exec_lo, exec_lo, s13
	s_and_saveexec_b32 s13, s30
	s_cbranch_execz .LBB691_1954
.LBB691_2192:
	v_mov_b32_e32 v3, 0xff
	v_lshrrev_b32_e32 v6, 8, v71
	s_mov_b32 s39, exec_lo
	v_and_b32_sdwa v3, v71, v3 dst_sel:DWORD dst_unused:UNUSED_PAD src0_sel:WORD_1 src1_sel:DWORD
	v_and_b32_e32 v6, 0xff, v6
	v_mul_lo_u16 v3, 0xcd, v3
	v_mul_lo_u16 v6, 0xcd, v6
	v_lshrrev_b16 v3, 11, v3
	v_lshrrev_b16 v6, 11, v6
	v_cmpx_lt_u16_e64 v3, v6
; %bb.2193:
	v_perm_b32 v71, v71, v71, 0x7050604
	v_perm_b32 v69, v69, v69, 0x3060504
; %bb.2194:
	s_or_b32 exec_lo, exec_lo, s39
	s_or_b32 exec_lo, exec_lo, s13
	s_and_saveexec_b32 s13, s31
	s_cbranch_execz .LBB691_1955
.LBB691_2195:
	v_and_b32_e32 v3, 0xff, v69
	v_lshrrev_b32_e32 v6, 24, v71
	s_mov_b32 s39, exec_lo
	v_mul_lo_u16 v3, 0xcd, v3
	v_mul_lo_u16 v6, 0xcd, v6
	v_lshrrev_b16 v3, 11, v3
	v_lshrrev_b16 v6, 11, v6
	v_cmpx_lt_u16_e64 v3, v6
; %bb.2196:
	v_perm_b32 v3, v71, v69, 0x3020107
	v_perm_b32 v71, v71, v69, 0x60504
	v_mov_b32_e32 v69, v3
; %bb.2197:
	s_or_b32 exec_lo, exec_lo, s39
	s_or_b32 exec_lo, exec_lo, s13
	s_and_saveexec_b32 s13, s34
	s_cbranch_execz .LBB691_1956
.LBB691_2198:
	v_mov_b32_e32 v3, 0xff
	v_lshrrev_b32_e32 v6, 8, v69
	s_mov_b32 s39, exec_lo
	v_and_b32_sdwa v3, v69, v3 dst_sel:DWORD dst_unused:UNUSED_PAD src0_sel:WORD_1 src1_sel:DWORD
	v_and_b32_e32 v6, 0xff, v6
	v_mul_lo_u16 v3, 0xcd, v3
	v_mul_lo_u16 v6, 0xcd, v6
	v_lshrrev_b16 v3, 11, v3
	v_lshrrev_b16 v6, 11, v6
	v_cmpx_lt_u16_e64 v3, v6
; %bb.2199:
	v_perm_b32 v69, v69, v69, 0x7050604
; %bb.2200:
	s_or_b32 exec_lo, exec_lo, s39
	s_or_b32 exec_lo, exec_lo, s13
	s_and_saveexec_b32 s13, s91
	s_cbranch_execz .LBB691_1957
.LBB691_2201:
	v_lshrrev_b32_e32 v3, 8, v14
	v_and_b32_e32 v6, 0xff, v14
	s_mov_b32 s39, exec_lo
	v_and_b32_e32 v3, 0xff, v3
	v_mul_lo_u16 v6, 0xcd, v6
	v_mul_lo_u16 v3, 0xcd, v3
	v_lshrrev_b16 v6, 11, v6
	v_lshrrev_b16 v3, 11, v3
	v_cmpx_lt_u16_e64 v3, v6
; %bb.2202:
	v_perm_b32 v14, v14, v14, 0x7060405
	v_perm_b32 v2, v2, v2, 0x3060504
; %bb.2203:
	s_or_b32 exec_lo, exec_lo, s39
	s_or_b32 exec_lo, exec_lo, s13
	s_and_saveexec_b32 s13, s88
	s_cbranch_execz .LBB691_1958
.LBB691_2204:
	v_mov_b32_e32 v3, 0xff
	v_lshrrev_b32_e32 v6, 24, v14
	s_mov_b32 s39, exec_lo
	v_and_b32_sdwa v3, v14, v3 dst_sel:DWORD dst_unused:UNUSED_PAD src0_sel:WORD_1 src1_sel:DWORD
	v_mul_lo_u16 v6, 0xcd, v6
	v_mul_lo_u16 v3, 0xcd, v3
	v_lshrrev_b16 v6, 11, v6
	v_lshrrev_b16 v3, 11, v3
	v_cmpx_lt_u16_e64 v6, v3
; %bb.2205:
	v_perm_b32 v14, v14, v14, 0x6070504
	v_perm_b32 v2, v2, v2, 0x3060504
; %bb.2206:
	s_or_b32 exec_lo, exec_lo, s39
	s_or_b32 exec_lo, exec_lo, s13
	s_and_saveexec_b32 s13, s79
	s_cbranch_execz .LBB691_1959
.LBB691_2207:
	v_lshrrev_b32_e32 v3, 8, v2
	v_and_b32_e32 v6, 0xff, v2
	s_mov_b32 s39, exec_lo
	v_and_b32_e32 v3, 0xff, v3
	v_mul_lo_u16 v6, 0xcd, v6
	v_mul_lo_u16 v3, 0xcd, v3
	v_lshrrev_b16 v6, 11, v6
	v_lshrrev_b16 v3, 11, v3
	v_cmpx_lt_u16_e64 v3, v6
; %bb.2208:
	v_perm_b32 v2, v2, v2, 0x7060405
; %bb.2209:
	s_or_b32 exec_lo, exec_lo, s39
	s_or_b32 exec_lo, exec_lo, s13
	s_and_saveexec_b32 s13, s78
	s_cbranch_execz .LBB691_1960
.LBB691_2210:
	v_mov_b32_e32 v3, 0xff
	v_lshrrev_b32_e32 v6, 24, v2
	s_mov_b32 s39, exec_lo
	v_and_b32_sdwa v3, v2, v3 dst_sel:DWORD dst_unused:UNUSED_PAD src0_sel:WORD_1 src1_sel:DWORD
	v_mul_lo_u16 v6, 0xcd, v6
	v_mul_lo_u16 v3, 0xcd, v3
	v_lshrrev_b16 v6, 11, v6
	v_lshrrev_b16 v3, 11, v3
	v_cmpx_lt_u16_e64 v6, v3
; %bb.2211:
	v_perm_b32 v2, v2, v2, 0x6070504
; %bb.2212:
	s_or_b32 exec_lo, exec_lo, s39
	s_or_b32 exec_lo, exec_lo, s13
	s_and_saveexec_b32 s13, s76
	s_cbranch_execz .LBB691_1961
.LBB691_2213:
	v_lshrrev_b32_e32 v3, 8, v68
	v_and_b32_e32 v6, 0xff, v68
	s_mov_b32 s39, exec_lo
	v_and_b32_e32 v3, 0xff, v3
	v_mul_lo_u16 v6, 0xcd, v6
	v_mul_lo_u16 v3, 0xcd, v3
	v_lshrrev_b16 v6, 11, v6
	v_lshrrev_b16 v3, 11, v3
	v_cmpx_lt_u16_e64 v3, v6
; %bb.2214:
	v_perm_b32 v68, v68, v68, 0x7060405
	v_perm_b32 v15, v15, v15, 0x3060504
; %bb.2215:
	s_or_b32 exec_lo, exec_lo, s39
	s_or_b32 exec_lo, exec_lo, s13
	s_and_saveexec_b32 s13, s75
	s_cbranch_execz .LBB691_1962
.LBB691_2216:
	v_mov_b32_e32 v3, 0xff
	v_lshrrev_b32_e32 v6, 24, v68
	s_mov_b32 s39, exec_lo
	v_and_b32_sdwa v3, v68, v3 dst_sel:DWORD dst_unused:UNUSED_PAD src0_sel:WORD_1 src1_sel:DWORD
	v_mul_lo_u16 v6, 0xcd, v6
	v_mul_lo_u16 v3, 0xcd, v3
	v_lshrrev_b16 v6, 11, v6
	v_lshrrev_b16 v3, 11, v3
	v_cmpx_lt_u16_e64 v6, v3
; %bb.2217:
	v_perm_b32 v68, v68, v68, 0x6070504
	v_perm_b32 v15, v15, v15, 0x3060504
; %bb.2218:
	s_or_b32 exec_lo, exec_lo, s39
	s_or_b32 exec_lo, exec_lo, s13
	s_and_saveexec_b32 s13, s74
	s_cbranch_execz .LBB691_1963
.LBB691_2219:
	v_lshrrev_b32_e32 v3, 8, v15
	v_and_b32_e32 v6, 0xff, v15
	s_mov_b32 s39, exec_lo
	v_and_b32_e32 v3, 0xff, v3
	v_mul_lo_u16 v6, 0xcd, v6
	v_mul_lo_u16 v3, 0xcd, v3
	v_lshrrev_b16 v6, 11, v6
	v_lshrrev_b16 v3, 11, v3
	v_cmpx_lt_u16_e64 v3, v6
; %bb.2220:
	v_perm_b32 v15, v15, v15, 0x7060405
; %bb.2221:
	s_or_b32 exec_lo, exec_lo, s39
	s_or_b32 exec_lo, exec_lo, s13
	s_and_saveexec_b32 s13, s73
	s_cbranch_execz .LBB691_1964
.LBB691_2222:
	v_mov_b32_e32 v3, 0xff
	v_lshrrev_b32_e32 v6, 24, v15
	s_mov_b32 s39, exec_lo
	v_and_b32_sdwa v3, v15, v3 dst_sel:DWORD dst_unused:UNUSED_PAD src0_sel:WORD_1 src1_sel:DWORD
	v_mul_lo_u16 v6, 0xcd, v6
	v_mul_lo_u16 v3, 0xcd, v3
	v_lshrrev_b16 v6, 11, v6
	v_lshrrev_b16 v3, 11, v3
	v_cmpx_lt_u16_e64 v6, v3
; %bb.2223:
	v_perm_b32 v15, v15, v15, 0x6070504
; %bb.2224:
	s_or_b32 exec_lo, exec_lo, s39
	s_or_b32 exec_lo, exec_lo, s13
	s_and_saveexec_b32 s13, s72
	s_cbranch_execz .LBB691_1965
.LBB691_2225:
	v_lshrrev_b32_e32 v3, 8, v80
	v_and_b32_e32 v6, 0xff, v80
	s_mov_b32 s39, exec_lo
	v_and_b32_e32 v3, 0xff, v3
	v_mul_lo_u16 v6, 0xcd, v6
	v_mul_lo_u16 v3, 0xcd, v3
	v_lshrrev_b16 v6, 11, v6
	v_lshrrev_b16 v3, 11, v3
	v_cmpx_lt_u16_e64 v3, v6
; %bb.2226:
	v_perm_b32 v80, v80, v80, 0x7060405
	v_perm_b32 v16, v16, v16, 0x3060504
; %bb.2227:
	s_or_b32 exec_lo, exec_lo, s39
	s_or_b32 exec_lo, exec_lo, s13
	s_and_saveexec_b32 s13, s62
	s_cbranch_execz .LBB691_1966
.LBB691_2228:
	v_mov_b32_e32 v3, 0xff
	v_lshrrev_b32_e32 v6, 24, v80
	s_mov_b32 s39, exec_lo
	v_and_b32_sdwa v3, v80, v3 dst_sel:DWORD dst_unused:UNUSED_PAD src0_sel:WORD_1 src1_sel:DWORD
	v_mul_lo_u16 v6, 0xcd, v6
	v_mul_lo_u16 v3, 0xcd, v3
	v_lshrrev_b16 v6, 11, v6
	v_lshrrev_b16 v3, 11, v3
	v_cmpx_lt_u16_e64 v6, v3
; %bb.2229:
	v_perm_b32 v80, v80, v80, 0x6070504
	v_perm_b32 v16, v16, v16, 0x3060504
; %bb.2230:
	s_or_b32 exec_lo, exec_lo, s39
	s_or_b32 exec_lo, exec_lo, s13
	s_and_saveexec_b32 s13, s61
	s_cbranch_execz .LBB691_1967
.LBB691_2231:
	v_lshrrev_b32_e32 v3, 8, v16
	v_and_b32_e32 v6, 0xff, v16
	s_mov_b32 s39, exec_lo
	v_and_b32_e32 v3, 0xff, v3
	v_mul_lo_u16 v6, 0xcd, v6
	v_mul_lo_u16 v3, 0xcd, v3
	v_lshrrev_b16 v6, 11, v6
	v_lshrrev_b16 v3, 11, v3
	v_cmpx_lt_u16_e64 v3, v6
; %bb.2232:
	v_perm_b32 v16, v16, v16, 0x7060405
; %bb.2233:
	s_or_b32 exec_lo, exec_lo, s39
	s_or_b32 exec_lo, exec_lo, s13
	s_and_saveexec_b32 s13, s60
	s_cbranch_execz .LBB691_1968
.LBB691_2234:
	v_mov_b32_e32 v3, 0xff
	v_lshrrev_b32_e32 v6, 24, v16
	s_mov_b32 s39, exec_lo
	v_and_b32_sdwa v3, v16, v3 dst_sel:DWORD dst_unused:UNUSED_PAD src0_sel:WORD_1 src1_sel:DWORD
	v_mul_lo_u16 v6, 0xcd, v6
	v_mul_lo_u16 v3, 0xcd, v3
	v_lshrrev_b16 v6, 11, v6
	v_lshrrev_b16 v3, 11, v3
	v_cmpx_lt_u16_e64 v6, v3
; %bb.2235:
	v_perm_b32 v16, v16, v16, 0x6070504
; %bb.2236:
	s_or_b32 exec_lo, exec_lo, s39
	s_or_b32 exec_lo, exec_lo, s13
	s_and_saveexec_b32 s13, s59
	s_cbranch_execz .LBB691_1969
.LBB691_2237:
	v_lshrrev_b32_e32 v3, 8, v71
	v_and_b32_e32 v6, 0xff, v71
	s_mov_b32 s39, exec_lo
	v_and_b32_e32 v3, 0xff, v3
	v_mul_lo_u16 v6, 0xcd, v6
	v_mul_lo_u16 v3, 0xcd, v3
	v_lshrrev_b16 v6, 11, v6
	v_lshrrev_b16 v3, 11, v3
	v_cmpx_lt_u16_e64 v3, v6
; %bb.2238:
	v_perm_b32 v71, v71, v71, 0x7060405
	v_perm_b32 v69, v69, v69, 0x3060504
; %bb.2239:
	s_or_b32 exec_lo, exec_lo, s39
	s_or_b32 exec_lo, exec_lo, s13
	s_and_saveexec_b32 s13, s57
	s_cbranch_execz .LBB691_1970
.LBB691_2240:
	v_mov_b32_e32 v3, 0xff
	v_lshrrev_b32_e32 v6, 24, v71
	s_mov_b32 s39, exec_lo
	v_and_b32_sdwa v3, v71, v3 dst_sel:DWORD dst_unused:UNUSED_PAD src0_sel:WORD_1 src1_sel:DWORD
	v_mul_lo_u16 v6, 0xcd, v6
	v_mul_lo_u16 v3, 0xcd, v3
	v_lshrrev_b16 v6, 11, v6
	v_lshrrev_b16 v3, 11, v3
	v_cmpx_lt_u16_e64 v6, v3
; %bb.2241:
	v_perm_b32 v71, v71, v71, 0x6070504
	v_perm_b32 v69, v69, v69, 0x3060504
; %bb.2242:
	s_or_b32 exec_lo, exec_lo, s39
	s_or_b32 exec_lo, exec_lo, s13
	s_and_saveexec_b32 s13, s56
	s_cbranch_execz .LBB691_1971
.LBB691_2243:
	v_lshrrev_b32_e32 v3, 8, v69
	v_and_b32_e32 v6, 0xff, v69
	s_mov_b32 s39, exec_lo
	v_and_b32_e32 v3, 0xff, v3
	v_mul_lo_u16 v6, 0xcd, v6
	v_mul_lo_u16 v3, 0xcd, v3
	v_lshrrev_b16 v6, 11, v6
	v_lshrrev_b16 v3, 11, v3
	v_cmpx_lt_u16_e64 v3, v6
; %bb.2244:
	v_perm_b32 v69, v69, v69, 0x7060405
; %bb.2245:
	s_or_b32 exec_lo, exec_lo, s39
	s_or_b32 exec_lo, exec_lo, s13
	s_and_saveexec_b32 s13, s9
	s_cbranch_execz .LBB691_1972
.LBB691_2246:
	v_mov_b32_e32 v3, 0xff
	v_lshrrev_b32_e32 v6, 24, v69
	s_mov_b32 s39, exec_lo
	v_and_b32_sdwa v3, v69, v3 dst_sel:DWORD dst_unused:UNUSED_PAD src0_sel:WORD_1 src1_sel:DWORD
	v_mul_lo_u16 v6, 0xcd, v6
	v_mul_lo_u16 v3, 0xcd, v3
	v_lshrrev_b16 v6, 11, v6
	v_lshrrev_b16 v3, 11, v3
	v_cmpx_lt_u16_e64 v6, v3
; %bb.2247:
	v_perm_b32 v69, v69, v69, 0x6070504
; %bb.2248:
	s_or_b32 exec_lo, exec_lo, s39
	s_or_b32 exec_lo, exec_lo, s13
	s_and_saveexec_b32 s13, vcc_lo
	s_cbranch_execz .LBB691_1973
.LBB691_2249:
	v_mov_b32_e32 v3, 0xff
	v_lshrrev_b32_e32 v6, 8, v14
	s_mov_b32 s39, exec_lo
	v_and_b32_sdwa v3, v14, v3 dst_sel:DWORD dst_unused:UNUSED_PAD src0_sel:WORD_1 src1_sel:DWORD
	v_and_b32_e32 v6, 0xff, v6
	v_mul_lo_u16 v3, 0xcd, v3
	v_mul_lo_u16 v6, 0xcd, v6
	v_lshrrev_b16 v3, 11, v3
	v_lshrrev_b16 v6, 11, v6
	v_cmpx_lt_u16_e64 v3, v6
; %bb.2250:
	v_perm_b32 v14, v14, v14, 0x7050604
	v_perm_b32 v2, v2, v2, 0x3060504
; %bb.2251:
	s_or_b32 exec_lo, exec_lo, s39
	s_or_b32 exec_lo, exec_lo, s13
	s_and_saveexec_b32 s13, s8
	s_cbranch_execz .LBB691_1974
.LBB691_2252:
	v_and_b32_e32 v3, 0xff, v2
	v_lshrrev_b32_e32 v6, 24, v14
	s_mov_b32 s39, exec_lo
	v_mul_lo_u16 v3, 0xcd, v3
	v_mul_lo_u16 v6, 0xcd, v6
	v_lshrrev_b16 v3, 11, v3
	v_lshrrev_b16 v6, 11, v6
	v_cmpx_lt_u16_e64 v3, v6
; %bb.2253:
	v_perm_b32 v3, v14, v2, 0x3020107
	v_perm_b32 v14, v14, v2, 0x60504
	v_mov_b32_e32 v2, v3
; %bb.2254:
	s_or_b32 exec_lo, exec_lo, s39
	s_or_b32 exec_lo, exec_lo, s13
	s_and_saveexec_b32 s13, s58
	s_cbranch_execz .LBB691_1975
.LBB691_2255:
	v_mov_b32_e32 v3, 0xff
	v_lshrrev_b32_e32 v6, 8, v2
	s_mov_b32 s39, exec_lo
	v_and_b32_sdwa v3, v2, v3 dst_sel:DWORD dst_unused:UNUSED_PAD src0_sel:WORD_1 src1_sel:DWORD
	v_and_b32_e32 v6, 0xff, v6
	v_mul_lo_u16 v3, 0xcd, v3
	v_mul_lo_u16 v6, 0xcd, v6
	v_lshrrev_b16 v3, 11, v3
	v_lshrrev_b16 v6, 11, v6
	v_cmpx_lt_u16_e64 v3, v6
; %bb.2256:
	v_perm_b32 v2, v2, v2, 0x7050604
; %bb.2257:
	s_or_b32 exec_lo, exec_lo, s39
	s_or_b32 exec_lo, exec_lo, s13
	s_and_saveexec_b32 s13, s63
	s_cbranch_execz .LBB691_1976
.LBB691_2258:
	v_and_b32_e32 v3, 0xff, v68
	v_lshrrev_b32_e32 v6, 24, v2
	s_mov_b32 s39, exec_lo
	v_mul_lo_u16 v3, 0xcd, v3
	v_mul_lo_u16 v6, 0xcd, v6
	v_lshrrev_b16 v3, 11, v3
	v_lshrrev_b16 v6, 11, v6
	v_cmpx_lt_u16_e64 v3, v6
; %bb.2259:
	v_perm_b32 v3, v2, v68, 0x3020107
	v_perm_b32 v2, v2, v68, 0x60504
	v_perm_b32 v15, v15, v15, 0x3060504
	v_mov_b32_e32 v68, v3
; %bb.2260:
	s_or_b32 exec_lo, exec_lo, s39
	s_or_b32 exec_lo, exec_lo, s13
	s_and_saveexec_b32 s13, s77
	s_cbranch_execz .LBB691_1977
.LBB691_2261:
	v_mov_b32_e32 v3, 0xff
	v_lshrrev_b32_e32 v6, 8, v68
	s_mov_b32 s39, exec_lo
	v_and_b32_sdwa v3, v68, v3 dst_sel:DWORD dst_unused:UNUSED_PAD src0_sel:WORD_1 src1_sel:DWORD
	v_and_b32_e32 v6, 0xff, v6
	v_mul_lo_u16 v3, 0xcd, v3
	v_mul_lo_u16 v6, 0xcd, v6
	v_lshrrev_b16 v3, 11, v3
	v_lshrrev_b16 v6, 11, v6
	v_cmpx_lt_u16_e64 v3, v6
; %bb.2262:
	v_perm_b32 v68, v68, v68, 0x7050604
	v_perm_b32 v15, v15, v15, 0x3060504
; %bb.2263:
	s_or_b32 exec_lo, exec_lo, s39
	s_or_b32 exec_lo, exec_lo, s13
	s_and_saveexec_b32 s13, s89
	s_cbranch_execz .LBB691_1978
.LBB691_2264:
	v_and_b32_e32 v3, 0xff, v15
	v_lshrrev_b32_e32 v6, 24, v68
	s_mov_b32 s39, exec_lo
	v_mul_lo_u16 v3, 0xcd, v3
	v_mul_lo_u16 v6, 0xcd, v6
	v_lshrrev_b16 v3, 11, v3
	v_lshrrev_b16 v6, 11, v6
	v_cmpx_lt_u16_e64 v3, v6
; %bb.2265:
	v_perm_b32 v3, v68, v15, 0x3020107
	v_perm_b32 v68, v68, v15, 0x60504
	v_mov_b32_e32 v15, v3
; %bb.2266:
	s_or_b32 exec_lo, exec_lo, s39
	s_or_b32 exec_lo, exec_lo, s13
	s_and_saveexec_b32 s13, s90
	s_cbranch_execz .LBB691_1979
.LBB691_2267:
	v_mov_b32_e32 v3, 0xff
	v_lshrrev_b32_e32 v6, 8, v15
	s_mov_b32 s39, exec_lo
	v_and_b32_sdwa v3, v15, v3 dst_sel:DWORD dst_unused:UNUSED_PAD src0_sel:WORD_1 src1_sel:DWORD
	v_and_b32_e32 v6, 0xff, v6
	v_mul_lo_u16 v3, 0xcd, v3
	v_mul_lo_u16 v6, 0xcd, v6
	v_lshrrev_b16 v3, 11, v3
	v_lshrrev_b16 v6, 11, v6
	v_cmpx_lt_u16_e64 v3, v6
; %bb.2268:
	v_perm_b32 v15, v15, v15, 0x7050604
; %bb.2269:
	s_or_b32 exec_lo, exec_lo, s39
	s_or_b32 exec_lo, exec_lo, s13
	s_and_saveexec_b32 s13, s92
	s_cbranch_execz .LBB691_1980
.LBB691_2270:
	v_and_b32_e32 v3, 0xff, v80
	v_lshrrev_b32_e32 v6, 24, v15
	s_mov_b32 s39, exec_lo
	v_mul_lo_u16 v3, 0xcd, v3
	v_mul_lo_u16 v6, 0xcd, v6
	v_lshrrev_b16 v3, 11, v3
	v_lshrrev_b16 v6, 11, v6
	v_cmpx_lt_u16_e64 v3, v6
; %bb.2271:
	v_perm_b32 v3, v15, v80, 0x3020107
	v_perm_b32 v15, v15, v80, 0x60504
	;; [unrolled: 1-line block ×3, first 2 shown]
	v_mov_b32_e32 v80, v3
; %bb.2272:
	s_or_b32 exec_lo, exec_lo, s39
	s_or_b32 exec_lo, exec_lo, s13
	s_and_saveexec_b32 s13, s93
	s_cbranch_execz .LBB691_1981
.LBB691_2273:
	v_mov_b32_e32 v3, 0xff
	v_lshrrev_b32_e32 v6, 8, v80
	s_mov_b32 s39, exec_lo
	v_and_b32_sdwa v3, v80, v3 dst_sel:DWORD dst_unused:UNUSED_PAD src0_sel:WORD_1 src1_sel:DWORD
	v_and_b32_e32 v6, 0xff, v6
	v_mul_lo_u16 v3, 0xcd, v3
	v_mul_lo_u16 v6, 0xcd, v6
	v_lshrrev_b16 v3, 11, v3
	v_lshrrev_b16 v6, 11, v6
	v_cmpx_lt_u16_e64 v3, v6
; %bb.2274:
	v_perm_b32 v80, v80, v80, 0x7050604
	v_perm_b32 v16, v16, v16, 0x3060504
; %bb.2275:
	s_or_b32 exec_lo, exec_lo, s39
	s_or_b32 exec_lo, exec_lo, s13
	s_and_saveexec_b32 s13, s94
	s_cbranch_execz .LBB691_1982
.LBB691_2276:
	v_and_b32_e32 v3, 0xff, v16
	v_lshrrev_b32_e32 v6, 24, v80
	s_mov_b32 s39, exec_lo
	v_mul_lo_u16 v3, 0xcd, v3
	v_mul_lo_u16 v6, 0xcd, v6
	v_lshrrev_b16 v3, 11, v3
	v_lshrrev_b16 v6, 11, v6
	v_cmpx_lt_u16_e64 v3, v6
; %bb.2277:
	v_perm_b32 v3, v80, v16, 0x3020107
	v_perm_b32 v80, v80, v16, 0x60504
	v_mov_b32_e32 v16, v3
; %bb.2278:
	s_or_b32 exec_lo, exec_lo, s39
	s_or_b32 exec_lo, exec_lo, s13
	s_and_saveexec_b32 s13, s95
	s_cbranch_execz .LBB691_1983
.LBB691_2279:
	v_mov_b32_e32 v3, 0xff
	v_lshrrev_b32_e32 v6, 8, v16
	s_mov_b32 s39, exec_lo
	v_and_b32_sdwa v3, v16, v3 dst_sel:DWORD dst_unused:UNUSED_PAD src0_sel:WORD_1 src1_sel:DWORD
	v_and_b32_e32 v6, 0xff, v6
	v_mul_lo_u16 v3, 0xcd, v3
	v_mul_lo_u16 v6, 0xcd, v6
	v_lshrrev_b16 v3, 11, v3
	v_lshrrev_b16 v6, 11, v6
	v_cmpx_lt_u16_e64 v3, v6
; %bb.2280:
	v_perm_b32 v16, v16, v16, 0x7050604
; %bb.2281:
	s_or_b32 exec_lo, exec_lo, s39
	s_or_b32 exec_lo, exec_lo, s13
	s_and_saveexec_b32 s13, vcc_hi
	s_cbranch_execz .LBB691_1984
.LBB691_2282:
	v_and_b32_e32 v3, 0xff, v71
	v_lshrrev_b32_e32 v6, 24, v16
	s_mov_b32 s39, exec_lo
	v_mul_lo_u16 v3, 0xcd, v3
	v_mul_lo_u16 v6, 0xcd, v6
	v_lshrrev_b16 v3, 11, v3
	v_lshrrev_b16 v6, 11, v6
	v_cmpx_lt_u16_e64 v3, v6
; %bb.2283:
	v_perm_b32 v3, v16, v71, 0x3020107
	v_perm_b32 v16, v16, v71, 0x60504
	;; [unrolled: 1-line block ×3, first 2 shown]
	v_mov_b32_e32 v71, v3
; %bb.2284:
	s_or_b32 exec_lo, exec_lo, s39
	s_or_b32 exec_lo, exec_lo, s13
	s_and_saveexec_b32 s13, s30
	s_cbranch_execz .LBB691_1985
.LBB691_2285:
	v_mov_b32_e32 v3, 0xff
	v_lshrrev_b32_e32 v6, 8, v71
	s_mov_b32 s39, exec_lo
	v_and_b32_sdwa v3, v71, v3 dst_sel:DWORD dst_unused:UNUSED_PAD src0_sel:WORD_1 src1_sel:DWORD
	v_and_b32_e32 v6, 0xff, v6
	v_mul_lo_u16 v3, 0xcd, v3
	v_mul_lo_u16 v6, 0xcd, v6
	v_lshrrev_b16 v3, 11, v3
	v_lshrrev_b16 v6, 11, v6
	v_cmpx_lt_u16_e64 v3, v6
; %bb.2286:
	v_perm_b32 v71, v71, v71, 0x7050604
	v_perm_b32 v69, v69, v69, 0x3060504
; %bb.2287:
	s_or_b32 exec_lo, exec_lo, s39
	s_or_b32 exec_lo, exec_lo, s13
	s_and_saveexec_b32 s13, s31
	s_cbranch_execz .LBB691_1986
.LBB691_2288:
	v_and_b32_e32 v3, 0xff, v69
	v_lshrrev_b32_e32 v6, 24, v71
	s_mov_b32 s39, exec_lo
	v_mul_lo_u16 v3, 0xcd, v3
	v_mul_lo_u16 v6, 0xcd, v6
	v_lshrrev_b16 v3, 11, v3
	v_lshrrev_b16 v6, 11, v6
	v_cmpx_lt_u16_e64 v3, v6
; %bb.2289:
	v_perm_b32 v3, v71, v69, 0x3020107
	v_perm_b32 v71, v71, v69, 0x60504
	v_mov_b32_e32 v69, v3
; %bb.2290:
	s_or_b32 exec_lo, exec_lo, s39
	s_or_b32 exec_lo, exec_lo, s13
	s_and_saveexec_b32 s13, s34
	s_cbranch_execz .LBB691_1987
.LBB691_2291:
	v_mov_b32_e32 v3, 0xff
	v_lshrrev_b32_e32 v6, 8, v69
	s_mov_b32 s39, exec_lo
	v_and_b32_sdwa v3, v69, v3 dst_sel:DWORD dst_unused:UNUSED_PAD src0_sel:WORD_1 src1_sel:DWORD
	v_and_b32_e32 v6, 0xff, v6
	v_mul_lo_u16 v3, 0xcd, v3
	v_mul_lo_u16 v6, 0xcd, v6
	v_lshrrev_b16 v3, 11, v3
	v_lshrrev_b16 v6, 11, v6
	v_cmpx_lt_u16_e64 v3, v6
; %bb.2292:
	v_perm_b32 v69, v69, v69, 0x7050604
; %bb.2293:
	s_or_b32 exec_lo, exec_lo, s39
	s_or_b32 exec_lo, exec_lo, s13
	s_and_saveexec_b32 s13, s91
	s_cbranch_execz .LBB691_1988
.LBB691_2294:
	v_lshrrev_b32_e32 v3, 8, v14
	v_and_b32_e32 v6, 0xff, v14
	s_mov_b32 s39, exec_lo
	v_and_b32_e32 v3, 0xff, v3
	v_mul_lo_u16 v6, 0xcd, v6
	v_mul_lo_u16 v3, 0xcd, v3
	v_lshrrev_b16 v6, 11, v6
	v_lshrrev_b16 v3, 11, v3
	v_cmpx_lt_u16_e64 v3, v6
; %bb.2295:
	v_perm_b32 v14, v14, v14, 0x7060405
	v_perm_b32 v2, v2, v2, 0x3060504
; %bb.2296:
	s_or_b32 exec_lo, exec_lo, s39
	s_or_b32 exec_lo, exec_lo, s13
	s_and_saveexec_b32 s13, s88
	s_cbranch_execz .LBB691_1989
.LBB691_2297:
	v_mov_b32_e32 v3, 0xff
	v_lshrrev_b32_e32 v6, 24, v14
	s_mov_b32 s39, exec_lo
	v_and_b32_sdwa v3, v14, v3 dst_sel:DWORD dst_unused:UNUSED_PAD src0_sel:WORD_1 src1_sel:DWORD
	v_mul_lo_u16 v6, 0xcd, v6
	v_mul_lo_u16 v3, 0xcd, v3
	v_lshrrev_b16 v6, 11, v6
	v_lshrrev_b16 v3, 11, v3
	v_cmpx_lt_u16_e64 v6, v3
; %bb.2298:
	v_perm_b32 v14, v14, v14, 0x6070504
	v_perm_b32 v2, v2, v2, 0x3060504
; %bb.2299:
	s_or_b32 exec_lo, exec_lo, s39
	s_or_b32 exec_lo, exec_lo, s13
	s_and_saveexec_b32 s13, s79
	s_cbranch_execz .LBB691_1990
.LBB691_2300:
	v_lshrrev_b32_e32 v3, 8, v2
	v_and_b32_e32 v6, 0xff, v2
	s_mov_b32 s39, exec_lo
	v_and_b32_e32 v3, 0xff, v3
	v_mul_lo_u16 v6, 0xcd, v6
	v_mul_lo_u16 v3, 0xcd, v3
	v_lshrrev_b16 v6, 11, v6
	v_lshrrev_b16 v3, 11, v3
	v_cmpx_lt_u16_e64 v3, v6
; %bb.2301:
	v_perm_b32 v2, v2, v2, 0x7060405
; %bb.2302:
	s_or_b32 exec_lo, exec_lo, s39
	s_or_b32 exec_lo, exec_lo, s13
	s_and_saveexec_b32 s13, s78
	s_cbranch_execz .LBB691_1991
.LBB691_2303:
	v_mov_b32_e32 v3, 0xff
	v_lshrrev_b32_e32 v6, 24, v2
	s_mov_b32 s39, exec_lo
	v_and_b32_sdwa v3, v2, v3 dst_sel:DWORD dst_unused:UNUSED_PAD src0_sel:WORD_1 src1_sel:DWORD
	v_mul_lo_u16 v6, 0xcd, v6
	v_mul_lo_u16 v3, 0xcd, v3
	v_lshrrev_b16 v6, 11, v6
	v_lshrrev_b16 v3, 11, v3
	v_cmpx_lt_u16_e64 v6, v3
; %bb.2304:
	v_perm_b32 v2, v2, v2, 0x6070504
; %bb.2305:
	s_or_b32 exec_lo, exec_lo, s39
	s_or_b32 exec_lo, exec_lo, s13
	s_and_saveexec_b32 s13, s76
	s_cbranch_execz .LBB691_1992
.LBB691_2306:
	v_lshrrev_b32_e32 v3, 8, v68
	v_and_b32_e32 v6, 0xff, v68
	s_mov_b32 s39, exec_lo
	v_and_b32_e32 v3, 0xff, v3
	v_mul_lo_u16 v6, 0xcd, v6
	v_mul_lo_u16 v3, 0xcd, v3
	v_lshrrev_b16 v6, 11, v6
	v_lshrrev_b16 v3, 11, v3
	v_cmpx_lt_u16_e64 v3, v6
; %bb.2307:
	v_perm_b32 v68, v68, v68, 0x7060405
	v_perm_b32 v15, v15, v15, 0x3060504
; %bb.2308:
	s_or_b32 exec_lo, exec_lo, s39
	s_or_b32 exec_lo, exec_lo, s13
	s_and_saveexec_b32 s13, s75
	s_cbranch_execz .LBB691_1993
.LBB691_2309:
	v_mov_b32_e32 v3, 0xff
	v_lshrrev_b32_e32 v6, 24, v68
	s_mov_b32 s39, exec_lo
	v_and_b32_sdwa v3, v68, v3 dst_sel:DWORD dst_unused:UNUSED_PAD src0_sel:WORD_1 src1_sel:DWORD
	v_mul_lo_u16 v6, 0xcd, v6
	v_mul_lo_u16 v3, 0xcd, v3
	v_lshrrev_b16 v6, 11, v6
	v_lshrrev_b16 v3, 11, v3
	v_cmpx_lt_u16_e64 v6, v3
; %bb.2310:
	v_perm_b32 v68, v68, v68, 0x6070504
	v_perm_b32 v15, v15, v15, 0x3060504
; %bb.2311:
	s_or_b32 exec_lo, exec_lo, s39
	s_or_b32 exec_lo, exec_lo, s13
	s_and_saveexec_b32 s13, s74
	s_cbranch_execz .LBB691_1994
.LBB691_2312:
	v_lshrrev_b32_e32 v3, 8, v15
	v_and_b32_e32 v6, 0xff, v15
	s_mov_b32 s39, exec_lo
	v_and_b32_e32 v3, 0xff, v3
	v_mul_lo_u16 v6, 0xcd, v6
	v_mul_lo_u16 v3, 0xcd, v3
	v_lshrrev_b16 v6, 11, v6
	v_lshrrev_b16 v3, 11, v3
	v_cmpx_lt_u16_e64 v3, v6
; %bb.2313:
	v_perm_b32 v15, v15, v15, 0x7060405
; %bb.2314:
	s_or_b32 exec_lo, exec_lo, s39
	s_or_b32 exec_lo, exec_lo, s13
	s_and_saveexec_b32 s13, s73
	s_cbranch_execz .LBB691_1995
.LBB691_2315:
	v_mov_b32_e32 v3, 0xff
	v_lshrrev_b32_e32 v6, 24, v15
	s_mov_b32 s39, exec_lo
	v_and_b32_sdwa v3, v15, v3 dst_sel:DWORD dst_unused:UNUSED_PAD src0_sel:WORD_1 src1_sel:DWORD
	v_mul_lo_u16 v6, 0xcd, v6
	v_mul_lo_u16 v3, 0xcd, v3
	v_lshrrev_b16 v6, 11, v6
	v_lshrrev_b16 v3, 11, v3
	v_cmpx_lt_u16_e64 v6, v3
; %bb.2316:
	v_perm_b32 v15, v15, v15, 0x6070504
; %bb.2317:
	s_or_b32 exec_lo, exec_lo, s39
	s_or_b32 exec_lo, exec_lo, s13
	s_and_saveexec_b32 s13, s72
	s_cbranch_execz .LBB691_1996
.LBB691_2318:
	v_lshrrev_b32_e32 v3, 8, v80
	v_and_b32_e32 v6, 0xff, v80
	s_mov_b32 s39, exec_lo
	v_and_b32_e32 v3, 0xff, v3
	v_mul_lo_u16 v6, 0xcd, v6
	v_mul_lo_u16 v3, 0xcd, v3
	v_lshrrev_b16 v6, 11, v6
	v_lshrrev_b16 v3, 11, v3
	v_cmpx_lt_u16_e64 v3, v6
; %bb.2319:
	v_perm_b32 v80, v80, v80, 0x7060405
	v_perm_b32 v16, v16, v16, 0x3060504
; %bb.2320:
	s_or_b32 exec_lo, exec_lo, s39
	s_or_b32 exec_lo, exec_lo, s13
	s_and_saveexec_b32 s13, s62
	s_cbranch_execz .LBB691_1997
.LBB691_2321:
	v_mov_b32_e32 v3, 0xff
	v_lshrrev_b32_e32 v6, 24, v80
	s_mov_b32 s39, exec_lo
	v_and_b32_sdwa v3, v80, v3 dst_sel:DWORD dst_unused:UNUSED_PAD src0_sel:WORD_1 src1_sel:DWORD
	v_mul_lo_u16 v6, 0xcd, v6
	v_mul_lo_u16 v3, 0xcd, v3
	v_lshrrev_b16 v6, 11, v6
	v_lshrrev_b16 v3, 11, v3
	v_cmpx_lt_u16_e64 v6, v3
; %bb.2322:
	v_perm_b32 v80, v80, v80, 0x6070504
	v_perm_b32 v16, v16, v16, 0x3060504
; %bb.2323:
	s_or_b32 exec_lo, exec_lo, s39
	s_or_b32 exec_lo, exec_lo, s13
	s_and_saveexec_b32 s13, s61
	s_cbranch_execz .LBB691_1998
.LBB691_2324:
	v_lshrrev_b32_e32 v3, 8, v16
	v_and_b32_e32 v6, 0xff, v16
	s_mov_b32 s39, exec_lo
	v_and_b32_e32 v3, 0xff, v3
	v_mul_lo_u16 v6, 0xcd, v6
	v_mul_lo_u16 v3, 0xcd, v3
	v_lshrrev_b16 v6, 11, v6
	v_lshrrev_b16 v3, 11, v3
	v_cmpx_lt_u16_e64 v3, v6
; %bb.2325:
	v_perm_b32 v16, v16, v16, 0x7060405
; %bb.2326:
	s_or_b32 exec_lo, exec_lo, s39
	s_or_b32 exec_lo, exec_lo, s13
	s_and_saveexec_b32 s13, s60
	s_cbranch_execz .LBB691_1999
.LBB691_2327:
	v_mov_b32_e32 v3, 0xff
	v_lshrrev_b32_e32 v6, 24, v16
	s_mov_b32 s39, exec_lo
	v_and_b32_sdwa v3, v16, v3 dst_sel:DWORD dst_unused:UNUSED_PAD src0_sel:WORD_1 src1_sel:DWORD
	v_mul_lo_u16 v6, 0xcd, v6
	v_mul_lo_u16 v3, 0xcd, v3
	v_lshrrev_b16 v6, 11, v6
	v_lshrrev_b16 v3, 11, v3
	v_cmpx_lt_u16_e64 v6, v3
; %bb.2328:
	v_perm_b32 v16, v16, v16, 0x6070504
; %bb.2329:
	s_or_b32 exec_lo, exec_lo, s39
	s_or_b32 exec_lo, exec_lo, s13
	s_and_saveexec_b32 s13, s59
	s_cbranch_execz .LBB691_2000
.LBB691_2330:
	v_lshrrev_b32_e32 v3, 8, v71
	v_and_b32_e32 v6, 0xff, v71
	s_mov_b32 s39, exec_lo
	v_and_b32_e32 v3, 0xff, v3
	v_mul_lo_u16 v6, 0xcd, v6
	v_mul_lo_u16 v3, 0xcd, v3
	v_lshrrev_b16 v6, 11, v6
	v_lshrrev_b16 v3, 11, v3
	v_cmpx_lt_u16_e64 v3, v6
; %bb.2331:
	v_perm_b32 v71, v71, v71, 0x7060405
	v_perm_b32 v69, v69, v69, 0x3060504
; %bb.2332:
	s_or_b32 exec_lo, exec_lo, s39
	s_or_b32 exec_lo, exec_lo, s13
	s_and_saveexec_b32 s13, s57
	s_cbranch_execz .LBB691_2001
.LBB691_2333:
	v_mov_b32_e32 v3, 0xff
	v_lshrrev_b32_e32 v6, 24, v71
	s_mov_b32 s39, exec_lo
	v_and_b32_sdwa v3, v71, v3 dst_sel:DWORD dst_unused:UNUSED_PAD src0_sel:WORD_1 src1_sel:DWORD
	v_mul_lo_u16 v6, 0xcd, v6
	v_mul_lo_u16 v3, 0xcd, v3
	v_lshrrev_b16 v6, 11, v6
	v_lshrrev_b16 v3, 11, v3
	v_cmpx_lt_u16_e64 v6, v3
; %bb.2334:
	v_perm_b32 v71, v71, v71, 0x6070504
	v_perm_b32 v69, v69, v69, 0x3060504
; %bb.2335:
	s_or_b32 exec_lo, exec_lo, s39
	s_or_b32 exec_lo, exec_lo, s13
	s_and_saveexec_b32 s13, s56
	s_cbranch_execz .LBB691_2002
.LBB691_2336:
	v_lshrrev_b32_e32 v3, 8, v69
	v_and_b32_e32 v6, 0xff, v69
	s_mov_b32 s39, exec_lo
	v_and_b32_e32 v3, 0xff, v3
	v_mul_lo_u16 v6, 0xcd, v6
	v_mul_lo_u16 v3, 0xcd, v3
	v_lshrrev_b16 v6, 11, v6
	v_lshrrev_b16 v3, 11, v3
	v_cmpx_lt_u16_e64 v3, v6
; %bb.2337:
	v_perm_b32 v69, v69, v69, 0x7060405
; %bb.2338:
	s_or_b32 exec_lo, exec_lo, s39
	s_or_b32 exec_lo, exec_lo, s13
	s_and_saveexec_b32 s13, s9
	s_cbranch_execz .LBB691_2003
.LBB691_2339:
	v_mov_b32_e32 v3, 0xff
	v_lshrrev_b32_e32 v6, 24, v69
	s_mov_b32 s39, exec_lo
	v_and_b32_sdwa v3, v69, v3 dst_sel:DWORD dst_unused:UNUSED_PAD src0_sel:WORD_1 src1_sel:DWORD
	v_mul_lo_u16 v6, 0xcd, v6
	v_mul_lo_u16 v3, 0xcd, v3
	v_lshrrev_b16 v6, 11, v6
	v_lshrrev_b16 v3, 11, v3
	v_cmpx_lt_u16_e64 v6, v3
; %bb.2340:
	v_perm_b32 v69, v69, v69, 0x6070504
; %bb.2341:
	s_or_b32 exec_lo, exec_lo, s39
	s_or_b32 exec_lo, exec_lo, s13
	s_and_saveexec_b32 s13, vcc_lo
	s_cbranch_execz .LBB691_2004
.LBB691_2342:
	v_mov_b32_e32 v3, 0xff
	v_lshrrev_b32_e32 v6, 8, v14
	s_mov_b32 s39, exec_lo
	v_and_b32_sdwa v3, v14, v3 dst_sel:DWORD dst_unused:UNUSED_PAD src0_sel:WORD_1 src1_sel:DWORD
	v_and_b32_e32 v6, 0xff, v6
	v_mul_lo_u16 v3, 0xcd, v3
	v_mul_lo_u16 v6, 0xcd, v6
	v_lshrrev_b16 v3, 11, v3
	v_lshrrev_b16 v6, 11, v6
	v_cmpx_lt_u16_e64 v3, v6
; %bb.2343:
	v_perm_b32 v14, v14, v14, 0x7050604
	v_perm_b32 v2, v2, v2, 0x3060504
; %bb.2344:
	s_or_b32 exec_lo, exec_lo, s39
	s_or_b32 exec_lo, exec_lo, s13
	s_and_saveexec_b32 s13, s8
	s_cbranch_execz .LBB691_2005
.LBB691_2345:
	v_and_b32_e32 v3, 0xff, v2
	v_lshrrev_b32_e32 v6, 24, v14
	s_mov_b32 s39, exec_lo
	v_mul_lo_u16 v3, 0xcd, v3
	v_mul_lo_u16 v6, 0xcd, v6
	v_lshrrev_b16 v3, 11, v3
	v_lshrrev_b16 v6, 11, v6
	v_cmpx_lt_u16_e64 v3, v6
; %bb.2346:
	v_perm_b32 v3, v14, v2, 0x3020107
	v_perm_b32 v14, v14, v2, 0x60504
	v_mov_b32_e32 v2, v3
; %bb.2347:
	s_or_b32 exec_lo, exec_lo, s39
	s_or_b32 exec_lo, exec_lo, s13
	s_and_saveexec_b32 s13, s58
	s_cbranch_execz .LBB691_2006
.LBB691_2348:
	v_mov_b32_e32 v3, 0xff
	v_lshrrev_b32_e32 v6, 8, v2
	s_mov_b32 s39, exec_lo
	v_and_b32_sdwa v3, v2, v3 dst_sel:DWORD dst_unused:UNUSED_PAD src0_sel:WORD_1 src1_sel:DWORD
	v_and_b32_e32 v6, 0xff, v6
	v_mul_lo_u16 v3, 0xcd, v3
	v_mul_lo_u16 v6, 0xcd, v6
	v_lshrrev_b16 v3, 11, v3
	v_lshrrev_b16 v6, 11, v6
	v_cmpx_lt_u16_e64 v3, v6
; %bb.2349:
	v_perm_b32 v2, v2, v2, 0x7050604
; %bb.2350:
	s_or_b32 exec_lo, exec_lo, s39
	s_or_b32 exec_lo, exec_lo, s13
	s_and_saveexec_b32 s13, s63
	s_cbranch_execz .LBB691_2007
.LBB691_2351:
	v_and_b32_e32 v3, 0xff, v68
	v_lshrrev_b32_e32 v6, 24, v2
	s_mov_b32 s39, exec_lo
	v_mul_lo_u16 v3, 0xcd, v3
	v_mul_lo_u16 v6, 0xcd, v6
	v_lshrrev_b16 v3, 11, v3
	v_lshrrev_b16 v6, 11, v6
	v_cmpx_lt_u16_e64 v3, v6
; %bb.2352:
	v_perm_b32 v3, v2, v68, 0x3020107
	v_perm_b32 v2, v2, v68, 0x60504
	;; [unrolled: 1-line block ×3, first 2 shown]
	v_mov_b32_e32 v68, v3
; %bb.2353:
	s_or_b32 exec_lo, exec_lo, s39
	s_or_b32 exec_lo, exec_lo, s13
	s_and_saveexec_b32 s13, s77
	s_cbranch_execz .LBB691_2008
.LBB691_2354:
	v_mov_b32_e32 v3, 0xff
	v_lshrrev_b32_e32 v6, 8, v68
	s_mov_b32 s39, exec_lo
	v_and_b32_sdwa v3, v68, v3 dst_sel:DWORD dst_unused:UNUSED_PAD src0_sel:WORD_1 src1_sel:DWORD
	v_and_b32_e32 v6, 0xff, v6
	v_mul_lo_u16 v3, 0xcd, v3
	v_mul_lo_u16 v6, 0xcd, v6
	v_lshrrev_b16 v3, 11, v3
	v_lshrrev_b16 v6, 11, v6
	v_cmpx_lt_u16_e64 v3, v6
; %bb.2355:
	v_perm_b32 v68, v68, v68, 0x7050604
	v_perm_b32 v15, v15, v15, 0x3060504
; %bb.2356:
	s_or_b32 exec_lo, exec_lo, s39
	s_or_b32 exec_lo, exec_lo, s13
	s_and_saveexec_b32 s13, s89
	s_cbranch_execz .LBB691_2009
.LBB691_2357:
	v_and_b32_e32 v3, 0xff, v15
	v_lshrrev_b32_e32 v6, 24, v68
	s_mov_b32 s39, exec_lo
	v_mul_lo_u16 v3, 0xcd, v3
	v_mul_lo_u16 v6, 0xcd, v6
	v_lshrrev_b16 v3, 11, v3
	v_lshrrev_b16 v6, 11, v6
	v_cmpx_lt_u16_e64 v3, v6
; %bb.2358:
	v_perm_b32 v3, v68, v15, 0x3020107
	v_perm_b32 v68, v68, v15, 0x60504
	v_mov_b32_e32 v15, v3
; %bb.2359:
	s_or_b32 exec_lo, exec_lo, s39
	s_or_b32 exec_lo, exec_lo, s13
	s_and_saveexec_b32 s13, s90
	s_cbranch_execz .LBB691_2010
.LBB691_2360:
	v_mov_b32_e32 v3, 0xff
	v_lshrrev_b32_e32 v6, 8, v15
	s_mov_b32 s39, exec_lo
	v_and_b32_sdwa v3, v15, v3 dst_sel:DWORD dst_unused:UNUSED_PAD src0_sel:WORD_1 src1_sel:DWORD
	v_and_b32_e32 v6, 0xff, v6
	v_mul_lo_u16 v3, 0xcd, v3
	v_mul_lo_u16 v6, 0xcd, v6
	v_lshrrev_b16 v3, 11, v3
	v_lshrrev_b16 v6, 11, v6
	v_cmpx_lt_u16_e64 v3, v6
; %bb.2361:
	v_perm_b32 v15, v15, v15, 0x7050604
; %bb.2362:
	s_or_b32 exec_lo, exec_lo, s39
	s_or_b32 exec_lo, exec_lo, s13
	s_and_saveexec_b32 s13, s92
	s_cbranch_execz .LBB691_2011
.LBB691_2363:
	v_and_b32_e32 v3, 0xff, v80
	v_lshrrev_b32_e32 v6, 24, v15
	s_mov_b32 s39, exec_lo
	v_mul_lo_u16 v3, 0xcd, v3
	v_mul_lo_u16 v6, 0xcd, v6
	v_lshrrev_b16 v3, 11, v3
	v_lshrrev_b16 v6, 11, v6
	v_cmpx_lt_u16_e64 v3, v6
; %bb.2364:
	v_perm_b32 v3, v15, v80, 0x3020107
	v_perm_b32 v15, v15, v80, 0x60504
	;; [unrolled: 1-line block ×3, first 2 shown]
	v_mov_b32_e32 v80, v3
; %bb.2365:
	s_or_b32 exec_lo, exec_lo, s39
	s_or_b32 exec_lo, exec_lo, s13
	s_and_saveexec_b32 s13, s93
	s_cbranch_execz .LBB691_2012
.LBB691_2366:
	v_mov_b32_e32 v3, 0xff
	v_lshrrev_b32_e32 v6, 8, v80
	s_mov_b32 s39, exec_lo
	v_and_b32_sdwa v3, v80, v3 dst_sel:DWORD dst_unused:UNUSED_PAD src0_sel:WORD_1 src1_sel:DWORD
	v_and_b32_e32 v6, 0xff, v6
	v_mul_lo_u16 v3, 0xcd, v3
	v_mul_lo_u16 v6, 0xcd, v6
	v_lshrrev_b16 v3, 11, v3
	v_lshrrev_b16 v6, 11, v6
	v_cmpx_lt_u16_e64 v3, v6
; %bb.2367:
	v_perm_b32 v80, v80, v80, 0x7050604
	v_perm_b32 v16, v16, v16, 0x3060504
; %bb.2368:
	s_or_b32 exec_lo, exec_lo, s39
	s_or_b32 exec_lo, exec_lo, s13
	s_and_saveexec_b32 s13, s94
	s_cbranch_execz .LBB691_2013
.LBB691_2369:
	v_and_b32_e32 v3, 0xff, v16
	v_lshrrev_b32_e32 v6, 24, v80
	s_mov_b32 s39, exec_lo
	v_mul_lo_u16 v3, 0xcd, v3
	v_mul_lo_u16 v6, 0xcd, v6
	v_lshrrev_b16 v3, 11, v3
	v_lshrrev_b16 v6, 11, v6
	v_cmpx_lt_u16_e64 v3, v6
; %bb.2370:
	v_perm_b32 v3, v80, v16, 0x3020107
	v_perm_b32 v80, v80, v16, 0x60504
	v_mov_b32_e32 v16, v3
; %bb.2371:
	s_or_b32 exec_lo, exec_lo, s39
	s_or_b32 exec_lo, exec_lo, s13
	s_and_saveexec_b32 s13, s95
	s_cbranch_execz .LBB691_2014
.LBB691_2372:
	v_mov_b32_e32 v3, 0xff
	v_lshrrev_b32_e32 v6, 8, v16
	s_mov_b32 s39, exec_lo
	v_and_b32_sdwa v3, v16, v3 dst_sel:DWORD dst_unused:UNUSED_PAD src0_sel:WORD_1 src1_sel:DWORD
	v_and_b32_e32 v6, 0xff, v6
	v_mul_lo_u16 v3, 0xcd, v3
	v_mul_lo_u16 v6, 0xcd, v6
	v_lshrrev_b16 v3, 11, v3
	v_lshrrev_b16 v6, 11, v6
	v_cmpx_lt_u16_e64 v3, v6
; %bb.2373:
	v_perm_b32 v16, v16, v16, 0x7050604
; %bb.2374:
	s_or_b32 exec_lo, exec_lo, s39
	s_or_b32 exec_lo, exec_lo, s13
	s_and_saveexec_b32 s13, vcc_hi
	s_cbranch_execz .LBB691_2015
.LBB691_2375:
	v_and_b32_e32 v3, 0xff, v71
	v_lshrrev_b32_e32 v6, 24, v16
	s_mov_b32 s39, exec_lo
	v_mul_lo_u16 v3, 0xcd, v3
	v_mul_lo_u16 v6, 0xcd, v6
	v_lshrrev_b16 v3, 11, v3
	v_lshrrev_b16 v6, 11, v6
	v_cmpx_lt_u16_e64 v3, v6
; %bb.2376:
	v_perm_b32 v3, v16, v71, 0x3020107
	v_perm_b32 v16, v16, v71, 0x60504
	;; [unrolled: 1-line block ×3, first 2 shown]
	v_mov_b32_e32 v71, v3
; %bb.2377:
	s_or_b32 exec_lo, exec_lo, s39
	s_or_b32 exec_lo, exec_lo, s13
	s_and_saveexec_b32 s13, s30
	s_cbranch_execz .LBB691_2016
.LBB691_2378:
	v_mov_b32_e32 v3, 0xff
	v_lshrrev_b32_e32 v6, 8, v71
	s_mov_b32 s39, exec_lo
	v_and_b32_sdwa v3, v71, v3 dst_sel:DWORD dst_unused:UNUSED_PAD src0_sel:WORD_1 src1_sel:DWORD
	v_and_b32_e32 v6, 0xff, v6
	v_mul_lo_u16 v3, 0xcd, v3
	v_mul_lo_u16 v6, 0xcd, v6
	v_lshrrev_b16 v3, 11, v3
	v_lshrrev_b16 v6, 11, v6
	v_cmpx_lt_u16_e64 v3, v6
; %bb.2379:
	v_perm_b32 v71, v71, v71, 0x7050604
	v_perm_b32 v69, v69, v69, 0x3060504
; %bb.2380:
	s_or_b32 exec_lo, exec_lo, s39
	s_or_b32 exec_lo, exec_lo, s13
	s_and_saveexec_b32 s13, s31
	s_cbranch_execz .LBB691_2017
.LBB691_2381:
	v_and_b32_e32 v3, 0xff, v69
	v_lshrrev_b32_e32 v6, 24, v71
	s_mov_b32 s39, exec_lo
	v_mul_lo_u16 v3, 0xcd, v3
	v_mul_lo_u16 v6, 0xcd, v6
	v_lshrrev_b16 v3, 11, v3
	v_lshrrev_b16 v6, 11, v6
	v_cmpx_lt_u16_e64 v3, v6
; %bb.2382:
	v_perm_b32 v3, v71, v69, 0x3020107
	v_perm_b32 v71, v71, v69, 0x60504
	v_mov_b32_e32 v69, v3
; %bb.2383:
	s_or_b32 exec_lo, exec_lo, s39
	s_or_b32 exec_lo, exec_lo, s13
	s_and_saveexec_b32 s13, s34
	s_cbranch_execz .LBB691_2018
.LBB691_2384:
	v_mov_b32_e32 v3, 0xff
	v_lshrrev_b32_e32 v6, 8, v69
	s_mov_b32 s39, exec_lo
	v_and_b32_sdwa v3, v69, v3 dst_sel:DWORD dst_unused:UNUSED_PAD src0_sel:WORD_1 src1_sel:DWORD
	v_and_b32_e32 v6, 0xff, v6
	v_mul_lo_u16 v3, 0xcd, v3
	v_mul_lo_u16 v6, 0xcd, v6
	v_lshrrev_b16 v3, 11, v3
	v_lshrrev_b16 v6, 11, v6
	v_cmpx_lt_u16_e64 v3, v6
; %bb.2385:
	v_perm_b32 v69, v69, v69, 0x7050604
; %bb.2386:
	s_or_b32 exec_lo, exec_lo, s39
	s_or_b32 exec_lo, exec_lo, s13
	s_and_saveexec_b32 s13, s91
	s_cbranch_execz .LBB691_2019
.LBB691_2387:
	v_lshrrev_b32_e32 v3, 8, v14
	v_and_b32_e32 v6, 0xff, v14
	s_mov_b32 s39, exec_lo
	v_and_b32_e32 v3, 0xff, v3
	v_mul_lo_u16 v6, 0xcd, v6
	v_mul_lo_u16 v3, 0xcd, v3
	v_lshrrev_b16 v6, 11, v6
	v_lshrrev_b16 v3, 11, v3
	v_cmpx_lt_u16_e64 v3, v6
; %bb.2388:
	v_perm_b32 v14, v14, v14, 0x7060405
	v_perm_b32 v2, v2, v2, 0x3060504
; %bb.2389:
	s_or_b32 exec_lo, exec_lo, s39
	s_or_b32 exec_lo, exec_lo, s13
	s_and_saveexec_b32 s13, s88
	s_cbranch_execz .LBB691_2020
.LBB691_2390:
	v_mov_b32_e32 v3, 0xff
	v_lshrrev_b32_e32 v6, 24, v14
	s_mov_b32 s39, exec_lo
	v_and_b32_sdwa v3, v14, v3 dst_sel:DWORD dst_unused:UNUSED_PAD src0_sel:WORD_1 src1_sel:DWORD
	v_mul_lo_u16 v6, 0xcd, v6
	v_mul_lo_u16 v3, 0xcd, v3
	v_lshrrev_b16 v6, 11, v6
	v_lshrrev_b16 v3, 11, v3
	v_cmpx_lt_u16_e64 v6, v3
; %bb.2391:
	v_perm_b32 v14, v14, v14, 0x6070504
	v_perm_b32 v2, v2, v2, 0x3060504
; %bb.2392:
	s_or_b32 exec_lo, exec_lo, s39
	s_or_b32 exec_lo, exec_lo, s13
	s_and_saveexec_b32 s13, s79
	s_cbranch_execz .LBB691_2021
.LBB691_2393:
	v_lshrrev_b32_e32 v3, 8, v2
	v_and_b32_e32 v6, 0xff, v2
	s_mov_b32 s39, exec_lo
	v_and_b32_e32 v3, 0xff, v3
	v_mul_lo_u16 v6, 0xcd, v6
	v_mul_lo_u16 v3, 0xcd, v3
	v_lshrrev_b16 v6, 11, v6
	v_lshrrev_b16 v3, 11, v3
	v_cmpx_lt_u16_e64 v3, v6
; %bb.2394:
	v_perm_b32 v2, v2, v2, 0x7060405
; %bb.2395:
	s_or_b32 exec_lo, exec_lo, s39
	s_or_b32 exec_lo, exec_lo, s13
	s_and_saveexec_b32 s13, s78
	s_cbranch_execz .LBB691_2022
.LBB691_2396:
	v_mov_b32_e32 v3, 0xff
	v_lshrrev_b32_e32 v6, 24, v2
	s_mov_b32 s39, exec_lo
	v_and_b32_sdwa v3, v2, v3 dst_sel:DWORD dst_unused:UNUSED_PAD src0_sel:WORD_1 src1_sel:DWORD
	v_mul_lo_u16 v6, 0xcd, v6
	v_mul_lo_u16 v3, 0xcd, v3
	v_lshrrev_b16 v6, 11, v6
	v_lshrrev_b16 v3, 11, v3
	v_cmpx_lt_u16_e64 v6, v3
; %bb.2397:
	v_perm_b32 v2, v2, v2, 0x6070504
; %bb.2398:
	s_or_b32 exec_lo, exec_lo, s39
	s_or_b32 exec_lo, exec_lo, s13
	s_and_saveexec_b32 s13, s76
	s_cbranch_execz .LBB691_2023
.LBB691_2399:
	v_lshrrev_b32_e32 v3, 8, v68
	v_and_b32_e32 v6, 0xff, v68
	s_mov_b32 s39, exec_lo
	v_and_b32_e32 v3, 0xff, v3
	v_mul_lo_u16 v6, 0xcd, v6
	v_mul_lo_u16 v3, 0xcd, v3
	v_lshrrev_b16 v6, 11, v6
	v_lshrrev_b16 v3, 11, v3
	v_cmpx_lt_u16_e64 v3, v6
; %bb.2400:
	v_perm_b32 v68, v68, v68, 0x7060405
	v_perm_b32 v15, v15, v15, 0x3060504
; %bb.2401:
	s_or_b32 exec_lo, exec_lo, s39
	s_or_b32 exec_lo, exec_lo, s13
	s_and_saveexec_b32 s13, s75
	s_cbranch_execz .LBB691_2024
.LBB691_2402:
	v_mov_b32_e32 v3, 0xff
	v_lshrrev_b32_e32 v6, 24, v68
	s_mov_b32 s39, exec_lo
	v_and_b32_sdwa v3, v68, v3 dst_sel:DWORD dst_unused:UNUSED_PAD src0_sel:WORD_1 src1_sel:DWORD
	v_mul_lo_u16 v6, 0xcd, v6
	v_mul_lo_u16 v3, 0xcd, v3
	v_lshrrev_b16 v6, 11, v6
	v_lshrrev_b16 v3, 11, v3
	v_cmpx_lt_u16_e64 v6, v3
; %bb.2403:
	v_perm_b32 v68, v68, v68, 0x6070504
	v_perm_b32 v15, v15, v15, 0x3060504
; %bb.2404:
	s_or_b32 exec_lo, exec_lo, s39
	s_or_b32 exec_lo, exec_lo, s13
	s_and_saveexec_b32 s13, s74
	s_cbranch_execz .LBB691_2025
.LBB691_2405:
	v_lshrrev_b32_e32 v3, 8, v15
	v_and_b32_e32 v6, 0xff, v15
	s_mov_b32 s39, exec_lo
	v_and_b32_e32 v3, 0xff, v3
	v_mul_lo_u16 v6, 0xcd, v6
	v_mul_lo_u16 v3, 0xcd, v3
	v_lshrrev_b16 v6, 11, v6
	v_lshrrev_b16 v3, 11, v3
	v_cmpx_lt_u16_e64 v3, v6
; %bb.2406:
	v_perm_b32 v15, v15, v15, 0x7060405
; %bb.2407:
	s_or_b32 exec_lo, exec_lo, s39
	s_or_b32 exec_lo, exec_lo, s13
	s_and_saveexec_b32 s13, s73
	s_cbranch_execz .LBB691_2026
.LBB691_2408:
	v_mov_b32_e32 v3, 0xff
	v_lshrrev_b32_e32 v6, 24, v15
	s_mov_b32 s39, exec_lo
	v_and_b32_sdwa v3, v15, v3 dst_sel:DWORD dst_unused:UNUSED_PAD src0_sel:WORD_1 src1_sel:DWORD
	v_mul_lo_u16 v6, 0xcd, v6
	v_mul_lo_u16 v3, 0xcd, v3
	v_lshrrev_b16 v6, 11, v6
	v_lshrrev_b16 v3, 11, v3
	v_cmpx_lt_u16_e64 v6, v3
; %bb.2409:
	v_perm_b32 v15, v15, v15, 0x6070504
; %bb.2410:
	s_or_b32 exec_lo, exec_lo, s39
	s_or_b32 exec_lo, exec_lo, s13
	s_and_saveexec_b32 s13, s72
	s_cbranch_execz .LBB691_2027
.LBB691_2411:
	v_lshrrev_b32_e32 v3, 8, v80
	v_and_b32_e32 v6, 0xff, v80
	s_mov_b32 s39, exec_lo
	v_and_b32_e32 v3, 0xff, v3
	v_mul_lo_u16 v6, 0xcd, v6
	v_mul_lo_u16 v3, 0xcd, v3
	v_lshrrev_b16 v6, 11, v6
	v_lshrrev_b16 v3, 11, v3
	v_cmpx_lt_u16_e64 v3, v6
; %bb.2412:
	v_perm_b32 v80, v80, v80, 0x7060405
	v_perm_b32 v16, v16, v16, 0x3060504
; %bb.2413:
	s_or_b32 exec_lo, exec_lo, s39
	s_or_b32 exec_lo, exec_lo, s13
	s_and_saveexec_b32 s13, s62
	s_cbranch_execz .LBB691_2028
.LBB691_2414:
	v_mov_b32_e32 v3, 0xff
	v_lshrrev_b32_e32 v6, 24, v80
	s_mov_b32 s39, exec_lo
	v_and_b32_sdwa v3, v80, v3 dst_sel:DWORD dst_unused:UNUSED_PAD src0_sel:WORD_1 src1_sel:DWORD
	v_mul_lo_u16 v6, 0xcd, v6
	v_mul_lo_u16 v3, 0xcd, v3
	v_lshrrev_b16 v6, 11, v6
	v_lshrrev_b16 v3, 11, v3
	v_cmpx_lt_u16_e64 v6, v3
; %bb.2415:
	v_perm_b32 v80, v80, v80, 0x6070504
	v_perm_b32 v16, v16, v16, 0x3060504
; %bb.2416:
	s_or_b32 exec_lo, exec_lo, s39
	s_or_b32 exec_lo, exec_lo, s13
	s_and_saveexec_b32 s13, s61
	s_cbranch_execz .LBB691_2029
.LBB691_2417:
	v_lshrrev_b32_e32 v3, 8, v16
	v_and_b32_e32 v6, 0xff, v16
	s_mov_b32 s39, exec_lo
	v_and_b32_e32 v3, 0xff, v3
	v_mul_lo_u16 v6, 0xcd, v6
	v_mul_lo_u16 v3, 0xcd, v3
	v_lshrrev_b16 v6, 11, v6
	v_lshrrev_b16 v3, 11, v3
	v_cmpx_lt_u16_e64 v3, v6
; %bb.2418:
	v_perm_b32 v16, v16, v16, 0x7060405
; %bb.2419:
	s_or_b32 exec_lo, exec_lo, s39
	s_or_b32 exec_lo, exec_lo, s13
	s_and_saveexec_b32 s13, s60
	s_cbranch_execz .LBB691_2030
.LBB691_2420:
	v_mov_b32_e32 v3, 0xff
	v_lshrrev_b32_e32 v6, 24, v16
	s_mov_b32 s39, exec_lo
	v_and_b32_sdwa v3, v16, v3 dst_sel:DWORD dst_unused:UNUSED_PAD src0_sel:WORD_1 src1_sel:DWORD
	v_mul_lo_u16 v6, 0xcd, v6
	v_mul_lo_u16 v3, 0xcd, v3
	v_lshrrev_b16 v6, 11, v6
	v_lshrrev_b16 v3, 11, v3
	v_cmpx_lt_u16_e64 v6, v3
; %bb.2421:
	v_perm_b32 v16, v16, v16, 0x6070504
; %bb.2422:
	s_or_b32 exec_lo, exec_lo, s39
	s_or_b32 exec_lo, exec_lo, s13
	s_and_saveexec_b32 s13, s59
	s_cbranch_execz .LBB691_2031
.LBB691_2423:
	v_lshrrev_b32_e32 v3, 8, v71
	v_and_b32_e32 v6, 0xff, v71
	s_mov_b32 s39, exec_lo
	v_and_b32_e32 v3, 0xff, v3
	v_mul_lo_u16 v6, 0xcd, v6
	v_mul_lo_u16 v3, 0xcd, v3
	v_lshrrev_b16 v6, 11, v6
	v_lshrrev_b16 v3, 11, v3
	v_cmpx_lt_u16_e64 v3, v6
; %bb.2424:
	v_perm_b32 v71, v71, v71, 0x7060405
	v_perm_b32 v69, v69, v69, 0x3060504
; %bb.2425:
	s_or_b32 exec_lo, exec_lo, s39
	s_or_b32 exec_lo, exec_lo, s13
	s_and_saveexec_b32 s13, s57
	s_cbranch_execz .LBB691_2032
.LBB691_2426:
	v_mov_b32_e32 v3, 0xff
	v_lshrrev_b32_e32 v6, 24, v71
	s_mov_b32 s39, exec_lo
	v_and_b32_sdwa v3, v71, v3 dst_sel:DWORD dst_unused:UNUSED_PAD src0_sel:WORD_1 src1_sel:DWORD
	v_mul_lo_u16 v6, 0xcd, v6
	v_mul_lo_u16 v3, 0xcd, v3
	v_lshrrev_b16 v6, 11, v6
	v_lshrrev_b16 v3, 11, v3
	v_cmpx_lt_u16_e64 v6, v3
; %bb.2427:
	v_perm_b32 v71, v71, v71, 0x6070504
	v_perm_b32 v69, v69, v69, 0x3060504
; %bb.2428:
	s_or_b32 exec_lo, exec_lo, s39
	s_or_b32 exec_lo, exec_lo, s13
	s_and_saveexec_b32 s13, s56
	s_cbranch_execz .LBB691_2033
.LBB691_2429:
	v_lshrrev_b32_e32 v3, 8, v69
	v_and_b32_e32 v6, 0xff, v69
	s_mov_b32 s39, exec_lo
	v_and_b32_e32 v3, 0xff, v3
	v_mul_lo_u16 v6, 0xcd, v6
	v_mul_lo_u16 v3, 0xcd, v3
	v_lshrrev_b16 v6, 11, v6
	v_lshrrev_b16 v3, 11, v3
	v_cmpx_lt_u16_e64 v3, v6
; %bb.2430:
	v_perm_b32 v69, v69, v69, 0x7060405
; %bb.2431:
	s_or_b32 exec_lo, exec_lo, s39
	s_or_b32 exec_lo, exec_lo, s13
	s_and_saveexec_b32 s13, s9
	s_cbranch_execz .LBB691_2034
.LBB691_2432:
	v_mov_b32_e32 v3, 0xff
	v_lshrrev_b32_e32 v6, 24, v69
	s_mov_b32 s39, exec_lo
	v_and_b32_sdwa v3, v69, v3 dst_sel:DWORD dst_unused:UNUSED_PAD src0_sel:WORD_1 src1_sel:DWORD
	v_mul_lo_u16 v6, 0xcd, v6
	v_mul_lo_u16 v3, 0xcd, v3
	v_lshrrev_b16 v6, 11, v6
	v_lshrrev_b16 v3, 11, v3
	v_cmpx_lt_u16_e64 v6, v3
; %bb.2433:
	v_perm_b32 v69, v69, v69, 0x6070504
; %bb.2434:
	s_or_b32 exec_lo, exec_lo, s39
	s_or_b32 exec_lo, exec_lo, s13
	s_and_saveexec_b32 s13, vcc_lo
	s_cbranch_execz .LBB691_2035
.LBB691_2435:
	v_mov_b32_e32 v3, 0xff
	v_lshrrev_b32_e32 v6, 8, v14
	s_mov_b32 s39, exec_lo
	v_and_b32_sdwa v3, v14, v3 dst_sel:DWORD dst_unused:UNUSED_PAD src0_sel:WORD_1 src1_sel:DWORD
	v_and_b32_e32 v6, 0xff, v6
	v_mul_lo_u16 v3, 0xcd, v3
	v_mul_lo_u16 v6, 0xcd, v6
	v_lshrrev_b16 v3, 11, v3
	v_lshrrev_b16 v6, 11, v6
	v_cmpx_lt_u16_e64 v3, v6
; %bb.2436:
	v_perm_b32 v14, v14, v14, 0x7050604
	v_perm_b32 v2, v2, v2, 0x3060504
; %bb.2437:
	s_or_b32 exec_lo, exec_lo, s39
	s_or_b32 exec_lo, exec_lo, s13
	s_and_saveexec_b32 s13, s8
	s_cbranch_execz .LBB691_2441
.LBB691_2438:
	v_and_b32_e32 v3, 0xff, v2
	v_lshrrev_b32_e32 v6, 24, v14
	s_mov_b32 s39, exec_lo
	v_mul_lo_u16 v3, 0xcd, v3
	v_mul_lo_u16 v6, 0xcd, v6
	v_lshrrev_b16 v3, 11, v3
	v_lshrrev_b16 v6, 11, v6
	v_cmpx_lt_u16_e64 v3, v6
; %bb.2439:
	v_perm_b32 v3, v14, v2, 0x3020107
	v_perm_b32 v14, v14, v2, 0x60504
	v_mov_b32_e32 v2, v3
; %bb.2440:
	s_or_b32 exec_lo, exec_lo, s39
.LBB691_2441:
	s_or_b32 exec_lo, exec_lo, s13
	v_mov_b32_e32 v10, v14
	v_mov_b32_e32 v11, v2
	v_mov_b32_e32 v12, v68
	v_mov_b32_e32 v13, v15
	v_mov_b32_e32 v6, v80
	v_mov_b32_e32 v7, v16
	v_mov_b32_e32 v8, v71
	v_mov_b32_e32 v9, v69
	s_and_saveexec_b32 s13, s58
	s_cbranch_execnz .LBB691_2516
; %bb.2442:
	s_or_b32 exec_lo, exec_lo, s13
	s_and_saveexec_b32 s13, s63
	s_cbranch_execnz .LBB691_2519
.LBB691_2443:
	s_or_b32 exec_lo, exec_lo, s13
	s_and_saveexec_b32 s13, s77
	s_cbranch_execnz .LBB691_2522
.LBB691_2444:
	s_or_b32 exec_lo, exec_lo, s13
	s_and_saveexec_b32 s13, s89
	s_cbranch_execnz .LBB691_2525
.LBB691_2445:
	s_or_b32 exec_lo, exec_lo, s13
	s_and_saveexec_b32 s13, s90
	s_cbranch_execnz .LBB691_2528
.LBB691_2446:
	s_or_b32 exec_lo, exec_lo, s13
	s_and_saveexec_b32 s13, s92
	s_cbranch_execnz .LBB691_2531
.LBB691_2447:
	s_or_b32 exec_lo, exec_lo, s13
	s_and_saveexec_b32 s13, s93
	s_cbranch_execnz .LBB691_2534
.LBB691_2448:
	s_or_b32 exec_lo, exec_lo, s13
	s_and_saveexec_b32 s13, s94
	s_cbranch_execnz .LBB691_2537
.LBB691_2449:
	s_or_b32 exec_lo, exec_lo, s13
	s_and_saveexec_b32 s13, s95
	s_cbranch_execnz .LBB691_2540
.LBB691_2450:
	s_or_b32 exec_lo, exec_lo, s13
	s_and_saveexec_b32 s13, vcc_hi
	s_cbranch_execnz .LBB691_2543
.LBB691_2451:
	s_or_b32 exec_lo, exec_lo, s13
	s_and_saveexec_b32 s13, s30
	s_cbranch_execnz .LBB691_2546
.LBB691_2452:
	s_or_b32 exec_lo, exec_lo, s13
	s_and_saveexec_b32 s13, s31
	s_cbranch_execnz .LBB691_2549
.LBB691_2453:
	s_or_b32 exec_lo, exec_lo, s13
	s_and_saveexec_b32 s13, s34
	s_cbranch_execnz .LBB691_2552
.LBB691_2454:
	s_or_b32 exec_lo, exec_lo, s13
	s_and_saveexec_b32 s13, s91
	s_cbranch_execnz .LBB691_2555
.LBB691_2455:
	s_or_b32 exec_lo, exec_lo, s13
	s_and_saveexec_b32 s13, s88
	s_cbranch_execnz .LBB691_2558
.LBB691_2456:
	s_or_b32 exec_lo, exec_lo, s13
	s_and_saveexec_b32 s13, s79
	s_cbranch_execnz .LBB691_2561
.LBB691_2457:
	s_or_b32 exec_lo, exec_lo, s13
	s_and_saveexec_b32 s13, s78
	s_cbranch_execnz .LBB691_2564
.LBB691_2458:
	s_or_b32 exec_lo, exec_lo, s13
	s_and_saveexec_b32 s13, s76
	s_cbranch_execnz .LBB691_2567
.LBB691_2459:
	s_or_b32 exec_lo, exec_lo, s13
	s_and_saveexec_b32 s13, s75
	s_cbranch_execnz .LBB691_2570
.LBB691_2460:
	s_or_b32 exec_lo, exec_lo, s13
	s_and_saveexec_b32 s13, s74
	s_cbranch_execnz .LBB691_2573
.LBB691_2461:
	s_or_b32 exec_lo, exec_lo, s13
	s_and_saveexec_b32 s13, s73
	s_cbranch_execnz .LBB691_2576
.LBB691_2462:
	s_or_b32 exec_lo, exec_lo, s13
	s_and_saveexec_b32 s13, s72
	s_cbranch_execnz .LBB691_2579
.LBB691_2463:
	s_or_b32 exec_lo, exec_lo, s13
	s_and_saveexec_b32 s13, s62
	s_cbranch_execnz .LBB691_2582
.LBB691_2464:
	s_or_b32 exec_lo, exec_lo, s13
	s_and_saveexec_b32 s13, s61
	s_cbranch_execnz .LBB691_2585
.LBB691_2465:
	s_or_b32 exec_lo, exec_lo, s13
	s_and_saveexec_b32 s13, s60
	s_cbranch_execnz .LBB691_2588
.LBB691_2466:
	s_or_b32 exec_lo, exec_lo, s13
	s_and_saveexec_b32 s13, s59
	s_cbranch_execnz .LBB691_2591
.LBB691_2467:
	s_or_b32 exec_lo, exec_lo, s13
	s_and_saveexec_b32 s13, s57
	s_cbranch_execnz .LBB691_2594
.LBB691_2468:
	s_or_b32 exec_lo, exec_lo, s13
	s_and_saveexec_b32 s13, s56
	s_cbranch_execnz .LBB691_2597
.LBB691_2469:
	s_or_b32 exec_lo, exec_lo, s13
	s_and_saveexec_b32 s13, s9
	s_cbranch_execnz .LBB691_2600
.LBB691_2470:
	s_or_b32 exec_lo, exec_lo, s13
	s_and_saveexec_b32 s13, vcc_lo
	s_cbranch_execnz .LBB691_2603
.LBB691_2471:
	s_or_b32 exec_lo, exec_lo, s13
	s_and_saveexec_b32 s13, s8
	s_cbranch_execnz .LBB691_2606
.LBB691_2472:
	s_or_b32 exec_lo, exec_lo, s13
	s_and_saveexec_b32 s13, s58
	s_cbranch_execnz .LBB691_2609
.LBB691_2473:
	s_or_b32 exec_lo, exec_lo, s13
	s_and_saveexec_b32 s13, s63
	s_cbranch_execnz .LBB691_2612
.LBB691_2474:
	s_or_b32 exec_lo, exec_lo, s13
	s_and_saveexec_b32 s13, s77
	s_cbranch_execnz .LBB691_2615
.LBB691_2475:
	s_or_b32 exec_lo, exec_lo, s13
	s_and_saveexec_b32 s13, s89
	s_cbranch_execnz .LBB691_2618
.LBB691_2476:
	s_or_b32 exec_lo, exec_lo, s13
	s_and_saveexec_b32 s13, s90
	s_cbranch_execnz .LBB691_2621
.LBB691_2477:
	s_or_b32 exec_lo, exec_lo, s13
	s_and_saveexec_b32 s13, s92
	s_cbranch_execnz .LBB691_2624
.LBB691_2478:
	s_or_b32 exec_lo, exec_lo, s13
	s_and_saveexec_b32 s13, s93
	s_cbranch_execnz .LBB691_2627
.LBB691_2479:
	s_or_b32 exec_lo, exec_lo, s13
	s_and_saveexec_b32 s13, s94
	s_cbranch_execnz .LBB691_2630
.LBB691_2480:
	s_or_b32 exec_lo, exec_lo, s13
	s_and_saveexec_b32 s13, s95
	s_cbranch_execnz .LBB691_2633
.LBB691_2481:
	s_or_b32 exec_lo, exec_lo, s13
	s_and_saveexec_b32 s13, vcc_hi
	s_cbranch_execnz .LBB691_2636
.LBB691_2482:
	s_or_b32 exec_lo, exec_lo, s13
	s_and_saveexec_b32 s13, s30
	s_cbranch_execnz .LBB691_2639
.LBB691_2483:
	s_or_b32 exec_lo, exec_lo, s13
	s_and_saveexec_b32 s13, s31
	s_cbranch_execnz .LBB691_2642
.LBB691_2484:
	s_or_b32 exec_lo, exec_lo, s13
	s_and_saveexec_b32 s13, s34
	s_cbranch_execnz .LBB691_2645
.LBB691_2485:
	s_or_b32 exec_lo, exec_lo, s13
	s_and_saveexec_b32 s13, s91
	s_cbranch_execnz .LBB691_2648
.LBB691_2486:
	s_or_b32 exec_lo, exec_lo, s13
	s_and_saveexec_b32 s13, s88
	s_cbranch_execnz .LBB691_2651
.LBB691_2487:
	s_or_b32 exec_lo, exec_lo, s13
	s_and_saveexec_b32 s13, s79
	s_cbranch_execnz .LBB691_2654
.LBB691_2488:
	s_or_b32 exec_lo, exec_lo, s13
	s_and_saveexec_b32 s13, s78
	s_cbranch_execnz .LBB691_2657
.LBB691_2489:
	s_or_b32 exec_lo, exec_lo, s13
	s_and_saveexec_b32 s13, s76
	s_cbranch_execnz .LBB691_2660
.LBB691_2490:
	s_or_b32 exec_lo, exec_lo, s13
	s_and_saveexec_b32 s13, s75
	s_cbranch_execnz .LBB691_2663
.LBB691_2491:
	s_or_b32 exec_lo, exec_lo, s13
	s_and_saveexec_b32 s13, s74
	s_cbranch_execnz .LBB691_2666
.LBB691_2492:
	s_or_b32 exec_lo, exec_lo, s13
	s_and_saveexec_b32 s13, s73
	s_cbranch_execnz .LBB691_2669
.LBB691_2493:
	s_or_b32 exec_lo, exec_lo, s13
	s_and_saveexec_b32 s13, s72
	s_cbranch_execnz .LBB691_2672
.LBB691_2494:
	s_or_b32 exec_lo, exec_lo, s13
	s_and_saveexec_b32 s13, s62
	s_cbranch_execnz .LBB691_2675
.LBB691_2495:
	s_or_b32 exec_lo, exec_lo, s13
	s_and_saveexec_b32 s13, s61
	s_cbranch_execnz .LBB691_2678
.LBB691_2496:
	s_or_b32 exec_lo, exec_lo, s13
	s_and_saveexec_b32 s13, s60
	s_cbranch_execnz .LBB691_2681
.LBB691_2497:
	s_or_b32 exec_lo, exec_lo, s13
	s_and_saveexec_b32 s13, s59
	s_cbranch_execnz .LBB691_2684
.LBB691_2498:
	s_or_b32 exec_lo, exec_lo, s13
	s_and_saveexec_b32 s13, s57
	s_cbranch_execnz .LBB691_2687
.LBB691_2499:
	s_or_b32 exec_lo, exec_lo, s13
	s_and_saveexec_b32 s13, s56
	s_cbranch_execnz .LBB691_2690
.LBB691_2500:
	s_or_b32 exec_lo, exec_lo, s13
	s_and_saveexec_b32 s12, s9
	s_cbranch_execnz .LBB691_2693
.LBB691_2501:
	s_or_b32 exec_lo, exec_lo, s12
	s_and_saveexec_b32 s9, vcc_lo
	s_cbranch_execnz .LBB691_2696
.LBB691_2502:
	s_or_b32 exec_lo, exec_lo, s9
	s_and_saveexec_b32 s9, s8
	s_cbranch_execnz .LBB691_2699
.LBB691_2503:
	s_or_b32 exec_lo, exec_lo, s9
	s_and_saveexec_b32 s8, s58
	s_cbranch_execnz .LBB691_2702
.LBB691_2504:
	s_or_b32 exec_lo, exec_lo, s8
	s_and_saveexec_b32 s8, s63
	s_cbranch_execnz .LBB691_2705
.LBB691_2505:
	s_or_b32 exec_lo, exec_lo, s8
	s_and_saveexec_b32 s8, s77
	s_cbranch_execnz .LBB691_2708
.LBB691_2506:
	s_or_b32 exec_lo, exec_lo, s8
	s_and_saveexec_b32 s8, s89
	s_cbranch_execnz .LBB691_2711
.LBB691_2507:
	s_or_b32 exec_lo, exec_lo, s8
	s_and_saveexec_b32 s8, s90
	s_cbranch_execnz .LBB691_2714
.LBB691_2508:
	s_or_b32 exec_lo, exec_lo, s8
	s_and_saveexec_b32 s8, s92
	s_cbranch_execnz .LBB691_2717
.LBB691_2509:
	s_or_b32 exec_lo, exec_lo, s8
	s_and_saveexec_b32 s8, s93
	s_cbranch_execnz .LBB691_2720
.LBB691_2510:
	s_or_b32 exec_lo, exec_lo, s8
	s_and_saveexec_b32 s8, s94
	s_cbranch_execnz .LBB691_2723
.LBB691_2511:
	s_or_b32 exec_lo, exec_lo, s8
	s_and_saveexec_b32 s8, s95
	s_cbranch_execnz .LBB691_2726
.LBB691_2512:
	s_or_b32 exec_lo, exec_lo, s8
	s_and_saveexec_b32 s8, vcc_hi
	s_cbranch_execnz .LBB691_2729
.LBB691_2513:
	s_or_b32 exec_lo, exec_lo, s8
	s_and_saveexec_b32 s8, s30
	s_cbranch_execnz .LBB691_2732
.LBB691_2514:
	s_or_b32 exec_lo, exec_lo, s8
	s_and_saveexec_b32 s8, s31
	s_cbranch_execnz .LBB691_2735
.LBB691_2515:
	s_or_b32 exec_lo, exec_lo, s8
	s_and_saveexec_b32 s8, s34
	s_cbranch_execnz .LBB691_2738
	s_branch .LBB691_2741
.LBB691_2516:
	v_mov_b32_e32 v3, 0xff
	v_lshrrev_b32_e32 v70, 8, v2
	s_mov_b32 s39, exec_lo
	v_and_b32_sdwa v3, v2, v3 dst_sel:DWORD dst_unused:UNUSED_PAD src0_sel:WORD_1 src1_sel:DWORD
	v_and_b32_e32 v70, 0xff, v70
	v_mul_lo_u16 v3, 0xcd, v3
	v_mul_lo_u16 v70, 0xcd, v70
	v_lshrrev_b16 v3, 11, v3
	v_lshrrev_b16 v70, 11, v70
	v_cmpx_lt_u16_e64 v3, v70
	s_cbranch_execz .LBB691_2518
; %bb.2517:
	v_perm_b32 v11, v2, v2, 0x7050604
	v_mov_b32_e32 v9, v69
	v_mov_b32_e32 v8, v71
	;; [unrolled: 1-line block ×7, first 2 shown]
.LBB691_2518:
	s_or_b32 exec_lo, exec_lo, s39
	s_or_b32 exec_lo, exec_lo, s13
	s_and_saveexec_b32 s13, s63
	s_cbranch_execz .LBB691_2443
.LBB691_2519:
	v_and_b32_e32 v2, 0xff, v12
	v_lshrrev_b32_e32 v3, 24, v11
	s_mov_b32 s39, exec_lo
	v_mul_lo_u16 v2, 0xcd, v2
	v_mul_lo_u16 v3, 0xcd, v3
	v_lshrrev_b16 v2, 11, v2
	v_lshrrev_b16 v3, 11, v3
	v_cmpx_lt_u16_e64 v2, v3
	s_cbranch_execz .LBB691_2521
; %bb.2520:
	v_perm_b32 v2, v11, v12, 0x3020107
	v_mov_b32_e32 v3, v10
	v_perm_b32 v10, v11, v12, 0x60504
	v_perm_b32 v13, v13, v13, 0x3060504
	v_mov_b32_e32 v12, v2
	v_mov_b32_e32 v11, v10
	;; [unrolled: 1-line block ×3, first 2 shown]
.LBB691_2521:
	s_or_b32 exec_lo, exec_lo, s39
	s_or_b32 exec_lo, exec_lo, s13
	s_and_saveexec_b32 s13, s77
	s_cbranch_execz .LBB691_2444
.LBB691_2522:
	v_mov_b32_e32 v2, 0xff
	v_lshrrev_b32_e32 v3, 8, v12
	s_mov_b32 s39, exec_lo
	v_and_b32_sdwa v2, v12, v2 dst_sel:DWORD dst_unused:UNUSED_PAD src0_sel:WORD_1 src1_sel:DWORD
	v_and_b32_e32 v3, 0xff, v3
	v_mul_lo_u16 v2, 0xcd, v2
	v_mul_lo_u16 v3, 0xcd, v3
	v_lshrrev_b16 v2, 11, v2
	v_lshrrev_b16 v3, 11, v3
	v_cmpx_lt_u16_e64 v2, v3
; %bb.2523:
	v_perm_b32 v12, v12, v12, 0x7050604
	v_perm_b32 v13, v13, v13, 0x3060504
; %bb.2524:
	s_or_b32 exec_lo, exec_lo, s39
	s_or_b32 exec_lo, exec_lo, s13
	s_and_saveexec_b32 s13, s89
	s_cbranch_execz .LBB691_2445
.LBB691_2525:
	v_and_b32_e32 v2, 0xff, v13
	v_lshrrev_b32_e32 v3, 24, v12
	s_mov_b32 s39, exec_lo
	v_mul_lo_u16 v2, 0xcd, v2
	v_mul_lo_u16 v3, 0xcd, v3
	v_lshrrev_b16 v2, 11, v2
	v_lshrrev_b16 v3, 11, v3
	v_cmpx_lt_u16_e64 v2, v3
; %bb.2526:
	v_perm_b32 v2, v12, v13, 0x3020107
	v_perm_b32 v12, v12, v13, 0x60504
	v_mov_b32_e32 v13, v2
; %bb.2527:
	s_or_b32 exec_lo, exec_lo, s39
	s_or_b32 exec_lo, exec_lo, s13
	s_and_saveexec_b32 s13, s90
	s_cbranch_execz .LBB691_2446
.LBB691_2528:
	v_mov_b32_e32 v2, 0xff
	v_lshrrev_b32_e32 v3, 8, v13
	s_mov_b32 s39, exec_lo
	v_and_b32_sdwa v2, v13, v2 dst_sel:DWORD dst_unused:UNUSED_PAD src0_sel:WORD_1 src1_sel:DWORD
	v_and_b32_e32 v3, 0xff, v3
	v_mul_lo_u16 v2, 0xcd, v2
	v_mul_lo_u16 v3, 0xcd, v3
	v_lshrrev_b16 v2, 11, v2
	v_lshrrev_b16 v3, 11, v3
	v_cmpx_lt_u16_e64 v2, v3
; %bb.2529:
	v_perm_b32 v13, v13, v13, 0x7050604
; %bb.2530:
	s_or_b32 exec_lo, exec_lo, s39
	s_or_b32 exec_lo, exec_lo, s13
	s_and_saveexec_b32 s13, s92
	s_cbranch_execz .LBB691_2447
.LBB691_2531:
	v_and_b32_e32 v2, 0xff, v6
	v_lshrrev_b32_e32 v3, 24, v13
	s_mov_b32 s39, exec_lo
	v_mul_lo_u16 v2, 0xcd, v2
	v_mul_lo_u16 v3, 0xcd, v3
	v_lshrrev_b16 v2, 11, v2
	v_lshrrev_b16 v3, 11, v3
	v_cmpx_lt_u16_e64 v2, v3
; %bb.2532:
	v_perm_b32 v2, v13, v6, 0x3020107
	v_mov_b32_e32 v3, v10
	v_perm_b32 v7, v7, v7, 0x3060504
	v_perm_b32 v13, v13, v6, 0x60504
	v_mov_b32_e32 v6, v2
	v_mov_b32_e32 v10, v3
; %bb.2533:
	s_or_b32 exec_lo, exec_lo, s39
	s_or_b32 exec_lo, exec_lo, s13
	s_and_saveexec_b32 s13, s93
	s_cbranch_execz .LBB691_2448
.LBB691_2534:
	v_mov_b32_e32 v2, 0xff
	v_lshrrev_b32_e32 v3, 8, v6
	s_mov_b32 s39, exec_lo
	v_and_b32_sdwa v2, v6, v2 dst_sel:DWORD dst_unused:UNUSED_PAD src0_sel:WORD_1 src1_sel:DWORD
	v_and_b32_e32 v3, 0xff, v3
	v_mul_lo_u16 v2, 0xcd, v2
	v_mul_lo_u16 v3, 0xcd, v3
	v_lshrrev_b16 v2, 11, v2
	v_lshrrev_b16 v3, 11, v3
	v_cmpx_lt_u16_e64 v2, v3
; %bb.2535:
	v_perm_b32 v7, v7, v7, 0x3060504
	v_perm_b32 v6, v6, v6, 0x7050604
; %bb.2536:
	s_or_b32 exec_lo, exec_lo, s39
	s_or_b32 exec_lo, exec_lo, s13
	s_and_saveexec_b32 s13, s94
	s_cbranch_execz .LBB691_2449
.LBB691_2537:
	v_and_b32_e32 v2, 0xff, v7
	v_lshrrev_b32_e32 v3, 24, v6
	s_mov_b32 s39, exec_lo
	v_mul_lo_u16 v2, 0xcd, v2
	v_mul_lo_u16 v3, 0xcd, v3
	v_lshrrev_b16 v2, 11, v2
	v_lshrrev_b16 v3, 11, v3
	v_cmpx_lt_u16_e64 v2, v3
	s_cbranch_execz .LBB691_2539
; %bb.2538:
	v_perm_b32 v2, v6, v7, 0x3020107
	v_mov_b32_e32 v3, v10
	v_mov_b32_e32 v10, v11
	v_perm_b32 v6, v6, v7, 0x60504
	v_mov_b32_e32 v7, v2
	v_mov_b32_e32 v11, v10
	;; [unrolled: 1-line block ×3, first 2 shown]
.LBB691_2539:
	s_or_b32 exec_lo, exec_lo, s39
	s_or_b32 exec_lo, exec_lo, s13
	s_and_saveexec_b32 s13, s95
	s_cbranch_execz .LBB691_2450
.LBB691_2540:
	v_mov_b32_e32 v2, 0xff
	v_lshrrev_b32_e32 v3, 8, v7
	s_mov_b32 s39, exec_lo
	v_and_b32_sdwa v2, v7, v2 dst_sel:DWORD dst_unused:UNUSED_PAD src0_sel:WORD_1 src1_sel:DWORD
	v_and_b32_e32 v3, 0xff, v3
	v_mul_lo_u16 v2, 0xcd, v2
	v_mul_lo_u16 v3, 0xcd, v3
	v_lshrrev_b16 v2, 11, v2
	v_lshrrev_b16 v3, 11, v3
	v_cmpx_lt_u16_e64 v2, v3
; %bb.2541:
	v_perm_b32 v7, v7, v7, 0x7050604
; %bb.2542:
	s_or_b32 exec_lo, exec_lo, s39
	s_or_b32 exec_lo, exec_lo, s13
	s_and_saveexec_b32 s13, vcc_hi
	s_cbranch_execz .LBB691_2451
.LBB691_2543:
	v_and_b32_e32 v2, 0xff, v8
	v_lshrrev_b32_e32 v3, 24, v7
	s_mov_b32 s39, exec_lo
	v_mul_lo_u16 v2, 0xcd, v2
	v_mul_lo_u16 v3, 0xcd, v3
	v_lshrrev_b16 v2, 11, v2
	v_lshrrev_b16 v3, 11, v3
	v_cmpx_lt_u16_e64 v2, v3
	s_cbranch_execz .LBB691_2545
; %bb.2544:
	v_perm_b32 v2, v7, v8, 0x3020107
	v_mov_b32_e32 v3, v10
	v_mov_b32_e32 v10, v11
	v_perm_b32 v9, v9, v9, 0x3060504
	v_perm_b32 v7, v7, v8, 0x60504
	v_mov_b32_e32 v8, v2
	v_mov_b32_e32 v11, v10
	v_mov_b32_e32 v10, v3
.LBB691_2545:
	s_or_b32 exec_lo, exec_lo, s39
	s_or_b32 exec_lo, exec_lo, s13
	s_and_saveexec_b32 s13, s30
	s_cbranch_execz .LBB691_2452
.LBB691_2546:
	v_mov_b32_e32 v2, 0xff
	v_lshrrev_b32_e32 v3, 8, v8
	s_mov_b32 s39, exec_lo
	v_and_b32_sdwa v2, v8, v2 dst_sel:DWORD dst_unused:UNUSED_PAD src0_sel:WORD_1 src1_sel:DWORD
	v_and_b32_e32 v3, 0xff, v3
	v_mul_lo_u16 v2, 0xcd, v2
	v_mul_lo_u16 v3, 0xcd, v3
	v_lshrrev_b16 v2, 11, v2
	v_lshrrev_b16 v3, 11, v3
	v_cmpx_lt_u16_e64 v2, v3
; %bb.2547:
	v_perm_b32 v9, v9, v9, 0x3060504
	v_perm_b32 v8, v8, v8, 0x7050604
; %bb.2548:
	s_or_b32 exec_lo, exec_lo, s39
	s_or_b32 exec_lo, exec_lo, s13
	s_and_saveexec_b32 s13, s31
	s_cbranch_execz .LBB691_2453
.LBB691_2549:
	v_and_b32_e32 v2, 0xff, v9
	v_lshrrev_b32_e32 v3, 24, v8
	s_mov_b32 s39, exec_lo
	v_mul_lo_u16 v2, 0xcd, v2
	v_mul_lo_u16 v3, 0xcd, v3
	v_lshrrev_b16 v2, 11, v2
	v_lshrrev_b16 v3, 11, v3
	v_cmpx_lt_u16_e64 v2, v3
	s_cbranch_execz .LBB691_2551
; %bb.2550:
	v_perm_b32 v2, v8, v9, 0x3020107
	v_mov_b32_e32 v3, v10
	v_mov_b32_e32 v10, v11
	v_perm_b32 v8, v8, v9, 0x60504
	v_mov_b32_e32 v9, v2
	v_mov_b32_e32 v11, v10
	;; [unrolled: 1-line block ×3, first 2 shown]
.LBB691_2551:
	s_or_b32 exec_lo, exec_lo, s39
	s_or_b32 exec_lo, exec_lo, s13
	s_and_saveexec_b32 s13, s34
	s_cbranch_execz .LBB691_2454
.LBB691_2552:
	v_mov_b32_e32 v2, 0xff
	v_lshrrev_b32_e32 v3, 8, v9
	s_mov_b32 s39, exec_lo
	v_and_b32_sdwa v2, v9, v2 dst_sel:DWORD dst_unused:UNUSED_PAD src0_sel:WORD_1 src1_sel:DWORD
	v_and_b32_e32 v3, 0xff, v3
	v_mul_lo_u16 v2, 0xcd, v2
	v_mul_lo_u16 v3, 0xcd, v3
	v_lshrrev_b16 v2, 11, v2
	v_lshrrev_b16 v3, 11, v3
	v_cmpx_lt_u16_e64 v2, v3
; %bb.2553:
	v_perm_b32 v9, v9, v9, 0x7050604
; %bb.2554:
	s_or_b32 exec_lo, exec_lo, s39
	s_or_b32 exec_lo, exec_lo, s13
	s_and_saveexec_b32 s13, s91
	s_cbranch_execz .LBB691_2455
.LBB691_2555:
	v_lshrrev_b32_e32 v2, 8, v10
	v_and_b32_e32 v3, 0xff, v10
	s_mov_b32 s39, exec_lo
	v_and_b32_e32 v2, 0xff, v2
	v_mul_lo_u16 v3, 0xcd, v3
	v_mul_lo_u16 v2, 0xcd, v2
	v_lshrrev_b16 v3, 11, v3
	v_lshrrev_b16 v2, 11, v2
	v_cmpx_lt_u16_e64 v2, v3
; %bb.2556:
	v_perm_b32 v2, v10, v10, 0x7060405
	v_perm_b32 v11, v11, v11, 0x3060504
	v_mov_b32_e32 v10, v2
; %bb.2557:
	s_or_b32 exec_lo, exec_lo, s39
	s_or_b32 exec_lo, exec_lo, s13
	s_and_saveexec_b32 s13, s88
	s_cbranch_execz .LBB691_2456
.LBB691_2558:
	v_mov_b32_e32 v2, 0xff
	v_lshrrev_b32_e32 v3, 24, v10
	s_mov_b32 s39, exec_lo
	v_and_b32_sdwa v2, v10, v2 dst_sel:DWORD dst_unused:UNUSED_PAD src0_sel:WORD_1 src1_sel:DWORD
	v_mul_lo_u16 v3, 0xcd, v3
	v_mul_lo_u16 v2, 0xcd, v2
	v_lshrrev_b16 v3, 11, v3
	v_lshrrev_b16 v2, 11, v2
	v_cmpx_lt_u16_e64 v3, v2
; %bb.2559:
	v_perm_b32 v10, v10, v10, 0x6070504
	v_perm_b32 v11, v11, v11, 0x3060504
; %bb.2560:
	s_or_b32 exec_lo, exec_lo, s39
	s_or_b32 exec_lo, exec_lo, s13
	s_and_saveexec_b32 s13, s79
	s_cbranch_execz .LBB691_2457
.LBB691_2561:
	v_lshrrev_b32_e32 v2, 8, v11
	v_and_b32_e32 v3, 0xff, v11
	s_mov_b32 s39, exec_lo
	v_and_b32_e32 v2, 0xff, v2
	v_mul_lo_u16 v3, 0xcd, v3
	v_mul_lo_u16 v2, 0xcd, v2
	v_lshrrev_b16 v3, 11, v3
	v_lshrrev_b16 v2, 11, v2
	v_cmpx_lt_u16_e64 v2, v3
; %bb.2562:
	v_perm_b32 v2, v11, v11, 0x7060405
	v_mov_b32_e32 v11, v2
; %bb.2563:
	s_or_b32 exec_lo, exec_lo, s39
	s_or_b32 exec_lo, exec_lo, s13
	s_and_saveexec_b32 s13, s78
	s_cbranch_execz .LBB691_2458
.LBB691_2564:
	v_mov_b32_e32 v2, 0xff
	v_lshrrev_b32_e32 v3, 24, v11
	s_mov_b32 s39, exec_lo
	v_and_b32_sdwa v2, v11, v2 dst_sel:DWORD dst_unused:UNUSED_PAD src0_sel:WORD_1 src1_sel:DWORD
	v_mul_lo_u16 v3, 0xcd, v3
	v_mul_lo_u16 v2, 0xcd, v2
	v_lshrrev_b16 v3, 11, v3
	v_lshrrev_b16 v2, 11, v2
	v_cmpx_lt_u16_e64 v3, v2
; %bb.2565:
	v_perm_b32 v11, v11, v11, 0x6070504
; %bb.2566:
	s_or_b32 exec_lo, exec_lo, s39
	s_or_b32 exec_lo, exec_lo, s13
	s_and_saveexec_b32 s13, s76
	s_cbranch_execz .LBB691_2459
.LBB691_2567:
	v_lshrrev_b32_e32 v2, 8, v12
	v_and_b32_e32 v3, 0xff, v12
	s_mov_b32 s39, exec_lo
	v_and_b32_e32 v2, 0xff, v2
	v_mul_lo_u16 v3, 0xcd, v3
	v_mul_lo_u16 v2, 0xcd, v2
	v_lshrrev_b16 v3, 11, v3
	v_lshrrev_b16 v2, 11, v2
	v_cmpx_lt_u16_e64 v2, v3
; %bb.2568:
	v_perm_b32 v12, v12, v12, 0x7060405
	v_perm_b32 v13, v13, v13, 0x3060504
; %bb.2569:
	s_or_b32 exec_lo, exec_lo, s39
	s_or_b32 exec_lo, exec_lo, s13
	s_and_saveexec_b32 s13, s75
	s_cbranch_execz .LBB691_2460
.LBB691_2570:
	v_mov_b32_e32 v2, 0xff
	v_lshrrev_b32_e32 v3, 24, v12
	s_mov_b32 s39, exec_lo
	v_and_b32_sdwa v2, v12, v2 dst_sel:DWORD dst_unused:UNUSED_PAD src0_sel:WORD_1 src1_sel:DWORD
	v_mul_lo_u16 v3, 0xcd, v3
	v_mul_lo_u16 v2, 0xcd, v2
	v_lshrrev_b16 v3, 11, v3
	v_lshrrev_b16 v2, 11, v2
	v_cmpx_lt_u16_e64 v3, v2
; %bb.2571:
	v_perm_b32 v12, v12, v12, 0x6070504
	v_perm_b32 v13, v13, v13, 0x3060504
; %bb.2572:
	s_or_b32 exec_lo, exec_lo, s39
	s_or_b32 exec_lo, exec_lo, s13
	s_and_saveexec_b32 s13, s74
	s_cbranch_execz .LBB691_2461
.LBB691_2573:
	v_lshrrev_b32_e32 v2, 8, v13
	v_and_b32_e32 v3, 0xff, v13
	s_mov_b32 s39, exec_lo
	v_and_b32_e32 v2, 0xff, v2
	v_mul_lo_u16 v3, 0xcd, v3
	v_mul_lo_u16 v2, 0xcd, v2
	v_lshrrev_b16 v3, 11, v3
	v_lshrrev_b16 v2, 11, v2
	v_cmpx_lt_u16_e64 v2, v3
; %bb.2574:
	v_mov_b32_e32 v3, v10
	v_perm_b32 v13, v13, v13, 0x7060405
	v_mov_b32_e32 v10, v3
; %bb.2575:
	s_or_b32 exec_lo, exec_lo, s39
	s_or_b32 exec_lo, exec_lo, s13
	s_and_saveexec_b32 s13, s73
	s_cbranch_execz .LBB691_2462
.LBB691_2576:
	v_mov_b32_e32 v2, 0xff
	v_lshrrev_b32_e32 v3, 24, v13
	s_mov_b32 s39, exec_lo
	v_and_b32_sdwa v2, v13, v2 dst_sel:DWORD dst_unused:UNUSED_PAD src0_sel:WORD_1 src1_sel:DWORD
	v_mul_lo_u16 v3, 0xcd, v3
	v_mul_lo_u16 v2, 0xcd, v2
	v_lshrrev_b16 v3, 11, v3
	v_lshrrev_b16 v2, 11, v2
	v_cmpx_lt_u16_e64 v3, v2
; %bb.2577:
	v_perm_b32 v13, v13, v13, 0x6070504
; %bb.2578:
	s_or_b32 exec_lo, exec_lo, s39
	s_or_b32 exec_lo, exec_lo, s13
	s_and_saveexec_b32 s13, s72
	s_cbranch_execz .LBB691_2463
.LBB691_2579:
	v_lshrrev_b32_e32 v2, 8, v6
	v_and_b32_e32 v3, 0xff, v6
	s_mov_b32 s39, exec_lo
	v_and_b32_e32 v2, 0xff, v2
	v_mul_lo_u16 v3, 0xcd, v3
	v_mul_lo_u16 v2, 0xcd, v2
	v_lshrrev_b16 v3, 11, v3
	v_lshrrev_b16 v2, 11, v2
	v_cmpx_lt_u16_e64 v2, v3
	s_cbranch_execz .LBB691_2581
; %bb.2580:
	v_perm_b32 v2, v6, v6, 0x7060405
	v_mov_b32_e32 v3, v10
	v_mov_b32_e32 v10, v11
	v_perm_b32 v7, v7, v7, 0x3060504
	v_mov_b32_e32 v6, v2
	v_mov_b32_e32 v11, v10
	;; [unrolled: 1-line block ×3, first 2 shown]
.LBB691_2581:
	s_or_b32 exec_lo, exec_lo, s39
	s_or_b32 exec_lo, exec_lo, s13
	s_and_saveexec_b32 s13, s62
	s_cbranch_execz .LBB691_2464
.LBB691_2582:
	v_mov_b32_e32 v2, 0xff
	v_lshrrev_b32_e32 v3, 24, v6
	s_mov_b32 s39, exec_lo
	v_and_b32_sdwa v2, v6, v2 dst_sel:DWORD dst_unused:UNUSED_PAD src0_sel:WORD_1 src1_sel:DWORD
	v_mul_lo_u16 v3, 0xcd, v3
	v_mul_lo_u16 v2, 0xcd, v2
	v_lshrrev_b16 v3, 11, v3
	v_lshrrev_b16 v2, 11, v2
	v_cmpx_lt_u16_e64 v3, v2
; %bb.2583:
	v_perm_b32 v7, v7, v7, 0x3060504
	v_perm_b32 v6, v6, v6, 0x6070504
; %bb.2584:
	s_or_b32 exec_lo, exec_lo, s39
	s_or_b32 exec_lo, exec_lo, s13
	s_and_saveexec_b32 s13, s61
	s_cbranch_execz .LBB691_2465
.LBB691_2585:
	v_lshrrev_b32_e32 v2, 8, v7
	v_and_b32_e32 v3, 0xff, v7
	s_mov_b32 s39, exec_lo
	v_and_b32_e32 v2, 0xff, v2
	v_mul_lo_u16 v3, 0xcd, v3
	v_mul_lo_u16 v2, 0xcd, v2
	v_lshrrev_b16 v3, 11, v3
	v_lshrrev_b16 v2, 11, v2
	v_cmpx_lt_u16_e64 v2, v3
; %bb.2586:
	v_perm_b32 v2, v7, v7, 0x7060405
	v_mov_b32_e32 v3, v10
	v_mov_b32_e32 v10, v11
	;; [unrolled: 1-line block ×5, first 2 shown]
; %bb.2587:
	s_or_b32 exec_lo, exec_lo, s39
	s_or_b32 exec_lo, exec_lo, s13
	s_and_saveexec_b32 s13, s60
	s_cbranch_execz .LBB691_2466
.LBB691_2588:
	v_mov_b32_e32 v2, 0xff
	v_lshrrev_b32_e32 v3, 24, v7
	s_mov_b32 s39, exec_lo
	v_and_b32_sdwa v2, v7, v2 dst_sel:DWORD dst_unused:UNUSED_PAD src0_sel:WORD_1 src1_sel:DWORD
	v_mul_lo_u16 v3, 0xcd, v3
	v_mul_lo_u16 v2, 0xcd, v2
	v_lshrrev_b16 v3, 11, v3
	v_lshrrev_b16 v2, 11, v2
	v_cmpx_lt_u16_e64 v3, v2
; %bb.2589:
	v_perm_b32 v7, v7, v7, 0x6070504
; %bb.2590:
	s_or_b32 exec_lo, exec_lo, s39
	s_or_b32 exec_lo, exec_lo, s13
	s_and_saveexec_b32 s13, s59
	s_cbranch_execz .LBB691_2467
.LBB691_2591:
	v_lshrrev_b32_e32 v2, 8, v8
	v_and_b32_e32 v3, 0xff, v8
	s_mov_b32 s39, exec_lo
	v_and_b32_e32 v2, 0xff, v2
	v_mul_lo_u16 v3, 0xcd, v3
	v_mul_lo_u16 v2, 0xcd, v2
	v_lshrrev_b16 v3, 11, v3
	v_lshrrev_b16 v2, 11, v2
	v_cmpx_lt_u16_e64 v2, v3
	s_cbranch_execz .LBB691_2593
; %bb.2592:
	v_perm_b32 v2, v8, v8, 0x7060405
	v_mov_b32_e32 v3, v10
	v_mov_b32_e32 v10, v11
	v_perm_b32 v9, v9, v9, 0x3060504
	v_mov_b32_e32 v8, v2
	v_mov_b32_e32 v11, v10
	;; [unrolled: 1-line block ×3, first 2 shown]
.LBB691_2593:
	s_or_b32 exec_lo, exec_lo, s39
	s_or_b32 exec_lo, exec_lo, s13
	s_and_saveexec_b32 s13, s57
	s_cbranch_execz .LBB691_2468
.LBB691_2594:
	v_mov_b32_e32 v2, 0xff
	v_lshrrev_b32_e32 v3, 24, v8
	s_mov_b32 s39, exec_lo
	v_and_b32_sdwa v2, v8, v2 dst_sel:DWORD dst_unused:UNUSED_PAD src0_sel:WORD_1 src1_sel:DWORD
	v_mul_lo_u16 v3, 0xcd, v3
	v_mul_lo_u16 v2, 0xcd, v2
	v_lshrrev_b16 v3, 11, v3
	v_lshrrev_b16 v2, 11, v2
	v_cmpx_lt_u16_e64 v3, v2
; %bb.2595:
	v_perm_b32 v9, v9, v9, 0x3060504
	v_perm_b32 v8, v8, v8, 0x6070504
; %bb.2596:
	s_or_b32 exec_lo, exec_lo, s39
	s_or_b32 exec_lo, exec_lo, s13
	s_and_saveexec_b32 s13, s56
	s_cbranch_execz .LBB691_2469
.LBB691_2597:
	v_lshrrev_b32_e32 v2, 8, v9
	v_and_b32_e32 v3, 0xff, v9
	s_mov_b32 s39, exec_lo
	v_and_b32_e32 v2, 0xff, v2
	v_mul_lo_u16 v3, 0xcd, v3
	v_mul_lo_u16 v2, 0xcd, v2
	v_lshrrev_b16 v3, 11, v3
	v_lshrrev_b16 v2, 11, v2
	v_cmpx_lt_u16_e64 v2, v3
; %bb.2598:
	v_mov_b32_e32 v3, v10
	v_mov_b32_e32 v10, v11
	v_perm_b32 v9, v9, v9, 0x7060405
	v_mov_b32_e32 v11, v10
	v_mov_b32_e32 v10, v3
; %bb.2599:
	s_or_b32 exec_lo, exec_lo, s39
	s_or_b32 exec_lo, exec_lo, s13
	s_and_saveexec_b32 s13, s9
	s_cbranch_execz .LBB691_2470
.LBB691_2600:
	v_mov_b32_e32 v2, 0xff
	v_lshrrev_b32_e32 v3, 24, v9
	s_mov_b32 s39, exec_lo
	v_and_b32_sdwa v2, v9, v2 dst_sel:DWORD dst_unused:UNUSED_PAD src0_sel:WORD_1 src1_sel:DWORD
	v_mul_lo_u16 v3, 0xcd, v3
	v_mul_lo_u16 v2, 0xcd, v2
	v_lshrrev_b16 v3, 11, v3
	v_lshrrev_b16 v2, 11, v2
	v_cmpx_lt_u16_e64 v3, v2
; %bb.2601:
	v_perm_b32 v9, v9, v9, 0x6070504
; %bb.2602:
	s_or_b32 exec_lo, exec_lo, s39
	s_or_b32 exec_lo, exec_lo, s13
	s_and_saveexec_b32 s13, vcc_lo
	s_cbranch_execz .LBB691_2471
.LBB691_2603:
	v_mov_b32_e32 v2, 0xff
	v_lshrrev_b32_e32 v3, 8, v10
	s_mov_b32 s39, exec_lo
	v_and_b32_sdwa v2, v10, v2 dst_sel:DWORD dst_unused:UNUSED_PAD src0_sel:WORD_1 src1_sel:DWORD
	v_and_b32_e32 v3, 0xff, v3
	v_mul_lo_u16 v2, 0xcd, v2
	v_mul_lo_u16 v3, 0xcd, v3
	v_lshrrev_b16 v2, 11, v2
	v_lshrrev_b16 v3, 11, v3
	v_cmpx_lt_u16_e64 v2, v3
; %bb.2604:
	v_perm_b32 v10, v10, v10, 0x7050604
	v_perm_b32 v11, v11, v11, 0x3060504
; %bb.2605:
	s_or_b32 exec_lo, exec_lo, s39
	s_or_b32 exec_lo, exec_lo, s13
	s_and_saveexec_b32 s13, s8
	s_cbranch_execz .LBB691_2472
.LBB691_2606:
	v_and_b32_e32 v2, 0xff, v11
	v_lshrrev_b32_e32 v3, 24, v10
	s_mov_b32 s39, exec_lo
	v_mul_lo_u16 v2, 0xcd, v2
	v_mul_lo_u16 v3, 0xcd, v3
	v_lshrrev_b16 v2, 11, v2
	v_lshrrev_b16 v3, 11, v3
	v_cmpx_lt_u16_e64 v2, v3
; %bb.2607:
	v_perm_b32 v2, v10, v11, 0x3020107
	v_perm_b32 v10, v10, v11, 0x60504
	v_mov_b32_e32 v11, v2
; %bb.2608:
	s_or_b32 exec_lo, exec_lo, s39
	s_or_b32 exec_lo, exec_lo, s13
	s_and_saveexec_b32 s13, s58
	s_cbranch_execz .LBB691_2473
.LBB691_2609:
	v_mov_b32_e32 v2, 0xff
	v_lshrrev_b32_e32 v3, 8, v11
	s_mov_b32 s39, exec_lo
	v_and_b32_sdwa v2, v11, v2 dst_sel:DWORD dst_unused:UNUSED_PAD src0_sel:WORD_1 src1_sel:DWORD
	v_and_b32_e32 v3, 0xff, v3
	v_mul_lo_u16 v2, 0xcd, v2
	v_mul_lo_u16 v3, 0xcd, v3
	v_lshrrev_b16 v2, 11, v2
	v_lshrrev_b16 v3, 11, v3
	v_cmpx_lt_u16_e64 v2, v3
; %bb.2610:
	v_perm_b32 v11, v11, v11, 0x7050604
; %bb.2611:
	s_or_b32 exec_lo, exec_lo, s39
	s_or_b32 exec_lo, exec_lo, s13
	s_and_saveexec_b32 s13, s63
	s_cbranch_execz .LBB691_2474
.LBB691_2612:
	v_and_b32_e32 v2, 0xff, v12
	v_lshrrev_b32_e32 v3, 24, v11
	s_mov_b32 s39, exec_lo
	v_mul_lo_u16 v2, 0xcd, v2
	v_mul_lo_u16 v3, 0xcd, v3
	v_lshrrev_b16 v2, 11, v2
	v_lshrrev_b16 v3, 11, v3
	v_cmpx_lt_u16_e64 v2, v3
	s_cbranch_execz .LBB691_2614
; %bb.2613:
	v_perm_b32 v2, v11, v12, 0x3020107
	v_mov_b32_e32 v3, v10
	v_perm_b32 v10, v11, v12, 0x60504
	v_perm_b32 v13, v13, v13, 0x3060504
	v_mov_b32_e32 v12, v2
	v_mov_b32_e32 v11, v10
	;; [unrolled: 1-line block ×3, first 2 shown]
.LBB691_2614:
	s_or_b32 exec_lo, exec_lo, s39
	s_or_b32 exec_lo, exec_lo, s13
	s_and_saveexec_b32 s13, s77
	s_cbranch_execz .LBB691_2475
.LBB691_2615:
	v_mov_b32_e32 v2, 0xff
	v_lshrrev_b32_e32 v3, 8, v12
	s_mov_b32 s39, exec_lo
	v_and_b32_sdwa v2, v12, v2 dst_sel:DWORD dst_unused:UNUSED_PAD src0_sel:WORD_1 src1_sel:DWORD
	v_and_b32_e32 v3, 0xff, v3
	v_mul_lo_u16 v2, 0xcd, v2
	v_mul_lo_u16 v3, 0xcd, v3
	v_lshrrev_b16 v2, 11, v2
	v_lshrrev_b16 v3, 11, v3
	v_cmpx_lt_u16_e64 v2, v3
; %bb.2616:
	v_perm_b32 v12, v12, v12, 0x7050604
	v_perm_b32 v13, v13, v13, 0x3060504
; %bb.2617:
	s_or_b32 exec_lo, exec_lo, s39
	s_or_b32 exec_lo, exec_lo, s13
	s_and_saveexec_b32 s13, s89
	s_cbranch_execz .LBB691_2476
.LBB691_2618:
	v_and_b32_e32 v2, 0xff, v13
	v_lshrrev_b32_e32 v3, 24, v12
	s_mov_b32 s39, exec_lo
	v_mul_lo_u16 v2, 0xcd, v2
	v_mul_lo_u16 v3, 0xcd, v3
	v_lshrrev_b16 v2, 11, v2
	v_lshrrev_b16 v3, 11, v3
	v_cmpx_lt_u16_e64 v2, v3
; %bb.2619:
	v_perm_b32 v2, v12, v13, 0x3020107
	v_perm_b32 v12, v12, v13, 0x60504
	v_mov_b32_e32 v13, v2
; %bb.2620:
	s_or_b32 exec_lo, exec_lo, s39
	s_or_b32 exec_lo, exec_lo, s13
	s_and_saveexec_b32 s13, s90
	s_cbranch_execz .LBB691_2477
.LBB691_2621:
	v_mov_b32_e32 v2, 0xff
	v_lshrrev_b32_e32 v3, 8, v13
	s_mov_b32 s39, exec_lo
	v_and_b32_sdwa v2, v13, v2 dst_sel:DWORD dst_unused:UNUSED_PAD src0_sel:WORD_1 src1_sel:DWORD
	v_and_b32_e32 v3, 0xff, v3
	v_mul_lo_u16 v2, 0xcd, v2
	v_mul_lo_u16 v3, 0xcd, v3
	v_lshrrev_b16 v2, 11, v2
	v_lshrrev_b16 v3, 11, v3
	v_cmpx_lt_u16_e64 v2, v3
; %bb.2622:
	v_perm_b32 v13, v13, v13, 0x7050604
; %bb.2623:
	s_or_b32 exec_lo, exec_lo, s39
	s_or_b32 exec_lo, exec_lo, s13
	s_and_saveexec_b32 s13, s92
	s_cbranch_execz .LBB691_2478
.LBB691_2624:
	v_and_b32_e32 v2, 0xff, v6
	v_lshrrev_b32_e32 v3, 24, v13
	s_mov_b32 s39, exec_lo
	v_mul_lo_u16 v2, 0xcd, v2
	v_mul_lo_u16 v3, 0xcd, v3
	v_lshrrev_b16 v2, 11, v2
	v_lshrrev_b16 v3, 11, v3
	v_cmpx_lt_u16_e64 v2, v3
; %bb.2625:
	v_perm_b32 v2, v13, v6, 0x3020107
	v_mov_b32_e32 v3, v10
	v_perm_b32 v7, v7, v7, 0x3060504
	v_perm_b32 v13, v13, v6, 0x60504
	v_mov_b32_e32 v6, v2
	v_mov_b32_e32 v10, v3
; %bb.2626:
	s_or_b32 exec_lo, exec_lo, s39
	s_or_b32 exec_lo, exec_lo, s13
	s_and_saveexec_b32 s13, s93
	s_cbranch_execz .LBB691_2479
.LBB691_2627:
	v_mov_b32_e32 v2, 0xff
	v_lshrrev_b32_e32 v3, 8, v6
	s_mov_b32 s39, exec_lo
	v_and_b32_sdwa v2, v6, v2 dst_sel:DWORD dst_unused:UNUSED_PAD src0_sel:WORD_1 src1_sel:DWORD
	v_and_b32_e32 v3, 0xff, v3
	v_mul_lo_u16 v2, 0xcd, v2
	v_mul_lo_u16 v3, 0xcd, v3
	v_lshrrev_b16 v2, 11, v2
	v_lshrrev_b16 v3, 11, v3
	v_cmpx_lt_u16_e64 v2, v3
; %bb.2628:
	v_perm_b32 v7, v7, v7, 0x3060504
	v_perm_b32 v6, v6, v6, 0x7050604
; %bb.2629:
	s_or_b32 exec_lo, exec_lo, s39
	s_or_b32 exec_lo, exec_lo, s13
	s_and_saveexec_b32 s13, s94
	s_cbranch_execz .LBB691_2480
.LBB691_2630:
	v_and_b32_e32 v2, 0xff, v7
	v_lshrrev_b32_e32 v3, 24, v6
	s_mov_b32 s39, exec_lo
	v_mul_lo_u16 v2, 0xcd, v2
	v_mul_lo_u16 v3, 0xcd, v3
	v_lshrrev_b16 v2, 11, v2
	v_lshrrev_b16 v3, 11, v3
	v_cmpx_lt_u16_e64 v2, v3
	s_cbranch_execz .LBB691_2632
; %bb.2631:
	v_perm_b32 v2, v6, v7, 0x3020107
	v_mov_b32_e32 v3, v10
	v_mov_b32_e32 v10, v11
	v_perm_b32 v6, v6, v7, 0x60504
	v_mov_b32_e32 v7, v2
	v_mov_b32_e32 v11, v10
	v_mov_b32_e32 v10, v3
.LBB691_2632:
	s_or_b32 exec_lo, exec_lo, s39
	s_or_b32 exec_lo, exec_lo, s13
	s_and_saveexec_b32 s13, s95
	s_cbranch_execz .LBB691_2481
.LBB691_2633:
	v_mov_b32_e32 v2, 0xff
	v_lshrrev_b32_e32 v3, 8, v7
	s_mov_b32 s39, exec_lo
	v_and_b32_sdwa v2, v7, v2 dst_sel:DWORD dst_unused:UNUSED_PAD src0_sel:WORD_1 src1_sel:DWORD
	v_and_b32_e32 v3, 0xff, v3
	v_mul_lo_u16 v2, 0xcd, v2
	v_mul_lo_u16 v3, 0xcd, v3
	v_lshrrev_b16 v2, 11, v2
	v_lshrrev_b16 v3, 11, v3
	v_cmpx_lt_u16_e64 v2, v3
; %bb.2634:
	v_perm_b32 v7, v7, v7, 0x7050604
; %bb.2635:
	s_or_b32 exec_lo, exec_lo, s39
	s_or_b32 exec_lo, exec_lo, s13
	s_and_saveexec_b32 s13, vcc_hi
	s_cbranch_execz .LBB691_2482
.LBB691_2636:
	v_and_b32_e32 v2, 0xff, v8
	v_lshrrev_b32_e32 v3, 24, v7
	s_mov_b32 s39, exec_lo
	v_mul_lo_u16 v2, 0xcd, v2
	v_mul_lo_u16 v3, 0xcd, v3
	v_lshrrev_b16 v2, 11, v2
	v_lshrrev_b16 v3, 11, v3
	v_cmpx_lt_u16_e64 v2, v3
	s_cbranch_execz .LBB691_2638
; %bb.2637:
	v_perm_b32 v2, v7, v8, 0x3020107
	v_mov_b32_e32 v3, v10
	v_mov_b32_e32 v10, v11
	v_perm_b32 v9, v9, v9, 0x3060504
	v_perm_b32 v7, v7, v8, 0x60504
	v_mov_b32_e32 v8, v2
	v_mov_b32_e32 v11, v10
	v_mov_b32_e32 v10, v3
.LBB691_2638:
	s_or_b32 exec_lo, exec_lo, s39
	s_or_b32 exec_lo, exec_lo, s13
	s_and_saveexec_b32 s13, s30
	s_cbranch_execz .LBB691_2483
.LBB691_2639:
	v_mov_b32_e32 v2, 0xff
	v_lshrrev_b32_e32 v3, 8, v8
	s_mov_b32 s39, exec_lo
	v_and_b32_sdwa v2, v8, v2 dst_sel:DWORD dst_unused:UNUSED_PAD src0_sel:WORD_1 src1_sel:DWORD
	v_and_b32_e32 v3, 0xff, v3
	v_mul_lo_u16 v2, 0xcd, v2
	v_mul_lo_u16 v3, 0xcd, v3
	v_lshrrev_b16 v2, 11, v2
	v_lshrrev_b16 v3, 11, v3
	v_cmpx_lt_u16_e64 v2, v3
; %bb.2640:
	v_perm_b32 v9, v9, v9, 0x3060504
	v_perm_b32 v8, v8, v8, 0x7050604
; %bb.2641:
	s_or_b32 exec_lo, exec_lo, s39
	s_or_b32 exec_lo, exec_lo, s13
	s_and_saveexec_b32 s13, s31
	s_cbranch_execz .LBB691_2484
.LBB691_2642:
	v_and_b32_e32 v2, 0xff, v9
	v_lshrrev_b32_e32 v3, 24, v8
	s_mov_b32 s39, exec_lo
	v_mul_lo_u16 v2, 0xcd, v2
	v_mul_lo_u16 v3, 0xcd, v3
	v_lshrrev_b16 v2, 11, v2
	v_lshrrev_b16 v3, 11, v3
	v_cmpx_lt_u16_e64 v2, v3
	s_cbranch_execz .LBB691_2644
; %bb.2643:
	v_perm_b32 v2, v8, v9, 0x3020107
	v_mov_b32_e32 v3, v10
	v_mov_b32_e32 v10, v11
	v_perm_b32 v8, v8, v9, 0x60504
	v_mov_b32_e32 v9, v2
	v_mov_b32_e32 v11, v10
	;; [unrolled: 1-line block ×3, first 2 shown]
.LBB691_2644:
	s_or_b32 exec_lo, exec_lo, s39
	s_or_b32 exec_lo, exec_lo, s13
	s_and_saveexec_b32 s13, s34
	s_cbranch_execz .LBB691_2485
.LBB691_2645:
	v_mov_b32_e32 v2, 0xff
	v_lshrrev_b32_e32 v3, 8, v9
	s_mov_b32 s39, exec_lo
	v_and_b32_sdwa v2, v9, v2 dst_sel:DWORD dst_unused:UNUSED_PAD src0_sel:WORD_1 src1_sel:DWORD
	v_and_b32_e32 v3, 0xff, v3
	v_mul_lo_u16 v2, 0xcd, v2
	v_mul_lo_u16 v3, 0xcd, v3
	v_lshrrev_b16 v2, 11, v2
	v_lshrrev_b16 v3, 11, v3
	v_cmpx_lt_u16_e64 v2, v3
; %bb.2646:
	v_perm_b32 v9, v9, v9, 0x7050604
; %bb.2647:
	s_or_b32 exec_lo, exec_lo, s39
	s_or_b32 exec_lo, exec_lo, s13
	s_and_saveexec_b32 s13, s91
	s_cbranch_execz .LBB691_2486
.LBB691_2648:
	v_lshrrev_b32_e32 v2, 8, v10
	v_and_b32_e32 v3, 0xff, v10
	s_mov_b32 s91, exec_lo
	v_and_b32_e32 v2, 0xff, v2
	v_mul_lo_u16 v3, 0xcd, v3
	v_mul_lo_u16 v2, 0xcd, v2
	v_lshrrev_b16 v3, 11, v3
	v_lshrrev_b16 v2, 11, v2
	v_cmpx_lt_u16_e64 v2, v3
; %bb.2649:
	v_perm_b32 v2, v10, v10, 0x7060405
	v_perm_b32 v11, v11, v11, 0x3060504
	v_mov_b32_e32 v10, v2
; %bb.2650:
	s_or_b32 exec_lo, exec_lo, s91
	s_or_b32 exec_lo, exec_lo, s13
	s_and_saveexec_b32 s13, s88
	s_cbranch_execz .LBB691_2487
.LBB691_2651:
	v_mov_b32_e32 v2, 0xff
	v_lshrrev_b32_e32 v3, 24, v10
	s_mov_b32 s88, exec_lo
	v_and_b32_sdwa v2, v10, v2 dst_sel:DWORD dst_unused:UNUSED_PAD src0_sel:WORD_1 src1_sel:DWORD
	v_mul_lo_u16 v3, 0xcd, v3
	v_mul_lo_u16 v2, 0xcd, v2
	v_lshrrev_b16 v3, 11, v3
	v_lshrrev_b16 v2, 11, v2
	v_cmpx_lt_u16_e64 v3, v2
; %bb.2652:
	v_perm_b32 v10, v10, v10, 0x6070504
	v_perm_b32 v11, v11, v11, 0x3060504
; %bb.2653:
	s_or_b32 exec_lo, exec_lo, s88
	s_or_b32 exec_lo, exec_lo, s13
	s_and_saveexec_b32 s13, s79
	s_cbranch_execz .LBB691_2488
.LBB691_2654:
	v_lshrrev_b32_e32 v2, 8, v11
	v_and_b32_e32 v3, 0xff, v11
	s_mov_b32 s79, exec_lo
	v_and_b32_e32 v2, 0xff, v2
	v_mul_lo_u16 v3, 0xcd, v3
	v_mul_lo_u16 v2, 0xcd, v2
	v_lshrrev_b16 v3, 11, v3
	v_lshrrev_b16 v2, 11, v2
	v_cmpx_lt_u16_e64 v2, v3
; %bb.2655:
	v_perm_b32 v2, v11, v11, 0x7060405
	v_mov_b32_e32 v11, v2
; %bb.2656:
	s_or_b32 exec_lo, exec_lo, s79
	s_or_b32 exec_lo, exec_lo, s13
	s_and_saveexec_b32 s13, s78
	s_cbranch_execz .LBB691_2489
.LBB691_2657:
	v_mov_b32_e32 v2, 0xff
	v_lshrrev_b32_e32 v3, 24, v11
	s_mov_b32 s78, exec_lo
	v_and_b32_sdwa v2, v11, v2 dst_sel:DWORD dst_unused:UNUSED_PAD src0_sel:WORD_1 src1_sel:DWORD
	v_mul_lo_u16 v3, 0xcd, v3
	v_mul_lo_u16 v2, 0xcd, v2
	v_lshrrev_b16 v3, 11, v3
	v_lshrrev_b16 v2, 11, v2
	v_cmpx_lt_u16_e64 v3, v2
; %bb.2658:
	v_perm_b32 v11, v11, v11, 0x6070504
; %bb.2659:
	s_or_b32 exec_lo, exec_lo, s78
	s_or_b32 exec_lo, exec_lo, s13
	s_and_saveexec_b32 s13, s76
	s_cbranch_execz .LBB691_2490
.LBB691_2660:
	v_lshrrev_b32_e32 v2, 8, v12
	v_and_b32_e32 v3, 0xff, v12
	s_mov_b32 s76, exec_lo
	v_and_b32_e32 v2, 0xff, v2
	v_mul_lo_u16 v3, 0xcd, v3
	v_mul_lo_u16 v2, 0xcd, v2
	v_lshrrev_b16 v3, 11, v3
	v_lshrrev_b16 v2, 11, v2
	v_cmpx_lt_u16_e64 v2, v3
; %bb.2661:
	v_perm_b32 v12, v12, v12, 0x7060405
	v_perm_b32 v13, v13, v13, 0x3060504
; %bb.2662:
	s_or_b32 exec_lo, exec_lo, s76
	s_or_b32 exec_lo, exec_lo, s13
	s_and_saveexec_b32 s13, s75
	s_cbranch_execz .LBB691_2491
.LBB691_2663:
	v_mov_b32_e32 v2, 0xff
	v_lshrrev_b32_e32 v3, 24, v12
	s_mov_b32 s75, exec_lo
	v_and_b32_sdwa v2, v12, v2 dst_sel:DWORD dst_unused:UNUSED_PAD src0_sel:WORD_1 src1_sel:DWORD
	v_mul_lo_u16 v3, 0xcd, v3
	v_mul_lo_u16 v2, 0xcd, v2
	v_lshrrev_b16 v3, 11, v3
	v_lshrrev_b16 v2, 11, v2
	v_cmpx_lt_u16_e64 v3, v2
; %bb.2664:
	v_perm_b32 v12, v12, v12, 0x6070504
	v_perm_b32 v13, v13, v13, 0x3060504
; %bb.2665:
	s_or_b32 exec_lo, exec_lo, s75
	s_or_b32 exec_lo, exec_lo, s13
	s_and_saveexec_b32 s13, s74
	s_cbranch_execz .LBB691_2492
.LBB691_2666:
	v_lshrrev_b32_e32 v2, 8, v13
	v_and_b32_e32 v3, 0xff, v13
	s_mov_b32 s74, exec_lo
	v_and_b32_e32 v2, 0xff, v2
	v_mul_lo_u16 v3, 0xcd, v3
	v_mul_lo_u16 v2, 0xcd, v2
	v_lshrrev_b16 v3, 11, v3
	v_lshrrev_b16 v2, 11, v2
	v_cmpx_lt_u16_e64 v2, v3
; %bb.2667:
	v_mov_b32_e32 v3, v10
	v_perm_b32 v13, v13, v13, 0x7060405
	v_mov_b32_e32 v10, v3
; %bb.2668:
	s_or_b32 exec_lo, exec_lo, s74
	s_or_b32 exec_lo, exec_lo, s13
	s_and_saveexec_b32 s13, s73
	s_cbranch_execz .LBB691_2493
.LBB691_2669:
	v_mov_b32_e32 v2, 0xff
	v_lshrrev_b32_e32 v3, 24, v13
	s_mov_b32 s73, exec_lo
	v_and_b32_sdwa v2, v13, v2 dst_sel:DWORD dst_unused:UNUSED_PAD src0_sel:WORD_1 src1_sel:DWORD
	v_mul_lo_u16 v3, 0xcd, v3
	v_mul_lo_u16 v2, 0xcd, v2
	v_lshrrev_b16 v3, 11, v3
	v_lshrrev_b16 v2, 11, v2
	v_cmpx_lt_u16_e64 v3, v2
; %bb.2670:
	v_perm_b32 v13, v13, v13, 0x6070504
; %bb.2671:
	s_or_b32 exec_lo, exec_lo, s73
	s_or_b32 exec_lo, exec_lo, s13
	s_and_saveexec_b32 s13, s72
	s_cbranch_execz .LBB691_2494
.LBB691_2672:
	v_lshrrev_b32_e32 v2, 8, v6
	v_and_b32_e32 v3, 0xff, v6
	s_mov_b32 s72, exec_lo
	v_and_b32_e32 v2, 0xff, v2
	v_mul_lo_u16 v3, 0xcd, v3
	v_mul_lo_u16 v2, 0xcd, v2
	v_lshrrev_b16 v3, 11, v3
	v_lshrrev_b16 v2, 11, v2
	v_cmpx_lt_u16_e64 v2, v3
	s_cbranch_execz .LBB691_2674
; %bb.2673:
	v_perm_b32 v2, v6, v6, 0x7060405
	v_mov_b32_e32 v3, v10
	v_mov_b32_e32 v10, v11
	v_perm_b32 v7, v7, v7, 0x3060504
	v_mov_b32_e32 v6, v2
	v_mov_b32_e32 v11, v10
	;; [unrolled: 1-line block ×3, first 2 shown]
.LBB691_2674:
	s_or_b32 exec_lo, exec_lo, s72
	s_or_b32 exec_lo, exec_lo, s13
	s_and_saveexec_b32 s13, s62
	s_cbranch_execz .LBB691_2495
.LBB691_2675:
	v_mov_b32_e32 v2, 0xff
	v_lshrrev_b32_e32 v3, 24, v6
	s_mov_b32 s62, exec_lo
	v_and_b32_sdwa v2, v6, v2 dst_sel:DWORD dst_unused:UNUSED_PAD src0_sel:WORD_1 src1_sel:DWORD
	v_mul_lo_u16 v3, 0xcd, v3
	v_mul_lo_u16 v2, 0xcd, v2
	v_lshrrev_b16 v3, 11, v3
	v_lshrrev_b16 v2, 11, v2
	v_cmpx_lt_u16_e64 v3, v2
; %bb.2676:
	v_perm_b32 v7, v7, v7, 0x3060504
	v_perm_b32 v6, v6, v6, 0x6070504
; %bb.2677:
	s_or_b32 exec_lo, exec_lo, s62
	s_or_b32 exec_lo, exec_lo, s13
	s_and_saveexec_b32 s13, s61
	s_cbranch_execz .LBB691_2496
.LBB691_2678:
	v_lshrrev_b32_e32 v2, 8, v7
	v_and_b32_e32 v3, 0xff, v7
	s_mov_b32 s61, exec_lo
	v_and_b32_e32 v2, 0xff, v2
	v_mul_lo_u16 v3, 0xcd, v3
	v_mul_lo_u16 v2, 0xcd, v2
	v_lshrrev_b16 v3, 11, v3
	v_lshrrev_b16 v2, 11, v2
	v_cmpx_lt_u16_e64 v2, v3
; %bb.2679:
	v_perm_b32 v2, v7, v7, 0x7060405
	v_mov_b32_e32 v3, v10
	v_mov_b32_e32 v10, v11
	;; [unrolled: 1-line block ×5, first 2 shown]
; %bb.2680:
	s_or_b32 exec_lo, exec_lo, s61
	s_or_b32 exec_lo, exec_lo, s13
	s_and_saveexec_b32 s13, s60
	s_cbranch_execz .LBB691_2497
.LBB691_2681:
	v_mov_b32_e32 v2, 0xff
	v_lshrrev_b32_e32 v3, 24, v7
	s_mov_b32 s60, exec_lo
	v_and_b32_sdwa v2, v7, v2 dst_sel:DWORD dst_unused:UNUSED_PAD src0_sel:WORD_1 src1_sel:DWORD
	v_mul_lo_u16 v3, 0xcd, v3
	v_mul_lo_u16 v2, 0xcd, v2
	v_lshrrev_b16 v3, 11, v3
	v_lshrrev_b16 v2, 11, v2
	v_cmpx_lt_u16_e64 v3, v2
; %bb.2682:
	v_perm_b32 v7, v7, v7, 0x6070504
; %bb.2683:
	s_or_b32 exec_lo, exec_lo, s60
	s_or_b32 exec_lo, exec_lo, s13
	s_and_saveexec_b32 s13, s59
	s_cbranch_execz .LBB691_2498
.LBB691_2684:
	v_lshrrev_b32_e32 v2, 8, v8
	v_and_b32_e32 v3, 0xff, v8
	s_mov_b32 s59, exec_lo
	v_and_b32_e32 v2, 0xff, v2
	v_mul_lo_u16 v3, 0xcd, v3
	v_mul_lo_u16 v2, 0xcd, v2
	v_lshrrev_b16 v3, 11, v3
	v_lshrrev_b16 v2, 11, v2
	v_cmpx_lt_u16_e64 v2, v3
	s_cbranch_execz .LBB691_2686
; %bb.2685:
	v_perm_b32 v2, v8, v8, 0x7060405
	v_mov_b32_e32 v3, v10
	v_mov_b32_e32 v10, v11
	v_perm_b32 v9, v9, v9, 0x3060504
	v_mov_b32_e32 v8, v2
	v_mov_b32_e32 v11, v10
	;; [unrolled: 1-line block ×3, first 2 shown]
.LBB691_2686:
	s_or_b32 exec_lo, exec_lo, s59
	s_or_b32 exec_lo, exec_lo, s13
	s_and_saveexec_b32 s13, s57
	s_cbranch_execz .LBB691_2499
.LBB691_2687:
	v_mov_b32_e32 v2, 0xff
	v_lshrrev_b32_e32 v3, 24, v8
	s_mov_b32 s57, exec_lo
	v_and_b32_sdwa v2, v8, v2 dst_sel:DWORD dst_unused:UNUSED_PAD src0_sel:WORD_1 src1_sel:DWORD
	v_mul_lo_u16 v3, 0xcd, v3
	v_mul_lo_u16 v2, 0xcd, v2
	v_lshrrev_b16 v3, 11, v3
	v_lshrrev_b16 v2, 11, v2
	v_cmpx_lt_u16_e64 v3, v2
; %bb.2688:
	v_perm_b32 v9, v9, v9, 0x3060504
	v_perm_b32 v8, v8, v8, 0x6070504
; %bb.2689:
	s_or_b32 exec_lo, exec_lo, s57
	s_or_b32 exec_lo, exec_lo, s13
	s_and_saveexec_b32 s13, s56
	s_cbranch_execz .LBB691_2500
.LBB691_2690:
	v_lshrrev_b32_e32 v2, 8, v9
	v_and_b32_e32 v3, 0xff, v9
	s_mov_b32 s56, exec_lo
	v_and_b32_e32 v2, 0xff, v2
	v_mul_lo_u16 v3, 0xcd, v3
	v_mul_lo_u16 v2, 0xcd, v2
	v_lshrrev_b16 v3, 11, v3
	v_lshrrev_b16 v2, 11, v2
	v_cmpx_lt_u16_e64 v2, v3
; %bb.2691:
	v_mov_b32_e32 v3, v10
	v_mov_b32_e32 v10, v11
	v_perm_b32 v9, v9, v9, 0x7060405
	v_mov_b32_e32 v11, v10
	v_mov_b32_e32 v10, v3
; %bb.2692:
	s_or_b32 exec_lo, exec_lo, s56
	s_or_b32 exec_lo, exec_lo, s13
	s_and_saveexec_b32 s12, s9
	s_cbranch_execz .LBB691_2501
.LBB691_2693:
	v_mov_b32_e32 v2, 0xff
	v_lshrrev_b32_e32 v3, 24, v9
	s_mov_b32 s13, exec_lo
	v_and_b32_sdwa v2, v9, v2 dst_sel:DWORD dst_unused:UNUSED_PAD src0_sel:WORD_1 src1_sel:DWORD
	v_mul_lo_u16 v3, 0xcd, v3
	v_mul_lo_u16 v2, 0xcd, v2
	v_lshrrev_b16 v3, 11, v3
	v_lshrrev_b16 v2, 11, v2
	v_cmpx_lt_u16_e64 v3, v2
; %bb.2694:
	v_perm_b32 v9, v9, v9, 0x6070504
; %bb.2695:
	s_or_b32 exec_lo, exec_lo, s13
	s_or_b32 exec_lo, exec_lo, s12
	s_and_saveexec_b32 s9, vcc_lo
	s_cbranch_execz .LBB691_2502
.LBB691_2696:
	v_mov_b32_e32 v2, 0xff
	v_lshrrev_b32_e32 v3, 8, v10
	s_mov_b32 s12, exec_lo
	v_and_b32_sdwa v2, v10, v2 dst_sel:DWORD dst_unused:UNUSED_PAD src0_sel:WORD_1 src1_sel:DWORD
	v_and_b32_e32 v3, 0xff, v3
	v_mul_lo_u16 v2, 0xcd, v2
	v_mul_lo_u16 v3, 0xcd, v3
	v_lshrrev_b16 v2, 11, v2
	v_lshrrev_b16 v3, 11, v3
	v_cmpx_lt_u16_e64 v2, v3
; %bb.2697:
	v_perm_b32 v10, v10, v10, 0x7050604
	v_perm_b32 v11, v11, v11, 0x3060504
; %bb.2698:
	s_or_b32 exec_lo, exec_lo, s12
	s_or_b32 exec_lo, exec_lo, s9
	s_and_saveexec_b32 s9, s8
	s_cbranch_execz .LBB691_2503
.LBB691_2699:
	v_and_b32_e32 v2, 0xff, v11
	v_lshrrev_b32_e32 v3, 24, v10
	s_mov_b32 s8, exec_lo
	v_mul_lo_u16 v2, 0xcd, v2
	v_mul_lo_u16 v3, 0xcd, v3
	v_lshrrev_b16 v2, 11, v2
	v_lshrrev_b16 v3, 11, v3
	v_cmpx_lt_u16_e64 v2, v3
; %bb.2700:
	v_perm_b32 v2, v10, v11, 0x3020107
	v_perm_b32 v10, v10, v11, 0x60504
	v_mov_b32_e32 v11, v2
; %bb.2701:
	s_or_b32 exec_lo, exec_lo, s8
	s_or_b32 exec_lo, exec_lo, s9
	s_and_saveexec_b32 s8, s58
	s_cbranch_execz .LBB691_2504
.LBB691_2702:
	v_mov_b32_e32 v2, 0xff
	v_lshrrev_b32_e32 v3, 8, v11
	s_mov_b32 s9, exec_lo
	v_and_b32_sdwa v2, v11, v2 dst_sel:DWORD dst_unused:UNUSED_PAD src0_sel:WORD_1 src1_sel:DWORD
	v_and_b32_e32 v3, 0xff, v3
	v_mul_lo_u16 v2, 0xcd, v2
	v_mul_lo_u16 v3, 0xcd, v3
	v_lshrrev_b16 v2, 11, v2
	v_lshrrev_b16 v3, 11, v3
	v_cmpx_lt_u16_e64 v2, v3
; %bb.2703:
	v_perm_b32 v11, v11, v11, 0x7050604
; %bb.2704:
	s_or_b32 exec_lo, exec_lo, s9
	s_or_b32 exec_lo, exec_lo, s8
	s_and_saveexec_b32 s8, s63
	s_cbranch_execz .LBB691_2505
.LBB691_2705:
	v_and_b32_e32 v2, 0xff, v12
	v_lshrrev_b32_e32 v3, 24, v11
	s_mov_b32 s9, exec_lo
	v_mul_lo_u16 v2, 0xcd, v2
	v_mul_lo_u16 v3, 0xcd, v3
	v_lshrrev_b16 v2, 11, v2
	v_lshrrev_b16 v3, 11, v3
	v_cmpx_lt_u16_e64 v2, v3
	s_cbranch_execz .LBB691_2707
; %bb.2706:
	v_perm_b32 v2, v11, v12, 0x3020107
	v_mov_b32_e32 v3, v10
	v_perm_b32 v10, v11, v12, 0x60504
	v_perm_b32 v13, v13, v13, 0x3060504
	v_mov_b32_e32 v12, v2
	v_mov_b32_e32 v11, v10
	;; [unrolled: 1-line block ×3, first 2 shown]
.LBB691_2707:
	s_or_b32 exec_lo, exec_lo, s9
	s_or_b32 exec_lo, exec_lo, s8
	s_and_saveexec_b32 s8, s77
	s_cbranch_execz .LBB691_2506
.LBB691_2708:
	v_mov_b32_e32 v2, 0xff
	v_lshrrev_b32_e32 v3, 8, v12
	s_mov_b32 s9, exec_lo
	v_and_b32_sdwa v2, v12, v2 dst_sel:DWORD dst_unused:UNUSED_PAD src0_sel:WORD_1 src1_sel:DWORD
	v_and_b32_e32 v3, 0xff, v3
	v_mul_lo_u16 v2, 0xcd, v2
	v_mul_lo_u16 v3, 0xcd, v3
	v_lshrrev_b16 v2, 11, v2
	v_lshrrev_b16 v3, 11, v3
	v_cmpx_lt_u16_e64 v2, v3
; %bb.2709:
	v_perm_b32 v12, v12, v12, 0x7050604
	v_perm_b32 v13, v13, v13, 0x3060504
; %bb.2710:
	s_or_b32 exec_lo, exec_lo, s9
	s_or_b32 exec_lo, exec_lo, s8
	s_and_saveexec_b32 s8, s89
	s_cbranch_execz .LBB691_2507
.LBB691_2711:
	v_and_b32_e32 v2, 0xff, v13
	v_lshrrev_b32_e32 v3, 24, v12
	s_mov_b32 s9, exec_lo
	v_mul_lo_u16 v2, 0xcd, v2
	v_mul_lo_u16 v3, 0xcd, v3
	v_lshrrev_b16 v2, 11, v2
	v_lshrrev_b16 v3, 11, v3
	v_cmpx_lt_u16_e64 v2, v3
; %bb.2712:
	v_perm_b32 v2, v12, v13, 0x3020107
	v_perm_b32 v12, v12, v13, 0x60504
	v_mov_b32_e32 v13, v2
; %bb.2713:
	s_or_b32 exec_lo, exec_lo, s9
	s_or_b32 exec_lo, exec_lo, s8
	s_and_saveexec_b32 s8, s90
	s_cbranch_execz .LBB691_2508
.LBB691_2714:
	v_mov_b32_e32 v2, 0xff
	v_lshrrev_b32_e32 v3, 8, v13
	s_mov_b32 s9, exec_lo
	v_and_b32_sdwa v2, v13, v2 dst_sel:DWORD dst_unused:UNUSED_PAD src0_sel:WORD_1 src1_sel:DWORD
	v_and_b32_e32 v3, 0xff, v3
	v_mul_lo_u16 v2, 0xcd, v2
	v_mul_lo_u16 v3, 0xcd, v3
	v_lshrrev_b16 v2, 11, v2
	v_lshrrev_b16 v3, 11, v3
	v_cmpx_lt_u16_e64 v2, v3
; %bb.2715:
	v_perm_b32 v13, v13, v13, 0x7050604
; %bb.2716:
	s_or_b32 exec_lo, exec_lo, s9
	s_or_b32 exec_lo, exec_lo, s8
	s_and_saveexec_b32 s8, s92
	s_cbranch_execz .LBB691_2509
.LBB691_2717:
	v_and_b32_e32 v2, 0xff, v6
	v_lshrrev_b32_e32 v3, 24, v13
	s_mov_b32 s9, exec_lo
	v_mul_lo_u16 v2, 0xcd, v2
	v_mul_lo_u16 v3, 0xcd, v3
	v_lshrrev_b16 v2, 11, v2
	v_lshrrev_b16 v3, 11, v3
	v_cmpx_lt_u16_e64 v2, v3
; %bb.2718:
	v_perm_b32 v2, v13, v6, 0x3020107
	v_mov_b32_e32 v3, v10
	v_perm_b32 v7, v7, v7, 0x3060504
	v_perm_b32 v13, v13, v6, 0x60504
	v_mov_b32_e32 v6, v2
	v_mov_b32_e32 v10, v3
; %bb.2719:
	s_or_b32 exec_lo, exec_lo, s9
	s_or_b32 exec_lo, exec_lo, s8
	s_and_saveexec_b32 s8, s93
	s_cbranch_execz .LBB691_2510
.LBB691_2720:
	v_mov_b32_e32 v2, 0xff
	v_lshrrev_b32_e32 v3, 8, v6
	s_mov_b32 s9, exec_lo
	v_and_b32_sdwa v2, v6, v2 dst_sel:DWORD dst_unused:UNUSED_PAD src0_sel:WORD_1 src1_sel:DWORD
	v_and_b32_e32 v3, 0xff, v3
	v_mul_lo_u16 v2, 0xcd, v2
	v_mul_lo_u16 v3, 0xcd, v3
	v_lshrrev_b16 v2, 11, v2
	v_lshrrev_b16 v3, 11, v3
	v_cmpx_lt_u16_e64 v2, v3
; %bb.2721:
	v_perm_b32 v7, v7, v7, 0x3060504
	v_perm_b32 v6, v6, v6, 0x7050604
; %bb.2722:
	s_or_b32 exec_lo, exec_lo, s9
	s_or_b32 exec_lo, exec_lo, s8
	s_and_saveexec_b32 s8, s94
	s_cbranch_execz .LBB691_2511
.LBB691_2723:
	v_and_b32_e32 v2, 0xff, v7
	v_lshrrev_b32_e32 v3, 24, v6
	s_mov_b32 s9, exec_lo
	v_mul_lo_u16 v2, 0xcd, v2
	v_mul_lo_u16 v3, 0xcd, v3
	v_lshrrev_b16 v2, 11, v2
	v_lshrrev_b16 v3, 11, v3
	v_cmpx_lt_u16_e64 v2, v3
	s_cbranch_execz .LBB691_2725
; %bb.2724:
	v_perm_b32 v2, v6, v7, 0x3020107
	v_mov_b32_e32 v3, v10
	v_mov_b32_e32 v10, v11
	v_perm_b32 v6, v6, v7, 0x60504
	v_mov_b32_e32 v7, v2
	v_mov_b32_e32 v11, v10
	v_mov_b32_e32 v10, v3
.LBB691_2725:
	s_or_b32 exec_lo, exec_lo, s9
	s_or_b32 exec_lo, exec_lo, s8
	s_and_saveexec_b32 s8, s95
	s_cbranch_execz .LBB691_2512
.LBB691_2726:
	v_mov_b32_e32 v2, 0xff
	v_lshrrev_b32_e32 v3, 8, v7
	s_mov_b32 s9, exec_lo
	v_and_b32_sdwa v2, v7, v2 dst_sel:DWORD dst_unused:UNUSED_PAD src0_sel:WORD_1 src1_sel:DWORD
	v_and_b32_e32 v3, 0xff, v3
	v_mul_lo_u16 v2, 0xcd, v2
	v_mul_lo_u16 v3, 0xcd, v3
	v_lshrrev_b16 v2, 11, v2
	v_lshrrev_b16 v3, 11, v3
	v_cmpx_lt_u16_e64 v2, v3
; %bb.2727:
	v_perm_b32 v7, v7, v7, 0x7050604
; %bb.2728:
	s_or_b32 exec_lo, exec_lo, s9
	s_or_b32 exec_lo, exec_lo, s8
	s_and_saveexec_b32 s8, vcc_hi
	s_cbranch_execz .LBB691_2513
.LBB691_2729:
	v_and_b32_e32 v2, 0xff, v8
	v_lshrrev_b32_e32 v3, 24, v7
	s_mov_b32 s9, exec_lo
	v_mul_lo_u16 v2, 0xcd, v2
	v_mul_lo_u16 v3, 0xcd, v3
	v_lshrrev_b16 v2, 11, v2
	v_lshrrev_b16 v3, 11, v3
	v_cmpx_lt_u16_e64 v2, v3
	s_cbranch_execz .LBB691_2731
; %bb.2730:
	v_perm_b32 v2, v7, v8, 0x3020107
	v_mov_b32_e32 v3, v10
	v_mov_b32_e32 v10, v11
	v_perm_b32 v9, v9, v9, 0x3060504
	v_perm_b32 v7, v7, v8, 0x60504
	v_mov_b32_e32 v8, v2
	v_mov_b32_e32 v11, v10
	;; [unrolled: 1-line block ×3, first 2 shown]
.LBB691_2731:
	s_or_b32 exec_lo, exec_lo, s9
	s_or_b32 exec_lo, exec_lo, s8
	s_and_saveexec_b32 s8, s30
	s_cbranch_execz .LBB691_2514
.LBB691_2732:
	v_mov_b32_e32 v2, 0xff
	v_lshrrev_b32_e32 v3, 8, v8
	s_mov_b32 s9, exec_lo
	v_and_b32_sdwa v2, v8, v2 dst_sel:DWORD dst_unused:UNUSED_PAD src0_sel:WORD_1 src1_sel:DWORD
	v_and_b32_e32 v3, 0xff, v3
	v_mul_lo_u16 v2, 0xcd, v2
	v_mul_lo_u16 v3, 0xcd, v3
	v_lshrrev_b16 v2, 11, v2
	v_lshrrev_b16 v3, 11, v3
	v_cmpx_lt_u16_e64 v2, v3
; %bb.2733:
	v_perm_b32 v9, v9, v9, 0x3060504
	v_perm_b32 v8, v8, v8, 0x7050604
; %bb.2734:
	s_or_b32 exec_lo, exec_lo, s9
	s_or_b32 exec_lo, exec_lo, s8
	s_and_saveexec_b32 s8, s31
	s_cbranch_execz .LBB691_2515
.LBB691_2735:
	v_and_b32_e32 v2, 0xff, v9
	v_lshrrev_b32_e32 v3, 24, v8
	s_mov_b32 s9, exec_lo
	v_mul_lo_u16 v2, 0xcd, v2
	v_mul_lo_u16 v3, 0xcd, v3
	v_lshrrev_b16 v2, 11, v2
	v_lshrrev_b16 v3, 11, v3
	v_cmpx_lt_u16_e64 v2, v3
	s_cbranch_execz .LBB691_2737
; %bb.2736:
	v_perm_b32 v2, v8, v9, 0x3020107
	v_mov_b32_e32 v3, v10
	v_mov_b32_e32 v10, v11
	v_perm_b32 v8, v8, v9, 0x60504
	v_mov_b32_e32 v9, v2
	v_mov_b32_e32 v11, v10
	;; [unrolled: 1-line block ×3, first 2 shown]
.LBB691_2737:
	s_or_b32 exec_lo, exec_lo, s9
	s_or_b32 exec_lo, exec_lo, s8
	s_and_saveexec_b32 s8, s34
	s_cbranch_execz .LBB691_2741
.LBB691_2738:
	v_mov_b32_e32 v2, 0xff
	v_lshrrev_b32_e32 v3, 8, v9
	s_mov_b32 s9, exec_lo
	v_and_b32_sdwa v2, v9, v2 dst_sel:DWORD dst_unused:UNUSED_PAD src0_sel:WORD_1 src1_sel:DWORD
	v_and_b32_e32 v3, 0xff, v3
	v_mul_lo_u16 v2, 0xcd, v2
	v_mul_lo_u16 v3, 0xcd, v3
	v_lshrrev_b16 v2, 11, v2
	v_lshrrev_b16 v3, 11, v3
	v_cmpx_lt_u16_e64 v2, v3
; %bb.2739:
	v_perm_b32 v9, v9, v9, 0x7050604
; %bb.2740:
	s_or_b32 exec_lo, exec_lo, s9
.LBB691_2741:
	s_or_b32 exec_lo, exec_lo, s8
	v_mbcnt_lo_u32_b32 v2, -1, 0
	v_and_b32_e32 v68, 0xfffffc00, v1
	s_mov_b32 s8, 0
	s_mov_b32 s9, exec_lo
	v_lshlrev_b32_e32 v70, 5, v2
	v_sub_nc_u32_e64 v69, v0, v68 clamp
	v_or_b32_e32 v1, 32, v70
	v_and_b32_e32 v2, 32, v70
	v_and_b32_e32 v16, 0x3c0, v70
	v_min_u32_e32 v71, v69, v1
	v_min_u32_e32 v117, v69, v2
	v_add_nc_u32_e32 v1, 32, v71
	v_sub_nc_u32_e32 v2, v71, v16
	v_min_u32_e32 v80, v69, v1
	v_sub_nc_u32_e32 v1, v80, v71
	v_sub_nc_u32_e64 v96, v117, v1 clamp
	v_min_u32_e32 v1, v117, v2
	v_or_b32_e32 v2, v68, v70
	ds_write_b128 v2, v[10:13]
	ds_write_b128 v2, v[6:9] offset:16
	; wave barrier
	v_cmpx_lt_u32_e64 v96, v1
	s_cbranch_execz .LBB691_2745
; %bb.2742:
	v_add_nc_u32_e32 v2, v68, v16
	v_add3_u32 v3, v68, v71, v117
	.p2align	6
.LBB691_2743:                           ; =>This Inner Loop Header: Depth=1
	v_add_nc_u32_e32 v14, v1, v96
	v_lshrrev_b32_e32 v14, 1, v14
	v_xad_u32 v15, v14, -1, v3
	v_add_nc_u32_e32 v81, v2, v14
	v_add_nc_u32_e32 v82, 1, v14
	ds_read_u8 v15, v15
	ds_read_u8 v81, v81
	s_waitcnt lgkmcnt(1)
	v_mul_lo_u16 v15, 0xcd, v15
	s_waitcnt lgkmcnt(0)
	v_mul_lo_u16 v81, 0xcd, v81
	v_lshrrev_b16 v15, 11, v15
	v_lshrrev_b16 v81, 11, v81
	v_cmp_lt_u16_e32 vcc_lo, v15, v81
	v_cndmask_b32_e32 v1, v1, v14, vcc_lo
	v_cndmask_b32_e32 v96, v82, v96, vcc_lo
	v_cmp_ge_u32_e32 vcc_lo, v96, v1
	s_or_b32 s8, vcc_lo, s8
	s_andn2_b32 exec_lo, exec_lo, s8
	s_cbranch_execnz .LBB691_2743
; %bb.2744:
	s_or_b32 exec_lo, exec_lo, s8
.LBB691_2745:
	s_or_b32 exec_lo, exec_lo, s9
	v_mov_b32_e32 v14, v6
	v_mov_b32_e32 v15, v7
	;; [unrolled: 1-line block ×6, first 2 shown]
	v_lshrrev_b64 v[14:15], 24, v[14:15]
	v_add_nc_u32_e32 v15, v71, v117
	v_lshrrev_b64 v[1:2], 24, v[1:2]
	v_mov_b32_e32 v130, v8
	v_lshrrev_b64 v[2:3], 24, v[86:87]
	v_add_nc_u32_e32 v3, v96, v16
	v_sub_nc_u32_e32 v133, v15, v96
	v_mov_b32_e32 v131, v9
	v_mov_b32_e32 v99, v10
	v_lshrrev_b32_e32 v100, 8, v10
	v_cmp_le_u32_e32 vcc_lo, v3, v71
	v_cmp_le_u32_e64 s8, v133, v80
	v_lshrrev_b64 v[15:16], 24, v[130:131]
	v_lshrrev_b32_e32 v101, 16, v10
	v_mov_b32_e32 v102, v11
	v_lshrrev_b32_e32 v112, 8, v11
	v_lshrrev_b32_e32 v114, 16, v11
	v_lshrrev_b32_e32 v81, 24, v11
	v_mov_b32_e32 v82, v12
	v_lshrrev_b32_e32 v83, 8, v12
	v_lshrrev_b32_e32 v85, 16, v12
	v_mov_b32_e32 v115, v13
	v_lshrrev_b32_e32 v116, 8, v13
	v_lshrrev_b32_e32 v118, 16, v13
	v_lshrrev_b32_e32 v128, 24, v13
	v_mov_b32_e32 v84, v6
	v_lshrrev_b32_e32 v86, 8, v6
	;; [unrolled: 7-line block ×3, first 2 shown]
	v_lshrrev_b32_e32 v129, 16, v8
	v_mov_b32_e32 v130, v9
	v_lshrrev_b32_e32 v131, 8, v9
	v_lshrrev_b32_e32 v132, 16, v9
	;; [unrolled: 1-line block ×3, first 2 shown]
	s_or_b32 s8, vcc_lo, s8
	s_and_saveexec_b32 s9, s8
	s_cbranch_execz .LBB691_2877
; %bb.2746:
	s_mov_b32 s12, exec_lo
	v_cmp_ge_u32_e32 vcc_lo, v3, v71
                                        ; implicit-def: $vgpr1
	v_cmpx_lt_u32_e64 v3, v71
; %bb.2747:
	v_add_nc_u32_e32 v1, v68, v3
	ds_read_u8 v1, v1
; %bb.2748:
	s_or_b32 exec_lo, exec_lo, s12
	v_cmp_ge_u32_e64 s12, v133, v80
	s_mov_b32 s13, exec_lo
                                        ; implicit-def: $vgpr2
	v_cmpx_lt_u32_e64 v133, v80
; %bb.2749:
	v_add_nc_u32_e32 v2, v68, v133
	ds_read_u8 v2, v2
; %bb.2750:
	s_or_b32 exec_lo, exec_lo, s13
	s_nor_b32 s13, vcc_lo, s12
	s_and_saveexec_b32 s8, s13
	s_cbranch_execz .LBB691_2752
; %bb.2751:
	s_waitcnt lgkmcnt(0)
	v_and_b32_e32 v6, 0xff, v2
	v_and_b32_e32 v7, 0xff, v1
	s_andn2_b32 s12, s12, exec_lo
	v_mul_lo_u16 v6, 0xcd, v6
	v_mul_lo_u16 v7, 0xcd, v7
	v_lshrrev_b16 v6, 11, v6
	v_lshrrev_b16 v7, 11, v7
	v_cmp_ge_u16_e32 vcc_lo, v6, v7
	s_and_b32 s13, vcc_lo, exec_lo
	s_or_b32 s12, s12, s13
.LBB691_2752:
	s_or_b32 exec_lo, exec_lo, s8
	v_cndmask_b32_e64 v6, v133, v3, s12
	v_cndmask_b32_e64 v7, v80, v71, s12
	s_mov_b32 s8, -1
	s_mov_b32 s13, -1
	s_mov_b32 s56, exec_lo
	v_add_nc_u32_e32 v6, 1, v6
	v_add_nc_u32_e32 v7, -1, v7
	v_cndmask_b32_e64 v8, v3, v6, s12
	v_min_u32_e32 v7, v6, v7
	v_add_nc_u32_e32 v7, v68, v7
	ds_read_u8 v9, v7
	v_cndmask_b32_e64 v7, v6, v133, s12
	s_waitcnt lgkmcnt(0)
	v_cndmask_b32_e64 v3, v9, v2, s12
	v_cndmask_b32_e64 v6, v1, v9, s12
	v_cmpx_lt_u32_e64 v7, v80
	s_cbranch_execz .LBB691_2756
; %bb.2753:
	s_mov_b32 s57, 0
	s_mov_b32 s13, exec_lo
	v_cmpx_lt_u32_e64 v8, v71
	s_cbranch_execz .LBB691_2755
; %bb.2754:
	v_and_b32_e32 v9, 0xff, v3
	v_and_b32_e32 v10, 0xff, v6
	v_mul_lo_u16 v9, 0xcd, v9
	v_mul_lo_u16 v10, 0xcd, v10
	v_lshrrev_b16 v9, 11, v9
	v_lshrrev_b16 v10, 11, v10
	v_cmp_ge_u16_e32 vcc_lo, v9, v10
	s_and_b32 s57, vcc_lo, exec_lo
.LBB691_2755:
	s_or_b32 exec_lo, exec_lo, s13
	s_orn2_b32 s13, s57, exec_lo
.LBB691_2756:
	s_or_b32 exec_lo, exec_lo, s56
	v_cndmask_b32_e64 v9, v7, v8, s13
	v_cndmask_b32_e64 v10, v80, v71, s13
	s_mov_b32 s56, exec_lo
	v_add_nc_u32_e32 v11, 1, v9
	v_add_nc_u32_e32 v9, -1, v10
	v_cndmask_b32_e64 v10, v8, v11, s13
	v_min_u32_e32 v9, v11, v9
	v_add_nc_u32_e32 v9, v68, v9
	ds_read_u8 v12, v9
	v_cndmask_b32_e64 v9, v11, v7, s13
	s_waitcnt lgkmcnt(0)
	v_cndmask_b32_e64 v7, v12, v3, s13
	v_cndmask_b32_e64 v8, v6, v12, s13
	v_cmpx_lt_u32_e64 v9, v80
	s_cbranch_execz .LBB691_2760
; %bb.2757:
	s_mov_b32 s57, 0
	s_mov_b32 s8, exec_lo
	v_cmpx_lt_u32_e64 v10, v71
	s_cbranch_execz .LBB691_2759
; %bb.2758:
	v_and_b32_e32 v11, 0xff, v7
	v_and_b32_e32 v12, 0xff, v8
	v_mul_lo_u16 v11, 0xcd, v11
	v_mul_lo_u16 v12, 0xcd, v12
	v_lshrrev_b16 v11, 11, v11
	v_lshrrev_b16 v12, 11, v12
	v_cmp_ge_u16_e32 vcc_lo, v11, v12
	s_and_b32 s57, vcc_lo, exec_lo
.LBB691_2759:
	s_or_b32 exec_lo, exec_lo, s8
	s_orn2_b32 s8, s57, exec_lo
.LBB691_2760:
	s_or_b32 exec_lo, exec_lo, s56
	v_cndmask_b32_e64 v11, v9, v10, s8
	v_cndmask_b32_e64 v12, v80, v71, s8
	s_mov_b32 s56, -1
	s_mov_b32 s57, -1
	s_mov_b32 s58, exec_lo
	v_add_nc_u32_e32 v13, 1, v11
	v_add_nc_u32_e32 v11, -1, v12
	v_cndmask_b32_e64 v12, v10, v13, s8
	v_min_u32_e32 v11, v13, v11
	v_add_nc_u32_e32 v11, v68, v11
	ds_read_u8 v14, v11
	v_cndmask_b32_e64 v11, v13, v9, s8
	s_waitcnt lgkmcnt(0)
	v_cndmask_b32_e64 v9, v14, v7, s8
	v_cndmask_b32_e64 v10, v8, v14, s8
	v_cmpx_lt_u32_e64 v11, v80
	s_cbranch_execz .LBB691_2764
; %bb.2761:
	s_mov_b32 s59, 0
	s_mov_b32 s57, exec_lo
	v_cmpx_lt_u32_e64 v12, v71
	s_cbranch_execz .LBB691_2763
; %bb.2762:
	v_and_b32_e32 v13, 0xff, v9
	v_and_b32_e32 v14, 0xff, v10
	v_mul_lo_u16 v13, 0xcd, v13
	v_mul_lo_u16 v14, 0xcd, v14
	v_lshrrev_b16 v13, 11, v13
	v_lshrrev_b16 v14, 11, v14
	v_cmp_ge_u16_e32 vcc_lo, v13, v14
	s_and_b32 s59, vcc_lo, exec_lo
.LBB691_2763:
	s_or_b32 exec_lo, exec_lo, s57
	s_orn2_b32 s57, s59, exec_lo
.LBB691_2764:
	s_or_b32 exec_lo, exec_lo, s58
	v_cndmask_b32_e64 v13, v11, v12, s57
	v_cndmask_b32_e64 v14, v80, v71, s57
	s_mov_b32 s58, exec_lo
	v_add_nc_u32_e32 v15, 1, v13
	v_add_nc_u32_e32 v13, -1, v14
	v_cndmask_b32_e64 v14, v12, v15, s57
	v_min_u32_e32 v13, v15, v13
	v_add_nc_u32_e32 v13, v68, v13
	ds_read_u8 v16, v13
	v_cndmask_b32_e64 v13, v15, v11, s57
	s_waitcnt lgkmcnt(0)
	v_cndmask_b32_e64 v11, v16, v9, s57
	v_cndmask_b32_e64 v12, v10, v16, s57
	v_cmpx_lt_u32_e64 v13, v80
	s_cbranch_execz .LBB691_2768
; %bb.2765:
	s_mov_b32 s59, 0
	s_mov_b32 s56, exec_lo
	v_cmpx_lt_u32_e64 v14, v71
	s_cbranch_execz .LBB691_2767
; %bb.2766:
	v_and_b32_e32 v15, 0xff, v11
	v_and_b32_e32 v16, 0xff, v12
	v_mul_lo_u16 v15, 0xcd, v15
	v_mul_lo_u16 v16, 0xcd, v16
	v_lshrrev_b16 v15, 11, v15
	v_lshrrev_b16 v16, 11, v16
	v_cmp_ge_u16_e32 vcc_lo, v15, v16
	s_and_b32 s59, vcc_lo, exec_lo
.LBB691_2767:
	s_or_b32 exec_lo, exec_lo, s56
	s_orn2_b32 s56, s59, exec_lo
.LBB691_2768:
	s_or_b32 exec_lo, exec_lo, s58
	v_cndmask_b32_e64 v15, v13, v14, s56
	v_cndmask_b32_e64 v16, v80, v71, s56
	s_mov_b32 s58, -1
	s_mov_b32 s59, -1
	s_mov_b32 s60, exec_lo
	v_add_nc_u32_e32 v81, 1, v15
	v_add_nc_u32_e32 v15, -1, v16
	v_cndmask_b32_e64 v16, v14, v81, s56
	v_min_u32_e32 v15, v81, v15
	v_add_nc_u32_e32 v15, v68, v15
	ds_read_u8 v82, v15
	v_cndmask_b32_e64 v15, v81, v13, s56
	s_waitcnt lgkmcnt(0)
	v_cndmask_b32_e64 v13, v82, v11, s56
	v_cndmask_b32_e64 v14, v12, v82, s56
	v_cmpx_lt_u32_e64 v15, v80
	s_cbranch_execz .LBB691_2772
; %bb.2769:
	s_mov_b32 s61, 0
	s_mov_b32 s59, exec_lo
	v_cmpx_lt_u32_e64 v16, v71
	s_cbranch_execz .LBB691_2771
; %bb.2770:
	v_and_b32_e32 v81, 0xff, v13
	v_and_b32_e32 v82, 0xff, v14
	v_mul_lo_u16 v81, 0xcd, v81
	v_mul_lo_u16 v82, 0xcd, v82
	v_lshrrev_b16 v81, 11, v81
	v_lshrrev_b16 v82, 11, v82
	v_cmp_ge_u16_e32 vcc_lo, v81, v82
	s_and_b32 s61, vcc_lo, exec_lo
.LBB691_2771:
	s_or_b32 exec_lo, exec_lo, s59
	s_orn2_b32 s59, s61, exec_lo
.LBB691_2772:
	s_or_b32 exec_lo, exec_lo, s60
	v_cndmask_b32_e64 v81, v15, v16, s59
	v_cndmask_b32_e64 v82, v80, v71, s59
	s_mov_b32 s60, exec_lo
	v_add_nc_u32_e32 v83, 1, v81
	v_add_nc_u32_e32 v81, -1, v82
	v_cndmask_b32_e64 v82, v16, v83, s59
	v_min_u32_e32 v81, v83, v81
	v_add_nc_u32_e32 v81, v68, v81
	ds_read_u8 v84, v81
	v_cndmask_b32_e64 v81, v83, v15, s59
	s_waitcnt lgkmcnt(0)
	v_cndmask_b32_e64 v15, v84, v13, s59
	v_cndmask_b32_e64 v16, v14, v84, s59
	v_cmpx_lt_u32_e64 v81, v80
	s_cbranch_execz .LBB691_2776
; %bb.2773:
	s_mov_b32 s61, 0
	s_mov_b32 s58, exec_lo
	v_cmpx_lt_u32_e64 v82, v71
	s_cbranch_execz .LBB691_2775
; %bb.2774:
	v_and_b32_e32 v83, 0xff, v15
	v_and_b32_e32 v84, 0xff, v16
	v_mul_lo_u16 v83, 0xcd, v83
	v_mul_lo_u16 v84, 0xcd, v84
	v_lshrrev_b16 v83, 11, v83
	v_lshrrev_b16 v84, 11, v84
	v_cmp_ge_u16_e32 vcc_lo, v83, v84
	s_and_b32 s61, vcc_lo, exec_lo
.LBB691_2775:
	s_or_b32 exec_lo, exec_lo, s58
	s_orn2_b32 s58, s61, exec_lo
.LBB691_2776:
	s_or_b32 exec_lo, exec_lo, s60
	v_cndmask_b32_e64 v83, v81, v82, s58
	v_cndmask_b32_e64 v84, v80, v71, s58
	s_mov_b32 s60, -1
	s_mov_b32 s61, -1
	s_mov_b32 s62, exec_lo
	v_add_nc_u32_e32 v85, 1, v83
	v_add_nc_u32_e32 v83, -1, v84
	v_cndmask_b32_e64 v84, v82, v85, s58
	v_min_u32_e32 v83, v85, v83
	v_add_nc_u32_e32 v83, v68, v83
	ds_read_u8 v86, v83
	v_cndmask_b32_e64 v83, v85, v81, s58
	s_waitcnt lgkmcnt(0)
	v_cndmask_b32_e64 v81, v86, v15, s58
	v_cndmask_b32_e64 v82, v16, v86, s58
	v_cmpx_lt_u32_e64 v83, v80
	s_cbranch_execz .LBB691_2780
; %bb.2777:
	s_mov_b32 s63, 0
	s_mov_b32 s61, exec_lo
	v_cmpx_lt_u32_e64 v84, v71
	s_cbranch_execz .LBB691_2779
; %bb.2778:
	v_and_b32_e32 v85, 0xff, v81
	v_and_b32_e32 v86, 0xff, v82
	v_mul_lo_u16 v85, 0xcd, v85
	v_mul_lo_u16 v86, 0xcd, v86
	v_lshrrev_b16 v85, 11, v85
	v_lshrrev_b16 v86, 11, v86
	v_cmp_ge_u16_e32 vcc_lo, v85, v86
	s_and_b32 s63, vcc_lo, exec_lo
.LBB691_2779:
	s_or_b32 exec_lo, exec_lo, s61
	s_orn2_b32 s61, s63, exec_lo
.LBB691_2780:
	s_or_b32 exec_lo, exec_lo, s62
	v_cndmask_b32_e64 v85, v83, v84, s61
	v_cndmask_b32_e64 v86, v80, v71, s61
	s_mov_b32 s62, exec_lo
	v_add_nc_u32_e32 v87, 1, v85
	v_add_nc_u32_e32 v85, -1, v86
	v_cndmask_b32_e64 v86, v84, v87, s61
	v_min_u32_e32 v85, v87, v85
	v_add_nc_u32_e32 v85, v68, v85
	ds_read_u8 v96, v85
	v_cndmask_b32_e64 v85, v87, v83, s61
	s_waitcnt lgkmcnt(0)
	v_cndmask_b32_e64 v83, v96, v81, s61
	v_cndmask_b32_e64 v84, v82, v96, s61
	v_cmpx_lt_u32_e64 v85, v80
	s_cbranch_execz .LBB691_2784
; %bb.2781:
	s_mov_b32 s63, 0
	s_mov_b32 s60, exec_lo
	v_cmpx_lt_u32_e64 v86, v71
	s_cbranch_execz .LBB691_2783
; %bb.2782:
	v_and_b32_e32 v87, 0xff, v83
	v_and_b32_e32 v96, 0xff, v84
	v_mul_lo_u16 v87, 0xcd, v87
	v_mul_lo_u16 v96, 0xcd, v96
	v_lshrrev_b16 v87, 11, v87
	v_lshrrev_b16 v96, 11, v96
	v_cmp_ge_u16_e32 vcc_lo, v87, v96
	s_and_b32 s63, vcc_lo, exec_lo
.LBB691_2783:
	s_or_b32 exec_lo, exec_lo, s60
	s_orn2_b32 s60, s63, exec_lo
.LBB691_2784:
	s_or_b32 exec_lo, exec_lo, s62
	v_cndmask_b32_e64 v87, v85, v86, s60
	v_cndmask_b32_e64 v96, v80, v71, s60
	s_mov_b32 s62, -1
	s_mov_b32 s63, -1
	s_mov_b32 s72, exec_lo
	v_add_nc_u32_e32 v97, 1, v87
	v_add_nc_u32_e32 v87, -1, v96
	v_cndmask_b32_e64 v96, v86, v97, s60
	v_min_u32_e32 v87, v97, v87
	v_add_nc_u32_e32 v87, v68, v87
	ds_read_u8 v98, v87
	v_cndmask_b32_e64 v87, v97, v85, s60
	s_waitcnt lgkmcnt(0)
	v_cndmask_b32_e64 v85, v98, v83, s60
	v_cndmask_b32_e64 v86, v84, v98, s60
	v_cmpx_lt_u32_e64 v87, v80
	s_cbranch_execz .LBB691_2788
; %bb.2785:
	s_mov_b32 s73, 0
	s_mov_b32 s63, exec_lo
	v_cmpx_lt_u32_e64 v96, v71
	s_cbranch_execz .LBB691_2787
; %bb.2786:
	v_and_b32_e32 v97, 0xff, v85
	v_and_b32_e32 v98, 0xff, v86
	v_mul_lo_u16 v97, 0xcd, v97
	v_mul_lo_u16 v98, 0xcd, v98
	v_lshrrev_b16 v97, 11, v97
	v_lshrrev_b16 v98, 11, v98
	v_cmp_ge_u16_e32 vcc_lo, v97, v98
	s_and_b32 s73, vcc_lo, exec_lo
.LBB691_2787:
	s_or_b32 exec_lo, exec_lo, s63
	s_orn2_b32 s63, s73, exec_lo
.LBB691_2788:
	s_or_b32 exec_lo, exec_lo, s72
	v_cndmask_b32_e64 v97, v87, v96, s63
	v_cndmask_b32_e64 v98, v80, v71, s63
	s_mov_b32 s72, exec_lo
	v_add_nc_u32_e32 v97, 1, v97
	v_add_nc_u32_e32 v98, -1, v98
	v_cndmask_b32_e64 v96, v96, v97, s63
	v_min_u32_e32 v98, v97, v98
	v_add_nc_u32_e32 v98, v68, v98
	ds_read_u8 v99, v98
	v_cndmask_b32_e64 v98, v97, v87, s63
	s_waitcnt lgkmcnt(0)
	v_cndmask_b32_e64 v87, v99, v85, s63
	v_cndmask_b32_e64 v97, v86, v99, s63
	v_cmpx_lt_u32_e64 v98, v80
	s_cbranch_execz .LBB691_2792
; %bb.2789:
	s_mov_b32 s73, 0
	s_mov_b32 s62, exec_lo
	v_cmpx_lt_u32_e64 v96, v71
	s_cbranch_execz .LBB691_2791
; %bb.2790:
	v_and_b32_e32 v99, 0xff, v87
	v_and_b32_e32 v100, 0xff, v97
	v_mul_lo_u16 v99, 0xcd, v99
	v_mul_lo_u16 v100, 0xcd, v100
	v_lshrrev_b16 v99, 11, v99
	v_lshrrev_b16 v100, 11, v100
	v_cmp_ge_u16_e32 vcc_lo, v99, v100
	s_and_b32 s73, vcc_lo, exec_lo
.LBB691_2791:
	s_or_b32 exec_lo, exec_lo, s62
	s_orn2_b32 s62, s73, exec_lo
.LBB691_2792:
	s_or_b32 exec_lo, exec_lo, s72
	v_cndmask_b32_e64 v99, v98, v96, s62
	v_cndmask_b32_e64 v100, v80, v71, s62
	s_mov_b32 s72, -1
	s_mov_b32 s73, -1
	s_mov_b32 s74, exec_lo
	v_add_nc_u32_e32 v101, 1, v99
	v_add_nc_u32_e32 v99, -1, v100
	v_cndmask_b32_e64 v96, v96, v101, s62
	v_min_u32_e32 v99, v101, v99
	v_add_nc_u32_e32 v99, v68, v99
	ds_read_u8 v100, v99
	v_cndmask_b32_e64 v99, v101, v98, s62
	s_waitcnt lgkmcnt(0)
	v_cndmask_b32_e64 v98, v100, v87, s62
	v_cndmask_b32_e64 v103, v97, v100, s62
	v_cmpx_lt_u32_e64 v99, v80
	s_cbranch_execz .LBB691_2796
; %bb.2793:
	s_mov_b32 s75, 0
	s_mov_b32 s73, exec_lo
	v_cmpx_lt_u32_e64 v96, v71
	s_cbranch_execz .LBB691_2795
; %bb.2794:
	v_and_b32_e32 v100, 0xff, v98
	v_and_b32_e32 v101, 0xff, v103
	v_mul_lo_u16 v100, 0xcd, v100
	v_mul_lo_u16 v101, 0xcd, v101
	v_lshrrev_b16 v100, 11, v100
	v_lshrrev_b16 v101, 11, v101
	v_cmp_ge_u16_e32 vcc_lo, v100, v101
	s_and_b32 s75, vcc_lo, exec_lo
.LBB691_2795:
	s_or_b32 exec_lo, exec_lo, s73
	s_orn2_b32 s73, s75, exec_lo
.LBB691_2796:
	s_or_b32 exec_lo, exec_lo, s74
	v_cndmask_b32_e64 v100, v99, v96, s73
	v_cndmask_b32_e64 v101, v80, v71, s73
	s_mov_b32 s74, exec_lo
	v_add_nc_u32_e32 v100, 1, v100
	v_add_nc_u32_e32 v101, -1, v101
	v_cndmask_b32_e64 v99, v100, v99, s73
	v_min_u32_e32 v101, v100, v101
	v_cndmask_b32_e64 v96, v96, v100, s73
	v_add_nc_u32_e32 v101, v68, v101
	ds_read_u8 v101, v101
	s_waitcnt lgkmcnt(0)
	v_cndmask_b32_e64 v113, v101, v98, s73
	v_cndmask_b32_e64 v115, v103, v101, s73
	v_cmpx_lt_u32_e64 v99, v80
	s_cbranch_execz .LBB691_2800
; %bb.2797:
	s_mov_b32 s75, 0
	s_mov_b32 s72, exec_lo
	v_cmpx_lt_u32_e64 v96, v71
	s_cbranch_execz .LBB691_2799
; %bb.2798:
	v_and_b32_e32 v100, 0xff, v113
	v_and_b32_e32 v101, 0xff, v115
	v_mul_lo_u16 v100, 0xcd, v100
	v_mul_lo_u16 v101, 0xcd, v101
	v_lshrrev_b16 v100, 11, v100
	v_lshrrev_b16 v101, 11, v101
	v_cmp_ge_u16_e32 vcc_lo, v100, v101
	s_and_b32 s75, vcc_lo, exec_lo
.LBB691_2799:
	s_or_b32 exec_lo, exec_lo, s72
	s_orn2_b32 s72, s75, exec_lo
.LBB691_2800:
	s_or_b32 exec_lo, exec_lo, s74
	v_cndmask_b32_e64 v100, v99, v96, s72
	v_cndmask_b32_e64 v101, v80, v71, s72
	s_mov_b32 s74, -1
	s_mov_b32 s75, -1
	s_mov_b32 s76, exec_lo
	v_add_nc_u32_e32 v100, 1, v100
	v_add_nc_u32_e32 v101, -1, v101
	v_cndmask_b32_e64 v99, v100, v99, s72
	v_min_u32_e32 v101, v100, v101
	v_cndmask_b32_e64 v96, v96, v100, s72
	v_add_nc_u32_e32 v101, v68, v101
	ds_read_u8 v101, v101
	s_waitcnt lgkmcnt(0)
	v_cndmask_b32_e64 v116, v101, v113, s72
	v_cndmask_b32_e64 v117, v115, v101, s72
	v_cmpx_lt_u32_e64 v99, v80
	s_cbranch_execz .LBB691_2804
; %bb.2801:
	s_mov_b32 s77, 0
	s_mov_b32 s75, exec_lo
	v_cmpx_lt_u32_e64 v96, v71
	s_cbranch_execz .LBB691_2803
; %bb.2802:
	v_and_b32_e32 v100, 0xff, v116
	v_and_b32_e32 v101, 0xff, v117
	v_mul_lo_u16 v100, 0xcd, v100
	v_mul_lo_u16 v101, 0xcd, v101
	v_lshrrev_b16 v100, 11, v100
	v_lshrrev_b16 v101, 11, v101
	v_cmp_ge_u16_e32 vcc_lo, v100, v101
	s_and_b32 s77, vcc_lo, exec_lo
.LBB691_2803:
	s_or_b32 exec_lo, exec_lo, s75
	s_orn2_b32 s75, s77, exec_lo
.LBB691_2804:
	s_or_b32 exec_lo, exec_lo, s76
	v_cndmask_b32_e64 v100, v99, v96, s75
	v_cndmask_b32_e64 v101, v80, v71, s75
	s_mov_b32 s76, exec_lo
	v_add_nc_u32_e32 v100, 1, v100
	v_add_nc_u32_e32 v101, -1, v101
	v_cndmask_b32_e64 v99, v100, v99, s75
	v_min_u32_e32 v101, v100, v101
	v_cndmask_b32_e64 v96, v96, v100, s75
	v_add_nc_u32_e32 v101, v68, v101
	ds_read_u8 v101, v101
	s_waitcnt lgkmcnt(0)
	v_cndmask_b32_e64 v118, v101, v116, s75
	v_cndmask_b32_e64 v119, v117, v101, s75
	v_cmpx_lt_u32_e64 v99, v80
	s_cbranch_execz .LBB691_2808
; %bb.2805:
	s_mov_b32 s77, 0
	s_mov_b32 s74, exec_lo
	v_cmpx_lt_u32_e64 v96, v71
	s_cbranch_execz .LBB691_2807
; %bb.2806:
	v_and_b32_e32 v100, 0xff, v118
	v_and_b32_e32 v101, 0xff, v119
	v_mul_lo_u16 v100, 0xcd, v100
	v_mul_lo_u16 v101, 0xcd, v101
	v_lshrrev_b16 v100, 11, v100
	v_lshrrev_b16 v101, 11, v101
	v_cmp_ge_u16_e32 vcc_lo, v100, v101
	s_and_b32 s77, vcc_lo, exec_lo
.LBB691_2807:
	s_or_b32 exec_lo, exec_lo, s74
	s_orn2_b32 s74, s77, exec_lo
.LBB691_2808:
	s_or_b32 exec_lo, exec_lo, s76
	v_cndmask_b32_e64 v100, v99, v96, s74
	v_cndmask_b32_e64 v101, v80, v71, s74
	s_mov_b32 s76, -1
	s_mov_b32 s77, -1
	s_mov_b32 s78, exec_lo
	v_add_nc_u32_e32 v100, 1, v100
	v_add_nc_u32_e32 v101, -1, v101
	v_cndmask_b32_e64 v99, v100, v99, s74
	v_min_u32_e32 v101, v100, v101
	v_cndmask_b32_e64 v96, v96, v100, s74
	v_add_nc_u32_e32 v101, v68, v101
	ds_read_u8 v101, v101
	s_waitcnt lgkmcnt(0)
	v_cndmask_b32_e64 v128, v101, v118, s74
	v_cndmask_b32_e64 v129, v119, v101, s74
	v_cmpx_lt_u32_e64 v99, v80
	s_cbranch_execz .LBB691_2812
; %bb.2809:
	s_mov_b32 s79, 0
	s_mov_b32 s77, exec_lo
	v_cmpx_lt_u32_e64 v96, v71
	s_cbranch_execz .LBB691_2811
; %bb.2810:
	v_and_b32_e32 v100, 0xff, v128
	v_and_b32_e32 v101, 0xff, v129
	v_mul_lo_u16 v100, 0xcd, v100
	v_mul_lo_u16 v101, 0xcd, v101
	v_lshrrev_b16 v100, 11, v100
	v_lshrrev_b16 v101, 11, v101
	v_cmp_ge_u16_e32 vcc_lo, v100, v101
	s_and_b32 s79, vcc_lo, exec_lo
.LBB691_2811:
	s_or_b32 exec_lo, exec_lo, s77
	s_orn2_b32 s77, s79, exec_lo
.LBB691_2812:
	s_or_b32 exec_lo, exec_lo, s78
	v_cndmask_b32_e64 v100, v99, v96, s77
	v_cndmask_b32_e64 v101, v80, v71, s77
	s_mov_b32 s78, exec_lo
	v_add_nc_u32_e32 v100, 1, v100
	v_add_nc_u32_e32 v101, -1, v101
	v_cndmask_b32_e64 v99, v100, v99, s77
	v_min_u32_e32 v101, v100, v101
	v_cndmask_b32_e64 v96, v96, v100, s77
	v_add_nc_u32_e32 v101, v68, v101
	ds_read_u8 v101, v101
	s_waitcnt lgkmcnt(0)
	v_cndmask_b32_e64 v130, v101, v128, s77
	v_cndmask_b32_e64 v131, v129, v101, s77
	v_cmpx_lt_u32_e64 v99, v80
	s_cbranch_execz .LBB691_2816
; %bb.2813:
	s_mov_b32 s79, 0
	s_mov_b32 s76, exec_lo
	v_cmpx_lt_u32_e64 v96, v71
	s_cbranch_execz .LBB691_2815
; %bb.2814:
	v_and_b32_e32 v100, 0xff, v130
	v_and_b32_e32 v101, 0xff, v131
	v_mul_lo_u16 v100, 0xcd, v100
	v_mul_lo_u16 v101, 0xcd, v101
	v_lshrrev_b16 v100, 11, v100
	v_lshrrev_b16 v101, 11, v101
	v_cmp_ge_u16_e32 vcc_lo, v100, v101
	s_and_b32 s79, vcc_lo, exec_lo
.LBB691_2815:
	s_or_b32 exec_lo, exec_lo, s76
	s_orn2_b32 s76, s79, exec_lo
.LBB691_2816:
	s_or_b32 exec_lo, exec_lo, s78
	v_cndmask_b32_e64 v100, v99, v96, s76
	v_cndmask_b32_e64 v101, v80, v71, s76
	s_mov_b32 s78, -1
	s_mov_b32 s79, -1
	s_mov_b32 s88, exec_lo
	v_add_nc_u32_e32 v100, 1, v100
	v_add_nc_u32_e32 v101, -1, v101
	v_cndmask_b32_e64 v99, v100, v99, s76
	v_min_u32_e32 v101, v100, v101
	v_cndmask_b32_e64 v96, v96, v100, s76
	v_add_nc_u32_e32 v101, v68, v101
	ds_read_u8 v101, v101
	s_waitcnt lgkmcnt(0)
	v_cndmask_b32_e64 v132, v101, v130, s76
	v_cndmask_b32_e64 v133, v131, v101, s76
	v_cmpx_lt_u32_e64 v99, v80
	s_cbranch_execz .LBB691_2820
; %bb.2817:
	s_mov_b32 s89, 0
	s_mov_b32 s79, exec_lo
	v_cmpx_lt_u32_e64 v96, v71
	s_cbranch_execz .LBB691_2819
; %bb.2818:
	v_and_b32_e32 v100, 0xff, v132
	v_and_b32_e32 v101, 0xff, v133
	v_mul_lo_u16 v100, 0xcd, v100
	v_mul_lo_u16 v101, 0xcd, v101
	v_lshrrev_b16 v100, 11, v100
	v_lshrrev_b16 v101, 11, v101
	v_cmp_ge_u16_e32 vcc_lo, v100, v101
	s_and_b32 s89, vcc_lo, exec_lo
.LBB691_2819:
	s_or_b32 exec_lo, exec_lo, s79
	s_orn2_b32 s79, s89, exec_lo
.LBB691_2820:
	s_or_b32 exec_lo, exec_lo, s88
	v_cndmask_b32_e64 v100, v99, v96, s79
	v_cndmask_b32_e64 v101, v80, v71, s79
	s_mov_b32 s88, exec_lo
	v_add_nc_u32_e32 v100, 1, v100
	v_add_nc_u32_e32 v101, -1, v101
	v_cndmask_b32_e64 v99, v100, v99, s79
	v_min_u32_e32 v101, v100, v101
	v_cndmask_b32_e64 v96, v96, v100, s79
	v_add_nc_u32_e32 v101, v68, v101
	ds_read_u8 v101, v101
	s_waitcnt lgkmcnt(0)
	v_cndmask_b32_e64 v134, v101, v132, s79
	v_cndmask_b32_e64 v135, v133, v101, s79
	v_cmpx_lt_u32_e64 v99, v80
	s_cbranch_execz .LBB691_2824
; %bb.2821:
	s_mov_b32 s89, 0
	s_mov_b32 s78, exec_lo
	v_cmpx_lt_u32_e64 v96, v71
	s_cbranch_execz .LBB691_2823
; %bb.2822:
	v_and_b32_e32 v100, 0xff, v134
	v_and_b32_e32 v101, 0xff, v135
	v_mul_lo_u16 v100, 0xcd, v100
	v_mul_lo_u16 v101, 0xcd, v101
	v_lshrrev_b16 v100, 11, v100
	v_lshrrev_b16 v101, 11, v101
	v_cmp_ge_u16_e32 vcc_lo, v100, v101
	s_and_b32 s89, vcc_lo, exec_lo
.LBB691_2823:
	s_or_b32 exec_lo, exec_lo, s78
	s_orn2_b32 s78, s89, exec_lo
.LBB691_2824:
	s_or_b32 exec_lo, exec_lo, s88
	v_cndmask_b32_e64 v100, v99, v96, s78
	v_cndmask_b32_e64 v101, v80, v71, s78
	s_mov_b32 s88, -1
	s_mov_b32 s89, -1
	s_mov_b32 s90, exec_lo
	v_add_nc_u32_e32 v100, 1, v100
	v_add_nc_u32_e32 v101, -1, v101
	v_cndmask_b32_e64 v99, v100, v99, s78
	v_min_u32_e32 v101, v100, v101
	v_cndmask_b32_e64 v96, v96, v100, s78
	v_add_nc_u32_e32 v101, v68, v101
	ds_read_u8 v101, v101
	s_waitcnt lgkmcnt(0)
	v_cndmask_b32_e64 v144, v101, v134, s78
	v_cndmask_b32_e64 v145, v135, v101, s78
	v_cmpx_lt_u32_e64 v99, v80
	s_cbranch_execz .LBB691_2828
; %bb.2825:
	s_mov_b32 s91, 0
	s_mov_b32 s89, exec_lo
	v_cmpx_lt_u32_e64 v96, v71
	s_cbranch_execz .LBB691_2827
; %bb.2826:
	v_and_b32_e32 v100, 0xff, v144
	v_and_b32_e32 v101, 0xff, v145
	v_mul_lo_u16 v100, 0xcd, v100
	v_mul_lo_u16 v101, 0xcd, v101
	v_lshrrev_b16 v100, 11, v100
	v_lshrrev_b16 v101, 11, v101
	v_cmp_ge_u16_e32 vcc_lo, v100, v101
	s_and_b32 s91, vcc_lo, exec_lo
.LBB691_2827:
	s_or_b32 exec_lo, exec_lo, s89
	s_orn2_b32 s89, s91, exec_lo
.LBB691_2828:
	s_or_b32 exec_lo, exec_lo, s90
	v_cndmask_b32_e64 v100, v99, v96, s89
	v_cndmask_b32_e64 v101, v80, v71, s89
	s_mov_b32 s90, exec_lo
	v_add_nc_u32_e32 v100, 1, v100
	v_add_nc_u32_e32 v101, -1, v101
	v_cndmask_b32_e64 v99, v100, v99, s89
	v_min_u32_e32 v101, v100, v101
	v_cndmask_b32_e64 v96, v96, v100, s89
	v_add_nc_u32_e32 v101, v68, v101
	ds_read_u8 v101, v101
	s_waitcnt lgkmcnt(0)
	v_cndmask_b32_e64 v146, v101, v144, s89
	v_cndmask_b32_e64 v147, v145, v101, s89
	v_cmpx_lt_u32_e64 v99, v80
	s_cbranch_execz .LBB691_2832
; %bb.2829:
	s_mov_b32 s91, 0
	s_mov_b32 s88, exec_lo
	v_cmpx_lt_u32_e64 v96, v71
	s_cbranch_execz .LBB691_2831
; %bb.2830:
	v_and_b32_e32 v100, 0xff, v146
	v_and_b32_e32 v101, 0xff, v147
	v_mul_lo_u16 v100, 0xcd, v100
	v_mul_lo_u16 v101, 0xcd, v101
	v_lshrrev_b16 v100, 11, v100
	v_lshrrev_b16 v101, 11, v101
	v_cmp_ge_u16_e32 vcc_lo, v100, v101
	s_and_b32 s91, vcc_lo, exec_lo
.LBB691_2831:
	s_or_b32 exec_lo, exec_lo, s88
	s_orn2_b32 s88, s91, exec_lo
.LBB691_2832:
	s_or_b32 exec_lo, exec_lo, s90
	v_cndmask_b32_e64 v100, v99, v96, s88
	v_cndmask_b32_e64 v101, v80, v71, s88
	s_mov_b32 s90, -1
	s_mov_b32 s91, -1
	s_mov_b32 s92, exec_lo
	v_add_nc_u32_e32 v100, 1, v100
	v_add_nc_u32_e32 v101, -1, v101
	v_cndmask_b32_e64 v99, v100, v99, s88
	v_min_u32_e32 v101, v100, v101
	v_cndmask_b32_e64 v96, v96, v100, s88
	v_add_nc_u32_e32 v101, v68, v101
	ds_read_u8 v101, v101
	s_waitcnt lgkmcnt(0)
	v_cndmask_b32_e64 v148, v101, v146, s88
	v_cndmask_b32_e64 v149, v147, v101, s88
	v_cmpx_lt_u32_e64 v99, v80
	s_cbranch_execz .LBB691_2836
; %bb.2833:
	s_mov_b32 s93, 0
	s_mov_b32 s91, exec_lo
	v_cmpx_lt_u32_e64 v96, v71
	s_cbranch_execz .LBB691_2835
; %bb.2834:
	v_and_b32_e32 v100, 0xff, v148
	v_and_b32_e32 v101, 0xff, v149
	v_mul_lo_u16 v100, 0xcd, v100
	v_mul_lo_u16 v101, 0xcd, v101
	v_lshrrev_b16 v100, 11, v100
	v_lshrrev_b16 v101, 11, v101
	v_cmp_ge_u16_e32 vcc_lo, v100, v101
	s_and_b32 s93, vcc_lo, exec_lo
.LBB691_2835:
	s_or_b32 exec_lo, exec_lo, s91
	s_orn2_b32 s91, s93, exec_lo
.LBB691_2836:
	s_or_b32 exec_lo, exec_lo, s92
	v_cndmask_b32_e64 v100, v99, v96, s91
	v_cndmask_b32_e64 v101, v80, v71, s91
	s_mov_b32 s92, exec_lo
	v_add_nc_u32_e32 v100, 1, v100
	v_add_nc_u32_e32 v101, -1, v101
	v_cndmask_b32_e64 v99, v100, v99, s91
	v_min_u32_e32 v101, v100, v101
	v_cndmask_b32_e64 v96, v96, v100, s91
	v_add_nc_u32_e32 v101, v68, v101
	ds_read_u8 v101, v101
	s_waitcnt lgkmcnt(0)
	v_cndmask_b32_e64 v150, v101, v148, s91
	v_cndmask_b32_e64 v151, v149, v101, s91
	v_cmpx_lt_u32_e64 v99, v80
	s_cbranch_execz .LBB691_2840
; %bb.2837:
	s_mov_b32 s93, 0
	s_mov_b32 s90, exec_lo
	v_cmpx_lt_u32_e64 v96, v71
	s_cbranch_execz .LBB691_2839
; %bb.2838:
	v_and_b32_e32 v100, 0xff, v150
	v_and_b32_e32 v101, 0xff, v151
	v_mul_lo_u16 v100, 0xcd, v100
	v_mul_lo_u16 v101, 0xcd, v101
	v_lshrrev_b16 v100, 11, v100
	v_lshrrev_b16 v101, 11, v101
	v_cmp_ge_u16_e32 vcc_lo, v100, v101
	s_and_b32 s93, vcc_lo, exec_lo
.LBB691_2839:
	s_or_b32 exec_lo, exec_lo, s90
	s_orn2_b32 s90, s93, exec_lo
.LBB691_2840:
	s_or_b32 exec_lo, exec_lo, s92
	v_cndmask_b32_e64 v100, v99, v96, s90
	v_cndmask_b32_e64 v101, v80, v71, s90
	s_mov_b32 s92, -1
	s_mov_b32 s93, -1
	s_mov_b32 s94, exec_lo
	v_add_nc_u32_e32 v100, 1, v100
	v_add_nc_u32_e32 v101, -1, v101
	v_cndmask_b32_e64 v99, v100, v99, s90
	v_min_u32_e32 v101, v100, v101
	v_cndmask_b32_e64 v96, v96, v100, s90
	v_add_nc_u32_e32 v101, v68, v101
	ds_read_u8 v101, v101
	s_waitcnt lgkmcnt(0)
	v_cndmask_b32_e64 v160, v101, v150, s90
	v_cndmask_b32_e64 v161, v151, v101, s90
	v_cmpx_lt_u32_e64 v99, v80
	s_cbranch_execz .LBB691_2844
; %bb.2841:
	s_mov_b32 s95, 0
	s_mov_b32 s93, exec_lo
	v_cmpx_lt_u32_e64 v96, v71
	s_cbranch_execz .LBB691_2843
; %bb.2842:
	v_and_b32_e32 v100, 0xff, v160
	v_and_b32_e32 v101, 0xff, v161
	v_mul_lo_u16 v100, 0xcd, v100
	v_mul_lo_u16 v101, 0xcd, v101
	v_lshrrev_b16 v100, 11, v100
	v_lshrrev_b16 v101, 11, v101
	v_cmp_ge_u16_e32 vcc_lo, v100, v101
	s_and_b32 s95, vcc_lo, exec_lo
.LBB691_2843:
	s_or_b32 exec_lo, exec_lo, s93
	s_orn2_b32 s93, s95, exec_lo
.LBB691_2844:
	s_or_b32 exec_lo, exec_lo, s94
	v_cndmask_b32_e64 v100, v99, v96, s93
	v_cndmask_b32_e64 v101, v80, v71, s93
	s_mov_b32 s94, exec_lo
	v_add_nc_u32_e32 v100, 1, v100
	v_add_nc_u32_e32 v101, -1, v101
	v_cndmask_b32_e64 v99, v100, v99, s93
	v_min_u32_e32 v101, v100, v101
	v_cndmask_b32_e64 v96, v96, v100, s93
	v_add_nc_u32_e32 v101, v68, v101
	ds_read_u8 v101, v101
	s_waitcnt lgkmcnt(0)
	v_cndmask_b32_e64 v162, v101, v160, s93
	v_cndmask_b32_e64 v163, v161, v101, s93
	v_cmpx_lt_u32_e64 v99, v80
	s_cbranch_execz .LBB691_2848
; %bb.2845:
	s_mov_b32 s95, 0
	s_mov_b32 s92, exec_lo
	v_cmpx_lt_u32_e64 v96, v71
	s_cbranch_execz .LBB691_2847
; %bb.2846:
	v_and_b32_e32 v100, 0xff, v162
	v_and_b32_e32 v101, 0xff, v163
	v_mul_lo_u16 v100, 0xcd, v100
	v_mul_lo_u16 v101, 0xcd, v101
	v_lshrrev_b16 v100, 11, v100
	v_lshrrev_b16 v101, 11, v101
	v_cmp_ge_u16_e32 vcc_lo, v100, v101
	s_and_b32 s95, vcc_lo, exec_lo
.LBB691_2847:
	s_or_b32 exec_lo, exec_lo, s92
	s_orn2_b32 s92, s95, exec_lo
.LBB691_2848:
	s_or_b32 exec_lo, exec_lo, s94
	v_cndmask_b32_e64 v100, v99, v96, s92
	v_cndmask_b32_e64 v101, v80, v71, s92
	s_mov_b32 s94, -1
	s_mov_b32 s95, -1
	s_mov_b32 vcc_hi, exec_lo
	v_add_nc_u32_e32 v100, 1, v100
	v_add_nc_u32_e32 v101, -1, v101
	v_cndmask_b32_e64 v99, v100, v99, s92
	v_min_u32_e32 v101, v100, v101
	v_cndmask_b32_e64 v96, v96, v100, s92
	v_add_nc_u32_e32 v101, v68, v101
	ds_read_u8 v101, v101
	s_waitcnt lgkmcnt(0)
	v_cndmask_b32_e64 v164, v101, v162, s92
	v_cndmask_b32_e64 v165, v163, v101, s92
	v_cmpx_lt_u32_e64 v99, v80
	s_cbranch_execz .LBB691_2852
; %bb.2849:
	s_mov_b32 s30, 0
	s_mov_b32 s95, exec_lo
	v_cmpx_lt_u32_e64 v96, v71
	s_cbranch_execz .LBB691_2851
; %bb.2850:
	v_and_b32_e32 v100, 0xff, v164
	v_and_b32_e32 v101, 0xff, v165
	v_mul_lo_u16 v100, 0xcd, v100
	v_mul_lo_u16 v101, 0xcd, v101
	v_lshrrev_b16 v100, 11, v100
	v_lshrrev_b16 v101, 11, v101
	v_cmp_ge_u16_e32 vcc_lo, v100, v101
	s_and_b32 s30, vcc_lo, exec_lo
.LBB691_2851:
	s_or_b32 exec_lo, exec_lo, s95
	s_orn2_b32 s95, s30, exec_lo
.LBB691_2852:
	s_or_b32 exec_lo, exec_lo, vcc_hi
	v_cndmask_b32_e64 v100, v99, v96, s95
	v_cndmask_b32_e64 v101, v80, v71, s95
	s_mov_b32 vcc_hi, exec_lo
	v_add_nc_u32_e32 v100, 1, v100
	v_add_nc_u32_e32 v101, -1, v101
	v_cndmask_b32_e64 v99, v100, v99, s95
	v_min_u32_e32 v101, v100, v101
	v_cndmask_b32_e64 v96, v96, v100, s95
	v_add_nc_u32_e32 v101, v68, v101
	ds_read_u8 v101, v101
	s_waitcnt lgkmcnt(0)
	v_cndmask_b32_e64 v166, v101, v164, s95
	v_cndmask_b32_e64 v167, v165, v101, s95
	v_cmpx_lt_u32_e64 v99, v80
	s_cbranch_execz .LBB691_2856
; %bb.2853:
	s_mov_b32 s30, 0
	s_mov_b32 s94, exec_lo
	v_cmpx_lt_u32_e64 v96, v71
	s_cbranch_execz .LBB691_2855
; %bb.2854:
	v_and_b32_e32 v100, 0xff, v166
	v_and_b32_e32 v101, 0xff, v167
	v_mul_lo_u16 v100, 0xcd, v100
	v_mul_lo_u16 v101, 0xcd, v101
	v_lshrrev_b16 v100, 11, v100
	v_lshrrev_b16 v101, 11, v101
	v_cmp_ge_u16_e32 vcc_lo, v100, v101
	s_and_b32 s30, vcc_lo, exec_lo
.LBB691_2855:
	s_or_b32 exec_lo, exec_lo, s94
	s_orn2_b32 s94, s30, exec_lo
.LBB691_2856:
	s_or_b32 exec_lo, exec_lo, vcc_hi
	v_cndmask_b32_e64 v100, v99, v96, s94
	v_cndmask_b32_e64 v101, v80, v71, s94
	s_mov_b32 vcc_hi, -1
	s_mov_b32 s30, -1
	s_mov_b32 s31, exec_lo
	v_add_nc_u32_e32 v100, 1, v100
	v_add_nc_u32_e32 v101, -1, v101
	v_cndmask_b32_e64 v99, v100, v99, s94
	v_min_u32_e32 v101, v100, v101
	v_cndmask_b32_e64 v96, v96, v100, s94
	v_add_nc_u32_e32 v101, v68, v101
	ds_read_u8 v101, v101
	s_waitcnt lgkmcnt(0)
	v_cndmask_b32_e64 v176, v101, v166, s94
	v_cndmask_b32_e64 v177, v167, v101, s94
	v_cmpx_lt_u32_e64 v99, v80
	s_cbranch_execz .LBB691_2860
; %bb.2857:
	s_mov_b32 s34, 0
	s_mov_b32 s30, exec_lo
	v_cmpx_lt_u32_e64 v96, v71
	s_cbranch_execz .LBB691_2859
; %bb.2858:
	v_and_b32_e32 v100, 0xff, v176
	v_and_b32_e32 v101, 0xff, v177
	v_mul_lo_u16 v100, 0xcd, v100
	v_mul_lo_u16 v101, 0xcd, v101
	v_lshrrev_b16 v100, 11, v100
	v_lshrrev_b16 v101, 11, v101
	v_cmp_ge_u16_e32 vcc_lo, v100, v101
	s_and_b32 s34, vcc_lo, exec_lo
.LBB691_2859:
	s_or_b32 exec_lo, exec_lo, s30
	s_orn2_b32 s30, s34, exec_lo
.LBB691_2860:
	s_or_b32 exec_lo, exec_lo, s31
	v_cndmask_b32_e64 v100, v99, v96, s30
	v_cndmask_b32_e64 v101, v80, v71, s30
	s_mov_b32 s31, exec_lo
	v_add_nc_u32_e32 v100, 1, v100
	v_add_nc_u32_e32 v101, -1, v101
	v_cndmask_b32_e64 v99, v100, v99, s30
	v_min_u32_e32 v101, v100, v101
	v_cndmask_b32_e64 v96, v96, v100, s30
	v_add_nc_u32_e32 v101, v68, v101
	ds_read_u8 v101, v101
	s_waitcnt lgkmcnt(0)
	v_cndmask_b32_e64 v178, v101, v176, s30
	v_cndmask_b32_e64 v179, v177, v101, s30
	v_cmpx_lt_u32_e64 v99, v80
	s_cbranch_execz .LBB691_2864
; %bb.2861:
	s_mov_b32 s34, 0
	s_mov_b32 vcc_hi, exec_lo
	v_cmpx_lt_u32_e64 v96, v71
	s_cbranch_execz .LBB691_2863
; %bb.2862:
	v_and_b32_e32 v100, 0xff, v178
	v_and_b32_e32 v101, 0xff, v179
	v_mul_lo_u16 v100, 0xcd, v100
	v_mul_lo_u16 v101, 0xcd, v101
	v_lshrrev_b16 v100, 11, v100
	v_lshrrev_b16 v101, 11, v101
	v_cmp_ge_u16_e32 vcc_lo, v100, v101
	s_and_b32 s34, vcc_lo, exec_lo
.LBB691_2863:
	s_or_b32 exec_lo, exec_lo, vcc_hi
	s_orn2_b32 vcc_hi, s34, exec_lo
.LBB691_2864:
	s_or_b32 exec_lo, exec_lo, s31
	v_cndmask_b32_e64 v100, v99, v96, vcc_hi
	v_cndmask_b32_e64 v101, v80, v71, vcc_hi
	s_mov_b32 s31, -1
	s_mov_b32 s34, -1
	s_mov_b32 s39, exec_lo
	v_add_nc_u32_e32 v100, 1, v100
	v_add_nc_u32_e32 v101, -1, v101
	v_cndmask_b32_e64 v99, v100, v99, vcc_hi
	v_min_u32_e32 v101, v100, v101
	v_cndmask_b32_e64 v96, v96, v100, vcc_hi
	v_add_nc_u32_e32 v101, v68, v101
	ds_read_u8 v101, v101
	s_waitcnt lgkmcnt(0)
	v_cndmask_b32_e64 v180, v101, v178, vcc_hi
	v_cndmask_b32_e64 v181, v179, v101, vcc_hi
	v_cmpx_lt_u32_e64 v99, v80
	s_cbranch_execz .LBB691_2868
; %bb.2865:
	s_mov_b32 s48, 0
	s_mov_b32 s34, exec_lo
	v_cmpx_lt_u32_e64 v96, v71
	s_cbranch_execz .LBB691_2867
; %bb.2866:
	v_and_b32_e32 v100, 0xff, v180
	v_and_b32_e32 v101, 0xff, v181
	v_mul_lo_u16 v100, 0xcd, v100
	v_mul_lo_u16 v101, 0xcd, v101
	v_lshrrev_b16 v100, 11, v100
	v_lshrrev_b16 v101, 11, v101
	v_cmp_ge_u16_e32 vcc_lo, v100, v101
	s_and_b32 s48, vcc_lo, exec_lo
.LBB691_2867:
	s_or_b32 exec_lo, exec_lo, s34
	s_orn2_b32 s34, s48, exec_lo
.LBB691_2868:
	s_or_b32 exec_lo, exec_lo, s39
	v_cndmask_b32_e64 v100, v99, v96, s34
	v_cndmask_b32_e64 v101, v80, v71, s34
	s_mov_b32 s39, exec_lo
	v_add_nc_u32_e32 v102, 1, v100
	v_add_nc_u32_e32 v100, -1, v101
	v_min_u32_e32 v100, v102, v100
	v_add_nc_u32_e32 v100, v68, v100
	ds_read_u8 v101, v100
	v_cndmask_b32_e64 v100, v102, v99, s34
	v_cndmask_b32_e64 v99, v96, v102, s34
	s_waitcnt lgkmcnt(0)
	v_cndmask_b32_e64 v182, v101, v180, s34
	v_cndmask_b32_e64 v183, v181, v101, s34
	v_cmpx_lt_u32_e64 v100, v80
	s_cbranch_execz .LBB691_2872
; %bb.2869:
	s_mov_b32 s48, 0
	s_mov_b32 s31, exec_lo
	v_cmpx_lt_u32_e64 v99, v71
	s_cbranch_execz .LBB691_2871
; %bb.2870:
	v_and_b32_e32 v96, 0xff, v182
	v_and_b32_e32 v101, 0xff, v183
	v_mul_lo_u16 v96, 0xcd, v96
	v_mul_lo_u16 v101, 0xcd, v101
	v_lshrrev_b16 v96, 11, v96
	v_lshrrev_b16 v101, 11, v101
	v_cmp_ge_u16_e32 vcc_lo, v96, v101
	s_and_b32 s48, vcc_lo, exec_lo
.LBB691_2871:
	s_or_b32 exec_lo, exec_lo, s31
	s_orn2_b32 s31, s48, exec_lo
.LBB691_2872:
	s_or_b32 exec_lo, exec_lo, s39
	v_cndmask_b32_e64 v96, v100, v99, s31
	v_cndmask_b32_e64 v102, v80, v71, s31
	s_mov_b32 s39, exec_lo
	v_add_nc_u32_e32 v101, 1, v96
	v_add_nc_u32_e32 v96, -1, v102
	v_cndmask_b32_e64 v100, v101, v100, s31
	v_min_u32_e32 v96, v101, v96
	v_add_nc_u32_e32 v96, v68, v96
	ds_read_u8 v102, v96
	s_waitcnt lgkmcnt(0)
	v_cndmask_b32_e64 v96, v183, v102, s31
	v_cmpx_lt_u32_e64 v100, v80
	s_cbranch_execz .LBB691_2876
; %bb.2873:
	v_cndmask_b32_e64 v99, v99, v101, s31
	v_cndmask_b32_e64 v80, v102, v182, s31
	s_mov_b32 s48, exec_lo
	v_cmpx_lt_u32_e64 v99, v71
	s_cbranch_execz .LBB691_2875
; %bb.2874:
	v_and_b32_e32 v71, 0xff, v80
	v_and_b32_e32 v99, 0xff, v96
	v_mul_lo_u16 v71, 0xcd, v71
	v_mul_lo_u16 v99, 0xcd, v99
	v_lshrrev_b16 v71, 11, v71
	v_lshrrev_b16 v99, 11, v99
	v_cmp_lt_u16_e32 vcc_lo, v71, v99
	v_cndmask_b32_e32 v80, v96, v80, vcc_lo
.LBB691_2875:
	s_or_b32 exec_lo, exec_lo, s48
	v_mov_b32_e32 v96, v80
.LBB691_2876:
	s_or_b32 exec_lo, exec_lo, s39
	v_cndmask_b32_e64 v99, v2, v1, s12
	v_cndmask_b32_e64 v100, v3, v6, s13
	;; [unrolled: 1-line block ×13, first 2 shown]
	v_lshlrev_b16 v3, 8, v100
	v_lshlrev_b16 v6, 8, v1
	;; [unrolled: 1-line block ×6, first 2 shown]
	v_cndmask_b32_e64 v115, v113, v115, s72
	v_cndmask_b32_e64 v118, v118, v119, s74
	;; [unrolled: 1-line block ×11, first 2 shown]
	v_or_b32_sdwa v3, v99, v3 dst_sel:DWORD dst_unused:UNUSED_PAD src0_sel:BYTE_0 src1_sel:DWORD
	v_or_b32_sdwa v6, v101, v6 dst_sel:WORD_1 dst_unused:UNUSED_PAD src0_sel:BYTE_0 src1_sel:DWORD
	v_or_b32_sdwa v7, v102, v7 dst_sel:DWORD dst_unused:UNUSED_PAD src0_sel:BYTE_0 src1_sel:DWORD
	v_or_b32_sdwa v8, v114, v8 dst_sel:WORD_1 dst_unused:UNUSED_PAD src0_sel:BYTE_0 src1_sel:DWORD
	;; [unrolled: 2-line block ×3, first 2 shown]
	v_lshlrev_b16 v11, 8, v116
	v_cndmask_b32_e64 v87, v134, v135, s78
	v_cndmask_b32_e64 v97, v146, v147, s88
	v_cndmask_b32_e64 v103, v150, v151, s90
	v_cndmask_b32_e64 v117, v162, v163, s92
	v_cndmask_b32_e64 v129, v166, v167, s94
	v_cndmask_b32_e64 v130, v178, v179, vcc_hi
	v_or_b32_sdwa v3, v3, v6 dst_sel:DWORD dst_unused:UNUSED_PAD src0_sel:WORD_0 src1_sel:DWORD
	v_or_b32_sdwa v16, v7, v8 dst_sel:DWORD dst_unused:UNUSED_PAD src0_sel:WORD_0 src1_sel:DWORD
	;; [unrolled: 1-line block ×3, first 2 shown]
	v_lshlrev_b16 v6, 8, v86
	v_or_b32_sdwa v7, v115, v11 dst_sel:DWORD dst_unused:UNUSED_PAD src0_sel:BYTE_0 src1_sel:DWORD
	v_lshlrev_b16 v8, 8, v128
	v_lshlrev_b16 v9, 8, v131
	;; [unrolled: 1-line block ×7, first 2 shown]
	v_cndmask_b32_e64 v132, v182, v183, s31
	v_or_b32_sdwa v6, v84, v6 dst_sel:DWORD dst_unused:UNUSED_PAD src0_sel:BYTE_0 src1_sel:DWORD
	v_or_b32_sdwa v9, v130, v9 dst_sel:DWORD dst_unused:UNUSED_PAD src0_sel:BYTE_0 src1_sel:DWORD
	;; [unrolled: 1-line block ×4, first 2 shown]
	v_or_b32_sdwa v71, v129, v71 dst_sel:WORD_1 dst_unused:UNUSED_PAD src0_sel:BYTE_0 src1_sel:DWORD
	v_or_b32_sdwa v80, v103, v80 dst_sel:WORD_1 dst_unused:UNUSED_PAD src0_sel:BYTE_0 src1_sel:DWORD
	;; [unrolled: 1-line block ×4, first 2 shown]
	v_and_b32_e32 v9, 0xffff, v9
	v_perm_b32 v133, v132, v96, 0xc0c0004
	v_or_b32_sdwa v13, v13, v71 dst_sel:DWORD dst_unused:UNUSED_PAD src0_sel:WORD_0 src1_sel:DWORD
	v_or_b32_sdwa v11, v11, v80 dst_sel:DWORD dst_unused:UNUSED_PAD src0_sel:WORD_0 src1_sel:DWORD
	;; [unrolled: 1-line block ×4, first 2 shown]
	v_lshl_or_b32 v9, v133, 16, v9
	v_mov_b32_e32 v8, v13
	v_mov_b32_e32 v7, v11
	;; [unrolled: 1-line block ×6, first 2 shown]
.LBB691_2877:
	s_or_b32 exec_lo, exec_lo, s9
	v_perm_b32 v16, v115, v116, 0xc0c0004
	v_perm_b32 v71, v118, v128, 0xc0c0004
	v_and_b32_e32 v80, 0x380, v70
	v_perm_b32 v133, v82, v83, 0xc0c0004
	v_perm_b32 v134, v102, v112, 0xc0c0004
	;; [unrolled: 1-line block ×3, first 2 shown]
	v_lshl_or_b32 v147, v71, 16, v16
	v_or_b32_e32 v16, 64, v80
	v_perm_b32 v71, v85, v2, 0xc0c0004
	v_perm_b32 v144, v99, v100, 0xc0c0004
	v_lshl_or_b32 v145, v135, 16, v134
	v_and_b32_e32 v134, 0x60, v70
	v_min_u32_e32 v16, v69, v16
	v_lshl_or_b32 v146, v71, 16, v133
	v_perm_b32 v148, v101, v1, 0xc0c0004
	v_perm_b32 v149, v130, v131, 0xc0c0004
	;; [unrolled: 1-line block ×3, first 2 shown]
	v_add_nc_u32_e32 v71, 64, v16
	v_perm_b32 v133, v117, v119, 0xc0c0004
	v_perm_b32 v135, v129, v15, 0xc0c0004
	v_min_u32_e32 v134, v69, v134
	v_sub_nc_u32_e32 v161, v16, v80
	v_min_u32_e32 v71, v69, v71
	v_lshl_or_b32 v144, v148, 16, v144
	v_lshl_or_b32 v151, v150, 16, v149
	v_perm_b32 v148, v97, v98, 0xc0c0004
	v_perm_b32 v149, v103, v113, 0xc0c0004
	v_sub_nc_u32_e32 v160, v71, v16
	v_perm_b32 v162, v84, v86, 0xc0c0004
	v_perm_b32 v163, v87, v14, 0xc0c0004
	v_add_nc_u32_e32 v3, v68, v70
	v_lshl_or_b32 v150, v135, 16, v133
	v_sub_nc_u32_e64 v133, v134, v160 clamp
	v_min_u32_e32 v135, v134, v161
	v_lshl_or_b32 v149, v149, 16, v148
	v_lshl_or_b32 v148, v163, 16, v162
	s_mov_b32 s8, exec_lo
	; wave barrier
	ds_write_b128 v3, v[144:147]
	ds_write_b128 v3, v[148:151] offset:16
	; wave barrier
	v_cmpx_lt_u32_e64 v133, v135
	s_cbranch_execz .LBB691_2881
; %bb.2878:
	v_add_nc_u32_e32 v144, v68, v80
	v_add3_u32 v145, v68, v16, v134
	s_mov_b32 s9, 0
	.p2align	6
.LBB691_2879:                           ; =>This Inner Loop Header: Depth=1
	v_add_nc_u32_e32 v146, v135, v133
	v_lshrrev_b32_e32 v146, 1, v146
	v_xad_u32 v147, v146, -1, v145
	v_add_nc_u32_e32 v148, v144, v146
	v_add_nc_u32_e32 v149, 1, v146
	ds_read_u8 v147, v147
	ds_read_u8 v148, v148
	s_waitcnt lgkmcnt(1)
	v_mul_lo_u16 v147, 0xcd, v147
	s_waitcnt lgkmcnt(0)
	v_mul_lo_u16 v148, 0xcd, v148
	v_lshrrev_b16 v147, 11, v147
	v_lshrrev_b16 v148, 11, v148
	v_cmp_lt_u16_e32 vcc_lo, v147, v148
	v_cndmask_b32_e32 v135, v135, v146, vcc_lo
	v_cndmask_b32_e32 v133, v149, v133, vcc_lo
	v_cmp_ge_u32_e32 vcc_lo, v133, v135
	s_or_b32 s9, vcc_lo, s9
	s_andn2_b32 exec_lo, exec_lo, s9
	s_cbranch_execnz .LBB691_2879
; %bb.2880:
	s_or_b32 exec_lo, exec_lo, s9
.LBB691_2881:
	s_or_b32 exec_lo, exec_lo, s8
	v_add_nc_u32_e32 v134, v16, v134
	v_add_nc_u32_e32 v80, v133, v80
	v_sub_nc_u32_e32 v133, v134, v133
	v_cmp_le_u32_e32 vcc_lo, v80, v16
	v_cmp_le_u32_e64 s8, v133, v71
	s_or_b32 s8, vcc_lo, s8
	s_and_saveexec_b32 s9, s8
	s_cbranch_execz .LBB691_3013
; %bb.2882:
	s_mov_b32 s12, exec_lo
	v_cmp_ge_u32_e32 vcc_lo, v80, v16
                                        ; implicit-def: $vgpr1
	v_cmpx_lt_u32_e64 v80, v16
; %bb.2883:
	v_add_nc_u32_e32 v1, v68, v80
	ds_read_u8 v1, v1
; %bb.2884:
	s_or_b32 exec_lo, exec_lo, s12
	v_cmp_ge_u32_e64 s12, v133, v71
	s_mov_b32 s13, exec_lo
                                        ; implicit-def: $vgpr2
	v_cmpx_lt_u32_e64 v133, v71
; %bb.2885:
	v_add_nc_u32_e32 v2, v68, v133
	ds_read_u8 v2, v2
; %bb.2886:
	s_or_b32 exec_lo, exec_lo, s13
	s_nor_b32 s13, vcc_lo, s12
	s_and_saveexec_b32 s8, s13
	s_cbranch_execz .LBB691_2888
; %bb.2887:
	s_waitcnt lgkmcnt(0)
	v_and_b32_e32 v6, 0xff, v2
	v_and_b32_e32 v7, 0xff, v1
	s_andn2_b32 s12, s12, exec_lo
	v_mul_lo_u16 v6, 0xcd, v6
	v_mul_lo_u16 v7, 0xcd, v7
	v_lshrrev_b16 v6, 11, v6
	v_lshrrev_b16 v7, 11, v7
	v_cmp_ge_u16_e32 vcc_lo, v6, v7
	s_and_b32 s13, vcc_lo, exec_lo
	s_or_b32 s12, s12, s13
.LBB691_2888:
	s_or_b32 exec_lo, exec_lo, s8
	v_cndmask_b32_e64 v6, v133, v80, s12
	v_cndmask_b32_e64 v7, v71, v16, s12
	s_mov_b32 s8, -1
	s_mov_b32 s13, -1
	s_mov_b32 s56, exec_lo
	v_add_nc_u32_e32 v6, 1, v6
	v_add_nc_u32_e32 v7, -1, v7
	v_cndmask_b32_e64 v8, v6, v133, s12
	v_min_u32_e32 v7, v6, v7
	v_cndmask_b32_e64 v9, v80, v6, s12
	v_add_nc_u32_e32 v7, v68, v7
	ds_read_u8 v7, v7
	s_waitcnt lgkmcnt(0)
	v_cndmask_b32_e64 v6, v7, v2, s12
	v_cndmask_b32_e64 v7, v1, v7, s12
	v_cmpx_lt_u32_e64 v8, v71
	s_cbranch_execz .LBB691_2892
; %bb.2889:
	s_mov_b32 s57, 0
	s_mov_b32 s13, exec_lo
	v_cmpx_lt_u32_e64 v9, v16
	s_cbranch_execz .LBB691_2891
; %bb.2890:
	v_and_b32_e32 v10, 0xff, v6
	v_and_b32_e32 v11, 0xff, v7
	v_mul_lo_u16 v10, 0xcd, v10
	v_mul_lo_u16 v11, 0xcd, v11
	v_lshrrev_b16 v10, 11, v10
	v_lshrrev_b16 v11, 11, v11
	v_cmp_ge_u16_e32 vcc_lo, v10, v11
	s_and_b32 s57, vcc_lo, exec_lo
.LBB691_2891:
	s_or_b32 exec_lo, exec_lo, s13
	s_orn2_b32 s13, s57, exec_lo
.LBB691_2892:
	s_or_b32 exec_lo, exec_lo, s56
	v_cndmask_b32_e64 v10, v8, v9, s13
	v_cndmask_b32_e64 v11, v71, v16, s13
	s_mov_b32 s56, exec_lo
	v_add_nc_u32_e32 v12, 1, v10
	v_add_nc_u32_e32 v10, -1, v11
	v_cndmask_b32_e64 v11, v9, v12, s13
	v_min_u32_e32 v10, v12, v10
	v_add_nc_u32_e32 v10, v68, v10
	ds_read_u8 v13, v10
	v_cndmask_b32_e64 v10, v12, v8, s13
	s_waitcnt lgkmcnt(0)
	v_cndmask_b32_e64 v8, v13, v6, s13
	v_cndmask_b32_e64 v9, v7, v13, s13
	v_cmpx_lt_u32_e64 v10, v71
	s_cbranch_execz .LBB691_2896
; %bb.2893:
	s_mov_b32 s57, 0
	s_mov_b32 s8, exec_lo
	v_cmpx_lt_u32_e64 v11, v16
	s_cbranch_execz .LBB691_2895
; %bb.2894:
	v_and_b32_e32 v12, 0xff, v8
	v_and_b32_e32 v13, 0xff, v9
	v_mul_lo_u16 v12, 0xcd, v12
	v_mul_lo_u16 v13, 0xcd, v13
	v_lshrrev_b16 v12, 11, v12
	v_lshrrev_b16 v13, 11, v13
	v_cmp_ge_u16_e32 vcc_lo, v12, v13
	s_and_b32 s57, vcc_lo, exec_lo
.LBB691_2895:
	s_or_b32 exec_lo, exec_lo, s8
	s_orn2_b32 s8, s57, exec_lo
.LBB691_2896:
	s_or_b32 exec_lo, exec_lo, s56
	v_cndmask_b32_e64 v12, v10, v11, s8
	v_cndmask_b32_e64 v13, v71, v16, s8
	s_mov_b32 s56, -1
	s_mov_b32 s57, -1
	s_mov_b32 s58, exec_lo
	v_add_nc_u32_e32 v14, 1, v12
	v_add_nc_u32_e32 v12, -1, v13
	v_cndmask_b32_e64 v13, v11, v14, s8
	v_min_u32_e32 v12, v14, v12
	v_add_nc_u32_e32 v12, v68, v12
	ds_read_u8 v15, v12
	v_cndmask_b32_e64 v12, v14, v10, s8
	s_waitcnt lgkmcnt(0)
	v_cndmask_b32_e64 v10, v15, v8, s8
	v_cndmask_b32_e64 v11, v9, v15, s8
	v_cmpx_lt_u32_e64 v12, v71
	s_cbranch_execz .LBB691_2900
; %bb.2897:
	s_mov_b32 s59, 0
	s_mov_b32 s57, exec_lo
	v_cmpx_lt_u32_e64 v13, v16
	s_cbranch_execz .LBB691_2899
; %bb.2898:
	v_and_b32_e32 v14, 0xff, v10
	v_and_b32_e32 v15, 0xff, v11
	v_mul_lo_u16 v14, 0xcd, v14
	v_mul_lo_u16 v15, 0xcd, v15
	v_lshrrev_b16 v14, 11, v14
	v_lshrrev_b16 v15, 11, v15
	v_cmp_ge_u16_e32 vcc_lo, v14, v15
	s_and_b32 s59, vcc_lo, exec_lo
.LBB691_2899:
	s_or_b32 exec_lo, exec_lo, s57
	s_orn2_b32 s57, s59, exec_lo
.LBB691_2900:
	s_or_b32 exec_lo, exec_lo, s58
	v_cndmask_b32_e64 v14, v12, v13, s57
	v_cndmask_b32_e64 v15, v71, v16, s57
	s_mov_b32 s58, exec_lo
	v_add_nc_u32_e32 v80, 1, v14
	v_add_nc_u32_e32 v14, -1, v15
	v_cndmask_b32_e64 v15, v13, v80, s57
	v_min_u32_e32 v14, v80, v14
	v_add_nc_u32_e32 v14, v68, v14
	ds_read_u8 v81, v14
	v_cndmask_b32_e64 v14, v80, v12, s57
	s_waitcnt lgkmcnt(0)
	v_cndmask_b32_e64 v12, v81, v10, s57
	v_cndmask_b32_e64 v13, v11, v81, s57
	v_cmpx_lt_u32_e64 v14, v71
	s_cbranch_execz .LBB691_2904
; %bb.2901:
	s_mov_b32 s59, 0
	s_mov_b32 s56, exec_lo
	v_cmpx_lt_u32_e64 v15, v16
	s_cbranch_execz .LBB691_2903
; %bb.2902:
	v_and_b32_e32 v80, 0xff, v12
	v_and_b32_e32 v81, 0xff, v13
	v_mul_lo_u16 v80, 0xcd, v80
	v_mul_lo_u16 v81, 0xcd, v81
	v_lshrrev_b16 v80, 11, v80
	v_lshrrev_b16 v81, 11, v81
	v_cmp_ge_u16_e32 vcc_lo, v80, v81
	s_and_b32 s59, vcc_lo, exec_lo
.LBB691_2903:
	s_or_b32 exec_lo, exec_lo, s56
	s_orn2_b32 s56, s59, exec_lo
.LBB691_2904:
	s_or_b32 exec_lo, exec_lo, s58
	v_cndmask_b32_e64 v80, v14, v15, s56
	v_cndmask_b32_e64 v81, v71, v16, s56
	s_mov_b32 s58, -1
	s_mov_b32 s59, -1
	s_mov_b32 s60, exec_lo
	v_add_nc_u32_e32 v82, 1, v80
	v_add_nc_u32_e32 v80, -1, v81
	v_cndmask_b32_e64 v81, v15, v82, s56
	v_min_u32_e32 v80, v82, v80
	v_add_nc_u32_e32 v80, v68, v80
	ds_read_u8 v83, v80
	v_cndmask_b32_e64 v80, v82, v14, s56
	s_waitcnt lgkmcnt(0)
	v_cndmask_b32_e64 v14, v83, v12, s56
	v_cndmask_b32_e64 v15, v13, v83, s56
	v_cmpx_lt_u32_e64 v80, v71
	s_cbranch_execz .LBB691_2908
; %bb.2905:
	s_mov_b32 s61, 0
	s_mov_b32 s59, exec_lo
	v_cmpx_lt_u32_e64 v81, v16
	s_cbranch_execz .LBB691_2907
; %bb.2906:
	v_and_b32_e32 v82, 0xff, v14
	v_and_b32_e32 v83, 0xff, v15
	v_mul_lo_u16 v82, 0xcd, v82
	v_mul_lo_u16 v83, 0xcd, v83
	v_lshrrev_b16 v82, 11, v82
	v_lshrrev_b16 v83, 11, v83
	v_cmp_ge_u16_e32 vcc_lo, v82, v83
	s_and_b32 s61, vcc_lo, exec_lo
.LBB691_2907:
	s_or_b32 exec_lo, exec_lo, s59
	s_orn2_b32 s59, s61, exec_lo
.LBB691_2908:
	s_or_b32 exec_lo, exec_lo, s60
	v_cndmask_b32_e64 v82, v80, v81, s59
	v_cndmask_b32_e64 v83, v71, v16, s59
	s_mov_b32 s60, exec_lo
	v_add_nc_u32_e32 v84, 1, v82
	v_add_nc_u32_e32 v82, -1, v83
	v_cndmask_b32_e64 v83, v81, v84, s59
	v_min_u32_e32 v82, v84, v82
	v_add_nc_u32_e32 v82, v68, v82
	ds_read_u8 v85, v82
	v_cndmask_b32_e64 v82, v84, v80, s59
	s_waitcnt lgkmcnt(0)
	v_cndmask_b32_e64 v80, v85, v14, s59
	v_cndmask_b32_e64 v81, v15, v85, s59
	v_cmpx_lt_u32_e64 v82, v71
	s_cbranch_execz .LBB691_2912
; %bb.2909:
	s_mov_b32 s61, 0
	s_mov_b32 s58, exec_lo
	v_cmpx_lt_u32_e64 v83, v16
	s_cbranch_execz .LBB691_2911
; %bb.2910:
	v_and_b32_e32 v84, 0xff, v80
	v_and_b32_e32 v85, 0xff, v81
	v_mul_lo_u16 v84, 0xcd, v84
	v_mul_lo_u16 v85, 0xcd, v85
	v_lshrrev_b16 v84, 11, v84
	v_lshrrev_b16 v85, 11, v85
	v_cmp_ge_u16_e32 vcc_lo, v84, v85
	s_and_b32 s61, vcc_lo, exec_lo
.LBB691_2911:
	s_or_b32 exec_lo, exec_lo, s58
	s_orn2_b32 s58, s61, exec_lo
.LBB691_2912:
	s_or_b32 exec_lo, exec_lo, s60
	v_cndmask_b32_e64 v84, v82, v83, s58
	v_cndmask_b32_e64 v85, v71, v16, s58
	s_mov_b32 s60, -1
	s_mov_b32 s61, -1
	s_mov_b32 s62, exec_lo
	v_add_nc_u32_e32 v86, 1, v84
	v_add_nc_u32_e32 v84, -1, v85
	v_cndmask_b32_e64 v85, v83, v86, s58
	v_min_u32_e32 v84, v86, v84
	v_add_nc_u32_e32 v84, v68, v84
	ds_read_u8 v87, v84
	v_cndmask_b32_e64 v84, v86, v82, s58
	s_waitcnt lgkmcnt(0)
	v_cndmask_b32_e64 v82, v87, v80, s58
	v_cndmask_b32_e64 v83, v81, v87, s58
	v_cmpx_lt_u32_e64 v84, v71
	s_cbranch_execz .LBB691_2916
; %bb.2913:
	s_mov_b32 s63, 0
	s_mov_b32 s61, exec_lo
	v_cmpx_lt_u32_e64 v85, v16
	s_cbranch_execz .LBB691_2915
; %bb.2914:
	v_and_b32_e32 v86, 0xff, v82
	v_and_b32_e32 v87, 0xff, v83
	v_mul_lo_u16 v86, 0xcd, v86
	v_mul_lo_u16 v87, 0xcd, v87
	v_lshrrev_b16 v86, 11, v86
	v_lshrrev_b16 v87, 11, v87
	v_cmp_ge_u16_e32 vcc_lo, v86, v87
	s_and_b32 s63, vcc_lo, exec_lo
.LBB691_2915:
	s_or_b32 exec_lo, exec_lo, s61
	s_orn2_b32 s61, s63, exec_lo
.LBB691_2916:
	s_or_b32 exec_lo, exec_lo, s62
	v_cndmask_b32_e64 v86, v84, v85, s61
	v_cndmask_b32_e64 v87, v71, v16, s61
	s_mov_b32 s62, exec_lo
	v_add_nc_u32_e32 v96, 1, v86
	v_add_nc_u32_e32 v86, -1, v87
	v_cndmask_b32_e64 v87, v85, v96, s61
	v_min_u32_e32 v86, v96, v86
	v_add_nc_u32_e32 v86, v68, v86
	ds_read_u8 v97, v86
	v_cndmask_b32_e64 v86, v96, v84, s61
	s_waitcnt lgkmcnt(0)
	v_cndmask_b32_e64 v84, v97, v82, s61
	v_cndmask_b32_e64 v85, v83, v97, s61
	v_cmpx_lt_u32_e64 v86, v71
	s_cbranch_execz .LBB691_2920
; %bb.2917:
	s_mov_b32 s63, 0
	s_mov_b32 s60, exec_lo
	v_cmpx_lt_u32_e64 v87, v16
	s_cbranch_execz .LBB691_2919
; %bb.2918:
	v_and_b32_e32 v96, 0xff, v84
	v_and_b32_e32 v97, 0xff, v85
	v_mul_lo_u16 v96, 0xcd, v96
	v_mul_lo_u16 v97, 0xcd, v97
	v_lshrrev_b16 v96, 11, v96
	v_lshrrev_b16 v97, 11, v97
	v_cmp_ge_u16_e32 vcc_lo, v96, v97
	s_and_b32 s63, vcc_lo, exec_lo
.LBB691_2919:
	s_or_b32 exec_lo, exec_lo, s60
	s_orn2_b32 s60, s63, exec_lo
.LBB691_2920:
	s_or_b32 exec_lo, exec_lo, s62
	v_cndmask_b32_e64 v96, v86, v87, s60
	v_cndmask_b32_e64 v97, v71, v16, s60
	s_mov_b32 s62, -1
	s_mov_b32 s63, -1
	s_mov_b32 s72, exec_lo
	v_add_nc_u32_e32 v98, 1, v96
	v_add_nc_u32_e32 v96, -1, v97
	v_cndmask_b32_e64 v97, v87, v98, s60
	v_min_u32_e32 v96, v98, v96
	v_add_nc_u32_e32 v96, v68, v96
	ds_read_u8 v99, v96
	v_cndmask_b32_e64 v96, v98, v86, s60
	s_waitcnt lgkmcnt(0)
	v_cndmask_b32_e64 v86, v99, v84, s60
	v_cndmask_b32_e64 v87, v85, v99, s60
	v_cmpx_lt_u32_e64 v96, v71
	s_cbranch_execz .LBB691_2924
; %bb.2921:
	s_mov_b32 s73, 0
	s_mov_b32 s63, exec_lo
	v_cmpx_lt_u32_e64 v97, v16
	s_cbranch_execz .LBB691_2923
; %bb.2922:
	v_and_b32_e32 v98, 0xff, v86
	v_and_b32_e32 v99, 0xff, v87
	v_mul_lo_u16 v98, 0xcd, v98
	v_mul_lo_u16 v99, 0xcd, v99
	v_lshrrev_b16 v98, 11, v98
	v_lshrrev_b16 v99, 11, v99
	v_cmp_ge_u16_e32 vcc_lo, v98, v99
	s_and_b32 s73, vcc_lo, exec_lo
.LBB691_2923:
	s_or_b32 exec_lo, exec_lo, s63
	s_orn2_b32 s63, s73, exec_lo
.LBB691_2924:
	s_or_b32 exec_lo, exec_lo, s72
	v_cndmask_b32_e64 v98, v96, v97, s63
	v_cndmask_b32_e64 v99, v71, v16, s63
	s_mov_b32 s72, exec_lo
	v_add_nc_u32_e32 v98, 1, v98
	v_add_nc_u32_e32 v99, -1, v99
	v_cndmask_b32_e64 v96, v98, v96, s63
	v_min_u32_e32 v99, v98, v99
	v_add_nc_u32_e32 v99, v68, v99
	ds_read_u8 v100, v99
	v_cndmask_b32_e64 v99, v97, v98, s63
	s_waitcnt lgkmcnt(0)
	v_cndmask_b32_e64 v97, v100, v86, s63
	v_cndmask_b32_e64 v98, v87, v100, s63
	v_cmpx_lt_u32_e64 v96, v71
	s_cbranch_execz .LBB691_2928
; %bb.2925:
	s_mov_b32 s73, 0
	s_mov_b32 s62, exec_lo
	v_cmpx_lt_u32_e64 v99, v16
	s_cbranch_execz .LBB691_2927
; %bb.2926:
	v_and_b32_e32 v100, 0xff, v97
	v_and_b32_e32 v101, 0xff, v98
	v_mul_lo_u16 v100, 0xcd, v100
	v_mul_lo_u16 v101, 0xcd, v101
	v_lshrrev_b16 v100, 11, v100
	v_lshrrev_b16 v101, 11, v101
	v_cmp_ge_u16_e32 vcc_lo, v100, v101
	s_and_b32 s73, vcc_lo, exec_lo
.LBB691_2927:
	s_or_b32 exec_lo, exec_lo, s62
	s_orn2_b32 s62, s73, exec_lo
.LBB691_2928:
	s_or_b32 exec_lo, exec_lo, s72
	v_cndmask_b32_e64 v100, v96, v99, s62
	v_cndmask_b32_e64 v101, v71, v16, s62
	s_mov_b32 s72, -1
	s_mov_b32 s73, -1
	s_mov_b32 s74, exec_lo
	v_add_nc_u32_e32 v100, 1, v100
	v_add_nc_u32_e32 v101, -1, v101
	v_cndmask_b32_e64 v96, v100, v96, s62
	v_min_u32_e32 v101, v100, v101
	v_cndmask_b32_e64 v99, v99, v100, s62
	v_add_nc_u32_e32 v101, v68, v101
	ds_read_u8 v101, v101
	s_waitcnt lgkmcnt(0)
	v_cndmask_b32_e64 v103, v101, v97, s62
	v_cndmask_b32_e64 v113, v98, v101, s62
	v_cmpx_lt_u32_e64 v96, v71
	s_cbranch_execz .LBB691_2932
; %bb.2929:
	s_mov_b32 s75, 0
	s_mov_b32 s73, exec_lo
	v_cmpx_lt_u32_e64 v99, v16
	s_cbranch_execz .LBB691_2931
; %bb.2930:
	v_and_b32_e32 v100, 0xff, v103
	v_and_b32_e32 v101, 0xff, v113
	v_mul_lo_u16 v100, 0xcd, v100
	v_mul_lo_u16 v101, 0xcd, v101
	v_lshrrev_b16 v100, 11, v100
	v_lshrrev_b16 v101, 11, v101
	v_cmp_ge_u16_e32 vcc_lo, v100, v101
	s_and_b32 s75, vcc_lo, exec_lo
.LBB691_2931:
	s_or_b32 exec_lo, exec_lo, s73
	s_orn2_b32 s73, s75, exec_lo
.LBB691_2932:
	s_or_b32 exec_lo, exec_lo, s74
	v_cndmask_b32_e64 v100, v96, v99, s73
	v_cndmask_b32_e64 v101, v71, v16, s73
	s_mov_b32 s74, exec_lo
	v_add_nc_u32_e32 v100, 1, v100
	v_add_nc_u32_e32 v101, -1, v101
	v_cndmask_b32_e64 v96, v100, v96, s73
	v_min_u32_e32 v101, v100, v101
	v_cndmask_b32_e64 v99, v99, v100, s73
	v_add_nc_u32_e32 v101, v68, v101
	ds_read_u8 v101, v101
	s_waitcnt lgkmcnt(0)
	v_cndmask_b32_e64 v115, v101, v103, s73
	v_cndmask_b32_e64 v116, v113, v101, s73
	v_cmpx_lt_u32_e64 v96, v71
	s_cbranch_execz .LBB691_2936
; %bb.2933:
	s_mov_b32 s75, 0
	s_mov_b32 s72, exec_lo
	v_cmpx_lt_u32_e64 v99, v16
	s_cbranch_execz .LBB691_2935
; %bb.2934:
	v_and_b32_e32 v100, 0xff, v115
	v_and_b32_e32 v101, 0xff, v116
	v_mul_lo_u16 v100, 0xcd, v100
	v_mul_lo_u16 v101, 0xcd, v101
	v_lshrrev_b16 v100, 11, v100
	v_lshrrev_b16 v101, 11, v101
	v_cmp_ge_u16_e32 vcc_lo, v100, v101
	s_and_b32 s75, vcc_lo, exec_lo
.LBB691_2935:
	s_or_b32 exec_lo, exec_lo, s72
	s_orn2_b32 s72, s75, exec_lo
.LBB691_2936:
	s_or_b32 exec_lo, exec_lo, s74
	v_cndmask_b32_e64 v100, v96, v99, s72
	v_cndmask_b32_e64 v101, v71, v16, s72
	s_mov_b32 s74, -1
	s_mov_b32 s75, -1
	s_mov_b32 s76, exec_lo
	v_add_nc_u32_e32 v100, 1, v100
	v_add_nc_u32_e32 v101, -1, v101
	v_cndmask_b32_e64 v96, v100, v96, s72
	v_min_u32_e32 v101, v100, v101
	v_cndmask_b32_e64 v99, v99, v100, s72
	v_add_nc_u32_e32 v101, v68, v101
	ds_read_u8 v101, v101
	s_waitcnt lgkmcnt(0)
	v_cndmask_b32_e64 v117, v101, v115, s72
	v_cndmask_b32_e64 v118, v116, v101, s72
	v_cmpx_lt_u32_e64 v96, v71
	s_cbranch_execz .LBB691_2940
; %bb.2937:
	s_mov_b32 s77, 0
	s_mov_b32 s75, exec_lo
	v_cmpx_lt_u32_e64 v99, v16
	s_cbranch_execz .LBB691_2939
; %bb.2938:
	v_and_b32_e32 v100, 0xff, v117
	v_and_b32_e32 v101, 0xff, v118
	v_mul_lo_u16 v100, 0xcd, v100
	v_mul_lo_u16 v101, 0xcd, v101
	v_lshrrev_b16 v100, 11, v100
	v_lshrrev_b16 v101, 11, v101
	v_cmp_ge_u16_e32 vcc_lo, v100, v101
	s_and_b32 s77, vcc_lo, exec_lo
.LBB691_2939:
	s_or_b32 exec_lo, exec_lo, s75
	s_orn2_b32 s75, s77, exec_lo
.LBB691_2940:
	s_or_b32 exec_lo, exec_lo, s76
	v_cndmask_b32_e64 v100, v96, v99, s75
	v_cndmask_b32_e64 v101, v71, v16, s75
	s_mov_b32 s76, exec_lo
	v_add_nc_u32_e32 v100, 1, v100
	v_add_nc_u32_e32 v101, -1, v101
	v_cndmask_b32_e64 v96, v100, v96, s75
	v_min_u32_e32 v101, v100, v101
	v_cndmask_b32_e64 v99, v99, v100, s75
	v_add_nc_u32_e32 v101, v68, v101
	ds_read_u8 v101, v101
	s_waitcnt lgkmcnt(0)
	v_cndmask_b32_e64 v119, v101, v117, s75
	v_cndmask_b32_e64 v128, v118, v101, s75
	v_cmpx_lt_u32_e64 v96, v71
	s_cbranch_execz .LBB691_2944
; %bb.2941:
	s_mov_b32 s77, 0
	s_mov_b32 s74, exec_lo
	v_cmpx_lt_u32_e64 v99, v16
	s_cbranch_execz .LBB691_2943
; %bb.2942:
	v_and_b32_e32 v100, 0xff, v119
	v_and_b32_e32 v101, 0xff, v128
	v_mul_lo_u16 v100, 0xcd, v100
	v_mul_lo_u16 v101, 0xcd, v101
	v_lshrrev_b16 v100, 11, v100
	v_lshrrev_b16 v101, 11, v101
	v_cmp_ge_u16_e32 vcc_lo, v100, v101
	s_and_b32 s77, vcc_lo, exec_lo
.LBB691_2943:
	s_or_b32 exec_lo, exec_lo, s74
	s_orn2_b32 s74, s77, exec_lo
.LBB691_2944:
	s_or_b32 exec_lo, exec_lo, s76
	v_cndmask_b32_e64 v100, v96, v99, s74
	v_cndmask_b32_e64 v101, v71, v16, s74
	s_mov_b32 s76, -1
	s_mov_b32 s77, -1
	s_mov_b32 s78, exec_lo
	v_add_nc_u32_e32 v100, 1, v100
	v_add_nc_u32_e32 v101, -1, v101
	v_cndmask_b32_e64 v96, v100, v96, s74
	v_min_u32_e32 v101, v100, v101
	v_cndmask_b32_e64 v99, v99, v100, s74
	v_add_nc_u32_e32 v101, v68, v101
	ds_read_u8 v101, v101
	s_waitcnt lgkmcnt(0)
	v_cndmask_b32_e64 v129, v101, v119, s74
	v_cndmask_b32_e64 v130, v128, v101, s74
	v_cmpx_lt_u32_e64 v96, v71
	s_cbranch_execz .LBB691_2948
; %bb.2945:
	s_mov_b32 s79, 0
	s_mov_b32 s77, exec_lo
	v_cmpx_lt_u32_e64 v99, v16
	s_cbranch_execz .LBB691_2947
; %bb.2946:
	v_and_b32_e32 v100, 0xff, v129
	v_and_b32_e32 v101, 0xff, v130
	v_mul_lo_u16 v100, 0xcd, v100
	v_mul_lo_u16 v101, 0xcd, v101
	v_lshrrev_b16 v100, 11, v100
	v_lshrrev_b16 v101, 11, v101
	v_cmp_ge_u16_e32 vcc_lo, v100, v101
	s_and_b32 s79, vcc_lo, exec_lo
.LBB691_2947:
	s_or_b32 exec_lo, exec_lo, s77
	s_orn2_b32 s77, s79, exec_lo
.LBB691_2948:
	s_or_b32 exec_lo, exec_lo, s78
	v_cndmask_b32_e64 v100, v96, v99, s77
	v_cndmask_b32_e64 v101, v71, v16, s77
	s_mov_b32 s78, exec_lo
	v_add_nc_u32_e32 v100, 1, v100
	v_add_nc_u32_e32 v101, -1, v101
	v_cndmask_b32_e64 v96, v100, v96, s77
	v_min_u32_e32 v101, v100, v101
	v_cndmask_b32_e64 v99, v99, v100, s77
	v_add_nc_u32_e32 v101, v68, v101
	ds_read_u8 v101, v101
	s_waitcnt lgkmcnt(0)
	v_cndmask_b32_e64 v131, v101, v129, s77
	v_cndmask_b32_e64 v132, v130, v101, s77
	v_cmpx_lt_u32_e64 v96, v71
	s_cbranch_execz .LBB691_2952
; %bb.2949:
	s_mov_b32 s79, 0
	s_mov_b32 s76, exec_lo
	v_cmpx_lt_u32_e64 v99, v16
	s_cbranch_execz .LBB691_2951
; %bb.2950:
	v_and_b32_e32 v100, 0xff, v131
	v_and_b32_e32 v101, 0xff, v132
	v_mul_lo_u16 v100, 0xcd, v100
	v_mul_lo_u16 v101, 0xcd, v101
	v_lshrrev_b16 v100, 11, v100
	v_lshrrev_b16 v101, 11, v101
	v_cmp_ge_u16_e32 vcc_lo, v100, v101
	s_and_b32 s79, vcc_lo, exec_lo
.LBB691_2951:
	s_or_b32 exec_lo, exec_lo, s76
	s_orn2_b32 s76, s79, exec_lo
.LBB691_2952:
	s_or_b32 exec_lo, exec_lo, s78
	v_cndmask_b32_e64 v100, v96, v99, s76
	v_cndmask_b32_e64 v101, v71, v16, s76
	s_mov_b32 s78, -1
	s_mov_b32 s79, -1
	s_mov_b32 s88, exec_lo
	v_add_nc_u32_e32 v100, 1, v100
	v_add_nc_u32_e32 v101, -1, v101
	v_cndmask_b32_e64 v96, v100, v96, s76
	v_min_u32_e32 v101, v100, v101
	v_cndmask_b32_e64 v99, v99, v100, s76
	v_add_nc_u32_e32 v101, v68, v101
	ds_read_u8 v101, v101
	s_waitcnt lgkmcnt(0)
	v_cndmask_b32_e64 v133, v101, v131, s76
	v_cndmask_b32_e64 v134, v132, v101, s76
	v_cmpx_lt_u32_e64 v96, v71
	s_cbranch_execz .LBB691_2956
; %bb.2953:
	s_mov_b32 s89, 0
	s_mov_b32 s79, exec_lo
	v_cmpx_lt_u32_e64 v99, v16
	s_cbranch_execz .LBB691_2955
; %bb.2954:
	v_and_b32_e32 v100, 0xff, v133
	v_and_b32_e32 v101, 0xff, v134
	v_mul_lo_u16 v100, 0xcd, v100
	v_mul_lo_u16 v101, 0xcd, v101
	v_lshrrev_b16 v100, 11, v100
	v_lshrrev_b16 v101, 11, v101
	v_cmp_ge_u16_e32 vcc_lo, v100, v101
	s_and_b32 s89, vcc_lo, exec_lo
.LBB691_2955:
	s_or_b32 exec_lo, exec_lo, s79
	s_orn2_b32 s79, s89, exec_lo
.LBB691_2956:
	s_or_b32 exec_lo, exec_lo, s88
	v_cndmask_b32_e64 v100, v96, v99, s79
	v_cndmask_b32_e64 v101, v71, v16, s79
	s_mov_b32 s88, exec_lo
	v_add_nc_u32_e32 v100, 1, v100
	v_add_nc_u32_e32 v101, -1, v101
	v_cndmask_b32_e64 v96, v100, v96, s79
	v_min_u32_e32 v101, v100, v101
	v_cndmask_b32_e64 v99, v99, v100, s79
	v_add_nc_u32_e32 v101, v68, v101
	ds_read_u8 v101, v101
	s_waitcnt lgkmcnt(0)
	v_cndmask_b32_e64 v135, v101, v133, s79
	v_cndmask_b32_e64 v144, v134, v101, s79
	v_cmpx_lt_u32_e64 v96, v71
	s_cbranch_execz .LBB691_2960
; %bb.2957:
	s_mov_b32 s89, 0
	s_mov_b32 s78, exec_lo
	v_cmpx_lt_u32_e64 v99, v16
	s_cbranch_execz .LBB691_2959
; %bb.2958:
	v_and_b32_e32 v100, 0xff, v135
	v_and_b32_e32 v101, 0xff, v144
	v_mul_lo_u16 v100, 0xcd, v100
	v_mul_lo_u16 v101, 0xcd, v101
	v_lshrrev_b16 v100, 11, v100
	v_lshrrev_b16 v101, 11, v101
	v_cmp_ge_u16_e32 vcc_lo, v100, v101
	s_and_b32 s89, vcc_lo, exec_lo
.LBB691_2959:
	s_or_b32 exec_lo, exec_lo, s78
	s_orn2_b32 s78, s89, exec_lo
.LBB691_2960:
	s_or_b32 exec_lo, exec_lo, s88
	v_cndmask_b32_e64 v100, v96, v99, s78
	v_cndmask_b32_e64 v101, v71, v16, s78
	s_mov_b32 s88, -1
	s_mov_b32 s89, -1
	s_mov_b32 s90, exec_lo
	v_add_nc_u32_e32 v100, 1, v100
	v_add_nc_u32_e32 v101, -1, v101
	v_cndmask_b32_e64 v96, v100, v96, s78
	v_min_u32_e32 v101, v100, v101
	v_cndmask_b32_e64 v99, v99, v100, s78
	v_add_nc_u32_e32 v101, v68, v101
	ds_read_u8 v101, v101
	s_waitcnt lgkmcnt(0)
	v_cndmask_b32_e64 v145, v101, v135, s78
	v_cndmask_b32_e64 v146, v144, v101, s78
	v_cmpx_lt_u32_e64 v96, v71
	s_cbranch_execz .LBB691_2964
; %bb.2961:
	s_mov_b32 s91, 0
	s_mov_b32 s89, exec_lo
	v_cmpx_lt_u32_e64 v99, v16
	s_cbranch_execz .LBB691_2963
; %bb.2962:
	v_and_b32_e32 v100, 0xff, v145
	v_and_b32_e32 v101, 0xff, v146
	v_mul_lo_u16 v100, 0xcd, v100
	v_mul_lo_u16 v101, 0xcd, v101
	v_lshrrev_b16 v100, 11, v100
	v_lshrrev_b16 v101, 11, v101
	v_cmp_ge_u16_e32 vcc_lo, v100, v101
	s_and_b32 s91, vcc_lo, exec_lo
.LBB691_2963:
	s_or_b32 exec_lo, exec_lo, s89
	s_orn2_b32 s89, s91, exec_lo
.LBB691_2964:
	s_or_b32 exec_lo, exec_lo, s90
	v_cndmask_b32_e64 v100, v96, v99, s89
	v_cndmask_b32_e64 v101, v71, v16, s89
	s_mov_b32 s90, exec_lo
	v_add_nc_u32_e32 v100, 1, v100
	v_add_nc_u32_e32 v101, -1, v101
	v_cndmask_b32_e64 v96, v100, v96, s89
	v_min_u32_e32 v101, v100, v101
	v_cndmask_b32_e64 v99, v99, v100, s89
	v_add_nc_u32_e32 v101, v68, v101
	ds_read_u8 v101, v101
	s_waitcnt lgkmcnt(0)
	v_cndmask_b32_e64 v147, v101, v145, s89
	v_cndmask_b32_e64 v148, v146, v101, s89
	v_cmpx_lt_u32_e64 v96, v71
	s_cbranch_execz .LBB691_2968
; %bb.2965:
	s_mov_b32 s91, 0
	s_mov_b32 s88, exec_lo
	v_cmpx_lt_u32_e64 v99, v16
	s_cbranch_execz .LBB691_2967
; %bb.2966:
	v_and_b32_e32 v100, 0xff, v147
	v_and_b32_e32 v101, 0xff, v148
	v_mul_lo_u16 v100, 0xcd, v100
	v_mul_lo_u16 v101, 0xcd, v101
	v_lshrrev_b16 v100, 11, v100
	v_lshrrev_b16 v101, 11, v101
	v_cmp_ge_u16_e32 vcc_lo, v100, v101
	s_and_b32 s91, vcc_lo, exec_lo
.LBB691_2967:
	s_or_b32 exec_lo, exec_lo, s88
	s_orn2_b32 s88, s91, exec_lo
.LBB691_2968:
	s_or_b32 exec_lo, exec_lo, s90
	v_cndmask_b32_e64 v100, v96, v99, s88
	v_cndmask_b32_e64 v101, v71, v16, s88
	s_mov_b32 s90, -1
	s_mov_b32 s91, -1
	s_mov_b32 s92, exec_lo
	v_add_nc_u32_e32 v100, 1, v100
	v_add_nc_u32_e32 v101, -1, v101
	v_cndmask_b32_e64 v96, v100, v96, s88
	v_min_u32_e32 v101, v100, v101
	v_cndmask_b32_e64 v99, v99, v100, s88
	v_add_nc_u32_e32 v101, v68, v101
	ds_read_u8 v101, v101
	s_waitcnt lgkmcnt(0)
	v_cndmask_b32_e64 v149, v101, v147, s88
	v_cndmask_b32_e64 v150, v148, v101, s88
	v_cmpx_lt_u32_e64 v96, v71
	s_cbranch_execz .LBB691_2972
; %bb.2969:
	s_mov_b32 s93, 0
	s_mov_b32 s91, exec_lo
	v_cmpx_lt_u32_e64 v99, v16
	s_cbranch_execz .LBB691_2971
; %bb.2970:
	v_and_b32_e32 v100, 0xff, v149
	v_and_b32_e32 v101, 0xff, v150
	v_mul_lo_u16 v100, 0xcd, v100
	v_mul_lo_u16 v101, 0xcd, v101
	v_lshrrev_b16 v100, 11, v100
	v_lshrrev_b16 v101, 11, v101
	v_cmp_ge_u16_e32 vcc_lo, v100, v101
	s_and_b32 s93, vcc_lo, exec_lo
.LBB691_2971:
	s_or_b32 exec_lo, exec_lo, s91
	s_orn2_b32 s91, s93, exec_lo
.LBB691_2972:
	s_or_b32 exec_lo, exec_lo, s92
	v_cndmask_b32_e64 v100, v96, v99, s91
	v_cndmask_b32_e64 v101, v71, v16, s91
	s_mov_b32 s92, exec_lo
	v_add_nc_u32_e32 v100, 1, v100
	v_add_nc_u32_e32 v101, -1, v101
	v_cndmask_b32_e64 v96, v100, v96, s91
	v_min_u32_e32 v101, v100, v101
	v_cndmask_b32_e64 v99, v99, v100, s91
	v_add_nc_u32_e32 v101, v68, v101
	ds_read_u8 v101, v101
	s_waitcnt lgkmcnt(0)
	v_cndmask_b32_e64 v151, v101, v149, s91
	v_cndmask_b32_e64 v160, v150, v101, s91
	v_cmpx_lt_u32_e64 v96, v71
	s_cbranch_execz .LBB691_2976
; %bb.2973:
	s_mov_b32 s93, 0
	s_mov_b32 s90, exec_lo
	v_cmpx_lt_u32_e64 v99, v16
	s_cbranch_execz .LBB691_2975
; %bb.2974:
	v_and_b32_e32 v100, 0xff, v151
	v_and_b32_e32 v101, 0xff, v160
	v_mul_lo_u16 v100, 0xcd, v100
	v_mul_lo_u16 v101, 0xcd, v101
	v_lshrrev_b16 v100, 11, v100
	v_lshrrev_b16 v101, 11, v101
	v_cmp_ge_u16_e32 vcc_lo, v100, v101
	s_and_b32 s93, vcc_lo, exec_lo
.LBB691_2975:
	s_or_b32 exec_lo, exec_lo, s90
	s_orn2_b32 s90, s93, exec_lo
.LBB691_2976:
	s_or_b32 exec_lo, exec_lo, s92
	v_cndmask_b32_e64 v100, v96, v99, s90
	v_cndmask_b32_e64 v101, v71, v16, s90
	s_mov_b32 s92, -1
	s_mov_b32 s93, -1
	s_mov_b32 s94, exec_lo
	v_add_nc_u32_e32 v100, 1, v100
	v_add_nc_u32_e32 v101, -1, v101
	v_cndmask_b32_e64 v96, v100, v96, s90
	v_min_u32_e32 v101, v100, v101
	v_cndmask_b32_e64 v99, v99, v100, s90
	v_add_nc_u32_e32 v101, v68, v101
	ds_read_u8 v101, v101
	s_waitcnt lgkmcnt(0)
	v_cndmask_b32_e64 v161, v101, v151, s90
	v_cndmask_b32_e64 v162, v160, v101, s90
	v_cmpx_lt_u32_e64 v96, v71
	s_cbranch_execz .LBB691_2980
; %bb.2977:
	s_mov_b32 s95, 0
	s_mov_b32 s93, exec_lo
	v_cmpx_lt_u32_e64 v99, v16
	s_cbranch_execz .LBB691_2979
; %bb.2978:
	v_and_b32_e32 v100, 0xff, v161
	v_and_b32_e32 v101, 0xff, v162
	v_mul_lo_u16 v100, 0xcd, v100
	v_mul_lo_u16 v101, 0xcd, v101
	v_lshrrev_b16 v100, 11, v100
	v_lshrrev_b16 v101, 11, v101
	v_cmp_ge_u16_e32 vcc_lo, v100, v101
	s_and_b32 s95, vcc_lo, exec_lo
.LBB691_2979:
	s_or_b32 exec_lo, exec_lo, s93
	s_orn2_b32 s93, s95, exec_lo
.LBB691_2980:
	s_or_b32 exec_lo, exec_lo, s94
	v_cndmask_b32_e64 v100, v96, v99, s93
	v_cndmask_b32_e64 v101, v71, v16, s93
	s_mov_b32 s94, exec_lo
	v_add_nc_u32_e32 v100, 1, v100
	v_add_nc_u32_e32 v101, -1, v101
	v_cndmask_b32_e64 v96, v100, v96, s93
	v_min_u32_e32 v101, v100, v101
	v_cndmask_b32_e64 v99, v99, v100, s93
	v_add_nc_u32_e32 v101, v68, v101
	ds_read_u8 v101, v101
	s_waitcnt lgkmcnt(0)
	v_cndmask_b32_e64 v163, v101, v161, s93
	v_cndmask_b32_e64 v164, v162, v101, s93
	v_cmpx_lt_u32_e64 v96, v71
	s_cbranch_execz .LBB691_2984
; %bb.2981:
	s_mov_b32 s95, 0
	s_mov_b32 s92, exec_lo
	v_cmpx_lt_u32_e64 v99, v16
	s_cbranch_execz .LBB691_2983
; %bb.2982:
	v_and_b32_e32 v100, 0xff, v163
	v_and_b32_e32 v101, 0xff, v164
	v_mul_lo_u16 v100, 0xcd, v100
	v_mul_lo_u16 v101, 0xcd, v101
	v_lshrrev_b16 v100, 11, v100
	v_lshrrev_b16 v101, 11, v101
	v_cmp_ge_u16_e32 vcc_lo, v100, v101
	s_and_b32 s95, vcc_lo, exec_lo
.LBB691_2983:
	s_or_b32 exec_lo, exec_lo, s92
	s_orn2_b32 s92, s95, exec_lo
.LBB691_2984:
	s_or_b32 exec_lo, exec_lo, s94
	v_cndmask_b32_e64 v100, v96, v99, s92
	v_cndmask_b32_e64 v101, v71, v16, s92
	s_mov_b32 s94, -1
	s_mov_b32 s95, -1
	s_mov_b32 vcc_hi, exec_lo
	v_add_nc_u32_e32 v100, 1, v100
	v_add_nc_u32_e32 v101, -1, v101
	v_cndmask_b32_e64 v96, v100, v96, s92
	v_min_u32_e32 v101, v100, v101
	v_cndmask_b32_e64 v99, v99, v100, s92
	v_add_nc_u32_e32 v101, v68, v101
	ds_read_u8 v101, v101
	s_waitcnt lgkmcnt(0)
	v_cndmask_b32_e64 v165, v101, v163, s92
	v_cndmask_b32_e64 v166, v164, v101, s92
	v_cmpx_lt_u32_e64 v96, v71
	s_cbranch_execz .LBB691_2988
; %bb.2985:
	s_mov_b32 s30, 0
	s_mov_b32 s95, exec_lo
	v_cmpx_lt_u32_e64 v99, v16
	s_cbranch_execz .LBB691_2987
; %bb.2986:
	v_and_b32_e32 v100, 0xff, v165
	v_and_b32_e32 v101, 0xff, v166
	v_mul_lo_u16 v100, 0xcd, v100
	v_mul_lo_u16 v101, 0xcd, v101
	v_lshrrev_b16 v100, 11, v100
	v_lshrrev_b16 v101, 11, v101
	v_cmp_ge_u16_e32 vcc_lo, v100, v101
	s_and_b32 s30, vcc_lo, exec_lo
.LBB691_2987:
	s_or_b32 exec_lo, exec_lo, s95
	s_orn2_b32 s95, s30, exec_lo
.LBB691_2988:
	s_or_b32 exec_lo, exec_lo, vcc_hi
	v_cndmask_b32_e64 v100, v96, v99, s95
	v_cndmask_b32_e64 v101, v71, v16, s95
	s_mov_b32 vcc_hi, exec_lo
	v_add_nc_u32_e32 v100, 1, v100
	v_add_nc_u32_e32 v101, -1, v101
	v_cndmask_b32_e64 v96, v100, v96, s95
	v_min_u32_e32 v101, v100, v101
	v_cndmask_b32_e64 v99, v99, v100, s95
	v_add_nc_u32_e32 v101, v68, v101
	ds_read_u8 v101, v101
	s_waitcnt lgkmcnt(0)
	v_cndmask_b32_e64 v167, v101, v165, s95
	v_cndmask_b32_e64 v176, v166, v101, s95
	v_cmpx_lt_u32_e64 v96, v71
	s_cbranch_execz .LBB691_2992
; %bb.2989:
	s_mov_b32 s30, 0
	s_mov_b32 s94, exec_lo
	v_cmpx_lt_u32_e64 v99, v16
	s_cbranch_execz .LBB691_2991
; %bb.2990:
	v_and_b32_e32 v100, 0xff, v167
	v_and_b32_e32 v101, 0xff, v176
	v_mul_lo_u16 v100, 0xcd, v100
	v_mul_lo_u16 v101, 0xcd, v101
	v_lshrrev_b16 v100, 11, v100
	v_lshrrev_b16 v101, 11, v101
	v_cmp_ge_u16_e32 vcc_lo, v100, v101
	s_and_b32 s30, vcc_lo, exec_lo
.LBB691_2991:
	s_or_b32 exec_lo, exec_lo, s94
	s_orn2_b32 s94, s30, exec_lo
.LBB691_2992:
	s_or_b32 exec_lo, exec_lo, vcc_hi
	v_cndmask_b32_e64 v100, v96, v99, s94
	v_cndmask_b32_e64 v101, v71, v16, s94
	s_mov_b32 vcc_hi, -1
	s_mov_b32 s30, -1
	s_mov_b32 s31, exec_lo
	v_add_nc_u32_e32 v100, 1, v100
	v_add_nc_u32_e32 v101, -1, v101
	v_cndmask_b32_e64 v96, v100, v96, s94
	v_min_u32_e32 v101, v100, v101
	v_cndmask_b32_e64 v99, v99, v100, s94
	v_add_nc_u32_e32 v101, v68, v101
	ds_read_u8 v101, v101
	s_waitcnt lgkmcnt(0)
	v_cndmask_b32_e64 v177, v101, v167, s94
	v_cndmask_b32_e64 v178, v176, v101, s94
	v_cmpx_lt_u32_e64 v96, v71
	s_cbranch_execz .LBB691_2996
; %bb.2993:
	s_mov_b32 s34, 0
	s_mov_b32 s30, exec_lo
	v_cmpx_lt_u32_e64 v99, v16
	s_cbranch_execz .LBB691_2995
; %bb.2994:
	v_and_b32_e32 v100, 0xff, v177
	v_and_b32_e32 v101, 0xff, v178
	v_mul_lo_u16 v100, 0xcd, v100
	v_mul_lo_u16 v101, 0xcd, v101
	v_lshrrev_b16 v100, 11, v100
	v_lshrrev_b16 v101, 11, v101
	v_cmp_ge_u16_e32 vcc_lo, v100, v101
	s_and_b32 s34, vcc_lo, exec_lo
.LBB691_2995:
	s_or_b32 exec_lo, exec_lo, s30
	s_orn2_b32 s30, s34, exec_lo
.LBB691_2996:
	s_or_b32 exec_lo, exec_lo, s31
	v_cndmask_b32_e64 v100, v96, v99, s30
	v_cndmask_b32_e64 v101, v71, v16, s30
	s_mov_b32 s31, exec_lo
	v_add_nc_u32_e32 v100, 1, v100
	v_add_nc_u32_e32 v101, -1, v101
	v_cndmask_b32_e64 v96, v100, v96, s30
	v_min_u32_e32 v101, v100, v101
	v_cndmask_b32_e64 v99, v99, v100, s30
	v_add_nc_u32_e32 v101, v68, v101
	ds_read_u8 v101, v101
	s_waitcnt lgkmcnt(0)
	v_cndmask_b32_e64 v179, v101, v177, s30
	v_cndmask_b32_e64 v180, v178, v101, s30
	v_cmpx_lt_u32_e64 v96, v71
	s_cbranch_execz .LBB691_3000
; %bb.2997:
	s_mov_b32 s34, 0
	s_mov_b32 vcc_hi, exec_lo
	v_cmpx_lt_u32_e64 v99, v16
	s_cbranch_execz .LBB691_2999
; %bb.2998:
	v_and_b32_e32 v100, 0xff, v179
	v_and_b32_e32 v101, 0xff, v180
	v_mul_lo_u16 v100, 0xcd, v100
	v_mul_lo_u16 v101, 0xcd, v101
	v_lshrrev_b16 v100, 11, v100
	v_lshrrev_b16 v101, 11, v101
	v_cmp_ge_u16_e32 vcc_lo, v100, v101
	s_and_b32 s34, vcc_lo, exec_lo
.LBB691_2999:
	s_or_b32 exec_lo, exec_lo, vcc_hi
	s_orn2_b32 vcc_hi, s34, exec_lo
.LBB691_3000:
	s_or_b32 exec_lo, exec_lo, s31
	v_cndmask_b32_e64 v100, v96, v99, vcc_hi
	v_cndmask_b32_e64 v101, v71, v16, vcc_hi
	s_mov_b32 s31, -1
	s_mov_b32 s34, -1
	s_mov_b32 s39, exec_lo
	v_add_nc_u32_e32 v100, 1, v100
	v_add_nc_u32_e32 v101, -1, v101
	v_cndmask_b32_e64 v96, v100, v96, vcc_hi
	v_min_u32_e32 v101, v100, v101
	v_cndmask_b32_e64 v99, v99, v100, vcc_hi
	v_add_nc_u32_e32 v101, v68, v101
	ds_read_u8 v101, v101
	s_waitcnt lgkmcnt(0)
	v_cndmask_b32_e64 v181, v101, v179, vcc_hi
	v_cndmask_b32_e64 v182, v180, v101, vcc_hi
	v_cmpx_lt_u32_e64 v96, v71
	s_cbranch_execz .LBB691_3004
; %bb.3001:
	s_mov_b32 s48, 0
	s_mov_b32 s34, exec_lo
	v_cmpx_lt_u32_e64 v99, v16
	s_cbranch_execz .LBB691_3003
; %bb.3002:
	v_and_b32_e32 v100, 0xff, v181
	v_and_b32_e32 v101, 0xff, v182
	v_mul_lo_u16 v100, 0xcd, v100
	v_mul_lo_u16 v101, 0xcd, v101
	v_lshrrev_b16 v100, 11, v100
	v_lshrrev_b16 v101, 11, v101
	v_cmp_ge_u16_e32 vcc_lo, v100, v101
	s_and_b32 s48, vcc_lo, exec_lo
.LBB691_3003:
	s_or_b32 exec_lo, exec_lo, s34
	s_orn2_b32 s34, s48, exec_lo
.LBB691_3004:
	s_or_b32 exec_lo, exec_lo, s39
	v_cndmask_b32_e64 v100, v96, v99, s34
	v_cndmask_b32_e64 v101, v71, v16, s34
	s_mov_b32 s39, exec_lo
	v_add_nc_u32_e32 v100, 1, v100
	v_add_nc_u32_e32 v101, -1, v101
	v_cndmask_b32_e64 v96, v100, v96, s34
	v_min_u32_e32 v101, v100, v101
	v_cndmask_b32_e64 v99, v99, v100, s34
	v_add_nc_u32_e32 v101, v68, v101
	ds_read_u8 v101, v101
	s_waitcnt lgkmcnt(0)
	v_cndmask_b32_e64 v183, v101, v181, s34
	v_cndmask_b32_e64 v192, v182, v101, s34
	v_cmpx_lt_u32_e64 v96, v71
	s_cbranch_execz .LBB691_3008
; %bb.3005:
	s_mov_b32 s48, 0
	s_mov_b32 s31, exec_lo
	v_cmpx_lt_u32_e64 v99, v16
	s_cbranch_execz .LBB691_3007
; %bb.3006:
	v_and_b32_e32 v100, 0xff, v183
	v_and_b32_e32 v101, 0xff, v192
	v_mul_lo_u16 v100, 0xcd, v100
	v_mul_lo_u16 v101, 0xcd, v101
	v_lshrrev_b16 v100, 11, v100
	v_lshrrev_b16 v101, 11, v101
	v_cmp_ge_u16_e32 vcc_lo, v100, v101
	s_and_b32 s48, vcc_lo, exec_lo
.LBB691_3007:
	s_or_b32 exec_lo, exec_lo, s31
	s_orn2_b32 s31, s48, exec_lo
.LBB691_3008:
	s_or_b32 exec_lo, exec_lo, s39
	v_cndmask_b32_e64 v100, v96, v99, s31
	v_cndmask_b32_e64 v101, v71, v16, s31
	s_mov_b32 s39, exec_lo
	v_add_nc_u32_e32 v100, 1, v100
	v_add_nc_u32_e32 v101, -1, v101
	v_cndmask_b32_e64 v102, v100, v96, s31
	v_min_u32_e32 v101, v100, v101
	v_add_nc_u32_e32 v101, v68, v101
	ds_read_u8 v101, v101
	s_waitcnt lgkmcnt(0)
	v_cndmask_b32_e64 v96, v192, v101, s31
	v_cmpx_lt_u32_e64 v102, v71
	s_cbranch_execz .LBB691_3012
; %bb.3009:
	v_cndmask_b32_e64 v99, v99, v100, s31
	v_cndmask_b32_e64 v71, v101, v183, s31
	s_mov_b32 s48, exec_lo
	v_cmpx_lt_u32_e64 v99, v16
	s_cbranch_execz .LBB691_3011
; %bb.3010:
	v_and_b32_e32 v16, 0xff, v71
	v_and_b32_e32 v99, 0xff, v96
	v_mul_lo_u16 v16, 0xcd, v16
	v_mul_lo_u16 v99, 0xcd, v99
	v_lshrrev_b16 v16, 11, v16
	v_lshrrev_b16 v99, 11, v99
	v_cmp_lt_u16_e32 vcc_lo, v16, v99
	v_cndmask_b32_e32 v71, v96, v71, vcc_lo
.LBB691_3011:
	s_or_b32 exec_lo, exec_lo, s48
	v_mov_b32_e32 v96, v71
.LBB691_3012:
	s_or_b32 exec_lo, exec_lo, s39
	v_cndmask_b32_e64 v99, v2, v1, s12
	v_cndmask_b32_e64 v100, v6, v7, s13
	;; [unrolled: 1-line block ×10, first 2 shown]
	v_lshlrev_b16 v6, 8, v100
	v_lshlrev_b16 v7, 8, v1
	;; [unrolled: 1-line block ×4, first 2 shown]
	v_cndmask_b32_e64 v82, v84, v85, s60
	v_cndmask_b32_e64 v85, v97, v98, s62
	;; [unrolled: 1-line block ×5, first 2 shown]
	v_or_b32_sdwa v6, v99, v6 dst_sel:DWORD dst_unused:UNUSED_PAD src0_sel:BYTE_0 src1_sel:DWORD
	v_or_b32_sdwa v7, v101, v7 dst_sel:WORD_1 dst_unused:UNUSED_PAD src0_sel:BYTE_0 src1_sel:DWORD
	v_or_b32_sdwa v8, v102, v8 dst_sel:DWORD dst_unused:UNUSED_PAD src0_sel:BYTE_0 src1_sel:DWORD
	v_or_b32_sdwa v9, v114, v9 dst_sel:WORD_1 dst_unused:UNUSED_PAD src0_sel:BYTE_0 src1_sel:DWORD
	v_lshlrev_b16 v12, 8, v83
	v_lshlrev_b16 v13, 8, v2
	v_cndmask_b32_e64 v118, v119, v128, s74
	v_cndmask_b32_e64 v128, v129, v130, s77
	;; [unrolled: 1-line block ×5, first 2 shown]
	v_or_b32_sdwa v10, v6, v7 dst_sel:DWORD dst_unused:UNUSED_PAD src0_sel:WORD_0 src1_sel:DWORD
	v_or_b32_sdwa v11, v8, v9 dst_sel:DWORD dst_unused:UNUSED_PAD src0_sel:WORD_0 src1_sel:DWORD
	v_or_b32_sdwa v6, v82, v12 dst_sel:DWORD dst_unused:UNUSED_PAD src0_sel:BYTE_0 src1_sel:DWORD
	v_or_b32_sdwa v7, v85, v13 dst_sel:WORD_1 dst_unused:UNUSED_PAD src0_sel:BYTE_0 src1_sel:DWORD
	v_lshlrev_b16 v8, 8, v116
	v_lshlrev_b16 v13, 8, v86
	v_cndmask_b32_e64 v87, v135, v144, s78
	v_cndmask_b32_e64 v98, v149, v150, s91
	;; [unrolled: 1-line block ×5, first 2 shown]
	v_cndmask_b32_e64 v130, v179, v180, vcc_hi
	v_lshlrev_b16 v9, 8, v128
	v_lshlrev_b16 v16, 8, v14
	v_or_b32_sdwa v12, v6, v7 dst_sel:DWORD dst_unused:UNUSED_PAD src0_sel:WORD_0 src1_sel:DWORD
	v_or_b32_sdwa v6, v115, v8 dst_sel:DWORD dst_unused:UNUSED_PAD src0_sel:BYTE_0 src1_sel:DWORD
	v_or_b32_sdwa v8, v84, v13 dst_sel:DWORD dst_unused:UNUSED_PAD src0_sel:BYTE_0 src1_sel:DWORD
	v_lshlrev_b16 v13, 8, v131
	v_cndmask_b32_e64 v97, v147, v148, s88
	v_cndmask_b32_e64 v103, v151, v160, s90
	;; [unrolled: 1-line block ×5, first 2 shown]
	v_or_b32_sdwa v7, v118, v9 dst_sel:WORD_1 dst_unused:UNUSED_PAD src0_sel:BYTE_0 src1_sel:DWORD
	v_or_b32_sdwa v9, v87, v16 dst_sel:WORD_1 dst_unused:UNUSED_PAD src0_sel:BYTE_0 src1_sel:DWORD
	v_lshlrev_b16 v16, 8, v98
	v_lshlrev_b16 v71, 8, v113
	;; [unrolled: 1-line block ×4, first 2 shown]
	v_or_b32_sdwa v13, v130, v13 dst_sel:DWORD dst_unused:UNUSED_PAD src0_sel:BYTE_0 src1_sel:DWORD
	v_or_b32_sdwa v16, v97, v16 dst_sel:DWORD dst_unused:UNUSED_PAD src0_sel:BYTE_0 src1_sel:DWORD
	v_or_b32_sdwa v71, v103, v71 dst_sel:WORD_1 dst_unused:UNUSED_PAD src0_sel:BYTE_0 src1_sel:DWORD
	v_or_b32_sdwa v80, v117, v80 dst_sel:DWORD dst_unused:UNUSED_PAD src0_sel:BYTE_0 src1_sel:DWORD
	v_or_b32_sdwa v133, v129, v133 dst_sel:WORD_1 dst_unused:UNUSED_PAD src0_sel:BYTE_0 src1_sel:DWORD
	v_and_b32_e32 v134, 0xffff, v13
	v_perm_b32 v135, v132, v96, 0xc0c0004
	v_or_b32_sdwa v13, v6, v7 dst_sel:DWORD dst_unused:UNUSED_PAD src0_sel:WORD_0 src1_sel:DWORD
	v_or_b32_sdwa v6, v8, v9 dst_sel:DWORD dst_unused:UNUSED_PAD src0_sel:WORD_0 src1_sel:DWORD
	;; [unrolled: 1-line block ×4, first 2 shown]
	v_lshl_or_b32 v9, v135, 16, v134
.LBB691_3013:
	s_or_b32 exec_lo, exec_lo, s9
	v_perm_b32 v16, v115, v116, 0xc0c0004
	v_perm_b32 v71, v118, v128, 0xc0c0004
	v_and_b32_e32 v80, 0x300, v70
	v_perm_b32 v135, v114, v81, 0xc0c0004
	v_perm_b32 v133, v82, v83, 0xc0c0004
	;; [unrolled: 1-line block ×3, first 2 shown]
	v_lshl_or_b32 v147, v71, 16, v16
	v_or_b32_e32 v16, 0x80, v80
	v_perm_b32 v71, v102, v112, 0xc0c0004
	v_perm_b32 v144, v99, v100, 0xc0c0004
	v_lshl_or_b32 v146, v134, 16, v133
	v_and_b32_e32 v133, 0xe0, v70
	v_min_u32_e32 v16, v69, v16
	v_lshl_or_b32 v145, v135, 16, v71
	v_perm_b32 v148, v101, v1, 0xc0c0004
	v_perm_b32 v149, v130, v131, 0xc0c0004
	v_perm_b32 v150, v132, v96, 0xc0c0004
	v_add_nc_u32_e32 v71, 0x80, v16
	v_perm_b32 v134, v117, v119, 0xc0c0004
	v_perm_b32 v135, v129, v15, 0xc0c0004
	v_min_u32_e32 v133, v69, v133
	v_sub_nc_u32_e32 v161, v16, v80
	v_min_u32_e32 v71, v69, v71
	v_lshl_or_b32 v144, v148, 16, v144
	v_lshl_or_b32 v151, v150, 16, v149
	v_perm_b32 v148, v97, v98, 0xc0c0004
	v_perm_b32 v149, v103, v113, 0xc0c0004
	v_sub_nc_u32_e32 v160, v71, v16
	v_perm_b32 v162, v84, v86, 0xc0c0004
	v_perm_b32 v163, v87, v14, 0xc0c0004
	v_lshl_or_b32 v150, v135, 16, v134
	v_min_u32_e32 v135, v133, v161
	v_sub_nc_u32_e64 v134, v133, v160 clamp
	v_lshl_or_b32 v149, v149, 16, v148
	v_lshl_or_b32 v148, v163, 16, v162
	s_mov_b32 s8, exec_lo
	; wave barrier
	ds_write_b128 v3, v[144:147]
	ds_write_b128 v3, v[148:151] offset:16
	; wave barrier
	v_cmpx_lt_u32_e64 v134, v135
	s_cbranch_execz .LBB691_3017
; %bb.3014:
	v_add_nc_u32_e32 v144, v68, v80
	v_add3_u32 v145, v68, v16, v133
	s_mov_b32 s9, 0
	.p2align	6
.LBB691_3015:                           ; =>This Inner Loop Header: Depth=1
	v_add_nc_u32_e32 v146, v135, v134
	v_lshrrev_b32_e32 v146, 1, v146
	v_xad_u32 v147, v146, -1, v145
	v_add_nc_u32_e32 v148, v144, v146
	v_add_nc_u32_e32 v149, 1, v146
	ds_read_u8 v147, v147
	ds_read_u8 v148, v148
	s_waitcnt lgkmcnt(1)
	v_mul_lo_u16 v147, 0xcd, v147
	s_waitcnt lgkmcnt(0)
	v_mul_lo_u16 v148, 0xcd, v148
	v_lshrrev_b16 v147, 11, v147
	v_lshrrev_b16 v148, 11, v148
	v_cmp_lt_u16_e32 vcc_lo, v147, v148
	v_cndmask_b32_e32 v135, v135, v146, vcc_lo
	v_cndmask_b32_e32 v134, v149, v134, vcc_lo
	v_cmp_ge_u32_e32 vcc_lo, v134, v135
	s_or_b32 s9, vcc_lo, s9
	s_andn2_b32 exec_lo, exec_lo, s9
	s_cbranch_execnz .LBB691_3015
; %bb.3016:
	s_or_b32 exec_lo, exec_lo, s9
.LBB691_3017:
	s_or_b32 exec_lo, exec_lo, s8
	v_add_nc_u32_e32 v133, v16, v133
	v_add_nc_u32_e32 v80, v134, v80
	v_sub_nc_u32_e32 v133, v133, v134
	v_cmp_le_u32_e32 vcc_lo, v80, v16
	v_cmp_le_u32_e64 s8, v133, v71
	s_or_b32 s8, vcc_lo, s8
	s_and_saveexec_b32 s9, s8
	s_cbranch_execz .LBB691_3149
; %bb.3018:
	s_mov_b32 s12, exec_lo
	v_cmp_ge_u32_e32 vcc_lo, v80, v16
                                        ; implicit-def: $vgpr1
	v_cmpx_lt_u32_e64 v80, v16
; %bb.3019:
	v_add_nc_u32_e32 v1, v68, v80
	ds_read_u8 v1, v1
; %bb.3020:
	s_or_b32 exec_lo, exec_lo, s12
	v_cmp_ge_u32_e64 s12, v133, v71
	s_mov_b32 s13, exec_lo
                                        ; implicit-def: $vgpr2
	v_cmpx_lt_u32_e64 v133, v71
; %bb.3021:
	v_add_nc_u32_e32 v2, v68, v133
	ds_read_u8 v2, v2
; %bb.3022:
	s_or_b32 exec_lo, exec_lo, s13
	s_nor_b32 s13, vcc_lo, s12
	s_and_saveexec_b32 s8, s13
	s_cbranch_execz .LBB691_3024
; %bb.3023:
	s_waitcnt lgkmcnt(0)
	v_and_b32_e32 v6, 0xff, v2
	v_and_b32_e32 v7, 0xff, v1
	s_andn2_b32 s12, s12, exec_lo
	v_mul_lo_u16 v6, 0xcd, v6
	v_mul_lo_u16 v7, 0xcd, v7
	v_lshrrev_b16 v6, 11, v6
	v_lshrrev_b16 v7, 11, v7
	v_cmp_ge_u16_e32 vcc_lo, v6, v7
	s_and_b32 s13, vcc_lo, exec_lo
	s_or_b32 s12, s12, s13
.LBB691_3024:
	s_or_b32 exec_lo, exec_lo, s8
	v_cndmask_b32_e64 v6, v133, v80, s12
	v_cndmask_b32_e64 v7, v71, v16, s12
	s_mov_b32 s8, -1
	s_mov_b32 s13, -1
	s_mov_b32 s56, exec_lo
	v_add_nc_u32_e32 v6, 1, v6
	v_add_nc_u32_e32 v7, -1, v7
	v_cndmask_b32_e64 v8, v6, v133, s12
	v_min_u32_e32 v7, v6, v7
	v_cndmask_b32_e64 v9, v80, v6, s12
	v_add_nc_u32_e32 v7, v68, v7
	ds_read_u8 v7, v7
	s_waitcnt lgkmcnt(0)
	v_cndmask_b32_e64 v6, v7, v2, s12
	v_cndmask_b32_e64 v7, v1, v7, s12
	v_cmpx_lt_u32_e64 v8, v71
	s_cbranch_execz .LBB691_3028
; %bb.3025:
	s_mov_b32 s57, 0
	s_mov_b32 s13, exec_lo
	v_cmpx_lt_u32_e64 v9, v16
	s_cbranch_execz .LBB691_3027
; %bb.3026:
	v_and_b32_e32 v10, 0xff, v6
	v_and_b32_e32 v11, 0xff, v7
	v_mul_lo_u16 v10, 0xcd, v10
	v_mul_lo_u16 v11, 0xcd, v11
	v_lshrrev_b16 v10, 11, v10
	v_lshrrev_b16 v11, 11, v11
	v_cmp_ge_u16_e32 vcc_lo, v10, v11
	s_and_b32 s57, vcc_lo, exec_lo
.LBB691_3027:
	s_or_b32 exec_lo, exec_lo, s13
	s_orn2_b32 s13, s57, exec_lo
.LBB691_3028:
	s_or_b32 exec_lo, exec_lo, s56
	v_cndmask_b32_e64 v10, v8, v9, s13
	v_cndmask_b32_e64 v11, v71, v16, s13
	s_mov_b32 s56, exec_lo
	v_add_nc_u32_e32 v12, 1, v10
	v_add_nc_u32_e32 v10, -1, v11
	v_cndmask_b32_e64 v11, v9, v12, s13
	v_min_u32_e32 v10, v12, v10
	v_add_nc_u32_e32 v10, v68, v10
	ds_read_u8 v13, v10
	v_cndmask_b32_e64 v10, v12, v8, s13
	s_waitcnt lgkmcnt(0)
	v_cndmask_b32_e64 v8, v13, v6, s13
	v_cndmask_b32_e64 v9, v7, v13, s13
	v_cmpx_lt_u32_e64 v10, v71
	s_cbranch_execz .LBB691_3032
; %bb.3029:
	s_mov_b32 s57, 0
	s_mov_b32 s8, exec_lo
	v_cmpx_lt_u32_e64 v11, v16
	s_cbranch_execz .LBB691_3031
; %bb.3030:
	v_and_b32_e32 v12, 0xff, v8
	v_and_b32_e32 v13, 0xff, v9
	v_mul_lo_u16 v12, 0xcd, v12
	v_mul_lo_u16 v13, 0xcd, v13
	v_lshrrev_b16 v12, 11, v12
	v_lshrrev_b16 v13, 11, v13
	v_cmp_ge_u16_e32 vcc_lo, v12, v13
	s_and_b32 s57, vcc_lo, exec_lo
.LBB691_3031:
	s_or_b32 exec_lo, exec_lo, s8
	s_orn2_b32 s8, s57, exec_lo
.LBB691_3032:
	s_or_b32 exec_lo, exec_lo, s56
	v_cndmask_b32_e64 v12, v10, v11, s8
	v_cndmask_b32_e64 v13, v71, v16, s8
	s_mov_b32 s56, -1
	s_mov_b32 s57, -1
	s_mov_b32 s58, exec_lo
	v_add_nc_u32_e32 v14, 1, v12
	v_add_nc_u32_e32 v12, -1, v13
	v_cndmask_b32_e64 v13, v11, v14, s8
	v_min_u32_e32 v12, v14, v12
	v_add_nc_u32_e32 v12, v68, v12
	ds_read_u8 v15, v12
	v_cndmask_b32_e64 v12, v14, v10, s8
	s_waitcnt lgkmcnt(0)
	v_cndmask_b32_e64 v10, v15, v8, s8
	v_cndmask_b32_e64 v11, v9, v15, s8
	v_cmpx_lt_u32_e64 v12, v71
	s_cbranch_execz .LBB691_3036
; %bb.3033:
	s_mov_b32 s59, 0
	s_mov_b32 s57, exec_lo
	v_cmpx_lt_u32_e64 v13, v16
	s_cbranch_execz .LBB691_3035
; %bb.3034:
	v_and_b32_e32 v14, 0xff, v10
	v_and_b32_e32 v15, 0xff, v11
	v_mul_lo_u16 v14, 0xcd, v14
	v_mul_lo_u16 v15, 0xcd, v15
	v_lshrrev_b16 v14, 11, v14
	v_lshrrev_b16 v15, 11, v15
	v_cmp_ge_u16_e32 vcc_lo, v14, v15
	s_and_b32 s59, vcc_lo, exec_lo
.LBB691_3035:
	s_or_b32 exec_lo, exec_lo, s57
	s_orn2_b32 s57, s59, exec_lo
.LBB691_3036:
	s_or_b32 exec_lo, exec_lo, s58
	v_cndmask_b32_e64 v14, v12, v13, s57
	v_cndmask_b32_e64 v15, v71, v16, s57
	s_mov_b32 s58, exec_lo
	v_add_nc_u32_e32 v80, 1, v14
	v_add_nc_u32_e32 v14, -1, v15
	v_cndmask_b32_e64 v15, v13, v80, s57
	v_min_u32_e32 v14, v80, v14
	v_add_nc_u32_e32 v14, v68, v14
	ds_read_u8 v81, v14
	v_cndmask_b32_e64 v14, v80, v12, s57
	s_waitcnt lgkmcnt(0)
	v_cndmask_b32_e64 v12, v81, v10, s57
	v_cndmask_b32_e64 v13, v11, v81, s57
	v_cmpx_lt_u32_e64 v14, v71
	s_cbranch_execz .LBB691_3040
; %bb.3037:
	s_mov_b32 s59, 0
	s_mov_b32 s56, exec_lo
	v_cmpx_lt_u32_e64 v15, v16
	s_cbranch_execz .LBB691_3039
; %bb.3038:
	v_and_b32_e32 v80, 0xff, v12
	v_and_b32_e32 v81, 0xff, v13
	v_mul_lo_u16 v80, 0xcd, v80
	v_mul_lo_u16 v81, 0xcd, v81
	v_lshrrev_b16 v80, 11, v80
	v_lshrrev_b16 v81, 11, v81
	v_cmp_ge_u16_e32 vcc_lo, v80, v81
	s_and_b32 s59, vcc_lo, exec_lo
.LBB691_3039:
	s_or_b32 exec_lo, exec_lo, s56
	s_orn2_b32 s56, s59, exec_lo
.LBB691_3040:
	s_or_b32 exec_lo, exec_lo, s58
	v_cndmask_b32_e64 v80, v14, v15, s56
	v_cndmask_b32_e64 v81, v71, v16, s56
	s_mov_b32 s58, -1
	s_mov_b32 s59, -1
	s_mov_b32 s60, exec_lo
	v_add_nc_u32_e32 v82, 1, v80
	v_add_nc_u32_e32 v80, -1, v81
	v_cndmask_b32_e64 v81, v15, v82, s56
	v_min_u32_e32 v80, v82, v80
	v_add_nc_u32_e32 v80, v68, v80
	ds_read_u8 v83, v80
	v_cndmask_b32_e64 v80, v82, v14, s56
	s_waitcnt lgkmcnt(0)
	v_cndmask_b32_e64 v14, v83, v12, s56
	v_cndmask_b32_e64 v15, v13, v83, s56
	v_cmpx_lt_u32_e64 v80, v71
	s_cbranch_execz .LBB691_3044
; %bb.3041:
	s_mov_b32 s61, 0
	s_mov_b32 s59, exec_lo
	v_cmpx_lt_u32_e64 v81, v16
	s_cbranch_execz .LBB691_3043
; %bb.3042:
	v_and_b32_e32 v82, 0xff, v14
	v_and_b32_e32 v83, 0xff, v15
	v_mul_lo_u16 v82, 0xcd, v82
	v_mul_lo_u16 v83, 0xcd, v83
	v_lshrrev_b16 v82, 11, v82
	v_lshrrev_b16 v83, 11, v83
	v_cmp_ge_u16_e32 vcc_lo, v82, v83
	s_and_b32 s61, vcc_lo, exec_lo
.LBB691_3043:
	s_or_b32 exec_lo, exec_lo, s59
	s_orn2_b32 s59, s61, exec_lo
.LBB691_3044:
	s_or_b32 exec_lo, exec_lo, s60
	v_cndmask_b32_e64 v82, v80, v81, s59
	v_cndmask_b32_e64 v83, v71, v16, s59
	s_mov_b32 s60, exec_lo
	v_add_nc_u32_e32 v84, 1, v82
	v_add_nc_u32_e32 v82, -1, v83
	v_cndmask_b32_e64 v83, v81, v84, s59
	v_min_u32_e32 v82, v84, v82
	v_add_nc_u32_e32 v82, v68, v82
	ds_read_u8 v85, v82
	v_cndmask_b32_e64 v82, v84, v80, s59
	s_waitcnt lgkmcnt(0)
	v_cndmask_b32_e64 v80, v85, v14, s59
	v_cndmask_b32_e64 v81, v15, v85, s59
	v_cmpx_lt_u32_e64 v82, v71
	s_cbranch_execz .LBB691_3048
; %bb.3045:
	s_mov_b32 s61, 0
	s_mov_b32 s58, exec_lo
	v_cmpx_lt_u32_e64 v83, v16
	s_cbranch_execz .LBB691_3047
; %bb.3046:
	v_and_b32_e32 v84, 0xff, v80
	v_and_b32_e32 v85, 0xff, v81
	v_mul_lo_u16 v84, 0xcd, v84
	v_mul_lo_u16 v85, 0xcd, v85
	v_lshrrev_b16 v84, 11, v84
	v_lshrrev_b16 v85, 11, v85
	v_cmp_ge_u16_e32 vcc_lo, v84, v85
	s_and_b32 s61, vcc_lo, exec_lo
.LBB691_3047:
	s_or_b32 exec_lo, exec_lo, s58
	s_orn2_b32 s58, s61, exec_lo
.LBB691_3048:
	s_or_b32 exec_lo, exec_lo, s60
	v_cndmask_b32_e64 v84, v82, v83, s58
	v_cndmask_b32_e64 v85, v71, v16, s58
	s_mov_b32 s60, -1
	s_mov_b32 s61, -1
	s_mov_b32 s62, exec_lo
	v_add_nc_u32_e32 v86, 1, v84
	v_add_nc_u32_e32 v84, -1, v85
	v_cndmask_b32_e64 v85, v83, v86, s58
	v_min_u32_e32 v84, v86, v84
	v_add_nc_u32_e32 v84, v68, v84
	ds_read_u8 v87, v84
	v_cndmask_b32_e64 v84, v86, v82, s58
	s_waitcnt lgkmcnt(0)
	v_cndmask_b32_e64 v82, v87, v80, s58
	v_cndmask_b32_e64 v83, v81, v87, s58
	v_cmpx_lt_u32_e64 v84, v71
	s_cbranch_execz .LBB691_3052
; %bb.3049:
	s_mov_b32 s63, 0
	s_mov_b32 s61, exec_lo
	v_cmpx_lt_u32_e64 v85, v16
	s_cbranch_execz .LBB691_3051
; %bb.3050:
	v_and_b32_e32 v86, 0xff, v82
	v_and_b32_e32 v87, 0xff, v83
	v_mul_lo_u16 v86, 0xcd, v86
	v_mul_lo_u16 v87, 0xcd, v87
	v_lshrrev_b16 v86, 11, v86
	v_lshrrev_b16 v87, 11, v87
	v_cmp_ge_u16_e32 vcc_lo, v86, v87
	s_and_b32 s63, vcc_lo, exec_lo
.LBB691_3051:
	s_or_b32 exec_lo, exec_lo, s61
	s_orn2_b32 s61, s63, exec_lo
.LBB691_3052:
	s_or_b32 exec_lo, exec_lo, s62
	v_cndmask_b32_e64 v86, v84, v85, s61
	v_cndmask_b32_e64 v87, v71, v16, s61
	s_mov_b32 s62, exec_lo
	v_add_nc_u32_e32 v96, 1, v86
	v_add_nc_u32_e32 v86, -1, v87
	v_cndmask_b32_e64 v87, v85, v96, s61
	v_min_u32_e32 v86, v96, v86
	v_add_nc_u32_e32 v86, v68, v86
	ds_read_u8 v97, v86
	v_cndmask_b32_e64 v86, v96, v84, s61
	s_waitcnt lgkmcnt(0)
	v_cndmask_b32_e64 v84, v97, v82, s61
	v_cndmask_b32_e64 v85, v83, v97, s61
	v_cmpx_lt_u32_e64 v86, v71
	s_cbranch_execz .LBB691_3056
; %bb.3053:
	s_mov_b32 s63, 0
	s_mov_b32 s60, exec_lo
	v_cmpx_lt_u32_e64 v87, v16
	s_cbranch_execz .LBB691_3055
; %bb.3054:
	v_and_b32_e32 v96, 0xff, v84
	v_and_b32_e32 v97, 0xff, v85
	v_mul_lo_u16 v96, 0xcd, v96
	v_mul_lo_u16 v97, 0xcd, v97
	v_lshrrev_b16 v96, 11, v96
	v_lshrrev_b16 v97, 11, v97
	v_cmp_ge_u16_e32 vcc_lo, v96, v97
	s_and_b32 s63, vcc_lo, exec_lo
.LBB691_3055:
	s_or_b32 exec_lo, exec_lo, s60
	s_orn2_b32 s60, s63, exec_lo
.LBB691_3056:
	s_or_b32 exec_lo, exec_lo, s62
	v_cndmask_b32_e64 v96, v86, v87, s60
	v_cndmask_b32_e64 v97, v71, v16, s60
	s_mov_b32 s62, -1
	s_mov_b32 s63, -1
	s_mov_b32 s72, exec_lo
	v_add_nc_u32_e32 v98, 1, v96
	v_add_nc_u32_e32 v96, -1, v97
	v_cndmask_b32_e64 v97, v87, v98, s60
	v_min_u32_e32 v96, v98, v96
	v_add_nc_u32_e32 v96, v68, v96
	ds_read_u8 v99, v96
	v_cndmask_b32_e64 v96, v98, v86, s60
	s_waitcnt lgkmcnt(0)
	v_cndmask_b32_e64 v86, v99, v84, s60
	v_cndmask_b32_e64 v87, v85, v99, s60
	v_cmpx_lt_u32_e64 v96, v71
	s_cbranch_execz .LBB691_3060
; %bb.3057:
	s_mov_b32 s73, 0
	s_mov_b32 s63, exec_lo
	v_cmpx_lt_u32_e64 v97, v16
	s_cbranch_execz .LBB691_3059
; %bb.3058:
	v_and_b32_e32 v98, 0xff, v86
	v_and_b32_e32 v99, 0xff, v87
	v_mul_lo_u16 v98, 0xcd, v98
	v_mul_lo_u16 v99, 0xcd, v99
	v_lshrrev_b16 v98, 11, v98
	v_lshrrev_b16 v99, 11, v99
	v_cmp_ge_u16_e32 vcc_lo, v98, v99
	s_and_b32 s73, vcc_lo, exec_lo
.LBB691_3059:
	s_or_b32 exec_lo, exec_lo, s63
	s_orn2_b32 s63, s73, exec_lo
.LBB691_3060:
	s_or_b32 exec_lo, exec_lo, s72
	v_cndmask_b32_e64 v98, v96, v97, s63
	v_cndmask_b32_e64 v99, v71, v16, s63
	s_mov_b32 s72, exec_lo
	v_add_nc_u32_e32 v98, 1, v98
	v_add_nc_u32_e32 v99, -1, v99
	v_cndmask_b32_e64 v96, v98, v96, s63
	v_min_u32_e32 v99, v98, v99
	v_add_nc_u32_e32 v99, v68, v99
	ds_read_u8 v100, v99
	v_cndmask_b32_e64 v99, v97, v98, s63
	s_waitcnt lgkmcnt(0)
	v_cndmask_b32_e64 v97, v100, v86, s63
	v_cndmask_b32_e64 v98, v87, v100, s63
	v_cmpx_lt_u32_e64 v96, v71
	s_cbranch_execz .LBB691_3064
; %bb.3061:
	s_mov_b32 s73, 0
	s_mov_b32 s62, exec_lo
	v_cmpx_lt_u32_e64 v99, v16
	s_cbranch_execz .LBB691_3063
; %bb.3062:
	v_and_b32_e32 v100, 0xff, v97
	v_and_b32_e32 v101, 0xff, v98
	v_mul_lo_u16 v100, 0xcd, v100
	v_mul_lo_u16 v101, 0xcd, v101
	v_lshrrev_b16 v100, 11, v100
	v_lshrrev_b16 v101, 11, v101
	v_cmp_ge_u16_e32 vcc_lo, v100, v101
	s_and_b32 s73, vcc_lo, exec_lo
.LBB691_3063:
	s_or_b32 exec_lo, exec_lo, s62
	s_orn2_b32 s62, s73, exec_lo
.LBB691_3064:
	s_or_b32 exec_lo, exec_lo, s72
	v_cndmask_b32_e64 v100, v96, v99, s62
	v_cndmask_b32_e64 v101, v71, v16, s62
	s_mov_b32 s72, -1
	s_mov_b32 s73, -1
	s_mov_b32 s74, exec_lo
	v_add_nc_u32_e32 v100, 1, v100
	v_add_nc_u32_e32 v101, -1, v101
	v_cndmask_b32_e64 v96, v100, v96, s62
	v_min_u32_e32 v101, v100, v101
	v_cndmask_b32_e64 v99, v99, v100, s62
	v_add_nc_u32_e32 v101, v68, v101
	ds_read_u8 v101, v101
	s_waitcnt lgkmcnt(0)
	v_cndmask_b32_e64 v103, v101, v97, s62
	v_cndmask_b32_e64 v113, v98, v101, s62
	v_cmpx_lt_u32_e64 v96, v71
	s_cbranch_execz .LBB691_3068
; %bb.3065:
	s_mov_b32 s75, 0
	s_mov_b32 s73, exec_lo
	v_cmpx_lt_u32_e64 v99, v16
	s_cbranch_execz .LBB691_3067
; %bb.3066:
	v_and_b32_e32 v100, 0xff, v103
	v_and_b32_e32 v101, 0xff, v113
	v_mul_lo_u16 v100, 0xcd, v100
	v_mul_lo_u16 v101, 0xcd, v101
	v_lshrrev_b16 v100, 11, v100
	v_lshrrev_b16 v101, 11, v101
	v_cmp_ge_u16_e32 vcc_lo, v100, v101
	s_and_b32 s75, vcc_lo, exec_lo
.LBB691_3067:
	s_or_b32 exec_lo, exec_lo, s73
	s_orn2_b32 s73, s75, exec_lo
.LBB691_3068:
	s_or_b32 exec_lo, exec_lo, s74
	v_cndmask_b32_e64 v100, v96, v99, s73
	v_cndmask_b32_e64 v101, v71, v16, s73
	s_mov_b32 s74, exec_lo
	v_add_nc_u32_e32 v100, 1, v100
	v_add_nc_u32_e32 v101, -1, v101
	v_cndmask_b32_e64 v96, v100, v96, s73
	v_min_u32_e32 v101, v100, v101
	v_cndmask_b32_e64 v99, v99, v100, s73
	v_add_nc_u32_e32 v101, v68, v101
	ds_read_u8 v101, v101
	s_waitcnt lgkmcnt(0)
	v_cndmask_b32_e64 v115, v101, v103, s73
	v_cndmask_b32_e64 v116, v113, v101, s73
	v_cmpx_lt_u32_e64 v96, v71
	s_cbranch_execz .LBB691_3072
; %bb.3069:
	s_mov_b32 s75, 0
	s_mov_b32 s72, exec_lo
	v_cmpx_lt_u32_e64 v99, v16
	s_cbranch_execz .LBB691_3071
; %bb.3070:
	v_and_b32_e32 v100, 0xff, v115
	v_and_b32_e32 v101, 0xff, v116
	v_mul_lo_u16 v100, 0xcd, v100
	v_mul_lo_u16 v101, 0xcd, v101
	v_lshrrev_b16 v100, 11, v100
	v_lshrrev_b16 v101, 11, v101
	v_cmp_ge_u16_e32 vcc_lo, v100, v101
	s_and_b32 s75, vcc_lo, exec_lo
.LBB691_3071:
	s_or_b32 exec_lo, exec_lo, s72
	s_orn2_b32 s72, s75, exec_lo
.LBB691_3072:
	s_or_b32 exec_lo, exec_lo, s74
	v_cndmask_b32_e64 v100, v96, v99, s72
	v_cndmask_b32_e64 v101, v71, v16, s72
	s_mov_b32 s74, -1
	s_mov_b32 s75, -1
	s_mov_b32 s76, exec_lo
	v_add_nc_u32_e32 v100, 1, v100
	v_add_nc_u32_e32 v101, -1, v101
	v_cndmask_b32_e64 v96, v100, v96, s72
	v_min_u32_e32 v101, v100, v101
	v_cndmask_b32_e64 v99, v99, v100, s72
	v_add_nc_u32_e32 v101, v68, v101
	ds_read_u8 v101, v101
	s_waitcnt lgkmcnt(0)
	v_cndmask_b32_e64 v117, v101, v115, s72
	v_cndmask_b32_e64 v118, v116, v101, s72
	v_cmpx_lt_u32_e64 v96, v71
	s_cbranch_execz .LBB691_3076
; %bb.3073:
	s_mov_b32 s77, 0
	s_mov_b32 s75, exec_lo
	v_cmpx_lt_u32_e64 v99, v16
	s_cbranch_execz .LBB691_3075
; %bb.3074:
	v_and_b32_e32 v100, 0xff, v117
	v_and_b32_e32 v101, 0xff, v118
	v_mul_lo_u16 v100, 0xcd, v100
	v_mul_lo_u16 v101, 0xcd, v101
	v_lshrrev_b16 v100, 11, v100
	v_lshrrev_b16 v101, 11, v101
	v_cmp_ge_u16_e32 vcc_lo, v100, v101
	s_and_b32 s77, vcc_lo, exec_lo
.LBB691_3075:
	s_or_b32 exec_lo, exec_lo, s75
	s_orn2_b32 s75, s77, exec_lo
.LBB691_3076:
	s_or_b32 exec_lo, exec_lo, s76
	v_cndmask_b32_e64 v100, v96, v99, s75
	v_cndmask_b32_e64 v101, v71, v16, s75
	s_mov_b32 s76, exec_lo
	v_add_nc_u32_e32 v100, 1, v100
	v_add_nc_u32_e32 v101, -1, v101
	v_cndmask_b32_e64 v96, v100, v96, s75
	v_min_u32_e32 v101, v100, v101
	v_cndmask_b32_e64 v99, v99, v100, s75
	v_add_nc_u32_e32 v101, v68, v101
	ds_read_u8 v101, v101
	s_waitcnt lgkmcnt(0)
	v_cndmask_b32_e64 v119, v101, v117, s75
	v_cndmask_b32_e64 v128, v118, v101, s75
	v_cmpx_lt_u32_e64 v96, v71
	s_cbranch_execz .LBB691_3080
; %bb.3077:
	s_mov_b32 s77, 0
	s_mov_b32 s74, exec_lo
	v_cmpx_lt_u32_e64 v99, v16
	s_cbranch_execz .LBB691_3079
; %bb.3078:
	v_and_b32_e32 v100, 0xff, v119
	v_and_b32_e32 v101, 0xff, v128
	v_mul_lo_u16 v100, 0xcd, v100
	v_mul_lo_u16 v101, 0xcd, v101
	v_lshrrev_b16 v100, 11, v100
	v_lshrrev_b16 v101, 11, v101
	v_cmp_ge_u16_e32 vcc_lo, v100, v101
	s_and_b32 s77, vcc_lo, exec_lo
.LBB691_3079:
	s_or_b32 exec_lo, exec_lo, s74
	s_orn2_b32 s74, s77, exec_lo
.LBB691_3080:
	s_or_b32 exec_lo, exec_lo, s76
	v_cndmask_b32_e64 v100, v96, v99, s74
	v_cndmask_b32_e64 v101, v71, v16, s74
	s_mov_b32 s76, -1
	s_mov_b32 s77, -1
	s_mov_b32 s78, exec_lo
	v_add_nc_u32_e32 v100, 1, v100
	v_add_nc_u32_e32 v101, -1, v101
	v_cndmask_b32_e64 v96, v100, v96, s74
	v_min_u32_e32 v101, v100, v101
	v_cndmask_b32_e64 v99, v99, v100, s74
	v_add_nc_u32_e32 v101, v68, v101
	ds_read_u8 v101, v101
	s_waitcnt lgkmcnt(0)
	v_cndmask_b32_e64 v129, v101, v119, s74
	v_cndmask_b32_e64 v130, v128, v101, s74
	v_cmpx_lt_u32_e64 v96, v71
	s_cbranch_execz .LBB691_3084
; %bb.3081:
	s_mov_b32 s79, 0
	s_mov_b32 s77, exec_lo
	v_cmpx_lt_u32_e64 v99, v16
	s_cbranch_execz .LBB691_3083
; %bb.3082:
	v_and_b32_e32 v100, 0xff, v129
	v_and_b32_e32 v101, 0xff, v130
	v_mul_lo_u16 v100, 0xcd, v100
	v_mul_lo_u16 v101, 0xcd, v101
	v_lshrrev_b16 v100, 11, v100
	v_lshrrev_b16 v101, 11, v101
	v_cmp_ge_u16_e32 vcc_lo, v100, v101
	s_and_b32 s79, vcc_lo, exec_lo
.LBB691_3083:
	s_or_b32 exec_lo, exec_lo, s77
	s_orn2_b32 s77, s79, exec_lo
.LBB691_3084:
	s_or_b32 exec_lo, exec_lo, s78
	v_cndmask_b32_e64 v100, v96, v99, s77
	v_cndmask_b32_e64 v101, v71, v16, s77
	s_mov_b32 s78, exec_lo
	v_add_nc_u32_e32 v100, 1, v100
	v_add_nc_u32_e32 v101, -1, v101
	v_cndmask_b32_e64 v96, v100, v96, s77
	v_min_u32_e32 v101, v100, v101
	v_cndmask_b32_e64 v99, v99, v100, s77
	v_add_nc_u32_e32 v101, v68, v101
	ds_read_u8 v101, v101
	s_waitcnt lgkmcnt(0)
	v_cndmask_b32_e64 v131, v101, v129, s77
	v_cndmask_b32_e64 v132, v130, v101, s77
	v_cmpx_lt_u32_e64 v96, v71
	s_cbranch_execz .LBB691_3088
; %bb.3085:
	s_mov_b32 s79, 0
	s_mov_b32 s76, exec_lo
	v_cmpx_lt_u32_e64 v99, v16
	s_cbranch_execz .LBB691_3087
; %bb.3086:
	v_and_b32_e32 v100, 0xff, v131
	v_and_b32_e32 v101, 0xff, v132
	v_mul_lo_u16 v100, 0xcd, v100
	v_mul_lo_u16 v101, 0xcd, v101
	v_lshrrev_b16 v100, 11, v100
	v_lshrrev_b16 v101, 11, v101
	v_cmp_ge_u16_e32 vcc_lo, v100, v101
	s_and_b32 s79, vcc_lo, exec_lo
.LBB691_3087:
	s_or_b32 exec_lo, exec_lo, s76
	s_orn2_b32 s76, s79, exec_lo
.LBB691_3088:
	s_or_b32 exec_lo, exec_lo, s78
	v_cndmask_b32_e64 v100, v96, v99, s76
	v_cndmask_b32_e64 v101, v71, v16, s76
	s_mov_b32 s78, -1
	s_mov_b32 s79, -1
	s_mov_b32 s88, exec_lo
	v_add_nc_u32_e32 v100, 1, v100
	v_add_nc_u32_e32 v101, -1, v101
	v_cndmask_b32_e64 v96, v100, v96, s76
	v_min_u32_e32 v101, v100, v101
	v_cndmask_b32_e64 v99, v99, v100, s76
	v_add_nc_u32_e32 v101, v68, v101
	ds_read_u8 v101, v101
	s_waitcnt lgkmcnt(0)
	v_cndmask_b32_e64 v133, v101, v131, s76
	v_cndmask_b32_e64 v134, v132, v101, s76
	v_cmpx_lt_u32_e64 v96, v71
	s_cbranch_execz .LBB691_3092
; %bb.3089:
	s_mov_b32 s89, 0
	s_mov_b32 s79, exec_lo
	v_cmpx_lt_u32_e64 v99, v16
	s_cbranch_execz .LBB691_3091
; %bb.3090:
	v_and_b32_e32 v100, 0xff, v133
	v_and_b32_e32 v101, 0xff, v134
	v_mul_lo_u16 v100, 0xcd, v100
	v_mul_lo_u16 v101, 0xcd, v101
	v_lshrrev_b16 v100, 11, v100
	v_lshrrev_b16 v101, 11, v101
	v_cmp_ge_u16_e32 vcc_lo, v100, v101
	s_and_b32 s89, vcc_lo, exec_lo
.LBB691_3091:
	s_or_b32 exec_lo, exec_lo, s79
	s_orn2_b32 s79, s89, exec_lo
.LBB691_3092:
	s_or_b32 exec_lo, exec_lo, s88
	v_cndmask_b32_e64 v100, v96, v99, s79
	v_cndmask_b32_e64 v101, v71, v16, s79
	s_mov_b32 s88, exec_lo
	v_add_nc_u32_e32 v100, 1, v100
	v_add_nc_u32_e32 v101, -1, v101
	v_cndmask_b32_e64 v96, v100, v96, s79
	v_min_u32_e32 v101, v100, v101
	v_cndmask_b32_e64 v99, v99, v100, s79
	v_add_nc_u32_e32 v101, v68, v101
	ds_read_u8 v101, v101
	s_waitcnt lgkmcnt(0)
	v_cndmask_b32_e64 v135, v101, v133, s79
	v_cndmask_b32_e64 v144, v134, v101, s79
	v_cmpx_lt_u32_e64 v96, v71
	s_cbranch_execz .LBB691_3096
; %bb.3093:
	s_mov_b32 s89, 0
	s_mov_b32 s78, exec_lo
	v_cmpx_lt_u32_e64 v99, v16
	s_cbranch_execz .LBB691_3095
; %bb.3094:
	v_and_b32_e32 v100, 0xff, v135
	v_and_b32_e32 v101, 0xff, v144
	v_mul_lo_u16 v100, 0xcd, v100
	v_mul_lo_u16 v101, 0xcd, v101
	v_lshrrev_b16 v100, 11, v100
	v_lshrrev_b16 v101, 11, v101
	v_cmp_ge_u16_e32 vcc_lo, v100, v101
	s_and_b32 s89, vcc_lo, exec_lo
.LBB691_3095:
	s_or_b32 exec_lo, exec_lo, s78
	s_orn2_b32 s78, s89, exec_lo
.LBB691_3096:
	s_or_b32 exec_lo, exec_lo, s88
	v_cndmask_b32_e64 v100, v96, v99, s78
	v_cndmask_b32_e64 v101, v71, v16, s78
	s_mov_b32 s88, -1
	s_mov_b32 s89, -1
	s_mov_b32 s90, exec_lo
	v_add_nc_u32_e32 v100, 1, v100
	v_add_nc_u32_e32 v101, -1, v101
	v_cndmask_b32_e64 v96, v100, v96, s78
	v_min_u32_e32 v101, v100, v101
	v_cndmask_b32_e64 v99, v99, v100, s78
	v_add_nc_u32_e32 v101, v68, v101
	ds_read_u8 v101, v101
	s_waitcnt lgkmcnt(0)
	v_cndmask_b32_e64 v145, v101, v135, s78
	v_cndmask_b32_e64 v146, v144, v101, s78
	v_cmpx_lt_u32_e64 v96, v71
	s_cbranch_execz .LBB691_3100
; %bb.3097:
	s_mov_b32 s91, 0
	s_mov_b32 s89, exec_lo
	v_cmpx_lt_u32_e64 v99, v16
	s_cbranch_execz .LBB691_3099
; %bb.3098:
	v_and_b32_e32 v100, 0xff, v145
	v_and_b32_e32 v101, 0xff, v146
	v_mul_lo_u16 v100, 0xcd, v100
	v_mul_lo_u16 v101, 0xcd, v101
	v_lshrrev_b16 v100, 11, v100
	v_lshrrev_b16 v101, 11, v101
	v_cmp_ge_u16_e32 vcc_lo, v100, v101
	s_and_b32 s91, vcc_lo, exec_lo
.LBB691_3099:
	s_or_b32 exec_lo, exec_lo, s89
	s_orn2_b32 s89, s91, exec_lo
.LBB691_3100:
	s_or_b32 exec_lo, exec_lo, s90
	v_cndmask_b32_e64 v100, v96, v99, s89
	v_cndmask_b32_e64 v101, v71, v16, s89
	s_mov_b32 s90, exec_lo
	v_add_nc_u32_e32 v100, 1, v100
	v_add_nc_u32_e32 v101, -1, v101
	v_cndmask_b32_e64 v96, v100, v96, s89
	v_min_u32_e32 v101, v100, v101
	v_cndmask_b32_e64 v99, v99, v100, s89
	v_add_nc_u32_e32 v101, v68, v101
	ds_read_u8 v101, v101
	s_waitcnt lgkmcnt(0)
	v_cndmask_b32_e64 v147, v101, v145, s89
	v_cndmask_b32_e64 v148, v146, v101, s89
	v_cmpx_lt_u32_e64 v96, v71
	s_cbranch_execz .LBB691_3104
; %bb.3101:
	s_mov_b32 s91, 0
	s_mov_b32 s88, exec_lo
	v_cmpx_lt_u32_e64 v99, v16
	s_cbranch_execz .LBB691_3103
; %bb.3102:
	v_and_b32_e32 v100, 0xff, v147
	v_and_b32_e32 v101, 0xff, v148
	v_mul_lo_u16 v100, 0xcd, v100
	v_mul_lo_u16 v101, 0xcd, v101
	v_lshrrev_b16 v100, 11, v100
	v_lshrrev_b16 v101, 11, v101
	v_cmp_ge_u16_e32 vcc_lo, v100, v101
	s_and_b32 s91, vcc_lo, exec_lo
.LBB691_3103:
	s_or_b32 exec_lo, exec_lo, s88
	s_orn2_b32 s88, s91, exec_lo
.LBB691_3104:
	s_or_b32 exec_lo, exec_lo, s90
	v_cndmask_b32_e64 v100, v96, v99, s88
	v_cndmask_b32_e64 v101, v71, v16, s88
	s_mov_b32 s90, -1
	s_mov_b32 s91, -1
	s_mov_b32 s92, exec_lo
	v_add_nc_u32_e32 v100, 1, v100
	v_add_nc_u32_e32 v101, -1, v101
	v_cndmask_b32_e64 v96, v100, v96, s88
	v_min_u32_e32 v101, v100, v101
	v_cndmask_b32_e64 v99, v99, v100, s88
	v_add_nc_u32_e32 v101, v68, v101
	ds_read_u8 v101, v101
	s_waitcnt lgkmcnt(0)
	v_cndmask_b32_e64 v149, v101, v147, s88
	v_cndmask_b32_e64 v150, v148, v101, s88
	v_cmpx_lt_u32_e64 v96, v71
	s_cbranch_execz .LBB691_3108
; %bb.3105:
	s_mov_b32 s93, 0
	s_mov_b32 s91, exec_lo
	v_cmpx_lt_u32_e64 v99, v16
	s_cbranch_execz .LBB691_3107
; %bb.3106:
	v_and_b32_e32 v100, 0xff, v149
	v_and_b32_e32 v101, 0xff, v150
	v_mul_lo_u16 v100, 0xcd, v100
	v_mul_lo_u16 v101, 0xcd, v101
	v_lshrrev_b16 v100, 11, v100
	v_lshrrev_b16 v101, 11, v101
	v_cmp_ge_u16_e32 vcc_lo, v100, v101
	s_and_b32 s93, vcc_lo, exec_lo
.LBB691_3107:
	s_or_b32 exec_lo, exec_lo, s91
	s_orn2_b32 s91, s93, exec_lo
.LBB691_3108:
	s_or_b32 exec_lo, exec_lo, s92
	v_cndmask_b32_e64 v100, v96, v99, s91
	v_cndmask_b32_e64 v101, v71, v16, s91
	s_mov_b32 s92, exec_lo
	v_add_nc_u32_e32 v100, 1, v100
	v_add_nc_u32_e32 v101, -1, v101
	v_cndmask_b32_e64 v96, v100, v96, s91
	v_min_u32_e32 v101, v100, v101
	v_cndmask_b32_e64 v99, v99, v100, s91
	v_add_nc_u32_e32 v101, v68, v101
	ds_read_u8 v101, v101
	s_waitcnt lgkmcnt(0)
	v_cndmask_b32_e64 v151, v101, v149, s91
	v_cndmask_b32_e64 v160, v150, v101, s91
	v_cmpx_lt_u32_e64 v96, v71
	s_cbranch_execz .LBB691_3112
; %bb.3109:
	s_mov_b32 s93, 0
	s_mov_b32 s90, exec_lo
	v_cmpx_lt_u32_e64 v99, v16
	s_cbranch_execz .LBB691_3111
; %bb.3110:
	v_and_b32_e32 v100, 0xff, v151
	v_and_b32_e32 v101, 0xff, v160
	v_mul_lo_u16 v100, 0xcd, v100
	v_mul_lo_u16 v101, 0xcd, v101
	v_lshrrev_b16 v100, 11, v100
	v_lshrrev_b16 v101, 11, v101
	v_cmp_ge_u16_e32 vcc_lo, v100, v101
	s_and_b32 s93, vcc_lo, exec_lo
.LBB691_3111:
	s_or_b32 exec_lo, exec_lo, s90
	s_orn2_b32 s90, s93, exec_lo
.LBB691_3112:
	s_or_b32 exec_lo, exec_lo, s92
	v_cndmask_b32_e64 v100, v96, v99, s90
	v_cndmask_b32_e64 v101, v71, v16, s90
	s_mov_b32 s92, -1
	s_mov_b32 s93, -1
	s_mov_b32 s94, exec_lo
	v_add_nc_u32_e32 v100, 1, v100
	v_add_nc_u32_e32 v101, -1, v101
	v_cndmask_b32_e64 v96, v100, v96, s90
	v_min_u32_e32 v101, v100, v101
	v_cndmask_b32_e64 v99, v99, v100, s90
	v_add_nc_u32_e32 v101, v68, v101
	ds_read_u8 v101, v101
	s_waitcnt lgkmcnt(0)
	v_cndmask_b32_e64 v161, v101, v151, s90
	v_cndmask_b32_e64 v162, v160, v101, s90
	v_cmpx_lt_u32_e64 v96, v71
	s_cbranch_execz .LBB691_3116
; %bb.3113:
	s_mov_b32 s95, 0
	s_mov_b32 s93, exec_lo
	v_cmpx_lt_u32_e64 v99, v16
	s_cbranch_execz .LBB691_3115
; %bb.3114:
	v_and_b32_e32 v100, 0xff, v161
	v_and_b32_e32 v101, 0xff, v162
	v_mul_lo_u16 v100, 0xcd, v100
	v_mul_lo_u16 v101, 0xcd, v101
	v_lshrrev_b16 v100, 11, v100
	v_lshrrev_b16 v101, 11, v101
	v_cmp_ge_u16_e32 vcc_lo, v100, v101
	s_and_b32 s95, vcc_lo, exec_lo
.LBB691_3115:
	s_or_b32 exec_lo, exec_lo, s93
	s_orn2_b32 s93, s95, exec_lo
.LBB691_3116:
	s_or_b32 exec_lo, exec_lo, s94
	v_cndmask_b32_e64 v100, v96, v99, s93
	v_cndmask_b32_e64 v101, v71, v16, s93
	s_mov_b32 s94, exec_lo
	v_add_nc_u32_e32 v100, 1, v100
	v_add_nc_u32_e32 v101, -1, v101
	v_cndmask_b32_e64 v96, v100, v96, s93
	v_min_u32_e32 v101, v100, v101
	v_cndmask_b32_e64 v99, v99, v100, s93
	v_add_nc_u32_e32 v101, v68, v101
	ds_read_u8 v101, v101
	s_waitcnt lgkmcnt(0)
	v_cndmask_b32_e64 v163, v101, v161, s93
	v_cndmask_b32_e64 v164, v162, v101, s93
	v_cmpx_lt_u32_e64 v96, v71
	s_cbranch_execz .LBB691_3120
; %bb.3117:
	s_mov_b32 s95, 0
	s_mov_b32 s92, exec_lo
	v_cmpx_lt_u32_e64 v99, v16
	s_cbranch_execz .LBB691_3119
; %bb.3118:
	v_and_b32_e32 v100, 0xff, v163
	v_and_b32_e32 v101, 0xff, v164
	v_mul_lo_u16 v100, 0xcd, v100
	v_mul_lo_u16 v101, 0xcd, v101
	v_lshrrev_b16 v100, 11, v100
	v_lshrrev_b16 v101, 11, v101
	v_cmp_ge_u16_e32 vcc_lo, v100, v101
	s_and_b32 s95, vcc_lo, exec_lo
.LBB691_3119:
	s_or_b32 exec_lo, exec_lo, s92
	s_orn2_b32 s92, s95, exec_lo
.LBB691_3120:
	s_or_b32 exec_lo, exec_lo, s94
	v_cndmask_b32_e64 v100, v96, v99, s92
	v_cndmask_b32_e64 v101, v71, v16, s92
	s_mov_b32 s94, -1
	s_mov_b32 s95, -1
	s_mov_b32 vcc_hi, exec_lo
	v_add_nc_u32_e32 v100, 1, v100
	v_add_nc_u32_e32 v101, -1, v101
	v_cndmask_b32_e64 v96, v100, v96, s92
	v_min_u32_e32 v101, v100, v101
	v_cndmask_b32_e64 v99, v99, v100, s92
	v_add_nc_u32_e32 v101, v68, v101
	ds_read_u8 v101, v101
	s_waitcnt lgkmcnt(0)
	v_cndmask_b32_e64 v165, v101, v163, s92
	v_cndmask_b32_e64 v166, v164, v101, s92
	v_cmpx_lt_u32_e64 v96, v71
	s_cbranch_execz .LBB691_3124
; %bb.3121:
	s_mov_b32 s30, 0
	s_mov_b32 s95, exec_lo
	v_cmpx_lt_u32_e64 v99, v16
	s_cbranch_execz .LBB691_3123
; %bb.3122:
	v_and_b32_e32 v100, 0xff, v165
	v_and_b32_e32 v101, 0xff, v166
	v_mul_lo_u16 v100, 0xcd, v100
	v_mul_lo_u16 v101, 0xcd, v101
	v_lshrrev_b16 v100, 11, v100
	v_lshrrev_b16 v101, 11, v101
	v_cmp_ge_u16_e32 vcc_lo, v100, v101
	s_and_b32 s30, vcc_lo, exec_lo
.LBB691_3123:
	s_or_b32 exec_lo, exec_lo, s95
	s_orn2_b32 s95, s30, exec_lo
.LBB691_3124:
	s_or_b32 exec_lo, exec_lo, vcc_hi
	v_cndmask_b32_e64 v100, v96, v99, s95
	v_cndmask_b32_e64 v101, v71, v16, s95
	s_mov_b32 vcc_hi, exec_lo
	v_add_nc_u32_e32 v100, 1, v100
	v_add_nc_u32_e32 v101, -1, v101
	v_cndmask_b32_e64 v96, v100, v96, s95
	v_min_u32_e32 v101, v100, v101
	v_cndmask_b32_e64 v99, v99, v100, s95
	v_add_nc_u32_e32 v101, v68, v101
	ds_read_u8 v101, v101
	s_waitcnt lgkmcnt(0)
	v_cndmask_b32_e64 v167, v101, v165, s95
	v_cndmask_b32_e64 v176, v166, v101, s95
	v_cmpx_lt_u32_e64 v96, v71
	s_cbranch_execz .LBB691_3128
; %bb.3125:
	s_mov_b32 s30, 0
	s_mov_b32 s94, exec_lo
	v_cmpx_lt_u32_e64 v99, v16
	s_cbranch_execz .LBB691_3127
; %bb.3126:
	v_and_b32_e32 v100, 0xff, v167
	v_and_b32_e32 v101, 0xff, v176
	v_mul_lo_u16 v100, 0xcd, v100
	v_mul_lo_u16 v101, 0xcd, v101
	v_lshrrev_b16 v100, 11, v100
	v_lshrrev_b16 v101, 11, v101
	v_cmp_ge_u16_e32 vcc_lo, v100, v101
	s_and_b32 s30, vcc_lo, exec_lo
.LBB691_3127:
	s_or_b32 exec_lo, exec_lo, s94
	s_orn2_b32 s94, s30, exec_lo
.LBB691_3128:
	s_or_b32 exec_lo, exec_lo, vcc_hi
	v_cndmask_b32_e64 v100, v96, v99, s94
	v_cndmask_b32_e64 v101, v71, v16, s94
	s_mov_b32 vcc_hi, -1
	s_mov_b32 s30, -1
	s_mov_b32 s31, exec_lo
	v_add_nc_u32_e32 v100, 1, v100
	v_add_nc_u32_e32 v101, -1, v101
	v_cndmask_b32_e64 v96, v100, v96, s94
	v_min_u32_e32 v101, v100, v101
	v_cndmask_b32_e64 v99, v99, v100, s94
	v_add_nc_u32_e32 v101, v68, v101
	ds_read_u8 v101, v101
	s_waitcnt lgkmcnt(0)
	v_cndmask_b32_e64 v177, v101, v167, s94
	v_cndmask_b32_e64 v178, v176, v101, s94
	v_cmpx_lt_u32_e64 v96, v71
	s_cbranch_execz .LBB691_3132
; %bb.3129:
	s_mov_b32 s34, 0
	s_mov_b32 s30, exec_lo
	v_cmpx_lt_u32_e64 v99, v16
	s_cbranch_execz .LBB691_3131
; %bb.3130:
	v_and_b32_e32 v100, 0xff, v177
	v_and_b32_e32 v101, 0xff, v178
	v_mul_lo_u16 v100, 0xcd, v100
	v_mul_lo_u16 v101, 0xcd, v101
	v_lshrrev_b16 v100, 11, v100
	v_lshrrev_b16 v101, 11, v101
	v_cmp_ge_u16_e32 vcc_lo, v100, v101
	s_and_b32 s34, vcc_lo, exec_lo
.LBB691_3131:
	s_or_b32 exec_lo, exec_lo, s30
	s_orn2_b32 s30, s34, exec_lo
.LBB691_3132:
	s_or_b32 exec_lo, exec_lo, s31
	v_cndmask_b32_e64 v100, v96, v99, s30
	v_cndmask_b32_e64 v101, v71, v16, s30
	s_mov_b32 s31, exec_lo
	v_add_nc_u32_e32 v100, 1, v100
	v_add_nc_u32_e32 v101, -1, v101
	v_cndmask_b32_e64 v96, v100, v96, s30
	v_min_u32_e32 v101, v100, v101
	v_cndmask_b32_e64 v99, v99, v100, s30
	v_add_nc_u32_e32 v101, v68, v101
	ds_read_u8 v101, v101
	s_waitcnt lgkmcnt(0)
	v_cndmask_b32_e64 v179, v101, v177, s30
	v_cndmask_b32_e64 v180, v178, v101, s30
	v_cmpx_lt_u32_e64 v96, v71
	s_cbranch_execz .LBB691_3136
; %bb.3133:
	s_mov_b32 s34, 0
	s_mov_b32 vcc_hi, exec_lo
	v_cmpx_lt_u32_e64 v99, v16
	s_cbranch_execz .LBB691_3135
; %bb.3134:
	v_and_b32_e32 v100, 0xff, v179
	v_and_b32_e32 v101, 0xff, v180
	v_mul_lo_u16 v100, 0xcd, v100
	v_mul_lo_u16 v101, 0xcd, v101
	v_lshrrev_b16 v100, 11, v100
	v_lshrrev_b16 v101, 11, v101
	v_cmp_ge_u16_e32 vcc_lo, v100, v101
	s_and_b32 s34, vcc_lo, exec_lo
.LBB691_3135:
	s_or_b32 exec_lo, exec_lo, vcc_hi
	s_orn2_b32 vcc_hi, s34, exec_lo
.LBB691_3136:
	s_or_b32 exec_lo, exec_lo, s31
	v_cndmask_b32_e64 v100, v96, v99, vcc_hi
	v_cndmask_b32_e64 v101, v71, v16, vcc_hi
	s_mov_b32 s31, -1
	s_mov_b32 s34, -1
	s_mov_b32 s39, exec_lo
	v_add_nc_u32_e32 v100, 1, v100
	v_add_nc_u32_e32 v101, -1, v101
	v_cndmask_b32_e64 v96, v100, v96, vcc_hi
	v_min_u32_e32 v101, v100, v101
	v_cndmask_b32_e64 v99, v99, v100, vcc_hi
	v_add_nc_u32_e32 v101, v68, v101
	ds_read_u8 v101, v101
	s_waitcnt lgkmcnt(0)
	v_cndmask_b32_e64 v181, v101, v179, vcc_hi
	v_cndmask_b32_e64 v182, v180, v101, vcc_hi
	v_cmpx_lt_u32_e64 v96, v71
	s_cbranch_execz .LBB691_3140
; %bb.3137:
	s_mov_b32 s48, 0
	s_mov_b32 s34, exec_lo
	v_cmpx_lt_u32_e64 v99, v16
	s_cbranch_execz .LBB691_3139
; %bb.3138:
	v_and_b32_e32 v100, 0xff, v181
	v_and_b32_e32 v101, 0xff, v182
	v_mul_lo_u16 v100, 0xcd, v100
	v_mul_lo_u16 v101, 0xcd, v101
	v_lshrrev_b16 v100, 11, v100
	v_lshrrev_b16 v101, 11, v101
	v_cmp_ge_u16_e32 vcc_lo, v100, v101
	s_and_b32 s48, vcc_lo, exec_lo
.LBB691_3139:
	s_or_b32 exec_lo, exec_lo, s34
	s_orn2_b32 s34, s48, exec_lo
.LBB691_3140:
	s_or_b32 exec_lo, exec_lo, s39
	v_cndmask_b32_e64 v100, v96, v99, s34
	v_cndmask_b32_e64 v101, v71, v16, s34
	s_mov_b32 s39, exec_lo
	v_add_nc_u32_e32 v100, 1, v100
	v_add_nc_u32_e32 v101, -1, v101
	v_cndmask_b32_e64 v96, v100, v96, s34
	v_min_u32_e32 v101, v100, v101
	v_cndmask_b32_e64 v99, v99, v100, s34
	v_add_nc_u32_e32 v101, v68, v101
	ds_read_u8 v101, v101
	s_waitcnt lgkmcnt(0)
	v_cndmask_b32_e64 v183, v101, v181, s34
	v_cndmask_b32_e64 v192, v182, v101, s34
	v_cmpx_lt_u32_e64 v96, v71
	s_cbranch_execz .LBB691_3144
; %bb.3141:
	s_mov_b32 s48, 0
	s_mov_b32 s31, exec_lo
	v_cmpx_lt_u32_e64 v99, v16
	s_cbranch_execz .LBB691_3143
; %bb.3142:
	v_and_b32_e32 v100, 0xff, v183
	v_and_b32_e32 v101, 0xff, v192
	v_mul_lo_u16 v100, 0xcd, v100
	v_mul_lo_u16 v101, 0xcd, v101
	v_lshrrev_b16 v100, 11, v100
	v_lshrrev_b16 v101, 11, v101
	v_cmp_ge_u16_e32 vcc_lo, v100, v101
	s_and_b32 s48, vcc_lo, exec_lo
.LBB691_3143:
	s_or_b32 exec_lo, exec_lo, s31
	s_orn2_b32 s31, s48, exec_lo
.LBB691_3144:
	s_or_b32 exec_lo, exec_lo, s39
	v_cndmask_b32_e64 v100, v96, v99, s31
	v_cndmask_b32_e64 v101, v71, v16, s31
	s_mov_b32 s39, exec_lo
	v_add_nc_u32_e32 v100, 1, v100
	v_add_nc_u32_e32 v101, -1, v101
	v_cndmask_b32_e64 v102, v100, v96, s31
	v_min_u32_e32 v101, v100, v101
	v_add_nc_u32_e32 v101, v68, v101
	ds_read_u8 v101, v101
	s_waitcnt lgkmcnt(0)
	v_cndmask_b32_e64 v96, v192, v101, s31
	v_cmpx_lt_u32_e64 v102, v71
	s_cbranch_execz .LBB691_3148
; %bb.3145:
	v_cndmask_b32_e64 v99, v99, v100, s31
	v_cndmask_b32_e64 v71, v101, v183, s31
	s_mov_b32 s48, exec_lo
	v_cmpx_lt_u32_e64 v99, v16
	s_cbranch_execz .LBB691_3147
; %bb.3146:
	v_and_b32_e32 v16, 0xff, v71
	v_and_b32_e32 v99, 0xff, v96
	v_mul_lo_u16 v16, 0xcd, v16
	v_mul_lo_u16 v99, 0xcd, v99
	v_lshrrev_b16 v16, 11, v16
	v_lshrrev_b16 v99, 11, v99
	v_cmp_lt_u16_e32 vcc_lo, v16, v99
	v_cndmask_b32_e32 v71, v96, v71, vcc_lo
.LBB691_3147:
	s_or_b32 exec_lo, exec_lo, s48
	v_mov_b32_e32 v96, v71
.LBB691_3148:
	s_or_b32 exec_lo, exec_lo, s39
	v_cndmask_b32_e64 v99, v2, v1, s12
	v_cndmask_b32_e64 v100, v6, v7, s13
	v_cndmask_b32_e64 v1, v10, v11, s57
	v_cndmask_b32_e64 v112, v14, v15, s59
	v_cndmask_b32_e64 v114, v80, v81, s58
	v_cndmask_b32_e64 v81, v82, v83, s61
	v_cndmask_b32_e64 v101, v8, v9, s8
	v_cndmask_b32_e64 v102, v12, v13, s56
	v_cndmask_b32_e64 v83, v86, v87, s63
	v_cndmask_b32_e64 v2, v103, v113, s73
	v_lshlrev_b16 v6, 8, v100
	v_lshlrev_b16 v7, 8, v1
	;; [unrolled: 1-line block ×4, first 2 shown]
	v_cndmask_b32_e64 v82, v84, v85, s60
	v_cndmask_b32_e64 v85, v97, v98, s62
	;; [unrolled: 1-line block ×5, first 2 shown]
	v_or_b32_sdwa v6, v99, v6 dst_sel:DWORD dst_unused:UNUSED_PAD src0_sel:BYTE_0 src1_sel:DWORD
	v_or_b32_sdwa v7, v101, v7 dst_sel:WORD_1 dst_unused:UNUSED_PAD src0_sel:BYTE_0 src1_sel:DWORD
	v_or_b32_sdwa v8, v102, v8 dst_sel:DWORD dst_unused:UNUSED_PAD src0_sel:BYTE_0 src1_sel:DWORD
	v_or_b32_sdwa v9, v114, v9 dst_sel:WORD_1 dst_unused:UNUSED_PAD src0_sel:BYTE_0 src1_sel:DWORD
	v_lshlrev_b16 v12, 8, v83
	v_lshlrev_b16 v13, 8, v2
	v_cndmask_b32_e64 v118, v119, v128, s74
	v_cndmask_b32_e64 v128, v129, v130, s77
	;; [unrolled: 1-line block ×5, first 2 shown]
	v_or_b32_sdwa v10, v6, v7 dst_sel:DWORD dst_unused:UNUSED_PAD src0_sel:WORD_0 src1_sel:DWORD
	v_or_b32_sdwa v11, v8, v9 dst_sel:DWORD dst_unused:UNUSED_PAD src0_sel:WORD_0 src1_sel:DWORD
	v_or_b32_sdwa v6, v82, v12 dst_sel:DWORD dst_unused:UNUSED_PAD src0_sel:BYTE_0 src1_sel:DWORD
	v_or_b32_sdwa v7, v85, v13 dst_sel:WORD_1 dst_unused:UNUSED_PAD src0_sel:BYTE_0 src1_sel:DWORD
	v_lshlrev_b16 v8, 8, v116
	v_lshlrev_b16 v13, 8, v86
	v_cndmask_b32_e64 v87, v135, v144, s78
	v_cndmask_b32_e64 v98, v149, v150, s91
	;; [unrolled: 1-line block ×5, first 2 shown]
	v_cndmask_b32_e64 v130, v179, v180, vcc_hi
	v_lshlrev_b16 v9, 8, v128
	v_lshlrev_b16 v16, 8, v14
	v_or_b32_sdwa v12, v6, v7 dst_sel:DWORD dst_unused:UNUSED_PAD src0_sel:WORD_0 src1_sel:DWORD
	v_or_b32_sdwa v6, v115, v8 dst_sel:DWORD dst_unused:UNUSED_PAD src0_sel:BYTE_0 src1_sel:DWORD
	v_or_b32_sdwa v8, v84, v13 dst_sel:DWORD dst_unused:UNUSED_PAD src0_sel:BYTE_0 src1_sel:DWORD
	v_lshlrev_b16 v13, 8, v131
	v_cndmask_b32_e64 v97, v147, v148, s88
	v_cndmask_b32_e64 v103, v151, v160, s90
	;; [unrolled: 1-line block ×5, first 2 shown]
	v_or_b32_sdwa v7, v118, v9 dst_sel:WORD_1 dst_unused:UNUSED_PAD src0_sel:BYTE_0 src1_sel:DWORD
	v_or_b32_sdwa v9, v87, v16 dst_sel:WORD_1 dst_unused:UNUSED_PAD src0_sel:BYTE_0 src1_sel:DWORD
	v_lshlrev_b16 v16, 8, v98
	v_lshlrev_b16 v71, 8, v113
	;; [unrolled: 1-line block ×4, first 2 shown]
	v_or_b32_sdwa v13, v130, v13 dst_sel:DWORD dst_unused:UNUSED_PAD src0_sel:BYTE_0 src1_sel:DWORD
	v_or_b32_sdwa v16, v97, v16 dst_sel:DWORD dst_unused:UNUSED_PAD src0_sel:BYTE_0 src1_sel:DWORD
	v_or_b32_sdwa v71, v103, v71 dst_sel:WORD_1 dst_unused:UNUSED_PAD src0_sel:BYTE_0 src1_sel:DWORD
	v_or_b32_sdwa v80, v117, v80 dst_sel:DWORD dst_unused:UNUSED_PAD src0_sel:BYTE_0 src1_sel:DWORD
	v_or_b32_sdwa v133, v129, v133 dst_sel:WORD_1 dst_unused:UNUSED_PAD src0_sel:BYTE_0 src1_sel:DWORD
	v_and_b32_e32 v134, 0xffff, v13
	v_perm_b32 v135, v132, v96, 0xc0c0004
	v_or_b32_sdwa v13, v6, v7 dst_sel:DWORD dst_unused:UNUSED_PAD src0_sel:WORD_0 src1_sel:DWORD
	v_or_b32_sdwa v6, v8, v9 dst_sel:DWORD dst_unused:UNUSED_PAD src0_sel:WORD_0 src1_sel:DWORD
	v_or_b32_sdwa v7, v16, v71 dst_sel:DWORD dst_unused:UNUSED_PAD src0_sel:WORD_0 src1_sel:DWORD
	v_or_b32_sdwa v8, v80, v133 dst_sel:DWORD dst_unused:UNUSED_PAD src0_sel:WORD_0 src1_sel:DWORD
	v_lshl_or_b32 v9, v135, 16, v134
.LBB691_3149:
	s_or_b32 exec_lo, exec_lo, s9
	v_perm_b32 v71, v115, v116, 0xc0c0004
	v_perm_b32 v80, v118, v128, 0xc0c0004
	v_and_b32_e32 v16, 0x200, v70
	v_perm_b32 v82, v82, v83, 0xc0c0004
	v_perm_b32 v2, v85, v2, 0xc0c0004
	;; [unrolled: 1-line block ×3, first 2 shown]
	v_lshl_or_b32 v83, v80, 16, v71
	v_or_b32_e32 v71, 0x100, v16
	v_perm_b32 v99, v101, v1, 0xc0c0004
	v_lshl_or_b32 v82, v2, 16, v82
	v_perm_b32 v80, v102, v112, 0xc0c0004
	v_perm_b32 v81, v114, v81, 0xc0c0004
	v_min_u32_e32 v1, v69, v71
	v_and_b32_e32 v70, 0x1e0, v70
	v_perm_b32 v71, v130, v131, 0xc0c0004
	v_perm_b32 v96, v132, v96, 0xc0c0004
	v_lshl_or_b32 v81, v81, 16, v80
	v_add_nc_u32_e32 v2, 0x100, v1
	v_lshl_or_b32 v80, v99, 16, v85
	v_perm_b32 v85, v129, v15, 0xc0c0004
	v_min_u32_e32 v15, v69, v70
	v_sub_nc_u32_e32 v70, v1, v16
	v_min_u32_e32 v2, v69, v2
	v_lshl_or_b32 v99, v96, 16, v71
	v_perm_b32 v71, v117, v119, 0xc0c0004
	v_perm_b32 v96, v97, v98, 0xc0c0004
	;; [unrolled: 1-line block ×3, first 2 shown]
	v_sub_nc_u32_e32 v69, v2, v1
	v_perm_b32 v84, v84, v86, 0xc0c0004
	v_perm_b32 v86, v87, v14, 0xc0c0004
	v_min_u32_e32 v14, v15, v70
	v_lshl_or_b32 v98, v85, 16, v71
	v_sub_nc_u32_e64 v69, v15, v69 clamp
	v_lshl_or_b32 v97, v97, 16, v96
	v_lshl_or_b32 v96, v86, 16, v84
	s_mov_b32 s8, exec_lo
	; wave barrier
	ds_write_b128 v3, v[80:83]
	ds_write_b128 v3, v[96:99] offset:16
	; wave barrier
	v_cmpx_lt_u32_e64 v69, v14
	s_cbranch_execz .LBB691_3153
; %bb.3150:
	v_add_nc_u32_e32 v3, v68, v16
	v_add3_u32 v70, v68, v1, v15
	s_mov_b32 s9, 0
	.p2align	6
.LBB691_3151:                           ; =>This Inner Loop Header: Depth=1
	v_add_nc_u32_e32 v71, v14, v69
	v_lshrrev_b32_e32 v71, 1, v71
	v_xad_u32 v80, v71, -1, v70
	v_add_nc_u32_e32 v81, v3, v71
	v_add_nc_u32_e32 v82, 1, v71
	ds_read_u8 v80, v80
	ds_read_u8 v81, v81
	s_waitcnt lgkmcnt(1)
	v_mul_lo_u16 v80, 0xcd, v80
	s_waitcnt lgkmcnt(0)
	v_mul_lo_u16 v81, 0xcd, v81
	v_lshrrev_b16 v80, 11, v80
	v_lshrrev_b16 v81, 11, v81
	v_cmp_lt_u16_e32 vcc_lo, v80, v81
	v_cndmask_b32_e32 v14, v14, v71, vcc_lo
	v_cndmask_b32_e32 v69, v82, v69, vcc_lo
	v_cmp_ge_u32_e32 vcc_lo, v69, v14
	s_or_b32 s9, vcc_lo, s9
	s_andn2_b32 exec_lo, exec_lo, s9
	s_cbranch_execnz .LBB691_3151
; %bb.3152:
	s_or_b32 exec_lo, exec_lo, s9
.LBB691_3153:
	s_or_b32 exec_lo, exec_lo, s8
	v_add_nc_u32_e32 v3, v1, v15
	v_add_nc_u32_e32 v14, v69, v16
	v_sub_nc_u32_e32 v15, v3, v69
	v_cmp_le_u32_e32 vcc_lo, v14, v1
	v_cmp_le_u32_e64 s8, v15, v2
	s_or_b32 s8, vcc_lo, s8
	s_and_saveexec_b32 s9, s8
	s_cbranch_execz .LBB691_3285
; %bb.3154:
	s_mov_b32 s12, exec_lo
	v_cmp_ge_u32_e32 vcc_lo, v14, v1
                                        ; implicit-def: $vgpr3
	v_cmpx_lt_u32_e64 v14, v1
; %bb.3155:
	v_add_nc_u32_e32 v3, v68, v14
	ds_read_u8 v3, v3
; %bb.3156:
	s_or_b32 exec_lo, exec_lo, s12
	v_cmp_ge_u32_e64 s12, v15, v2
	s_mov_b32 s13, exec_lo
                                        ; implicit-def: $vgpr6
	v_cmpx_lt_u32_e64 v15, v2
; %bb.3157:
	v_add_nc_u32_e32 v6, v68, v15
	ds_read_u8 v6, v6
; %bb.3158:
	s_or_b32 exec_lo, exec_lo, s13
	s_nor_b32 s13, vcc_lo, s12
	s_and_saveexec_b32 s8, s13
	s_cbranch_execz .LBB691_3160
; %bb.3159:
	s_waitcnt lgkmcnt(0)
	v_and_b32_e32 v7, 0xff, v6
	v_and_b32_e32 v8, 0xff, v3
	s_andn2_b32 s12, s12, exec_lo
	v_mul_lo_u16 v7, 0xcd, v7
	v_mul_lo_u16 v8, 0xcd, v8
	v_lshrrev_b16 v7, 11, v7
	v_lshrrev_b16 v8, 11, v8
	v_cmp_ge_u16_e32 vcc_lo, v7, v8
	s_and_b32 s13, vcc_lo, exec_lo
	s_or_b32 s12, s12, s13
.LBB691_3160:
	s_or_b32 exec_lo, exec_lo, s8
	v_cndmask_b32_e64 v7, v15, v14, s12
	v_cndmask_b32_e64 v8, v2, v1, s12
	s_mov_b32 s13, -1
	s_mov_b32 vcc_lo, -1
	s_mov_b32 s56, exec_lo
	v_add_nc_u32_e32 v7, 1, v7
	v_add_nc_u32_e32 v8, -1, v8
	v_cndmask_b32_e64 v9, v7, v15, s12
	v_min_u32_e32 v8, v7, v8
	v_cndmask_b32_e64 v10, v14, v7, s12
	v_add_nc_u32_e32 v8, v68, v8
	ds_read_u8 v8, v8
	s_waitcnt lgkmcnt(0)
	v_cndmask_b32_e64 v7, v8, v6, s12
	v_cndmask_b32_e64 v8, v3, v8, s12
	v_cmpx_lt_u32_e64 v9, v2
	s_cbranch_execz .LBB691_3164
; %bb.3161:
	s_mov_b32 s57, 0
	s_mov_b32 s8, exec_lo
	v_cmpx_lt_u32_e64 v10, v1
	s_cbranch_execz .LBB691_3163
; %bb.3162:
	v_and_b32_e32 v11, 0xff, v7
	v_and_b32_e32 v12, 0xff, v8
	v_mul_lo_u16 v11, 0xcd, v11
	v_mul_lo_u16 v12, 0xcd, v12
	v_lshrrev_b16 v11, 11, v11
	v_lshrrev_b16 v12, 11, v12
	v_cmp_ge_u16_e32 vcc_lo, v11, v12
	s_and_b32 s57, vcc_lo, exec_lo
.LBB691_3163:
	s_or_b32 exec_lo, exec_lo, s8
	s_orn2_b32 vcc_lo, s57, exec_lo
.LBB691_3164:
	s_or_b32 exec_lo, exec_lo, s56
	v_cndmask_b32_e32 v11, v9, v10, vcc_lo
	v_cndmask_b32_e32 v12, v2, v1, vcc_lo
	s_mov_b32 s56, exec_lo
	v_add_nc_u32_e32 v13, 1, v11
	v_add_nc_u32_e32 v11, -1, v12
	v_cndmask_b32_e32 v12, v10, v13, vcc_lo
	v_min_u32_e32 v11, v13, v11
	v_add_nc_u32_e32 v11, v68, v11
	ds_read_u8 v14, v11
	v_cndmask_b32_e32 v11, v13, v9, vcc_lo
	s_waitcnt lgkmcnt(0)
	v_cndmask_b32_e32 v9, v14, v7, vcc_lo
	v_cndmask_b32_e32 v10, v8, v14, vcc_lo
	v_cmpx_lt_u32_e64 v11, v2
	s_cbranch_execz .LBB691_3168
; %bb.3165:
	s_mov_b32 s57, 0
	s_mov_b32 s13, exec_lo
	v_cmpx_lt_u32_e64 v12, v1
	s_cbranch_execz .LBB691_3167
; %bb.3166:
	v_and_b32_e32 v13, 0xff, v9
	v_and_b32_e32 v14, 0xff, v10
	v_mul_lo_u16 v13, 0xcd, v13
	v_mul_lo_u16 v14, 0xcd, v14
	v_lshrrev_b16 v13, 11, v13
	v_lshrrev_b16 v14, 11, v14
	v_cmp_ge_u16_e64 s8, v13, v14
	s_and_b32 s57, s8, exec_lo
.LBB691_3167:
	s_or_b32 exec_lo, exec_lo, s13
	s_orn2_b32 s13, s57, exec_lo
.LBB691_3168:
	s_or_b32 exec_lo, exec_lo, s56
	v_cndmask_b32_e64 v13, v11, v12, s13
	v_cndmask_b32_e64 v14, v2, v1, s13
	s_mov_b32 s56, -1
	s_mov_b32 s57, -1
	s_mov_b32 s58, exec_lo
	v_add_nc_u32_e32 v15, 1, v13
	v_add_nc_u32_e32 v13, -1, v14
	v_cndmask_b32_e64 v14, v12, v15, s13
	v_min_u32_e32 v13, v15, v13
	v_add_nc_u32_e32 v13, v68, v13
	ds_read_u8 v16, v13
	v_cndmask_b32_e64 v13, v15, v11, s13
	s_waitcnt lgkmcnt(0)
	v_cndmask_b32_e64 v11, v16, v9, s13
	v_cndmask_b32_e64 v12, v10, v16, s13
	v_cmpx_lt_u32_e64 v13, v2
	s_cbranch_execz .LBB691_3172
; %bb.3169:
	s_mov_b32 s59, 0
	s_mov_b32 s57, exec_lo
	v_cmpx_lt_u32_e64 v14, v1
	s_cbranch_execz .LBB691_3171
; %bb.3170:
	v_and_b32_e32 v15, 0xff, v11
	v_and_b32_e32 v16, 0xff, v12
	v_mul_lo_u16 v15, 0xcd, v15
	v_mul_lo_u16 v16, 0xcd, v16
	v_lshrrev_b16 v15, 11, v15
	v_lshrrev_b16 v16, 11, v16
	v_cmp_ge_u16_e64 s8, v15, v16
	s_and_b32 s59, s8, exec_lo
.LBB691_3171:
	s_or_b32 exec_lo, exec_lo, s57
	s_orn2_b32 s57, s59, exec_lo
.LBB691_3172:
	s_or_b32 exec_lo, exec_lo, s58
	v_cndmask_b32_e64 v15, v13, v14, s57
	v_cndmask_b32_e64 v16, v2, v1, s57
	s_mov_b32 s58, exec_lo
	v_add_nc_u32_e32 v69, 1, v15
	v_add_nc_u32_e32 v15, -1, v16
	v_cndmask_b32_e64 v16, v14, v69, s57
	v_min_u32_e32 v15, v69, v15
	v_add_nc_u32_e32 v15, v68, v15
	ds_read_u8 v70, v15
	v_cndmask_b32_e64 v15, v69, v13, s57
	s_waitcnt lgkmcnt(0)
	v_cndmask_b32_e64 v13, v70, v11, s57
	v_cndmask_b32_e64 v14, v12, v70, s57
	v_cmpx_lt_u32_e64 v15, v2
	s_cbranch_execz .LBB691_3176
; %bb.3173:
	s_mov_b32 s59, 0
	s_mov_b32 s56, exec_lo
	v_cmpx_lt_u32_e64 v16, v1
	s_cbranch_execz .LBB691_3175
; %bb.3174:
	v_and_b32_e32 v69, 0xff, v13
	v_and_b32_e32 v70, 0xff, v14
	v_mul_lo_u16 v69, 0xcd, v69
	v_mul_lo_u16 v70, 0xcd, v70
	v_lshrrev_b16 v69, 11, v69
	v_lshrrev_b16 v70, 11, v70
	v_cmp_ge_u16_e64 s8, v69, v70
	s_and_b32 s59, s8, exec_lo
.LBB691_3175:
	s_or_b32 exec_lo, exec_lo, s56
	s_orn2_b32 s56, s59, exec_lo
.LBB691_3176:
	s_or_b32 exec_lo, exec_lo, s58
	v_cndmask_b32_e64 v69, v15, v16, s56
	v_cndmask_b32_e64 v70, v2, v1, s56
	s_mov_b32 s58, -1
	s_mov_b32 s59, -1
	s_mov_b32 s60, exec_lo
	v_add_nc_u32_e32 v71, 1, v69
	v_add_nc_u32_e32 v69, -1, v70
	v_cndmask_b32_e64 v70, v16, v71, s56
	v_min_u32_e32 v69, v71, v69
	v_add_nc_u32_e32 v69, v68, v69
	ds_read_u8 v80, v69
	v_cndmask_b32_e64 v69, v71, v15, s56
	s_waitcnt lgkmcnt(0)
	v_cndmask_b32_e64 v15, v80, v13, s56
	v_cndmask_b32_e64 v16, v14, v80, s56
	v_cmpx_lt_u32_e64 v69, v2
	s_cbranch_execz .LBB691_3180
; %bb.3177:
	s_mov_b32 s61, 0
	s_mov_b32 s59, exec_lo
	v_cmpx_lt_u32_e64 v70, v1
	s_cbranch_execz .LBB691_3179
; %bb.3178:
	v_and_b32_e32 v71, 0xff, v15
	v_and_b32_e32 v80, 0xff, v16
	v_mul_lo_u16 v71, 0xcd, v71
	v_mul_lo_u16 v80, 0xcd, v80
	v_lshrrev_b16 v71, 11, v71
	v_lshrrev_b16 v80, 11, v80
	v_cmp_ge_u16_e64 s8, v71, v80
	s_and_b32 s61, s8, exec_lo
.LBB691_3179:
	s_or_b32 exec_lo, exec_lo, s59
	s_orn2_b32 s59, s61, exec_lo
.LBB691_3180:
	s_or_b32 exec_lo, exec_lo, s60
	v_cndmask_b32_e64 v71, v69, v70, s59
	v_cndmask_b32_e64 v80, v2, v1, s59
	s_mov_b32 s60, exec_lo
	v_add_nc_u32_e32 v81, 1, v71
	v_add_nc_u32_e32 v71, -1, v80
	v_cndmask_b32_e64 v80, v70, v81, s59
	v_min_u32_e32 v71, v81, v71
	v_add_nc_u32_e32 v71, v68, v71
	ds_read_u8 v82, v71
	v_cndmask_b32_e64 v71, v81, v69, s59
	s_waitcnt lgkmcnt(0)
	v_cndmask_b32_e64 v69, v82, v15, s59
	v_cndmask_b32_e64 v70, v16, v82, s59
	v_cmpx_lt_u32_e64 v71, v2
	s_cbranch_execz .LBB691_3184
; %bb.3181:
	s_mov_b32 s61, 0
	s_mov_b32 s58, exec_lo
	v_cmpx_lt_u32_e64 v80, v1
	s_cbranch_execz .LBB691_3183
; %bb.3182:
	v_and_b32_e32 v81, 0xff, v69
	v_and_b32_e32 v82, 0xff, v70
	v_mul_lo_u16 v81, 0xcd, v81
	v_mul_lo_u16 v82, 0xcd, v82
	v_lshrrev_b16 v81, 11, v81
	v_lshrrev_b16 v82, 11, v82
	v_cmp_ge_u16_e64 s8, v81, v82
	s_and_b32 s61, s8, exec_lo
.LBB691_3183:
	s_or_b32 exec_lo, exec_lo, s58
	s_orn2_b32 s58, s61, exec_lo
.LBB691_3184:
	s_or_b32 exec_lo, exec_lo, s60
	v_cndmask_b32_e64 v81, v71, v80, s58
	v_cndmask_b32_e64 v82, v2, v1, s58
	s_mov_b32 s60, -1
	s_mov_b32 s61, -1
	s_mov_b32 s62, exec_lo
	v_add_nc_u32_e32 v83, 1, v81
	v_add_nc_u32_e32 v81, -1, v82
	v_cndmask_b32_e64 v82, v80, v83, s58
	v_min_u32_e32 v81, v83, v81
	v_add_nc_u32_e32 v81, v68, v81
	ds_read_u8 v84, v81
	v_cndmask_b32_e64 v81, v83, v71, s58
	s_waitcnt lgkmcnt(0)
	v_cndmask_b32_e64 v71, v84, v69, s58
	v_cndmask_b32_e64 v80, v70, v84, s58
	v_cmpx_lt_u32_e64 v81, v2
	s_cbranch_execz .LBB691_3188
; %bb.3185:
	s_mov_b32 s63, 0
	s_mov_b32 s61, exec_lo
	v_cmpx_lt_u32_e64 v82, v1
	s_cbranch_execz .LBB691_3187
; %bb.3186:
	v_and_b32_e32 v83, 0xff, v71
	v_and_b32_e32 v84, 0xff, v80
	v_mul_lo_u16 v83, 0xcd, v83
	v_mul_lo_u16 v84, 0xcd, v84
	v_lshrrev_b16 v83, 11, v83
	v_lshrrev_b16 v84, 11, v84
	v_cmp_ge_u16_e64 s8, v83, v84
	s_and_b32 s63, s8, exec_lo
.LBB691_3187:
	s_or_b32 exec_lo, exec_lo, s61
	s_orn2_b32 s61, s63, exec_lo
.LBB691_3188:
	s_or_b32 exec_lo, exec_lo, s62
	v_cndmask_b32_e64 v83, v81, v82, s61
	v_cndmask_b32_e64 v84, v2, v1, s61
	s_mov_b32 s62, exec_lo
	v_add_nc_u32_e32 v85, 1, v83
	v_add_nc_u32_e32 v83, -1, v84
	v_cndmask_b32_e64 v84, v82, v85, s61
	v_min_u32_e32 v83, v85, v83
	v_add_nc_u32_e32 v83, v68, v83
	ds_read_u8 v86, v83
	v_cndmask_b32_e64 v83, v85, v81, s61
	s_waitcnt lgkmcnt(0)
	v_cndmask_b32_e64 v81, v86, v71, s61
	v_cndmask_b32_e64 v82, v80, v86, s61
	v_cmpx_lt_u32_e64 v83, v2
	s_cbranch_execz .LBB691_3192
; %bb.3189:
	s_mov_b32 s63, 0
	s_mov_b32 s60, exec_lo
	v_cmpx_lt_u32_e64 v84, v1
	s_cbranch_execz .LBB691_3191
; %bb.3190:
	v_and_b32_e32 v85, 0xff, v81
	v_and_b32_e32 v86, 0xff, v82
	v_mul_lo_u16 v85, 0xcd, v85
	v_mul_lo_u16 v86, 0xcd, v86
	v_lshrrev_b16 v85, 11, v85
	v_lshrrev_b16 v86, 11, v86
	v_cmp_ge_u16_e64 s8, v85, v86
	s_and_b32 s63, s8, exec_lo
.LBB691_3191:
	s_or_b32 exec_lo, exec_lo, s60
	s_orn2_b32 s60, s63, exec_lo
.LBB691_3192:
	s_or_b32 exec_lo, exec_lo, s62
	v_cndmask_b32_e64 v85, v83, v84, s60
	v_cndmask_b32_e64 v86, v2, v1, s60
	s_mov_b32 s62, -1
	s_mov_b32 s63, -1
	s_mov_b32 s72, exec_lo
	v_add_nc_u32_e32 v87, 1, v85
	v_add_nc_u32_e32 v85, -1, v86
	v_cndmask_b32_e64 v86, v84, v87, s60
	v_min_u32_e32 v85, v87, v85
	v_add_nc_u32_e32 v85, v68, v85
	ds_read_u8 v96, v85
	v_cndmask_b32_e64 v85, v87, v83, s60
	s_waitcnt lgkmcnt(0)
	v_cndmask_b32_e64 v83, v96, v81, s60
	v_cndmask_b32_e64 v84, v82, v96, s60
	v_cmpx_lt_u32_e64 v85, v2
	s_cbranch_execz .LBB691_3196
; %bb.3193:
	s_mov_b32 s73, 0
	s_mov_b32 s63, exec_lo
	v_cmpx_lt_u32_e64 v86, v1
	s_cbranch_execz .LBB691_3195
; %bb.3194:
	v_and_b32_e32 v87, 0xff, v83
	v_and_b32_e32 v96, 0xff, v84
	v_mul_lo_u16 v87, 0xcd, v87
	v_mul_lo_u16 v96, 0xcd, v96
	v_lshrrev_b16 v87, 11, v87
	v_lshrrev_b16 v96, 11, v96
	v_cmp_ge_u16_e64 s8, v87, v96
	s_and_b32 s73, s8, exec_lo
.LBB691_3195:
	s_or_b32 exec_lo, exec_lo, s63
	s_orn2_b32 s63, s73, exec_lo
.LBB691_3196:
	s_or_b32 exec_lo, exec_lo, s72
	v_cndmask_b32_e64 v87, v85, v86, s63
	v_cndmask_b32_e64 v96, v2, v1, s63
	s_mov_b32 s72, exec_lo
	v_add_nc_u32_e32 v97, 1, v87
	v_add_nc_u32_e32 v87, -1, v96
	v_cndmask_b32_e64 v96, v86, v97, s63
	v_min_u32_e32 v87, v97, v87
	v_add_nc_u32_e32 v87, v68, v87
	ds_read_u8 v98, v87
	v_cndmask_b32_e64 v87, v97, v85, s63
	s_waitcnt lgkmcnt(0)
	v_cndmask_b32_e64 v85, v98, v83, s63
	v_cndmask_b32_e64 v86, v84, v98, s63
	v_cmpx_lt_u32_e64 v87, v2
	s_cbranch_execz .LBB691_3200
; %bb.3197:
	s_mov_b32 s73, 0
	s_mov_b32 s62, exec_lo
	v_cmpx_lt_u32_e64 v96, v1
	s_cbranch_execz .LBB691_3199
; %bb.3198:
	v_and_b32_e32 v97, 0xff, v85
	v_and_b32_e32 v98, 0xff, v86
	v_mul_lo_u16 v97, 0xcd, v97
	v_mul_lo_u16 v98, 0xcd, v98
	v_lshrrev_b16 v97, 11, v97
	v_lshrrev_b16 v98, 11, v98
	v_cmp_ge_u16_e64 s8, v97, v98
	s_and_b32 s73, s8, exec_lo
.LBB691_3199:
	s_or_b32 exec_lo, exec_lo, s62
	s_orn2_b32 s62, s73, exec_lo
.LBB691_3200:
	s_or_b32 exec_lo, exec_lo, s72
	v_cndmask_b32_e64 v97, v87, v96, s62
	v_cndmask_b32_e64 v98, v2, v1, s62
	s_mov_b32 s72, -1
	s_mov_b32 s73, -1
	s_mov_b32 s74, exec_lo
	v_add_nc_u32_e32 v99, 1, v97
	v_add_nc_u32_e32 v97, -1, v98
	v_cndmask_b32_e64 v98, v96, v99, s62
	v_min_u32_e32 v97, v99, v97
	v_add_nc_u32_e32 v97, v68, v97
	ds_read_u8 v100, v97
	v_cndmask_b32_e64 v97, v99, v87, s62
	s_waitcnt lgkmcnt(0)
	v_cndmask_b32_e64 v87, v100, v85, s62
	v_cndmask_b32_e64 v96, v86, v100, s62
	v_cmpx_lt_u32_e64 v97, v2
	s_cbranch_execz .LBB691_3204
; %bb.3201:
	s_mov_b32 s75, 0
	s_mov_b32 s73, exec_lo
	v_cmpx_lt_u32_e64 v98, v1
	s_cbranch_execz .LBB691_3203
; %bb.3202:
	v_and_b32_e32 v99, 0xff, v87
	v_and_b32_e32 v100, 0xff, v96
	v_mul_lo_u16 v99, 0xcd, v99
	v_mul_lo_u16 v100, 0xcd, v100
	v_lshrrev_b16 v99, 11, v99
	v_lshrrev_b16 v100, 11, v100
	v_cmp_ge_u16_e64 s8, v99, v100
	s_and_b32 s75, s8, exec_lo
.LBB691_3203:
	s_or_b32 exec_lo, exec_lo, s73
	s_orn2_b32 s73, s75, exec_lo
.LBB691_3204:
	s_or_b32 exec_lo, exec_lo, s74
	v_cndmask_b32_e64 v99, v97, v98, s73
	v_cndmask_b32_e64 v100, v2, v1, s73
	s_mov_b32 s74, exec_lo
	v_add_nc_u32_e32 v101, 1, v99
	v_add_nc_u32_e32 v99, -1, v100
	v_cndmask_b32_e64 v100, v98, v101, s73
	v_min_u32_e32 v99, v101, v99
	v_add_nc_u32_e32 v99, v68, v99
	ds_read_u8 v102, v99
	v_cndmask_b32_e64 v99, v101, v97, s73
	s_waitcnt lgkmcnt(0)
	v_cndmask_b32_e64 v97, v102, v87, s73
	v_cndmask_b32_e64 v98, v96, v102, s73
	v_cmpx_lt_u32_e64 v99, v2
	s_cbranch_execz .LBB691_3208
; %bb.3205:
	s_mov_b32 s75, 0
	s_mov_b32 s72, exec_lo
	v_cmpx_lt_u32_e64 v100, v1
	s_cbranch_execz .LBB691_3207
; %bb.3206:
	v_and_b32_e32 v101, 0xff, v97
	v_and_b32_e32 v102, 0xff, v98
	v_mul_lo_u16 v101, 0xcd, v101
	v_mul_lo_u16 v102, 0xcd, v102
	v_lshrrev_b16 v101, 11, v101
	v_lshrrev_b16 v102, 11, v102
	v_cmp_ge_u16_e64 s8, v101, v102
	s_and_b32 s75, s8, exec_lo
.LBB691_3207:
	s_or_b32 exec_lo, exec_lo, s72
	s_orn2_b32 s72, s75, exec_lo
.LBB691_3208:
	s_or_b32 exec_lo, exec_lo, s74
	v_cndmask_b32_e64 v101, v99, v100, s72
	v_cndmask_b32_e64 v102, v2, v1, s72
	s_mov_b32 s74, -1
	s_mov_b32 s75, -1
	s_mov_b32 s76, exec_lo
	v_add_nc_u32_e32 v103, 1, v101
	v_add_nc_u32_e32 v101, -1, v102
	v_cndmask_b32_e64 v102, v100, v103, s72
	v_min_u32_e32 v101, v103, v101
	v_add_nc_u32_e32 v101, v68, v101
	ds_read_u8 v112, v101
	v_cndmask_b32_e64 v101, v103, v99, s72
	s_waitcnt lgkmcnt(0)
	v_cndmask_b32_e64 v99, v112, v97, s72
	v_cndmask_b32_e64 v100, v98, v112, s72
	v_cmpx_lt_u32_e64 v101, v2
	s_cbranch_execz .LBB691_3212
; %bb.3209:
	s_mov_b32 s77, 0
	s_mov_b32 s75, exec_lo
	v_cmpx_lt_u32_e64 v102, v1
	s_cbranch_execz .LBB691_3211
; %bb.3210:
	v_and_b32_e32 v103, 0xff, v99
	v_and_b32_e32 v112, 0xff, v100
	v_mul_lo_u16 v103, 0xcd, v103
	v_mul_lo_u16 v112, 0xcd, v112
	v_lshrrev_b16 v103, 11, v103
	v_lshrrev_b16 v112, 11, v112
	v_cmp_ge_u16_e64 s8, v103, v112
	s_and_b32 s77, s8, exec_lo
.LBB691_3211:
	s_or_b32 exec_lo, exec_lo, s75
	s_orn2_b32 s75, s77, exec_lo
.LBB691_3212:
	s_or_b32 exec_lo, exec_lo, s76
	v_cndmask_b32_e64 v103, v101, v102, s75
	v_cndmask_b32_e64 v112, v2, v1, s75
	s_mov_b32 s76, exec_lo
	v_add_nc_u32_e32 v113, 1, v103
	v_add_nc_u32_e32 v103, -1, v112
	v_cndmask_b32_e64 v112, v102, v113, s75
	v_min_u32_e32 v103, v113, v103
	v_add_nc_u32_e32 v103, v68, v103
	ds_read_u8 v114, v103
	v_cndmask_b32_e64 v103, v113, v101, s75
	s_waitcnt lgkmcnt(0)
	v_cndmask_b32_e64 v101, v114, v99, s75
	v_cndmask_b32_e64 v102, v100, v114, s75
	v_cmpx_lt_u32_e64 v103, v2
	s_cbranch_execz .LBB691_3216
; %bb.3213:
	s_mov_b32 s77, 0
	s_mov_b32 s74, exec_lo
	v_cmpx_lt_u32_e64 v112, v1
	s_cbranch_execz .LBB691_3215
; %bb.3214:
	v_and_b32_e32 v113, 0xff, v101
	v_and_b32_e32 v114, 0xff, v102
	v_mul_lo_u16 v113, 0xcd, v113
	v_mul_lo_u16 v114, 0xcd, v114
	v_lshrrev_b16 v113, 11, v113
	v_lshrrev_b16 v114, 11, v114
	v_cmp_ge_u16_e64 s8, v113, v114
	s_and_b32 s77, s8, exec_lo
.LBB691_3215:
	s_or_b32 exec_lo, exec_lo, s74
	s_orn2_b32 s74, s77, exec_lo
.LBB691_3216:
	s_or_b32 exec_lo, exec_lo, s76
	v_cndmask_b32_e64 v113, v103, v112, s74
	v_cndmask_b32_e64 v114, v2, v1, s74
	s_mov_b32 s76, -1
	s_mov_b32 s77, -1
	s_mov_b32 s78, exec_lo
	v_add_nc_u32_e32 v115, 1, v113
	v_add_nc_u32_e32 v113, -1, v114
	v_cndmask_b32_e64 v114, v112, v115, s74
	v_min_u32_e32 v113, v115, v113
	v_add_nc_u32_e32 v113, v68, v113
	ds_read_u8 v116, v113
	v_cndmask_b32_e64 v113, v115, v103, s74
	s_waitcnt lgkmcnt(0)
	v_cndmask_b32_e64 v103, v116, v101, s74
	v_cndmask_b32_e64 v112, v102, v116, s74
	v_cmpx_lt_u32_e64 v113, v2
	s_cbranch_execz .LBB691_3220
; %bb.3217:
	s_mov_b32 s79, 0
	s_mov_b32 s77, exec_lo
	v_cmpx_lt_u32_e64 v114, v1
	s_cbranch_execz .LBB691_3219
; %bb.3218:
	v_and_b32_e32 v115, 0xff, v103
	v_and_b32_e32 v116, 0xff, v112
	v_mul_lo_u16 v115, 0xcd, v115
	v_mul_lo_u16 v116, 0xcd, v116
	v_lshrrev_b16 v115, 11, v115
	v_lshrrev_b16 v116, 11, v116
	v_cmp_ge_u16_e64 s8, v115, v116
	s_and_b32 s79, s8, exec_lo
.LBB691_3219:
	s_or_b32 exec_lo, exec_lo, s77
	s_orn2_b32 s77, s79, exec_lo
.LBB691_3220:
	s_or_b32 exec_lo, exec_lo, s78
	v_cndmask_b32_e64 v115, v113, v114, s77
	v_cndmask_b32_e64 v116, v2, v1, s77
	s_mov_b32 s78, exec_lo
	v_add_nc_u32_e32 v117, 1, v115
	v_add_nc_u32_e32 v115, -1, v116
	v_cndmask_b32_e64 v116, v114, v117, s77
	v_min_u32_e32 v115, v117, v115
	v_add_nc_u32_e32 v115, v68, v115
	ds_read_u8 v118, v115
	v_cndmask_b32_e64 v115, v117, v113, s77
	s_waitcnt lgkmcnt(0)
	v_cndmask_b32_e64 v113, v118, v103, s77
	v_cndmask_b32_e64 v114, v112, v118, s77
	v_cmpx_lt_u32_e64 v115, v2
	s_cbranch_execz .LBB691_3224
; %bb.3221:
	s_mov_b32 s79, 0
	s_mov_b32 s76, exec_lo
	v_cmpx_lt_u32_e64 v116, v1
	s_cbranch_execz .LBB691_3223
; %bb.3222:
	v_and_b32_e32 v117, 0xff, v113
	v_and_b32_e32 v118, 0xff, v114
	v_mul_lo_u16 v117, 0xcd, v117
	v_mul_lo_u16 v118, 0xcd, v118
	v_lshrrev_b16 v117, 11, v117
	v_lshrrev_b16 v118, 11, v118
	v_cmp_ge_u16_e64 s8, v117, v118
	s_and_b32 s79, s8, exec_lo
.LBB691_3223:
	s_or_b32 exec_lo, exec_lo, s76
	s_orn2_b32 s76, s79, exec_lo
.LBB691_3224:
	s_or_b32 exec_lo, exec_lo, s78
	v_cndmask_b32_e64 v117, v115, v116, s76
	v_cndmask_b32_e64 v118, v2, v1, s76
	s_mov_b32 s78, -1
	s_mov_b32 s79, -1
	s_mov_b32 s88, exec_lo
	v_add_nc_u32_e32 v119, 1, v117
	v_add_nc_u32_e32 v117, -1, v118
	v_cndmask_b32_e64 v118, v116, v119, s76
	v_min_u32_e32 v117, v119, v117
	v_add_nc_u32_e32 v117, v68, v117
	ds_read_u8 v128, v117
	v_cndmask_b32_e64 v117, v119, v115, s76
	s_waitcnt lgkmcnt(0)
	v_cndmask_b32_e64 v115, v128, v113, s76
	v_cndmask_b32_e64 v116, v114, v128, s76
	v_cmpx_lt_u32_e64 v117, v2
	s_cbranch_execz .LBB691_3228
; %bb.3225:
	s_mov_b32 s89, 0
	s_mov_b32 s79, exec_lo
	v_cmpx_lt_u32_e64 v118, v1
	s_cbranch_execz .LBB691_3227
; %bb.3226:
	v_and_b32_e32 v119, 0xff, v115
	v_and_b32_e32 v128, 0xff, v116
	v_mul_lo_u16 v119, 0xcd, v119
	v_mul_lo_u16 v128, 0xcd, v128
	v_lshrrev_b16 v119, 11, v119
	v_lshrrev_b16 v128, 11, v128
	v_cmp_ge_u16_e64 s8, v119, v128
	s_and_b32 s89, s8, exec_lo
.LBB691_3227:
	s_or_b32 exec_lo, exec_lo, s79
	s_orn2_b32 s79, s89, exec_lo
.LBB691_3228:
	s_or_b32 exec_lo, exec_lo, s88
	v_cndmask_b32_e64 v119, v117, v118, s79
	v_cndmask_b32_e64 v128, v2, v1, s79
	s_mov_b32 s88, exec_lo
	v_add_nc_u32_e32 v129, 1, v119
	v_add_nc_u32_e32 v119, -1, v128
	v_cndmask_b32_e64 v128, v118, v129, s79
	v_min_u32_e32 v119, v129, v119
	v_add_nc_u32_e32 v119, v68, v119
	ds_read_u8 v130, v119
	v_cndmask_b32_e64 v119, v129, v117, s79
	s_waitcnt lgkmcnt(0)
	v_cndmask_b32_e64 v117, v130, v115, s79
	v_cndmask_b32_e64 v118, v116, v130, s79
	v_cmpx_lt_u32_e64 v119, v2
	s_cbranch_execz .LBB691_3232
; %bb.3229:
	s_mov_b32 s89, 0
	s_mov_b32 s78, exec_lo
	v_cmpx_lt_u32_e64 v128, v1
	s_cbranch_execz .LBB691_3231
; %bb.3230:
	v_and_b32_e32 v129, 0xff, v117
	v_and_b32_e32 v130, 0xff, v118
	v_mul_lo_u16 v129, 0xcd, v129
	v_mul_lo_u16 v130, 0xcd, v130
	v_lshrrev_b16 v129, 11, v129
	v_lshrrev_b16 v130, 11, v130
	v_cmp_ge_u16_e64 s8, v129, v130
	s_and_b32 s89, s8, exec_lo
.LBB691_3231:
	s_or_b32 exec_lo, exec_lo, s78
	s_orn2_b32 s78, s89, exec_lo
.LBB691_3232:
	s_or_b32 exec_lo, exec_lo, s88
	v_cndmask_b32_e64 v129, v119, v128, s78
	v_cndmask_b32_e64 v130, v2, v1, s78
	s_mov_b32 s88, -1
	s_mov_b32 s89, -1
	s_mov_b32 s90, exec_lo
	v_add_nc_u32_e32 v131, 1, v129
	v_add_nc_u32_e32 v129, -1, v130
	v_cndmask_b32_e64 v130, v128, v131, s78
	v_min_u32_e32 v129, v131, v129
	v_add_nc_u32_e32 v129, v68, v129
	ds_read_u8 v132, v129
	v_cndmask_b32_e64 v129, v131, v119, s78
	s_waitcnt lgkmcnt(0)
	v_cndmask_b32_e64 v119, v132, v117, s78
	v_cndmask_b32_e64 v128, v118, v132, s78
	v_cmpx_lt_u32_e64 v129, v2
	s_cbranch_execz .LBB691_3236
; %bb.3233:
	s_mov_b32 s91, 0
	s_mov_b32 s89, exec_lo
	v_cmpx_lt_u32_e64 v130, v1
	s_cbranch_execz .LBB691_3235
; %bb.3234:
	v_and_b32_e32 v131, 0xff, v119
	v_and_b32_e32 v132, 0xff, v128
	v_mul_lo_u16 v131, 0xcd, v131
	v_mul_lo_u16 v132, 0xcd, v132
	v_lshrrev_b16 v131, 11, v131
	v_lshrrev_b16 v132, 11, v132
	v_cmp_ge_u16_e64 s8, v131, v132
	s_and_b32 s91, s8, exec_lo
.LBB691_3235:
	s_or_b32 exec_lo, exec_lo, s89
	s_orn2_b32 s89, s91, exec_lo
.LBB691_3236:
	s_or_b32 exec_lo, exec_lo, s90
	v_cndmask_b32_e64 v131, v129, v130, s89
	v_cndmask_b32_e64 v132, v2, v1, s89
	s_mov_b32 s90, exec_lo
	v_add_nc_u32_e32 v133, 1, v131
	v_add_nc_u32_e32 v131, -1, v132
	v_cndmask_b32_e64 v132, v130, v133, s89
	v_min_u32_e32 v131, v133, v131
	v_add_nc_u32_e32 v131, v68, v131
	ds_read_u8 v134, v131
	v_cndmask_b32_e64 v131, v133, v129, s89
	s_waitcnt lgkmcnt(0)
	v_cndmask_b32_e64 v129, v134, v119, s89
	v_cndmask_b32_e64 v130, v128, v134, s89
	v_cmpx_lt_u32_e64 v131, v2
	s_cbranch_execz .LBB691_3240
; %bb.3237:
	s_mov_b32 s91, 0
	s_mov_b32 s88, exec_lo
	v_cmpx_lt_u32_e64 v132, v1
	s_cbranch_execz .LBB691_3239
; %bb.3238:
	v_and_b32_e32 v133, 0xff, v129
	v_and_b32_e32 v134, 0xff, v130
	v_mul_lo_u16 v133, 0xcd, v133
	v_mul_lo_u16 v134, 0xcd, v134
	v_lshrrev_b16 v133, 11, v133
	v_lshrrev_b16 v134, 11, v134
	v_cmp_ge_u16_e64 s8, v133, v134
	s_and_b32 s91, s8, exec_lo
.LBB691_3239:
	s_or_b32 exec_lo, exec_lo, s88
	s_orn2_b32 s88, s91, exec_lo
.LBB691_3240:
	s_or_b32 exec_lo, exec_lo, s90
	v_cndmask_b32_e64 v133, v131, v132, s88
	v_cndmask_b32_e64 v134, v2, v1, s88
	s_mov_b32 s90, -1
	s_mov_b32 s91, -1
	s_mov_b32 s92, exec_lo
	v_add_nc_u32_e32 v135, 1, v133
	v_add_nc_u32_e32 v133, -1, v134
	v_cndmask_b32_e64 v134, v132, v135, s88
	v_min_u32_e32 v133, v135, v133
	v_add_nc_u32_e32 v133, v68, v133
	ds_read_u8 v144, v133
	v_cndmask_b32_e64 v133, v135, v131, s88
	s_waitcnt lgkmcnt(0)
	v_cndmask_b32_e64 v131, v144, v129, s88
	v_cndmask_b32_e64 v132, v130, v144, s88
	v_cmpx_lt_u32_e64 v133, v2
	s_cbranch_execz .LBB691_3244
; %bb.3241:
	s_mov_b32 s93, 0
	s_mov_b32 s91, exec_lo
	v_cmpx_lt_u32_e64 v134, v1
	s_cbranch_execz .LBB691_3243
; %bb.3242:
	v_and_b32_e32 v135, 0xff, v131
	v_and_b32_e32 v144, 0xff, v132
	v_mul_lo_u16 v135, 0xcd, v135
	v_mul_lo_u16 v144, 0xcd, v144
	v_lshrrev_b16 v135, 11, v135
	v_lshrrev_b16 v144, 11, v144
	v_cmp_ge_u16_e64 s8, v135, v144
	s_and_b32 s93, s8, exec_lo
.LBB691_3243:
	s_or_b32 exec_lo, exec_lo, s91
	s_orn2_b32 s91, s93, exec_lo
.LBB691_3244:
	s_or_b32 exec_lo, exec_lo, s92
	v_cndmask_b32_e64 v135, v133, v134, s91
	v_cndmask_b32_e64 v144, v2, v1, s91
	s_mov_b32 s92, exec_lo
	v_add_nc_u32_e32 v145, 1, v135
	v_add_nc_u32_e32 v135, -1, v144
	v_cndmask_b32_e64 v144, v134, v145, s91
	v_min_u32_e32 v135, v145, v135
	v_add_nc_u32_e32 v135, v68, v135
	ds_read_u8 v146, v135
	v_cndmask_b32_e64 v135, v145, v133, s91
	s_waitcnt lgkmcnt(0)
	v_cndmask_b32_e64 v133, v146, v131, s91
	v_cndmask_b32_e64 v134, v132, v146, s91
	v_cmpx_lt_u32_e64 v135, v2
	s_cbranch_execz .LBB691_3248
; %bb.3245:
	s_mov_b32 s93, 0
	s_mov_b32 s90, exec_lo
	v_cmpx_lt_u32_e64 v144, v1
	s_cbranch_execz .LBB691_3247
; %bb.3246:
	v_and_b32_e32 v145, 0xff, v133
	v_and_b32_e32 v146, 0xff, v134
	v_mul_lo_u16 v145, 0xcd, v145
	v_mul_lo_u16 v146, 0xcd, v146
	v_lshrrev_b16 v145, 11, v145
	v_lshrrev_b16 v146, 11, v146
	v_cmp_ge_u16_e64 s8, v145, v146
	s_and_b32 s93, s8, exec_lo
.LBB691_3247:
	s_or_b32 exec_lo, exec_lo, s90
	s_orn2_b32 s90, s93, exec_lo
.LBB691_3248:
	s_or_b32 exec_lo, exec_lo, s92
	v_cndmask_b32_e64 v145, v135, v144, s90
	v_cndmask_b32_e64 v146, v2, v1, s90
	s_mov_b32 s92, -1
	s_mov_b32 s93, -1
	s_mov_b32 s94, exec_lo
	v_add_nc_u32_e32 v147, 1, v145
	v_add_nc_u32_e32 v145, -1, v146
	v_cndmask_b32_e64 v146, v144, v147, s90
	v_min_u32_e32 v145, v147, v145
	v_add_nc_u32_e32 v145, v68, v145
	ds_read_u8 v148, v145
	v_cndmask_b32_e64 v145, v147, v135, s90
	s_waitcnt lgkmcnt(0)
	v_cndmask_b32_e64 v135, v148, v133, s90
	v_cndmask_b32_e64 v144, v134, v148, s90
	v_cmpx_lt_u32_e64 v145, v2
	s_cbranch_execz .LBB691_3252
; %bb.3249:
	s_mov_b32 s95, 0
	s_mov_b32 s93, exec_lo
	v_cmpx_lt_u32_e64 v146, v1
	s_cbranch_execz .LBB691_3251
; %bb.3250:
	v_and_b32_e32 v147, 0xff, v135
	v_and_b32_e32 v148, 0xff, v144
	v_mul_lo_u16 v147, 0xcd, v147
	v_mul_lo_u16 v148, 0xcd, v148
	v_lshrrev_b16 v147, 11, v147
	v_lshrrev_b16 v148, 11, v148
	v_cmp_ge_u16_e64 s8, v147, v148
	s_and_b32 s95, s8, exec_lo
.LBB691_3251:
	s_or_b32 exec_lo, exec_lo, s93
	s_orn2_b32 s93, s95, exec_lo
.LBB691_3252:
	s_or_b32 exec_lo, exec_lo, s94
	v_cndmask_b32_e64 v147, v145, v146, s93
	v_cndmask_b32_e64 v148, v2, v1, s93
	s_mov_b32 s94, exec_lo
	v_add_nc_u32_e32 v149, 1, v147
	v_add_nc_u32_e32 v147, -1, v148
	v_cndmask_b32_e64 v148, v146, v149, s93
	v_min_u32_e32 v147, v149, v147
	v_add_nc_u32_e32 v147, v68, v147
	ds_read_u8 v150, v147
	v_cndmask_b32_e64 v147, v149, v145, s93
	s_waitcnt lgkmcnt(0)
	v_cndmask_b32_e64 v145, v150, v135, s93
	v_cndmask_b32_e64 v146, v144, v150, s93
	v_cmpx_lt_u32_e64 v147, v2
	s_cbranch_execz .LBB691_3256
; %bb.3253:
	s_mov_b32 s95, 0
	s_mov_b32 s92, exec_lo
	v_cmpx_lt_u32_e64 v148, v1
	s_cbranch_execz .LBB691_3255
; %bb.3254:
	v_and_b32_e32 v149, 0xff, v145
	v_and_b32_e32 v150, 0xff, v146
	v_mul_lo_u16 v149, 0xcd, v149
	v_mul_lo_u16 v150, 0xcd, v150
	v_lshrrev_b16 v149, 11, v149
	v_lshrrev_b16 v150, 11, v150
	v_cmp_ge_u16_e64 s8, v149, v150
	s_and_b32 s95, s8, exec_lo
.LBB691_3255:
	s_or_b32 exec_lo, exec_lo, s92
	s_orn2_b32 s92, s95, exec_lo
.LBB691_3256:
	s_or_b32 exec_lo, exec_lo, s94
	v_cndmask_b32_e64 v149, v147, v148, s92
	v_cndmask_b32_e64 v150, v2, v1, s92
	s_mov_b32 s94, -1
	s_mov_b32 s95, -1
	s_mov_b32 vcc_hi, exec_lo
	v_add_nc_u32_e32 v151, 1, v149
	v_add_nc_u32_e32 v149, -1, v150
	v_cndmask_b32_e64 v150, v148, v151, s92
	v_min_u32_e32 v149, v151, v149
	v_add_nc_u32_e32 v149, v68, v149
	ds_read_u8 v160, v149
	v_cndmask_b32_e64 v149, v151, v147, s92
	s_waitcnt lgkmcnt(0)
	v_cndmask_b32_e64 v147, v160, v145, s92
	v_cndmask_b32_e64 v148, v146, v160, s92
	v_cmpx_lt_u32_e64 v149, v2
	s_cbranch_execz .LBB691_3260
; %bb.3257:
	s_mov_b32 s30, 0
	s_mov_b32 s95, exec_lo
	v_cmpx_lt_u32_e64 v150, v1
	s_cbranch_execz .LBB691_3259
; %bb.3258:
	v_and_b32_e32 v151, 0xff, v147
	v_and_b32_e32 v160, 0xff, v148
	v_mul_lo_u16 v151, 0xcd, v151
	v_mul_lo_u16 v160, 0xcd, v160
	v_lshrrev_b16 v151, 11, v151
	v_lshrrev_b16 v160, 11, v160
	v_cmp_ge_u16_e64 s8, v151, v160
	s_and_b32 s30, s8, exec_lo
.LBB691_3259:
	s_or_b32 exec_lo, exec_lo, s95
	s_orn2_b32 s95, s30, exec_lo
.LBB691_3260:
	s_or_b32 exec_lo, exec_lo, vcc_hi
	v_cndmask_b32_e64 v151, v149, v150, s95
	v_cndmask_b32_e64 v160, v2, v1, s95
	s_mov_b32 vcc_hi, exec_lo
	v_add_nc_u32_e32 v161, 1, v151
	v_add_nc_u32_e32 v151, -1, v160
	v_cndmask_b32_e64 v160, v150, v161, s95
	v_min_u32_e32 v151, v161, v151
	v_add_nc_u32_e32 v151, v68, v151
	ds_read_u8 v162, v151
	v_cndmask_b32_e64 v151, v161, v149, s95
	s_waitcnt lgkmcnt(0)
	v_cndmask_b32_e64 v149, v162, v147, s95
	v_cndmask_b32_e64 v150, v148, v162, s95
	v_cmpx_lt_u32_e64 v151, v2
	s_cbranch_execz .LBB691_3264
; %bb.3261:
	s_mov_b32 s30, 0
	s_mov_b32 s94, exec_lo
	v_cmpx_lt_u32_e64 v160, v1
	s_cbranch_execz .LBB691_3263
; %bb.3262:
	v_and_b32_e32 v161, 0xff, v149
	v_and_b32_e32 v162, 0xff, v150
	v_mul_lo_u16 v161, 0xcd, v161
	v_mul_lo_u16 v162, 0xcd, v162
	v_lshrrev_b16 v161, 11, v161
	v_lshrrev_b16 v162, 11, v162
	v_cmp_ge_u16_e64 s8, v161, v162
	s_and_b32 s30, s8, exec_lo
.LBB691_3263:
	s_or_b32 exec_lo, exec_lo, s94
	s_orn2_b32 s94, s30, exec_lo
.LBB691_3264:
	s_or_b32 exec_lo, exec_lo, vcc_hi
	v_cndmask_b32_e64 v161, v151, v160, s94
	v_cndmask_b32_e64 v162, v2, v1, s94
	s_mov_b32 vcc_hi, -1
	s_mov_b32 s30, -1
	s_mov_b32 s31, exec_lo
	v_add_nc_u32_e32 v163, 1, v161
	v_add_nc_u32_e32 v161, -1, v162
	v_cndmask_b32_e64 v162, v160, v163, s94
	v_min_u32_e32 v161, v163, v161
	v_add_nc_u32_e32 v161, v68, v161
	ds_read_u8 v164, v161
	v_cndmask_b32_e64 v161, v163, v151, s94
	s_waitcnt lgkmcnt(0)
	v_cndmask_b32_e64 v151, v164, v149, s94
	v_cndmask_b32_e64 v160, v150, v164, s94
	v_cmpx_lt_u32_e64 v161, v2
	s_cbranch_execz .LBB691_3268
; %bb.3265:
	s_mov_b32 s34, 0
	s_mov_b32 s30, exec_lo
	v_cmpx_lt_u32_e64 v162, v1
	s_cbranch_execz .LBB691_3267
; %bb.3266:
	v_and_b32_e32 v163, 0xff, v151
	v_and_b32_e32 v164, 0xff, v160
	v_mul_lo_u16 v163, 0xcd, v163
	v_mul_lo_u16 v164, 0xcd, v164
	v_lshrrev_b16 v163, 11, v163
	v_lshrrev_b16 v164, 11, v164
	v_cmp_ge_u16_e64 s8, v163, v164
	s_and_b32 s34, s8, exec_lo
.LBB691_3267:
	s_or_b32 exec_lo, exec_lo, s30
	s_orn2_b32 s30, s34, exec_lo
.LBB691_3268:
	s_or_b32 exec_lo, exec_lo, s31
	v_cndmask_b32_e64 v163, v161, v162, s30
	v_cndmask_b32_e64 v164, v2, v1, s30
	s_mov_b32 s31, exec_lo
	v_add_nc_u32_e32 v165, 1, v163
	v_add_nc_u32_e32 v163, -1, v164
	v_cndmask_b32_e64 v164, v162, v165, s30
	v_min_u32_e32 v163, v165, v163
	v_add_nc_u32_e32 v163, v68, v163
	ds_read_u8 v166, v163
	v_cndmask_b32_e64 v163, v165, v161, s30
	s_waitcnt lgkmcnt(0)
	v_cndmask_b32_e64 v161, v166, v151, s30
	v_cndmask_b32_e64 v162, v160, v166, s30
	v_cmpx_lt_u32_e64 v163, v2
	s_cbranch_execz .LBB691_3272
; %bb.3269:
	s_mov_b32 s34, 0
	s_mov_b32 vcc_hi, exec_lo
	v_cmpx_lt_u32_e64 v164, v1
	s_cbranch_execz .LBB691_3271
; %bb.3270:
	v_and_b32_e32 v165, 0xff, v161
	v_and_b32_e32 v166, 0xff, v162
	v_mul_lo_u16 v165, 0xcd, v165
	v_mul_lo_u16 v166, 0xcd, v166
	v_lshrrev_b16 v165, 11, v165
	v_lshrrev_b16 v166, 11, v166
	v_cmp_ge_u16_e64 s8, v165, v166
	s_and_b32 s34, s8, exec_lo
.LBB691_3271:
	s_or_b32 exec_lo, exec_lo, vcc_hi
	s_orn2_b32 vcc_hi, s34, exec_lo
.LBB691_3272:
	s_or_b32 exec_lo, exec_lo, s31
	v_cndmask_b32_e64 v165, v163, v164, vcc_hi
	v_cndmask_b32_e64 v166, v2, v1, vcc_hi
	s_mov_b32 s31, -1
	s_mov_b32 s34, -1
	s_mov_b32 s39, exec_lo
	v_add_nc_u32_e32 v167, 1, v165
	v_add_nc_u32_e32 v165, -1, v166
	v_cndmask_b32_e64 v166, v164, v167, vcc_hi
	v_min_u32_e32 v165, v167, v165
	v_add_nc_u32_e32 v165, v68, v165
	ds_read_u8 v176, v165
	v_cndmask_b32_e64 v165, v167, v163, vcc_hi
	s_waitcnt lgkmcnt(0)
	v_cndmask_b32_e64 v163, v176, v161, vcc_hi
	v_cndmask_b32_e64 v164, v162, v176, vcc_hi
	v_cmpx_lt_u32_e64 v165, v2
	s_cbranch_execz .LBB691_3276
; %bb.3273:
	s_mov_b32 s48, 0
	s_mov_b32 s34, exec_lo
	v_cmpx_lt_u32_e64 v166, v1
	s_cbranch_execz .LBB691_3275
; %bb.3274:
	v_and_b32_e32 v167, 0xff, v163
	v_and_b32_e32 v176, 0xff, v164
	v_mul_lo_u16 v167, 0xcd, v167
	v_mul_lo_u16 v176, 0xcd, v176
	v_lshrrev_b16 v167, 11, v167
	v_lshrrev_b16 v176, 11, v176
	v_cmp_ge_u16_e64 s8, v167, v176
	s_and_b32 s48, s8, exec_lo
.LBB691_3275:
	s_or_b32 exec_lo, exec_lo, s34
	s_orn2_b32 s34, s48, exec_lo
.LBB691_3276:
	s_or_b32 exec_lo, exec_lo, s39
	v_cndmask_b32_e64 v167, v165, v166, s34
	v_cndmask_b32_e64 v176, v2, v1, s34
	s_mov_b32 s39, exec_lo
	v_add_nc_u32_e32 v167, 1, v167
	v_add_nc_u32_e32 v176, -1, v176
	v_min_u32_e32 v176, v167, v176
	v_add_nc_u32_e32 v176, v68, v176
	ds_read_u8 v177, v176
	v_cndmask_b32_e64 v176, v167, v165, s34
	v_cndmask_b32_e64 v167, v166, v167, s34
	s_waitcnt lgkmcnt(0)
	v_cndmask_b32_e64 v165, v177, v163, s34
	v_cndmask_b32_e64 v166, v164, v177, s34
	v_cmpx_lt_u32_e64 v176, v2
	s_cbranch_execz .LBB691_3280
; %bb.3277:
	s_mov_b32 s48, 0
	s_mov_b32 s31, exec_lo
	v_cmpx_lt_u32_e64 v167, v1
	s_cbranch_execz .LBB691_3279
; %bb.3278:
	v_and_b32_e32 v177, 0xff, v165
	v_and_b32_e32 v178, 0xff, v166
	v_mul_lo_u16 v177, 0xcd, v177
	v_mul_lo_u16 v178, 0xcd, v178
	v_lshrrev_b16 v177, 11, v177
	v_lshrrev_b16 v178, 11, v178
	v_cmp_ge_u16_e64 s8, v177, v178
	s_and_b32 s48, s8, exec_lo
.LBB691_3279:
	s_or_b32 exec_lo, exec_lo, s31
	s_orn2_b32 s31, s48, exec_lo
.LBB691_3280:
	s_or_b32 exec_lo, exec_lo, s39
	v_cndmask_b32_e64 v177, v176, v167, s31
	v_cndmask_b32_e64 v178, v2, v1, s31
	s_mov_b32 s39, exec_lo
	v_add_nc_u32_e32 v177, 1, v177
	v_add_nc_u32_e32 v178, -1, v178
	v_cndmask_b32_e64 v176, v177, v176, s31
	v_min_u32_e32 v178, v177, v178
	v_add_nc_u32_e32 v68, v68, v178
	ds_read_u8 v178, v68
	s_waitcnt lgkmcnt(0)
	v_cndmask_b32_e64 v68, v166, v178, s31
	v_cmpx_lt_u32_e64 v176, v2
	s_cbranch_execz .LBB691_3284
; %bb.3281:
	v_cndmask_b32_e64 v167, v167, v177, s31
	v_cndmask_b32_e64 v2, v178, v165, s31
	s_mov_b32 s48, exec_lo
	v_cmpx_lt_u32_e64 v167, v1
	s_cbranch_execz .LBB691_3283
; %bb.3282:
	v_and_b32_e32 v1, 0xff, v2
	v_and_b32_e32 v167, 0xff, v68
	v_mul_lo_u16 v1, 0xcd, v1
	v_mul_lo_u16 v167, 0xcd, v167
	v_lshrrev_b16 v1, 11, v1
	v_lshrrev_b16 v167, 11, v167
	v_cmp_lt_u16_e64 s8, v1, v167
	v_cndmask_b32_e64 v2, v68, v2, s8
.LBB691_3283:
	s_or_b32 exec_lo, exec_lo, s48
	v_mov_b32_e32 v68, v2
.LBB691_3284:
	s_or_b32 exec_lo, exec_lo, s39
	v_cndmask_b32_e64 v1, v6, v3, s12
	v_cndmask_b32_sdwa v2, v7, v8, vcc_lo dst_sel:BYTE_1 dst_unused:UNUSED_PAD src0_sel:DWORD src1_sel:DWORD
	v_cndmask_b32_e64 v3, v9, v10, s13
	v_cndmask_b32_e64 v6, v11, v12, s57
	;; [unrolled: 1-line block ×8, first 2 shown]
	v_lshlrev_b16 v6, 8, v6
	v_lshlrev_b16 v8, 8, v8
	;; [unrolled: 1-line block ×3, first 2 shown]
	v_cndmask_b32_e64 v12, v81, v82, s60
	v_cndmask_b32_e64 v13, v85, v86, s62
	v_cndmask_b32_e64 v16, v99, v100, s75
	v_cndmask_b32_e64 v80, v115, v116, s79
	v_or_b32_sdwa v1, v1, v2 dst_sel:DWORD dst_unused:UNUSED_PAD src0_sel:BYTE_0 src1_sel:DWORD
	v_or_b32_sdwa v2, v3, v6 dst_sel:WORD_1 dst_unused:UNUSED_PAD src0_sel:BYTE_0 src1_sel:DWORD
	v_or_b32_sdwa v3, v7, v8 dst_sel:DWORD dst_unused:UNUSED_PAD src0_sel:BYTE_0 src1_sel:DWORD
	v_or_b32_sdwa v6, v9, v10 dst_sel:WORD_1 dst_unused:UNUSED_PAD src0_sel:BYTE_0 src1_sel:DWORD
	v_lshlrev_b16 v7, 8, v11
	v_lshlrev_b16 v8, 8, v14
	v_cndmask_b32_e64 v15, v97, v98, s72
	v_cndmask_b32_e64 v70, v103, v112, s77
	;; [unrolled: 1-line block ×5, first 2 shown]
	v_or_b32_sdwa v10, v1, v2 dst_sel:DWORD dst_unused:UNUSED_PAD src0_sel:WORD_0 src1_sel:DWORD
	v_or_b32_sdwa v11, v3, v6 dst_sel:DWORD dst_unused:UNUSED_PAD src0_sel:WORD_0 src1_sel:DWORD
	v_or_b32_sdwa v1, v12, v7 dst_sel:DWORD dst_unused:UNUSED_PAD src0_sel:BYTE_0 src1_sel:DWORD
	v_or_b32_sdwa v2, v13, v8 dst_sel:WORD_1 dst_unused:UNUSED_PAD src0_sel:BYTE_0 src1_sel:DWORD
	v_lshlrev_b16 v3, 8, v16
	v_lshlrev_b16 v7, 8, v80
	v_cndmask_b32_e64 v69, v101, v102, s74
	v_cndmask_b32_e64 v81, v117, v118, s78
	;; [unrolled: 1-line block ×6, first 2 shown]
	v_cndmask_b32_e64 v99, v161, v162, vcc_hi
	v_lshlrev_b16 v6, 8, v70
	v_lshlrev_b16 v8, 8, v82
	v_or_b32_sdwa v12, v1, v2 dst_sel:DWORD dst_unused:UNUSED_PAD src0_sel:WORD_0 src1_sel:DWORD
	v_or_b32_sdwa v1, v15, v3 dst_sel:DWORD dst_unused:UNUSED_PAD src0_sel:BYTE_0 src1_sel:DWORD
	v_or_b32_sdwa v3, v71, v7 dst_sel:DWORD dst_unused:UNUSED_PAD src0_sel:BYTE_0 src1_sel:DWORD
	v_lshlrev_b16 v7, 8, v100
	v_cndmask_b32_e64 v83, v129, v130, s88
	v_cndmask_b32_e64 v85, v133, v134, s90
	;; [unrolled: 1-line block ×5, first 2 shown]
	v_or_b32_sdwa v2, v69, v6 dst_sel:WORD_1 dst_unused:UNUSED_PAD src0_sel:BYTE_0 src1_sel:DWORD
	v_or_b32_sdwa v6, v81, v8 dst_sel:WORD_1 dst_unused:UNUSED_PAD src0_sel:BYTE_0 src1_sel:DWORD
	v_lshlrev_b16 v8, 8, v84
	v_lshlrev_b16 v13, 8, v86
	;; [unrolled: 1-line block ×4, first 2 shown]
	v_or_b32_sdwa v7, v99, v7 dst_sel:DWORD dst_unused:UNUSED_PAD src0_sel:BYTE_0 src1_sel:DWORD
	v_or_b32_sdwa v8, v83, v8 dst_sel:DWORD dst_unused:UNUSED_PAD src0_sel:BYTE_0 src1_sel:DWORD
	v_or_b32_sdwa v16, v85, v13 dst_sel:WORD_1 dst_unused:UNUSED_PAD src0_sel:BYTE_0 src1_sel:DWORD
	v_or_b32_sdwa v14, v87, v14 dst_sel:DWORD dst_unused:UNUSED_PAD src0_sel:BYTE_0 src1_sel:DWORD
	v_or_b32_sdwa v15, v97, v15 dst_sel:WORD_1 dst_unused:UNUSED_PAD src0_sel:BYTE_0 src1_sel:DWORD
	v_and_b32_e32 v69, 0xffff, v7
	v_perm_b32 v9, v9, v68, 0xc0c0004
	v_or_b32_sdwa v13, v1, v2 dst_sel:DWORD dst_unused:UNUSED_PAD src0_sel:WORD_0 src1_sel:DWORD
	v_or_b32_sdwa v6, v3, v6 dst_sel:DWORD dst_unused:UNUSED_PAD src0_sel:WORD_0 src1_sel:DWORD
	;; [unrolled: 1-line block ×4, first 2 shown]
	v_lshl_or_b32 v9, v9, 16, v69
.LBB691_3285:
	s_or_b32 exec_lo, exec_lo, s9
	s_movk_i32 s13, 0x200
	s_mov_b32 s9, exec_lo
	; wave barrier
	s_waitcnt lgkmcnt(0)
	s_barrier
	buffer_gl0_inv
	v_cmpx_lt_u32_e32 0x200, v0
	s_cbranch_execz .LBB691_3425
; %bb.3286:
	s_mov_b32 s12, 0
	s_branch .LBB691_3290
.LBB691_3287:                           ;   in Loop: Header=BB691_3290 Depth=1
	s_or_b32 exec_lo, exec_lo, s51
	v_mov_b32_e32 v166, v2
.LBB691_3288:                           ;   in Loop: Header=BB691_3290 Depth=1
	s_or_b32 exec_lo, exec_lo, s50
	v_cndmask_b32_e64 v1, v6, v3, s57
	v_cndmask_b32_sdwa v2, v7, v8, vcc_lo dst_sel:BYTE_1 dst_unused:UNUSED_PAD src0_sel:DWORD src1_sel:DWORD
	v_cndmask_b32_e64 v3, v9, v10, s58
	v_cndmask_b32_e64 v6, v11, v12, s60
	;; [unrolled: 1-line block ×8, first 2 shown]
	v_lshlrev_b16 v6, 8, v6
	v_lshlrev_b16 v8, 8, v8
	;; [unrolled: 1-line block ×3, first 2 shown]
	v_cndmask_b32_e64 v12, v80, v81, s63
	v_cndmask_b32_e64 v13, v84, v85, s73
	;; [unrolled: 1-line block ×4, first 2 shown]
	v_or_b32_sdwa v1, v1, v2 dst_sel:DWORD dst_unused:UNUSED_PAD src0_sel:BYTE_0 src1_sel:DWORD
	v_or_b32_sdwa v2, v3, v6 dst_sel:WORD_1 dst_unused:UNUSED_PAD src0_sel:BYTE_0 src1_sel:DWORD
	v_or_b32_sdwa v3, v7, v8 dst_sel:DWORD dst_unused:UNUSED_PAD src0_sel:BYTE_0 src1_sel:DWORD
	v_or_b32_sdwa v6, v9, v10 dst_sel:WORD_1 dst_unused:UNUSED_PAD src0_sel:BYTE_0 src1_sel:DWORD
	v_lshlrev_b16 v7, 8, v11
	v_lshlrev_b16 v8, 8, v14
	v_cndmask_b32_e64 v15, v96, v97, s75
	v_cndmask_b32_e64 v69, v102, v103, s88
	;; [unrolled: 1-line block ×5, first 2 shown]
	v_or_b32_sdwa v10, v1, v2 dst_sel:DWORD dst_unused:UNUSED_PAD src0_sel:WORD_0 src1_sel:DWORD
	v_or_b32_sdwa v11, v3, v6 dst_sel:DWORD dst_unused:UNUSED_PAD src0_sel:WORD_0 src1_sel:DWORD
	v_or_b32_sdwa v1, v12, v7 dst_sel:DWORD dst_unused:UNUSED_PAD src0_sel:BYTE_0 src1_sel:DWORD
	v_or_b32_sdwa v2, v13, v8 dst_sel:WORD_1 dst_unused:UNUSED_PAD src0_sel:BYTE_0 src1_sel:DWORD
	v_lshlrev_b16 v3, 8, v16
	v_lshlrev_b16 v7, 8, v71
	v_cndmask_b32_e64 v68, v100, v101, s77
	v_cndmask_b32_e64 v80, v116, v117, s89
	;; [unrolled: 1-line block ×3, first 2 shown]
	v_cndmask_b32_e64 v85, v134, v135, vcc_hi
	v_cndmask_b32_e64 v87, v146, v147, s31
	v_cndmask_b32_e64 v97, v150, v151, s39
	;; [unrolled: 1-line block ×3, first 2 shown]
	v_lshlrev_b16 v6, 8, v69
	v_lshlrev_b16 v8, 8, v81
	v_or_b32_sdwa v12, v1, v2 dst_sel:DWORD dst_unused:UNUSED_PAD src0_sel:WORD_0 src1_sel:DWORD
	v_or_b32_sdwa v1, v15, v3 dst_sel:DWORD dst_unused:UNUSED_PAD src0_sel:BYTE_0 src1_sel:DWORD
	v_or_b32_sdwa v3, v70, v7 dst_sel:DWORD dst_unused:UNUSED_PAD src0_sel:BYTE_0 src1_sel:DWORD
	v_lshlrev_b16 v7, 8, v99
	v_cndmask_b32_e64 v82, v128, v129, s91
	v_cndmask_b32_e64 v84, v132, v133, s93
	;; [unrolled: 1-line block ×5, first 2 shown]
	v_or_b32_sdwa v2, v68, v6 dst_sel:WORD_1 dst_unused:UNUSED_PAD src0_sel:BYTE_0 src1_sel:DWORD
	v_or_b32_sdwa v6, v80, v8 dst_sel:WORD_1 dst_unused:UNUSED_PAD src0_sel:BYTE_0 src1_sel:DWORD
	v_lshlrev_b16 v8, 8, v83
	v_lshlrev_b16 v13, 8, v85
	;; [unrolled: 1-line block ×4, first 2 shown]
	v_or_b32_sdwa v7, v98, v7 dst_sel:DWORD dst_unused:UNUSED_PAD src0_sel:BYTE_0 src1_sel:DWORD
	v_or_b32_sdwa v8, v82, v8 dst_sel:DWORD dst_unused:UNUSED_PAD src0_sel:BYTE_0 src1_sel:DWORD
	v_or_b32_sdwa v16, v84, v13 dst_sel:WORD_1 dst_unused:UNUSED_PAD src0_sel:BYTE_0 src1_sel:DWORD
	v_or_b32_sdwa v14, v86, v14 dst_sel:DWORD dst_unused:UNUSED_PAD src0_sel:BYTE_0 src1_sel:DWORD
	v_or_b32_sdwa v15, v96, v15 dst_sel:WORD_1 dst_unused:UNUSED_PAD src0_sel:BYTE_0 src1_sel:DWORD
	v_and_b32_e32 v68, 0xffff, v7
	v_perm_b32 v9, v9, v166, 0xc0c0004
	v_or_b32_sdwa v13, v1, v2 dst_sel:DWORD dst_unused:UNUSED_PAD src0_sel:WORD_0 src1_sel:DWORD
	v_or_b32_sdwa v6, v3, v6 dst_sel:DWORD dst_unused:UNUSED_PAD src0_sel:WORD_0 src1_sel:DWORD
	;; [unrolled: 1-line block ×4, first 2 shown]
	v_lshl_or_b32 v9, v9, 16, v68
.LBB691_3289:                           ;   in Loop: Header=BB691_3290 Depth=1
	s_or_b32 exec_lo, exec_lo, s56
	v_cmp_ge_u32_e32 vcc_lo, s13, v0
	s_barrier
	buffer_gl0_inv
	s_or_b32 s12, vcc_lo, s12
	s_andn2_b32 exec_lo, exec_lo, s12
	s_cbranch_execz .LBB691_3424
.LBB691_3290:                           ; =>This Loop Header: Depth=1
                                        ;     Child Loop BB691_3292 Depth 2
	s_mov_b32 s8, s13
	s_lshl_b32 s13, s13, 1
	ds_write_b128 v18, v[10:13]
	ds_write_b128 v18, v[6:9] offset:16
	s_sub_i32 s56, 0, s13
	s_waitcnt lgkmcnt(0)
	v_and_b32_e32 v3, s56, v18
	s_barrier
	buffer_gl0_inv
	v_add_nc_u32_e32 v1, s8, v3
	v_min_u32_e32 v1, v1, v0
	v_add_nc_u32_e32 v2, s8, v1
	s_add_i32 s8, s13, -1
	v_sub_nc_u32_e32 v16, v1, v3
	v_and_b32_e32 v14, s8, v18
	s_mov_b32 s8, exec_lo
	v_min_u32_e32 v2, v2, v0
	v_min_u32_e32 v14, v14, v0
	v_sub_nc_u32_e32 v15, v2, v1
	v_min_u32_e32 v16, v14, v16
	v_sub_nc_u32_e64 v15, v14, v15 clamp
	v_cmpx_lt_u32_e64 v15, v16
	s_cbranch_execz .LBB691_3294
; %bb.3291:                             ;   in Loop: Header=BB691_3290 Depth=1
	v_add_nc_u32_e32 v68, v1, v14
	s_mov_b32 s56, 0
	.p2align	6
.LBB691_3292:                           ;   Parent Loop BB691_3290 Depth=1
                                        ; =>  This Inner Loop Header: Depth=2
	v_add_nc_u32_e32 v69, v16, v15
	v_lshrrev_b32_e32 v69, 1, v69
	v_xad_u32 v70, v69, -1, v68
	v_add_nc_u32_e32 v71, v3, v69
	v_add_nc_u32_e32 v80, 1, v69
	ds_read_u8 v70, v70
	ds_read_u8 v71, v71
	s_waitcnt lgkmcnt(1)
	v_mul_lo_u16 v70, 0xcd, v70
	s_waitcnt lgkmcnt(0)
	v_mul_lo_u16 v71, 0xcd, v71
	v_lshrrev_b16 v70, 11, v70
	v_lshrrev_b16 v71, 11, v71
	v_cmp_lt_u16_e32 vcc_lo, v70, v71
	v_cndmask_b32_e32 v16, v16, v69, vcc_lo
	v_cndmask_b32_e32 v15, v80, v15, vcc_lo
	v_cmp_ge_u32_e32 vcc_lo, v15, v16
	s_or_b32 s56, vcc_lo, s56
	s_andn2_b32 exec_lo, exec_lo, s56
	s_cbranch_execnz .LBB691_3292
; %bb.3293:                             ;   in Loop: Header=BB691_3290 Depth=1
	s_or_b32 exec_lo, exec_lo, s56
.LBB691_3294:                           ;   in Loop: Header=BB691_3290 Depth=1
	s_or_b32 exec_lo, exec_lo, s8
	v_sub_nc_u32_e32 v16, v14, v15
	v_add_nc_u32_e32 v14, v15, v3
	v_add_nc_u32_e32 v15, v16, v1
	v_cmp_le_u32_e32 vcc_lo, v14, v1
	v_cmp_le_u32_e64 s8, v15, v2
	s_or_b32 s8, vcc_lo, s8
	s_and_saveexec_b32 s56, s8
	s_cbranch_execz .LBB691_3289
; %bb.3295:                             ;   in Loop: Header=BB691_3290 Depth=1
	s_mov_b32 s57, exec_lo
	v_cmp_ge_u32_e32 vcc_lo, v14, v1
                                        ; implicit-def: $vgpr3
	v_cmpx_lt_u32_e64 v14, v1
; %bb.3296:                             ;   in Loop: Header=BB691_3290 Depth=1
	ds_read_u8 v3, v14
; %bb.3297:                             ;   in Loop: Header=BB691_3290 Depth=1
	s_or_b32 exec_lo, exec_lo, s57
	v_cmp_ge_u32_e64 s57, v15, v2
	s_mov_b32 s58, exec_lo
                                        ; implicit-def: $vgpr6
	v_cmpx_lt_u32_e64 v15, v2
; %bb.3298:                             ;   in Loop: Header=BB691_3290 Depth=1
	ds_read_u8 v6, v15
; %bb.3299:                             ;   in Loop: Header=BB691_3290 Depth=1
	s_or_b32 exec_lo, exec_lo, s58
	s_nor_b32 s58, vcc_lo, s57
	s_and_saveexec_b32 s8, s58
	s_cbranch_execz .LBB691_3301
; %bb.3300:                             ;   in Loop: Header=BB691_3290 Depth=1
	s_waitcnt lgkmcnt(0)
	v_and_b32_e32 v7, 0xff, v6
	v_and_b32_e32 v8, 0xff, v3
	s_andn2_b32 s57, s57, exec_lo
	v_mul_lo_u16 v7, 0xcd, v7
	v_mul_lo_u16 v8, 0xcd, v8
	v_lshrrev_b16 v7, 11, v7
	v_lshrrev_b16 v8, 11, v8
	v_cmp_ge_u16_e32 vcc_lo, v7, v8
	s_and_b32 s58, vcc_lo, exec_lo
	s_or_b32 s57, s57, s58
.LBB691_3301:                           ;   in Loop: Header=BB691_3290 Depth=1
	s_or_b32 exec_lo, exec_lo, s8
	v_cndmask_b32_e64 v7, v15, v14, s57
	v_cndmask_b32_e64 v8, v2, v1, s57
	s_mov_b32 s58, -1
	s_mov_b32 vcc_lo, -1
	s_mov_b32 s59, exec_lo
	v_add_nc_u32_e32 v7, 1, v7
	v_add_nc_u32_e32 v8, -1, v8
	v_cndmask_b32_e64 v9, v7, v15, s57
	v_min_u32_e32 v8, v7, v8
	v_cndmask_b32_e64 v10, v14, v7, s57
	ds_read_u8 v8, v8
	s_waitcnt lgkmcnt(0)
	v_cndmask_b32_e64 v7, v8, v6, s57
	v_cndmask_b32_e64 v8, v3, v8, s57
	v_cmpx_lt_u32_e64 v9, v2
	s_cbranch_execz .LBB691_3305
; %bb.3302:                             ;   in Loop: Header=BB691_3290 Depth=1
	s_mov_b32 s60, 0
	s_mov_b32 s8, exec_lo
	v_cmpx_lt_u32_e64 v10, v1
	s_cbranch_execz .LBB691_3304
; %bb.3303:                             ;   in Loop: Header=BB691_3290 Depth=1
	v_and_b32_e32 v11, 0xff, v7
	v_and_b32_e32 v12, 0xff, v8
	v_mul_lo_u16 v11, 0xcd, v11
	v_mul_lo_u16 v12, 0xcd, v12
	v_lshrrev_b16 v11, 11, v11
	v_lshrrev_b16 v12, 11, v12
	v_cmp_ge_u16_e32 vcc_lo, v11, v12
	s_and_b32 s60, vcc_lo, exec_lo
.LBB691_3304:                           ;   in Loop: Header=BB691_3290 Depth=1
	s_or_b32 exec_lo, exec_lo, s8
	s_orn2_b32 vcc_lo, s60, exec_lo
.LBB691_3305:                           ;   in Loop: Header=BB691_3290 Depth=1
	s_or_b32 exec_lo, exec_lo, s59
	v_cndmask_b32_e32 v11, v9, v10, vcc_lo
	v_cndmask_b32_e32 v12, v2, v1, vcc_lo
	s_mov_b32 s59, exec_lo
	v_add_nc_u32_e32 v13, 1, v11
	v_add_nc_u32_e32 v11, -1, v12
	v_cndmask_b32_e32 v12, v10, v13, vcc_lo
	v_min_u32_e32 v11, v13, v11
	ds_read_u8 v14, v11
	v_cndmask_b32_e32 v11, v13, v9, vcc_lo
	s_waitcnt lgkmcnt(0)
	v_cndmask_b32_e32 v9, v14, v7, vcc_lo
	v_cndmask_b32_e32 v10, v8, v14, vcc_lo
	v_cmpx_lt_u32_e64 v11, v2
	s_cbranch_execz .LBB691_3309
; %bb.3306:                             ;   in Loop: Header=BB691_3290 Depth=1
	s_mov_b32 s60, 0
	s_mov_b32 s58, exec_lo
	v_cmpx_lt_u32_e64 v12, v1
	s_cbranch_execz .LBB691_3308
; %bb.3307:                             ;   in Loop: Header=BB691_3290 Depth=1
	v_and_b32_e32 v13, 0xff, v9
	v_and_b32_e32 v14, 0xff, v10
	v_mul_lo_u16 v13, 0xcd, v13
	v_mul_lo_u16 v14, 0xcd, v14
	v_lshrrev_b16 v13, 11, v13
	v_lshrrev_b16 v14, 11, v14
	v_cmp_ge_u16_e64 s8, v13, v14
	s_and_b32 s60, s8, exec_lo
.LBB691_3308:                           ;   in Loop: Header=BB691_3290 Depth=1
	s_or_b32 exec_lo, exec_lo, s58
	s_orn2_b32 s58, s60, exec_lo
.LBB691_3309:                           ;   in Loop: Header=BB691_3290 Depth=1
	s_or_b32 exec_lo, exec_lo, s59
	v_cndmask_b32_e64 v13, v11, v12, s58
	v_cndmask_b32_e64 v14, v2, v1, s58
	s_mov_b32 s59, -1
	s_mov_b32 s60, -1
	s_mov_b32 s61, exec_lo
	v_add_nc_u32_e32 v15, 1, v13
	v_add_nc_u32_e32 v13, -1, v14
	v_cndmask_b32_e64 v14, v12, v15, s58
	v_min_u32_e32 v13, v15, v13
	ds_read_u8 v16, v13
	v_cndmask_b32_e64 v13, v15, v11, s58
	s_waitcnt lgkmcnt(0)
	v_cndmask_b32_e64 v11, v16, v9, s58
	v_cndmask_b32_e64 v12, v10, v16, s58
	v_cmpx_lt_u32_e64 v13, v2
	s_cbranch_execz .LBB691_3313
; %bb.3310:                             ;   in Loop: Header=BB691_3290 Depth=1
	s_mov_b32 s62, 0
	s_mov_b32 s60, exec_lo
	v_cmpx_lt_u32_e64 v14, v1
	s_cbranch_execz .LBB691_3312
; %bb.3311:                             ;   in Loop: Header=BB691_3290 Depth=1
	v_and_b32_e32 v15, 0xff, v11
	v_and_b32_e32 v16, 0xff, v12
	v_mul_lo_u16 v15, 0xcd, v15
	v_mul_lo_u16 v16, 0xcd, v16
	v_lshrrev_b16 v15, 11, v15
	v_lshrrev_b16 v16, 11, v16
	v_cmp_ge_u16_e64 s8, v15, v16
	s_and_b32 s62, s8, exec_lo
.LBB691_3312:                           ;   in Loop: Header=BB691_3290 Depth=1
	s_or_b32 exec_lo, exec_lo, s60
	s_orn2_b32 s60, s62, exec_lo
.LBB691_3313:                           ;   in Loop: Header=BB691_3290 Depth=1
	s_or_b32 exec_lo, exec_lo, s61
	v_cndmask_b32_e64 v15, v13, v14, s60
	v_cndmask_b32_e64 v16, v2, v1, s60
	s_mov_b32 s61, exec_lo
	v_add_nc_u32_e32 v68, 1, v15
	v_add_nc_u32_e32 v15, -1, v16
	v_cndmask_b32_e64 v16, v14, v68, s60
	v_min_u32_e32 v15, v68, v15
	ds_read_u8 v69, v15
	v_cndmask_b32_e64 v15, v68, v13, s60
	s_waitcnt lgkmcnt(0)
	v_cndmask_b32_e64 v13, v69, v11, s60
	v_cndmask_b32_e64 v14, v12, v69, s60
	v_cmpx_lt_u32_e64 v15, v2
	s_cbranch_execz .LBB691_3317
; %bb.3314:                             ;   in Loop: Header=BB691_3290 Depth=1
	s_mov_b32 s62, 0
	s_mov_b32 s59, exec_lo
	v_cmpx_lt_u32_e64 v16, v1
	s_cbranch_execz .LBB691_3316
; %bb.3315:                             ;   in Loop: Header=BB691_3290 Depth=1
	v_and_b32_e32 v68, 0xff, v13
	v_and_b32_e32 v69, 0xff, v14
	v_mul_lo_u16 v68, 0xcd, v68
	v_mul_lo_u16 v69, 0xcd, v69
	v_lshrrev_b16 v68, 11, v68
	v_lshrrev_b16 v69, 11, v69
	v_cmp_ge_u16_e64 s8, v68, v69
	s_and_b32 s62, s8, exec_lo
.LBB691_3316:                           ;   in Loop: Header=BB691_3290 Depth=1
	s_or_b32 exec_lo, exec_lo, s59
	s_orn2_b32 s59, s62, exec_lo
.LBB691_3317:                           ;   in Loop: Header=BB691_3290 Depth=1
	s_or_b32 exec_lo, exec_lo, s61
	v_cndmask_b32_e64 v68, v15, v16, s59
	v_cndmask_b32_e64 v69, v2, v1, s59
	s_mov_b32 s61, -1
	s_mov_b32 s62, -1
	s_mov_b32 s63, exec_lo
	v_add_nc_u32_e32 v70, 1, v68
	v_add_nc_u32_e32 v68, -1, v69
	v_cndmask_b32_e64 v69, v16, v70, s59
	v_min_u32_e32 v68, v70, v68
	ds_read_u8 v71, v68
	v_cndmask_b32_e64 v68, v70, v15, s59
	s_waitcnt lgkmcnt(0)
	v_cndmask_b32_e64 v15, v71, v13, s59
	v_cndmask_b32_e64 v16, v14, v71, s59
	v_cmpx_lt_u32_e64 v68, v2
	s_cbranch_execz .LBB691_3321
; %bb.3318:                             ;   in Loop: Header=BB691_3290 Depth=1
	s_mov_b32 s72, 0
	s_mov_b32 s62, exec_lo
	v_cmpx_lt_u32_e64 v69, v1
	s_cbranch_execz .LBB691_3320
; %bb.3319:                             ;   in Loop: Header=BB691_3290 Depth=1
	v_and_b32_e32 v70, 0xff, v15
	v_and_b32_e32 v71, 0xff, v16
	v_mul_lo_u16 v70, 0xcd, v70
	v_mul_lo_u16 v71, 0xcd, v71
	v_lshrrev_b16 v70, 11, v70
	v_lshrrev_b16 v71, 11, v71
	v_cmp_ge_u16_e64 s8, v70, v71
	s_and_b32 s72, s8, exec_lo
.LBB691_3320:                           ;   in Loop: Header=BB691_3290 Depth=1
	s_or_b32 exec_lo, exec_lo, s62
	s_orn2_b32 s62, s72, exec_lo
.LBB691_3321:                           ;   in Loop: Header=BB691_3290 Depth=1
	s_or_b32 exec_lo, exec_lo, s63
	v_cndmask_b32_e64 v70, v68, v69, s62
	v_cndmask_b32_e64 v71, v2, v1, s62
	s_mov_b32 s63, exec_lo
	v_add_nc_u32_e32 v80, 1, v70
	v_add_nc_u32_e32 v70, -1, v71
	v_cndmask_b32_e64 v71, v69, v80, s62
	v_min_u32_e32 v70, v80, v70
	ds_read_u8 v81, v70
	v_cndmask_b32_e64 v70, v80, v68, s62
	s_waitcnt lgkmcnt(0)
	v_cndmask_b32_e64 v68, v81, v15, s62
	v_cndmask_b32_e64 v69, v16, v81, s62
	v_cmpx_lt_u32_e64 v70, v2
	s_cbranch_execz .LBB691_3325
; %bb.3322:                             ;   in Loop: Header=BB691_3290 Depth=1
	s_mov_b32 s72, 0
	s_mov_b32 s61, exec_lo
	v_cmpx_lt_u32_e64 v71, v1
	s_cbranch_execz .LBB691_3324
; %bb.3323:                             ;   in Loop: Header=BB691_3290 Depth=1
	v_and_b32_e32 v80, 0xff, v68
	v_and_b32_e32 v81, 0xff, v69
	v_mul_lo_u16 v80, 0xcd, v80
	v_mul_lo_u16 v81, 0xcd, v81
	v_lshrrev_b16 v80, 11, v80
	v_lshrrev_b16 v81, 11, v81
	v_cmp_ge_u16_e64 s8, v80, v81
	s_and_b32 s72, s8, exec_lo
.LBB691_3324:                           ;   in Loop: Header=BB691_3290 Depth=1
	s_or_b32 exec_lo, exec_lo, s61
	s_orn2_b32 s61, s72, exec_lo
.LBB691_3325:                           ;   in Loop: Header=BB691_3290 Depth=1
	s_or_b32 exec_lo, exec_lo, s63
	v_cndmask_b32_e64 v80, v70, v71, s61
	v_cndmask_b32_e64 v81, v2, v1, s61
	s_mov_b32 s63, -1
	s_mov_b32 s72, -1
	s_mov_b32 s73, exec_lo
	v_add_nc_u32_e32 v82, 1, v80
	v_add_nc_u32_e32 v80, -1, v81
	v_cndmask_b32_e64 v81, v71, v82, s61
	v_min_u32_e32 v80, v82, v80
	ds_read_u8 v83, v80
	v_cndmask_b32_e64 v80, v82, v70, s61
	s_waitcnt lgkmcnt(0)
	v_cndmask_b32_e64 v70, v83, v68, s61
	v_cndmask_b32_e64 v71, v69, v83, s61
	v_cmpx_lt_u32_e64 v80, v2
	s_cbranch_execz .LBB691_3329
; %bb.3326:                             ;   in Loop: Header=BB691_3290 Depth=1
	s_mov_b32 s74, 0
	s_mov_b32 s72, exec_lo
	v_cmpx_lt_u32_e64 v81, v1
	s_cbranch_execz .LBB691_3328
; %bb.3327:                             ;   in Loop: Header=BB691_3290 Depth=1
	v_and_b32_e32 v82, 0xff, v70
	v_and_b32_e32 v83, 0xff, v71
	v_mul_lo_u16 v82, 0xcd, v82
	v_mul_lo_u16 v83, 0xcd, v83
	v_lshrrev_b16 v82, 11, v82
	v_lshrrev_b16 v83, 11, v83
	v_cmp_ge_u16_e64 s8, v82, v83
	s_and_b32 s74, s8, exec_lo
.LBB691_3328:                           ;   in Loop: Header=BB691_3290 Depth=1
	s_or_b32 exec_lo, exec_lo, s72
	s_orn2_b32 s72, s74, exec_lo
.LBB691_3329:                           ;   in Loop: Header=BB691_3290 Depth=1
	s_or_b32 exec_lo, exec_lo, s73
	v_cndmask_b32_e64 v82, v80, v81, s72
	v_cndmask_b32_e64 v83, v2, v1, s72
	s_mov_b32 s73, exec_lo
	v_add_nc_u32_e32 v84, 1, v82
	v_add_nc_u32_e32 v82, -1, v83
	v_cndmask_b32_e64 v83, v81, v84, s72
	v_min_u32_e32 v82, v84, v82
	ds_read_u8 v85, v82
	v_cndmask_b32_e64 v82, v84, v80, s72
	s_waitcnt lgkmcnt(0)
	v_cndmask_b32_e64 v80, v85, v70, s72
	v_cndmask_b32_e64 v81, v71, v85, s72
	v_cmpx_lt_u32_e64 v82, v2
	s_cbranch_execz .LBB691_3333
; %bb.3330:                             ;   in Loop: Header=BB691_3290 Depth=1
	s_mov_b32 s74, 0
	s_mov_b32 s63, exec_lo
	v_cmpx_lt_u32_e64 v83, v1
	s_cbranch_execz .LBB691_3332
; %bb.3331:                             ;   in Loop: Header=BB691_3290 Depth=1
	v_and_b32_e32 v84, 0xff, v80
	v_and_b32_e32 v85, 0xff, v81
	v_mul_lo_u16 v84, 0xcd, v84
	v_mul_lo_u16 v85, 0xcd, v85
	v_lshrrev_b16 v84, 11, v84
	v_lshrrev_b16 v85, 11, v85
	v_cmp_ge_u16_e64 s8, v84, v85
	s_and_b32 s74, s8, exec_lo
.LBB691_3332:                           ;   in Loop: Header=BB691_3290 Depth=1
	s_or_b32 exec_lo, exec_lo, s63
	s_orn2_b32 s63, s74, exec_lo
.LBB691_3333:                           ;   in Loop: Header=BB691_3290 Depth=1
	s_or_b32 exec_lo, exec_lo, s73
	v_cndmask_b32_e64 v84, v82, v83, s63
	v_cndmask_b32_e64 v85, v2, v1, s63
	s_mov_b32 s73, -1
	s_mov_b32 s74, -1
	s_mov_b32 s75, exec_lo
	v_add_nc_u32_e32 v86, 1, v84
	v_add_nc_u32_e32 v84, -1, v85
	v_cndmask_b32_e64 v85, v83, v86, s63
	v_min_u32_e32 v84, v86, v84
	ds_read_u8 v87, v84
	v_cndmask_b32_e64 v84, v86, v82, s63
	s_waitcnt lgkmcnt(0)
	v_cndmask_b32_e64 v82, v87, v80, s63
	v_cndmask_b32_e64 v83, v81, v87, s63
	v_cmpx_lt_u32_e64 v84, v2
	s_cbranch_execz .LBB691_3337
; %bb.3334:                             ;   in Loop: Header=BB691_3290 Depth=1
	s_mov_b32 s76, 0
	s_mov_b32 s74, exec_lo
	v_cmpx_lt_u32_e64 v85, v1
	s_cbranch_execz .LBB691_3336
; %bb.3335:                             ;   in Loop: Header=BB691_3290 Depth=1
	v_and_b32_e32 v86, 0xff, v82
	v_and_b32_e32 v87, 0xff, v83
	v_mul_lo_u16 v86, 0xcd, v86
	v_mul_lo_u16 v87, 0xcd, v87
	v_lshrrev_b16 v86, 11, v86
	v_lshrrev_b16 v87, 11, v87
	v_cmp_ge_u16_e64 s8, v86, v87
	s_and_b32 s76, s8, exec_lo
.LBB691_3336:                           ;   in Loop: Header=BB691_3290 Depth=1
	s_or_b32 exec_lo, exec_lo, s74
	s_orn2_b32 s74, s76, exec_lo
.LBB691_3337:                           ;   in Loop: Header=BB691_3290 Depth=1
	s_or_b32 exec_lo, exec_lo, s75
	v_cndmask_b32_e64 v86, v84, v85, s74
	v_cndmask_b32_e64 v87, v2, v1, s74
	s_mov_b32 s75, exec_lo
	v_add_nc_u32_e32 v96, 1, v86
	v_add_nc_u32_e32 v86, -1, v87
	v_cndmask_b32_e64 v87, v85, v96, s74
	v_min_u32_e32 v86, v96, v86
	ds_read_u8 v97, v86
	v_cndmask_b32_e64 v86, v96, v84, s74
	s_waitcnt lgkmcnt(0)
	v_cndmask_b32_e64 v84, v97, v82, s74
	v_cndmask_b32_e64 v85, v83, v97, s74
	v_cmpx_lt_u32_e64 v86, v2
	s_cbranch_execz .LBB691_3341
; %bb.3338:                             ;   in Loop: Header=BB691_3290 Depth=1
	s_mov_b32 s76, 0
	s_mov_b32 s73, exec_lo
	v_cmpx_lt_u32_e64 v87, v1
	s_cbranch_execz .LBB691_3340
; %bb.3339:                             ;   in Loop: Header=BB691_3290 Depth=1
	v_and_b32_e32 v96, 0xff, v84
	v_and_b32_e32 v97, 0xff, v85
	v_mul_lo_u16 v96, 0xcd, v96
	v_mul_lo_u16 v97, 0xcd, v97
	v_lshrrev_b16 v96, 11, v96
	v_lshrrev_b16 v97, 11, v97
	v_cmp_ge_u16_e64 s8, v96, v97
	s_and_b32 s76, s8, exec_lo
.LBB691_3340:                           ;   in Loop: Header=BB691_3290 Depth=1
	s_or_b32 exec_lo, exec_lo, s73
	s_orn2_b32 s73, s76, exec_lo
.LBB691_3341:                           ;   in Loop: Header=BB691_3290 Depth=1
	s_or_b32 exec_lo, exec_lo, s75
	v_cndmask_b32_e64 v96, v86, v87, s73
	v_cndmask_b32_e64 v97, v2, v1, s73
	s_mov_b32 s75, -1
	s_mov_b32 s76, -1
	s_mov_b32 s77, exec_lo
	v_add_nc_u32_e32 v98, 1, v96
	v_add_nc_u32_e32 v96, -1, v97
	v_cndmask_b32_e64 v97, v87, v98, s73
	v_min_u32_e32 v96, v98, v96
	ds_read_u8 v99, v96
	v_cndmask_b32_e64 v96, v98, v86, s73
	s_waitcnt lgkmcnt(0)
	v_cndmask_b32_e64 v86, v99, v84, s73
	v_cndmask_b32_e64 v87, v85, v99, s73
	v_cmpx_lt_u32_e64 v96, v2
	s_cbranch_execz .LBB691_3345
; %bb.3342:                             ;   in Loop: Header=BB691_3290 Depth=1
	s_mov_b32 s78, 0
	s_mov_b32 s76, exec_lo
	v_cmpx_lt_u32_e64 v97, v1
	s_cbranch_execz .LBB691_3344
; %bb.3343:                             ;   in Loop: Header=BB691_3290 Depth=1
	v_and_b32_e32 v98, 0xff, v86
	v_and_b32_e32 v99, 0xff, v87
	v_mul_lo_u16 v98, 0xcd, v98
	v_mul_lo_u16 v99, 0xcd, v99
	v_lshrrev_b16 v98, 11, v98
	v_lshrrev_b16 v99, 11, v99
	v_cmp_ge_u16_e64 s8, v98, v99
	s_and_b32 s78, s8, exec_lo
.LBB691_3344:                           ;   in Loop: Header=BB691_3290 Depth=1
	s_or_b32 exec_lo, exec_lo, s76
	s_orn2_b32 s76, s78, exec_lo
.LBB691_3345:                           ;   in Loop: Header=BB691_3290 Depth=1
	s_or_b32 exec_lo, exec_lo, s77
	v_cndmask_b32_e64 v98, v96, v97, s76
	v_cndmask_b32_e64 v99, v2, v1, s76
	s_mov_b32 s77, exec_lo
	v_add_nc_u32_e32 v100, 1, v98
	v_add_nc_u32_e32 v98, -1, v99
	v_cndmask_b32_e64 v99, v97, v100, s76
	v_min_u32_e32 v98, v100, v98
	ds_read_u8 v101, v98
	v_cndmask_b32_e64 v98, v100, v96, s76
	s_waitcnt lgkmcnt(0)
	v_cndmask_b32_e64 v96, v101, v86, s76
	v_cndmask_b32_e64 v97, v87, v101, s76
	v_cmpx_lt_u32_e64 v98, v2
	s_cbranch_execz .LBB691_3349
; %bb.3346:                             ;   in Loop: Header=BB691_3290 Depth=1
	s_mov_b32 s78, 0
	s_mov_b32 s75, exec_lo
	v_cmpx_lt_u32_e64 v99, v1
	s_cbranch_execz .LBB691_3348
; %bb.3347:                             ;   in Loop: Header=BB691_3290 Depth=1
	v_and_b32_e32 v100, 0xff, v96
	v_and_b32_e32 v101, 0xff, v97
	v_mul_lo_u16 v100, 0xcd, v100
	v_mul_lo_u16 v101, 0xcd, v101
	v_lshrrev_b16 v100, 11, v100
	v_lshrrev_b16 v101, 11, v101
	v_cmp_ge_u16_e64 s8, v100, v101
	s_and_b32 s78, s8, exec_lo
.LBB691_3348:                           ;   in Loop: Header=BB691_3290 Depth=1
	s_or_b32 exec_lo, exec_lo, s75
	s_orn2_b32 s75, s78, exec_lo
.LBB691_3349:                           ;   in Loop: Header=BB691_3290 Depth=1
	s_or_b32 exec_lo, exec_lo, s77
	v_cndmask_b32_e64 v100, v98, v99, s75
	v_cndmask_b32_e64 v101, v2, v1, s75
	s_mov_b32 s77, -1
	s_mov_b32 s78, -1
	s_mov_b32 s79, exec_lo
	v_add_nc_u32_e32 v102, 1, v100
	v_add_nc_u32_e32 v100, -1, v101
	v_cndmask_b32_e64 v101, v99, v102, s75
	v_min_u32_e32 v100, v102, v100
	ds_read_u8 v103, v100
	v_cndmask_b32_e64 v100, v102, v98, s75
	s_waitcnt lgkmcnt(0)
	v_cndmask_b32_e64 v98, v103, v96, s75
	v_cndmask_b32_e64 v99, v97, v103, s75
	v_cmpx_lt_u32_e64 v100, v2
	s_cbranch_execz .LBB691_3353
; %bb.3350:                             ;   in Loop: Header=BB691_3290 Depth=1
	s_mov_b32 s88, 0
	s_mov_b32 s78, exec_lo
	v_cmpx_lt_u32_e64 v101, v1
	s_cbranch_execz .LBB691_3352
; %bb.3351:                             ;   in Loop: Header=BB691_3290 Depth=1
	v_and_b32_e32 v102, 0xff, v98
	v_and_b32_e32 v103, 0xff, v99
	v_mul_lo_u16 v102, 0xcd, v102
	v_mul_lo_u16 v103, 0xcd, v103
	v_lshrrev_b16 v102, 11, v102
	v_lshrrev_b16 v103, 11, v103
	v_cmp_ge_u16_e64 s8, v102, v103
	s_and_b32 s88, s8, exec_lo
.LBB691_3352:                           ;   in Loop: Header=BB691_3290 Depth=1
	s_or_b32 exec_lo, exec_lo, s78
	s_orn2_b32 s78, s88, exec_lo
.LBB691_3353:                           ;   in Loop: Header=BB691_3290 Depth=1
	s_or_b32 exec_lo, exec_lo, s79
	v_cndmask_b32_e64 v102, v100, v101, s78
	v_cndmask_b32_e64 v103, v2, v1, s78
	s_mov_b32 s79, exec_lo
	v_add_nc_u32_e32 v112, 1, v102
	v_add_nc_u32_e32 v102, -1, v103
	v_cndmask_b32_e64 v103, v101, v112, s78
	v_min_u32_e32 v102, v112, v102
	ds_read_u8 v113, v102
	v_cndmask_b32_e64 v102, v112, v100, s78
	s_waitcnt lgkmcnt(0)
	v_cndmask_b32_e64 v100, v113, v98, s78
	v_cndmask_b32_e64 v101, v99, v113, s78
	v_cmpx_lt_u32_e64 v102, v2
	s_cbranch_execz .LBB691_3357
; %bb.3354:                             ;   in Loop: Header=BB691_3290 Depth=1
	s_mov_b32 s88, 0
	s_mov_b32 s77, exec_lo
	v_cmpx_lt_u32_e64 v103, v1
	s_cbranch_execz .LBB691_3356
; %bb.3355:                             ;   in Loop: Header=BB691_3290 Depth=1
	v_and_b32_e32 v112, 0xff, v100
	v_and_b32_e32 v113, 0xff, v101
	v_mul_lo_u16 v112, 0xcd, v112
	v_mul_lo_u16 v113, 0xcd, v113
	v_lshrrev_b16 v112, 11, v112
	v_lshrrev_b16 v113, 11, v113
	v_cmp_ge_u16_e64 s8, v112, v113
	s_and_b32 s88, s8, exec_lo
.LBB691_3356:                           ;   in Loop: Header=BB691_3290 Depth=1
	s_or_b32 exec_lo, exec_lo, s77
	s_orn2_b32 s77, s88, exec_lo
.LBB691_3357:                           ;   in Loop: Header=BB691_3290 Depth=1
	s_or_b32 exec_lo, exec_lo, s79
	v_cndmask_b32_e64 v112, v102, v103, s77
	v_cndmask_b32_e64 v113, v2, v1, s77
	s_mov_b32 s79, -1
	s_mov_b32 s88, -1
	s_mov_b32 s89, exec_lo
	v_add_nc_u32_e32 v114, 1, v112
	v_add_nc_u32_e32 v112, -1, v113
	v_cndmask_b32_e64 v113, v103, v114, s77
	v_min_u32_e32 v112, v114, v112
	ds_read_u8 v115, v112
	v_cndmask_b32_e64 v112, v114, v102, s77
	s_waitcnt lgkmcnt(0)
	v_cndmask_b32_e64 v102, v115, v100, s77
	v_cndmask_b32_e64 v103, v101, v115, s77
	v_cmpx_lt_u32_e64 v112, v2
	s_cbranch_execz .LBB691_3361
; %bb.3358:                             ;   in Loop: Header=BB691_3290 Depth=1
	s_mov_b32 s90, 0
	s_mov_b32 s88, exec_lo
	v_cmpx_lt_u32_e64 v113, v1
	s_cbranch_execz .LBB691_3360
; %bb.3359:                             ;   in Loop: Header=BB691_3290 Depth=1
	v_and_b32_e32 v114, 0xff, v102
	v_and_b32_e32 v115, 0xff, v103
	v_mul_lo_u16 v114, 0xcd, v114
	v_mul_lo_u16 v115, 0xcd, v115
	v_lshrrev_b16 v114, 11, v114
	v_lshrrev_b16 v115, 11, v115
	v_cmp_ge_u16_e64 s8, v114, v115
	s_and_b32 s90, s8, exec_lo
.LBB691_3360:                           ;   in Loop: Header=BB691_3290 Depth=1
	s_or_b32 exec_lo, exec_lo, s88
	s_orn2_b32 s88, s90, exec_lo
.LBB691_3361:                           ;   in Loop: Header=BB691_3290 Depth=1
	s_or_b32 exec_lo, exec_lo, s89
	v_cndmask_b32_e64 v114, v112, v113, s88
	v_cndmask_b32_e64 v115, v2, v1, s88
	s_mov_b32 s89, exec_lo
	v_add_nc_u32_e32 v116, 1, v114
	v_add_nc_u32_e32 v114, -1, v115
	v_cndmask_b32_e64 v115, v113, v116, s88
	v_min_u32_e32 v114, v116, v114
	ds_read_u8 v117, v114
	v_cndmask_b32_e64 v114, v116, v112, s88
	s_waitcnt lgkmcnt(0)
	v_cndmask_b32_e64 v112, v117, v102, s88
	v_cndmask_b32_e64 v113, v103, v117, s88
	v_cmpx_lt_u32_e64 v114, v2
	s_cbranch_execz .LBB691_3365
; %bb.3362:                             ;   in Loop: Header=BB691_3290 Depth=1
	s_mov_b32 s90, 0
	s_mov_b32 s79, exec_lo
	v_cmpx_lt_u32_e64 v115, v1
	s_cbranch_execz .LBB691_3364
; %bb.3363:                             ;   in Loop: Header=BB691_3290 Depth=1
	v_and_b32_e32 v116, 0xff, v112
	v_and_b32_e32 v117, 0xff, v113
	v_mul_lo_u16 v116, 0xcd, v116
	v_mul_lo_u16 v117, 0xcd, v117
	v_lshrrev_b16 v116, 11, v116
	v_lshrrev_b16 v117, 11, v117
	v_cmp_ge_u16_e64 s8, v116, v117
	s_and_b32 s90, s8, exec_lo
.LBB691_3364:                           ;   in Loop: Header=BB691_3290 Depth=1
	s_or_b32 exec_lo, exec_lo, s79
	s_orn2_b32 s79, s90, exec_lo
.LBB691_3365:                           ;   in Loop: Header=BB691_3290 Depth=1
	s_or_b32 exec_lo, exec_lo, s89
	v_cndmask_b32_e64 v116, v114, v115, s79
	v_cndmask_b32_e64 v117, v2, v1, s79
	s_mov_b32 s89, -1
	s_mov_b32 s90, -1
	s_mov_b32 s91, exec_lo
	v_add_nc_u32_e32 v118, 1, v116
	v_add_nc_u32_e32 v116, -1, v117
	v_cndmask_b32_e64 v117, v115, v118, s79
	v_min_u32_e32 v116, v118, v116
	ds_read_u8 v119, v116
	v_cndmask_b32_e64 v116, v118, v114, s79
	s_waitcnt lgkmcnt(0)
	v_cndmask_b32_e64 v114, v119, v112, s79
	v_cndmask_b32_e64 v115, v113, v119, s79
	v_cmpx_lt_u32_e64 v116, v2
	s_cbranch_execz .LBB691_3369
; %bb.3366:                             ;   in Loop: Header=BB691_3290 Depth=1
	s_mov_b32 s92, 0
	s_mov_b32 s90, exec_lo
	v_cmpx_lt_u32_e64 v117, v1
	s_cbranch_execz .LBB691_3368
; %bb.3367:                             ;   in Loop: Header=BB691_3290 Depth=1
	v_and_b32_e32 v118, 0xff, v114
	v_and_b32_e32 v119, 0xff, v115
	v_mul_lo_u16 v118, 0xcd, v118
	v_mul_lo_u16 v119, 0xcd, v119
	v_lshrrev_b16 v118, 11, v118
	v_lshrrev_b16 v119, 11, v119
	v_cmp_ge_u16_e64 s8, v118, v119
	s_and_b32 s92, s8, exec_lo
.LBB691_3368:                           ;   in Loop: Header=BB691_3290 Depth=1
	s_or_b32 exec_lo, exec_lo, s90
	s_orn2_b32 s90, s92, exec_lo
.LBB691_3369:                           ;   in Loop: Header=BB691_3290 Depth=1
	s_or_b32 exec_lo, exec_lo, s91
	v_cndmask_b32_e64 v118, v116, v117, s90
	v_cndmask_b32_e64 v119, v2, v1, s90
	s_mov_b32 s91, exec_lo
	v_add_nc_u32_e32 v128, 1, v118
	v_add_nc_u32_e32 v118, -1, v119
	v_cndmask_b32_e64 v119, v117, v128, s90
	v_min_u32_e32 v118, v128, v118
	ds_read_u8 v129, v118
	v_cndmask_b32_e64 v118, v128, v116, s90
	s_waitcnt lgkmcnt(0)
	v_cndmask_b32_e64 v116, v129, v114, s90
	v_cndmask_b32_e64 v117, v115, v129, s90
	v_cmpx_lt_u32_e64 v118, v2
	s_cbranch_execz .LBB691_3373
; %bb.3370:                             ;   in Loop: Header=BB691_3290 Depth=1
	s_mov_b32 s92, 0
	s_mov_b32 s89, exec_lo
	v_cmpx_lt_u32_e64 v119, v1
	s_cbranch_execz .LBB691_3372
; %bb.3371:                             ;   in Loop: Header=BB691_3290 Depth=1
	v_and_b32_e32 v128, 0xff, v116
	v_and_b32_e32 v129, 0xff, v117
	v_mul_lo_u16 v128, 0xcd, v128
	v_mul_lo_u16 v129, 0xcd, v129
	v_lshrrev_b16 v128, 11, v128
	v_lshrrev_b16 v129, 11, v129
	v_cmp_ge_u16_e64 s8, v128, v129
	s_and_b32 s92, s8, exec_lo
.LBB691_3372:                           ;   in Loop: Header=BB691_3290 Depth=1
	s_or_b32 exec_lo, exec_lo, s89
	s_orn2_b32 s89, s92, exec_lo
.LBB691_3373:                           ;   in Loop: Header=BB691_3290 Depth=1
	s_or_b32 exec_lo, exec_lo, s91
	v_cndmask_b32_e64 v128, v118, v119, s89
	v_cndmask_b32_e64 v129, v2, v1, s89
	s_mov_b32 s91, -1
	s_mov_b32 s92, -1
	s_mov_b32 s93, exec_lo
	v_add_nc_u32_e32 v130, 1, v128
	v_add_nc_u32_e32 v128, -1, v129
	v_cndmask_b32_e64 v129, v119, v130, s89
	v_min_u32_e32 v128, v130, v128
	ds_read_u8 v131, v128
	v_cndmask_b32_e64 v128, v130, v118, s89
	s_waitcnt lgkmcnt(0)
	v_cndmask_b32_e64 v118, v131, v116, s89
	v_cndmask_b32_e64 v119, v117, v131, s89
	v_cmpx_lt_u32_e64 v128, v2
	s_cbranch_execz .LBB691_3377
; %bb.3374:                             ;   in Loop: Header=BB691_3290 Depth=1
	s_mov_b32 s94, 0
	s_mov_b32 s92, exec_lo
	v_cmpx_lt_u32_e64 v129, v1
	s_cbranch_execz .LBB691_3376
; %bb.3375:                             ;   in Loop: Header=BB691_3290 Depth=1
	v_and_b32_e32 v130, 0xff, v118
	v_and_b32_e32 v131, 0xff, v119
	v_mul_lo_u16 v130, 0xcd, v130
	v_mul_lo_u16 v131, 0xcd, v131
	v_lshrrev_b16 v130, 11, v130
	v_lshrrev_b16 v131, 11, v131
	v_cmp_ge_u16_e64 s8, v130, v131
	s_and_b32 s94, s8, exec_lo
.LBB691_3376:                           ;   in Loop: Header=BB691_3290 Depth=1
	s_or_b32 exec_lo, exec_lo, s92
	s_orn2_b32 s92, s94, exec_lo
.LBB691_3377:                           ;   in Loop: Header=BB691_3290 Depth=1
	s_or_b32 exec_lo, exec_lo, s93
	v_cndmask_b32_e64 v130, v128, v129, s92
	v_cndmask_b32_e64 v131, v2, v1, s92
	s_mov_b32 s93, exec_lo
	v_add_nc_u32_e32 v132, 1, v130
	v_add_nc_u32_e32 v130, -1, v131
	v_cndmask_b32_e64 v131, v129, v132, s92
	v_min_u32_e32 v130, v132, v130
	ds_read_u8 v133, v130
	v_cndmask_b32_e64 v130, v132, v128, s92
	s_waitcnt lgkmcnt(0)
	v_cndmask_b32_e64 v128, v133, v118, s92
	v_cndmask_b32_e64 v129, v119, v133, s92
	v_cmpx_lt_u32_e64 v130, v2
	s_cbranch_execz .LBB691_3381
; %bb.3378:                             ;   in Loop: Header=BB691_3290 Depth=1
	s_mov_b32 s94, 0
	s_mov_b32 s91, exec_lo
	v_cmpx_lt_u32_e64 v131, v1
	s_cbranch_execz .LBB691_3380
; %bb.3379:                             ;   in Loop: Header=BB691_3290 Depth=1
	v_and_b32_e32 v132, 0xff, v128
	v_and_b32_e32 v133, 0xff, v129
	v_mul_lo_u16 v132, 0xcd, v132
	v_mul_lo_u16 v133, 0xcd, v133
	v_lshrrev_b16 v132, 11, v132
	v_lshrrev_b16 v133, 11, v133
	v_cmp_ge_u16_e64 s8, v132, v133
	s_and_b32 s94, s8, exec_lo
.LBB691_3380:                           ;   in Loop: Header=BB691_3290 Depth=1
	s_or_b32 exec_lo, exec_lo, s91
	s_orn2_b32 s91, s94, exec_lo
.LBB691_3381:                           ;   in Loop: Header=BB691_3290 Depth=1
	s_or_b32 exec_lo, exec_lo, s93
	v_cndmask_b32_e64 v132, v130, v131, s91
	v_cndmask_b32_e64 v133, v2, v1, s91
	s_mov_b32 s93, -1
	s_mov_b32 s94, -1
	s_mov_b32 s95, exec_lo
	v_add_nc_u32_e32 v134, 1, v132
	v_add_nc_u32_e32 v132, -1, v133
	v_cndmask_b32_e64 v133, v131, v134, s91
	v_min_u32_e32 v132, v134, v132
	ds_read_u8 v135, v132
	v_cndmask_b32_e64 v132, v134, v130, s91
	s_waitcnt lgkmcnt(0)
	v_cndmask_b32_e64 v130, v135, v128, s91
	v_cndmask_b32_e64 v131, v129, v135, s91
	v_cmpx_lt_u32_e64 v132, v2
	s_cbranch_execz .LBB691_3385
; %bb.3382:                             ;   in Loop: Header=BB691_3290 Depth=1
	s_mov_b32 vcc_hi, 0
	s_mov_b32 s94, exec_lo
	v_cmpx_lt_u32_e64 v133, v1
	s_cbranch_execz .LBB691_3384
; %bb.3383:                             ;   in Loop: Header=BB691_3290 Depth=1
	v_and_b32_e32 v134, 0xff, v130
	v_and_b32_e32 v135, 0xff, v131
	v_mul_lo_u16 v134, 0xcd, v134
	v_mul_lo_u16 v135, 0xcd, v135
	v_lshrrev_b16 v134, 11, v134
	v_lshrrev_b16 v135, 11, v135
	v_cmp_ge_u16_e64 s8, v134, v135
	s_and_b32 vcc_hi, s8, exec_lo
.LBB691_3384:                           ;   in Loop: Header=BB691_3290 Depth=1
	s_or_b32 exec_lo, exec_lo, s94
	s_orn2_b32 s94, vcc_hi, exec_lo
.LBB691_3385:                           ;   in Loop: Header=BB691_3290 Depth=1
	s_or_b32 exec_lo, exec_lo, s95
	v_cndmask_b32_e64 v134, v132, v133, s94
	v_cndmask_b32_e64 v135, v2, v1, s94
	s_mov_b32 s95, exec_lo
	v_add_nc_u32_e32 v144, 1, v134
	v_add_nc_u32_e32 v134, -1, v135
	v_cndmask_b32_e64 v135, v133, v144, s94
	v_min_u32_e32 v134, v144, v134
	ds_read_u8 v145, v134
	v_cndmask_b32_e64 v134, v144, v132, s94
	s_waitcnt lgkmcnt(0)
	v_cndmask_b32_e64 v132, v145, v130, s94
	v_cndmask_b32_e64 v133, v131, v145, s94
	v_cmpx_lt_u32_e64 v134, v2
	s_cbranch_execz .LBB691_3389
; %bb.3386:                             ;   in Loop: Header=BB691_3290 Depth=1
	s_mov_b32 vcc_hi, 0
	s_mov_b32 s93, exec_lo
	v_cmpx_lt_u32_e64 v135, v1
	s_cbranch_execz .LBB691_3388
; %bb.3387:                             ;   in Loop: Header=BB691_3290 Depth=1
	v_and_b32_e32 v144, 0xff, v132
	v_and_b32_e32 v145, 0xff, v133
	v_mul_lo_u16 v144, 0xcd, v144
	v_mul_lo_u16 v145, 0xcd, v145
	v_lshrrev_b16 v144, 11, v144
	v_lshrrev_b16 v145, 11, v145
	v_cmp_ge_u16_e64 s8, v144, v145
	s_and_b32 vcc_hi, s8, exec_lo
.LBB691_3388:                           ;   in Loop: Header=BB691_3290 Depth=1
	s_or_b32 exec_lo, exec_lo, s93
	s_orn2_b32 s93, vcc_hi, exec_lo
.LBB691_3389:                           ;   in Loop: Header=BB691_3290 Depth=1
	s_or_b32 exec_lo, exec_lo, s95
	v_cndmask_b32_e64 v144, v134, v135, s93
	v_cndmask_b32_e64 v145, v2, v1, s93
	s_mov_b32 s95, -1
	s_mov_b32 vcc_hi, -1
	s_mov_b32 s30, exec_lo
	v_add_nc_u32_e32 v146, 1, v144
	v_add_nc_u32_e32 v144, -1, v145
	v_cndmask_b32_e64 v145, v135, v146, s93
	v_min_u32_e32 v144, v146, v144
	ds_read_u8 v147, v144
	v_cndmask_b32_e64 v144, v146, v134, s93
	s_waitcnt lgkmcnt(0)
	v_cndmask_b32_e64 v134, v147, v132, s93
	v_cndmask_b32_e64 v135, v133, v147, s93
	v_cmpx_lt_u32_e64 v144, v2
	s_cbranch_execz .LBB691_3393
; %bb.3390:                             ;   in Loop: Header=BB691_3290 Depth=1
	s_mov_b32 s31, 0
	s_mov_b32 vcc_hi, exec_lo
	v_cmpx_lt_u32_e64 v145, v1
	s_cbranch_execz .LBB691_3392
; %bb.3391:                             ;   in Loop: Header=BB691_3290 Depth=1
	v_and_b32_e32 v146, 0xff, v134
	v_and_b32_e32 v147, 0xff, v135
	v_mul_lo_u16 v146, 0xcd, v146
	v_mul_lo_u16 v147, 0xcd, v147
	v_lshrrev_b16 v146, 11, v146
	v_lshrrev_b16 v147, 11, v147
	v_cmp_ge_u16_e64 s8, v146, v147
	s_and_b32 s31, s8, exec_lo
.LBB691_3392:                           ;   in Loop: Header=BB691_3290 Depth=1
	s_or_b32 exec_lo, exec_lo, vcc_hi
	s_orn2_b32 vcc_hi, s31, exec_lo
.LBB691_3393:                           ;   in Loop: Header=BB691_3290 Depth=1
	s_or_b32 exec_lo, exec_lo, s30
	v_cndmask_b32_e64 v146, v144, v145, vcc_hi
	v_cndmask_b32_e64 v147, v2, v1, vcc_hi
	s_mov_b32 s30, exec_lo
	v_add_nc_u32_e32 v148, 1, v146
	v_add_nc_u32_e32 v146, -1, v147
	v_cndmask_b32_e64 v147, v145, v148, vcc_hi
	v_min_u32_e32 v146, v148, v146
	ds_read_u8 v149, v146
	v_cndmask_b32_e64 v146, v148, v144, vcc_hi
	s_waitcnt lgkmcnt(0)
	v_cndmask_b32_e64 v144, v149, v134, vcc_hi
	v_cndmask_b32_e64 v145, v135, v149, vcc_hi
	v_cmpx_lt_u32_e64 v146, v2
	s_cbranch_execz .LBB691_3397
; %bb.3394:                             ;   in Loop: Header=BB691_3290 Depth=1
	s_mov_b32 s31, 0
	s_mov_b32 s95, exec_lo
	v_cmpx_lt_u32_e64 v147, v1
	s_cbranch_execz .LBB691_3396
; %bb.3395:                             ;   in Loop: Header=BB691_3290 Depth=1
	v_and_b32_e32 v148, 0xff, v144
	v_and_b32_e32 v149, 0xff, v145
	v_mul_lo_u16 v148, 0xcd, v148
	v_mul_lo_u16 v149, 0xcd, v149
	v_lshrrev_b16 v148, 11, v148
	v_lshrrev_b16 v149, 11, v149
	v_cmp_ge_u16_e64 s8, v148, v149
	s_and_b32 s31, s8, exec_lo
.LBB691_3396:                           ;   in Loop: Header=BB691_3290 Depth=1
	s_or_b32 exec_lo, exec_lo, s95
	s_orn2_b32 s95, s31, exec_lo
.LBB691_3397:                           ;   in Loop: Header=BB691_3290 Depth=1
	s_or_b32 exec_lo, exec_lo, s30
	v_cndmask_b32_e64 v148, v146, v147, s95
	v_cndmask_b32_e64 v149, v2, v1, s95
	s_mov_b32 s30, -1
	s_mov_b32 s31, -1
	s_mov_b32 s34, exec_lo
	v_add_nc_u32_e32 v150, 1, v148
	v_add_nc_u32_e32 v148, -1, v149
	v_cndmask_b32_e64 v149, v147, v150, s95
	v_min_u32_e32 v148, v150, v148
	ds_read_u8 v151, v148
	v_cndmask_b32_e64 v148, v150, v146, s95
	s_waitcnt lgkmcnt(0)
	v_cndmask_b32_e64 v146, v151, v144, s95
	v_cndmask_b32_e64 v147, v145, v151, s95
	v_cmpx_lt_u32_e64 v148, v2
	s_cbranch_execz .LBB691_3401
; %bb.3398:                             ;   in Loop: Header=BB691_3290 Depth=1
	s_mov_b32 s39, 0
	s_mov_b32 s31, exec_lo
	v_cmpx_lt_u32_e64 v149, v1
	s_cbranch_execz .LBB691_3400
; %bb.3399:                             ;   in Loop: Header=BB691_3290 Depth=1
	v_and_b32_e32 v150, 0xff, v146
	v_and_b32_e32 v151, 0xff, v147
	v_mul_lo_u16 v150, 0xcd, v150
	v_mul_lo_u16 v151, 0xcd, v151
	v_lshrrev_b16 v150, 11, v150
	v_lshrrev_b16 v151, 11, v151
	v_cmp_ge_u16_e64 s8, v150, v151
	s_and_b32 s39, s8, exec_lo
.LBB691_3400:                           ;   in Loop: Header=BB691_3290 Depth=1
	s_or_b32 exec_lo, exec_lo, s31
	s_orn2_b32 s31, s39, exec_lo
.LBB691_3401:                           ;   in Loop: Header=BB691_3290 Depth=1
	s_or_b32 exec_lo, exec_lo, s34
	v_cndmask_b32_e64 v150, v148, v149, s31
	v_cndmask_b32_e64 v151, v2, v1, s31
	s_mov_b32 s34, exec_lo
	v_add_nc_u32_e32 v160, 1, v150
	v_add_nc_u32_e32 v150, -1, v151
	v_cndmask_b32_e64 v151, v149, v160, s31
	v_min_u32_e32 v150, v160, v150
	ds_read_u8 v161, v150
	v_cndmask_b32_e64 v150, v160, v148, s31
	s_waitcnt lgkmcnt(0)
	v_cndmask_b32_e64 v148, v161, v146, s31
	v_cndmask_b32_e64 v149, v147, v161, s31
	v_cmpx_lt_u32_e64 v150, v2
	s_cbranch_execz .LBB691_3405
; %bb.3402:                             ;   in Loop: Header=BB691_3290 Depth=1
	s_mov_b32 s39, 0
	s_mov_b32 s30, exec_lo
	v_cmpx_lt_u32_e64 v151, v1
	s_cbranch_execz .LBB691_3404
; %bb.3403:                             ;   in Loop: Header=BB691_3290 Depth=1
	v_and_b32_e32 v160, 0xff, v148
	v_and_b32_e32 v161, 0xff, v149
	v_mul_lo_u16 v160, 0xcd, v160
	v_mul_lo_u16 v161, 0xcd, v161
	v_lshrrev_b16 v160, 11, v160
	v_lshrrev_b16 v161, 11, v161
	v_cmp_ge_u16_e64 s8, v160, v161
	s_and_b32 s39, s8, exec_lo
.LBB691_3404:                           ;   in Loop: Header=BB691_3290 Depth=1
	s_or_b32 exec_lo, exec_lo, s30
	s_orn2_b32 s30, s39, exec_lo
.LBB691_3405:                           ;   in Loop: Header=BB691_3290 Depth=1
	s_or_b32 exec_lo, exec_lo, s34
	v_cndmask_b32_e64 v160, v150, v151, s30
	v_cndmask_b32_e64 v161, v2, v1, s30
	s_mov_b32 s34, -1
	s_mov_b32 s39, -1
	s_mov_b32 s48, exec_lo
	v_add_nc_u32_e32 v162, 1, v160
	v_add_nc_u32_e32 v160, -1, v161
	v_cndmask_b32_e64 v161, v151, v162, s30
	v_min_u32_e32 v160, v162, v160
	ds_read_u8 v163, v160
	v_cndmask_b32_e64 v160, v162, v150, s30
	s_waitcnt lgkmcnt(0)
	v_cndmask_b32_e64 v150, v163, v148, s30
	v_cndmask_b32_e64 v151, v149, v163, s30
	v_cmpx_lt_u32_e64 v160, v2
	s_cbranch_execz .LBB691_3409
; %bb.3406:                             ;   in Loop: Header=BB691_3290 Depth=1
	s_mov_b32 s49, 0
	s_mov_b32 s39, exec_lo
	v_cmpx_lt_u32_e64 v161, v1
	s_cbranch_execz .LBB691_3408
; %bb.3407:                             ;   in Loop: Header=BB691_3290 Depth=1
	v_and_b32_e32 v162, 0xff, v150
	v_and_b32_e32 v163, 0xff, v151
	v_mul_lo_u16 v162, 0xcd, v162
	v_mul_lo_u16 v163, 0xcd, v163
	v_lshrrev_b16 v162, 11, v162
	v_lshrrev_b16 v163, 11, v163
	v_cmp_ge_u16_e64 s8, v162, v163
	s_and_b32 s49, s8, exec_lo
.LBB691_3408:                           ;   in Loop: Header=BB691_3290 Depth=1
	s_or_b32 exec_lo, exec_lo, s39
	s_orn2_b32 s39, s49, exec_lo
.LBB691_3409:                           ;   in Loop: Header=BB691_3290 Depth=1
	s_or_b32 exec_lo, exec_lo, s48
	v_cndmask_b32_e64 v162, v160, v161, s39
	v_cndmask_b32_e64 v163, v2, v1, s39
	s_mov_b32 s48, exec_lo
	v_add_nc_u32_e32 v164, 1, v162
	v_add_nc_u32_e32 v162, -1, v163
	v_cndmask_b32_e64 v163, v161, v164, s39
	v_min_u32_e32 v162, v164, v162
	ds_read_u8 v165, v162
	v_cndmask_b32_e64 v162, v164, v160, s39
	s_waitcnt lgkmcnt(0)
	v_cndmask_b32_e64 v160, v165, v150, s39
	v_cndmask_b32_e64 v161, v151, v165, s39
	v_cmpx_lt_u32_e64 v162, v2
	s_cbranch_execz .LBB691_3413
; %bb.3410:                             ;   in Loop: Header=BB691_3290 Depth=1
	s_mov_b32 s49, 0
	s_mov_b32 s34, exec_lo
	v_cmpx_lt_u32_e64 v163, v1
	s_cbranch_execz .LBB691_3412
; %bb.3411:                             ;   in Loop: Header=BB691_3290 Depth=1
	v_and_b32_e32 v164, 0xff, v160
	v_and_b32_e32 v165, 0xff, v161
	v_mul_lo_u16 v164, 0xcd, v164
	v_mul_lo_u16 v165, 0xcd, v165
	v_lshrrev_b16 v164, 11, v164
	v_lshrrev_b16 v165, 11, v165
	v_cmp_ge_u16_e64 s8, v164, v165
	s_and_b32 s49, s8, exec_lo
.LBB691_3412:                           ;   in Loop: Header=BB691_3290 Depth=1
	s_or_b32 exec_lo, exec_lo, s34
	s_orn2_b32 s34, s49, exec_lo
.LBB691_3413:                           ;   in Loop: Header=BB691_3290 Depth=1
	s_or_b32 exec_lo, exec_lo, s48
	v_cndmask_b32_e64 v164, v162, v163, s34
	v_cndmask_b32_e64 v165, v2, v1, s34
	s_mov_b32 s48, -1
	s_mov_b32 s49, -1
	s_mov_b32 s50, exec_lo
	v_add_nc_u32_e32 v166, 1, v164
	v_add_nc_u32_e32 v164, -1, v165
	v_cndmask_b32_e64 v165, v163, v166, s34
	v_min_u32_e32 v164, v166, v164
	ds_read_u8 v167, v164
	v_cndmask_b32_e64 v164, v166, v162, s34
	s_waitcnt lgkmcnt(0)
	v_cndmask_b32_e64 v162, v167, v160, s34
	v_cndmask_b32_e64 v163, v161, v167, s34
	v_cmpx_lt_u32_e64 v164, v2
	s_cbranch_execz .LBB691_3417
; %bb.3414:                             ;   in Loop: Header=BB691_3290 Depth=1
	s_mov_b32 s51, 0
	s_mov_b32 s49, exec_lo
	v_cmpx_lt_u32_e64 v165, v1
	s_cbranch_execz .LBB691_3416
; %bb.3415:                             ;   in Loop: Header=BB691_3290 Depth=1
	v_and_b32_e32 v166, 0xff, v162
	v_and_b32_e32 v167, 0xff, v163
	v_mul_lo_u16 v166, 0xcd, v166
	v_mul_lo_u16 v167, 0xcd, v167
	v_lshrrev_b16 v166, 11, v166
	v_lshrrev_b16 v167, 11, v167
	v_cmp_ge_u16_e64 s8, v166, v167
	s_and_b32 s51, s8, exec_lo
.LBB691_3416:                           ;   in Loop: Header=BB691_3290 Depth=1
	s_or_b32 exec_lo, exec_lo, s49
	s_orn2_b32 s49, s51, exec_lo
.LBB691_3417:                           ;   in Loop: Header=BB691_3290 Depth=1
	s_or_b32 exec_lo, exec_lo, s50
	v_cndmask_b32_e64 v166, v164, v165, s49
	v_cndmask_b32_e64 v167, v2, v1, s49
	s_mov_b32 s50, exec_lo
	v_add_nc_u32_e32 v176, 1, v166
	v_add_nc_u32_e32 v166, -1, v167
	v_cndmask_b32_e64 v167, v165, v176, s49
	v_min_u32_e32 v166, v176, v166
	ds_read_u8 v177, v166
	v_cndmask_b32_e64 v166, v176, v164, s49
	s_waitcnt lgkmcnt(0)
	v_cndmask_b32_e64 v164, v177, v162, s49
	v_cndmask_b32_e64 v165, v163, v177, s49
	v_cmpx_lt_u32_e64 v166, v2
	s_cbranch_execz .LBB691_3421
; %bb.3418:                             ;   in Loop: Header=BB691_3290 Depth=1
	s_mov_b32 s51, 0
	s_mov_b32 s48, exec_lo
	v_cmpx_lt_u32_e64 v167, v1
	s_cbranch_execz .LBB691_3420
; %bb.3419:                             ;   in Loop: Header=BB691_3290 Depth=1
	v_and_b32_e32 v176, 0xff, v164
	v_and_b32_e32 v177, 0xff, v165
	v_mul_lo_u16 v176, 0xcd, v176
	v_mul_lo_u16 v177, 0xcd, v177
	v_lshrrev_b16 v176, 11, v176
	v_lshrrev_b16 v177, 11, v177
	v_cmp_ge_u16_e64 s8, v176, v177
	s_and_b32 s51, s8, exec_lo
.LBB691_3420:                           ;   in Loop: Header=BB691_3290 Depth=1
	s_or_b32 exec_lo, exec_lo, s48
	s_orn2_b32 s48, s51, exec_lo
.LBB691_3421:                           ;   in Loop: Header=BB691_3290 Depth=1
	s_or_b32 exec_lo, exec_lo, s50
	v_cndmask_b32_e64 v176, v166, v167, s48
	v_cndmask_b32_e64 v177, v2, v1, s48
	s_mov_b32 s50, exec_lo
	v_add_nc_u32_e32 v176, 1, v176
	v_add_nc_u32_e32 v177, -1, v177
	v_cndmask_b32_e64 v178, v176, v166, s48
	v_min_u32_e32 v177, v176, v177
	ds_read_u8 v177, v177
	s_waitcnt lgkmcnt(0)
	v_cndmask_b32_e64 v166, v165, v177, s48
	v_cmpx_lt_u32_e64 v178, v2
	s_cbranch_execz .LBB691_3288
; %bb.3422:                             ;   in Loop: Header=BB691_3290 Depth=1
	v_cndmask_b32_e64 v167, v167, v176, s48
	v_cndmask_b32_e64 v2, v177, v164, s48
	s_mov_b32 s51, exec_lo
	v_cmpx_lt_u32_e64 v167, v1
	s_cbranch_execz .LBB691_3287
; %bb.3423:                             ;   in Loop: Header=BB691_3290 Depth=1
	v_and_b32_e32 v1, 0xff, v2
	v_and_b32_e32 v167, 0xff, v166
	v_mul_lo_u16 v1, 0xcd, v1
	v_mul_lo_u16 v167, 0xcd, v167
	v_lshrrev_b16 v1, 11, v1
	v_lshrrev_b16 v167, 11, v167
	v_cmp_lt_u16_e64 s8, v1, v167
	v_cndmask_b32_e64 v2, v166, v2, s8
	s_branch .LBB691_3287
.LBB691_3424:
	s_or_b32 exec_lo, exec_lo, s12
.LBB691_3425:
	s_or_b32 exec_lo, exec_lo, s9
	s_barrier
	buffer_gl0_inv
	ds_write2_b32 v67, v10, v11 offset1:1
	ds_write2_b32 v67, v12, v13 offset0:2 offset1:3
	ds_write2_b32 v67, v6, v7 offset0:4 offset1:5
	;; [unrolled: 1-line block ×3, first 2 shown]
	s_waitcnt lgkmcnt(0)
	s_barrier
	buffer_gl0_inv
	ds_read_u8 v83, v20 offset:256
	ds_read_u8 v82, v21 offset:512
	;; [unrolled: 1-line block ×31, first 2 shown]
	v_add_co_u32 v0, vcc_lo, v4, v17
	v_mov_b32_e32 v15, 0
	v_add_co_ci_u32_e64 v1, null, 0, v5, vcc_lo
	s_and_saveexec_b32 s8, s4
	s_cbranch_execnz .LBB691_3458
; %bb.3426:
	s_or_b32 exec_lo, exec_lo, s8
	s_and_saveexec_b32 s4, s5
	s_cbranch_execnz .LBB691_3459
.LBB691_3427:
	s_or_b32 exec_lo, exec_lo, s4
	s_and_saveexec_b32 s4, s6
	s_cbranch_execnz .LBB691_3460
.LBB691_3428:
	s_or_b32 exec_lo, exec_lo, s4
	s_and_saveexec_b32 s4, s7
	s_cbranch_execnz .LBB691_3461
.LBB691_3429:
	s_or_b32 exec_lo, exec_lo, s4
	s_and_saveexec_b32 s4, s10
	s_cbranch_execnz .LBB691_3462
.LBB691_3430:
	s_or_b32 exec_lo, exec_lo, s4
	s_and_saveexec_b32 s4, s11
	s_cbranch_execnz .LBB691_3463
.LBB691_3431:
	s_or_b32 exec_lo, exec_lo, s4
	s_and_saveexec_b32 s4, s35
	s_cbranch_execnz .LBB691_3464
.LBB691_3432:
	s_or_b32 exec_lo, exec_lo, s4
	s_and_saveexec_b32 s4, s36
	s_cbranch_execnz .LBB691_3465
.LBB691_3433:
	s_or_b32 exec_lo, exec_lo, s4
	s_and_saveexec_b32 s4, s14
	s_cbranch_execnz .LBB691_3466
.LBB691_3434:
	s_or_b32 exec_lo, exec_lo, s4
	s_and_saveexec_b32 s4, s15
	s_cbranch_execnz .LBB691_3467
.LBB691_3435:
	s_or_b32 exec_lo, exec_lo, s4
	s_and_saveexec_b32 s4, s16
	s_cbranch_execnz .LBB691_3468
.LBB691_3436:
	s_or_b32 exec_lo, exec_lo, s4
	s_and_saveexec_b32 s4, s17
	s_cbranch_execnz .LBB691_3469
.LBB691_3437:
	s_or_b32 exec_lo, exec_lo, s4
	s_and_saveexec_b32 s4, s18
	s_cbranch_execnz .LBB691_3470
.LBB691_3438:
	s_or_b32 exec_lo, exec_lo, s4
	s_and_saveexec_b32 s4, s19
	s_cbranch_execnz .LBB691_3471
.LBB691_3439:
	s_or_b32 exec_lo, exec_lo, s4
	s_and_saveexec_b32 s4, s20
	s_cbranch_execnz .LBB691_3472
.LBB691_3440:
	s_or_b32 exec_lo, exec_lo, s4
	s_and_saveexec_b32 s4, s21
	s_cbranch_execnz .LBB691_3473
.LBB691_3441:
	s_or_b32 exec_lo, exec_lo, s4
	s_and_saveexec_b32 s4, s22
	s_cbranch_execnz .LBB691_3474
.LBB691_3442:
	s_or_b32 exec_lo, exec_lo, s4
	s_and_saveexec_b32 s4, s23
	s_cbranch_execnz .LBB691_3475
.LBB691_3443:
	s_or_b32 exec_lo, exec_lo, s4
	s_and_saveexec_b32 s4, s24
	s_cbranch_execnz .LBB691_3476
.LBB691_3444:
	s_or_b32 exec_lo, exec_lo, s4
	s_and_saveexec_b32 s4, s25
	s_cbranch_execnz .LBB691_3477
.LBB691_3445:
	s_or_b32 exec_lo, exec_lo, s4
	s_and_saveexec_b32 s4, s26
	s_cbranch_execnz .LBB691_3478
.LBB691_3446:
	s_or_b32 exec_lo, exec_lo, s4
	s_and_saveexec_b32 s4, s27
	s_cbranch_execnz .LBB691_3479
.LBB691_3447:
	s_or_b32 exec_lo, exec_lo, s4
	s_and_saveexec_b32 s4, s28
	s_cbranch_execnz .LBB691_3480
.LBB691_3448:
	s_or_b32 exec_lo, exec_lo, s4
	s_and_saveexec_b32 s4, s29
	s_cbranch_execnz .LBB691_3481
.LBB691_3449:
	s_or_b32 exec_lo, exec_lo, s4
	s_and_saveexec_b32 s4, s40
	s_cbranch_execnz .LBB691_3482
.LBB691_3450:
	s_or_b32 exec_lo, exec_lo, s4
	s_and_saveexec_b32 s4, s41
	s_cbranch_execnz .LBB691_3483
.LBB691_3451:
	s_or_b32 exec_lo, exec_lo, s4
	s_and_saveexec_b32 s4, s42
	s_cbranch_execnz .LBB691_3484
.LBB691_3452:
	s_or_b32 exec_lo, exec_lo, s4
	s_and_saveexec_b32 s4, s43
	s_cbranch_execnz .LBB691_3485
.LBB691_3453:
	s_or_b32 exec_lo, exec_lo, s4
	s_and_saveexec_b32 s4, s44
	s_cbranch_execnz .LBB691_3486
.LBB691_3454:
	s_or_b32 exec_lo, exec_lo, s4
	s_and_saveexec_b32 s4, s45
	s_cbranch_execnz .LBB691_3487
.LBB691_3455:
	s_or_b32 exec_lo, exec_lo, s4
	s_and_saveexec_b32 s4, s46
	s_cbranch_execz .LBB691_3457
.LBB691_3456:
	v_add_co_u32 v0, vcc_lo, 0x1800, v0
	v_add_co_ci_u32_e64 v1, null, 0, v1, vcc_lo
	s_waitcnt lgkmcnt(1)
	flat_store_byte v[0:1], v2 offset:1536
.LBB691_3457:
	s_or_b32 exec_lo, exec_lo, s4
	s_andn2_b32 s4, s37, exec_lo
	s_and_b32 s5, s47, exec_lo
	s_or_b32 s37, s4, s5
	s_or_b32 exec_lo, exec_lo, s38
	s_and_saveexec_b32 s4, s37
	s_cbranch_execz .LBB691_3488
; %bb.3490:
	s_getpc_b64 s[52:53]
.Lpost_getpc1:
	s_add_u32 s52, s52, (.LBB691_3-.Lpost_getpc1)&4294967295
	s_addc_u32 s53, s53, (.LBB691_3-.Lpost_getpc1)>>32
	s_setpc_b64 s[52:53]
.LBB691_3488:
	s_getpc_b64 s[52:53]
.Lpost_getpc0:
	s_add_u32 s52, s52, (.LBB691_4-.Lpost_getpc0)&4294967295
	s_addc_u32 s53, s53, (.LBB691_4-.Lpost_getpc0)>>32
	s_setpc_b64 s[52:53]
.LBB691_3458:
	ds_read_u8 v19, v19
	s_waitcnt lgkmcnt(0)
	flat_store_byte v[0:1], v19
	s_or_b32 exec_lo, exec_lo, s8
	s_and_saveexec_b32 s4, s5
	s_cbranch_execz .LBB691_3427
.LBB691_3459:
	s_waitcnt lgkmcnt(30)
	flat_store_byte v[0:1], v83 offset:256
	s_or_b32 exec_lo, exec_lo, s4
	s_and_saveexec_b32 s4, s6
	s_cbranch_execz .LBB691_3428
.LBB691_3460:
	s_waitcnt lgkmcnt(29)
	flat_store_byte v[0:1], v82 offset:512
	s_or_b32 exec_lo, exec_lo, s4
	s_and_saveexec_b32 s4, s7
	s_cbranch_execz .LBB691_3429
.LBB691_3461:
	s_waitcnt lgkmcnt(28)
	flat_store_byte v[0:1], v81 offset:768
	s_or_b32 exec_lo, exec_lo, s4
	s_and_saveexec_b32 s4, s10
	s_cbranch_execz .LBB691_3430
.LBB691_3462:
	s_waitcnt lgkmcnt(27)
	flat_store_byte v[0:1], v80 offset:1024
	s_or_b32 exec_lo, exec_lo, s4
	s_and_saveexec_b32 s4, s11
	s_cbranch_execz .LBB691_3431
.LBB691_3463:
	s_waitcnt lgkmcnt(26)
	flat_store_byte v[0:1], v71 offset:1280
	s_or_b32 exec_lo, exec_lo, s4
	s_and_saveexec_b32 s4, s35
	s_cbranch_execz .LBB691_3432
.LBB691_3464:
	s_waitcnt lgkmcnt(25)
	flat_store_byte v[0:1], v70 offset:1536
	s_or_b32 exec_lo, exec_lo, s4
	s_and_saveexec_b32 s4, s36
	s_cbranch_execz .LBB691_3433
.LBB691_3465:
	s_waitcnt lgkmcnt(24)
	flat_store_byte v[0:1], v69 offset:1792
	s_or_b32 exec_lo, exec_lo, s4
	s_and_saveexec_b32 s4, s14
	s_cbranch_execz .LBB691_3434
.LBB691_3466:
	v_add_co_u32 v29, vcc_lo, 0x800, v0
	v_add_co_ci_u32_e64 v30, null, 0, v1, vcc_lo
	s_waitcnt lgkmcnt(23)
	flat_store_byte v[29:30], v68
	s_or_b32 exec_lo, exec_lo, s4
	s_and_saveexec_b32 s4, s15
	s_cbranch_execz .LBB691_3435
.LBB691_3467:
	v_add_co_u32 v29, vcc_lo, 0x800, v0
	v_add_co_ci_u32_e64 v30, null, 0, v1, vcc_lo
	s_waitcnt lgkmcnt(22)
	flat_store_byte v[29:30], v67 offset:256
	s_or_b32 exec_lo, exec_lo, s4
	s_and_saveexec_b32 s4, s16
	s_cbranch_execz .LBB691_3436
.LBB691_3468:
	v_add_co_u32 v29, vcc_lo, 0x800, v0
	v_add_co_ci_u32_e64 v30, null, 0, v1, vcc_lo
	s_waitcnt lgkmcnt(21)
	flat_store_byte v[29:30], v28 offset:512
	s_or_b32 exec_lo, exec_lo, s4
	s_and_saveexec_b32 s4, s17
	s_cbranch_execz .LBB691_3437
.LBB691_3469:
	s_waitcnt lgkmcnt(21)
	v_add_co_u32 v28, vcc_lo, 0x800, v0
	v_add_co_ci_u32_e64 v29, null, 0, v1, vcc_lo
	s_waitcnt lgkmcnt(20)
	flat_store_byte v[28:29], v27 offset:768
	s_or_b32 exec_lo, exec_lo, s4
	s_and_saveexec_b32 s4, s18
	s_cbranch_execz .LBB691_3438
.LBB691_3470:
	s_waitcnt lgkmcnt(20)
	v_add_co_u32 v27, vcc_lo, 0x800, v0
	v_add_co_ci_u32_e64 v28, null, 0, v1, vcc_lo
	s_waitcnt lgkmcnt(19)
	flat_store_byte v[27:28], v26 offset:1024
	s_or_b32 exec_lo, exec_lo, s4
	s_and_saveexec_b32 s4, s19
	s_cbranch_execz .LBB691_3439
.LBB691_3471:
	s_waitcnt lgkmcnt(19)
	v_add_co_u32 v26, vcc_lo, 0x800, v0
	v_add_co_ci_u32_e64 v27, null, 0, v1, vcc_lo
	s_waitcnt lgkmcnt(18)
	flat_store_byte v[26:27], v25 offset:1280
	s_or_b32 exec_lo, exec_lo, s4
	s_and_saveexec_b32 s4, s20
	s_cbranch_execz .LBB691_3440
.LBB691_3472:
	s_waitcnt lgkmcnt(18)
	v_add_co_u32 v25, vcc_lo, 0x800, v0
	v_add_co_ci_u32_e64 v26, null, 0, v1, vcc_lo
	s_waitcnt lgkmcnt(17)
	flat_store_byte v[25:26], v24 offset:1536
	s_or_b32 exec_lo, exec_lo, s4
	s_and_saveexec_b32 s4, s21
	s_cbranch_execz .LBB691_3441
.LBB691_3473:
	s_waitcnt lgkmcnt(17)
	v_add_co_u32 v24, vcc_lo, 0x800, v0
	v_add_co_ci_u32_e64 v25, null, 0, v1, vcc_lo
	s_waitcnt lgkmcnt(16)
	flat_store_byte v[24:25], v23 offset:1792
	s_or_b32 exec_lo, exec_lo, s4
	s_and_saveexec_b32 s4, s22
	s_cbranch_execz .LBB691_3442
.LBB691_3474:
	s_waitcnt lgkmcnt(16)
	v_add_co_u32 v23, vcc_lo, 0x1000, v0
	v_add_co_ci_u32_e64 v24, null, 0, v1, vcc_lo
	s_waitcnt lgkmcnt(15)
	flat_store_byte v[23:24], v22
	s_or_b32 exec_lo, exec_lo, s4
	s_and_saveexec_b32 s4, s23
	s_cbranch_execz .LBB691_3443
.LBB691_3475:
	s_waitcnt lgkmcnt(15)
	v_add_co_u32 v22, vcc_lo, 0x1000, v0
	v_add_co_ci_u32_e64 v23, null, 0, v1, vcc_lo
	s_waitcnt lgkmcnt(14)
	flat_store_byte v[22:23], v21 offset:256
	s_or_b32 exec_lo, exec_lo, s4
	s_and_saveexec_b32 s4, s24
	s_cbranch_execz .LBB691_3444
.LBB691_3476:
	s_waitcnt lgkmcnt(14)
	v_add_co_u32 v21, vcc_lo, 0x1000, v0
	v_add_co_ci_u32_e64 v22, null, 0, v1, vcc_lo
	s_waitcnt lgkmcnt(13)
	flat_store_byte v[21:22], v20 offset:512
	s_or_b32 exec_lo, exec_lo, s4
	s_and_saveexec_b32 s4, s25
	s_cbranch_execz .LBB691_3445
.LBB691_3477:
	v_add_co_u32 v19, vcc_lo, 0x1000, v0
	s_waitcnt lgkmcnt(13)
	v_add_co_ci_u32_e64 v20, null, 0, v1, vcc_lo
	s_waitcnt lgkmcnt(12)
	flat_store_byte v[19:20], v18 offset:768
	s_or_b32 exec_lo, exec_lo, s4
	s_and_saveexec_b32 s4, s26
	s_cbranch_execz .LBB691_3446
.LBB691_3478:
	s_waitcnt lgkmcnt(12)
	v_add_co_u32 v18, vcc_lo, 0x1000, v0
	v_add_co_ci_u32_e64 v19, null, 0, v1, vcc_lo
	s_waitcnt lgkmcnt(11)
	flat_store_byte v[18:19], v16 offset:1024
	s_or_b32 exec_lo, exec_lo, s4
	s_and_saveexec_b32 s4, s27
	s_cbranch_execz .LBB691_3447
.LBB691_3479:
	s_waitcnt lgkmcnt(12)
	v_add_co_u32 v18, vcc_lo, 0x1000, v0
	v_add_co_ci_u32_e64 v19, null, 0, v1, vcc_lo
	s_waitcnt lgkmcnt(10)
	flat_store_byte v[18:19], v14 offset:1280
	s_or_b32 exec_lo, exec_lo, s4
	s_and_saveexec_b32 s4, s28
	s_cbranch_execz .LBB691_3448
.LBB691_3480:
	s_waitcnt lgkmcnt(12)
	v_add_co_u32 v18, vcc_lo, 0x1000, v0
	v_add_co_ci_u32_e64 v19, null, 0, v1, vcc_lo
	s_waitcnt lgkmcnt(9)
	flat_store_byte v[18:19], v13 offset:1536
	s_or_b32 exec_lo, exec_lo, s4
	s_and_saveexec_b32 s4, s29
	s_cbranch_execz .LBB691_3449
.LBB691_3481:
	s_waitcnt lgkmcnt(9)
	v_add_co_u32 v13, vcc_lo, 0x1000, v0
	v_add_co_ci_u32_e64 v14, null, 0, v1, vcc_lo
	s_waitcnt lgkmcnt(8)
	flat_store_byte v[13:14], v12 offset:1792
	s_or_b32 exec_lo, exec_lo, s4
	s_and_saveexec_b32 s4, s40
	s_cbranch_execz .LBB691_3450
.LBB691_3482:
	s_waitcnt lgkmcnt(8)
	v_add_co_u32 v12, vcc_lo, 0x1800, v0
	v_add_co_ci_u32_e64 v13, null, 0, v1, vcc_lo
	s_waitcnt lgkmcnt(7)
	flat_store_byte v[12:13], v11
	s_or_b32 exec_lo, exec_lo, s4
	s_and_saveexec_b32 s4, s41
	s_cbranch_execz .LBB691_3451
.LBB691_3483:
	s_waitcnt lgkmcnt(7)
	v_add_co_u32 v11, vcc_lo, 0x1800, v0
	v_add_co_ci_u32_e64 v12, null, 0, v1, vcc_lo
	s_waitcnt lgkmcnt(6)
	flat_store_byte v[11:12], v10 offset:256
	s_or_b32 exec_lo, exec_lo, s4
	s_and_saveexec_b32 s4, s42
	s_cbranch_execz .LBB691_3452
.LBB691_3484:
	s_waitcnt lgkmcnt(6)
	v_add_co_u32 v10, vcc_lo, 0x1800, v0
	v_add_co_ci_u32_e64 v11, null, 0, v1, vcc_lo
	s_waitcnt lgkmcnt(5)
	flat_store_byte v[10:11], v9 offset:512
	s_or_b32 exec_lo, exec_lo, s4
	s_and_saveexec_b32 s4, s43
	s_cbranch_execz .LBB691_3453
.LBB691_3485:
	s_waitcnt lgkmcnt(5)
	v_add_co_u32 v9, vcc_lo, 0x1800, v0
	v_add_co_ci_u32_e64 v10, null, 0, v1, vcc_lo
	s_waitcnt lgkmcnt(4)
	flat_store_byte v[9:10], v8 offset:768
	s_or_b32 exec_lo, exec_lo, s4
	s_and_saveexec_b32 s4, s44
	s_cbranch_execz .LBB691_3454
.LBB691_3486:
	s_waitcnt lgkmcnt(4)
	v_add_co_u32 v8, vcc_lo, 0x1800, v0
	v_add_co_ci_u32_e64 v9, null, 0, v1, vcc_lo
	s_waitcnt lgkmcnt(3)
	flat_store_byte v[8:9], v7 offset:1024
	s_or_b32 exec_lo, exec_lo, s4
	s_and_saveexec_b32 s4, s45
	s_cbranch_execz .LBB691_3455
.LBB691_3487:
	s_waitcnt lgkmcnt(3)
	v_add_co_u32 v7, vcc_lo, 0x1800, v0
	v_add_co_ci_u32_e64 v8, null, 0, v1, vcc_lo
	s_waitcnt lgkmcnt(2)
	flat_store_byte v[7:8], v3 offset:1280
	s_or_b32 exec_lo, exec_lo, s4
	s_and_saveexec_b32 s4, s46
	s_cbranch_execnz .LBB691_3456
	s_branch .LBB691_3457
.Lfunc_end691:
	.size	_ZN7rocprim17ROCPRIM_400000_NS6detail15block_sort_implIhNS0_10empty_typeELj256ELj32ELNS0_4arch9wavefront6targetE0EvE4sortIN6thrust23THRUST_200600_302600_NS6detail15normal_iteratorINSA_10device_ptrIhEEEESF_PS3_SG_11less_div_10IhEEEvjbT_T0_T1_T2_T3_RNS7_12storage_typeE, .Lfunc_end691-_ZN7rocprim17ROCPRIM_400000_NS6detail15block_sort_implIhNS0_10empty_typeELj256ELj32ELNS0_4arch9wavefront6targetE0EvE4sortIN6thrust23THRUST_200600_302600_NS6detail15normal_iteratorINSA_10device_ptrIhEEEESF_PS3_SG_11less_div_10IhEEEvjbT_T0_T1_T2_T3_RNS7_12storage_typeE
                                        ; -- End function
	.set .L_ZN7rocprim17ROCPRIM_400000_NS6detail15block_sort_implIhNS0_10empty_typeELj256ELj32ELNS0_4arch9wavefront6targetE0EvE4sortIN6thrust23THRUST_200600_302600_NS6detail15normal_iteratorINSA_10device_ptrIhEEEESF_PS3_SG_11less_div_10IhEEEvjbT_T0_T1_T2_T3_RNS7_12storage_typeE.num_vgpr, 195
	.set .L_ZN7rocprim17ROCPRIM_400000_NS6detail15block_sort_implIhNS0_10empty_typeELj256ELj32ELNS0_4arch9wavefront6targetE0EvE4sortIN6thrust23THRUST_200600_302600_NS6detail15normal_iteratorINSA_10device_ptrIhEEEESF_PS3_SG_11less_div_10IhEEEvjbT_T0_T1_T2_T3_RNS7_12storage_typeE.num_agpr, 0
	.set .L_ZN7rocprim17ROCPRIM_400000_NS6detail15block_sort_implIhNS0_10empty_typeELj256ELj32ELNS0_4arch9wavefront6targetE0EvE4sortIN6thrust23THRUST_200600_302600_NS6detail15normal_iteratorINSA_10device_ptrIhEEEESF_PS3_SG_11less_div_10IhEEEvjbT_T0_T1_T2_T3_RNS7_12storage_typeE.numbered_sgpr, 96
	.set .L_ZN7rocprim17ROCPRIM_400000_NS6detail15block_sort_implIhNS0_10empty_typeELj256ELj32ELNS0_4arch9wavefront6targetE0EvE4sortIN6thrust23THRUST_200600_302600_NS6detail15normal_iteratorINSA_10device_ptrIhEEEESF_PS3_SG_11less_div_10IhEEEvjbT_T0_T1_T2_T3_RNS7_12storage_typeE.num_named_barrier, 0
	.set .L_ZN7rocprim17ROCPRIM_400000_NS6detail15block_sort_implIhNS0_10empty_typeELj256ELj32ELNS0_4arch9wavefront6targetE0EvE4sortIN6thrust23THRUST_200600_302600_NS6detail15normal_iteratorINSA_10device_ptrIhEEEESF_PS3_SG_11less_div_10IhEEEvjbT_T0_T1_T2_T3_RNS7_12storage_typeE.private_seg_size, 8
	.set .L_ZN7rocprim17ROCPRIM_400000_NS6detail15block_sort_implIhNS0_10empty_typeELj256ELj32ELNS0_4arch9wavefront6targetE0EvE4sortIN6thrust23THRUST_200600_302600_NS6detail15normal_iteratorINSA_10device_ptrIhEEEESF_PS3_SG_11less_div_10IhEEEvjbT_T0_T1_T2_T3_RNS7_12storage_typeE.uses_vcc, 1
	.set .L_ZN7rocprim17ROCPRIM_400000_NS6detail15block_sort_implIhNS0_10empty_typeELj256ELj32ELNS0_4arch9wavefront6targetE0EvE4sortIN6thrust23THRUST_200600_302600_NS6detail15normal_iteratorINSA_10device_ptrIhEEEESF_PS3_SG_11less_div_10IhEEEvjbT_T0_T1_T2_T3_RNS7_12storage_typeE.uses_flat_scratch, 1
	.set .L_ZN7rocprim17ROCPRIM_400000_NS6detail15block_sort_implIhNS0_10empty_typeELj256ELj32ELNS0_4arch9wavefront6targetE0EvE4sortIN6thrust23THRUST_200600_302600_NS6detail15normal_iteratorINSA_10device_ptrIhEEEESF_PS3_SG_11less_div_10IhEEEvjbT_T0_T1_T2_T3_RNS7_12storage_typeE.has_dyn_sized_stack, 0
	.set .L_ZN7rocprim17ROCPRIM_400000_NS6detail15block_sort_implIhNS0_10empty_typeELj256ELj32ELNS0_4arch9wavefront6targetE0EvE4sortIN6thrust23THRUST_200600_302600_NS6detail15normal_iteratorINSA_10device_ptrIhEEEESF_PS3_SG_11less_div_10IhEEEvjbT_T0_T1_T2_T3_RNS7_12storage_typeE.has_recursion, 0
	.set .L_ZN7rocprim17ROCPRIM_400000_NS6detail15block_sort_implIhNS0_10empty_typeELj256ELj32ELNS0_4arch9wavefront6targetE0EvE4sortIN6thrust23THRUST_200600_302600_NS6detail15normal_iteratorINSA_10device_ptrIhEEEESF_PS3_SG_11less_div_10IhEEEvjbT_T0_T1_T2_T3_RNS7_12storage_typeE.has_indirect_call, 0
	.section	.AMDGPU.csdata,"",@progbits
; Function info:
; codeLenInByte = 199452
; TotalNumSgprs: 98
; NumVgprs: 195
; ScratchSize: 8
; MemoryBound: 0
	.section	.text._ZN7rocprim17ROCPRIM_400000_NS6detail17trampoline_kernelINS0_14default_configENS1_37merge_sort_block_sort_config_selectorIhNS0_10empty_typeEEEZNS1_21merge_sort_block_sortIS3_N6thrust23THRUST_200600_302600_NS6detail15normal_iteratorINS9_10device_ptrIhEEEESE_PS5_SF_11less_div_10IhEEE10hipError_tT0_T1_T2_T3_mRjT4_P12ihipStream_tbNS1_7vsmem_tEEUlT_E_NS1_11comp_targetILNS1_3genE8ELNS1_11target_archE1030ELNS1_3gpuE2ELNS1_3repE0EEENS1_30default_config_static_selectorELNS0_4arch9wavefront6targetE0EEEvSK_,"axG",@progbits,_ZN7rocprim17ROCPRIM_400000_NS6detail17trampoline_kernelINS0_14default_configENS1_37merge_sort_block_sort_config_selectorIhNS0_10empty_typeEEEZNS1_21merge_sort_block_sortIS3_N6thrust23THRUST_200600_302600_NS6detail15normal_iteratorINS9_10device_ptrIhEEEESE_PS5_SF_11less_div_10IhEEE10hipError_tT0_T1_T2_T3_mRjT4_P12ihipStream_tbNS1_7vsmem_tEEUlT_E_NS1_11comp_targetILNS1_3genE8ELNS1_11target_archE1030ELNS1_3gpuE2ELNS1_3repE0EEENS1_30default_config_static_selectorELNS0_4arch9wavefront6targetE0EEEvSK_,comdat
	.protected	_ZN7rocprim17ROCPRIM_400000_NS6detail17trampoline_kernelINS0_14default_configENS1_37merge_sort_block_sort_config_selectorIhNS0_10empty_typeEEEZNS1_21merge_sort_block_sortIS3_N6thrust23THRUST_200600_302600_NS6detail15normal_iteratorINS9_10device_ptrIhEEEESE_PS5_SF_11less_div_10IhEEE10hipError_tT0_T1_T2_T3_mRjT4_P12ihipStream_tbNS1_7vsmem_tEEUlT_E_NS1_11comp_targetILNS1_3genE8ELNS1_11target_archE1030ELNS1_3gpuE2ELNS1_3repE0EEENS1_30default_config_static_selectorELNS0_4arch9wavefront6targetE0EEEvSK_ ; -- Begin function _ZN7rocprim17ROCPRIM_400000_NS6detail17trampoline_kernelINS0_14default_configENS1_37merge_sort_block_sort_config_selectorIhNS0_10empty_typeEEEZNS1_21merge_sort_block_sortIS3_N6thrust23THRUST_200600_302600_NS6detail15normal_iteratorINS9_10device_ptrIhEEEESE_PS5_SF_11less_div_10IhEEE10hipError_tT0_T1_T2_T3_mRjT4_P12ihipStream_tbNS1_7vsmem_tEEUlT_E_NS1_11comp_targetILNS1_3genE8ELNS1_11target_archE1030ELNS1_3gpuE2ELNS1_3repE0EEENS1_30default_config_static_selectorELNS0_4arch9wavefront6targetE0EEEvSK_
	.globl	_ZN7rocprim17ROCPRIM_400000_NS6detail17trampoline_kernelINS0_14default_configENS1_37merge_sort_block_sort_config_selectorIhNS0_10empty_typeEEEZNS1_21merge_sort_block_sortIS3_N6thrust23THRUST_200600_302600_NS6detail15normal_iteratorINS9_10device_ptrIhEEEESE_PS5_SF_11less_div_10IhEEE10hipError_tT0_T1_T2_T3_mRjT4_P12ihipStream_tbNS1_7vsmem_tEEUlT_E_NS1_11comp_targetILNS1_3genE8ELNS1_11target_archE1030ELNS1_3gpuE2ELNS1_3repE0EEENS1_30default_config_static_selectorELNS0_4arch9wavefront6targetE0EEEvSK_
	.p2align	8
	.type	_ZN7rocprim17ROCPRIM_400000_NS6detail17trampoline_kernelINS0_14default_configENS1_37merge_sort_block_sort_config_selectorIhNS0_10empty_typeEEEZNS1_21merge_sort_block_sortIS3_N6thrust23THRUST_200600_302600_NS6detail15normal_iteratorINS9_10device_ptrIhEEEESE_PS5_SF_11less_div_10IhEEE10hipError_tT0_T1_T2_T3_mRjT4_P12ihipStream_tbNS1_7vsmem_tEEUlT_E_NS1_11comp_targetILNS1_3genE8ELNS1_11target_archE1030ELNS1_3gpuE2ELNS1_3repE0EEENS1_30default_config_static_selectorELNS0_4arch9wavefront6targetE0EEEvSK_,@function
_ZN7rocprim17ROCPRIM_400000_NS6detail17trampoline_kernelINS0_14default_configENS1_37merge_sort_block_sort_config_selectorIhNS0_10empty_typeEEEZNS1_21merge_sort_block_sortIS3_N6thrust23THRUST_200600_302600_NS6detail15normal_iteratorINS9_10device_ptrIhEEEESE_PS5_SF_11less_div_10IhEEE10hipError_tT0_T1_T2_T3_mRjT4_P12ihipStream_tbNS1_7vsmem_tEEUlT_E_NS1_11comp_targetILNS1_3genE8ELNS1_11target_archE1030ELNS1_3gpuE2ELNS1_3repE0EEENS1_30default_config_static_selectorELNS0_4arch9wavefront6targetE0EEEvSK_: ; @_ZN7rocprim17ROCPRIM_400000_NS6detail17trampoline_kernelINS0_14default_configENS1_37merge_sort_block_sort_config_selectorIhNS0_10empty_typeEEEZNS1_21merge_sort_block_sortIS3_N6thrust23THRUST_200600_302600_NS6detail15normal_iteratorINS9_10device_ptrIhEEEESE_PS5_SF_11less_div_10IhEEE10hipError_tT0_T1_T2_T3_mRjT4_P12ihipStream_tbNS1_7vsmem_tEEUlT_E_NS1_11comp_targetILNS1_3genE8ELNS1_11target_archE1030ELNS1_3gpuE2ELNS1_3repE0EEENS1_30default_config_static_selectorELNS0_4arch9wavefront6targetE0EEEvSK_
; %bb.0:
	s_add_u32 s0, s0, s9
	s_clause 0x1
	s_load_dwordx2 s[10:11], s[4:5], 0x40
	s_load_dword s9, s[4:5], 0x0
	s_addc_u32 s1, s1, 0
	s_mov_b32 s32, 0
	s_waitcnt lgkmcnt(0)
	s_mul_i32 s8, s11, s8
	s_add_i32 s8, s8, s7
	s_mul_i32 s8, s8, s10
	s_add_i32 s8, s8, s6
	s_cmp_ge_u32 s8, s9
	s_cbranch_scc1 .LBB692_2
; %bb.1:
	s_clause 0x1
	s_load_dwordx2 s[10:11], s[4:5], 0x8
	s_load_dwordx4 s[12:15], s[4:5], 0x18
	s_mov_b32 s9, 0
	v_lshlrev_b32_e32 v2, 20, v2
	s_lshl_b64 s[16:17], s[8:9], 13
	v_lshlrev_b32_e32 v1, 10, v1
	v_or3_b32 v31, v0, v1, v2
	s_waitcnt lgkmcnt(0)
	s_lshr_b64 s[18:19], s[10:11], 13
	s_sub_i32 s10, s10, s16
	s_cmp_eq_u64 s[18:19], s[8:9]
	v_mov_b32_e32 v0, s10
	s_cselect_b32 s8, -1, 0
	s_add_u32 s11, s12, s16
	s_addc_u32 s12, s13, s17
	s_add_u32 s13, s14, s16
	s_addc_u32 s14, s15, s17
	v_cndmask_b32_e64 v1, 0, 1, s8
	v_mov_b32_e32 v2, s11
	v_mov_b32_e32 v3, s12
	;; [unrolled: 1-line block ×4, first 2 shown]
	s_add_u32 s8, s4, 64
	s_addc_u32 s9, s5, 0
	s_getpc_b64 s[4:5]
	s_add_u32 s4, s4, _ZN7rocprim17ROCPRIM_400000_NS6detail15block_sort_implIhNS0_10empty_typeELj256ELj32ELNS0_4arch9wavefront6targetE0EvE4sortIN6thrust23THRUST_200600_302600_NS6detail15normal_iteratorINSA_10device_ptrIhEEEESF_PS3_SG_11less_div_10IhEEEvjbT_T0_T1_T2_T3_RNS7_12storage_typeE@rel32@lo+4
	s_addc_u32 s5, s5, _ZN7rocprim17ROCPRIM_400000_NS6detail15block_sort_implIhNS0_10empty_typeELj256ELj32ELNS0_4arch9wavefront6targetE0EvE4sortIN6thrust23THRUST_200600_302600_NS6detail15normal_iteratorINSA_10device_ptrIhEEEESF_PS3_SG_11less_div_10IhEEEvjbT_T0_T1_T2_T3_RNS7_12storage_typeE@rel32@hi+12
	s_mov_b32 s12, s6
	s_mov_b32 s13, s7
	s_swappc_b64 s[30:31], s[4:5]
.LBB692_2:
	s_endpgm
	.section	.rodata,"a",@progbits
	.p2align	6, 0x0
	.amdhsa_kernel _ZN7rocprim17ROCPRIM_400000_NS6detail17trampoline_kernelINS0_14default_configENS1_37merge_sort_block_sort_config_selectorIhNS0_10empty_typeEEEZNS1_21merge_sort_block_sortIS3_N6thrust23THRUST_200600_302600_NS6detail15normal_iteratorINS9_10device_ptrIhEEEESE_PS5_SF_11less_div_10IhEEE10hipError_tT0_T1_T2_T3_mRjT4_P12ihipStream_tbNS1_7vsmem_tEEUlT_E_NS1_11comp_targetILNS1_3genE8ELNS1_11target_archE1030ELNS1_3gpuE2ELNS1_3repE0EEENS1_30default_config_static_selectorELNS0_4arch9wavefront6targetE0EEEvSK_
		.amdhsa_group_segment_fixed_size 8448
		.amdhsa_private_segment_fixed_size 8
		.amdhsa_kernarg_size 320
		.amdhsa_user_sgpr_count 6
		.amdhsa_user_sgpr_private_segment_buffer 1
		.amdhsa_user_sgpr_dispatch_ptr 0
		.amdhsa_user_sgpr_queue_ptr 0
		.amdhsa_user_sgpr_kernarg_segment_ptr 1
		.amdhsa_user_sgpr_dispatch_id 0
		.amdhsa_user_sgpr_flat_scratch_init 0
		.amdhsa_user_sgpr_private_segment_size 0
		.amdhsa_wavefront_size32 1
		.amdhsa_uses_dynamic_stack 0
		.amdhsa_system_sgpr_private_segment_wavefront_offset 1
		.amdhsa_system_sgpr_workgroup_id_x 1
		.amdhsa_system_sgpr_workgroup_id_y 1
		.amdhsa_system_sgpr_workgroup_id_z 1
		.amdhsa_system_sgpr_workgroup_info 0
		.amdhsa_system_vgpr_workitem_id 2
		.amdhsa_next_free_vgpr 195
		.amdhsa_next_free_sgpr 96
		.amdhsa_reserve_vcc 1
		.amdhsa_reserve_flat_scratch 1
		.amdhsa_float_round_mode_32 0
		.amdhsa_float_round_mode_16_64 0
		.amdhsa_float_denorm_mode_32 3
		.amdhsa_float_denorm_mode_16_64 3
		.amdhsa_dx10_clamp 1
		.amdhsa_ieee_mode 1
		.amdhsa_fp16_overflow 0
		.amdhsa_workgroup_processor_mode 1
		.amdhsa_memory_ordered 1
		.amdhsa_forward_progress 1
		.amdhsa_shared_vgpr_count 0
		.amdhsa_exception_fp_ieee_invalid_op 0
		.amdhsa_exception_fp_denorm_src 0
		.amdhsa_exception_fp_ieee_div_zero 0
		.amdhsa_exception_fp_ieee_overflow 0
		.amdhsa_exception_fp_ieee_underflow 0
		.amdhsa_exception_fp_ieee_inexact 0
		.amdhsa_exception_int_div_zero 0
	.end_amdhsa_kernel
	.section	.text._ZN7rocprim17ROCPRIM_400000_NS6detail17trampoline_kernelINS0_14default_configENS1_37merge_sort_block_sort_config_selectorIhNS0_10empty_typeEEEZNS1_21merge_sort_block_sortIS3_N6thrust23THRUST_200600_302600_NS6detail15normal_iteratorINS9_10device_ptrIhEEEESE_PS5_SF_11less_div_10IhEEE10hipError_tT0_T1_T2_T3_mRjT4_P12ihipStream_tbNS1_7vsmem_tEEUlT_E_NS1_11comp_targetILNS1_3genE8ELNS1_11target_archE1030ELNS1_3gpuE2ELNS1_3repE0EEENS1_30default_config_static_selectorELNS0_4arch9wavefront6targetE0EEEvSK_,"axG",@progbits,_ZN7rocprim17ROCPRIM_400000_NS6detail17trampoline_kernelINS0_14default_configENS1_37merge_sort_block_sort_config_selectorIhNS0_10empty_typeEEEZNS1_21merge_sort_block_sortIS3_N6thrust23THRUST_200600_302600_NS6detail15normal_iteratorINS9_10device_ptrIhEEEESE_PS5_SF_11less_div_10IhEEE10hipError_tT0_T1_T2_T3_mRjT4_P12ihipStream_tbNS1_7vsmem_tEEUlT_E_NS1_11comp_targetILNS1_3genE8ELNS1_11target_archE1030ELNS1_3gpuE2ELNS1_3repE0EEENS1_30default_config_static_selectorELNS0_4arch9wavefront6targetE0EEEvSK_,comdat
.Lfunc_end692:
	.size	_ZN7rocprim17ROCPRIM_400000_NS6detail17trampoline_kernelINS0_14default_configENS1_37merge_sort_block_sort_config_selectorIhNS0_10empty_typeEEEZNS1_21merge_sort_block_sortIS3_N6thrust23THRUST_200600_302600_NS6detail15normal_iteratorINS9_10device_ptrIhEEEESE_PS5_SF_11less_div_10IhEEE10hipError_tT0_T1_T2_T3_mRjT4_P12ihipStream_tbNS1_7vsmem_tEEUlT_E_NS1_11comp_targetILNS1_3genE8ELNS1_11target_archE1030ELNS1_3gpuE2ELNS1_3repE0EEENS1_30default_config_static_selectorELNS0_4arch9wavefront6targetE0EEEvSK_, .Lfunc_end692-_ZN7rocprim17ROCPRIM_400000_NS6detail17trampoline_kernelINS0_14default_configENS1_37merge_sort_block_sort_config_selectorIhNS0_10empty_typeEEEZNS1_21merge_sort_block_sortIS3_N6thrust23THRUST_200600_302600_NS6detail15normal_iteratorINS9_10device_ptrIhEEEESE_PS5_SF_11less_div_10IhEEE10hipError_tT0_T1_T2_T3_mRjT4_P12ihipStream_tbNS1_7vsmem_tEEUlT_E_NS1_11comp_targetILNS1_3genE8ELNS1_11target_archE1030ELNS1_3gpuE2ELNS1_3repE0EEENS1_30default_config_static_selectorELNS0_4arch9wavefront6targetE0EEEvSK_
                                        ; -- End function
	.set _ZN7rocprim17ROCPRIM_400000_NS6detail17trampoline_kernelINS0_14default_configENS1_37merge_sort_block_sort_config_selectorIhNS0_10empty_typeEEEZNS1_21merge_sort_block_sortIS3_N6thrust23THRUST_200600_302600_NS6detail15normal_iteratorINS9_10device_ptrIhEEEESE_PS5_SF_11less_div_10IhEEE10hipError_tT0_T1_T2_T3_mRjT4_P12ihipStream_tbNS1_7vsmem_tEEUlT_E_NS1_11comp_targetILNS1_3genE8ELNS1_11target_archE1030ELNS1_3gpuE2ELNS1_3repE0EEENS1_30default_config_static_selectorELNS0_4arch9wavefront6targetE0EEEvSK_.num_vgpr, max(32, .L_ZN7rocprim17ROCPRIM_400000_NS6detail15block_sort_implIhNS0_10empty_typeELj256ELj32ELNS0_4arch9wavefront6targetE0EvE4sortIN6thrust23THRUST_200600_302600_NS6detail15normal_iteratorINSA_10device_ptrIhEEEESF_PS3_SG_11less_div_10IhEEEvjbT_T0_T1_T2_T3_RNS7_12storage_typeE.num_vgpr)
	.set _ZN7rocprim17ROCPRIM_400000_NS6detail17trampoline_kernelINS0_14default_configENS1_37merge_sort_block_sort_config_selectorIhNS0_10empty_typeEEEZNS1_21merge_sort_block_sortIS3_N6thrust23THRUST_200600_302600_NS6detail15normal_iteratorINS9_10device_ptrIhEEEESE_PS5_SF_11less_div_10IhEEE10hipError_tT0_T1_T2_T3_mRjT4_P12ihipStream_tbNS1_7vsmem_tEEUlT_E_NS1_11comp_targetILNS1_3genE8ELNS1_11target_archE1030ELNS1_3gpuE2ELNS1_3repE0EEENS1_30default_config_static_selectorELNS0_4arch9wavefront6targetE0EEEvSK_.num_agpr, max(0, .L_ZN7rocprim17ROCPRIM_400000_NS6detail15block_sort_implIhNS0_10empty_typeELj256ELj32ELNS0_4arch9wavefront6targetE0EvE4sortIN6thrust23THRUST_200600_302600_NS6detail15normal_iteratorINSA_10device_ptrIhEEEESF_PS3_SG_11less_div_10IhEEEvjbT_T0_T1_T2_T3_RNS7_12storage_typeE.num_agpr)
	.set _ZN7rocprim17ROCPRIM_400000_NS6detail17trampoline_kernelINS0_14default_configENS1_37merge_sort_block_sort_config_selectorIhNS0_10empty_typeEEEZNS1_21merge_sort_block_sortIS3_N6thrust23THRUST_200600_302600_NS6detail15normal_iteratorINS9_10device_ptrIhEEEESE_PS5_SF_11less_div_10IhEEE10hipError_tT0_T1_T2_T3_mRjT4_P12ihipStream_tbNS1_7vsmem_tEEUlT_E_NS1_11comp_targetILNS1_3genE8ELNS1_11target_archE1030ELNS1_3gpuE2ELNS1_3repE0EEENS1_30default_config_static_selectorELNS0_4arch9wavefront6targetE0EEEvSK_.numbered_sgpr, max(33, .L_ZN7rocprim17ROCPRIM_400000_NS6detail15block_sort_implIhNS0_10empty_typeELj256ELj32ELNS0_4arch9wavefront6targetE0EvE4sortIN6thrust23THRUST_200600_302600_NS6detail15normal_iteratorINSA_10device_ptrIhEEEESF_PS3_SG_11less_div_10IhEEEvjbT_T0_T1_T2_T3_RNS7_12storage_typeE.numbered_sgpr)
	.set _ZN7rocprim17ROCPRIM_400000_NS6detail17trampoline_kernelINS0_14default_configENS1_37merge_sort_block_sort_config_selectorIhNS0_10empty_typeEEEZNS1_21merge_sort_block_sortIS3_N6thrust23THRUST_200600_302600_NS6detail15normal_iteratorINS9_10device_ptrIhEEEESE_PS5_SF_11less_div_10IhEEE10hipError_tT0_T1_T2_T3_mRjT4_P12ihipStream_tbNS1_7vsmem_tEEUlT_E_NS1_11comp_targetILNS1_3genE8ELNS1_11target_archE1030ELNS1_3gpuE2ELNS1_3repE0EEENS1_30default_config_static_selectorELNS0_4arch9wavefront6targetE0EEEvSK_.num_named_barrier, max(0, .L_ZN7rocprim17ROCPRIM_400000_NS6detail15block_sort_implIhNS0_10empty_typeELj256ELj32ELNS0_4arch9wavefront6targetE0EvE4sortIN6thrust23THRUST_200600_302600_NS6detail15normal_iteratorINSA_10device_ptrIhEEEESF_PS3_SG_11less_div_10IhEEEvjbT_T0_T1_T2_T3_RNS7_12storage_typeE.num_named_barrier)
	.set _ZN7rocprim17ROCPRIM_400000_NS6detail17trampoline_kernelINS0_14default_configENS1_37merge_sort_block_sort_config_selectorIhNS0_10empty_typeEEEZNS1_21merge_sort_block_sortIS3_N6thrust23THRUST_200600_302600_NS6detail15normal_iteratorINS9_10device_ptrIhEEEESE_PS5_SF_11less_div_10IhEEE10hipError_tT0_T1_T2_T3_mRjT4_P12ihipStream_tbNS1_7vsmem_tEEUlT_E_NS1_11comp_targetILNS1_3genE8ELNS1_11target_archE1030ELNS1_3gpuE2ELNS1_3repE0EEENS1_30default_config_static_selectorELNS0_4arch9wavefront6targetE0EEEvSK_.private_seg_size, 0+max(.L_ZN7rocprim17ROCPRIM_400000_NS6detail15block_sort_implIhNS0_10empty_typeELj256ELj32ELNS0_4arch9wavefront6targetE0EvE4sortIN6thrust23THRUST_200600_302600_NS6detail15normal_iteratorINSA_10device_ptrIhEEEESF_PS3_SG_11less_div_10IhEEEvjbT_T0_T1_T2_T3_RNS7_12storage_typeE.private_seg_size)
	.set _ZN7rocprim17ROCPRIM_400000_NS6detail17trampoline_kernelINS0_14default_configENS1_37merge_sort_block_sort_config_selectorIhNS0_10empty_typeEEEZNS1_21merge_sort_block_sortIS3_N6thrust23THRUST_200600_302600_NS6detail15normal_iteratorINS9_10device_ptrIhEEEESE_PS5_SF_11less_div_10IhEEE10hipError_tT0_T1_T2_T3_mRjT4_P12ihipStream_tbNS1_7vsmem_tEEUlT_E_NS1_11comp_targetILNS1_3genE8ELNS1_11target_archE1030ELNS1_3gpuE2ELNS1_3repE0EEENS1_30default_config_static_selectorELNS0_4arch9wavefront6targetE0EEEvSK_.uses_vcc, or(1, .L_ZN7rocprim17ROCPRIM_400000_NS6detail15block_sort_implIhNS0_10empty_typeELj256ELj32ELNS0_4arch9wavefront6targetE0EvE4sortIN6thrust23THRUST_200600_302600_NS6detail15normal_iteratorINSA_10device_ptrIhEEEESF_PS3_SG_11less_div_10IhEEEvjbT_T0_T1_T2_T3_RNS7_12storage_typeE.uses_vcc)
	.set _ZN7rocprim17ROCPRIM_400000_NS6detail17trampoline_kernelINS0_14default_configENS1_37merge_sort_block_sort_config_selectorIhNS0_10empty_typeEEEZNS1_21merge_sort_block_sortIS3_N6thrust23THRUST_200600_302600_NS6detail15normal_iteratorINS9_10device_ptrIhEEEESE_PS5_SF_11less_div_10IhEEE10hipError_tT0_T1_T2_T3_mRjT4_P12ihipStream_tbNS1_7vsmem_tEEUlT_E_NS1_11comp_targetILNS1_3genE8ELNS1_11target_archE1030ELNS1_3gpuE2ELNS1_3repE0EEENS1_30default_config_static_selectorELNS0_4arch9wavefront6targetE0EEEvSK_.uses_flat_scratch, or(0, .L_ZN7rocprim17ROCPRIM_400000_NS6detail15block_sort_implIhNS0_10empty_typeELj256ELj32ELNS0_4arch9wavefront6targetE0EvE4sortIN6thrust23THRUST_200600_302600_NS6detail15normal_iteratorINSA_10device_ptrIhEEEESF_PS3_SG_11less_div_10IhEEEvjbT_T0_T1_T2_T3_RNS7_12storage_typeE.uses_flat_scratch)
	.set _ZN7rocprim17ROCPRIM_400000_NS6detail17trampoline_kernelINS0_14default_configENS1_37merge_sort_block_sort_config_selectorIhNS0_10empty_typeEEEZNS1_21merge_sort_block_sortIS3_N6thrust23THRUST_200600_302600_NS6detail15normal_iteratorINS9_10device_ptrIhEEEESE_PS5_SF_11less_div_10IhEEE10hipError_tT0_T1_T2_T3_mRjT4_P12ihipStream_tbNS1_7vsmem_tEEUlT_E_NS1_11comp_targetILNS1_3genE8ELNS1_11target_archE1030ELNS1_3gpuE2ELNS1_3repE0EEENS1_30default_config_static_selectorELNS0_4arch9wavefront6targetE0EEEvSK_.has_dyn_sized_stack, or(0, .L_ZN7rocprim17ROCPRIM_400000_NS6detail15block_sort_implIhNS0_10empty_typeELj256ELj32ELNS0_4arch9wavefront6targetE0EvE4sortIN6thrust23THRUST_200600_302600_NS6detail15normal_iteratorINSA_10device_ptrIhEEEESF_PS3_SG_11less_div_10IhEEEvjbT_T0_T1_T2_T3_RNS7_12storage_typeE.has_dyn_sized_stack)
	.set _ZN7rocprim17ROCPRIM_400000_NS6detail17trampoline_kernelINS0_14default_configENS1_37merge_sort_block_sort_config_selectorIhNS0_10empty_typeEEEZNS1_21merge_sort_block_sortIS3_N6thrust23THRUST_200600_302600_NS6detail15normal_iteratorINS9_10device_ptrIhEEEESE_PS5_SF_11less_div_10IhEEE10hipError_tT0_T1_T2_T3_mRjT4_P12ihipStream_tbNS1_7vsmem_tEEUlT_E_NS1_11comp_targetILNS1_3genE8ELNS1_11target_archE1030ELNS1_3gpuE2ELNS1_3repE0EEENS1_30default_config_static_selectorELNS0_4arch9wavefront6targetE0EEEvSK_.has_recursion, or(0, .L_ZN7rocprim17ROCPRIM_400000_NS6detail15block_sort_implIhNS0_10empty_typeELj256ELj32ELNS0_4arch9wavefront6targetE0EvE4sortIN6thrust23THRUST_200600_302600_NS6detail15normal_iteratorINSA_10device_ptrIhEEEESF_PS3_SG_11less_div_10IhEEEvjbT_T0_T1_T2_T3_RNS7_12storage_typeE.has_recursion)
	.set _ZN7rocprim17ROCPRIM_400000_NS6detail17trampoline_kernelINS0_14default_configENS1_37merge_sort_block_sort_config_selectorIhNS0_10empty_typeEEEZNS1_21merge_sort_block_sortIS3_N6thrust23THRUST_200600_302600_NS6detail15normal_iteratorINS9_10device_ptrIhEEEESE_PS5_SF_11less_div_10IhEEE10hipError_tT0_T1_T2_T3_mRjT4_P12ihipStream_tbNS1_7vsmem_tEEUlT_E_NS1_11comp_targetILNS1_3genE8ELNS1_11target_archE1030ELNS1_3gpuE2ELNS1_3repE0EEENS1_30default_config_static_selectorELNS0_4arch9wavefront6targetE0EEEvSK_.has_indirect_call, or(0, .L_ZN7rocprim17ROCPRIM_400000_NS6detail15block_sort_implIhNS0_10empty_typeELj256ELj32ELNS0_4arch9wavefront6targetE0EvE4sortIN6thrust23THRUST_200600_302600_NS6detail15normal_iteratorINSA_10device_ptrIhEEEESF_PS3_SG_11less_div_10IhEEEvjbT_T0_T1_T2_T3_RNS7_12storage_typeE.has_indirect_call)
	.section	.AMDGPU.csdata,"",@progbits
; Kernel info:
; codeLenInByte = 212
; TotalNumSgprs: 98
; NumVgprs: 195
; ScratchSize: 8
; MemoryBound: 0
; FloatMode: 240
; IeeeMode: 1
; LDSByteSize: 8448 bytes/workgroup (compile time only)
; SGPRBlocks: 0
; VGPRBlocks: 24
; NumSGPRsForWavesPerEU: 98
; NumVGPRsForWavesPerEU: 195
; Occupancy: 4
; WaveLimiterHint : 1
; COMPUTE_PGM_RSRC2:SCRATCH_EN: 1
; COMPUTE_PGM_RSRC2:USER_SGPR: 6
; COMPUTE_PGM_RSRC2:TRAP_HANDLER: 0
; COMPUTE_PGM_RSRC2:TGID_X_EN: 1
; COMPUTE_PGM_RSRC2:TGID_Y_EN: 1
; COMPUTE_PGM_RSRC2:TGID_Z_EN: 1
; COMPUTE_PGM_RSRC2:TIDIG_COMP_CNT: 2
	.section	.text._ZN7rocprim17ROCPRIM_400000_NS6detail17trampoline_kernelINS0_14default_configENS1_38merge_sort_block_merge_config_selectorIhNS0_10empty_typeEEEZZNS1_27merge_sort_block_merge_implIS3_N6thrust23THRUST_200600_302600_NS6detail15normal_iteratorINS9_10device_ptrIhEEEEPS5_m11less_div_10IhEEE10hipError_tT0_T1_T2_jT3_P12ihipStream_tbPNSt15iterator_traitsISJ_E10value_typeEPNSP_ISK_E10value_typeEPSL_NS1_7vsmem_tEENKUlT_SJ_SK_SL_E_clIPhSE_SF_SF_EESI_SY_SJ_SK_SL_EUlSY_E_NS1_11comp_targetILNS1_3genE0ELNS1_11target_archE4294967295ELNS1_3gpuE0ELNS1_3repE0EEENS1_48merge_mergepath_partition_config_static_selectorELNS0_4arch9wavefront6targetE0EEEvSK_,"axG",@progbits,_ZN7rocprim17ROCPRIM_400000_NS6detail17trampoline_kernelINS0_14default_configENS1_38merge_sort_block_merge_config_selectorIhNS0_10empty_typeEEEZZNS1_27merge_sort_block_merge_implIS3_N6thrust23THRUST_200600_302600_NS6detail15normal_iteratorINS9_10device_ptrIhEEEEPS5_m11less_div_10IhEEE10hipError_tT0_T1_T2_jT3_P12ihipStream_tbPNSt15iterator_traitsISJ_E10value_typeEPNSP_ISK_E10value_typeEPSL_NS1_7vsmem_tEENKUlT_SJ_SK_SL_E_clIPhSE_SF_SF_EESI_SY_SJ_SK_SL_EUlSY_E_NS1_11comp_targetILNS1_3genE0ELNS1_11target_archE4294967295ELNS1_3gpuE0ELNS1_3repE0EEENS1_48merge_mergepath_partition_config_static_selectorELNS0_4arch9wavefront6targetE0EEEvSK_,comdat
	.protected	_ZN7rocprim17ROCPRIM_400000_NS6detail17trampoline_kernelINS0_14default_configENS1_38merge_sort_block_merge_config_selectorIhNS0_10empty_typeEEEZZNS1_27merge_sort_block_merge_implIS3_N6thrust23THRUST_200600_302600_NS6detail15normal_iteratorINS9_10device_ptrIhEEEEPS5_m11less_div_10IhEEE10hipError_tT0_T1_T2_jT3_P12ihipStream_tbPNSt15iterator_traitsISJ_E10value_typeEPNSP_ISK_E10value_typeEPSL_NS1_7vsmem_tEENKUlT_SJ_SK_SL_E_clIPhSE_SF_SF_EESI_SY_SJ_SK_SL_EUlSY_E_NS1_11comp_targetILNS1_3genE0ELNS1_11target_archE4294967295ELNS1_3gpuE0ELNS1_3repE0EEENS1_48merge_mergepath_partition_config_static_selectorELNS0_4arch9wavefront6targetE0EEEvSK_ ; -- Begin function _ZN7rocprim17ROCPRIM_400000_NS6detail17trampoline_kernelINS0_14default_configENS1_38merge_sort_block_merge_config_selectorIhNS0_10empty_typeEEEZZNS1_27merge_sort_block_merge_implIS3_N6thrust23THRUST_200600_302600_NS6detail15normal_iteratorINS9_10device_ptrIhEEEEPS5_m11less_div_10IhEEE10hipError_tT0_T1_T2_jT3_P12ihipStream_tbPNSt15iterator_traitsISJ_E10value_typeEPNSP_ISK_E10value_typeEPSL_NS1_7vsmem_tEENKUlT_SJ_SK_SL_E_clIPhSE_SF_SF_EESI_SY_SJ_SK_SL_EUlSY_E_NS1_11comp_targetILNS1_3genE0ELNS1_11target_archE4294967295ELNS1_3gpuE0ELNS1_3repE0EEENS1_48merge_mergepath_partition_config_static_selectorELNS0_4arch9wavefront6targetE0EEEvSK_
	.globl	_ZN7rocprim17ROCPRIM_400000_NS6detail17trampoline_kernelINS0_14default_configENS1_38merge_sort_block_merge_config_selectorIhNS0_10empty_typeEEEZZNS1_27merge_sort_block_merge_implIS3_N6thrust23THRUST_200600_302600_NS6detail15normal_iteratorINS9_10device_ptrIhEEEEPS5_m11less_div_10IhEEE10hipError_tT0_T1_T2_jT3_P12ihipStream_tbPNSt15iterator_traitsISJ_E10value_typeEPNSP_ISK_E10value_typeEPSL_NS1_7vsmem_tEENKUlT_SJ_SK_SL_E_clIPhSE_SF_SF_EESI_SY_SJ_SK_SL_EUlSY_E_NS1_11comp_targetILNS1_3genE0ELNS1_11target_archE4294967295ELNS1_3gpuE0ELNS1_3repE0EEENS1_48merge_mergepath_partition_config_static_selectorELNS0_4arch9wavefront6targetE0EEEvSK_
	.p2align	8
	.type	_ZN7rocprim17ROCPRIM_400000_NS6detail17trampoline_kernelINS0_14default_configENS1_38merge_sort_block_merge_config_selectorIhNS0_10empty_typeEEEZZNS1_27merge_sort_block_merge_implIS3_N6thrust23THRUST_200600_302600_NS6detail15normal_iteratorINS9_10device_ptrIhEEEEPS5_m11less_div_10IhEEE10hipError_tT0_T1_T2_jT3_P12ihipStream_tbPNSt15iterator_traitsISJ_E10value_typeEPNSP_ISK_E10value_typeEPSL_NS1_7vsmem_tEENKUlT_SJ_SK_SL_E_clIPhSE_SF_SF_EESI_SY_SJ_SK_SL_EUlSY_E_NS1_11comp_targetILNS1_3genE0ELNS1_11target_archE4294967295ELNS1_3gpuE0ELNS1_3repE0EEENS1_48merge_mergepath_partition_config_static_selectorELNS0_4arch9wavefront6targetE0EEEvSK_,@function
_ZN7rocprim17ROCPRIM_400000_NS6detail17trampoline_kernelINS0_14default_configENS1_38merge_sort_block_merge_config_selectorIhNS0_10empty_typeEEEZZNS1_27merge_sort_block_merge_implIS3_N6thrust23THRUST_200600_302600_NS6detail15normal_iteratorINS9_10device_ptrIhEEEEPS5_m11less_div_10IhEEE10hipError_tT0_T1_T2_jT3_P12ihipStream_tbPNSt15iterator_traitsISJ_E10value_typeEPNSP_ISK_E10value_typeEPSL_NS1_7vsmem_tEENKUlT_SJ_SK_SL_E_clIPhSE_SF_SF_EESI_SY_SJ_SK_SL_EUlSY_E_NS1_11comp_targetILNS1_3genE0ELNS1_11target_archE4294967295ELNS1_3gpuE0ELNS1_3repE0EEENS1_48merge_mergepath_partition_config_static_selectorELNS0_4arch9wavefront6targetE0EEEvSK_: ; @_ZN7rocprim17ROCPRIM_400000_NS6detail17trampoline_kernelINS0_14default_configENS1_38merge_sort_block_merge_config_selectorIhNS0_10empty_typeEEEZZNS1_27merge_sort_block_merge_implIS3_N6thrust23THRUST_200600_302600_NS6detail15normal_iteratorINS9_10device_ptrIhEEEEPS5_m11less_div_10IhEEE10hipError_tT0_T1_T2_jT3_P12ihipStream_tbPNSt15iterator_traitsISJ_E10value_typeEPNSP_ISK_E10value_typeEPSL_NS1_7vsmem_tEENKUlT_SJ_SK_SL_E_clIPhSE_SF_SF_EESI_SY_SJ_SK_SL_EUlSY_E_NS1_11comp_targetILNS1_3genE0ELNS1_11target_archE4294967295ELNS1_3gpuE0ELNS1_3repE0EEENS1_48merge_mergepath_partition_config_static_selectorELNS0_4arch9wavefront6targetE0EEEvSK_
; %bb.0:
	.section	.rodata,"a",@progbits
	.p2align	6, 0x0
	.amdhsa_kernel _ZN7rocprim17ROCPRIM_400000_NS6detail17trampoline_kernelINS0_14default_configENS1_38merge_sort_block_merge_config_selectorIhNS0_10empty_typeEEEZZNS1_27merge_sort_block_merge_implIS3_N6thrust23THRUST_200600_302600_NS6detail15normal_iteratorINS9_10device_ptrIhEEEEPS5_m11less_div_10IhEEE10hipError_tT0_T1_T2_jT3_P12ihipStream_tbPNSt15iterator_traitsISJ_E10value_typeEPNSP_ISK_E10value_typeEPSL_NS1_7vsmem_tEENKUlT_SJ_SK_SL_E_clIPhSE_SF_SF_EESI_SY_SJ_SK_SL_EUlSY_E_NS1_11comp_targetILNS1_3genE0ELNS1_11target_archE4294967295ELNS1_3gpuE0ELNS1_3repE0EEENS1_48merge_mergepath_partition_config_static_selectorELNS0_4arch9wavefront6targetE0EEEvSK_
		.amdhsa_group_segment_fixed_size 0
		.amdhsa_private_segment_fixed_size 0
		.amdhsa_kernarg_size 48
		.amdhsa_user_sgpr_count 6
		.amdhsa_user_sgpr_private_segment_buffer 1
		.amdhsa_user_sgpr_dispatch_ptr 0
		.amdhsa_user_sgpr_queue_ptr 0
		.amdhsa_user_sgpr_kernarg_segment_ptr 1
		.amdhsa_user_sgpr_dispatch_id 0
		.amdhsa_user_sgpr_flat_scratch_init 0
		.amdhsa_user_sgpr_private_segment_size 0
		.amdhsa_wavefront_size32 1
		.amdhsa_uses_dynamic_stack 0
		.amdhsa_system_sgpr_private_segment_wavefront_offset 0
		.amdhsa_system_sgpr_workgroup_id_x 1
		.amdhsa_system_sgpr_workgroup_id_y 0
		.amdhsa_system_sgpr_workgroup_id_z 0
		.amdhsa_system_sgpr_workgroup_info 0
		.amdhsa_system_vgpr_workitem_id 0
		.amdhsa_next_free_vgpr 1
		.amdhsa_next_free_sgpr 1
		.amdhsa_reserve_vcc 0
		.amdhsa_reserve_flat_scratch 0
		.amdhsa_float_round_mode_32 0
		.amdhsa_float_round_mode_16_64 0
		.amdhsa_float_denorm_mode_32 3
		.amdhsa_float_denorm_mode_16_64 3
		.amdhsa_dx10_clamp 1
		.amdhsa_ieee_mode 1
		.amdhsa_fp16_overflow 0
		.amdhsa_workgroup_processor_mode 1
		.amdhsa_memory_ordered 1
		.amdhsa_forward_progress 1
		.amdhsa_shared_vgpr_count 0
		.amdhsa_exception_fp_ieee_invalid_op 0
		.amdhsa_exception_fp_denorm_src 0
		.amdhsa_exception_fp_ieee_div_zero 0
		.amdhsa_exception_fp_ieee_overflow 0
		.amdhsa_exception_fp_ieee_underflow 0
		.amdhsa_exception_fp_ieee_inexact 0
		.amdhsa_exception_int_div_zero 0
	.end_amdhsa_kernel
	.section	.text._ZN7rocprim17ROCPRIM_400000_NS6detail17trampoline_kernelINS0_14default_configENS1_38merge_sort_block_merge_config_selectorIhNS0_10empty_typeEEEZZNS1_27merge_sort_block_merge_implIS3_N6thrust23THRUST_200600_302600_NS6detail15normal_iteratorINS9_10device_ptrIhEEEEPS5_m11less_div_10IhEEE10hipError_tT0_T1_T2_jT3_P12ihipStream_tbPNSt15iterator_traitsISJ_E10value_typeEPNSP_ISK_E10value_typeEPSL_NS1_7vsmem_tEENKUlT_SJ_SK_SL_E_clIPhSE_SF_SF_EESI_SY_SJ_SK_SL_EUlSY_E_NS1_11comp_targetILNS1_3genE0ELNS1_11target_archE4294967295ELNS1_3gpuE0ELNS1_3repE0EEENS1_48merge_mergepath_partition_config_static_selectorELNS0_4arch9wavefront6targetE0EEEvSK_,"axG",@progbits,_ZN7rocprim17ROCPRIM_400000_NS6detail17trampoline_kernelINS0_14default_configENS1_38merge_sort_block_merge_config_selectorIhNS0_10empty_typeEEEZZNS1_27merge_sort_block_merge_implIS3_N6thrust23THRUST_200600_302600_NS6detail15normal_iteratorINS9_10device_ptrIhEEEEPS5_m11less_div_10IhEEE10hipError_tT0_T1_T2_jT3_P12ihipStream_tbPNSt15iterator_traitsISJ_E10value_typeEPNSP_ISK_E10value_typeEPSL_NS1_7vsmem_tEENKUlT_SJ_SK_SL_E_clIPhSE_SF_SF_EESI_SY_SJ_SK_SL_EUlSY_E_NS1_11comp_targetILNS1_3genE0ELNS1_11target_archE4294967295ELNS1_3gpuE0ELNS1_3repE0EEENS1_48merge_mergepath_partition_config_static_selectorELNS0_4arch9wavefront6targetE0EEEvSK_,comdat
.Lfunc_end693:
	.size	_ZN7rocprim17ROCPRIM_400000_NS6detail17trampoline_kernelINS0_14default_configENS1_38merge_sort_block_merge_config_selectorIhNS0_10empty_typeEEEZZNS1_27merge_sort_block_merge_implIS3_N6thrust23THRUST_200600_302600_NS6detail15normal_iteratorINS9_10device_ptrIhEEEEPS5_m11less_div_10IhEEE10hipError_tT0_T1_T2_jT3_P12ihipStream_tbPNSt15iterator_traitsISJ_E10value_typeEPNSP_ISK_E10value_typeEPSL_NS1_7vsmem_tEENKUlT_SJ_SK_SL_E_clIPhSE_SF_SF_EESI_SY_SJ_SK_SL_EUlSY_E_NS1_11comp_targetILNS1_3genE0ELNS1_11target_archE4294967295ELNS1_3gpuE0ELNS1_3repE0EEENS1_48merge_mergepath_partition_config_static_selectorELNS0_4arch9wavefront6targetE0EEEvSK_, .Lfunc_end693-_ZN7rocprim17ROCPRIM_400000_NS6detail17trampoline_kernelINS0_14default_configENS1_38merge_sort_block_merge_config_selectorIhNS0_10empty_typeEEEZZNS1_27merge_sort_block_merge_implIS3_N6thrust23THRUST_200600_302600_NS6detail15normal_iteratorINS9_10device_ptrIhEEEEPS5_m11less_div_10IhEEE10hipError_tT0_T1_T2_jT3_P12ihipStream_tbPNSt15iterator_traitsISJ_E10value_typeEPNSP_ISK_E10value_typeEPSL_NS1_7vsmem_tEENKUlT_SJ_SK_SL_E_clIPhSE_SF_SF_EESI_SY_SJ_SK_SL_EUlSY_E_NS1_11comp_targetILNS1_3genE0ELNS1_11target_archE4294967295ELNS1_3gpuE0ELNS1_3repE0EEENS1_48merge_mergepath_partition_config_static_selectorELNS0_4arch9wavefront6targetE0EEEvSK_
                                        ; -- End function
	.set _ZN7rocprim17ROCPRIM_400000_NS6detail17trampoline_kernelINS0_14default_configENS1_38merge_sort_block_merge_config_selectorIhNS0_10empty_typeEEEZZNS1_27merge_sort_block_merge_implIS3_N6thrust23THRUST_200600_302600_NS6detail15normal_iteratorINS9_10device_ptrIhEEEEPS5_m11less_div_10IhEEE10hipError_tT0_T1_T2_jT3_P12ihipStream_tbPNSt15iterator_traitsISJ_E10value_typeEPNSP_ISK_E10value_typeEPSL_NS1_7vsmem_tEENKUlT_SJ_SK_SL_E_clIPhSE_SF_SF_EESI_SY_SJ_SK_SL_EUlSY_E_NS1_11comp_targetILNS1_3genE0ELNS1_11target_archE4294967295ELNS1_3gpuE0ELNS1_3repE0EEENS1_48merge_mergepath_partition_config_static_selectorELNS0_4arch9wavefront6targetE0EEEvSK_.num_vgpr, 0
	.set _ZN7rocprim17ROCPRIM_400000_NS6detail17trampoline_kernelINS0_14default_configENS1_38merge_sort_block_merge_config_selectorIhNS0_10empty_typeEEEZZNS1_27merge_sort_block_merge_implIS3_N6thrust23THRUST_200600_302600_NS6detail15normal_iteratorINS9_10device_ptrIhEEEEPS5_m11less_div_10IhEEE10hipError_tT0_T1_T2_jT3_P12ihipStream_tbPNSt15iterator_traitsISJ_E10value_typeEPNSP_ISK_E10value_typeEPSL_NS1_7vsmem_tEENKUlT_SJ_SK_SL_E_clIPhSE_SF_SF_EESI_SY_SJ_SK_SL_EUlSY_E_NS1_11comp_targetILNS1_3genE0ELNS1_11target_archE4294967295ELNS1_3gpuE0ELNS1_3repE0EEENS1_48merge_mergepath_partition_config_static_selectorELNS0_4arch9wavefront6targetE0EEEvSK_.num_agpr, 0
	.set _ZN7rocprim17ROCPRIM_400000_NS6detail17trampoline_kernelINS0_14default_configENS1_38merge_sort_block_merge_config_selectorIhNS0_10empty_typeEEEZZNS1_27merge_sort_block_merge_implIS3_N6thrust23THRUST_200600_302600_NS6detail15normal_iteratorINS9_10device_ptrIhEEEEPS5_m11less_div_10IhEEE10hipError_tT0_T1_T2_jT3_P12ihipStream_tbPNSt15iterator_traitsISJ_E10value_typeEPNSP_ISK_E10value_typeEPSL_NS1_7vsmem_tEENKUlT_SJ_SK_SL_E_clIPhSE_SF_SF_EESI_SY_SJ_SK_SL_EUlSY_E_NS1_11comp_targetILNS1_3genE0ELNS1_11target_archE4294967295ELNS1_3gpuE0ELNS1_3repE0EEENS1_48merge_mergepath_partition_config_static_selectorELNS0_4arch9wavefront6targetE0EEEvSK_.numbered_sgpr, 0
	.set _ZN7rocprim17ROCPRIM_400000_NS6detail17trampoline_kernelINS0_14default_configENS1_38merge_sort_block_merge_config_selectorIhNS0_10empty_typeEEEZZNS1_27merge_sort_block_merge_implIS3_N6thrust23THRUST_200600_302600_NS6detail15normal_iteratorINS9_10device_ptrIhEEEEPS5_m11less_div_10IhEEE10hipError_tT0_T1_T2_jT3_P12ihipStream_tbPNSt15iterator_traitsISJ_E10value_typeEPNSP_ISK_E10value_typeEPSL_NS1_7vsmem_tEENKUlT_SJ_SK_SL_E_clIPhSE_SF_SF_EESI_SY_SJ_SK_SL_EUlSY_E_NS1_11comp_targetILNS1_3genE0ELNS1_11target_archE4294967295ELNS1_3gpuE0ELNS1_3repE0EEENS1_48merge_mergepath_partition_config_static_selectorELNS0_4arch9wavefront6targetE0EEEvSK_.num_named_barrier, 0
	.set _ZN7rocprim17ROCPRIM_400000_NS6detail17trampoline_kernelINS0_14default_configENS1_38merge_sort_block_merge_config_selectorIhNS0_10empty_typeEEEZZNS1_27merge_sort_block_merge_implIS3_N6thrust23THRUST_200600_302600_NS6detail15normal_iteratorINS9_10device_ptrIhEEEEPS5_m11less_div_10IhEEE10hipError_tT0_T1_T2_jT3_P12ihipStream_tbPNSt15iterator_traitsISJ_E10value_typeEPNSP_ISK_E10value_typeEPSL_NS1_7vsmem_tEENKUlT_SJ_SK_SL_E_clIPhSE_SF_SF_EESI_SY_SJ_SK_SL_EUlSY_E_NS1_11comp_targetILNS1_3genE0ELNS1_11target_archE4294967295ELNS1_3gpuE0ELNS1_3repE0EEENS1_48merge_mergepath_partition_config_static_selectorELNS0_4arch9wavefront6targetE0EEEvSK_.private_seg_size, 0
	.set _ZN7rocprim17ROCPRIM_400000_NS6detail17trampoline_kernelINS0_14default_configENS1_38merge_sort_block_merge_config_selectorIhNS0_10empty_typeEEEZZNS1_27merge_sort_block_merge_implIS3_N6thrust23THRUST_200600_302600_NS6detail15normal_iteratorINS9_10device_ptrIhEEEEPS5_m11less_div_10IhEEE10hipError_tT0_T1_T2_jT3_P12ihipStream_tbPNSt15iterator_traitsISJ_E10value_typeEPNSP_ISK_E10value_typeEPSL_NS1_7vsmem_tEENKUlT_SJ_SK_SL_E_clIPhSE_SF_SF_EESI_SY_SJ_SK_SL_EUlSY_E_NS1_11comp_targetILNS1_3genE0ELNS1_11target_archE4294967295ELNS1_3gpuE0ELNS1_3repE0EEENS1_48merge_mergepath_partition_config_static_selectorELNS0_4arch9wavefront6targetE0EEEvSK_.uses_vcc, 0
	.set _ZN7rocprim17ROCPRIM_400000_NS6detail17trampoline_kernelINS0_14default_configENS1_38merge_sort_block_merge_config_selectorIhNS0_10empty_typeEEEZZNS1_27merge_sort_block_merge_implIS3_N6thrust23THRUST_200600_302600_NS6detail15normal_iteratorINS9_10device_ptrIhEEEEPS5_m11less_div_10IhEEE10hipError_tT0_T1_T2_jT3_P12ihipStream_tbPNSt15iterator_traitsISJ_E10value_typeEPNSP_ISK_E10value_typeEPSL_NS1_7vsmem_tEENKUlT_SJ_SK_SL_E_clIPhSE_SF_SF_EESI_SY_SJ_SK_SL_EUlSY_E_NS1_11comp_targetILNS1_3genE0ELNS1_11target_archE4294967295ELNS1_3gpuE0ELNS1_3repE0EEENS1_48merge_mergepath_partition_config_static_selectorELNS0_4arch9wavefront6targetE0EEEvSK_.uses_flat_scratch, 0
	.set _ZN7rocprim17ROCPRIM_400000_NS6detail17trampoline_kernelINS0_14default_configENS1_38merge_sort_block_merge_config_selectorIhNS0_10empty_typeEEEZZNS1_27merge_sort_block_merge_implIS3_N6thrust23THRUST_200600_302600_NS6detail15normal_iteratorINS9_10device_ptrIhEEEEPS5_m11less_div_10IhEEE10hipError_tT0_T1_T2_jT3_P12ihipStream_tbPNSt15iterator_traitsISJ_E10value_typeEPNSP_ISK_E10value_typeEPSL_NS1_7vsmem_tEENKUlT_SJ_SK_SL_E_clIPhSE_SF_SF_EESI_SY_SJ_SK_SL_EUlSY_E_NS1_11comp_targetILNS1_3genE0ELNS1_11target_archE4294967295ELNS1_3gpuE0ELNS1_3repE0EEENS1_48merge_mergepath_partition_config_static_selectorELNS0_4arch9wavefront6targetE0EEEvSK_.has_dyn_sized_stack, 0
	.set _ZN7rocprim17ROCPRIM_400000_NS6detail17trampoline_kernelINS0_14default_configENS1_38merge_sort_block_merge_config_selectorIhNS0_10empty_typeEEEZZNS1_27merge_sort_block_merge_implIS3_N6thrust23THRUST_200600_302600_NS6detail15normal_iteratorINS9_10device_ptrIhEEEEPS5_m11less_div_10IhEEE10hipError_tT0_T1_T2_jT3_P12ihipStream_tbPNSt15iterator_traitsISJ_E10value_typeEPNSP_ISK_E10value_typeEPSL_NS1_7vsmem_tEENKUlT_SJ_SK_SL_E_clIPhSE_SF_SF_EESI_SY_SJ_SK_SL_EUlSY_E_NS1_11comp_targetILNS1_3genE0ELNS1_11target_archE4294967295ELNS1_3gpuE0ELNS1_3repE0EEENS1_48merge_mergepath_partition_config_static_selectorELNS0_4arch9wavefront6targetE0EEEvSK_.has_recursion, 0
	.set _ZN7rocprim17ROCPRIM_400000_NS6detail17trampoline_kernelINS0_14default_configENS1_38merge_sort_block_merge_config_selectorIhNS0_10empty_typeEEEZZNS1_27merge_sort_block_merge_implIS3_N6thrust23THRUST_200600_302600_NS6detail15normal_iteratorINS9_10device_ptrIhEEEEPS5_m11less_div_10IhEEE10hipError_tT0_T1_T2_jT3_P12ihipStream_tbPNSt15iterator_traitsISJ_E10value_typeEPNSP_ISK_E10value_typeEPSL_NS1_7vsmem_tEENKUlT_SJ_SK_SL_E_clIPhSE_SF_SF_EESI_SY_SJ_SK_SL_EUlSY_E_NS1_11comp_targetILNS1_3genE0ELNS1_11target_archE4294967295ELNS1_3gpuE0ELNS1_3repE0EEENS1_48merge_mergepath_partition_config_static_selectorELNS0_4arch9wavefront6targetE0EEEvSK_.has_indirect_call, 0
	.section	.AMDGPU.csdata,"",@progbits
; Kernel info:
; codeLenInByte = 0
; TotalNumSgprs: 0
; NumVgprs: 0
; ScratchSize: 0
; MemoryBound: 0
; FloatMode: 240
; IeeeMode: 1
; LDSByteSize: 0 bytes/workgroup (compile time only)
; SGPRBlocks: 0
; VGPRBlocks: 0
; NumSGPRsForWavesPerEU: 1
; NumVGPRsForWavesPerEU: 1
; Occupancy: 16
; WaveLimiterHint : 0
; COMPUTE_PGM_RSRC2:SCRATCH_EN: 0
; COMPUTE_PGM_RSRC2:USER_SGPR: 6
; COMPUTE_PGM_RSRC2:TRAP_HANDLER: 0
; COMPUTE_PGM_RSRC2:TGID_X_EN: 1
; COMPUTE_PGM_RSRC2:TGID_Y_EN: 0
; COMPUTE_PGM_RSRC2:TGID_Z_EN: 0
; COMPUTE_PGM_RSRC2:TIDIG_COMP_CNT: 0
	.section	.text._ZN7rocprim17ROCPRIM_400000_NS6detail17trampoline_kernelINS0_14default_configENS1_38merge_sort_block_merge_config_selectorIhNS0_10empty_typeEEEZZNS1_27merge_sort_block_merge_implIS3_N6thrust23THRUST_200600_302600_NS6detail15normal_iteratorINS9_10device_ptrIhEEEEPS5_m11less_div_10IhEEE10hipError_tT0_T1_T2_jT3_P12ihipStream_tbPNSt15iterator_traitsISJ_E10value_typeEPNSP_ISK_E10value_typeEPSL_NS1_7vsmem_tEENKUlT_SJ_SK_SL_E_clIPhSE_SF_SF_EESI_SY_SJ_SK_SL_EUlSY_E_NS1_11comp_targetILNS1_3genE10ELNS1_11target_archE1201ELNS1_3gpuE5ELNS1_3repE0EEENS1_48merge_mergepath_partition_config_static_selectorELNS0_4arch9wavefront6targetE0EEEvSK_,"axG",@progbits,_ZN7rocprim17ROCPRIM_400000_NS6detail17trampoline_kernelINS0_14default_configENS1_38merge_sort_block_merge_config_selectorIhNS0_10empty_typeEEEZZNS1_27merge_sort_block_merge_implIS3_N6thrust23THRUST_200600_302600_NS6detail15normal_iteratorINS9_10device_ptrIhEEEEPS5_m11less_div_10IhEEE10hipError_tT0_T1_T2_jT3_P12ihipStream_tbPNSt15iterator_traitsISJ_E10value_typeEPNSP_ISK_E10value_typeEPSL_NS1_7vsmem_tEENKUlT_SJ_SK_SL_E_clIPhSE_SF_SF_EESI_SY_SJ_SK_SL_EUlSY_E_NS1_11comp_targetILNS1_3genE10ELNS1_11target_archE1201ELNS1_3gpuE5ELNS1_3repE0EEENS1_48merge_mergepath_partition_config_static_selectorELNS0_4arch9wavefront6targetE0EEEvSK_,comdat
	.protected	_ZN7rocprim17ROCPRIM_400000_NS6detail17trampoline_kernelINS0_14default_configENS1_38merge_sort_block_merge_config_selectorIhNS0_10empty_typeEEEZZNS1_27merge_sort_block_merge_implIS3_N6thrust23THRUST_200600_302600_NS6detail15normal_iteratorINS9_10device_ptrIhEEEEPS5_m11less_div_10IhEEE10hipError_tT0_T1_T2_jT3_P12ihipStream_tbPNSt15iterator_traitsISJ_E10value_typeEPNSP_ISK_E10value_typeEPSL_NS1_7vsmem_tEENKUlT_SJ_SK_SL_E_clIPhSE_SF_SF_EESI_SY_SJ_SK_SL_EUlSY_E_NS1_11comp_targetILNS1_3genE10ELNS1_11target_archE1201ELNS1_3gpuE5ELNS1_3repE0EEENS1_48merge_mergepath_partition_config_static_selectorELNS0_4arch9wavefront6targetE0EEEvSK_ ; -- Begin function _ZN7rocprim17ROCPRIM_400000_NS6detail17trampoline_kernelINS0_14default_configENS1_38merge_sort_block_merge_config_selectorIhNS0_10empty_typeEEEZZNS1_27merge_sort_block_merge_implIS3_N6thrust23THRUST_200600_302600_NS6detail15normal_iteratorINS9_10device_ptrIhEEEEPS5_m11less_div_10IhEEE10hipError_tT0_T1_T2_jT3_P12ihipStream_tbPNSt15iterator_traitsISJ_E10value_typeEPNSP_ISK_E10value_typeEPSL_NS1_7vsmem_tEENKUlT_SJ_SK_SL_E_clIPhSE_SF_SF_EESI_SY_SJ_SK_SL_EUlSY_E_NS1_11comp_targetILNS1_3genE10ELNS1_11target_archE1201ELNS1_3gpuE5ELNS1_3repE0EEENS1_48merge_mergepath_partition_config_static_selectorELNS0_4arch9wavefront6targetE0EEEvSK_
	.globl	_ZN7rocprim17ROCPRIM_400000_NS6detail17trampoline_kernelINS0_14default_configENS1_38merge_sort_block_merge_config_selectorIhNS0_10empty_typeEEEZZNS1_27merge_sort_block_merge_implIS3_N6thrust23THRUST_200600_302600_NS6detail15normal_iteratorINS9_10device_ptrIhEEEEPS5_m11less_div_10IhEEE10hipError_tT0_T1_T2_jT3_P12ihipStream_tbPNSt15iterator_traitsISJ_E10value_typeEPNSP_ISK_E10value_typeEPSL_NS1_7vsmem_tEENKUlT_SJ_SK_SL_E_clIPhSE_SF_SF_EESI_SY_SJ_SK_SL_EUlSY_E_NS1_11comp_targetILNS1_3genE10ELNS1_11target_archE1201ELNS1_3gpuE5ELNS1_3repE0EEENS1_48merge_mergepath_partition_config_static_selectorELNS0_4arch9wavefront6targetE0EEEvSK_
	.p2align	8
	.type	_ZN7rocprim17ROCPRIM_400000_NS6detail17trampoline_kernelINS0_14default_configENS1_38merge_sort_block_merge_config_selectorIhNS0_10empty_typeEEEZZNS1_27merge_sort_block_merge_implIS3_N6thrust23THRUST_200600_302600_NS6detail15normal_iteratorINS9_10device_ptrIhEEEEPS5_m11less_div_10IhEEE10hipError_tT0_T1_T2_jT3_P12ihipStream_tbPNSt15iterator_traitsISJ_E10value_typeEPNSP_ISK_E10value_typeEPSL_NS1_7vsmem_tEENKUlT_SJ_SK_SL_E_clIPhSE_SF_SF_EESI_SY_SJ_SK_SL_EUlSY_E_NS1_11comp_targetILNS1_3genE10ELNS1_11target_archE1201ELNS1_3gpuE5ELNS1_3repE0EEENS1_48merge_mergepath_partition_config_static_selectorELNS0_4arch9wavefront6targetE0EEEvSK_,@function
_ZN7rocprim17ROCPRIM_400000_NS6detail17trampoline_kernelINS0_14default_configENS1_38merge_sort_block_merge_config_selectorIhNS0_10empty_typeEEEZZNS1_27merge_sort_block_merge_implIS3_N6thrust23THRUST_200600_302600_NS6detail15normal_iteratorINS9_10device_ptrIhEEEEPS5_m11less_div_10IhEEE10hipError_tT0_T1_T2_jT3_P12ihipStream_tbPNSt15iterator_traitsISJ_E10value_typeEPNSP_ISK_E10value_typeEPSL_NS1_7vsmem_tEENKUlT_SJ_SK_SL_E_clIPhSE_SF_SF_EESI_SY_SJ_SK_SL_EUlSY_E_NS1_11comp_targetILNS1_3genE10ELNS1_11target_archE1201ELNS1_3gpuE5ELNS1_3repE0EEENS1_48merge_mergepath_partition_config_static_selectorELNS0_4arch9wavefront6targetE0EEEvSK_: ; @_ZN7rocprim17ROCPRIM_400000_NS6detail17trampoline_kernelINS0_14default_configENS1_38merge_sort_block_merge_config_selectorIhNS0_10empty_typeEEEZZNS1_27merge_sort_block_merge_implIS3_N6thrust23THRUST_200600_302600_NS6detail15normal_iteratorINS9_10device_ptrIhEEEEPS5_m11less_div_10IhEEE10hipError_tT0_T1_T2_jT3_P12ihipStream_tbPNSt15iterator_traitsISJ_E10value_typeEPNSP_ISK_E10value_typeEPSL_NS1_7vsmem_tEENKUlT_SJ_SK_SL_E_clIPhSE_SF_SF_EESI_SY_SJ_SK_SL_EUlSY_E_NS1_11comp_targetILNS1_3genE10ELNS1_11target_archE1201ELNS1_3gpuE5ELNS1_3repE0EEENS1_48merge_mergepath_partition_config_static_selectorELNS0_4arch9wavefront6targetE0EEEvSK_
; %bb.0:
	.section	.rodata,"a",@progbits
	.p2align	6, 0x0
	.amdhsa_kernel _ZN7rocprim17ROCPRIM_400000_NS6detail17trampoline_kernelINS0_14default_configENS1_38merge_sort_block_merge_config_selectorIhNS0_10empty_typeEEEZZNS1_27merge_sort_block_merge_implIS3_N6thrust23THRUST_200600_302600_NS6detail15normal_iteratorINS9_10device_ptrIhEEEEPS5_m11less_div_10IhEEE10hipError_tT0_T1_T2_jT3_P12ihipStream_tbPNSt15iterator_traitsISJ_E10value_typeEPNSP_ISK_E10value_typeEPSL_NS1_7vsmem_tEENKUlT_SJ_SK_SL_E_clIPhSE_SF_SF_EESI_SY_SJ_SK_SL_EUlSY_E_NS1_11comp_targetILNS1_3genE10ELNS1_11target_archE1201ELNS1_3gpuE5ELNS1_3repE0EEENS1_48merge_mergepath_partition_config_static_selectorELNS0_4arch9wavefront6targetE0EEEvSK_
		.amdhsa_group_segment_fixed_size 0
		.amdhsa_private_segment_fixed_size 0
		.amdhsa_kernarg_size 48
		.amdhsa_user_sgpr_count 6
		.amdhsa_user_sgpr_private_segment_buffer 1
		.amdhsa_user_sgpr_dispatch_ptr 0
		.amdhsa_user_sgpr_queue_ptr 0
		.amdhsa_user_sgpr_kernarg_segment_ptr 1
		.amdhsa_user_sgpr_dispatch_id 0
		.amdhsa_user_sgpr_flat_scratch_init 0
		.amdhsa_user_sgpr_private_segment_size 0
		.amdhsa_wavefront_size32 1
		.amdhsa_uses_dynamic_stack 0
		.amdhsa_system_sgpr_private_segment_wavefront_offset 0
		.amdhsa_system_sgpr_workgroup_id_x 1
		.amdhsa_system_sgpr_workgroup_id_y 0
		.amdhsa_system_sgpr_workgroup_id_z 0
		.amdhsa_system_sgpr_workgroup_info 0
		.amdhsa_system_vgpr_workitem_id 0
		.amdhsa_next_free_vgpr 1
		.amdhsa_next_free_sgpr 1
		.amdhsa_reserve_vcc 0
		.amdhsa_reserve_flat_scratch 0
		.amdhsa_float_round_mode_32 0
		.amdhsa_float_round_mode_16_64 0
		.amdhsa_float_denorm_mode_32 3
		.amdhsa_float_denorm_mode_16_64 3
		.amdhsa_dx10_clamp 1
		.amdhsa_ieee_mode 1
		.amdhsa_fp16_overflow 0
		.amdhsa_workgroup_processor_mode 1
		.amdhsa_memory_ordered 1
		.amdhsa_forward_progress 1
		.amdhsa_shared_vgpr_count 0
		.amdhsa_exception_fp_ieee_invalid_op 0
		.amdhsa_exception_fp_denorm_src 0
		.amdhsa_exception_fp_ieee_div_zero 0
		.amdhsa_exception_fp_ieee_overflow 0
		.amdhsa_exception_fp_ieee_underflow 0
		.amdhsa_exception_fp_ieee_inexact 0
		.amdhsa_exception_int_div_zero 0
	.end_amdhsa_kernel
	.section	.text._ZN7rocprim17ROCPRIM_400000_NS6detail17trampoline_kernelINS0_14default_configENS1_38merge_sort_block_merge_config_selectorIhNS0_10empty_typeEEEZZNS1_27merge_sort_block_merge_implIS3_N6thrust23THRUST_200600_302600_NS6detail15normal_iteratorINS9_10device_ptrIhEEEEPS5_m11less_div_10IhEEE10hipError_tT0_T1_T2_jT3_P12ihipStream_tbPNSt15iterator_traitsISJ_E10value_typeEPNSP_ISK_E10value_typeEPSL_NS1_7vsmem_tEENKUlT_SJ_SK_SL_E_clIPhSE_SF_SF_EESI_SY_SJ_SK_SL_EUlSY_E_NS1_11comp_targetILNS1_3genE10ELNS1_11target_archE1201ELNS1_3gpuE5ELNS1_3repE0EEENS1_48merge_mergepath_partition_config_static_selectorELNS0_4arch9wavefront6targetE0EEEvSK_,"axG",@progbits,_ZN7rocprim17ROCPRIM_400000_NS6detail17trampoline_kernelINS0_14default_configENS1_38merge_sort_block_merge_config_selectorIhNS0_10empty_typeEEEZZNS1_27merge_sort_block_merge_implIS3_N6thrust23THRUST_200600_302600_NS6detail15normal_iteratorINS9_10device_ptrIhEEEEPS5_m11less_div_10IhEEE10hipError_tT0_T1_T2_jT3_P12ihipStream_tbPNSt15iterator_traitsISJ_E10value_typeEPNSP_ISK_E10value_typeEPSL_NS1_7vsmem_tEENKUlT_SJ_SK_SL_E_clIPhSE_SF_SF_EESI_SY_SJ_SK_SL_EUlSY_E_NS1_11comp_targetILNS1_3genE10ELNS1_11target_archE1201ELNS1_3gpuE5ELNS1_3repE0EEENS1_48merge_mergepath_partition_config_static_selectorELNS0_4arch9wavefront6targetE0EEEvSK_,comdat
.Lfunc_end694:
	.size	_ZN7rocprim17ROCPRIM_400000_NS6detail17trampoline_kernelINS0_14default_configENS1_38merge_sort_block_merge_config_selectorIhNS0_10empty_typeEEEZZNS1_27merge_sort_block_merge_implIS3_N6thrust23THRUST_200600_302600_NS6detail15normal_iteratorINS9_10device_ptrIhEEEEPS5_m11less_div_10IhEEE10hipError_tT0_T1_T2_jT3_P12ihipStream_tbPNSt15iterator_traitsISJ_E10value_typeEPNSP_ISK_E10value_typeEPSL_NS1_7vsmem_tEENKUlT_SJ_SK_SL_E_clIPhSE_SF_SF_EESI_SY_SJ_SK_SL_EUlSY_E_NS1_11comp_targetILNS1_3genE10ELNS1_11target_archE1201ELNS1_3gpuE5ELNS1_3repE0EEENS1_48merge_mergepath_partition_config_static_selectorELNS0_4arch9wavefront6targetE0EEEvSK_, .Lfunc_end694-_ZN7rocprim17ROCPRIM_400000_NS6detail17trampoline_kernelINS0_14default_configENS1_38merge_sort_block_merge_config_selectorIhNS0_10empty_typeEEEZZNS1_27merge_sort_block_merge_implIS3_N6thrust23THRUST_200600_302600_NS6detail15normal_iteratorINS9_10device_ptrIhEEEEPS5_m11less_div_10IhEEE10hipError_tT0_T1_T2_jT3_P12ihipStream_tbPNSt15iterator_traitsISJ_E10value_typeEPNSP_ISK_E10value_typeEPSL_NS1_7vsmem_tEENKUlT_SJ_SK_SL_E_clIPhSE_SF_SF_EESI_SY_SJ_SK_SL_EUlSY_E_NS1_11comp_targetILNS1_3genE10ELNS1_11target_archE1201ELNS1_3gpuE5ELNS1_3repE0EEENS1_48merge_mergepath_partition_config_static_selectorELNS0_4arch9wavefront6targetE0EEEvSK_
                                        ; -- End function
	.set _ZN7rocprim17ROCPRIM_400000_NS6detail17trampoline_kernelINS0_14default_configENS1_38merge_sort_block_merge_config_selectorIhNS0_10empty_typeEEEZZNS1_27merge_sort_block_merge_implIS3_N6thrust23THRUST_200600_302600_NS6detail15normal_iteratorINS9_10device_ptrIhEEEEPS5_m11less_div_10IhEEE10hipError_tT0_T1_T2_jT3_P12ihipStream_tbPNSt15iterator_traitsISJ_E10value_typeEPNSP_ISK_E10value_typeEPSL_NS1_7vsmem_tEENKUlT_SJ_SK_SL_E_clIPhSE_SF_SF_EESI_SY_SJ_SK_SL_EUlSY_E_NS1_11comp_targetILNS1_3genE10ELNS1_11target_archE1201ELNS1_3gpuE5ELNS1_3repE0EEENS1_48merge_mergepath_partition_config_static_selectorELNS0_4arch9wavefront6targetE0EEEvSK_.num_vgpr, 0
	.set _ZN7rocprim17ROCPRIM_400000_NS6detail17trampoline_kernelINS0_14default_configENS1_38merge_sort_block_merge_config_selectorIhNS0_10empty_typeEEEZZNS1_27merge_sort_block_merge_implIS3_N6thrust23THRUST_200600_302600_NS6detail15normal_iteratorINS9_10device_ptrIhEEEEPS5_m11less_div_10IhEEE10hipError_tT0_T1_T2_jT3_P12ihipStream_tbPNSt15iterator_traitsISJ_E10value_typeEPNSP_ISK_E10value_typeEPSL_NS1_7vsmem_tEENKUlT_SJ_SK_SL_E_clIPhSE_SF_SF_EESI_SY_SJ_SK_SL_EUlSY_E_NS1_11comp_targetILNS1_3genE10ELNS1_11target_archE1201ELNS1_3gpuE5ELNS1_3repE0EEENS1_48merge_mergepath_partition_config_static_selectorELNS0_4arch9wavefront6targetE0EEEvSK_.num_agpr, 0
	.set _ZN7rocprim17ROCPRIM_400000_NS6detail17trampoline_kernelINS0_14default_configENS1_38merge_sort_block_merge_config_selectorIhNS0_10empty_typeEEEZZNS1_27merge_sort_block_merge_implIS3_N6thrust23THRUST_200600_302600_NS6detail15normal_iteratorINS9_10device_ptrIhEEEEPS5_m11less_div_10IhEEE10hipError_tT0_T1_T2_jT3_P12ihipStream_tbPNSt15iterator_traitsISJ_E10value_typeEPNSP_ISK_E10value_typeEPSL_NS1_7vsmem_tEENKUlT_SJ_SK_SL_E_clIPhSE_SF_SF_EESI_SY_SJ_SK_SL_EUlSY_E_NS1_11comp_targetILNS1_3genE10ELNS1_11target_archE1201ELNS1_3gpuE5ELNS1_3repE0EEENS1_48merge_mergepath_partition_config_static_selectorELNS0_4arch9wavefront6targetE0EEEvSK_.numbered_sgpr, 0
	.set _ZN7rocprim17ROCPRIM_400000_NS6detail17trampoline_kernelINS0_14default_configENS1_38merge_sort_block_merge_config_selectorIhNS0_10empty_typeEEEZZNS1_27merge_sort_block_merge_implIS3_N6thrust23THRUST_200600_302600_NS6detail15normal_iteratorINS9_10device_ptrIhEEEEPS5_m11less_div_10IhEEE10hipError_tT0_T1_T2_jT3_P12ihipStream_tbPNSt15iterator_traitsISJ_E10value_typeEPNSP_ISK_E10value_typeEPSL_NS1_7vsmem_tEENKUlT_SJ_SK_SL_E_clIPhSE_SF_SF_EESI_SY_SJ_SK_SL_EUlSY_E_NS1_11comp_targetILNS1_3genE10ELNS1_11target_archE1201ELNS1_3gpuE5ELNS1_3repE0EEENS1_48merge_mergepath_partition_config_static_selectorELNS0_4arch9wavefront6targetE0EEEvSK_.num_named_barrier, 0
	.set _ZN7rocprim17ROCPRIM_400000_NS6detail17trampoline_kernelINS0_14default_configENS1_38merge_sort_block_merge_config_selectorIhNS0_10empty_typeEEEZZNS1_27merge_sort_block_merge_implIS3_N6thrust23THRUST_200600_302600_NS6detail15normal_iteratorINS9_10device_ptrIhEEEEPS5_m11less_div_10IhEEE10hipError_tT0_T1_T2_jT3_P12ihipStream_tbPNSt15iterator_traitsISJ_E10value_typeEPNSP_ISK_E10value_typeEPSL_NS1_7vsmem_tEENKUlT_SJ_SK_SL_E_clIPhSE_SF_SF_EESI_SY_SJ_SK_SL_EUlSY_E_NS1_11comp_targetILNS1_3genE10ELNS1_11target_archE1201ELNS1_3gpuE5ELNS1_3repE0EEENS1_48merge_mergepath_partition_config_static_selectorELNS0_4arch9wavefront6targetE0EEEvSK_.private_seg_size, 0
	.set _ZN7rocprim17ROCPRIM_400000_NS6detail17trampoline_kernelINS0_14default_configENS1_38merge_sort_block_merge_config_selectorIhNS0_10empty_typeEEEZZNS1_27merge_sort_block_merge_implIS3_N6thrust23THRUST_200600_302600_NS6detail15normal_iteratorINS9_10device_ptrIhEEEEPS5_m11less_div_10IhEEE10hipError_tT0_T1_T2_jT3_P12ihipStream_tbPNSt15iterator_traitsISJ_E10value_typeEPNSP_ISK_E10value_typeEPSL_NS1_7vsmem_tEENKUlT_SJ_SK_SL_E_clIPhSE_SF_SF_EESI_SY_SJ_SK_SL_EUlSY_E_NS1_11comp_targetILNS1_3genE10ELNS1_11target_archE1201ELNS1_3gpuE5ELNS1_3repE0EEENS1_48merge_mergepath_partition_config_static_selectorELNS0_4arch9wavefront6targetE0EEEvSK_.uses_vcc, 0
	.set _ZN7rocprim17ROCPRIM_400000_NS6detail17trampoline_kernelINS0_14default_configENS1_38merge_sort_block_merge_config_selectorIhNS0_10empty_typeEEEZZNS1_27merge_sort_block_merge_implIS3_N6thrust23THRUST_200600_302600_NS6detail15normal_iteratorINS9_10device_ptrIhEEEEPS5_m11less_div_10IhEEE10hipError_tT0_T1_T2_jT3_P12ihipStream_tbPNSt15iterator_traitsISJ_E10value_typeEPNSP_ISK_E10value_typeEPSL_NS1_7vsmem_tEENKUlT_SJ_SK_SL_E_clIPhSE_SF_SF_EESI_SY_SJ_SK_SL_EUlSY_E_NS1_11comp_targetILNS1_3genE10ELNS1_11target_archE1201ELNS1_3gpuE5ELNS1_3repE0EEENS1_48merge_mergepath_partition_config_static_selectorELNS0_4arch9wavefront6targetE0EEEvSK_.uses_flat_scratch, 0
	.set _ZN7rocprim17ROCPRIM_400000_NS6detail17trampoline_kernelINS0_14default_configENS1_38merge_sort_block_merge_config_selectorIhNS0_10empty_typeEEEZZNS1_27merge_sort_block_merge_implIS3_N6thrust23THRUST_200600_302600_NS6detail15normal_iteratorINS9_10device_ptrIhEEEEPS5_m11less_div_10IhEEE10hipError_tT0_T1_T2_jT3_P12ihipStream_tbPNSt15iterator_traitsISJ_E10value_typeEPNSP_ISK_E10value_typeEPSL_NS1_7vsmem_tEENKUlT_SJ_SK_SL_E_clIPhSE_SF_SF_EESI_SY_SJ_SK_SL_EUlSY_E_NS1_11comp_targetILNS1_3genE10ELNS1_11target_archE1201ELNS1_3gpuE5ELNS1_3repE0EEENS1_48merge_mergepath_partition_config_static_selectorELNS0_4arch9wavefront6targetE0EEEvSK_.has_dyn_sized_stack, 0
	.set _ZN7rocprim17ROCPRIM_400000_NS6detail17trampoline_kernelINS0_14default_configENS1_38merge_sort_block_merge_config_selectorIhNS0_10empty_typeEEEZZNS1_27merge_sort_block_merge_implIS3_N6thrust23THRUST_200600_302600_NS6detail15normal_iteratorINS9_10device_ptrIhEEEEPS5_m11less_div_10IhEEE10hipError_tT0_T1_T2_jT3_P12ihipStream_tbPNSt15iterator_traitsISJ_E10value_typeEPNSP_ISK_E10value_typeEPSL_NS1_7vsmem_tEENKUlT_SJ_SK_SL_E_clIPhSE_SF_SF_EESI_SY_SJ_SK_SL_EUlSY_E_NS1_11comp_targetILNS1_3genE10ELNS1_11target_archE1201ELNS1_3gpuE5ELNS1_3repE0EEENS1_48merge_mergepath_partition_config_static_selectorELNS0_4arch9wavefront6targetE0EEEvSK_.has_recursion, 0
	.set _ZN7rocprim17ROCPRIM_400000_NS6detail17trampoline_kernelINS0_14default_configENS1_38merge_sort_block_merge_config_selectorIhNS0_10empty_typeEEEZZNS1_27merge_sort_block_merge_implIS3_N6thrust23THRUST_200600_302600_NS6detail15normal_iteratorINS9_10device_ptrIhEEEEPS5_m11less_div_10IhEEE10hipError_tT0_T1_T2_jT3_P12ihipStream_tbPNSt15iterator_traitsISJ_E10value_typeEPNSP_ISK_E10value_typeEPSL_NS1_7vsmem_tEENKUlT_SJ_SK_SL_E_clIPhSE_SF_SF_EESI_SY_SJ_SK_SL_EUlSY_E_NS1_11comp_targetILNS1_3genE10ELNS1_11target_archE1201ELNS1_3gpuE5ELNS1_3repE0EEENS1_48merge_mergepath_partition_config_static_selectorELNS0_4arch9wavefront6targetE0EEEvSK_.has_indirect_call, 0
	.section	.AMDGPU.csdata,"",@progbits
; Kernel info:
; codeLenInByte = 0
; TotalNumSgprs: 0
; NumVgprs: 0
; ScratchSize: 0
; MemoryBound: 0
; FloatMode: 240
; IeeeMode: 1
; LDSByteSize: 0 bytes/workgroup (compile time only)
; SGPRBlocks: 0
; VGPRBlocks: 0
; NumSGPRsForWavesPerEU: 1
; NumVGPRsForWavesPerEU: 1
; Occupancy: 16
; WaveLimiterHint : 0
; COMPUTE_PGM_RSRC2:SCRATCH_EN: 0
; COMPUTE_PGM_RSRC2:USER_SGPR: 6
; COMPUTE_PGM_RSRC2:TRAP_HANDLER: 0
; COMPUTE_PGM_RSRC2:TGID_X_EN: 1
; COMPUTE_PGM_RSRC2:TGID_Y_EN: 0
; COMPUTE_PGM_RSRC2:TGID_Z_EN: 0
; COMPUTE_PGM_RSRC2:TIDIG_COMP_CNT: 0
	.section	.text._ZN7rocprim17ROCPRIM_400000_NS6detail17trampoline_kernelINS0_14default_configENS1_38merge_sort_block_merge_config_selectorIhNS0_10empty_typeEEEZZNS1_27merge_sort_block_merge_implIS3_N6thrust23THRUST_200600_302600_NS6detail15normal_iteratorINS9_10device_ptrIhEEEEPS5_m11less_div_10IhEEE10hipError_tT0_T1_T2_jT3_P12ihipStream_tbPNSt15iterator_traitsISJ_E10value_typeEPNSP_ISK_E10value_typeEPSL_NS1_7vsmem_tEENKUlT_SJ_SK_SL_E_clIPhSE_SF_SF_EESI_SY_SJ_SK_SL_EUlSY_E_NS1_11comp_targetILNS1_3genE5ELNS1_11target_archE942ELNS1_3gpuE9ELNS1_3repE0EEENS1_48merge_mergepath_partition_config_static_selectorELNS0_4arch9wavefront6targetE0EEEvSK_,"axG",@progbits,_ZN7rocprim17ROCPRIM_400000_NS6detail17trampoline_kernelINS0_14default_configENS1_38merge_sort_block_merge_config_selectorIhNS0_10empty_typeEEEZZNS1_27merge_sort_block_merge_implIS3_N6thrust23THRUST_200600_302600_NS6detail15normal_iteratorINS9_10device_ptrIhEEEEPS5_m11less_div_10IhEEE10hipError_tT0_T1_T2_jT3_P12ihipStream_tbPNSt15iterator_traitsISJ_E10value_typeEPNSP_ISK_E10value_typeEPSL_NS1_7vsmem_tEENKUlT_SJ_SK_SL_E_clIPhSE_SF_SF_EESI_SY_SJ_SK_SL_EUlSY_E_NS1_11comp_targetILNS1_3genE5ELNS1_11target_archE942ELNS1_3gpuE9ELNS1_3repE0EEENS1_48merge_mergepath_partition_config_static_selectorELNS0_4arch9wavefront6targetE0EEEvSK_,comdat
	.protected	_ZN7rocprim17ROCPRIM_400000_NS6detail17trampoline_kernelINS0_14default_configENS1_38merge_sort_block_merge_config_selectorIhNS0_10empty_typeEEEZZNS1_27merge_sort_block_merge_implIS3_N6thrust23THRUST_200600_302600_NS6detail15normal_iteratorINS9_10device_ptrIhEEEEPS5_m11less_div_10IhEEE10hipError_tT0_T1_T2_jT3_P12ihipStream_tbPNSt15iterator_traitsISJ_E10value_typeEPNSP_ISK_E10value_typeEPSL_NS1_7vsmem_tEENKUlT_SJ_SK_SL_E_clIPhSE_SF_SF_EESI_SY_SJ_SK_SL_EUlSY_E_NS1_11comp_targetILNS1_3genE5ELNS1_11target_archE942ELNS1_3gpuE9ELNS1_3repE0EEENS1_48merge_mergepath_partition_config_static_selectorELNS0_4arch9wavefront6targetE0EEEvSK_ ; -- Begin function _ZN7rocprim17ROCPRIM_400000_NS6detail17trampoline_kernelINS0_14default_configENS1_38merge_sort_block_merge_config_selectorIhNS0_10empty_typeEEEZZNS1_27merge_sort_block_merge_implIS3_N6thrust23THRUST_200600_302600_NS6detail15normal_iteratorINS9_10device_ptrIhEEEEPS5_m11less_div_10IhEEE10hipError_tT0_T1_T2_jT3_P12ihipStream_tbPNSt15iterator_traitsISJ_E10value_typeEPNSP_ISK_E10value_typeEPSL_NS1_7vsmem_tEENKUlT_SJ_SK_SL_E_clIPhSE_SF_SF_EESI_SY_SJ_SK_SL_EUlSY_E_NS1_11comp_targetILNS1_3genE5ELNS1_11target_archE942ELNS1_3gpuE9ELNS1_3repE0EEENS1_48merge_mergepath_partition_config_static_selectorELNS0_4arch9wavefront6targetE0EEEvSK_
	.globl	_ZN7rocprim17ROCPRIM_400000_NS6detail17trampoline_kernelINS0_14default_configENS1_38merge_sort_block_merge_config_selectorIhNS0_10empty_typeEEEZZNS1_27merge_sort_block_merge_implIS3_N6thrust23THRUST_200600_302600_NS6detail15normal_iteratorINS9_10device_ptrIhEEEEPS5_m11less_div_10IhEEE10hipError_tT0_T1_T2_jT3_P12ihipStream_tbPNSt15iterator_traitsISJ_E10value_typeEPNSP_ISK_E10value_typeEPSL_NS1_7vsmem_tEENKUlT_SJ_SK_SL_E_clIPhSE_SF_SF_EESI_SY_SJ_SK_SL_EUlSY_E_NS1_11comp_targetILNS1_3genE5ELNS1_11target_archE942ELNS1_3gpuE9ELNS1_3repE0EEENS1_48merge_mergepath_partition_config_static_selectorELNS0_4arch9wavefront6targetE0EEEvSK_
	.p2align	8
	.type	_ZN7rocprim17ROCPRIM_400000_NS6detail17trampoline_kernelINS0_14default_configENS1_38merge_sort_block_merge_config_selectorIhNS0_10empty_typeEEEZZNS1_27merge_sort_block_merge_implIS3_N6thrust23THRUST_200600_302600_NS6detail15normal_iteratorINS9_10device_ptrIhEEEEPS5_m11less_div_10IhEEE10hipError_tT0_T1_T2_jT3_P12ihipStream_tbPNSt15iterator_traitsISJ_E10value_typeEPNSP_ISK_E10value_typeEPSL_NS1_7vsmem_tEENKUlT_SJ_SK_SL_E_clIPhSE_SF_SF_EESI_SY_SJ_SK_SL_EUlSY_E_NS1_11comp_targetILNS1_3genE5ELNS1_11target_archE942ELNS1_3gpuE9ELNS1_3repE0EEENS1_48merge_mergepath_partition_config_static_selectorELNS0_4arch9wavefront6targetE0EEEvSK_,@function
_ZN7rocprim17ROCPRIM_400000_NS6detail17trampoline_kernelINS0_14default_configENS1_38merge_sort_block_merge_config_selectorIhNS0_10empty_typeEEEZZNS1_27merge_sort_block_merge_implIS3_N6thrust23THRUST_200600_302600_NS6detail15normal_iteratorINS9_10device_ptrIhEEEEPS5_m11less_div_10IhEEE10hipError_tT0_T1_T2_jT3_P12ihipStream_tbPNSt15iterator_traitsISJ_E10value_typeEPNSP_ISK_E10value_typeEPSL_NS1_7vsmem_tEENKUlT_SJ_SK_SL_E_clIPhSE_SF_SF_EESI_SY_SJ_SK_SL_EUlSY_E_NS1_11comp_targetILNS1_3genE5ELNS1_11target_archE942ELNS1_3gpuE9ELNS1_3repE0EEENS1_48merge_mergepath_partition_config_static_selectorELNS0_4arch9wavefront6targetE0EEEvSK_: ; @_ZN7rocprim17ROCPRIM_400000_NS6detail17trampoline_kernelINS0_14default_configENS1_38merge_sort_block_merge_config_selectorIhNS0_10empty_typeEEEZZNS1_27merge_sort_block_merge_implIS3_N6thrust23THRUST_200600_302600_NS6detail15normal_iteratorINS9_10device_ptrIhEEEEPS5_m11less_div_10IhEEE10hipError_tT0_T1_T2_jT3_P12ihipStream_tbPNSt15iterator_traitsISJ_E10value_typeEPNSP_ISK_E10value_typeEPSL_NS1_7vsmem_tEENKUlT_SJ_SK_SL_E_clIPhSE_SF_SF_EESI_SY_SJ_SK_SL_EUlSY_E_NS1_11comp_targetILNS1_3genE5ELNS1_11target_archE942ELNS1_3gpuE9ELNS1_3repE0EEENS1_48merge_mergepath_partition_config_static_selectorELNS0_4arch9wavefront6targetE0EEEvSK_
; %bb.0:
	.section	.rodata,"a",@progbits
	.p2align	6, 0x0
	.amdhsa_kernel _ZN7rocprim17ROCPRIM_400000_NS6detail17trampoline_kernelINS0_14default_configENS1_38merge_sort_block_merge_config_selectorIhNS0_10empty_typeEEEZZNS1_27merge_sort_block_merge_implIS3_N6thrust23THRUST_200600_302600_NS6detail15normal_iteratorINS9_10device_ptrIhEEEEPS5_m11less_div_10IhEEE10hipError_tT0_T1_T2_jT3_P12ihipStream_tbPNSt15iterator_traitsISJ_E10value_typeEPNSP_ISK_E10value_typeEPSL_NS1_7vsmem_tEENKUlT_SJ_SK_SL_E_clIPhSE_SF_SF_EESI_SY_SJ_SK_SL_EUlSY_E_NS1_11comp_targetILNS1_3genE5ELNS1_11target_archE942ELNS1_3gpuE9ELNS1_3repE0EEENS1_48merge_mergepath_partition_config_static_selectorELNS0_4arch9wavefront6targetE0EEEvSK_
		.amdhsa_group_segment_fixed_size 0
		.amdhsa_private_segment_fixed_size 0
		.amdhsa_kernarg_size 48
		.amdhsa_user_sgpr_count 6
		.amdhsa_user_sgpr_private_segment_buffer 1
		.amdhsa_user_sgpr_dispatch_ptr 0
		.amdhsa_user_sgpr_queue_ptr 0
		.amdhsa_user_sgpr_kernarg_segment_ptr 1
		.amdhsa_user_sgpr_dispatch_id 0
		.amdhsa_user_sgpr_flat_scratch_init 0
		.amdhsa_user_sgpr_private_segment_size 0
		.amdhsa_wavefront_size32 1
		.amdhsa_uses_dynamic_stack 0
		.amdhsa_system_sgpr_private_segment_wavefront_offset 0
		.amdhsa_system_sgpr_workgroup_id_x 1
		.amdhsa_system_sgpr_workgroup_id_y 0
		.amdhsa_system_sgpr_workgroup_id_z 0
		.amdhsa_system_sgpr_workgroup_info 0
		.amdhsa_system_vgpr_workitem_id 0
		.amdhsa_next_free_vgpr 1
		.amdhsa_next_free_sgpr 1
		.amdhsa_reserve_vcc 0
		.amdhsa_reserve_flat_scratch 0
		.amdhsa_float_round_mode_32 0
		.amdhsa_float_round_mode_16_64 0
		.amdhsa_float_denorm_mode_32 3
		.amdhsa_float_denorm_mode_16_64 3
		.amdhsa_dx10_clamp 1
		.amdhsa_ieee_mode 1
		.amdhsa_fp16_overflow 0
		.amdhsa_workgroup_processor_mode 1
		.amdhsa_memory_ordered 1
		.amdhsa_forward_progress 1
		.amdhsa_shared_vgpr_count 0
		.amdhsa_exception_fp_ieee_invalid_op 0
		.amdhsa_exception_fp_denorm_src 0
		.amdhsa_exception_fp_ieee_div_zero 0
		.amdhsa_exception_fp_ieee_overflow 0
		.amdhsa_exception_fp_ieee_underflow 0
		.amdhsa_exception_fp_ieee_inexact 0
		.amdhsa_exception_int_div_zero 0
	.end_amdhsa_kernel
	.section	.text._ZN7rocprim17ROCPRIM_400000_NS6detail17trampoline_kernelINS0_14default_configENS1_38merge_sort_block_merge_config_selectorIhNS0_10empty_typeEEEZZNS1_27merge_sort_block_merge_implIS3_N6thrust23THRUST_200600_302600_NS6detail15normal_iteratorINS9_10device_ptrIhEEEEPS5_m11less_div_10IhEEE10hipError_tT0_T1_T2_jT3_P12ihipStream_tbPNSt15iterator_traitsISJ_E10value_typeEPNSP_ISK_E10value_typeEPSL_NS1_7vsmem_tEENKUlT_SJ_SK_SL_E_clIPhSE_SF_SF_EESI_SY_SJ_SK_SL_EUlSY_E_NS1_11comp_targetILNS1_3genE5ELNS1_11target_archE942ELNS1_3gpuE9ELNS1_3repE0EEENS1_48merge_mergepath_partition_config_static_selectorELNS0_4arch9wavefront6targetE0EEEvSK_,"axG",@progbits,_ZN7rocprim17ROCPRIM_400000_NS6detail17trampoline_kernelINS0_14default_configENS1_38merge_sort_block_merge_config_selectorIhNS0_10empty_typeEEEZZNS1_27merge_sort_block_merge_implIS3_N6thrust23THRUST_200600_302600_NS6detail15normal_iteratorINS9_10device_ptrIhEEEEPS5_m11less_div_10IhEEE10hipError_tT0_T1_T2_jT3_P12ihipStream_tbPNSt15iterator_traitsISJ_E10value_typeEPNSP_ISK_E10value_typeEPSL_NS1_7vsmem_tEENKUlT_SJ_SK_SL_E_clIPhSE_SF_SF_EESI_SY_SJ_SK_SL_EUlSY_E_NS1_11comp_targetILNS1_3genE5ELNS1_11target_archE942ELNS1_3gpuE9ELNS1_3repE0EEENS1_48merge_mergepath_partition_config_static_selectorELNS0_4arch9wavefront6targetE0EEEvSK_,comdat
.Lfunc_end695:
	.size	_ZN7rocprim17ROCPRIM_400000_NS6detail17trampoline_kernelINS0_14default_configENS1_38merge_sort_block_merge_config_selectorIhNS0_10empty_typeEEEZZNS1_27merge_sort_block_merge_implIS3_N6thrust23THRUST_200600_302600_NS6detail15normal_iteratorINS9_10device_ptrIhEEEEPS5_m11less_div_10IhEEE10hipError_tT0_T1_T2_jT3_P12ihipStream_tbPNSt15iterator_traitsISJ_E10value_typeEPNSP_ISK_E10value_typeEPSL_NS1_7vsmem_tEENKUlT_SJ_SK_SL_E_clIPhSE_SF_SF_EESI_SY_SJ_SK_SL_EUlSY_E_NS1_11comp_targetILNS1_3genE5ELNS1_11target_archE942ELNS1_3gpuE9ELNS1_3repE0EEENS1_48merge_mergepath_partition_config_static_selectorELNS0_4arch9wavefront6targetE0EEEvSK_, .Lfunc_end695-_ZN7rocprim17ROCPRIM_400000_NS6detail17trampoline_kernelINS0_14default_configENS1_38merge_sort_block_merge_config_selectorIhNS0_10empty_typeEEEZZNS1_27merge_sort_block_merge_implIS3_N6thrust23THRUST_200600_302600_NS6detail15normal_iteratorINS9_10device_ptrIhEEEEPS5_m11less_div_10IhEEE10hipError_tT0_T1_T2_jT3_P12ihipStream_tbPNSt15iterator_traitsISJ_E10value_typeEPNSP_ISK_E10value_typeEPSL_NS1_7vsmem_tEENKUlT_SJ_SK_SL_E_clIPhSE_SF_SF_EESI_SY_SJ_SK_SL_EUlSY_E_NS1_11comp_targetILNS1_3genE5ELNS1_11target_archE942ELNS1_3gpuE9ELNS1_3repE0EEENS1_48merge_mergepath_partition_config_static_selectorELNS0_4arch9wavefront6targetE0EEEvSK_
                                        ; -- End function
	.set _ZN7rocprim17ROCPRIM_400000_NS6detail17trampoline_kernelINS0_14default_configENS1_38merge_sort_block_merge_config_selectorIhNS0_10empty_typeEEEZZNS1_27merge_sort_block_merge_implIS3_N6thrust23THRUST_200600_302600_NS6detail15normal_iteratorINS9_10device_ptrIhEEEEPS5_m11less_div_10IhEEE10hipError_tT0_T1_T2_jT3_P12ihipStream_tbPNSt15iterator_traitsISJ_E10value_typeEPNSP_ISK_E10value_typeEPSL_NS1_7vsmem_tEENKUlT_SJ_SK_SL_E_clIPhSE_SF_SF_EESI_SY_SJ_SK_SL_EUlSY_E_NS1_11comp_targetILNS1_3genE5ELNS1_11target_archE942ELNS1_3gpuE9ELNS1_3repE0EEENS1_48merge_mergepath_partition_config_static_selectorELNS0_4arch9wavefront6targetE0EEEvSK_.num_vgpr, 0
	.set _ZN7rocprim17ROCPRIM_400000_NS6detail17trampoline_kernelINS0_14default_configENS1_38merge_sort_block_merge_config_selectorIhNS0_10empty_typeEEEZZNS1_27merge_sort_block_merge_implIS3_N6thrust23THRUST_200600_302600_NS6detail15normal_iteratorINS9_10device_ptrIhEEEEPS5_m11less_div_10IhEEE10hipError_tT0_T1_T2_jT3_P12ihipStream_tbPNSt15iterator_traitsISJ_E10value_typeEPNSP_ISK_E10value_typeEPSL_NS1_7vsmem_tEENKUlT_SJ_SK_SL_E_clIPhSE_SF_SF_EESI_SY_SJ_SK_SL_EUlSY_E_NS1_11comp_targetILNS1_3genE5ELNS1_11target_archE942ELNS1_3gpuE9ELNS1_3repE0EEENS1_48merge_mergepath_partition_config_static_selectorELNS0_4arch9wavefront6targetE0EEEvSK_.num_agpr, 0
	.set _ZN7rocprim17ROCPRIM_400000_NS6detail17trampoline_kernelINS0_14default_configENS1_38merge_sort_block_merge_config_selectorIhNS0_10empty_typeEEEZZNS1_27merge_sort_block_merge_implIS3_N6thrust23THRUST_200600_302600_NS6detail15normal_iteratorINS9_10device_ptrIhEEEEPS5_m11less_div_10IhEEE10hipError_tT0_T1_T2_jT3_P12ihipStream_tbPNSt15iterator_traitsISJ_E10value_typeEPNSP_ISK_E10value_typeEPSL_NS1_7vsmem_tEENKUlT_SJ_SK_SL_E_clIPhSE_SF_SF_EESI_SY_SJ_SK_SL_EUlSY_E_NS1_11comp_targetILNS1_3genE5ELNS1_11target_archE942ELNS1_3gpuE9ELNS1_3repE0EEENS1_48merge_mergepath_partition_config_static_selectorELNS0_4arch9wavefront6targetE0EEEvSK_.numbered_sgpr, 0
	.set _ZN7rocprim17ROCPRIM_400000_NS6detail17trampoline_kernelINS0_14default_configENS1_38merge_sort_block_merge_config_selectorIhNS0_10empty_typeEEEZZNS1_27merge_sort_block_merge_implIS3_N6thrust23THRUST_200600_302600_NS6detail15normal_iteratorINS9_10device_ptrIhEEEEPS5_m11less_div_10IhEEE10hipError_tT0_T1_T2_jT3_P12ihipStream_tbPNSt15iterator_traitsISJ_E10value_typeEPNSP_ISK_E10value_typeEPSL_NS1_7vsmem_tEENKUlT_SJ_SK_SL_E_clIPhSE_SF_SF_EESI_SY_SJ_SK_SL_EUlSY_E_NS1_11comp_targetILNS1_3genE5ELNS1_11target_archE942ELNS1_3gpuE9ELNS1_3repE0EEENS1_48merge_mergepath_partition_config_static_selectorELNS0_4arch9wavefront6targetE0EEEvSK_.num_named_barrier, 0
	.set _ZN7rocprim17ROCPRIM_400000_NS6detail17trampoline_kernelINS0_14default_configENS1_38merge_sort_block_merge_config_selectorIhNS0_10empty_typeEEEZZNS1_27merge_sort_block_merge_implIS3_N6thrust23THRUST_200600_302600_NS6detail15normal_iteratorINS9_10device_ptrIhEEEEPS5_m11less_div_10IhEEE10hipError_tT0_T1_T2_jT3_P12ihipStream_tbPNSt15iterator_traitsISJ_E10value_typeEPNSP_ISK_E10value_typeEPSL_NS1_7vsmem_tEENKUlT_SJ_SK_SL_E_clIPhSE_SF_SF_EESI_SY_SJ_SK_SL_EUlSY_E_NS1_11comp_targetILNS1_3genE5ELNS1_11target_archE942ELNS1_3gpuE9ELNS1_3repE0EEENS1_48merge_mergepath_partition_config_static_selectorELNS0_4arch9wavefront6targetE0EEEvSK_.private_seg_size, 0
	.set _ZN7rocprim17ROCPRIM_400000_NS6detail17trampoline_kernelINS0_14default_configENS1_38merge_sort_block_merge_config_selectorIhNS0_10empty_typeEEEZZNS1_27merge_sort_block_merge_implIS3_N6thrust23THRUST_200600_302600_NS6detail15normal_iteratorINS9_10device_ptrIhEEEEPS5_m11less_div_10IhEEE10hipError_tT0_T1_T2_jT3_P12ihipStream_tbPNSt15iterator_traitsISJ_E10value_typeEPNSP_ISK_E10value_typeEPSL_NS1_7vsmem_tEENKUlT_SJ_SK_SL_E_clIPhSE_SF_SF_EESI_SY_SJ_SK_SL_EUlSY_E_NS1_11comp_targetILNS1_3genE5ELNS1_11target_archE942ELNS1_3gpuE9ELNS1_3repE0EEENS1_48merge_mergepath_partition_config_static_selectorELNS0_4arch9wavefront6targetE0EEEvSK_.uses_vcc, 0
	.set _ZN7rocprim17ROCPRIM_400000_NS6detail17trampoline_kernelINS0_14default_configENS1_38merge_sort_block_merge_config_selectorIhNS0_10empty_typeEEEZZNS1_27merge_sort_block_merge_implIS3_N6thrust23THRUST_200600_302600_NS6detail15normal_iteratorINS9_10device_ptrIhEEEEPS5_m11less_div_10IhEEE10hipError_tT0_T1_T2_jT3_P12ihipStream_tbPNSt15iterator_traitsISJ_E10value_typeEPNSP_ISK_E10value_typeEPSL_NS1_7vsmem_tEENKUlT_SJ_SK_SL_E_clIPhSE_SF_SF_EESI_SY_SJ_SK_SL_EUlSY_E_NS1_11comp_targetILNS1_3genE5ELNS1_11target_archE942ELNS1_3gpuE9ELNS1_3repE0EEENS1_48merge_mergepath_partition_config_static_selectorELNS0_4arch9wavefront6targetE0EEEvSK_.uses_flat_scratch, 0
	.set _ZN7rocprim17ROCPRIM_400000_NS6detail17trampoline_kernelINS0_14default_configENS1_38merge_sort_block_merge_config_selectorIhNS0_10empty_typeEEEZZNS1_27merge_sort_block_merge_implIS3_N6thrust23THRUST_200600_302600_NS6detail15normal_iteratorINS9_10device_ptrIhEEEEPS5_m11less_div_10IhEEE10hipError_tT0_T1_T2_jT3_P12ihipStream_tbPNSt15iterator_traitsISJ_E10value_typeEPNSP_ISK_E10value_typeEPSL_NS1_7vsmem_tEENKUlT_SJ_SK_SL_E_clIPhSE_SF_SF_EESI_SY_SJ_SK_SL_EUlSY_E_NS1_11comp_targetILNS1_3genE5ELNS1_11target_archE942ELNS1_3gpuE9ELNS1_3repE0EEENS1_48merge_mergepath_partition_config_static_selectorELNS0_4arch9wavefront6targetE0EEEvSK_.has_dyn_sized_stack, 0
	.set _ZN7rocprim17ROCPRIM_400000_NS6detail17trampoline_kernelINS0_14default_configENS1_38merge_sort_block_merge_config_selectorIhNS0_10empty_typeEEEZZNS1_27merge_sort_block_merge_implIS3_N6thrust23THRUST_200600_302600_NS6detail15normal_iteratorINS9_10device_ptrIhEEEEPS5_m11less_div_10IhEEE10hipError_tT0_T1_T2_jT3_P12ihipStream_tbPNSt15iterator_traitsISJ_E10value_typeEPNSP_ISK_E10value_typeEPSL_NS1_7vsmem_tEENKUlT_SJ_SK_SL_E_clIPhSE_SF_SF_EESI_SY_SJ_SK_SL_EUlSY_E_NS1_11comp_targetILNS1_3genE5ELNS1_11target_archE942ELNS1_3gpuE9ELNS1_3repE0EEENS1_48merge_mergepath_partition_config_static_selectorELNS0_4arch9wavefront6targetE0EEEvSK_.has_recursion, 0
	.set _ZN7rocprim17ROCPRIM_400000_NS6detail17trampoline_kernelINS0_14default_configENS1_38merge_sort_block_merge_config_selectorIhNS0_10empty_typeEEEZZNS1_27merge_sort_block_merge_implIS3_N6thrust23THRUST_200600_302600_NS6detail15normal_iteratorINS9_10device_ptrIhEEEEPS5_m11less_div_10IhEEE10hipError_tT0_T1_T2_jT3_P12ihipStream_tbPNSt15iterator_traitsISJ_E10value_typeEPNSP_ISK_E10value_typeEPSL_NS1_7vsmem_tEENKUlT_SJ_SK_SL_E_clIPhSE_SF_SF_EESI_SY_SJ_SK_SL_EUlSY_E_NS1_11comp_targetILNS1_3genE5ELNS1_11target_archE942ELNS1_3gpuE9ELNS1_3repE0EEENS1_48merge_mergepath_partition_config_static_selectorELNS0_4arch9wavefront6targetE0EEEvSK_.has_indirect_call, 0
	.section	.AMDGPU.csdata,"",@progbits
; Kernel info:
; codeLenInByte = 0
; TotalNumSgprs: 0
; NumVgprs: 0
; ScratchSize: 0
; MemoryBound: 0
; FloatMode: 240
; IeeeMode: 1
; LDSByteSize: 0 bytes/workgroup (compile time only)
; SGPRBlocks: 0
; VGPRBlocks: 0
; NumSGPRsForWavesPerEU: 1
; NumVGPRsForWavesPerEU: 1
; Occupancy: 16
; WaveLimiterHint : 0
; COMPUTE_PGM_RSRC2:SCRATCH_EN: 0
; COMPUTE_PGM_RSRC2:USER_SGPR: 6
; COMPUTE_PGM_RSRC2:TRAP_HANDLER: 0
; COMPUTE_PGM_RSRC2:TGID_X_EN: 1
; COMPUTE_PGM_RSRC2:TGID_Y_EN: 0
; COMPUTE_PGM_RSRC2:TGID_Z_EN: 0
; COMPUTE_PGM_RSRC2:TIDIG_COMP_CNT: 0
	.section	.text._ZN7rocprim17ROCPRIM_400000_NS6detail17trampoline_kernelINS0_14default_configENS1_38merge_sort_block_merge_config_selectorIhNS0_10empty_typeEEEZZNS1_27merge_sort_block_merge_implIS3_N6thrust23THRUST_200600_302600_NS6detail15normal_iteratorINS9_10device_ptrIhEEEEPS5_m11less_div_10IhEEE10hipError_tT0_T1_T2_jT3_P12ihipStream_tbPNSt15iterator_traitsISJ_E10value_typeEPNSP_ISK_E10value_typeEPSL_NS1_7vsmem_tEENKUlT_SJ_SK_SL_E_clIPhSE_SF_SF_EESI_SY_SJ_SK_SL_EUlSY_E_NS1_11comp_targetILNS1_3genE4ELNS1_11target_archE910ELNS1_3gpuE8ELNS1_3repE0EEENS1_48merge_mergepath_partition_config_static_selectorELNS0_4arch9wavefront6targetE0EEEvSK_,"axG",@progbits,_ZN7rocprim17ROCPRIM_400000_NS6detail17trampoline_kernelINS0_14default_configENS1_38merge_sort_block_merge_config_selectorIhNS0_10empty_typeEEEZZNS1_27merge_sort_block_merge_implIS3_N6thrust23THRUST_200600_302600_NS6detail15normal_iteratorINS9_10device_ptrIhEEEEPS5_m11less_div_10IhEEE10hipError_tT0_T1_T2_jT3_P12ihipStream_tbPNSt15iterator_traitsISJ_E10value_typeEPNSP_ISK_E10value_typeEPSL_NS1_7vsmem_tEENKUlT_SJ_SK_SL_E_clIPhSE_SF_SF_EESI_SY_SJ_SK_SL_EUlSY_E_NS1_11comp_targetILNS1_3genE4ELNS1_11target_archE910ELNS1_3gpuE8ELNS1_3repE0EEENS1_48merge_mergepath_partition_config_static_selectorELNS0_4arch9wavefront6targetE0EEEvSK_,comdat
	.protected	_ZN7rocprim17ROCPRIM_400000_NS6detail17trampoline_kernelINS0_14default_configENS1_38merge_sort_block_merge_config_selectorIhNS0_10empty_typeEEEZZNS1_27merge_sort_block_merge_implIS3_N6thrust23THRUST_200600_302600_NS6detail15normal_iteratorINS9_10device_ptrIhEEEEPS5_m11less_div_10IhEEE10hipError_tT0_T1_T2_jT3_P12ihipStream_tbPNSt15iterator_traitsISJ_E10value_typeEPNSP_ISK_E10value_typeEPSL_NS1_7vsmem_tEENKUlT_SJ_SK_SL_E_clIPhSE_SF_SF_EESI_SY_SJ_SK_SL_EUlSY_E_NS1_11comp_targetILNS1_3genE4ELNS1_11target_archE910ELNS1_3gpuE8ELNS1_3repE0EEENS1_48merge_mergepath_partition_config_static_selectorELNS0_4arch9wavefront6targetE0EEEvSK_ ; -- Begin function _ZN7rocprim17ROCPRIM_400000_NS6detail17trampoline_kernelINS0_14default_configENS1_38merge_sort_block_merge_config_selectorIhNS0_10empty_typeEEEZZNS1_27merge_sort_block_merge_implIS3_N6thrust23THRUST_200600_302600_NS6detail15normal_iteratorINS9_10device_ptrIhEEEEPS5_m11less_div_10IhEEE10hipError_tT0_T1_T2_jT3_P12ihipStream_tbPNSt15iterator_traitsISJ_E10value_typeEPNSP_ISK_E10value_typeEPSL_NS1_7vsmem_tEENKUlT_SJ_SK_SL_E_clIPhSE_SF_SF_EESI_SY_SJ_SK_SL_EUlSY_E_NS1_11comp_targetILNS1_3genE4ELNS1_11target_archE910ELNS1_3gpuE8ELNS1_3repE0EEENS1_48merge_mergepath_partition_config_static_selectorELNS0_4arch9wavefront6targetE0EEEvSK_
	.globl	_ZN7rocprim17ROCPRIM_400000_NS6detail17trampoline_kernelINS0_14default_configENS1_38merge_sort_block_merge_config_selectorIhNS0_10empty_typeEEEZZNS1_27merge_sort_block_merge_implIS3_N6thrust23THRUST_200600_302600_NS6detail15normal_iteratorINS9_10device_ptrIhEEEEPS5_m11less_div_10IhEEE10hipError_tT0_T1_T2_jT3_P12ihipStream_tbPNSt15iterator_traitsISJ_E10value_typeEPNSP_ISK_E10value_typeEPSL_NS1_7vsmem_tEENKUlT_SJ_SK_SL_E_clIPhSE_SF_SF_EESI_SY_SJ_SK_SL_EUlSY_E_NS1_11comp_targetILNS1_3genE4ELNS1_11target_archE910ELNS1_3gpuE8ELNS1_3repE0EEENS1_48merge_mergepath_partition_config_static_selectorELNS0_4arch9wavefront6targetE0EEEvSK_
	.p2align	8
	.type	_ZN7rocprim17ROCPRIM_400000_NS6detail17trampoline_kernelINS0_14default_configENS1_38merge_sort_block_merge_config_selectorIhNS0_10empty_typeEEEZZNS1_27merge_sort_block_merge_implIS3_N6thrust23THRUST_200600_302600_NS6detail15normal_iteratorINS9_10device_ptrIhEEEEPS5_m11less_div_10IhEEE10hipError_tT0_T1_T2_jT3_P12ihipStream_tbPNSt15iterator_traitsISJ_E10value_typeEPNSP_ISK_E10value_typeEPSL_NS1_7vsmem_tEENKUlT_SJ_SK_SL_E_clIPhSE_SF_SF_EESI_SY_SJ_SK_SL_EUlSY_E_NS1_11comp_targetILNS1_3genE4ELNS1_11target_archE910ELNS1_3gpuE8ELNS1_3repE0EEENS1_48merge_mergepath_partition_config_static_selectorELNS0_4arch9wavefront6targetE0EEEvSK_,@function
_ZN7rocprim17ROCPRIM_400000_NS6detail17trampoline_kernelINS0_14default_configENS1_38merge_sort_block_merge_config_selectorIhNS0_10empty_typeEEEZZNS1_27merge_sort_block_merge_implIS3_N6thrust23THRUST_200600_302600_NS6detail15normal_iteratorINS9_10device_ptrIhEEEEPS5_m11less_div_10IhEEE10hipError_tT0_T1_T2_jT3_P12ihipStream_tbPNSt15iterator_traitsISJ_E10value_typeEPNSP_ISK_E10value_typeEPSL_NS1_7vsmem_tEENKUlT_SJ_SK_SL_E_clIPhSE_SF_SF_EESI_SY_SJ_SK_SL_EUlSY_E_NS1_11comp_targetILNS1_3genE4ELNS1_11target_archE910ELNS1_3gpuE8ELNS1_3repE0EEENS1_48merge_mergepath_partition_config_static_selectorELNS0_4arch9wavefront6targetE0EEEvSK_: ; @_ZN7rocprim17ROCPRIM_400000_NS6detail17trampoline_kernelINS0_14default_configENS1_38merge_sort_block_merge_config_selectorIhNS0_10empty_typeEEEZZNS1_27merge_sort_block_merge_implIS3_N6thrust23THRUST_200600_302600_NS6detail15normal_iteratorINS9_10device_ptrIhEEEEPS5_m11less_div_10IhEEE10hipError_tT0_T1_T2_jT3_P12ihipStream_tbPNSt15iterator_traitsISJ_E10value_typeEPNSP_ISK_E10value_typeEPSL_NS1_7vsmem_tEENKUlT_SJ_SK_SL_E_clIPhSE_SF_SF_EESI_SY_SJ_SK_SL_EUlSY_E_NS1_11comp_targetILNS1_3genE4ELNS1_11target_archE910ELNS1_3gpuE8ELNS1_3repE0EEENS1_48merge_mergepath_partition_config_static_selectorELNS0_4arch9wavefront6targetE0EEEvSK_
; %bb.0:
	.section	.rodata,"a",@progbits
	.p2align	6, 0x0
	.amdhsa_kernel _ZN7rocprim17ROCPRIM_400000_NS6detail17trampoline_kernelINS0_14default_configENS1_38merge_sort_block_merge_config_selectorIhNS0_10empty_typeEEEZZNS1_27merge_sort_block_merge_implIS3_N6thrust23THRUST_200600_302600_NS6detail15normal_iteratorINS9_10device_ptrIhEEEEPS5_m11less_div_10IhEEE10hipError_tT0_T1_T2_jT3_P12ihipStream_tbPNSt15iterator_traitsISJ_E10value_typeEPNSP_ISK_E10value_typeEPSL_NS1_7vsmem_tEENKUlT_SJ_SK_SL_E_clIPhSE_SF_SF_EESI_SY_SJ_SK_SL_EUlSY_E_NS1_11comp_targetILNS1_3genE4ELNS1_11target_archE910ELNS1_3gpuE8ELNS1_3repE0EEENS1_48merge_mergepath_partition_config_static_selectorELNS0_4arch9wavefront6targetE0EEEvSK_
		.amdhsa_group_segment_fixed_size 0
		.amdhsa_private_segment_fixed_size 0
		.amdhsa_kernarg_size 48
		.amdhsa_user_sgpr_count 6
		.amdhsa_user_sgpr_private_segment_buffer 1
		.amdhsa_user_sgpr_dispatch_ptr 0
		.amdhsa_user_sgpr_queue_ptr 0
		.amdhsa_user_sgpr_kernarg_segment_ptr 1
		.amdhsa_user_sgpr_dispatch_id 0
		.amdhsa_user_sgpr_flat_scratch_init 0
		.amdhsa_user_sgpr_private_segment_size 0
		.amdhsa_wavefront_size32 1
		.amdhsa_uses_dynamic_stack 0
		.amdhsa_system_sgpr_private_segment_wavefront_offset 0
		.amdhsa_system_sgpr_workgroup_id_x 1
		.amdhsa_system_sgpr_workgroup_id_y 0
		.amdhsa_system_sgpr_workgroup_id_z 0
		.amdhsa_system_sgpr_workgroup_info 0
		.amdhsa_system_vgpr_workitem_id 0
		.amdhsa_next_free_vgpr 1
		.amdhsa_next_free_sgpr 1
		.amdhsa_reserve_vcc 0
		.amdhsa_reserve_flat_scratch 0
		.amdhsa_float_round_mode_32 0
		.amdhsa_float_round_mode_16_64 0
		.amdhsa_float_denorm_mode_32 3
		.amdhsa_float_denorm_mode_16_64 3
		.amdhsa_dx10_clamp 1
		.amdhsa_ieee_mode 1
		.amdhsa_fp16_overflow 0
		.amdhsa_workgroup_processor_mode 1
		.amdhsa_memory_ordered 1
		.amdhsa_forward_progress 1
		.amdhsa_shared_vgpr_count 0
		.amdhsa_exception_fp_ieee_invalid_op 0
		.amdhsa_exception_fp_denorm_src 0
		.amdhsa_exception_fp_ieee_div_zero 0
		.amdhsa_exception_fp_ieee_overflow 0
		.amdhsa_exception_fp_ieee_underflow 0
		.amdhsa_exception_fp_ieee_inexact 0
		.amdhsa_exception_int_div_zero 0
	.end_amdhsa_kernel
	.section	.text._ZN7rocprim17ROCPRIM_400000_NS6detail17trampoline_kernelINS0_14default_configENS1_38merge_sort_block_merge_config_selectorIhNS0_10empty_typeEEEZZNS1_27merge_sort_block_merge_implIS3_N6thrust23THRUST_200600_302600_NS6detail15normal_iteratorINS9_10device_ptrIhEEEEPS5_m11less_div_10IhEEE10hipError_tT0_T1_T2_jT3_P12ihipStream_tbPNSt15iterator_traitsISJ_E10value_typeEPNSP_ISK_E10value_typeEPSL_NS1_7vsmem_tEENKUlT_SJ_SK_SL_E_clIPhSE_SF_SF_EESI_SY_SJ_SK_SL_EUlSY_E_NS1_11comp_targetILNS1_3genE4ELNS1_11target_archE910ELNS1_3gpuE8ELNS1_3repE0EEENS1_48merge_mergepath_partition_config_static_selectorELNS0_4arch9wavefront6targetE0EEEvSK_,"axG",@progbits,_ZN7rocprim17ROCPRIM_400000_NS6detail17trampoline_kernelINS0_14default_configENS1_38merge_sort_block_merge_config_selectorIhNS0_10empty_typeEEEZZNS1_27merge_sort_block_merge_implIS3_N6thrust23THRUST_200600_302600_NS6detail15normal_iteratorINS9_10device_ptrIhEEEEPS5_m11less_div_10IhEEE10hipError_tT0_T1_T2_jT3_P12ihipStream_tbPNSt15iterator_traitsISJ_E10value_typeEPNSP_ISK_E10value_typeEPSL_NS1_7vsmem_tEENKUlT_SJ_SK_SL_E_clIPhSE_SF_SF_EESI_SY_SJ_SK_SL_EUlSY_E_NS1_11comp_targetILNS1_3genE4ELNS1_11target_archE910ELNS1_3gpuE8ELNS1_3repE0EEENS1_48merge_mergepath_partition_config_static_selectorELNS0_4arch9wavefront6targetE0EEEvSK_,comdat
.Lfunc_end696:
	.size	_ZN7rocprim17ROCPRIM_400000_NS6detail17trampoline_kernelINS0_14default_configENS1_38merge_sort_block_merge_config_selectorIhNS0_10empty_typeEEEZZNS1_27merge_sort_block_merge_implIS3_N6thrust23THRUST_200600_302600_NS6detail15normal_iteratorINS9_10device_ptrIhEEEEPS5_m11less_div_10IhEEE10hipError_tT0_T1_T2_jT3_P12ihipStream_tbPNSt15iterator_traitsISJ_E10value_typeEPNSP_ISK_E10value_typeEPSL_NS1_7vsmem_tEENKUlT_SJ_SK_SL_E_clIPhSE_SF_SF_EESI_SY_SJ_SK_SL_EUlSY_E_NS1_11comp_targetILNS1_3genE4ELNS1_11target_archE910ELNS1_3gpuE8ELNS1_3repE0EEENS1_48merge_mergepath_partition_config_static_selectorELNS0_4arch9wavefront6targetE0EEEvSK_, .Lfunc_end696-_ZN7rocprim17ROCPRIM_400000_NS6detail17trampoline_kernelINS0_14default_configENS1_38merge_sort_block_merge_config_selectorIhNS0_10empty_typeEEEZZNS1_27merge_sort_block_merge_implIS3_N6thrust23THRUST_200600_302600_NS6detail15normal_iteratorINS9_10device_ptrIhEEEEPS5_m11less_div_10IhEEE10hipError_tT0_T1_T2_jT3_P12ihipStream_tbPNSt15iterator_traitsISJ_E10value_typeEPNSP_ISK_E10value_typeEPSL_NS1_7vsmem_tEENKUlT_SJ_SK_SL_E_clIPhSE_SF_SF_EESI_SY_SJ_SK_SL_EUlSY_E_NS1_11comp_targetILNS1_3genE4ELNS1_11target_archE910ELNS1_3gpuE8ELNS1_3repE0EEENS1_48merge_mergepath_partition_config_static_selectorELNS0_4arch9wavefront6targetE0EEEvSK_
                                        ; -- End function
	.set _ZN7rocprim17ROCPRIM_400000_NS6detail17trampoline_kernelINS0_14default_configENS1_38merge_sort_block_merge_config_selectorIhNS0_10empty_typeEEEZZNS1_27merge_sort_block_merge_implIS3_N6thrust23THRUST_200600_302600_NS6detail15normal_iteratorINS9_10device_ptrIhEEEEPS5_m11less_div_10IhEEE10hipError_tT0_T1_T2_jT3_P12ihipStream_tbPNSt15iterator_traitsISJ_E10value_typeEPNSP_ISK_E10value_typeEPSL_NS1_7vsmem_tEENKUlT_SJ_SK_SL_E_clIPhSE_SF_SF_EESI_SY_SJ_SK_SL_EUlSY_E_NS1_11comp_targetILNS1_3genE4ELNS1_11target_archE910ELNS1_3gpuE8ELNS1_3repE0EEENS1_48merge_mergepath_partition_config_static_selectorELNS0_4arch9wavefront6targetE0EEEvSK_.num_vgpr, 0
	.set _ZN7rocprim17ROCPRIM_400000_NS6detail17trampoline_kernelINS0_14default_configENS1_38merge_sort_block_merge_config_selectorIhNS0_10empty_typeEEEZZNS1_27merge_sort_block_merge_implIS3_N6thrust23THRUST_200600_302600_NS6detail15normal_iteratorINS9_10device_ptrIhEEEEPS5_m11less_div_10IhEEE10hipError_tT0_T1_T2_jT3_P12ihipStream_tbPNSt15iterator_traitsISJ_E10value_typeEPNSP_ISK_E10value_typeEPSL_NS1_7vsmem_tEENKUlT_SJ_SK_SL_E_clIPhSE_SF_SF_EESI_SY_SJ_SK_SL_EUlSY_E_NS1_11comp_targetILNS1_3genE4ELNS1_11target_archE910ELNS1_3gpuE8ELNS1_3repE0EEENS1_48merge_mergepath_partition_config_static_selectorELNS0_4arch9wavefront6targetE0EEEvSK_.num_agpr, 0
	.set _ZN7rocprim17ROCPRIM_400000_NS6detail17trampoline_kernelINS0_14default_configENS1_38merge_sort_block_merge_config_selectorIhNS0_10empty_typeEEEZZNS1_27merge_sort_block_merge_implIS3_N6thrust23THRUST_200600_302600_NS6detail15normal_iteratorINS9_10device_ptrIhEEEEPS5_m11less_div_10IhEEE10hipError_tT0_T1_T2_jT3_P12ihipStream_tbPNSt15iterator_traitsISJ_E10value_typeEPNSP_ISK_E10value_typeEPSL_NS1_7vsmem_tEENKUlT_SJ_SK_SL_E_clIPhSE_SF_SF_EESI_SY_SJ_SK_SL_EUlSY_E_NS1_11comp_targetILNS1_3genE4ELNS1_11target_archE910ELNS1_3gpuE8ELNS1_3repE0EEENS1_48merge_mergepath_partition_config_static_selectorELNS0_4arch9wavefront6targetE0EEEvSK_.numbered_sgpr, 0
	.set _ZN7rocprim17ROCPRIM_400000_NS6detail17trampoline_kernelINS0_14default_configENS1_38merge_sort_block_merge_config_selectorIhNS0_10empty_typeEEEZZNS1_27merge_sort_block_merge_implIS3_N6thrust23THRUST_200600_302600_NS6detail15normal_iteratorINS9_10device_ptrIhEEEEPS5_m11less_div_10IhEEE10hipError_tT0_T1_T2_jT3_P12ihipStream_tbPNSt15iterator_traitsISJ_E10value_typeEPNSP_ISK_E10value_typeEPSL_NS1_7vsmem_tEENKUlT_SJ_SK_SL_E_clIPhSE_SF_SF_EESI_SY_SJ_SK_SL_EUlSY_E_NS1_11comp_targetILNS1_3genE4ELNS1_11target_archE910ELNS1_3gpuE8ELNS1_3repE0EEENS1_48merge_mergepath_partition_config_static_selectorELNS0_4arch9wavefront6targetE0EEEvSK_.num_named_barrier, 0
	.set _ZN7rocprim17ROCPRIM_400000_NS6detail17trampoline_kernelINS0_14default_configENS1_38merge_sort_block_merge_config_selectorIhNS0_10empty_typeEEEZZNS1_27merge_sort_block_merge_implIS3_N6thrust23THRUST_200600_302600_NS6detail15normal_iteratorINS9_10device_ptrIhEEEEPS5_m11less_div_10IhEEE10hipError_tT0_T1_T2_jT3_P12ihipStream_tbPNSt15iterator_traitsISJ_E10value_typeEPNSP_ISK_E10value_typeEPSL_NS1_7vsmem_tEENKUlT_SJ_SK_SL_E_clIPhSE_SF_SF_EESI_SY_SJ_SK_SL_EUlSY_E_NS1_11comp_targetILNS1_3genE4ELNS1_11target_archE910ELNS1_3gpuE8ELNS1_3repE0EEENS1_48merge_mergepath_partition_config_static_selectorELNS0_4arch9wavefront6targetE0EEEvSK_.private_seg_size, 0
	.set _ZN7rocprim17ROCPRIM_400000_NS6detail17trampoline_kernelINS0_14default_configENS1_38merge_sort_block_merge_config_selectorIhNS0_10empty_typeEEEZZNS1_27merge_sort_block_merge_implIS3_N6thrust23THRUST_200600_302600_NS6detail15normal_iteratorINS9_10device_ptrIhEEEEPS5_m11less_div_10IhEEE10hipError_tT0_T1_T2_jT3_P12ihipStream_tbPNSt15iterator_traitsISJ_E10value_typeEPNSP_ISK_E10value_typeEPSL_NS1_7vsmem_tEENKUlT_SJ_SK_SL_E_clIPhSE_SF_SF_EESI_SY_SJ_SK_SL_EUlSY_E_NS1_11comp_targetILNS1_3genE4ELNS1_11target_archE910ELNS1_3gpuE8ELNS1_3repE0EEENS1_48merge_mergepath_partition_config_static_selectorELNS0_4arch9wavefront6targetE0EEEvSK_.uses_vcc, 0
	.set _ZN7rocprim17ROCPRIM_400000_NS6detail17trampoline_kernelINS0_14default_configENS1_38merge_sort_block_merge_config_selectorIhNS0_10empty_typeEEEZZNS1_27merge_sort_block_merge_implIS3_N6thrust23THRUST_200600_302600_NS6detail15normal_iteratorINS9_10device_ptrIhEEEEPS5_m11less_div_10IhEEE10hipError_tT0_T1_T2_jT3_P12ihipStream_tbPNSt15iterator_traitsISJ_E10value_typeEPNSP_ISK_E10value_typeEPSL_NS1_7vsmem_tEENKUlT_SJ_SK_SL_E_clIPhSE_SF_SF_EESI_SY_SJ_SK_SL_EUlSY_E_NS1_11comp_targetILNS1_3genE4ELNS1_11target_archE910ELNS1_3gpuE8ELNS1_3repE0EEENS1_48merge_mergepath_partition_config_static_selectorELNS0_4arch9wavefront6targetE0EEEvSK_.uses_flat_scratch, 0
	.set _ZN7rocprim17ROCPRIM_400000_NS6detail17trampoline_kernelINS0_14default_configENS1_38merge_sort_block_merge_config_selectorIhNS0_10empty_typeEEEZZNS1_27merge_sort_block_merge_implIS3_N6thrust23THRUST_200600_302600_NS6detail15normal_iteratorINS9_10device_ptrIhEEEEPS5_m11less_div_10IhEEE10hipError_tT0_T1_T2_jT3_P12ihipStream_tbPNSt15iterator_traitsISJ_E10value_typeEPNSP_ISK_E10value_typeEPSL_NS1_7vsmem_tEENKUlT_SJ_SK_SL_E_clIPhSE_SF_SF_EESI_SY_SJ_SK_SL_EUlSY_E_NS1_11comp_targetILNS1_3genE4ELNS1_11target_archE910ELNS1_3gpuE8ELNS1_3repE0EEENS1_48merge_mergepath_partition_config_static_selectorELNS0_4arch9wavefront6targetE0EEEvSK_.has_dyn_sized_stack, 0
	.set _ZN7rocprim17ROCPRIM_400000_NS6detail17trampoline_kernelINS0_14default_configENS1_38merge_sort_block_merge_config_selectorIhNS0_10empty_typeEEEZZNS1_27merge_sort_block_merge_implIS3_N6thrust23THRUST_200600_302600_NS6detail15normal_iteratorINS9_10device_ptrIhEEEEPS5_m11less_div_10IhEEE10hipError_tT0_T1_T2_jT3_P12ihipStream_tbPNSt15iterator_traitsISJ_E10value_typeEPNSP_ISK_E10value_typeEPSL_NS1_7vsmem_tEENKUlT_SJ_SK_SL_E_clIPhSE_SF_SF_EESI_SY_SJ_SK_SL_EUlSY_E_NS1_11comp_targetILNS1_3genE4ELNS1_11target_archE910ELNS1_3gpuE8ELNS1_3repE0EEENS1_48merge_mergepath_partition_config_static_selectorELNS0_4arch9wavefront6targetE0EEEvSK_.has_recursion, 0
	.set _ZN7rocprim17ROCPRIM_400000_NS6detail17trampoline_kernelINS0_14default_configENS1_38merge_sort_block_merge_config_selectorIhNS0_10empty_typeEEEZZNS1_27merge_sort_block_merge_implIS3_N6thrust23THRUST_200600_302600_NS6detail15normal_iteratorINS9_10device_ptrIhEEEEPS5_m11less_div_10IhEEE10hipError_tT0_T1_T2_jT3_P12ihipStream_tbPNSt15iterator_traitsISJ_E10value_typeEPNSP_ISK_E10value_typeEPSL_NS1_7vsmem_tEENKUlT_SJ_SK_SL_E_clIPhSE_SF_SF_EESI_SY_SJ_SK_SL_EUlSY_E_NS1_11comp_targetILNS1_3genE4ELNS1_11target_archE910ELNS1_3gpuE8ELNS1_3repE0EEENS1_48merge_mergepath_partition_config_static_selectorELNS0_4arch9wavefront6targetE0EEEvSK_.has_indirect_call, 0
	.section	.AMDGPU.csdata,"",@progbits
; Kernel info:
; codeLenInByte = 0
; TotalNumSgprs: 0
; NumVgprs: 0
; ScratchSize: 0
; MemoryBound: 0
; FloatMode: 240
; IeeeMode: 1
; LDSByteSize: 0 bytes/workgroup (compile time only)
; SGPRBlocks: 0
; VGPRBlocks: 0
; NumSGPRsForWavesPerEU: 1
; NumVGPRsForWavesPerEU: 1
; Occupancy: 16
; WaveLimiterHint : 0
; COMPUTE_PGM_RSRC2:SCRATCH_EN: 0
; COMPUTE_PGM_RSRC2:USER_SGPR: 6
; COMPUTE_PGM_RSRC2:TRAP_HANDLER: 0
; COMPUTE_PGM_RSRC2:TGID_X_EN: 1
; COMPUTE_PGM_RSRC2:TGID_Y_EN: 0
; COMPUTE_PGM_RSRC2:TGID_Z_EN: 0
; COMPUTE_PGM_RSRC2:TIDIG_COMP_CNT: 0
	.section	.text._ZN7rocprim17ROCPRIM_400000_NS6detail17trampoline_kernelINS0_14default_configENS1_38merge_sort_block_merge_config_selectorIhNS0_10empty_typeEEEZZNS1_27merge_sort_block_merge_implIS3_N6thrust23THRUST_200600_302600_NS6detail15normal_iteratorINS9_10device_ptrIhEEEEPS5_m11less_div_10IhEEE10hipError_tT0_T1_T2_jT3_P12ihipStream_tbPNSt15iterator_traitsISJ_E10value_typeEPNSP_ISK_E10value_typeEPSL_NS1_7vsmem_tEENKUlT_SJ_SK_SL_E_clIPhSE_SF_SF_EESI_SY_SJ_SK_SL_EUlSY_E_NS1_11comp_targetILNS1_3genE3ELNS1_11target_archE908ELNS1_3gpuE7ELNS1_3repE0EEENS1_48merge_mergepath_partition_config_static_selectorELNS0_4arch9wavefront6targetE0EEEvSK_,"axG",@progbits,_ZN7rocprim17ROCPRIM_400000_NS6detail17trampoline_kernelINS0_14default_configENS1_38merge_sort_block_merge_config_selectorIhNS0_10empty_typeEEEZZNS1_27merge_sort_block_merge_implIS3_N6thrust23THRUST_200600_302600_NS6detail15normal_iteratorINS9_10device_ptrIhEEEEPS5_m11less_div_10IhEEE10hipError_tT0_T1_T2_jT3_P12ihipStream_tbPNSt15iterator_traitsISJ_E10value_typeEPNSP_ISK_E10value_typeEPSL_NS1_7vsmem_tEENKUlT_SJ_SK_SL_E_clIPhSE_SF_SF_EESI_SY_SJ_SK_SL_EUlSY_E_NS1_11comp_targetILNS1_3genE3ELNS1_11target_archE908ELNS1_3gpuE7ELNS1_3repE0EEENS1_48merge_mergepath_partition_config_static_selectorELNS0_4arch9wavefront6targetE0EEEvSK_,comdat
	.protected	_ZN7rocprim17ROCPRIM_400000_NS6detail17trampoline_kernelINS0_14default_configENS1_38merge_sort_block_merge_config_selectorIhNS0_10empty_typeEEEZZNS1_27merge_sort_block_merge_implIS3_N6thrust23THRUST_200600_302600_NS6detail15normal_iteratorINS9_10device_ptrIhEEEEPS5_m11less_div_10IhEEE10hipError_tT0_T1_T2_jT3_P12ihipStream_tbPNSt15iterator_traitsISJ_E10value_typeEPNSP_ISK_E10value_typeEPSL_NS1_7vsmem_tEENKUlT_SJ_SK_SL_E_clIPhSE_SF_SF_EESI_SY_SJ_SK_SL_EUlSY_E_NS1_11comp_targetILNS1_3genE3ELNS1_11target_archE908ELNS1_3gpuE7ELNS1_3repE0EEENS1_48merge_mergepath_partition_config_static_selectorELNS0_4arch9wavefront6targetE0EEEvSK_ ; -- Begin function _ZN7rocprim17ROCPRIM_400000_NS6detail17trampoline_kernelINS0_14default_configENS1_38merge_sort_block_merge_config_selectorIhNS0_10empty_typeEEEZZNS1_27merge_sort_block_merge_implIS3_N6thrust23THRUST_200600_302600_NS6detail15normal_iteratorINS9_10device_ptrIhEEEEPS5_m11less_div_10IhEEE10hipError_tT0_T1_T2_jT3_P12ihipStream_tbPNSt15iterator_traitsISJ_E10value_typeEPNSP_ISK_E10value_typeEPSL_NS1_7vsmem_tEENKUlT_SJ_SK_SL_E_clIPhSE_SF_SF_EESI_SY_SJ_SK_SL_EUlSY_E_NS1_11comp_targetILNS1_3genE3ELNS1_11target_archE908ELNS1_3gpuE7ELNS1_3repE0EEENS1_48merge_mergepath_partition_config_static_selectorELNS0_4arch9wavefront6targetE0EEEvSK_
	.globl	_ZN7rocprim17ROCPRIM_400000_NS6detail17trampoline_kernelINS0_14default_configENS1_38merge_sort_block_merge_config_selectorIhNS0_10empty_typeEEEZZNS1_27merge_sort_block_merge_implIS3_N6thrust23THRUST_200600_302600_NS6detail15normal_iteratorINS9_10device_ptrIhEEEEPS5_m11less_div_10IhEEE10hipError_tT0_T1_T2_jT3_P12ihipStream_tbPNSt15iterator_traitsISJ_E10value_typeEPNSP_ISK_E10value_typeEPSL_NS1_7vsmem_tEENKUlT_SJ_SK_SL_E_clIPhSE_SF_SF_EESI_SY_SJ_SK_SL_EUlSY_E_NS1_11comp_targetILNS1_3genE3ELNS1_11target_archE908ELNS1_3gpuE7ELNS1_3repE0EEENS1_48merge_mergepath_partition_config_static_selectorELNS0_4arch9wavefront6targetE0EEEvSK_
	.p2align	8
	.type	_ZN7rocprim17ROCPRIM_400000_NS6detail17trampoline_kernelINS0_14default_configENS1_38merge_sort_block_merge_config_selectorIhNS0_10empty_typeEEEZZNS1_27merge_sort_block_merge_implIS3_N6thrust23THRUST_200600_302600_NS6detail15normal_iteratorINS9_10device_ptrIhEEEEPS5_m11less_div_10IhEEE10hipError_tT0_T1_T2_jT3_P12ihipStream_tbPNSt15iterator_traitsISJ_E10value_typeEPNSP_ISK_E10value_typeEPSL_NS1_7vsmem_tEENKUlT_SJ_SK_SL_E_clIPhSE_SF_SF_EESI_SY_SJ_SK_SL_EUlSY_E_NS1_11comp_targetILNS1_3genE3ELNS1_11target_archE908ELNS1_3gpuE7ELNS1_3repE0EEENS1_48merge_mergepath_partition_config_static_selectorELNS0_4arch9wavefront6targetE0EEEvSK_,@function
_ZN7rocprim17ROCPRIM_400000_NS6detail17trampoline_kernelINS0_14default_configENS1_38merge_sort_block_merge_config_selectorIhNS0_10empty_typeEEEZZNS1_27merge_sort_block_merge_implIS3_N6thrust23THRUST_200600_302600_NS6detail15normal_iteratorINS9_10device_ptrIhEEEEPS5_m11less_div_10IhEEE10hipError_tT0_T1_T2_jT3_P12ihipStream_tbPNSt15iterator_traitsISJ_E10value_typeEPNSP_ISK_E10value_typeEPSL_NS1_7vsmem_tEENKUlT_SJ_SK_SL_E_clIPhSE_SF_SF_EESI_SY_SJ_SK_SL_EUlSY_E_NS1_11comp_targetILNS1_3genE3ELNS1_11target_archE908ELNS1_3gpuE7ELNS1_3repE0EEENS1_48merge_mergepath_partition_config_static_selectorELNS0_4arch9wavefront6targetE0EEEvSK_: ; @_ZN7rocprim17ROCPRIM_400000_NS6detail17trampoline_kernelINS0_14default_configENS1_38merge_sort_block_merge_config_selectorIhNS0_10empty_typeEEEZZNS1_27merge_sort_block_merge_implIS3_N6thrust23THRUST_200600_302600_NS6detail15normal_iteratorINS9_10device_ptrIhEEEEPS5_m11less_div_10IhEEE10hipError_tT0_T1_T2_jT3_P12ihipStream_tbPNSt15iterator_traitsISJ_E10value_typeEPNSP_ISK_E10value_typeEPSL_NS1_7vsmem_tEENKUlT_SJ_SK_SL_E_clIPhSE_SF_SF_EESI_SY_SJ_SK_SL_EUlSY_E_NS1_11comp_targetILNS1_3genE3ELNS1_11target_archE908ELNS1_3gpuE7ELNS1_3repE0EEENS1_48merge_mergepath_partition_config_static_selectorELNS0_4arch9wavefront6targetE0EEEvSK_
; %bb.0:
	.section	.rodata,"a",@progbits
	.p2align	6, 0x0
	.amdhsa_kernel _ZN7rocprim17ROCPRIM_400000_NS6detail17trampoline_kernelINS0_14default_configENS1_38merge_sort_block_merge_config_selectorIhNS0_10empty_typeEEEZZNS1_27merge_sort_block_merge_implIS3_N6thrust23THRUST_200600_302600_NS6detail15normal_iteratorINS9_10device_ptrIhEEEEPS5_m11less_div_10IhEEE10hipError_tT0_T1_T2_jT3_P12ihipStream_tbPNSt15iterator_traitsISJ_E10value_typeEPNSP_ISK_E10value_typeEPSL_NS1_7vsmem_tEENKUlT_SJ_SK_SL_E_clIPhSE_SF_SF_EESI_SY_SJ_SK_SL_EUlSY_E_NS1_11comp_targetILNS1_3genE3ELNS1_11target_archE908ELNS1_3gpuE7ELNS1_3repE0EEENS1_48merge_mergepath_partition_config_static_selectorELNS0_4arch9wavefront6targetE0EEEvSK_
		.amdhsa_group_segment_fixed_size 0
		.amdhsa_private_segment_fixed_size 0
		.amdhsa_kernarg_size 48
		.amdhsa_user_sgpr_count 6
		.amdhsa_user_sgpr_private_segment_buffer 1
		.amdhsa_user_sgpr_dispatch_ptr 0
		.amdhsa_user_sgpr_queue_ptr 0
		.amdhsa_user_sgpr_kernarg_segment_ptr 1
		.amdhsa_user_sgpr_dispatch_id 0
		.amdhsa_user_sgpr_flat_scratch_init 0
		.amdhsa_user_sgpr_private_segment_size 0
		.amdhsa_wavefront_size32 1
		.amdhsa_uses_dynamic_stack 0
		.amdhsa_system_sgpr_private_segment_wavefront_offset 0
		.amdhsa_system_sgpr_workgroup_id_x 1
		.amdhsa_system_sgpr_workgroup_id_y 0
		.amdhsa_system_sgpr_workgroup_id_z 0
		.amdhsa_system_sgpr_workgroup_info 0
		.amdhsa_system_vgpr_workitem_id 0
		.amdhsa_next_free_vgpr 1
		.amdhsa_next_free_sgpr 1
		.amdhsa_reserve_vcc 0
		.amdhsa_reserve_flat_scratch 0
		.amdhsa_float_round_mode_32 0
		.amdhsa_float_round_mode_16_64 0
		.amdhsa_float_denorm_mode_32 3
		.amdhsa_float_denorm_mode_16_64 3
		.amdhsa_dx10_clamp 1
		.amdhsa_ieee_mode 1
		.amdhsa_fp16_overflow 0
		.amdhsa_workgroup_processor_mode 1
		.amdhsa_memory_ordered 1
		.amdhsa_forward_progress 1
		.amdhsa_shared_vgpr_count 0
		.amdhsa_exception_fp_ieee_invalid_op 0
		.amdhsa_exception_fp_denorm_src 0
		.amdhsa_exception_fp_ieee_div_zero 0
		.amdhsa_exception_fp_ieee_overflow 0
		.amdhsa_exception_fp_ieee_underflow 0
		.amdhsa_exception_fp_ieee_inexact 0
		.amdhsa_exception_int_div_zero 0
	.end_amdhsa_kernel
	.section	.text._ZN7rocprim17ROCPRIM_400000_NS6detail17trampoline_kernelINS0_14default_configENS1_38merge_sort_block_merge_config_selectorIhNS0_10empty_typeEEEZZNS1_27merge_sort_block_merge_implIS3_N6thrust23THRUST_200600_302600_NS6detail15normal_iteratorINS9_10device_ptrIhEEEEPS5_m11less_div_10IhEEE10hipError_tT0_T1_T2_jT3_P12ihipStream_tbPNSt15iterator_traitsISJ_E10value_typeEPNSP_ISK_E10value_typeEPSL_NS1_7vsmem_tEENKUlT_SJ_SK_SL_E_clIPhSE_SF_SF_EESI_SY_SJ_SK_SL_EUlSY_E_NS1_11comp_targetILNS1_3genE3ELNS1_11target_archE908ELNS1_3gpuE7ELNS1_3repE0EEENS1_48merge_mergepath_partition_config_static_selectorELNS0_4arch9wavefront6targetE0EEEvSK_,"axG",@progbits,_ZN7rocprim17ROCPRIM_400000_NS6detail17trampoline_kernelINS0_14default_configENS1_38merge_sort_block_merge_config_selectorIhNS0_10empty_typeEEEZZNS1_27merge_sort_block_merge_implIS3_N6thrust23THRUST_200600_302600_NS6detail15normal_iteratorINS9_10device_ptrIhEEEEPS5_m11less_div_10IhEEE10hipError_tT0_T1_T2_jT3_P12ihipStream_tbPNSt15iterator_traitsISJ_E10value_typeEPNSP_ISK_E10value_typeEPSL_NS1_7vsmem_tEENKUlT_SJ_SK_SL_E_clIPhSE_SF_SF_EESI_SY_SJ_SK_SL_EUlSY_E_NS1_11comp_targetILNS1_3genE3ELNS1_11target_archE908ELNS1_3gpuE7ELNS1_3repE0EEENS1_48merge_mergepath_partition_config_static_selectorELNS0_4arch9wavefront6targetE0EEEvSK_,comdat
.Lfunc_end697:
	.size	_ZN7rocprim17ROCPRIM_400000_NS6detail17trampoline_kernelINS0_14default_configENS1_38merge_sort_block_merge_config_selectorIhNS0_10empty_typeEEEZZNS1_27merge_sort_block_merge_implIS3_N6thrust23THRUST_200600_302600_NS6detail15normal_iteratorINS9_10device_ptrIhEEEEPS5_m11less_div_10IhEEE10hipError_tT0_T1_T2_jT3_P12ihipStream_tbPNSt15iterator_traitsISJ_E10value_typeEPNSP_ISK_E10value_typeEPSL_NS1_7vsmem_tEENKUlT_SJ_SK_SL_E_clIPhSE_SF_SF_EESI_SY_SJ_SK_SL_EUlSY_E_NS1_11comp_targetILNS1_3genE3ELNS1_11target_archE908ELNS1_3gpuE7ELNS1_3repE0EEENS1_48merge_mergepath_partition_config_static_selectorELNS0_4arch9wavefront6targetE0EEEvSK_, .Lfunc_end697-_ZN7rocprim17ROCPRIM_400000_NS6detail17trampoline_kernelINS0_14default_configENS1_38merge_sort_block_merge_config_selectorIhNS0_10empty_typeEEEZZNS1_27merge_sort_block_merge_implIS3_N6thrust23THRUST_200600_302600_NS6detail15normal_iteratorINS9_10device_ptrIhEEEEPS5_m11less_div_10IhEEE10hipError_tT0_T1_T2_jT3_P12ihipStream_tbPNSt15iterator_traitsISJ_E10value_typeEPNSP_ISK_E10value_typeEPSL_NS1_7vsmem_tEENKUlT_SJ_SK_SL_E_clIPhSE_SF_SF_EESI_SY_SJ_SK_SL_EUlSY_E_NS1_11comp_targetILNS1_3genE3ELNS1_11target_archE908ELNS1_3gpuE7ELNS1_3repE0EEENS1_48merge_mergepath_partition_config_static_selectorELNS0_4arch9wavefront6targetE0EEEvSK_
                                        ; -- End function
	.set _ZN7rocprim17ROCPRIM_400000_NS6detail17trampoline_kernelINS0_14default_configENS1_38merge_sort_block_merge_config_selectorIhNS0_10empty_typeEEEZZNS1_27merge_sort_block_merge_implIS3_N6thrust23THRUST_200600_302600_NS6detail15normal_iteratorINS9_10device_ptrIhEEEEPS5_m11less_div_10IhEEE10hipError_tT0_T1_T2_jT3_P12ihipStream_tbPNSt15iterator_traitsISJ_E10value_typeEPNSP_ISK_E10value_typeEPSL_NS1_7vsmem_tEENKUlT_SJ_SK_SL_E_clIPhSE_SF_SF_EESI_SY_SJ_SK_SL_EUlSY_E_NS1_11comp_targetILNS1_3genE3ELNS1_11target_archE908ELNS1_3gpuE7ELNS1_3repE0EEENS1_48merge_mergepath_partition_config_static_selectorELNS0_4arch9wavefront6targetE0EEEvSK_.num_vgpr, 0
	.set _ZN7rocprim17ROCPRIM_400000_NS6detail17trampoline_kernelINS0_14default_configENS1_38merge_sort_block_merge_config_selectorIhNS0_10empty_typeEEEZZNS1_27merge_sort_block_merge_implIS3_N6thrust23THRUST_200600_302600_NS6detail15normal_iteratorINS9_10device_ptrIhEEEEPS5_m11less_div_10IhEEE10hipError_tT0_T1_T2_jT3_P12ihipStream_tbPNSt15iterator_traitsISJ_E10value_typeEPNSP_ISK_E10value_typeEPSL_NS1_7vsmem_tEENKUlT_SJ_SK_SL_E_clIPhSE_SF_SF_EESI_SY_SJ_SK_SL_EUlSY_E_NS1_11comp_targetILNS1_3genE3ELNS1_11target_archE908ELNS1_3gpuE7ELNS1_3repE0EEENS1_48merge_mergepath_partition_config_static_selectorELNS0_4arch9wavefront6targetE0EEEvSK_.num_agpr, 0
	.set _ZN7rocprim17ROCPRIM_400000_NS6detail17trampoline_kernelINS0_14default_configENS1_38merge_sort_block_merge_config_selectorIhNS0_10empty_typeEEEZZNS1_27merge_sort_block_merge_implIS3_N6thrust23THRUST_200600_302600_NS6detail15normal_iteratorINS9_10device_ptrIhEEEEPS5_m11less_div_10IhEEE10hipError_tT0_T1_T2_jT3_P12ihipStream_tbPNSt15iterator_traitsISJ_E10value_typeEPNSP_ISK_E10value_typeEPSL_NS1_7vsmem_tEENKUlT_SJ_SK_SL_E_clIPhSE_SF_SF_EESI_SY_SJ_SK_SL_EUlSY_E_NS1_11comp_targetILNS1_3genE3ELNS1_11target_archE908ELNS1_3gpuE7ELNS1_3repE0EEENS1_48merge_mergepath_partition_config_static_selectorELNS0_4arch9wavefront6targetE0EEEvSK_.numbered_sgpr, 0
	.set _ZN7rocprim17ROCPRIM_400000_NS6detail17trampoline_kernelINS0_14default_configENS1_38merge_sort_block_merge_config_selectorIhNS0_10empty_typeEEEZZNS1_27merge_sort_block_merge_implIS3_N6thrust23THRUST_200600_302600_NS6detail15normal_iteratorINS9_10device_ptrIhEEEEPS5_m11less_div_10IhEEE10hipError_tT0_T1_T2_jT3_P12ihipStream_tbPNSt15iterator_traitsISJ_E10value_typeEPNSP_ISK_E10value_typeEPSL_NS1_7vsmem_tEENKUlT_SJ_SK_SL_E_clIPhSE_SF_SF_EESI_SY_SJ_SK_SL_EUlSY_E_NS1_11comp_targetILNS1_3genE3ELNS1_11target_archE908ELNS1_3gpuE7ELNS1_3repE0EEENS1_48merge_mergepath_partition_config_static_selectorELNS0_4arch9wavefront6targetE0EEEvSK_.num_named_barrier, 0
	.set _ZN7rocprim17ROCPRIM_400000_NS6detail17trampoline_kernelINS0_14default_configENS1_38merge_sort_block_merge_config_selectorIhNS0_10empty_typeEEEZZNS1_27merge_sort_block_merge_implIS3_N6thrust23THRUST_200600_302600_NS6detail15normal_iteratorINS9_10device_ptrIhEEEEPS5_m11less_div_10IhEEE10hipError_tT0_T1_T2_jT3_P12ihipStream_tbPNSt15iterator_traitsISJ_E10value_typeEPNSP_ISK_E10value_typeEPSL_NS1_7vsmem_tEENKUlT_SJ_SK_SL_E_clIPhSE_SF_SF_EESI_SY_SJ_SK_SL_EUlSY_E_NS1_11comp_targetILNS1_3genE3ELNS1_11target_archE908ELNS1_3gpuE7ELNS1_3repE0EEENS1_48merge_mergepath_partition_config_static_selectorELNS0_4arch9wavefront6targetE0EEEvSK_.private_seg_size, 0
	.set _ZN7rocprim17ROCPRIM_400000_NS6detail17trampoline_kernelINS0_14default_configENS1_38merge_sort_block_merge_config_selectorIhNS0_10empty_typeEEEZZNS1_27merge_sort_block_merge_implIS3_N6thrust23THRUST_200600_302600_NS6detail15normal_iteratorINS9_10device_ptrIhEEEEPS5_m11less_div_10IhEEE10hipError_tT0_T1_T2_jT3_P12ihipStream_tbPNSt15iterator_traitsISJ_E10value_typeEPNSP_ISK_E10value_typeEPSL_NS1_7vsmem_tEENKUlT_SJ_SK_SL_E_clIPhSE_SF_SF_EESI_SY_SJ_SK_SL_EUlSY_E_NS1_11comp_targetILNS1_3genE3ELNS1_11target_archE908ELNS1_3gpuE7ELNS1_3repE0EEENS1_48merge_mergepath_partition_config_static_selectorELNS0_4arch9wavefront6targetE0EEEvSK_.uses_vcc, 0
	.set _ZN7rocprim17ROCPRIM_400000_NS6detail17trampoline_kernelINS0_14default_configENS1_38merge_sort_block_merge_config_selectorIhNS0_10empty_typeEEEZZNS1_27merge_sort_block_merge_implIS3_N6thrust23THRUST_200600_302600_NS6detail15normal_iteratorINS9_10device_ptrIhEEEEPS5_m11less_div_10IhEEE10hipError_tT0_T1_T2_jT3_P12ihipStream_tbPNSt15iterator_traitsISJ_E10value_typeEPNSP_ISK_E10value_typeEPSL_NS1_7vsmem_tEENKUlT_SJ_SK_SL_E_clIPhSE_SF_SF_EESI_SY_SJ_SK_SL_EUlSY_E_NS1_11comp_targetILNS1_3genE3ELNS1_11target_archE908ELNS1_3gpuE7ELNS1_3repE0EEENS1_48merge_mergepath_partition_config_static_selectorELNS0_4arch9wavefront6targetE0EEEvSK_.uses_flat_scratch, 0
	.set _ZN7rocprim17ROCPRIM_400000_NS6detail17trampoline_kernelINS0_14default_configENS1_38merge_sort_block_merge_config_selectorIhNS0_10empty_typeEEEZZNS1_27merge_sort_block_merge_implIS3_N6thrust23THRUST_200600_302600_NS6detail15normal_iteratorINS9_10device_ptrIhEEEEPS5_m11less_div_10IhEEE10hipError_tT0_T1_T2_jT3_P12ihipStream_tbPNSt15iterator_traitsISJ_E10value_typeEPNSP_ISK_E10value_typeEPSL_NS1_7vsmem_tEENKUlT_SJ_SK_SL_E_clIPhSE_SF_SF_EESI_SY_SJ_SK_SL_EUlSY_E_NS1_11comp_targetILNS1_3genE3ELNS1_11target_archE908ELNS1_3gpuE7ELNS1_3repE0EEENS1_48merge_mergepath_partition_config_static_selectorELNS0_4arch9wavefront6targetE0EEEvSK_.has_dyn_sized_stack, 0
	.set _ZN7rocprim17ROCPRIM_400000_NS6detail17trampoline_kernelINS0_14default_configENS1_38merge_sort_block_merge_config_selectorIhNS0_10empty_typeEEEZZNS1_27merge_sort_block_merge_implIS3_N6thrust23THRUST_200600_302600_NS6detail15normal_iteratorINS9_10device_ptrIhEEEEPS5_m11less_div_10IhEEE10hipError_tT0_T1_T2_jT3_P12ihipStream_tbPNSt15iterator_traitsISJ_E10value_typeEPNSP_ISK_E10value_typeEPSL_NS1_7vsmem_tEENKUlT_SJ_SK_SL_E_clIPhSE_SF_SF_EESI_SY_SJ_SK_SL_EUlSY_E_NS1_11comp_targetILNS1_3genE3ELNS1_11target_archE908ELNS1_3gpuE7ELNS1_3repE0EEENS1_48merge_mergepath_partition_config_static_selectorELNS0_4arch9wavefront6targetE0EEEvSK_.has_recursion, 0
	.set _ZN7rocprim17ROCPRIM_400000_NS6detail17trampoline_kernelINS0_14default_configENS1_38merge_sort_block_merge_config_selectorIhNS0_10empty_typeEEEZZNS1_27merge_sort_block_merge_implIS3_N6thrust23THRUST_200600_302600_NS6detail15normal_iteratorINS9_10device_ptrIhEEEEPS5_m11less_div_10IhEEE10hipError_tT0_T1_T2_jT3_P12ihipStream_tbPNSt15iterator_traitsISJ_E10value_typeEPNSP_ISK_E10value_typeEPSL_NS1_7vsmem_tEENKUlT_SJ_SK_SL_E_clIPhSE_SF_SF_EESI_SY_SJ_SK_SL_EUlSY_E_NS1_11comp_targetILNS1_3genE3ELNS1_11target_archE908ELNS1_3gpuE7ELNS1_3repE0EEENS1_48merge_mergepath_partition_config_static_selectorELNS0_4arch9wavefront6targetE0EEEvSK_.has_indirect_call, 0
	.section	.AMDGPU.csdata,"",@progbits
; Kernel info:
; codeLenInByte = 0
; TotalNumSgprs: 0
; NumVgprs: 0
; ScratchSize: 0
; MemoryBound: 0
; FloatMode: 240
; IeeeMode: 1
; LDSByteSize: 0 bytes/workgroup (compile time only)
; SGPRBlocks: 0
; VGPRBlocks: 0
; NumSGPRsForWavesPerEU: 1
; NumVGPRsForWavesPerEU: 1
; Occupancy: 16
; WaveLimiterHint : 0
; COMPUTE_PGM_RSRC2:SCRATCH_EN: 0
; COMPUTE_PGM_RSRC2:USER_SGPR: 6
; COMPUTE_PGM_RSRC2:TRAP_HANDLER: 0
; COMPUTE_PGM_RSRC2:TGID_X_EN: 1
; COMPUTE_PGM_RSRC2:TGID_Y_EN: 0
; COMPUTE_PGM_RSRC2:TGID_Z_EN: 0
; COMPUTE_PGM_RSRC2:TIDIG_COMP_CNT: 0
	.section	.text._ZN7rocprim17ROCPRIM_400000_NS6detail17trampoline_kernelINS0_14default_configENS1_38merge_sort_block_merge_config_selectorIhNS0_10empty_typeEEEZZNS1_27merge_sort_block_merge_implIS3_N6thrust23THRUST_200600_302600_NS6detail15normal_iteratorINS9_10device_ptrIhEEEEPS5_m11less_div_10IhEEE10hipError_tT0_T1_T2_jT3_P12ihipStream_tbPNSt15iterator_traitsISJ_E10value_typeEPNSP_ISK_E10value_typeEPSL_NS1_7vsmem_tEENKUlT_SJ_SK_SL_E_clIPhSE_SF_SF_EESI_SY_SJ_SK_SL_EUlSY_E_NS1_11comp_targetILNS1_3genE2ELNS1_11target_archE906ELNS1_3gpuE6ELNS1_3repE0EEENS1_48merge_mergepath_partition_config_static_selectorELNS0_4arch9wavefront6targetE0EEEvSK_,"axG",@progbits,_ZN7rocprim17ROCPRIM_400000_NS6detail17trampoline_kernelINS0_14default_configENS1_38merge_sort_block_merge_config_selectorIhNS0_10empty_typeEEEZZNS1_27merge_sort_block_merge_implIS3_N6thrust23THRUST_200600_302600_NS6detail15normal_iteratorINS9_10device_ptrIhEEEEPS5_m11less_div_10IhEEE10hipError_tT0_T1_T2_jT3_P12ihipStream_tbPNSt15iterator_traitsISJ_E10value_typeEPNSP_ISK_E10value_typeEPSL_NS1_7vsmem_tEENKUlT_SJ_SK_SL_E_clIPhSE_SF_SF_EESI_SY_SJ_SK_SL_EUlSY_E_NS1_11comp_targetILNS1_3genE2ELNS1_11target_archE906ELNS1_3gpuE6ELNS1_3repE0EEENS1_48merge_mergepath_partition_config_static_selectorELNS0_4arch9wavefront6targetE0EEEvSK_,comdat
	.protected	_ZN7rocprim17ROCPRIM_400000_NS6detail17trampoline_kernelINS0_14default_configENS1_38merge_sort_block_merge_config_selectorIhNS0_10empty_typeEEEZZNS1_27merge_sort_block_merge_implIS3_N6thrust23THRUST_200600_302600_NS6detail15normal_iteratorINS9_10device_ptrIhEEEEPS5_m11less_div_10IhEEE10hipError_tT0_T1_T2_jT3_P12ihipStream_tbPNSt15iterator_traitsISJ_E10value_typeEPNSP_ISK_E10value_typeEPSL_NS1_7vsmem_tEENKUlT_SJ_SK_SL_E_clIPhSE_SF_SF_EESI_SY_SJ_SK_SL_EUlSY_E_NS1_11comp_targetILNS1_3genE2ELNS1_11target_archE906ELNS1_3gpuE6ELNS1_3repE0EEENS1_48merge_mergepath_partition_config_static_selectorELNS0_4arch9wavefront6targetE0EEEvSK_ ; -- Begin function _ZN7rocprim17ROCPRIM_400000_NS6detail17trampoline_kernelINS0_14default_configENS1_38merge_sort_block_merge_config_selectorIhNS0_10empty_typeEEEZZNS1_27merge_sort_block_merge_implIS3_N6thrust23THRUST_200600_302600_NS6detail15normal_iteratorINS9_10device_ptrIhEEEEPS5_m11less_div_10IhEEE10hipError_tT0_T1_T2_jT3_P12ihipStream_tbPNSt15iterator_traitsISJ_E10value_typeEPNSP_ISK_E10value_typeEPSL_NS1_7vsmem_tEENKUlT_SJ_SK_SL_E_clIPhSE_SF_SF_EESI_SY_SJ_SK_SL_EUlSY_E_NS1_11comp_targetILNS1_3genE2ELNS1_11target_archE906ELNS1_3gpuE6ELNS1_3repE0EEENS1_48merge_mergepath_partition_config_static_selectorELNS0_4arch9wavefront6targetE0EEEvSK_
	.globl	_ZN7rocprim17ROCPRIM_400000_NS6detail17trampoline_kernelINS0_14default_configENS1_38merge_sort_block_merge_config_selectorIhNS0_10empty_typeEEEZZNS1_27merge_sort_block_merge_implIS3_N6thrust23THRUST_200600_302600_NS6detail15normal_iteratorINS9_10device_ptrIhEEEEPS5_m11less_div_10IhEEE10hipError_tT0_T1_T2_jT3_P12ihipStream_tbPNSt15iterator_traitsISJ_E10value_typeEPNSP_ISK_E10value_typeEPSL_NS1_7vsmem_tEENKUlT_SJ_SK_SL_E_clIPhSE_SF_SF_EESI_SY_SJ_SK_SL_EUlSY_E_NS1_11comp_targetILNS1_3genE2ELNS1_11target_archE906ELNS1_3gpuE6ELNS1_3repE0EEENS1_48merge_mergepath_partition_config_static_selectorELNS0_4arch9wavefront6targetE0EEEvSK_
	.p2align	8
	.type	_ZN7rocprim17ROCPRIM_400000_NS6detail17trampoline_kernelINS0_14default_configENS1_38merge_sort_block_merge_config_selectorIhNS0_10empty_typeEEEZZNS1_27merge_sort_block_merge_implIS3_N6thrust23THRUST_200600_302600_NS6detail15normal_iteratorINS9_10device_ptrIhEEEEPS5_m11less_div_10IhEEE10hipError_tT0_T1_T2_jT3_P12ihipStream_tbPNSt15iterator_traitsISJ_E10value_typeEPNSP_ISK_E10value_typeEPSL_NS1_7vsmem_tEENKUlT_SJ_SK_SL_E_clIPhSE_SF_SF_EESI_SY_SJ_SK_SL_EUlSY_E_NS1_11comp_targetILNS1_3genE2ELNS1_11target_archE906ELNS1_3gpuE6ELNS1_3repE0EEENS1_48merge_mergepath_partition_config_static_selectorELNS0_4arch9wavefront6targetE0EEEvSK_,@function
_ZN7rocprim17ROCPRIM_400000_NS6detail17trampoline_kernelINS0_14default_configENS1_38merge_sort_block_merge_config_selectorIhNS0_10empty_typeEEEZZNS1_27merge_sort_block_merge_implIS3_N6thrust23THRUST_200600_302600_NS6detail15normal_iteratorINS9_10device_ptrIhEEEEPS5_m11less_div_10IhEEE10hipError_tT0_T1_T2_jT3_P12ihipStream_tbPNSt15iterator_traitsISJ_E10value_typeEPNSP_ISK_E10value_typeEPSL_NS1_7vsmem_tEENKUlT_SJ_SK_SL_E_clIPhSE_SF_SF_EESI_SY_SJ_SK_SL_EUlSY_E_NS1_11comp_targetILNS1_3genE2ELNS1_11target_archE906ELNS1_3gpuE6ELNS1_3repE0EEENS1_48merge_mergepath_partition_config_static_selectorELNS0_4arch9wavefront6targetE0EEEvSK_: ; @_ZN7rocprim17ROCPRIM_400000_NS6detail17trampoline_kernelINS0_14default_configENS1_38merge_sort_block_merge_config_selectorIhNS0_10empty_typeEEEZZNS1_27merge_sort_block_merge_implIS3_N6thrust23THRUST_200600_302600_NS6detail15normal_iteratorINS9_10device_ptrIhEEEEPS5_m11less_div_10IhEEE10hipError_tT0_T1_T2_jT3_P12ihipStream_tbPNSt15iterator_traitsISJ_E10value_typeEPNSP_ISK_E10value_typeEPSL_NS1_7vsmem_tEENKUlT_SJ_SK_SL_E_clIPhSE_SF_SF_EESI_SY_SJ_SK_SL_EUlSY_E_NS1_11comp_targetILNS1_3genE2ELNS1_11target_archE906ELNS1_3gpuE6ELNS1_3repE0EEENS1_48merge_mergepath_partition_config_static_selectorELNS0_4arch9wavefront6targetE0EEEvSK_
; %bb.0:
	.section	.rodata,"a",@progbits
	.p2align	6, 0x0
	.amdhsa_kernel _ZN7rocprim17ROCPRIM_400000_NS6detail17trampoline_kernelINS0_14default_configENS1_38merge_sort_block_merge_config_selectorIhNS0_10empty_typeEEEZZNS1_27merge_sort_block_merge_implIS3_N6thrust23THRUST_200600_302600_NS6detail15normal_iteratorINS9_10device_ptrIhEEEEPS5_m11less_div_10IhEEE10hipError_tT0_T1_T2_jT3_P12ihipStream_tbPNSt15iterator_traitsISJ_E10value_typeEPNSP_ISK_E10value_typeEPSL_NS1_7vsmem_tEENKUlT_SJ_SK_SL_E_clIPhSE_SF_SF_EESI_SY_SJ_SK_SL_EUlSY_E_NS1_11comp_targetILNS1_3genE2ELNS1_11target_archE906ELNS1_3gpuE6ELNS1_3repE0EEENS1_48merge_mergepath_partition_config_static_selectorELNS0_4arch9wavefront6targetE0EEEvSK_
		.amdhsa_group_segment_fixed_size 0
		.amdhsa_private_segment_fixed_size 0
		.amdhsa_kernarg_size 48
		.amdhsa_user_sgpr_count 6
		.amdhsa_user_sgpr_private_segment_buffer 1
		.amdhsa_user_sgpr_dispatch_ptr 0
		.amdhsa_user_sgpr_queue_ptr 0
		.amdhsa_user_sgpr_kernarg_segment_ptr 1
		.amdhsa_user_sgpr_dispatch_id 0
		.amdhsa_user_sgpr_flat_scratch_init 0
		.amdhsa_user_sgpr_private_segment_size 0
		.amdhsa_wavefront_size32 1
		.amdhsa_uses_dynamic_stack 0
		.amdhsa_system_sgpr_private_segment_wavefront_offset 0
		.amdhsa_system_sgpr_workgroup_id_x 1
		.amdhsa_system_sgpr_workgroup_id_y 0
		.amdhsa_system_sgpr_workgroup_id_z 0
		.amdhsa_system_sgpr_workgroup_info 0
		.amdhsa_system_vgpr_workitem_id 0
		.amdhsa_next_free_vgpr 1
		.amdhsa_next_free_sgpr 1
		.amdhsa_reserve_vcc 0
		.amdhsa_reserve_flat_scratch 0
		.amdhsa_float_round_mode_32 0
		.amdhsa_float_round_mode_16_64 0
		.amdhsa_float_denorm_mode_32 3
		.amdhsa_float_denorm_mode_16_64 3
		.amdhsa_dx10_clamp 1
		.amdhsa_ieee_mode 1
		.amdhsa_fp16_overflow 0
		.amdhsa_workgroup_processor_mode 1
		.amdhsa_memory_ordered 1
		.amdhsa_forward_progress 1
		.amdhsa_shared_vgpr_count 0
		.amdhsa_exception_fp_ieee_invalid_op 0
		.amdhsa_exception_fp_denorm_src 0
		.amdhsa_exception_fp_ieee_div_zero 0
		.amdhsa_exception_fp_ieee_overflow 0
		.amdhsa_exception_fp_ieee_underflow 0
		.amdhsa_exception_fp_ieee_inexact 0
		.amdhsa_exception_int_div_zero 0
	.end_amdhsa_kernel
	.section	.text._ZN7rocprim17ROCPRIM_400000_NS6detail17trampoline_kernelINS0_14default_configENS1_38merge_sort_block_merge_config_selectorIhNS0_10empty_typeEEEZZNS1_27merge_sort_block_merge_implIS3_N6thrust23THRUST_200600_302600_NS6detail15normal_iteratorINS9_10device_ptrIhEEEEPS5_m11less_div_10IhEEE10hipError_tT0_T1_T2_jT3_P12ihipStream_tbPNSt15iterator_traitsISJ_E10value_typeEPNSP_ISK_E10value_typeEPSL_NS1_7vsmem_tEENKUlT_SJ_SK_SL_E_clIPhSE_SF_SF_EESI_SY_SJ_SK_SL_EUlSY_E_NS1_11comp_targetILNS1_3genE2ELNS1_11target_archE906ELNS1_3gpuE6ELNS1_3repE0EEENS1_48merge_mergepath_partition_config_static_selectorELNS0_4arch9wavefront6targetE0EEEvSK_,"axG",@progbits,_ZN7rocprim17ROCPRIM_400000_NS6detail17trampoline_kernelINS0_14default_configENS1_38merge_sort_block_merge_config_selectorIhNS0_10empty_typeEEEZZNS1_27merge_sort_block_merge_implIS3_N6thrust23THRUST_200600_302600_NS6detail15normal_iteratorINS9_10device_ptrIhEEEEPS5_m11less_div_10IhEEE10hipError_tT0_T1_T2_jT3_P12ihipStream_tbPNSt15iterator_traitsISJ_E10value_typeEPNSP_ISK_E10value_typeEPSL_NS1_7vsmem_tEENKUlT_SJ_SK_SL_E_clIPhSE_SF_SF_EESI_SY_SJ_SK_SL_EUlSY_E_NS1_11comp_targetILNS1_3genE2ELNS1_11target_archE906ELNS1_3gpuE6ELNS1_3repE0EEENS1_48merge_mergepath_partition_config_static_selectorELNS0_4arch9wavefront6targetE0EEEvSK_,comdat
.Lfunc_end698:
	.size	_ZN7rocprim17ROCPRIM_400000_NS6detail17trampoline_kernelINS0_14default_configENS1_38merge_sort_block_merge_config_selectorIhNS0_10empty_typeEEEZZNS1_27merge_sort_block_merge_implIS3_N6thrust23THRUST_200600_302600_NS6detail15normal_iteratorINS9_10device_ptrIhEEEEPS5_m11less_div_10IhEEE10hipError_tT0_T1_T2_jT3_P12ihipStream_tbPNSt15iterator_traitsISJ_E10value_typeEPNSP_ISK_E10value_typeEPSL_NS1_7vsmem_tEENKUlT_SJ_SK_SL_E_clIPhSE_SF_SF_EESI_SY_SJ_SK_SL_EUlSY_E_NS1_11comp_targetILNS1_3genE2ELNS1_11target_archE906ELNS1_3gpuE6ELNS1_3repE0EEENS1_48merge_mergepath_partition_config_static_selectorELNS0_4arch9wavefront6targetE0EEEvSK_, .Lfunc_end698-_ZN7rocprim17ROCPRIM_400000_NS6detail17trampoline_kernelINS0_14default_configENS1_38merge_sort_block_merge_config_selectorIhNS0_10empty_typeEEEZZNS1_27merge_sort_block_merge_implIS3_N6thrust23THRUST_200600_302600_NS6detail15normal_iteratorINS9_10device_ptrIhEEEEPS5_m11less_div_10IhEEE10hipError_tT0_T1_T2_jT3_P12ihipStream_tbPNSt15iterator_traitsISJ_E10value_typeEPNSP_ISK_E10value_typeEPSL_NS1_7vsmem_tEENKUlT_SJ_SK_SL_E_clIPhSE_SF_SF_EESI_SY_SJ_SK_SL_EUlSY_E_NS1_11comp_targetILNS1_3genE2ELNS1_11target_archE906ELNS1_3gpuE6ELNS1_3repE0EEENS1_48merge_mergepath_partition_config_static_selectorELNS0_4arch9wavefront6targetE0EEEvSK_
                                        ; -- End function
	.set _ZN7rocprim17ROCPRIM_400000_NS6detail17trampoline_kernelINS0_14default_configENS1_38merge_sort_block_merge_config_selectorIhNS0_10empty_typeEEEZZNS1_27merge_sort_block_merge_implIS3_N6thrust23THRUST_200600_302600_NS6detail15normal_iteratorINS9_10device_ptrIhEEEEPS5_m11less_div_10IhEEE10hipError_tT0_T1_T2_jT3_P12ihipStream_tbPNSt15iterator_traitsISJ_E10value_typeEPNSP_ISK_E10value_typeEPSL_NS1_7vsmem_tEENKUlT_SJ_SK_SL_E_clIPhSE_SF_SF_EESI_SY_SJ_SK_SL_EUlSY_E_NS1_11comp_targetILNS1_3genE2ELNS1_11target_archE906ELNS1_3gpuE6ELNS1_3repE0EEENS1_48merge_mergepath_partition_config_static_selectorELNS0_4arch9wavefront6targetE0EEEvSK_.num_vgpr, 0
	.set _ZN7rocprim17ROCPRIM_400000_NS6detail17trampoline_kernelINS0_14default_configENS1_38merge_sort_block_merge_config_selectorIhNS0_10empty_typeEEEZZNS1_27merge_sort_block_merge_implIS3_N6thrust23THRUST_200600_302600_NS6detail15normal_iteratorINS9_10device_ptrIhEEEEPS5_m11less_div_10IhEEE10hipError_tT0_T1_T2_jT3_P12ihipStream_tbPNSt15iterator_traitsISJ_E10value_typeEPNSP_ISK_E10value_typeEPSL_NS1_7vsmem_tEENKUlT_SJ_SK_SL_E_clIPhSE_SF_SF_EESI_SY_SJ_SK_SL_EUlSY_E_NS1_11comp_targetILNS1_3genE2ELNS1_11target_archE906ELNS1_3gpuE6ELNS1_3repE0EEENS1_48merge_mergepath_partition_config_static_selectorELNS0_4arch9wavefront6targetE0EEEvSK_.num_agpr, 0
	.set _ZN7rocprim17ROCPRIM_400000_NS6detail17trampoline_kernelINS0_14default_configENS1_38merge_sort_block_merge_config_selectorIhNS0_10empty_typeEEEZZNS1_27merge_sort_block_merge_implIS3_N6thrust23THRUST_200600_302600_NS6detail15normal_iteratorINS9_10device_ptrIhEEEEPS5_m11less_div_10IhEEE10hipError_tT0_T1_T2_jT3_P12ihipStream_tbPNSt15iterator_traitsISJ_E10value_typeEPNSP_ISK_E10value_typeEPSL_NS1_7vsmem_tEENKUlT_SJ_SK_SL_E_clIPhSE_SF_SF_EESI_SY_SJ_SK_SL_EUlSY_E_NS1_11comp_targetILNS1_3genE2ELNS1_11target_archE906ELNS1_3gpuE6ELNS1_3repE0EEENS1_48merge_mergepath_partition_config_static_selectorELNS0_4arch9wavefront6targetE0EEEvSK_.numbered_sgpr, 0
	.set _ZN7rocprim17ROCPRIM_400000_NS6detail17trampoline_kernelINS0_14default_configENS1_38merge_sort_block_merge_config_selectorIhNS0_10empty_typeEEEZZNS1_27merge_sort_block_merge_implIS3_N6thrust23THRUST_200600_302600_NS6detail15normal_iteratorINS9_10device_ptrIhEEEEPS5_m11less_div_10IhEEE10hipError_tT0_T1_T2_jT3_P12ihipStream_tbPNSt15iterator_traitsISJ_E10value_typeEPNSP_ISK_E10value_typeEPSL_NS1_7vsmem_tEENKUlT_SJ_SK_SL_E_clIPhSE_SF_SF_EESI_SY_SJ_SK_SL_EUlSY_E_NS1_11comp_targetILNS1_3genE2ELNS1_11target_archE906ELNS1_3gpuE6ELNS1_3repE0EEENS1_48merge_mergepath_partition_config_static_selectorELNS0_4arch9wavefront6targetE0EEEvSK_.num_named_barrier, 0
	.set _ZN7rocprim17ROCPRIM_400000_NS6detail17trampoline_kernelINS0_14default_configENS1_38merge_sort_block_merge_config_selectorIhNS0_10empty_typeEEEZZNS1_27merge_sort_block_merge_implIS3_N6thrust23THRUST_200600_302600_NS6detail15normal_iteratorINS9_10device_ptrIhEEEEPS5_m11less_div_10IhEEE10hipError_tT0_T1_T2_jT3_P12ihipStream_tbPNSt15iterator_traitsISJ_E10value_typeEPNSP_ISK_E10value_typeEPSL_NS1_7vsmem_tEENKUlT_SJ_SK_SL_E_clIPhSE_SF_SF_EESI_SY_SJ_SK_SL_EUlSY_E_NS1_11comp_targetILNS1_3genE2ELNS1_11target_archE906ELNS1_3gpuE6ELNS1_3repE0EEENS1_48merge_mergepath_partition_config_static_selectorELNS0_4arch9wavefront6targetE0EEEvSK_.private_seg_size, 0
	.set _ZN7rocprim17ROCPRIM_400000_NS6detail17trampoline_kernelINS0_14default_configENS1_38merge_sort_block_merge_config_selectorIhNS0_10empty_typeEEEZZNS1_27merge_sort_block_merge_implIS3_N6thrust23THRUST_200600_302600_NS6detail15normal_iteratorINS9_10device_ptrIhEEEEPS5_m11less_div_10IhEEE10hipError_tT0_T1_T2_jT3_P12ihipStream_tbPNSt15iterator_traitsISJ_E10value_typeEPNSP_ISK_E10value_typeEPSL_NS1_7vsmem_tEENKUlT_SJ_SK_SL_E_clIPhSE_SF_SF_EESI_SY_SJ_SK_SL_EUlSY_E_NS1_11comp_targetILNS1_3genE2ELNS1_11target_archE906ELNS1_3gpuE6ELNS1_3repE0EEENS1_48merge_mergepath_partition_config_static_selectorELNS0_4arch9wavefront6targetE0EEEvSK_.uses_vcc, 0
	.set _ZN7rocprim17ROCPRIM_400000_NS6detail17trampoline_kernelINS0_14default_configENS1_38merge_sort_block_merge_config_selectorIhNS0_10empty_typeEEEZZNS1_27merge_sort_block_merge_implIS3_N6thrust23THRUST_200600_302600_NS6detail15normal_iteratorINS9_10device_ptrIhEEEEPS5_m11less_div_10IhEEE10hipError_tT0_T1_T2_jT3_P12ihipStream_tbPNSt15iterator_traitsISJ_E10value_typeEPNSP_ISK_E10value_typeEPSL_NS1_7vsmem_tEENKUlT_SJ_SK_SL_E_clIPhSE_SF_SF_EESI_SY_SJ_SK_SL_EUlSY_E_NS1_11comp_targetILNS1_3genE2ELNS1_11target_archE906ELNS1_3gpuE6ELNS1_3repE0EEENS1_48merge_mergepath_partition_config_static_selectorELNS0_4arch9wavefront6targetE0EEEvSK_.uses_flat_scratch, 0
	.set _ZN7rocprim17ROCPRIM_400000_NS6detail17trampoline_kernelINS0_14default_configENS1_38merge_sort_block_merge_config_selectorIhNS0_10empty_typeEEEZZNS1_27merge_sort_block_merge_implIS3_N6thrust23THRUST_200600_302600_NS6detail15normal_iteratorINS9_10device_ptrIhEEEEPS5_m11less_div_10IhEEE10hipError_tT0_T1_T2_jT3_P12ihipStream_tbPNSt15iterator_traitsISJ_E10value_typeEPNSP_ISK_E10value_typeEPSL_NS1_7vsmem_tEENKUlT_SJ_SK_SL_E_clIPhSE_SF_SF_EESI_SY_SJ_SK_SL_EUlSY_E_NS1_11comp_targetILNS1_3genE2ELNS1_11target_archE906ELNS1_3gpuE6ELNS1_3repE0EEENS1_48merge_mergepath_partition_config_static_selectorELNS0_4arch9wavefront6targetE0EEEvSK_.has_dyn_sized_stack, 0
	.set _ZN7rocprim17ROCPRIM_400000_NS6detail17trampoline_kernelINS0_14default_configENS1_38merge_sort_block_merge_config_selectorIhNS0_10empty_typeEEEZZNS1_27merge_sort_block_merge_implIS3_N6thrust23THRUST_200600_302600_NS6detail15normal_iteratorINS9_10device_ptrIhEEEEPS5_m11less_div_10IhEEE10hipError_tT0_T1_T2_jT3_P12ihipStream_tbPNSt15iterator_traitsISJ_E10value_typeEPNSP_ISK_E10value_typeEPSL_NS1_7vsmem_tEENKUlT_SJ_SK_SL_E_clIPhSE_SF_SF_EESI_SY_SJ_SK_SL_EUlSY_E_NS1_11comp_targetILNS1_3genE2ELNS1_11target_archE906ELNS1_3gpuE6ELNS1_3repE0EEENS1_48merge_mergepath_partition_config_static_selectorELNS0_4arch9wavefront6targetE0EEEvSK_.has_recursion, 0
	.set _ZN7rocprim17ROCPRIM_400000_NS6detail17trampoline_kernelINS0_14default_configENS1_38merge_sort_block_merge_config_selectorIhNS0_10empty_typeEEEZZNS1_27merge_sort_block_merge_implIS3_N6thrust23THRUST_200600_302600_NS6detail15normal_iteratorINS9_10device_ptrIhEEEEPS5_m11less_div_10IhEEE10hipError_tT0_T1_T2_jT3_P12ihipStream_tbPNSt15iterator_traitsISJ_E10value_typeEPNSP_ISK_E10value_typeEPSL_NS1_7vsmem_tEENKUlT_SJ_SK_SL_E_clIPhSE_SF_SF_EESI_SY_SJ_SK_SL_EUlSY_E_NS1_11comp_targetILNS1_3genE2ELNS1_11target_archE906ELNS1_3gpuE6ELNS1_3repE0EEENS1_48merge_mergepath_partition_config_static_selectorELNS0_4arch9wavefront6targetE0EEEvSK_.has_indirect_call, 0
	.section	.AMDGPU.csdata,"",@progbits
; Kernel info:
; codeLenInByte = 0
; TotalNumSgprs: 0
; NumVgprs: 0
; ScratchSize: 0
; MemoryBound: 0
; FloatMode: 240
; IeeeMode: 1
; LDSByteSize: 0 bytes/workgroup (compile time only)
; SGPRBlocks: 0
; VGPRBlocks: 0
; NumSGPRsForWavesPerEU: 1
; NumVGPRsForWavesPerEU: 1
; Occupancy: 16
; WaveLimiterHint : 0
; COMPUTE_PGM_RSRC2:SCRATCH_EN: 0
; COMPUTE_PGM_RSRC2:USER_SGPR: 6
; COMPUTE_PGM_RSRC2:TRAP_HANDLER: 0
; COMPUTE_PGM_RSRC2:TGID_X_EN: 1
; COMPUTE_PGM_RSRC2:TGID_Y_EN: 0
; COMPUTE_PGM_RSRC2:TGID_Z_EN: 0
; COMPUTE_PGM_RSRC2:TIDIG_COMP_CNT: 0
	.section	.text._ZN7rocprim17ROCPRIM_400000_NS6detail17trampoline_kernelINS0_14default_configENS1_38merge_sort_block_merge_config_selectorIhNS0_10empty_typeEEEZZNS1_27merge_sort_block_merge_implIS3_N6thrust23THRUST_200600_302600_NS6detail15normal_iteratorINS9_10device_ptrIhEEEEPS5_m11less_div_10IhEEE10hipError_tT0_T1_T2_jT3_P12ihipStream_tbPNSt15iterator_traitsISJ_E10value_typeEPNSP_ISK_E10value_typeEPSL_NS1_7vsmem_tEENKUlT_SJ_SK_SL_E_clIPhSE_SF_SF_EESI_SY_SJ_SK_SL_EUlSY_E_NS1_11comp_targetILNS1_3genE9ELNS1_11target_archE1100ELNS1_3gpuE3ELNS1_3repE0EEENS1_48merge_mergepath_partition_config_static_selectorELNS0_4arch9wavefront6targetE0EEEvSK_,"axG",@progbits,_ZN7rocprim17ROCPRIM_400000_NS6detail17trampoline_kernelINS0_14default_configENS1_38merge_sort_block_merge_config_selectorIhNS0_10empty_typeEEEZZNS1_27merge_sort_block_merge_implIS3_N6thrust23THRUST_200600_302600_NS6detail15normal_iteratorINS9_10device_ptrIhEEEEPS5_m11less_div_10IhEEE10hipError_tT0_T1_T2_jT3_P12ihipStream_tbPNSt15iterator_traitsISJ_E10value_typeEPNSP_ISK_E10value_typeEPSL_NS1_7vsmem_tEENKUlT_SJ_SK_SL_E_clIPhSE_SF_SF_EESI_SY_SJ_SK_SL_EUlSY_E_NS1_11comp_targetILNS1_3genE9ELNS1_11target_archE1100ELNS1_3gpuE3ELNS1_3repE0EEENS1_48merge_mergepath_partition_config_static_selectorELNS0_4arch9wavefront6targetE0EEEvSK_,comdat
	.protected	_ZN7rocprim17ROCPRIM_400000_NS6detail17trampoline_kernelINS0_14default_configENS1_38merge_sort_block_merge_config_selectorIhNS0_10empty_typeEEEZZNS1_27merge_sort_block_merge_implIS3_N6thrust23THRUST_200600_302600_NS6detail15normal_iteratorINS9_10device_ptrIhEEEEPS5_m11less_div_10IhEEE10hipError_tT0_T1_T2_jT3_P12ihipStream_tbPNSt15iterator_traitsISJ_E10value_typeEPNSP_ISK_E10value_typeEPSL_NS1_7vsmem_tEENKUlT_SJ_SK_SL_E_clIPhSE_SF_SF_EESI_SY_SJ_SK_SL_EUlSY_E_NS1_11comp_targetILNS1_3genE9ELNS1_11target_archE1100ELNS1_3gpuE3ELNS1_3repE0EEENS1_48merge_mergepath_partition_config_static_selectorELNS0_4arch9wavefront6targetE0EEEvSK_ ; -- Begin function _ZN7rocprim17ROCPRIM_400000_NS6detail17trampoline_kernelINS0_14default_configENS1_38merge_sort_block_merge_config_selectorIhNS0_10empty_typeEEEZZNS1_27merge_sort_block_merge_implIS3_N6thrust23THRUST_200600_302600_NS6detail15normal_iteratorINS9_10device_ptrIhEEEEPS5_m11less_div_10IhEEE10hipError_tT0_T1_T2_jT3_P12ihipStream_tbPNSt15iterator_traitsISJ_E10value_typeEPNSP_ISK_E10value_typeEPSL_NS1_7vsmem_tEENKUlT_SJ_SK_SL_E_clIPhSE_SF_SF_EESI_SY_SJ_SK_SL_EUlSY_E_NS1_11comp_targetILNS1_3genE9ELNS1_11target_archE1100ELNS1_3gpuE3ELNS1_3repE0EEENS1_48merge_mergepath_partition_config_static_selectorELNS0_4arch9wavefront6targetE0EEEvSK_
	.globl	_ZN7rocprim17ROCPRIM_400000_NS6detail17trampoline_kernelINS0_14default_configENS1_38merge_sort_block_merge_config_selectorIhNS0_10empty_typeEEEZZNS1_27merge_sort_block_merge_implIS3_N6thrust23THRUST_200600_302600_NS6detail15normal_iteratorINS9_10device_ptrIhEEEEPS5_m11less_div_10IhEEE10hipError_tT0_T1_T2_jT3_P12ihipStream_tbPNSt15iterator_traitsISJ_E10value_typeEPNSP_ISK_E10value_typeEPSL_NS1_7vsmem_tEENKUlT_SJ_SK_SL_E_clIPhSE_SF_SF_EESI_SY_SJ_SK_SL_EUlSY_E_NS1_11comp_targetILNS1_3genE9ELNS1_11target_archE1100ELNS1_3gpuE3ELNS1_3repE0EEENS1_48merge_mergepath_partition_config_static_selectorELNS0_4arch9wavefront6targetE0EEEvSK_
	.p2align	8
	.type	_ZN7rocprim17ROCPRIM_400000_NS6detail17trampoline_kernelINS0_14default_configENS1_38merge_sort_block_merge_config_selectorIhNS0_10empty_typeEEEZZNS1_27merge_sort_block_merge_implIS3_N6thrust23THRUST_200600_302600_NS6detail15normal_iteratorINS9_10device_ptrIhEEEEPS5_m11less_div_10IhEEE10hipError_tT0_T1_T2_jT3_P12ihipStream_tbPNSt15iterator_traitsISJ_E10value_typeEPNSP_ISK_E10value_typeEPSL_NS1_7vsmem_tEENKUlT_SJ_SK_SL_E_clIPhSE_SF_SF_EESI_SY_SJ_SK_SL_EUlSY_E_NS1_11comp_targetILNS1_3genE9ELNS1_11target_archE1100ELNS1_3gpuE3ELNS1_3repE0EEENS1_48merge_mergepath_partition_config_static_selectorELNS0_4arch9wavefront6targetE0EEEvSK_,@function
_ZN7rocprim17ROCPRIM_400000_NS6detail17trampoline_kernelINS0_14default_configENS1_38merge_sort_block_merge_config_selectorIhNS0_10empty_typeEEEZZNS1_27merge_sort_block_merge_implIS3_N6thrust23THRUST_200600_302600_NS6detail15normal_iteratorINS9_10device_ptrIhEEEEPS5_m11less_div_10IhEEE10hipError_tT0_T1_T2_jT3_P12ihipStream_tbPNSt15iterator_traitsISJ_E10value_typeEPNSP_ISK_E10value_typeEPSL_NS1_7vsmem_tEENKUlT_SJ_SK_SL_E_clIPhSE_SF_SF_EESI_SY_SJ_SK_SL_EUlSY_E_NS1_11comp_targetILNS1_3genE9ELNS1_11target_archE1100ELNS1_3gpuE3ELNS1_3repE0EEENS1_48merge_mergepath_partition_config_static_selectorELNS0_4arch9wavefront6targetE0EEEvSK_: ; @_ZN7rocprim17ROCPRIM_400000_NS6detail17trampoline_kernelINS0_14default_configENS1_38merge_sort_block_merge_config_selectorIhNS0_10empty_typeEEEZZNS1_27merge_sort_block_merge_implIS3_N6thrust23THRUST_200600_302600_NS6detail15normal_iteratorINS9_10device_ptrIhEEEEPS5_m11less_div_10IhEEE10hipError_tT0_T1_T2_jT3_P12ihipStream_tbPNSt15iterator_traitsISJ_E10value_typeEPNSP_ISK_E10value_typeEPSL_NS1_7vsmem_tEENKUlT_SJ_SK_SL_E_clIPhSE_SF_SF_EESI_SY_SJ_SK_SL_EUlSY_E_NS1_11comp_targetILNS1_3genE9ELNS1_11target_archE1100ELNS1_3gpuE3ELNS1_3repE0EEENS1_48merge_mergepath_partition_config_static_selectorELNS0_4arch9wavefront6targetE0EEEvSK_
; %bb.0:
	.section	.rodata,"a",@progbits
	.p2align	6, 0x0
	.amdhsa_kernel _ZN7rocprim17ROCPRIM_400000_NS6detail17trampoline_kernelINS0_14default_configENS1_38merge_sort_block_merge_config_selectorIhNS0_10empty_typeEEEZZNS1_27merge_sort_block_merge_implIS3_N6thrust23THRUST_200600_302600_NS6detail15normal_iteratorINS9_10device_ptrIhEEEEPS5_m11less_div_10IhEEE10hipError_tT0_T1_T2_jT3_P12ihipStream_tbPNSt15iterator_traitsISJ_E10value_typeEPNSP_ISK_E10value_typeEPSL_NS1_7vsmem_tEENKUlT_SJ_SK_SL_E_clIPhSE_SF_SF_EESI_SY_SJ_SK_SL_EUlSY_E_NS1_11comp_targetILNS1_3genE9ELNS1_11target_archE1100ELNS1_3gpuE3ELNS1_3repE0EEENS1_48merge_mergepath_partition_config_static_selectorELNS0_4arch9wavefront6targetE0EEEvSK_
		.amdhsa_group_segment_fixed_size 0
		.amdhsa_private_segment_fixed_size 0
		.amdhsa_kernarg_size 48
		.amdhsa_user_sgpr_count 6
		.amdhsa_user_sgpr_private_segment_buffer 1
		.amdhsa_user_sgpr_dispatch_ptr 0
		.amdhsa_user_sgpr_queue_ptr 0
		.amdhsa_user_sgpr_kernarg_segment_ptr 1
		.amdhsa_user_sgpr_dispatch_id 0
		.amdhsa_user_sgpr_flat_scratch_init 0
		.amdhsa_user_sgpr_private_segment_size 0
		.amdhsa_wavefront_size32 1
		.amdhsa_uses_dynamic_stack 0
		.amdhsa_system_sgpr_private_segment_wavefront_offset 0
		.amdhsa_system_sgpr_workgroup_id_x 1
		.amdhsa_system_sgpr_workgroup_id_y 0
		.amdhsa_system_sgpr_workgroup_id_z 0
		.amdhsa_system_sgpr_workgroup_info 0
		.amdhsa_system_vgpr_workitem_id 0
		.amdhsa_next_free_vgpr 1
		.amdhsa_next_free_sgpr 1
		.amdhsa_reserve_vcc 0
		.amdhsa_reserve_flat_scratch 0
		.amdhsa_float_round_mode_32 0
		.amdhsa_float_round_mode_16_64 0
		.amdhsa_float_denorm_mode_32 3
		.amdhsa_float_denorm_mode_16_64 3
		.amdhsa_dx10_clamp 1
		.amdhsa_ieee_mode 1
		.amdhsa_fp16_overflow 0
		.amdhsa_workgroup_processor_mode 1
		.amdhsa_memory_ordered 1
		.amdhsa_forward_progress 1
		.amdhsa_shared_vgpr_count 0
		.amdhsa_exception_fp_ieee_invalid_op 0
		.amdhsa_exception_fp_denorm_src 0
		.amdhsa_exception_fp_ieee_div_zero 0
		.amdhsa_exception_fp_ieee_overflow 0
		.amdhsa_exception_fp_ieee_underflow 0
		.amdhsa_exception_fp_ieee_inexact 0
		.amdhsa_exception_int_div_zero 0
	.end_amdhsa_kernel
	.section	.text._ZN7rocprim17ROCPRIM_400000_NS6detail17trampoline_kernelINS0_14default_configENS1_38merge_sort_block_merge_config_selectorIhNS0_10empty_typeEEEZZNS1_27merge_sort_block_merge_implIS3_N6thrust23THRUST_200600_302600_NS6detail15normal_iteratorINS9_10device_ptrIhEEEEPS5_m11less_div_10IhEEE10hipError_tT0_T1_T2_jT3_P12ihipStream_tbPNSt15iterator_traitsISJ_E10value_typeEPNSP_ISK_E10value_typeEPSL_NS1_7vsmem_tEENKUlT_SJ_SK_SL_E_clIPhSE_SF_SF_EESI_SY_SJ_SK_SL_EUlSY_E_NS1_11comp_targetILNS1_3genE9ELNS1_11target_archE1100ELNS1_3gpuE3ELNS1_3repE0EEENS1_48merge_mergepath_partition_config_static_selectorELNS0_4arch9wavefront6targetE0EEEvSK_,"axG",@progbits,_ZN7rocprim17ROCPRIM_400000_NS6detail17trampoline_kernelINS0_14default_configENS1_38merge_sort_block_merge_config_selectorIhNS0_10empty_typeEEEZZNS1_27merge_sort_block_merge_implIS3_N6thrust23THRUST_200600_302600_NS6detail15normal_iteratorINS9_10device_ptrIhEEEEPS5_m11less_div_10IhEEE10hipError_tT0_T1_T2_jT3_P12ihipStream_tbPNSt15iterator_traitsISJ_E10value_typeEPNSP_ISK_E10value_typeEPSL_NS1_7vsmem_tEENKUlT_SJ_SK_SL_E_clIPhSE_SF_SF_EESI_SY_SJ_SK_SL_EUlSY_E_NS1_11comp_targetILNS1_3genE9ELNS1_11target_archE1100ELNS1_3gpuE3ELNS1_3repE0EEENS1_48merge_mergepath_partition_config_static_selectorELNS0_4arch9wavefront6targetE0EEEvSK_,comdat
.Lfunc_end699:
	.size	_ZN7rocprim17ROCPRIM_400000_NS6detail17trampoline_kernelINS0_14default_configENS1_38merge_sort_block_merge_config_selectorIhNS0_10empty_typeEEEZZNS1_27merge_sort_block_merge_implIS3_N6thrust23THRUST_200600_302600_NS6detail15normal_iteratorINS9_10device_ptrIhEEEEPS5_m11less_div_10IhEEE10hipError_tT0_T1_T2_jT3_P12ihipStream_tbPNSt15iterator_traitsISJ_E10value_typeEPNSP_ISK_E10value_typeEPSL_NS1_7vsmem_tEENKUlT_SJ_SK_SL_E_clIPhSE_SF_SF_EESI_SY_SJ_SK_SL_EUlSY_E_NS1_11comp_targetILNS1_3genE9ELNS1_11target_archE1100ELNS1_3gpuE3ELNS1_3repE0EEENS1_48merge_mergepath_partition_config_static_selectorELNS0_4arch9wavefront6targetE0EEEvSK_, .Lfunc_end699-_ZN7rocprim17ROCPRIM_400000_NS6detail17trampoline_kernelINS0_14default_configENS1_38merge_sort_block_merge_config_selectorIhNS0_10empty_typeEEEZZNS1_27merge_sort_block_merge_implIS3_N6thrust23THRUST_200600_302600_NS6detail15normal_iteratorINS9_10device_ptrIhEEEEPS5_m11less_div_10IhEEE10hipError_tT0_T1_T2_jT3_P12ihipStream_tbPNSt15iterator_traitsISJ_E10value_typeEPNSP_ISK_E10value_typeEPSL_NS1_7vsmem_tEENKUlT_SJ_SK_SL_E_clIPhSE_SF_SF_EESI_SY_SJ_SK_SL_EUlSY_E_NS1_11comp_targetILNS1_3genE9ELNS1_11target_archE1100ELNS1_3gpuE3ELNS1_3repE0EEENS1_48merge_mergepath_partition_config_static_selectorELNS0_4arch9wavefront6targetE0EEEvSK_
                                        ; -- End function
	.set _ZN7rocprim17ROCPRIM_400000_NS6detail17trampoline_kernelINS0_14default_configENS1_38merge_sort_block_merge_config_selectorIhNS0_10empty_typeEEEZZNS1_27merge_sort_block_merge_implIS3_N6thrust23THRUST_200600_302600_NS6detail15normal_iteratorINS9_10device_ptrIhEEEEPS5_m11less_div_10IhEEE10hipError_tT0_T1_T2_jT3_P12ihipStream_tbPNSt15iterator_traitsISJ_E10value_typeEPNSP_ISK_E10value_typeEPSL_NS1_7vsmem_tEENKUlT_SJ_SK_SL_E_clIPhSE_SF_SF_EESI_SY_SJ_SK_SL_EUlSY_E_NS1_11comp_targetILNS1_3genE9ELNS1_11target_archE1100ELNS1_3gpuE3ELNS1_3repE0EEENS1_48merge_mergepath_partition_config_static_selectorELNS0_4arch9wavefront6targetE0EEEvSK_.num_vgpr, 0
	.set _ZN7rocprim17ROCPRIM_400000_NS6detail17trampoline_kernelINS0_14default_configENS1_38merge_sort_block_merge_config_selectorIhNS0_10empty_typeEEEZZNS1_27merge_sort_block_merge_implIS3_N6thrust23THRUST_200600_302600_NS6detail15normal_iteratorINS9_10device_ptrIhEEEEPS5_m11less_div_10IhEEE10hipError_tT0_T1_T2_jT3_P12ihipStream_tbPNSt15iterator_traitsISJ_E10value_typeEPNSP_ISK_E10value_typeEPSL_NS1_7vsmem_tEENKUlT_SJ_SK_SL_E_clIPhSE_SF_SF_EESI_SY_SJ_SK_SL_EUlSY_E_NS1_11comp_targetILNS1_3genE9ELNS1_11target_archE1100ELNS1_3gpuE3ELNS1_3repE0EEENS1_48merge_mergepath_partition_config_static_selectorELNS0_4arch9wavefront6targetE0EEEvSK_.num_agpr, 0
	.set _ZN7rocprim17ROCPRIM_400000_NS6detail17trampoline_kernelINS0_14default_configENS1_38merge_sort_block_merge_config_selectorIhNS0_10empty_typeEEEZZNS1_27merge_sort_block_merge_implIS3_N6thrust23THRUST_200600_302600_NS6detail15normal_iteratorINS9_10device_ptrIhEEEEPS5_m11less_div_10IhEEE10hipError_tT0_T1_T2_jT3_P12ihipStream_tbPNSt15iterator_traitsISJ_E10value_typeEPNSP_ISK_E10value_typeEPSL_NS1_7vsmem_tEENKUlT_SJ_SK_SL_E_clIPhSE_SF_SF_EESI_SY_SJ_SK_SL_EUlSY_E_NS1_11comp_targetILNS1_3genE9ELNS1_11target_archE1100ELNS1_3gpuE3ELNS1_3repE0EEENS1_48merge_mergepath_partition_config_static_selectorELNS0_4arch9wavefront6targetE0EEEvSK_.numbered_sgpr, 0
	.set _ZN7rocprim17ROCPRIM_400000_NS6detail17trampoline_kernelINS0_14default_configENS1_38merge_sort_block_merge_config_selectorIhNS0_10empty_typeEEEZZNS1_27merge_sort_block_merge_implIS3_N6thrust23THRUST_200600_302600_NS6detail15normal_iteratorINS9_10device_ptrIhEEEEPS5_m11less_div_10IhEEE10hipError_tT0_T1_T2_jT3_P12ihipStream_tbPNSt15iterator_traitsISJ_E10value_typeEPNSP_ISK_E10value_typeEPSL_NS1_7vsmem_tEENKUlT_SJ_SK_SL_E_clIPhSE_SF_SF_EESI_SY_SJ_SK_SL_EUlSY_E_NS1_11comp_targetILNS1_3genE9ELNS1_11target_archE1100ELNS1_3gpuE3ELNS1_3repE0EEENS1_48merge_mergepath_partition_config_static_selectorELNS0_4arch9wavefront6targetE0EEEvSK_.num_named_barrier, 0
	.set _ZN7rocprim17ROCPRIM_400000_NS6detail17trampoline_kernelINS0_14default_configENS1_38merge_sort_block_merge_config_selectorIhNS0_10empty_typeEEEZZNS1_27merge_sort_block_merge_implIS3_N6thrust23THRUST_200600_302600_NS6detail15normal_iteratorINS9_10device_ptrIhEEEEPS5_m11less_div_10IhEEE10hipError_tT0_T1_T2_jT3_P12ihipStream_tbPNSt15iterator_traitsISJ_E10value_typeEPNSP_ISK_E10value_typeEPSL_NS1_7vsmem_tEENKUlT_SJ_SK_SL_E_clIPhSE_SF_SF_EESI_SY_SJ_SK_SL_EUlSY_E_NS1_11comp_targetILNS1_3genE9ELNS1_11target_archE1100ELNS1_3gpuE3ELNS1_3repE0EEENS1_48merge_mergepath_partition_config_static_selectorELNS0_4arch9wavefront6targetE0EEEvSK_.private_seg_size, 0
	.set _ZN7rocprim17ROCPRIM_400000_NS6detail17trampoline_kernelINS0_14default_configENS1_38merge_sort_block_merge_config_selectorIhNS0_10empty_typeEEEZZNS1_27merge_sort_block_merge_implIS3_N6thrust23THRUST_200600_302600_NS6detail15normal_iteratorINS9_10device_ptrIhEEEEPS5_m11less_div_10IhEEE10hipError_tT0_T1_T2_jT3_P12ihipStream_tbPNSt15iterator_traitsISJ_E10value_typeEPNSP_ISK_E10value_typeEPSL_NS1_7vsmem_tEENKUlT_SJ_SK_SL_E_clIPhSE_SF_SF_EESI_SY_SJ_SK_SL_EUlSY_E_NS1_11comp_targetILNS1_3genE9ELNS1_11target_archE1100ELNS1_3gpuE3ELNS1_3repE0EEENS1_48merge_mergepath_partition_config_static_selectorELNS0_4arch9wavefront6targetE0EEEvSK_.uses_vcc, 0
	.set _ZN7rocprim17ROCPRIM_400000_NS6detail17trampoline_kernelINS0_14default_configENS1_38merge_sort_block_merge_config_selectorIhNS0_10empty_typeEEEZZNS1_27merge_sort_block_merge_implIS3_N6thrust23THRUST_200600_302600_NS6detail15normal_iteratorINS9_10device_ptrIhEEEEPS5_m11less_div_10IhEEE10hipError_tT0_T1_T2_jT3_P12ihipStream_tbPNSt15iterator_traitsISJ_E10value_typeEPNSP_ISK_E10value_typeEPSL_NS1_7vsmem_tEENKUlT_SJ_SK_SL_E_clIPhSE_SF_SF_EESI_SY_SJ_SK_SL_EUlSY_E_NS1_11comp_targetILNS1_3genE9ELNS1_11target_archE1100ELNS1_3gpuE3ELNS1_3repE0EEENS1_48merge_mergepath_partition_config_static_selectorELNS0_4arch9wavefront6targetE0EEEvSK_.uses_flat_scratch, 0
	.set _ZN7rocprim17ROCPRIM_400000_NS6detail17trampoline_kernelINS0_14default_configENS1_38merge_sort_block_merge_config_selectorIhNS0_10empty_typeEEEZZNS1_27merge_sort_block_merge_implIS3_N6thrust23THRUST_200600_302600_NS6detail15normal_iteratorINS9_10device_ptrIhEEEEPS5_m11less_div_10IhEEE10hipError_tT0_T1_T2_jT3_P12ihipStream_tbPNSt15iterator_traitsISJ_E10value_typeEPNSP_ISK_E10value_typeEPSL_NS1_7vsmem_tEENKUlT_SJ_SK_SL_E_clIPhSE_SF_SF_EESI_SY_SJ_SK_SL_EUlSY_E_NS1_11comp_targetILNS1_3genE9ELNS1_11target_archE1100ELNS1_3gpuE3ELNS1_3repE0EEENS1_48merge_mergepath_partition_config_static_selectorELNS0_4arch9wavefront6targetE0EEEvSK_.has_dyn_sized_stack, 0
	.set _ZN7rocprim17ROCPRIM_400000_NS6detail17trampoline_kernelINS0_14default_configENS1_38merge_sort_block_merge_config_selectorIhNS0_10empty_typeEEEZZNS1_27merge_sort_block_merge_implIS3_N6thrust23THRUST_200600_302600_NS6detail15normal_iteratorINS9_10device_ptrIhEEEEPS5_m11less_div_10IhEEE10hipError_tT0_T1_T2_jT3_P12ihipStream_tbPNSt15iterator_traitsISJ_E10value_typeEPNSP_ISK_E10value_typeEPSL_NS1_7vsmem_tEENKUlT_SJ_SK_SL_E_clIPhSE_SF_SF_EESI_SY_SJ_SK_SL_EUlSY_E_NS1_11comp_targetILNS1_3genE9ELNS1_11target_archE1100ELNS1_3gpuE3ELNS1_3repE0EEENS1_48merge_mergepath_partition_config_static_selectorELNS0_4arch9wavefront6targetE0EEEvSK_.has_recursion, 0
	.set _ZN7rocprim17ROCPRIM_400000_NS6detail17trampoline_kernelINS0_14default_configENS1_38merge_sort_block_merge_config_selectorIhNS0_10empty_typeEEEZZNS1_27merge_sort_block_merge_implIS3_N6thrust23THRUST_200600_302600_NS6detail15normal_iteratorINS9_10device_ptrIhEEEEPS5_m11less_div_10IhEEE10hipError_tT0_T1_T2_jT3_P12ihipStream_tbPNSt15iterator_traitsISJ_E10value_typeEPNSP_ISK_E10value_typeEPSL_NS1_7vsmem_tEENKUlT_SJ_SK_SL_E_clIPhSE_SF_SF_EESI_SY_SJ_SK_SL_EUlSY_E_NS1_11comp_targetILNS1_3genE9ELNS1_11target_archE1100ELNS1_3gpuE3ELNS1_3repE0EEENS1_48merge_mergepath_partition_config_static_selectorELNS0_4arch9wavefront6targetE0EEEvSK_.has_indirect_call, 0
	.section	.AMDGPU.csdata,"",@progbits
; Kernel info:
; codeLenInByte = 0
; TotalNumSgprs: 0
; NumVgprs: 0
; ScratchSize: 0
; MemoryBound: 0
; FloatMode: 240
; IeeeMode: 1
; LDSByteSize: 0 bytes/workgroup (compile time only)
; SGPRBlocks: 0
; VGPRBlocks: 0
; NumSGPRsForWavesPerEU: 1
; NumVGPRsForWavesPerEU: 1
; Occupancy: 16
; WaveLimiterHint : 0
; COMPUTE_PGM_RSRC2:SCRATCH_EN: 0
; COMPUTE_PGM_RSRC2:USER_SGPR: 6
; COMPUTE_PGM_RSRC2:TRAP_HANDLER: 0
; COMPUTE_PGM_RSRC2:TGID_X_EN: 1
; COMPUTE_PGM_RSRC2:TGID_Y_EN: 0
; COMPUTE_PGM_RSRC2:TGID_Z_EN: 0
; COMPUTE_PGM_RSRC2:TIDIG_COMP_CNT: 0
	.section	.text._ZN7rocprim17ROCPRIM_400000_NS6detail17trampoline_kernelINS0_14default_configENS1_38merge_sort_block_merge_config_selectorIhNS0_10empty_typeEEEZZNS1_27merge_sort_block_merge_implIS3_N6thrust23THRUST_200600_302600_NS6detail15normal_iteratorINS9_10device_ptrIhEEEEPS5_m11less_div_10IhEEE10hipError_tT0_T1_T2_jT3_P12ihipStream_tbPNSt15iterator_traitsISJ_E10value_typeEPNSP_ISK_E10value_typeEPSL_NS1_7vsmem_tEENKUlT_SJ_SK_SL_E_clIPhSE_SF_SF_EESI_SY_SJ_SK_SL_EUlSY_E_NS1_11comp_targetILNS1_3genE8ELNS1_11target_archE1030ELNS1_3gpuE2ELNS1_3repE0EEENS1_48merge_mergepath_partition_config_static_selectorELNS0_4arch9wavefront6targetE0EEEvSK_,"axG",@progbits,_ZN7rocprim17ROCPRIM_400000_NS6detail17trampoline_kernelINS0_14default_configENS1_38merge_sort_block_merge_config_selectorIhNS0_10empty_typeEEEZZNS1_27merge_sort_block_merge_implIS3_N6thrust23THRUST_200600_302600_NS6detail15normal_iteratorINS9_10device_ptrIhEEEEPS5_m11less_div_10IhEEE10hipError_tT0_T1_T2_jT3_P12ihipStream_tbPNSt15iterator_traitsISJ_E10value_typeEPNSP_ISK_E10value_typeEPSL_NS1_7vsmem_tEENKUlT_SJ_SK_SL_E_clIPhSE_SF_SF_EESI_SY_SJ_SK_SL_EUlSY_E_NS1_11comp_targetILNS1_3genE8ELNS1_11target_archE1030ELNS1_3gpuE2ELNS1_3repE0EEENS1_48merge_mergepath_partition_config_static_selectorELNS0_4arch9wavefront6targetE0EEEvSK_,comdat
	.protected	_ZN7rocprim17ROCPRIM_400000_NS6detail17trampoline_kernelINS0_14default_configENS1_38merge_sort_block_merge_config_selectorIhNS0_10empty_typeEEEZZNS1_27merge_sort_block_merge_implIS3_N6thrust23THRUST_200600_302600_NS6detail15normal_iteratorINS9_10device_ptrIhEEEEPS5_m11less_div_10IhEEE10hipError_tT0_T1_T2_jT3_P12ihipStream_tbPNSt15iterator_traitsISJ_E10value_typeEPNSP_ISK_E10value_typeEPSL_NS1_7vsmem_tEENKUlT_SJ_SK_SL_E_clIPhSE_SF_SF_EESI_SY_SJ_SK_SL_EUlSY_E_NS1_11comp_targetILNS1_3genE8ELNS1_11target_archE1030ELNS1_3gpuE2ELNS1_3repE0EEENS1_48merge_mergepath_partition_config_static_selectorELNS0_4arch9wavefront6targetE0EEEvSK_ ; -- Begin function _ZN7rocprim17ROCPRIM_400000_NS6detail17trampoline_kernelINS0_14default_configENS1_38merge_sort_block_merge_config_selectorIhNS0_10empty_typeEEEZZNS1_27merge_sort_block_merge_implIS3_N6thrust23THRUST_200600_302600_NS6detail15normal_iteratorINS9_10device_ptrIhEEEEPS5_m11less_div_10IhEEE10hipError_tT0_T1_T2_jT3_P12ihipStream_tbPNSt15iterator_traitsISJ_E10value_typeEPNSP_ISK_E10value_typeEPSL_NS1_7vsmem_tEENKUlT_SJ_SK_SL_E_clIPhSE_SF_SF_EESI_SY_SJ_SK_SL_EUlSY_E_NS1_11comp_targetILNS1_3genE8ELNS1_11target_archE1030ELNS1_3gpuE2ELNS1_3repE0EEENS1_48merge_mergepath_partition_config_static_selectorELNS0_4arch9wavefront6targetE0EEEvSK_
	.globl	_ZN7rocprim17ROCPRIM_400000_NS6detail17trampoline_kernelINS0_14default_configENS1_38merge_sort_block_merge_config_selectorIhNS0_10empty_typeEEEZZNS1_27merge_sort_block_merge_implIS3_N6thrust23THRUST_200600_302600_NS6detail15normal_iteratorINS9_10device_ptrIhEEEEPS5_m11less_div_10IhEEE10hipError_tT0_T1_T2_jT3_P12ihipStream_tbPNSt15iterator_traitsISJ_E10value_typeEPNSP_ISK_E10value_typeEPSL_NS1_7vsmem_tEENKUlT_SJ_SK_SL_E_clIPhSE_SF_SF_EESI_SY_SJ_SK_SL_EUlSY_E_NS1_11comp_targetILNS1_3genE8ELNS1_11target_archE1030ELNS1_3gpuE2ELNS1_3repE0EEENS1_48merge_mergepath_partition_config_static_selectorELNS0_4arch9wavefront6targetE0EEEvSK_
	.p2align	8
	.type	_ZN7rocprim17ROCPRIM_400000_NS6detail17trampoline_kernelINS0_14default_configENS1_38merge_sort_block_merge_config_selectorIhNS0_10empty_typeEEEZZNS1_27merge_sort_block_merge_implIS3_N6thrust23THRUST_200600_302600_NS6detail15normal_iteratorINS9_10device_ptrIhEEEEPS5_m11less_div_10IhEEE10hipError_tT0_T1_T2_jT3_P12ihipStream_tbPNSt15iterator_traitsISJ_E10value_typeEPNSP_ISK_E10value_typeEPSL_NS1_7vsmem_tEENKUlT_SJ_SK_SL_E_clIPhSE_SF_SF_EESI_SY_SJ_SK_SL_EUlSY_E_NS1_11comp_targetILNS1_3genE8ELNS1_11target_archE1030ELNS1_3gpuE2ELNS1_3repE0EEENS1_48merge_mergepath_partition_config_static_selectorELNS0_4arch9wavefront6targetE0EEEvSK_,@function
_ZN7rocprim17ROCPRIM_400000_NS6detail17trampoline_kernelINS0_14default_configENS1_38merge_sort_block_merge_config_selectorIhNS0_10empty_typeEEEZZNS1_27merge_sort_block_merge_implIS3_N6thrust23THRUST_200600_302600_NS6detail15normal_iteratorINS9_10device_ptrIhEEEEPS5_m11less_div_10IhEEE10hipError_tT0_T1_T2_jT3_P12ihipStream_tbPNSt15iterator_traitsISJ_E10value_typeEPNSP_ISK_E10value_typeEPSL_NS1_7vsmem_tEENKUlT_SJ_SK_SL_E_clIPhSE_SF_SF_EESI_SY_SJ_SK_SL_EUlSY_E_NS1_11comp_targetILNS1_3genE8ELNS1_11target_archE1030ELNS1_3gpuE2ELNS1_3repE0EEENS1_48merge_mergepath_partition_config_static_selectorELNS0_4arch9wavefront6targetE0EEEvSK_: ; @_ZN7rocprim17ROCPRIM_400000_NS6detail17trampoline_kernelINS0_14default_configENS1_38merge_sort_block_merge_config_selectorIhNS0_10empty_typeEEEZZNS1_27merge_sort_block_merge_implIS3_N6thrust23THRUST_200600_302600_NS6detail15normal_iteratorINS9_10device_ptrIhEEEEPS5_m11less_div_10IhEEE10hipError_tT0_T1_T2_jT3_P12ihipStream_tbPNSt15iterator_traitsISJ_E10value_typeEPNSP_ISK_E10value_typeEPSL_NS1_7vsmem_tEENKUlT_SJ_SK_SL_E_clIPhSE_SF_SF_EESI_SY_SJ_SK_SL_EUlSY_E_NS1_11comp_targetILNS1_3genE8ELNS1_11target_archE1030ELNS1_3gpuE2ELNS1_3repE0EEENS1_48merge_mergepath_partition_config_static_selectorELNS0_4arch9wavefront6targetE0EEEvSK_
; %bb.0:
	s_load_dword s0, s[4:5], 0x0
	v_lshl_or_b32 v0, s6, 7, v0
	s_waitcnt lgkmcnt(0)
	v_cmp_gt_u32_e32 vcc_lo, s0, v0
	s_and_saveexec_b32 s0, vcc_lo
	s_cbranch_execz .LBB700_6
; %bb.1:
	s_load_dwordx4 s[0:3], s[4:5], 0x8
	v_mov_b32_e32 v2, 0
	v_mov_b32_e32 v12, v2
	s_waitcnt lgkmcnt(0)
	s_lshr_b64 s[6:7], s[0:1], 9
	s_and_b32 s6, s6, -2
	s_sub_i32 s7, 0, s6
	s_add_i32 s6, s6, -1
	v_and_b32_e32 v1, s7, v0
	v_and_b32_e32 v11, s6, v0
	v_lshlrev_b64 v[3:4], 10, v[1:2]
	v_add_co_u32 v5, vcc_lo, v3, s0
	v_add_co_ci_u32_e64 v6, null, s1, v4, vcc_lo
	v_cmp_lt_u64_e32 vcc_lo, s[2:3], v[5:6]
	v_cndmask_b32_e64 v10, v5, s2, vcc_lo
	v_cndmask_b32_e64 v1, v6, s3, vcc_lo
	v_add_co_u32 v5, vcc_lo, v10, s0
	v_add_co_ci_u32_e64 v6, null, s1, v1, vcc_lo
	v_cmp_lt_u64_e32 vcc_lo, s[2:3], v[3:4]
	s_mov_b32 s1, 0
	v_cmp_lt_u64_e64 s0, s[2:3], v[5:6]
	v_cndmask_b32_e64 v9, v3, s2, vcc_lo
	v_cndmask_b32_e64 v8, v4, s3, vcc_lo
	v_lshlrev_b64 v[2:3], 10, v[11:12]
	v_cndmask_b32_e64 v14, v5, s2, s0
	v_cndmask_b32_e64 v13, v6, s3, s0
	s_load_dwordx2 s[2:3], s[4:5], 0x28
	v_sub_co_u32 v4, vcc_lo, v14, v9
	v_sub_co_ci_u32_e64 v5, null, v13, v8, vcc_lo
	v_cmp_lt_u64_e32 vcc_lo, v[4:5], v[2:3]
	v_cndmask_b32_e32 v7, v3, v5, vcc_lo
	v_cndmask_b32_e32 v6, v2, v4, vcc_lo
	v_sub_co_u32 v2, vcc_lo, v10, v14
	v_sub_co_ci_u32_e64 v3, null, v1, v13, vcc_lo
	v_add_co_u32 v2, vcc_lo, v6, v2
	v_add_co_ci_u32_e64 v3, null, v7, v3, vcc_lo
	v_sub_co_u32 v4, vcc_lo, v10, v9
	v_sub_co_ci_u32_e64 v5, null, v1, v8, vcc_lo
	v_cmp_gt_u64_e32 vcc_lo, v[2:3], v[6:7]
	v_cmp_lt_u64_e64 s0, v[6:7], v[4:5]
	v_cndmask_b32_e64 v3, v3, 0, vcc_lo
	v_cndmask_b32_e64 v2, v2, 0, vcc_lo
	v_cndmask_b32_e64 v5, v5, v7, s0
	v_cndmask_b32_e64 v4, v4, v6, s0
	s_mov_b32 s0, exec_lo
	v_cmpx_lt_u64_e64 v[2:3], v[4:5]
	s_cbranch_execz .LBB700_5
; %bb.2:
	s_load_dwordx2 s[4:5], s[4:5], 0x18
	s_waitcnt lgkmcnt(0)
	v_add_co_u32 v11, vcc_lo, s4, v10
	v_add_co_ci_u32_e64 v12, null, s5, v1, vcc_lo
	v_add_co_u32 v1, vcc_lo, s4, v9
	v_add_co_ci_u32_e64 v10, null, s5, v8, vcc_lo
	;; [unrolled: 2-line block ×3, first 2 shown]
	s_inst_prefetch 0x1
	.p2align	6
.LBB700_3:                              ; =>This Inner Loop Header: Depth=1
	v_add_co_u32 v11, vcc_lo, v4, v2
	v_add_co_ci_u32_e64 v12, null, v5, v3, vcc_lo
	v_lshrrev_b64 v[11:12], 1, v[11:12]
	v_not_b32_e32 v15, v11
	v_not_b32_e32 v16, v12
	v_add_co_u32 v13, vcc_lo, v1, v11
	v_add_co_ci_u32_e64 v14, null, v10, v12, vcc_lo
	v_add_co_u32 v15, vcc_lo, v6, v15
	v_add_co_ci_u32_e64 v16, null, v7, v16, vcc_lo
	s_clause 0x1
	global_load_ubyte v13, v[13:14], off
	global_load_ubyte v14, v[15:16], off
	v_add_co_u32 v15, vcc_lo, v11, 1
	v_add_co_ci_u32_e64 v16, null, 0, v12, vcc_lo
	s_waitcnt vmcnt(1)
	v_mul_lo_u16 v13, 0xcd, v13
	s_waitcnt vmcnt(0)
	v_mul_lo_u16 v14, 0xcd, v14
	v_lshrrev_b16 v13, 11, v13
	v_lshrrev_b16 v14, 11, v14
	v_cmp_lt_u16_e32 vcc_lo, v14, v13
	v_cndmask_b32_e32 v5, v5, v12, vcc_lo
	v_cndmask_b32_e32 v4, v4, v11, vcc_lo
	;; [unrolled: 1-line block ×4, first 2 shown]
	v_cmp_ge_u64_e32 vcc_lo, v[2:3], v[4:5]
	s_or_b32 s1, vcc_lo, s1
	s_andn2_b32 exec_lo, exec_lo, s1
	s_cbranch_execnz .LBB700_3
; %bb.4:
	s_inst_prefetch 0x2
	s_or_b32 exec_lo, exec_lo, s1
.LBB700_5:
	s_or_b32 exec_lo, exec_lo, s0
	v_mov_b32_e32 v1, 0
	v_add_co_u32 v2, vcc_lo, v2, v9
	v_add_co_ci_u32_e64 v3, null, v3, v8, vcc_lo
	v_lshlrev_b64 v[0:1], 3, v[0:1]
	s_waitcnt lgkmcnt(0)
	v_add_co_u32 v0, vcc_lo, s2, v0
	v_add_co_ci_u32_e64 v1, null, s3, v1, vcc_lo
	global_store_dwordx2 v[0:1], v[2:3], off
.LBB700_6:
	s_endpgm
	.section	.rodata,"a",@progbits
	.p2align	6, 0x0
	.amdhsa_kernel _ZN7rocprim17ROCPRIM_400000_NS6detail17trampoline_kernelINS0_14default_configENS1_38merge_sort_block_merge_config_selectorIhNS0_10empty_typeEEEZZNS1_27merge_sort_block_merge_implIS3_N6thrust23THRUST_200600_302600_NS6detail15normal_iteratorINS9_10device_ptrIhEEEEPS5_m11less_div_10IhEEE10hipError_tT0_T1_T2_jT3_P12ihipStream_tbPNSt15iterator_traitsISJ_E10value_typeEPNSP_ISK_E10value_typeEPSL_NS1_7vsmem_tEENKUlT_SJ_SK_SL_E_clIPhSE_SF_SF_EESI_SY_SJ_SK_SL_EUlSY_E_NS1_11comp_targetILNS1_3genE8ELNS1_11target_archE1030ELNS1_3gpuE2ELNS1_3repE0EEENS1_48merge_mergepath_partition_config_static_selectorELNS0_4arch9wavefront6targetE0EEEvSK_
		.amdhsa_group_segment_fixed_size 0
		.amdhsa_private_segment_fixed_size 0
		.amdhsa_kernarg_size 48
		.amdhsa_user_sgpr_count 6
		.amdhsa_user_sgpr_private_segment_buffer 1
		.amdhsa_user_sgpr_dispatch_ptr 0
		.amdhsa_user_sgpr_queue_ptr 0
		.amdhsa_user_sgpr_kernarg_segment_ptr 1
		.amdhsa_user_sgpr_dispatch_id 0
		.amdhsa_user_sgpr_flat_scratch_init 0
		.amdhsa_user_sgpr_private_segment_size 0
		.amdhsa_wavefront_size32 1
		.amdhsa_uses_dynamic_stack 0
		.amdhsa_system_sgpr_private_segment_wavefront_offset 0
		.amdhsa_system_sgpr_workgroup_id_x 1
		.amdhsa_system_sgpr_workgroup_id_y 0
		.amdhsa_system_sgpr_workgroup_id_z 0
		.amdhsa_system_sgpr_workgroup_info 0
		.amdhsa_system_vgpr_workitem_id 0
		.amdhsa_next_free_vgpr 17
		.amdhsa_next_free_sgpr 8
		.amdhsa_reserve_vcc 1
		.amdhsa_reserve_flat_scratch 0
		.amdhsa_float_round_mode_32 0
		.amdhsa_float_round_mode_16_64 0
		.amdhsa_float_denorm_mode_32 3
		.amdhsa_float_denorm_mode_16_64 3
		.amdhsa_dx10_clamp 1
		.amdhsa_ieee_mode 1
		.amdhsa_fp16_overflow 0
		.amdhsa_workgroup_processor_mode 1
		.amdhsa_memory_ordered 1
		.amdhsa_forward_progress 1
		.amdhsa_shared_vgpr_count 0
		.amdhsa_exception_fp_ieee_invalid_op 0
		.amdhsa_exception_fp_denorm_src 0
		.amdhsa_exception_fp_ieee_div_zero 0
		.amdhsa_exception_fp_ieee_overflow 0
		.amdhsa_exception_fp_ieee_underflow 0
		.amdhsa_exception_fp_ieee_inexact 0
		.amdhsa_exception_int_div_zero 0
	.end_amdhsa_kernel
	.section	.text._ZN7rocprim17ROCPRIM_400000_NS6detail17trampoline_kernelINS0_14default_configENS1_38merge_sort_block_merge_config_selectorIhNS0_10empty_typeEEEZZNS1_27merge_sort_block_merge_implIS3_N6thrust23THRUST_200600_302600_NS6detail15normal_iteratorINS9_10device_ptrIhEEEEPS5_m11less_div_10IhEEE10hipError_tT0_T1_T2_jT3_P12ihipStream_tbPNSt15iterator_traitsISJ_E10value_typeEPNSP_ISK_E10value_typeEPSL_NS1_7vsmem_tEENKUlT_SJ_SK_SL_E_clIPhSE_SF_SF_EESI_SY_SJ_SK_SL_EUlSY_E_NS1_11comp_targetILNS1_3genE8ELNS1_11target_archE1030ELNS1_3gpuE2ELNS1_3repE0EEENS1_48merge_mergepath_partition_config_static_selectorELNS0_4arch9wavefront6targetE0EEEvSK_,"axG",@progbits,_ZN7rocprim17ROCPRIM_400000_NS6detail17trampoline_kernelINS0_14default_configENS1_38merge_sort_block_merge_config_selectorIhNS0_10empty_typeEEEZZNS1_27merge_sort_block_merge_implIS3_N6thrust23THRUST_200600_302600_NS6detail15normal_iteratorINS9_10device_ptrIhEEEEPS5_m11less_div_10IhEEE10hipError_tT0_T1_T2_jT3_P12ihipStream_tbPNSt15iterator_traitsISJ_E10value_typeEPNSP_ISK_E10value_typeEPSL_NS1_7vsmem_tEENKUlT_SJ_SK_SL_E_clIPhSE_SF_SF_EESI_SY_SJ_SK_SL_EUlSY_E_NS1_11comp_targetILNS1_3genE8ELNS1_11target_archE1030ELNS1_3gpuE2ELNS1_3repE0EEENS1_48merge_mergepath_partition_config_static_selectorELNS0_4arch9wavefront6targetE0EEEvSK_,comdat
.Lfunc_end700:
	.size	_ZN7rocprim17ROCPRIM_400000_NS6detail17trampoline_kernelINS0_14default_configENS1_38merge_sort_block_merge_config_selectorIhNS0_10empty_typeEEEZZNS1_27merge_sort_block_merge_implIS3_N6thrust23THRUST_200600_302600_NS6detail15normal_iteratorINS9_10device_ptrIhEEEEPS5_m11less_div_10IhEEE10hipError_tT0_T1_T2_jT3_P12ihipStream_tbPNSt15iterator_traitsISJ_E10value_typeEPNSP_ISK_E10value_typeEPSL_NS1_7vsmem_tEENKUlT_SJ_SK_SL_E_clIPhSE_SF_SF_EESI_SY_SJ_SK_SL_EUlSY_E_NS1_11comp_targetILNS1_3genE8ELNS1_11target_archE1030ELNS1_3gpuE2ELNS1_3repE0EEENS1_48merge_mergepath_partition_config_static_selectorELNS0_4arch9wavefront6targetE0EEEvSK_, .Lfunc_end700-_ZN7rocprim17ROCPRIM_400000_NS6detail17trampoline_kernelINS0_14default_configENS1_38merge_sort_block_merge_config_selectorIhNS0_10empty_typeEEEZZNS1_27merge_sort_block_merge_implIS3_N6thrust23THRUST_200600_302600_NS6detail15normal_iteratorINS9_10device_ptrIhEEEEPS5_m11less_div_10IhEEE10hipError_tT0_T1_T2_jT3_P12ihipStream_tbPNSt15iterator_traitsISJ_E10value_typeEPNSP_ISK_E10value_typeEPSL_NS1_7vsmem_tEENKUlT_SJ_SK_SL_E_clIPhSE_SF_SF_EESI_SY_SJ_SK_SL_EUlSY_E_NS1_11comp_targetILNS1_3genE8ELNS1_11target_archE1030ELNS1_3gpuE2ELNS1_3repE0EEENS1_48merge_mergepath_partition_config_static_selectorELNS0_4arch9wavefront6targetE0EEEvSK_
                                        ; -- End function
	.set _ZN7rocprim17ROCPRIM_400000_NS6detail17trampoline_kernelINS0_14default_configENS1_38merge_sort_block_merge_config_selectorIhNS0_10empty_typeEEEZZNS1_27merge_sort_block_merge_implIS3_N6thrust23THRUST_200600_302600_NS6detail15normal_iteratorINS9_10device_ptrIhEEEEPS5_m11less_div_10IhEEE10hipError_tT0_T1_T2_jT3_P12ihipStream_tbPNSt15iterator_traitsISJ_E10value_typeEPNSP_ISK_E10value_typeEPSL_NS1_7vsmem_tEENKUlT_SJ_SK_SL_E_clIPhSE_SF_SF_EESI_SY_SJ_SK_SL_EUlSY_E_NS1_11comp_targetILNS1_3genE8ELNS1_11target_archE1030ELNS1_3gpuE2ELNS1_3repE0EEENS1_48merge_mergepath_partition_config_static_selectorELNS0_4arch9wavefront6targetE0EEEvSK_.num_vgpr, 17
	.set _ZN7rocprim17ROCPRIM_400000_NS6detail17trampoline_kernelINS0_14default_configENS1_38merge_sort_block_merge_config_selectorIhNS0_10empty_typeEEEZZNS1_27merge_sort_block_merge_implIS3_N6thrust23THRUST_200600_302600_NS6detail15normal_iteratorINS9_10device_ptrIhEEEEPS5_m11less_div_10IhEEE10hipError_tT0_T1_T2_jT3_P12ihipStream_tbPNSt15iterator_traitsISJ_E10value_typeEPNSP_ISK_E10value_typeEPSL_NS1_7vsmem_tEENKUlT_SJ_SK_SL_E_clIPhSE_SF_SF_EESI_SY_SJ_SK_SL_EUlSY_E_NS1_11comp_targetILNS1_3genE8ELNS1_11target_archE1030ELNS1_3gpuE2ELNS1_3repE0EEENS1_48merge_mergepath_partition_config_static_selectorELNS0_4arch9wavefront6targetE0EEEvSK_.num_agpr, 0
	.set _ZN7rocprim17ROCPRIM_400000_NS6detail17trampoline_kernelINS0_14default_configENS1_38merge_sort_block_merge_config_selectorIhNS0_10empty_typeEEEZZNS1_27merge_sort_block_merge_implIS3_N6thrust23THRUST_200600_302600_NS6detail15normal_iteratorINS9_10device_ptrIhEEEEPS5_m11less_div_10IhEEE10hipError_tT0_T1_T2_jT3_P12ihipStream_tbPNSt15iterator_traitsISJ_E10value_typeEPNSP_ISK_E10value_typeEPSL_NS1_7vsmem_tEENKUlT_SJ_SK_SL_E_clIPhSE_SF_SF_EESI_SY_SJ_SK_SL_EUlSY_E_NS1_11comp_targetILNS1_3genE8ELNS1_11target_archE1030ELNS1_3gpuE2ELNS1_3repE0EEENS1_48merge_mergepath_partition_config_static_selectorELNS0_4arch9wavefront6targetE0EEEvSK_.numbered_sgpr, 8
	.set _ZN7rocprim17ROCPRIM_400000_NS6detail17trampoline_kernelINS0_14default_configENS1_38merge_sort_block_merge_config_selectorIhNS0_10empty_typeEEEZZNS1_27merge_sort_block_merge_implIS3_N6thrust23THRUST_200600_302600_NS6detail15normal_iteratorINS9_10device_ptrIhEEEEPS5_m11less_div_10IhEEE10hipError_tT0_T1_T2_jT3_P12ihipStream_tbPNSt15iterator_traitsISJ_E10value_typeEPNSP_ISK_E10value_typeEPSL_NS1_7vsmem_tEENKUlT_SJ_SK_SL_E_clIPhSE_SF_SF_EESI_SY_SJ_SK_SL_EUlSY_E_NS1_11comp_targetILNS1_3genE8ELNS1_11target_archE1030ELNS1_3gpuE2ELNS1_3repE0EEENS1_48merge_mergepath_partition_config_static_selectorELNS0_4arch9wavefront6targetE0EEEvSK_.num_named_barrier, 0
	.set _ZN7rocprim17ROCPRIM_400000_NS6detail17trampoline_kernelINS0_14default_configENS1_38merge_sort_block_merge_config_selectorIhNS0_10empty_typeEEEZZNS1_27merge_sort_block_merge_implIS3_N6thrust23THRUST_200600_302600_NS6detail15normal_iteratorINS9_10device_ptrIhEEEEPS5_m11less_div_10IhEEE10hipError_tT0_T1_T2_jT3_P12ihipStream_tbPNSt15iterator_traitsISJ_E10value_typeEPNSP_ISK_E10value_typeEPSL_NS1_7vsmem_tEENKUlT_SJ_SK_SL_E_clIPhSE_SF_SF_EESI_SY_SJ_SK_SL_EUlSY_E_NS1_11comp_targetILNS1_3genE8ELNS1_11target_archE1030ELNS1_3gpuE2ELNS1_3repE0EEENS1_48merge_mergepath_partition_config_static_selectorELNS0_4arch9wavefront6targetE0EEEvSK_.private_seg_size, 0
	.set _ZN7rocprim17ROCPRIM_400000_NS6detail17trampoline_kernelINS0_14default_configENS1_38merge_sort_block_merge_config_selectorIhNS0_10empty_typeEEEZZNS1_27merge_sort_block_merge_implIS3_N6thrust23THRUST_200600_302600_NS6detail15normal_iteratorINS9_10device_ptrIhEEEEPS5_m11less_div_10IhEEE10hipError_tT0_T1_T2_jT3_P12ihipStream_tbPNSt15iterator_traitsISJ_E10value_typeEPNSP_ISK_E10value_typeEPSL_NS1_7vsmem_tEENKUlT_SJ_SK_SL_E_clIPhSE_SF_SF_EESI_SY_SJ_SK_SL_EUlSY_E_NS1_11comp_targetILNS1_3genE8ELNS1_11target_archE1030ELNS1_3gpuE2ELNS1_3repE0EEENS1_48merge_mergepath_partition_config_static_selectorELNS0_4arch9wavefront6targetE0EEEvSK_.uses_vcc, 1
	.set _ZN7rocprim17ROCPRIM_400000_NS6detail17trampoline_kernelINS0_14default_configENS1_38merge_sort_block_merge_config_selectorIhNS0_10empty_typeEEEZZNS1_27merge_sort_block_merge_implIS3_N6thrust23THRUST_200600_302600_NS6detail15normal_iteratorINS9_10device_ptrIhEEEEPS5_m11less_div_10IhEEE10hipError_tT0_T1_T2_jT3_P12ihipStream_tbPNSt15iterator_traitsISJ_E10value_typeEPNSP_ISK_E10value_typeEPSL_NS1_7vsmem_tEENKUlT_SJ_SK_SL_E_clIPhSE_SF_SF_EESI_SY_SJ_SK_SL_EUlSY_E_NS1_11comp_targetILNS1_3genE8ELNS1_11target_archE1030ELNS1_3gpuE2ELNS1_3repE0EEENS1_48merge_mergepath_partition_config_static_selectorELNS0_4arch9wavefront6targetE0EEEvSK_.uses_flat_scratch, 0
	.set _ZN7rocprim17ROCPRIM_400000_NS6detail17trampoline_kernelINS0_14default_configENS1_38merge_sort_block_merge_config_selectorIhNS0_10empty_typeEEEZZNS1_27merge_sort_block_merge_implIS3_N6thrust23THRUST_200600_302600_NS6detail15normal_iteratorINS9_10device_ptrIhEEEEPS5_m11less_div_10IhEEE10hipError_tT0_T1_T2_jT3_P12ihipStream_tbPNSt15iterator_traitsISJ_E10value_typeEPNSP_ISK_E10value_typeEPSL_NS1_7vsmem_tEENKUlT_SJ_SK_SL_E_clIPhSE_SF_SF_EESI_SY_SJ_SK_SL_EUlSY_E_NS1_11comp_targetILNS1_3genE8ELNS1_11target_archE1030ELNS1_3gpuE2ELNS1_3repE0EEENS1_48merge_mergepath_partition_config_static_selectorELNS0_4arch9wavefront6targetE0EEEvSK_.has_dyn_sized_stack, 0
	.set _ZN7rocprim17ROCPRIM_400000_NS6detail17trampoline_kernelINS0_14default_configENS1_38merge_sort_block_merge_config_selectorIhNS0_10empty_typeEEEZZNS1_27merge_sort_block_merge_implIS3_N6thrust23THRUST_200600_302600_NS6detail15normal_iteratorINS9_10device_ptrIhEEEEPS5_m11less_div_10IhEEE10hipError_tT0_T1_T2_jT3_P12ihipStream_tbPNSt15iterator_traitsISJ_E10value_typeEPNSP_ISK_E10value_typeEPSL_NS1_7vsmem_tEENKUlT_SJ_SK_SL_E_clIPhSE_SF_SF_EESI_SY_SJ_SK_SL_EUlSY_E_NS1_11comp_targetILNS1_3genE8ELNS1_11target_archE1030ELNS1_3gpuE2ELNS1_3repE0EEENS1_48merge_mergepath_partition_config_static_selectorELNS0_4arch9wavefront6targetE0EEEvSK_.has_recursion, 0
	.set _ZN7rocprim17ROCPRIM_400000_NS6detail17trampoline_kernelINS0_14default_configENS1_38merge_sort_block_merge_config_selectorIhNS0_10empty_typeEEEZZNS1_27merge_sort_block_merge_implIS3_N6thrust23THRUST_200600_302600_NS6detail15normal_iteratorINS9_10device_ptrIhEEEEPS5_m11less_div_10IhEEE10hipError_tT0_T1_T2_jT3_P12ihipStream_tbPNSt15iterator_traitsISJ_E10value_typeEPNSP_ISK_E10value_typeEPSL_NS1_7vsmem_tEENKUlT_SJ_SK_SL_E_clIPhSE_SF_SF_EESI_SY_SJ_SK_SL_EUlSY_E_NS1_11comp_targetILNS1_3genE8ELNS1_11target_archE1030ELNS1_3gpuE2ELNS1_3repE0EEENS1_48merge_mergepath_partition_config_static_selectorELNS0_4arch9wavefront6targetE0EEEvSK_.has_indirect_call, 0
	.section	.AMDGPU.csdata,"",@progbits
; Kernel info:
; codeLenInByte = 704
; TotalNumSgprs: 10
; NumVgprs: 17
; ScratchSize: 0
; MemoryBound: 0
; FloatMode: 240
; IeeeMode: 1
; LDSByteSize: 0 bytes/workgroup (compile time only)
; SGPRBlocks: 0
; VGPRBlocks: 2
; NumSGPRsForWavesPerEU: 10
; NumVGPRsForWavesPerEU: 17
; Occupancy: 16
; WaveLimiterHint : 0
; COMPUTE_PGM_RSRC2:SCRATCH_EN: 0
; COMPUTE_PGM_RSRC2:USER_SGPR: 6
; COMPUTE_PGM_RSRC2:TRAP_HANDLER: 0
; COMPUTE_PGM_RSRC2:TGID_X_EN: 1
; COMPUTE_PGM_RSRC2:TGID_Y_EN: 0
; COMPUTE_PGM_RSRC2:TGID_Z_EN: 0
; COMPUTE_PGM_RSRC2:TIDIG_COMP_CNT: 0
	.section	.text._ZN7rocprim17ROCPRIM_400000_NS6detail17trampoline_kernelINS0_14default_configENS1_38merge_sort_block_merge_config_selectorIhNS0_10empty_typeEEEZZNS1_27merge_sort_block_merge_implIS3_N6thrust23THRUST_200600_302600_NS6detail15normal_iteratorINS9_10device_ptrIhEEEEPS5_m11less_div_10IhEEE10hipError_tT0_T1_T2_jT3_P12ihipStream_tbPNSt15iterator_traitsISJ_E10value_typeEPNSP_ISK_E10value_typeEPSL_NS1_7vsmem_tEENKUlT_SJ_SK_SL_E_clIPhSE_SF_SF_EESI_SY_SJ_SK_SL_EUlSY_E0_NS1_11comp_targetILNS1_3genE0ELNS1_11target_archE4294967295ELNS1_3gpuE0ELNS1_3repE0EEENS1_38merge_mergepath_config_static_selectorELNS0_4arch9wavefront6targetE0EEEvSK_,"axG",@progbits,_ZN7rocprim17ROCPRIM_400000_NS6detail17trampoline_kernelINS0_14default_configENS1_38merge_sort_block_merge_config_selectorIhNS0_10empty_typeEEEZZNS1_27merge_sort_block_merge_implIS3_N6thrust23THRUST_200600_302600_NS6detail15normal_iteratorINS9_10device_ptrIhEEEEPS5_m11less_div_10IhEEE10hipError_tT0_T1_T2_jT3_P12ihipStream_tbPNSt15iterator_traitsISJ_E10value_typeEPNSP_ISK_E10value_typeEPSL_NS1_7vsmem_tEENKUlT_SJ_SK_SL_E_clIPhSE_SF_SF_EESI_SY_SJ_SK_SL_EUlSY_E0_NS1_11comp_targetILNS1_3genE0ELNS1_11target_archE4294967295ELNS1_3gpuE0ELNS1_3repE0EEENS1_38merge_mergepath_config_static_selectorELNS0_4arch9wavefront6targetE0EEEvSK_,comdat
	.protected	_ZN7rocprim17ROCPRIM_400000_NS6detail17trampoline_kernelINS0_14default_configENS1_38merge_sort_block_merge_config_selectorIhNS0_10empty_typeEEEZZNS1_27merge_sort_block_merge_implIS3_N6thrust23THRUST_200600_302600_NS6detail15normal_iteratorINS9_10device_ptrIhEEEEPS5_m11less_div_10IhEEE10hipError_tT0_T1_T2_jT3_P12ihipStream_tbPNSt15iterator_traitsISJ_E10value_typeEPNSP_ISK_E10value_typeEPSL_NS1_7vsmem_tEENKUlT_SJ_SK_SL_E_clIPhSE_SF_SF_EESI_SY_SJ_SK_SL_EUlSY_E0_NS1_11comp_targetILNS1_3genE0ELNS1_11target_archE4294967295ELNS1_3gpuE0ELNS1_3repE0EEENS1_38merge_mergepath_config_static_selectorELNS0_4arch9wavefront6targetE0EEEvSK_ ; -- Begin function _ZN7rocprim17ROCPRIM_400000_NS6detail17trampoline_kernelINS0_14default_configENS1_38merge_sort_block_merge_config_selectorIhNS0_10empty_typeEEEZZNS1_27merge_sort_block_merge_implIS3_N6thrust23THRUST_200600_302600_NS6detail15normal_iteratorINS9_10device_ptrIhEEEEPS5_m11less_div_10IhEEE10hipError_tT0_T1_T2_jT3_P12ihipStream_tbPNSt15iterator_traitsISJ_E10value_typeEPNSP_ISK_E10value_typeEPSL_NS1_7vsmem_tEENKUlT_SJ_SK_SL_E_clIPhSE_SF_SF_EESI_SY_SJ_SK_SL_EUlSY_E0_NS1_11comp_targetILNS1_3genE0ELNS1_11target_archE4294967295ELNS1_3gpuE0ELNS1_3repE0EEENS1_38merge_mergepath_config_static_selectorELNS0_4arch9wavefront6targetE0EEEvSK_
	.globl	_ZN7rocprim17ROCPRIM_400000_NS6detail17trampoline_kernelINS0_14default_configENS1_38merge_sort_block_merge_config_selectorIhNS0_10empty_typeEEEZZNS1_27merge_sort_block_merge_implIS3_N6thrust23THRUST_200600_302600_NS6detail15normal_iteratorINS9_10device_ptrIhEEEEPS5_m11less_div_10IhEEE10hipError_tT0_T1_T2_jT3_P12ihipStream_tbPNSt15iterator_traitsISJ_E10value_typeEPNSP_ISK_E10value_typeEPSL_NS1_7vsmem_tEENKUlT_SJ_SK_SL_E_clIPhSE_SF_SF_EESI_SY_SJ_SK_SL_EUlSY_E0_NS1_11comp_targetILNS1_3genE0ELNS1_11target_archE4294967295ELNS1_3gpuE0ELNS1_3repE0EEENS1_38merge_mergepath_config_static_selectorELNS0_4arch9wavefront6targetE0EEEvSK_
	.p2align	8
	.type	_ZN7rocprim17ROCPRIM_400000_NS6detail17trampoline_kernelINS0_14default_configENS1_38merge_sort_block_merge_config_selectorIhNS0_10empty_typeEEEZZNS1_27merge_sort_block_merge_implIS3_N6thrust23THRUST_200600_302600_NS6detail15normal_iteratorINS9_10device_ptrIhEEEEPS5_m11less_div_10IhEEE10hipError_tT0_T1_T2_jT3_P12ihipStream_tbPNSt15iterator_traitsISJ_E10value_typeEPNSP_ISK_E10value_typeEPSL_NS1_7vsmem_tEENKUlT_SJ_SK_SL_E_clIPhSE_SF_SF_EESI_SY_SJ_SK_SL_EUlSY_E0_NS1_11comp_targetILNS1_3genE0ELNS1_11target_archE4294967295ELNS1_3gpuE0ELNS1_3repE0EEENS1_38merge_mergepath_config_static_selectorELNS0_4arch9wavefront6targetE0EEEvSK_,@function
_ZN7rocprim17ROCPRIM_400000_NS6detail17trampoline_kernelINS0_14default_configENS1_38merge_sort_block_merge_config_selectorIhNS0_10empty_typeEEEZZNS1_27merge_sort_block_merge_implIS3_N6thrust23THRUST_200600_302600_NS6detail15normal_iteratorINS9_10device_ptrIhEEEEPS5_m11less_div_10IhEEE10hipError_tT0_T1_T2_jT3_P12ihipStream_tbPNSt15iterator_traitsISJ_E10value_typeEPNSP_ISK_E10value_typeEPSL_NS1_7vsmem_tEENKUlT_SJ_SK_SL_E_clIPhSE_SF_SF_EESI_SY_SJ_SK_SL_EUlSY_E0_NS1_11comp_targetILNS1_3genE0ELNS1_11target_archE4294967295ELNS1_3gpuE0ELNS1_3repE0EEENS1_38merge_mergepath_config_static_selectorELNS0_4arch9wavefront6targetE0EEEvSK_: ; @_ZN7rocprim17ROCPRIM_400000_NS6detail17trampoline_kernelINS0_14default_configENS1_38merge_sort_block_merge_config_selectorIhNS0_10empty_typeEEEZZNS1_27merge_sort_block_merge_implIS3_N6thrust23THRUST_200600_302600_NS6detail15normal_iteratorINS9_10device_ptrIhEEEEPS5_m11less_div_10IhEEE10hipError_tT0_T1_T2_jT3_P12ihipStream_tbPNSt15iterator_traitsISJ_E10value_typeEPNSP_ISK_E10value_typeEPSL_NS1_7vsmem_tEENKUlT_SJ_SK_SL_E_clIPhSE_SF_SF_EESI_SY_SJ_SK_SL_EUlSY_E0_NS1_11comp_targetILNS1_3genE0ELNS1_11target_archE4294967295ELNS1_3gpuE0ELNS1_3repE0EEENS1_38merge_mergepath_config_static_selectorELNS0_4arch9wavefront6targetE0EEEvSK_
; %bb.0:
	.section	.rodata,"a",@progbits
	.p2align	6, 0x0
	.amdhsa_kernel _ZN7rocprim17ROCPRIM_400000_NS6detail17trampoline_kernelINS0_14default_configENS1_38merge_sort_block_merge_config_selectorIhNS0_10empty_typeEEEZZNS1_27merge_sort_block_merge_implIS3_N6thrust23THRUST_200600_302600_NS6detail15normal_iteratorINS9_10device_ptrIhEEEEPS5_m11less_div_10IhEEE10hipError_tT0_T1_T2_jT3_P12ihipStream_tbPNSt15iterator_traitsISJ_E10value_typeEPNSP_ISK_E10value_typeEPSL_NS1_7vsmem_tEENKUlT_SJ_SK_SL_E_clIPhSE_SF_SF_EESI_SY_SJ_SK_SL_EUlSY_E0_NS1_11comp_targetILNS1_3genE0ELNS1_11target_archE4294967295ELNS1_3gpuE0ELNS1_3repE0EEENS1_38merge_mergepath_config_static_selectorELNS0_4arch9wavefront6targetE0EEEvSK_
		.amdhsa_group_segment_fixed_size 0
		.amdhsa_private_segment_fixed_size 0
		.amdhsa_kernarg_size 72
		.amdhsa_user_sgpr_count 6
		.amdhsa_user_sgpr_private_segment_buffer 1
		.amdhsa_user_sgpr_dispatch_ptr 0
		.amdhsa_user_sgpr_queue_ptr 0
		.amdhsa_user_sgpr_kernarg_segment_ptr 1
		.amdhsa_user_sgpr_dispatch_id 0
		.amdhsa_user_sgpr_flat_scratch_init 0
		.amdhsa_user_sgpr_private_segment_size 0
		.amdhsa_wavefront_size32 1
		.amdhsa_uses_dynamic_stack 0
		.amdhsa_system_sgpr_private_segment_wavefront_offset 0
		.amdhsa_system_sgpr_workgroup_id_x 1
		.amdhsa_system_sgpr_workgroup_id_y 0
		.amdhsa_system_sgpr_workgroup_id_z 0
		.amdhsa_system_sgpr_workgroup_info 0
		.amdhsa_system_vgpr_workitem_id 0
		.amdhsa_next_free_vgpr 1
		.amdhsa_next_free_sgpr 1
		.amdhsa_reserve_vcc 0
		.amdhsa_reserve_flat_scratch 0
		.amdhsa_float_round_mode_32 0
		.amdhsa_float_round_mode_16_64 0
		.amdhsa_float_denorm_mode_32 3
		.amdhsa_float_denorm_mode_16_64 3
		.amdhsa_dx10_clamp 1
		.amdhsa_ieee_mode 1
		.amdhsa_fp16_overflow 0
		.amdhsa_workgroup_processor_mode 1
		.amdhsa_memory_ordered 1
		.amdhsa_forward_progress 1
		.amdhsa_shared_vgpr_count 0
		.amdhsa_exception_fp_ieee_invalid_op 0
		.amdhsa_exception_fp_denorm_src 0
		.amdhsa_exception_fp_ieee_div_zero 0
		.amdhsa_exception_fp_ieee_overflow 0
		.amdhsa_exception_fp_ieee_underflow 0
		.amdhsa_exception_fp_ieee_inexact 0
		.amdhsa_exception_int_div_zero 0
	.end_amdhsa_kernel
	.section	.text._ZN7rocprim17ROCPRIM_400000_NS6detail17trampoline_kernelINS0_14default_configENS1_38merge_sort_block_merge_config_selectorIhNS0_10empty_typeEEEZZNS1_27merge_sort_block_merge_implIS3_N6thrust23THRUST_200600_302600_NS6detail15normal_iteratorINS9_10device_ptrIhEEEEPS5_m11less_div_10IhEEE10hipError_tT0_T1_T2_jT3_P12ihipStream_tbPNSt15iterator_traitsISJ_E10value_typeEPNSP_ISK_E10value_typeEPSL_NS1_7vsmem_tEENKUlT_SJ_SK_SL_E_clIPhSE_SF_SF_EESI_SY_SJ_SK_SL_EUlSY_E0_NS1_11comp_targetILNS1_3genE0ELNS1_11target_archE4294967295ELNS1_3gpuE0ELNS1_3repE0EEENS1_38merge_mergepath_config_static_selectorELNS0_4arch9wavefront6targetE0EEEvSK_,"axG",@progbits,_ZN7rocprim17ROCPRIM_400000_NS6detail17trampoline_kernelINS0_14default_configENS1_38merge_sort_block_merge_config_selectorIhNS0_10empty_typeEEEZZNS1_27merge_sort_block_merge_implIS3_N6thrust23THRUST_200600_302600_NS6detail15normal_iteratorINS9_10device_ptrIhEEEEPS5_m11less_div_10IhEEE10hipError_tT0_T1_T2_jT3_P12ihipStream_tbPNSt15iterator_traitsISJ_E10value_typeEPNSP_ISK_E10value_typeEPSL_NS1_7vsmem_tEENKUlT_SJ_SK_SL_E_clIPhSE_SF_SF_EESI_SY_SJ_SK_SL_EUlSY_E0_NS1_11comp_targetILNS1_3genE0ELNS1_11target_archE4294967295ELNS1_3gpuE0ELNS1_3repE0EEENS1_38merge_mergepath_config_static_selectorELNS0_4arch9wavefront6targetE0EEEvSK_,comdat
.Lfunc_end701:
	.size	_ZN7rocprim17ROCPRIM_400000_NS6detail17trampoline_kernelINS0_14default_configENS1_38merge_sort_block_merge_config_selectorIhNS0_10empty_typeEEEZZNS1_27merge_sort_block_merge_implIS3_N6thrust23THRUST_200600_302600_NS6detail15normal_iteratorINS9_10device_ptrIhEEEEPS5_m11less_div_10IhEEE10hipError_tT0_T1_T2_jT3_P12ihipStream_tbPNSt15iterator_traitsISJ_E10value_typeEPNSP_ISK_E10value_typeEPSL_NS1_7vsmem_tEENKUlT_SJ_SK_SL_E_clIPhSE_SF_SF_EESI_SY_SJ_SK_SL_EUlSY_E0_NS1_11comp_targetILNS1_3genE0ELNS1_11target_archE4294967295ELNS1_3gpuE0ELNS1_3repE0EEENS1_38merge_mergepath_config_static_selectorELNS0_4arch9wavefront6targetE0EEEvSK_, .Lfunc_end701-_ZN7rocprim17ROCPRIM_400000_NS6detail17trampoline_kernelINS0_14default_configENS1_38merge_sort_block_merge_config_selectorIhNS0_10empty_typeEEEZZNS1_27merge_sort_block_merge_implIS3_N6thrust23THRUST_200600_302600_NS6detail15normal_iteratorINS9_10device_ptrIhEEEEPS5_m11less_div_10IhEEE10hipError_tT0_T1_T2_jT3_P12ihipStream_tbPNSt15iterator_traitsISJ_E10value_typeEPNSP_ISK_E10value_typeEPSL_NS1_7vsmem_tEENKUlT_SJ_SK_SL_E_clIPhSE_SF_SF_EESI_SY_SJ_SK_SL_EUlSY_E0_NS1_11comp_targetILNS1_3genE0ELNS1_11target_archE4294967295ELNS1_3gpuE0ELNS1_3repE0EEENS1_38merge_mergepath_config_static_selectorELNS0_4arch9wavefront6targetE0EEEvSK_
                                        ; -- End function
	.set _ZN7rocprim17ROCPRIM_400000_NS6detail17trampoline_kernelINS0_14default_configENS1_38merge_sort_block_merge_config_selectorIhNS0_10empty_typeEEEZZNS1_27merge_sort_block_merge_implIS3_N6thrust23THRUST_200600_302600_NS6detail15normal_iteratorINS9_10device_ptrIhEEEEPS5_m11less_div_10IhEEE10hipError_tT0_T1_T2_jT3_P12ihipStream_tbPNSt15iterator_traitsISJ_E10value_typeEPNSP_ISK_E10value_typeEPSL_NS1_7vsmem_tEENKUlT_SJ_SK_SL_E_clIPhSE_SF_SF_EESI_SY_SJ_SK_SL_EUlSY_E0_NS1_11comp_targetILNS1_3genE0ELNS1_11target_archE4294967295ELNS1_3gpuE0ELNS1_3repE0EEENS1_38merge_mergepath_config_static_selectorELNS0_4arch9wavefront6targetE0EEEvSK_.num_vgpr, 0
	.set _ZN7rocprim17ROCPRIM_400000_NS6detail17trampoline_kernelINS0_14default_configENS1_38merge_sort_block_merge_config_selectorIhNS0_10empty_typeEEEZZNS1_27merge_sort_block_merge_implIS3_N6thrust23THRUST_200600_302600_NS6detail15normal_iteratorINS9_10device_ptrIhEEEEPS5_m11less_div_10IhEEE10hipError_tT0_T1_T2_jT3_P12ihipStream_tbPNSt15iterator_traitsISJ_E10value_typeEPNSP_ISK_E10value_typeEPSL_NS1_7vsmem_tEENKUlT_SJ_SK_SL_E_clIPhSE_SF_SF_EESI_SY_SJ_SK_SL_EUlSY_E0_NS1_11comp_targetILNS1_3genE0ELNS1_11target_archE4294967295ELNS1_3gpuE0ELNS1_3repE0EEENS1_38merge_mergepath_config_static_selectorELNS0_4arch9wavefront6targetE0EEEvSK_.num_agpr, 0
	.set _ZN7rocprim17ROCPRIM_400000_NS6detail17trampoline_kernelINS0_14default_configENS1_38merge_sort_block_merge_config_selectorIhNS0_10empty_typeEEEZZNS1_27merge_sort_block_merge_implIS3_N6thrust23THRUST_200600_302600_NS6detail15normal_iteratorINS9_10device_ptrIhEEEEPS5_m11less_div_10IhEEE10hipError_tT0_T1_T2_jT3_P12ihipStream_tbPNSt15iterator_traitsISJ_E10value_typeEPNSP_ISK_E10value_typeEPSL_NS1_7vsmem_tEENKUlT_SJ_SK_SL_E_clIPhSE_SF_SF_EESI_SY_SJ_SK_SL_EUlSY_E0_NS1_11comp_targetILNS1_3genE0ELNS1_11target_archE4294967295ELNS1_3gpuE0ELNS1_3repE0EEENS1_38merge_mergepath_config_static_selectorELNS0_4arch9wavefront6targetE0EEEvSK_.numbered_sgpr, 0
	.set _ZN7rocprim17ROCPRIM_400000_NS6detail17trampoline_kernelINS0_14default_configENS1_38merge_sort_block_merge_config_selectorIhNS0_10empty_typeEEEZZNS1_27merge_sort_block_merge_implIS3_N6thrust23THRUST_200600_302600_NS6detail15normal_iteratorINS9_10device_ptrIhEEEEPS5_m11less_div_10IhEEE10hipError_tT0_T1_T2_jT3_P12ihipStream_tbPNSt15iterator_traitsISJ_E10value_typeEPNSP_ISK_E10value_typeEPSL_NS1_7vsmem_tEENKUlT_SJ_SK_SL_E_clIPhSE_SF_SF_EESI_SY_SJ_SK_SL_EUlSY_E0_NS1_11comp_targetILNS1_3genE0ELNS1_11target_archE4294967295ELNS1_3gpuE0ELNS1_3repE0EEENS1_38merge_mergepath_config_static_selectorELNS0_4arch9wavefront6targetE0EEEvSK_.num_named_barrier, 0
	.set _ZN7rocprim17ROCPRIM_400000_NS6detail17trampoline_kernelINS0_14default_configENS1_38merge_sort_block_merge_config_selectorIhNS0_10empty_typeEEEZZNS1_27merge_sort_block_merge_implIS3_N6thrust23THRUST_200600_302600_NS6detail15normal_iteratorINS9_10device_ptrIhEEEEPS5_m11less_div_10IhEEE10hipError_tT0_T1_T2_jT3_P12ihipStream_tbPNSt15iterator_traitsISJ_E10value_typeEPNSP_ISK_E10value_typeEPSL_NS1_7vsmem_tEENKUlT_SJ_SK_SL_E_clIPhSE_SF_SF_EESI_SY_SJ_SK_SL_EUlSY_E0_NS1_11comp_targetILNS1_3genE0ELNS1_11target_archE4294967295ELNS1_3gpuE0ELNS1_3repE0EEENS1_38merge_mergepath_config_static_selectorELNS0_4arch9wavefront6targetE0EEEvSK_.private_seg_size, 0
	.set _ZN7rocprim17ROCPRIM_400000_NS6detail17trampoline_kernelINS0_14default_configENS1_38merge_sort_block_merge_config_selectorIhNS0_10empty_typeEEEZZNS1_27merge_sort_block_merge_implIS3_N6thrust23THRUST_200600_302600_NS6detail15normal_iteratorINS9_10device_ptrIhEEEEPS5_m11less_div_10IhEEE10hipError_tT0_T1_T2_jT3_P12ihipStream_tbPNSt15iterator_traitsISJ_E10value_typeEPNSP_ISK_E10value_typeEPSL_NS1_7vsmem_tEENKUlT_SJ_SK_SL_E_clIPhSE_SF_SF_EESI_SY_SJ_SK_SL_EUlSY_E0_NS1_11comp_targetILNS1_3genE0ELNS1_11target_archE4294967295ELNS1_3gpuE0ELNS1_3repE0EEENS1_38merge_mergepath_config_static_selectorELNS0_4arch9wavefront6targetE0EEEvSK_.uses_vcc, 0
	.set _ZN7rocprim17ROCPRIM_400000_NS6detail17trampoline_kernelINS0_14default_configENS1_38merge_sort_block_merge_config_selectorIhNS0_10empty_typeEEEZZNS1_27merge_sort_block_merge_implIS3_N6thrust23THRUST_200600_302600_NS6detail15normal_iteratorINS9_10device_ptrIhEEEEPS5_m11less_div_10IhEEE10hipError_tT0_T1_T2_jT3_P12ihipStream_tbPNSt15iterator_traitsISJ_E10value_typeEPNSP_ISK_E10value_typeEPSL_NS1_7vsmem_tEENKUlT_SJ_SK_SL_E_clIPhSE_SF_SF_EESI_SY_SJ_SK_SL_EUlSY_E0_NS1_11comp_targetILNS1_3genE0ELNS1_11target_archE4294967295ELNS1_3gpuE0ELNS1_3repE0EEENS1_38merge_mergepath_config_static_selectorELNS0_4arch9wavefront6targetE0EEEvSK_.uses_flat_scratch, 0
	.set _ZN7rocprim17ROCPRIM_400000_NS6detail17trampoline_kernelINS0_14default_configENS1_38merge_sort_block_merge_config_selectorIhNS0_10empty_typeEEEZZNS1_27merge_sort_block_merge_implIS3_N6thrust23THRUST_200600_302600_NS6detail15normal_iteratorINS9_10device_ptrIhEEEEPS5_m11less_div_10IhEEE10hipError_tT0_T1_T2_jT3_P12ihipStream_tbPNSt15iterator_traitsISJ_E10value_typeEPNSP_ISK_E10value_typeEPSL_NS1_7vsmem_tEENKUlT_SJ_SK_SL_E_clIPhSE_SF_SF_EESI_SY_SJ_SK_SL_EUlSY_E0_NS1_11comp_targetILNS1_3genE0ELNS1_11target_archE4294967295ELNS1_3gpuE0ELNS1_3repE0EEENS1_38merge_mergepath_config_static_selectorELNS0_4arch9wavefront6targetE0EEEvSK_.has_dyn_sized_stack, 0
	.set _ZN7rocprim17ROCPRIM_400000_NS6detail17trampoline_kernelINS0_14default_configENS1_38merge_sort_block_merge_config_selectorIhNS0_10empty_typeEEEZZNS1_27merge_sort_block_merge_implIS3_N6thrust23THRUST_200600_302600_NS6detail15normal_iteratorINS9_10device_ptrIhEEEEPS5_m11less_div_10IhEEE10hipError_tT0_T1_T2_jT3_P12ihipStream_tbPNSt15iterator_traitsISJ_E10value_typeEPNSP_ISK_E10value_typeEPSL_NS1_7vsmem_tEENKUlT_SJ_SK_SL_E_clIPhSE_SF_SF_EESI_SY_SJ_SK_SL_EUlSY_E0_NS1_11comp_targetILNS1_3genE0ELNS1_11target_archE4294967295ELNS1_3gpuE0ELNS1_3repE0EEENS1_38merge_mergepath_config_static_selectorELNS0_4arch9wavefront6targetE0EEEvSK_.has_recursion, 0
	.set _ZN7rocprim17ROCPRIM_400000_NS6detail17trampoline_kernelINS0_14default_configENS1_38merge_sort_block_merge_config_selectorIhNS0_10empty_typeEEEZZNS1_27merge_sort_block_merge_implIS3_N6thrust23THRUST_200600_302600_NS6detail15normal_iteratorINS9_10device_ptrIhEEEEPS5_m11less_div_10IhEEE10hipError_tT0_T1_T2_jT3_P12ihipStream_tbPNSt15iterator_traitsISJ_E10value_typeEPNSP_ISK_E10value_typeEPSL_NS1_7vsmem_tEENKUlT_SJ_SK_SL_E_clIPhSE_SF_SF_EESI_SY_SJ_SK_SL_EUlSY_E0_NS1_11comp_targetILNS1_3genE0ELNS1_11target_archE4294967295ELNS1_3gpuE0ELNS1_3repE0EEENS1_38merge_mergepath_config_static_selectorELNS0_4arch9wavefront6targetE0EEEvSK_.has_indirect_call, 0
	.section	.AMDGPU.csdata,"",@progbits
; Kernel info:
; codeLenInByte = 0
; TotalNumSgprs: 0
; NumVgprs: 0
; ScratchSize: 0
; MemoryBound: 0
; FloatMode: 240
; IeeeMode: 1
; LDSByteSize: 0 bytes/workgroup (compile time only)
; SGPRBlocks: 0
; VGPRBlocks: 0
; NumSGPRsForWavesPerEU: 1
; NumVGPRsForWavesPerEU: 1
; Occupancy: 16
; WaveLimiterHint : 0
; COMPUTE_PGM_RSRC2:SCRATCH_EN: 0
; COMPUTE_PGM_RSRC2:USER_SGPR: 6
; COMPUTE_PGM_RSRC2:TRAP_HANDLER: 0
; COMPUTE_PGM_RSRC2:TGID_X_EN: 1
; COMPUTE_PGM_RSRC2:TGID_Y_EN: 0
; COMPUTE_PGM_RSRC2:TGID_Z_EN: 0
; COMPUTE_PGM_RSRC2:TIDIG_COMP_CNT: 0
	.section	.text._ZN7rocprim17ROCPRIM_400000_NS6detail17trampoline_kernelINS0_14default_configENS1_38merge_sort_block_merge_config_selectorIhNS0_10empty_typeEEEZZNS1_27merge_sort_block_merge_implIS3_N6thrust23THRUST_200600_302600_NS6detail15normal_iteratorINS9_10device_ptrIhEEEEPS5_m11less_div_10IhEEE10hipError_tT0_T1_T2_jT3_P12ihipStream_tbPNSt15iterator_traitsISJ_E10value_typeEPNSP_ISK_E10value_typeEPSL_NS1_7vsmem_tEENKUlT_SJ_SK_SL_E_clIPhSE_SF_SF_EESI_SY_SJ_SK_SL_EUlSY_E0_NS1_11comp_targetILNS1_3genE10ELNS1_11target_archE1201ELNS1_3gpuE5ELNS1_3repE0EEENS1_38merge_mergepath_config_static_selectorELNS0_4arch9wavefront6targetE0EEEvSK_,"axG",@progbits,_ZN7rocprim17ROCPRIM_400000_NS6detail17trampoline_kernelINS0_14default_configENS1_38merge_sort_block_merge_config_selectorIhNS0_10empty_typeEEEZZNS1_27merge_sort_block_merge_implIS3_N6thrust23THRUST_200600_302600_NS6detail15normal_iteratorINS9_10device_ptrIhEEEEPS5_m11less_div_10IhEEE10hipError_tT0_T1_T2_jT3_P12ihipStream_tbPNSt15iterator_traitsISJ_E10value_typeEPNSP_ISK_E10value_typeEPSL_NS1_7vsmem_tEENKUlT_SJ_SK_SL_E_clIPhSE_SF_SF_EESI_SY_SJ_SK_SL_EUlSY_E0_NS1_11comp_targetILNS1_3genE10ELNS1_11target_archE1201ELNS1_3gpuE5ELNS1_3repE0EEENS1_38merge_mergepath_config_static_selectorELNS0_4arch9wavefront6targetE0EEEvSK_,comdat
	.protected	_ZN7rocprim17ROCPRIM_400000_NS6detail17trampoline_kernelINS0_14default_configENS1_38merge_sort_block_merge_config_selectorIhNS0_10empty_typeEEEZZNS1_27merge_sort_block_merge_implIS3_N6thrust23THRUST_200600_302600_NS6detail15normal_iteratorINS9_10device_ptrIhEEEEPS5_m11less_div_10IhEEE10hipError_tT0_T1_T2_jT3_P12ihipStream_tbPNSt15iterator_traitsISJ_E10value_typeEPNSP_ISK_E10value_typeEPSL_NS1_7vsmem_tEENKUlT_SJ_SK_SL_E_clIPhSE_SF_SF_EESI_SY_SJ_SK_SL_EUlSY_E0_NS1_11comp_targetILNS1_3genE10ELNS1_11target_archE1201ELNS1_3gpuE5ELNS1_3repE0EEENS1_38merge_mergepath_config_static_selectorELNS0_4arch9wavefront6targetE0EEEvSK_ ; -- Begin function _ZN7rocprim17ROCPRIM_400000_NS6detail17trampoline_kernelINS0_14default_configENS1_38merge_sort_block_merge_config_selectorIhNS0_10empty_typeEEEZZNS1_27merge_sort_block_merge_implIS3_N6thrust23THRUST_200600_302600_NS6detail15normal_iteratorINS9_10device_ptrIhEEEEPS5_m11less_div_10IhEEE10hipError_tT0_T1_T2_jT3_P12ihipStream_tbPNSt15iterator_traitsISJ_E10value_typeEPNSP_ISK_E10value_typeEPSL_NS1_7vsmem_tEENKUlT_SJ_SK_SL_E_clIPhSE_SF_SF_EESI_SY_SJ_SK_SL_EUlSY_E0_NS1_11comp_targetILNS1_3genE10ELNS1_11target_archE1201ELNS1_3gpuE5ELNS1_3repE0EEENS1_38merge_mergepath_config_static_selectorELNS0_4arch9wavefront6targetE0EEEvSK_
	.globl	_ZN7rocprim17ROCPRIM_400000_NS6detail17trampoline_kernelINS0_14default_configENS1_38merge_sort_block_merge_config_selectorIhNS0_10empty_typeEEEZZNS1_27merge_sort_block_merge_implIS3_N6thrust23THRUST_200600_302600_NS6detail15normal_iteratorINS9_10device_ptrIhEEEEPS5_m11less_div_10IhEEE10hipError_tT0_T1_T2_jT3_P12ihipStream_tbPNSt15iterator_traitsISJ_E10value_typeEPNSP_ISK_E10value_typeEPSL_NS1_7vsmem_tEENKUlT_SJ_SK_SL_E_clIPhSE_SF_SF_EESI_SY_SJ_SK_SL_EUlSY_E0_NS1_11comp_targetILNS1_3genE10ELNS1_11target_archE1201ELNS1_3gpuE5ELNS1_3repE0EEENS1_38merge_mergepath_config_static_selectorELNS0_4arch9wavefront6targetE0EEEvSK_
	.p2align	8
	.type	_ZN7rocprim17ROCPRIM_400000_NS6detail17trampoline_kernelINS0_14default_configENS1_38merge_sort_block_merge_config_selectorIhNS0_10empty_typeEEEZZNS1_27merge_sort_block_merge_implIS3_N6thrust23THRUST_200600_302600_NS6detail15normal_iteratorINS9_10device_ptrIhEEEEPS5_m11less_div_10IhEEE10hipError_tT0_T1_T2_jT3_P12ihipStream_tbPNSt15iterator_traitsISJ_E10value_typeEPNSP_ISK_E10value_typeEPSL_NS1_7vsmem_tEENKUlT_SJ_SK_SL_E_clIPhSE_SF_SF_EESI_SY_SJ_SK_SL_EUlSY_E0_NS1_11comp_targetILNS1_3genE10ELNS1_11target_archE1201ELNS1_3gpuE5ELNS1_3repE0EEENS1_38merge_mergepath_config_static_selectorELNS0_4arch9wavefront6targetE0EEEvSK_,@function
_ZN7rocprim17ROCPRIM_400000_NS6detail17trampoline_kernelINS0_14default_configENS1_38merge_sort_block_merge_config_selectorIhNS0_10empty_typeEEEZZNS1_27merge_sort_block_merge_implIS3_N6thrust23THRUST_200600_302600_NS6detail15normal_iteratorINS9_10device_ptrIhEEEEPS5_m11less_div_10IhEEE10hipError_tT0_T1_T2_jT3_P12ihipStream_tbPNSt15iterator_traitsISJ_E10value_typeEPNSP_ISK_E10value_typeEPSL_NS1_7vsmem_tEENKUlT_SJ_SK_SL_E_clIPhSE_SF_SF_EESI_SY_SJ_SK_SL_EUlSY_E0_NS1_11comp_targetILNS1_3genE10ELNS1_11target_archE1201ELNS1_3gpuE5ELNS1_3repE0EEENS1_38merge_mergepath_config_static_selectorELNS0_4arch9wavefront6targetE0EEEvSK_: ; @_ZN7rocprim17ROCPRIM_400000_NS6detail17trampoline_kernelINS0_14default_configENS1_38merge_sort_block_merge_config_selectorIhNS0_10empty_typeEEEZZNS1_27merge_sort_block_merge_implIS3_N6thrust23THRUST_200600_302600_NS6detail15normal_iteratorINS9_10device_ptrIhEEEEPS5_m11less_div_10IhEEE10hipError_tT0_T1_T2_jT3_P12ihipStream_tbPNSt15iterator_traitsISJ_E10value_typeEPNSP_ISK_E10value_typeEPSL_NS1_7vsmem_tEENKUlT_SJ_SK_SL_E_clIPhSE_SF_SF_EESI_SY_SJ_SK_SL_EUlSY_E0_NS1_11comp_targetILNS1_3genE10ELNS1_11target_archE1201ELNS1_3gpuE5ELNS1_3repE0EEENS1_38merge_mergepath_config_static_selectorELNS0_4arch9wavefront6targetE0EEEvSK_
; %bb.0:
	.section	.rodata,"a",@progbits
	.p2align	6, 0x0
	.amdhsa_kernel _ZN7rocprim17ROCPRIM_400000_NS6detail17trampoline_kernelINS0_14default_configENS1_38merge_sort_block_merge_config_selectorIhNS0_10empty_typeEEEZZNS1_27merge_sort_block_merge_implIS3_N6thrust23THRUST_200600_302600_NS6detail15normal_iteratorINS9_10device_ptrIhEEEEPS5_m11less_div_10IhEEE10hipError_tT0_T1_T2_jT3_P12ihipStream_tbPNSt15iterator_traitsISJ_E10value_typeEPNSP_ISK_E10value_typeEPSL_NS1_7vsmem_tEENKUlT_SJ_SK_SL_E_clIPhSE_SF_SF_EESI_SY_SJ_SK_SL_EUlSY_E0_NS1_11comp_targetILNS1_3genE10ELNS1_11target_archE1201ELNS1_3gpuE5ELNS1_3repE0EEENS1_38merge_mergepath_config_static_selectorELNS0_4arch9wavefront6targetE0EEEvSK_
		.amdhsa_group_segment_fixed_size 0
		.amdhsa_private_segment_fixed_size 0
		.amdhsa_kernarg_size 72
		.amdhsa_user_sgpr_count 6
		.amdhsa_user_sgpr_private_segment_buffer 1
		.amdhsa_user_sgpr_dispatch_ptr 0
		.amdhsa_user_sgpr_queue_ptr 0
		.amdhsa_user_sgpr_kernarg_segment_ptr 1
		.amdhsa_user_sgpr_dispatch_id 0
		.amdhsa_user_sgpr_flat_scratch_init 0
		.amdhsa_user_sgpr_private_segment_size 0
		.amdhsa_wavefront_size32 1
		.amdhsa_uses_dynamic_stack 0
		.amdhsa_system_sgpr_private_segment_wavefront_offset 0
		.amdhsa_system_sgpr_workgroup_id_x 1
		.amdhsa_system_sgpr_workgroup_id_y 0
		.amdhsa_system_sgpr_workgroup_id_z 0
		.amdhsa_system_sgpr_workgroup_info 0
		.amdhsa_system_vgpr_workitem_id 0
		.amdhsa_next_free_vgpr 1
		.amdhsa_next_free_sgpr 1
		.amdhsa_reserve_vcc 0
		.amdhsa_reserve_flat_scratch 0
		.amdhsa_float_round_mode_32 0
		.amdhsa_float_round_mode_16_64 0
		.amdhsa_float_denorm_mode_32 3
		.amdhsa_float_denorm_mode_16_64 3
		.amdhsa_dx10_clamp 1
		.amdhsa_ieee_mode 1
		.amdhsa_fp16_overflow 0
		.amdhsa_workgroup_processor_mode 1
		.amdhsa_memory_ordered 1
		.amdhsa_forward_progress 1
		.amdhsa_shared_vgpr_count 0
		.amdhsa_exception_fp_ieee_invalid_op 0
		.amdhsa_exception_fp_denorm_src 0
		.amdhsa_exception_fp_ieee_div_zero 0
		.amdhsa_exception_fp_ieee_overflow 0
		.amdhsa_exception_fp_ieee_underflow 0
		.amdhsa_exception_fp_ieee_inexact 0
		.amdhsa_exception_int_div_zero 0
	.end_amdhsa_kernel
	.section	.text._ZN7rocprim17ROCPRIM_400000_NS6detail17trampoline_kernelINS0_14default_configENS1_38merge_sort_block_merge_config_selectorIhNS0_10empty_typeEEEZZNS1_27merge_sort_block_merge_implIS3_N6thrust23THRUST_200600_302600_NS6detail15normal_iteratorINS9_10device_ptrIhEEEEPS5_m11less_div_10IhEEE10hipError_tT0_T1_T2_jT3_P12ihipStream_tbPNSt15iterator_traitsISJ_E10value_typeEPNSP_ISK_E10value_typeEPSL_NS1_7vsmem_tEENKUlT_SJ_SK_SL_E_clIPhSE_SF_SF_EESI_SY_SJ_SK_SL_EUlSY_E0_NS1_11comp_targetILNS1_3genE10ELNS1_11target_archE1201ELNS1_3gpuE5ELNS1_3repE0EEENS1_38merge_mergepath_config_static_selectorELNS0_4arch9wavefront6targetE0EEEvSK_,"axG",@progbits,_ZN7rocprim17ROCPRIM_400000_NS6detail17trampoline_kernelINS0_14default_configENS1_38merge_sort_block_merge_config_selectorIhNS0_10empty_typeEEEZZNS1_27merge_sort_block_merge_implIS3_N6thrust23THRUST_200600_302600_NS6detail15normal_iteratorINS9_10device_ptrIhEEEEPS5_m11less_div_10IhEEE10hipError_tT0_T1_T2_jT3_P12ihipStream_tbPNSt15iterator_traitsISJ_E10value_typeEPNSP_ISK_E10value_typeEPSL_NS1_7vsmem_tEENKUlT_SJ_SK_SL_E_clIPhSE_SF_SF_EESI_SY_SJ_SK_SL_EUlSY_E0_NS1_11comp_targetILNS1_3genE10ELNS1_11target_archE1201ELNS1_3gpuE5ELNS1_3repE0EEENS1_38merge_mergepath_config_static_selectorELNS0_4arch9wavefront6targetE0EEEvSK_,comdat
.Lfunc_end702:
	.size	_ZN7rocprim17ROCPRIM_400000_NS6detail17trampoline_kernelINS0_14default_configENS1_38merge_sort_block_merge_config_selectorIhNS0_10empty_typeEEEZZNS1_27merge_sort_block_merge_implIS3_N6thrust23THRUST_200600_302600_NS6detail15normal_iteratorINS9_10device_ptrIhEEEEPS5_m11less_div_10IhEEE10hipError_tT0_T1_T2_jT3_P12ihipStream_tbPNSt15iterator_traitsISJ_E10value_typeEPNSP_ISK_E10value_typeEPSL_NS1_7vsmem_tEENKUlT_SJ_SK_SL_E_clIPhSE_SF_SF_EESI_SY_SJ_SK_SL_EUlSY_E0_NS1_11comp_targetILNS1_3genE10ELNS1_11target_archE1201ELNS1_3gpuE5ELNS1_3repE0EEENS1_38merge_mergepath_config_static_selectorELNS0_4arch9wavefront6targetE0EEEvSK_, .Lfunc_end702-_ZN7rocprim17ROCPRIM_400000_NS6detail17trampoline_kernelINS0_14default_configENS1_38merge_sort_block_merge_config_selectorIhNS0_10empty_typeEEEZZNS1_27merge_sort_block_merge_implIS3_N6thrust23THRUST_200600_302600_NS6detail15normal_iteratorINS9_10device_ptrIhEEEEPS5_m11less_div_10IhEEE10hipError_tT0_T1_T2_jT3_P12ihipStream_tbPNSt15iterator_traitsISJ_E10value_typeEPNSP_ISK_E10value_typeEPSL_NS1_7vsmem_tEENKUlT_SJ_SK_SL_E_clIPhSE_SF_SF_EESI_SY_SJ_SK_SL_EUlSY_E0_NS1_11comp_targetILNS1_3genE10ELNS1_11target_archE1201ELNS1_3gpuE5ELNS1_3repE0EEENS1_38merge_mergepath_config_static_selectorELNS0_4arch9wavefront6targetE0EEEvSK_
                                        ; -- End function
	.set _ZN7rocprim17ROCPRIM_400000_NS6detail17trampoline_kernelINS0_14default_configENS1_38merge_sort_block_merge_config_selectorIhNS0_10empty_typeEEEZZNS1_27merge_sort_block_merge_implIS3_N6thrust23THRUST_200600_302600_NS6detail15normal_iteratorINS9_10device_ptrIhEEEEPS5_m11less_div_10IhEEE10hipError_tT0_T1_T2_jT3_P12ihipStream_tbPNSt15iterator_traitsISJ_E10value_typeEPNSP_ISK_E10value_typeEPSL_NS1_7vsmem_tEENKUlT_SJ_SK_SL_E_clIPhSE_SF_SF_EESI_SY_SJ_SK_SL_EUlSY_E0_NS1_11comp_targetILNS1_3genE10ELNS1_11target_archE1201ELNS1_3gpuE5ELNS1_3repE0EEENS1_38merge_mergepath_config_static_selectorELNS0_4arch9wavefront6targetE0EEEvSK_.num_vgpr, 0
	.set _ZN7rocprim17ROCPRIM_400000_NS6detail17trampoline_kernelINS0_14default_configENS1_38merge_sort_block_merge_config_selectorIhNS0_10empty_typeEEEZZNS1_27merge_sort_block_merge_implIS3_N6thrust23THRUST_200600_302600_NS6detail15normal_iteratorINS9_10device_ptrIhEEEEPS5_m11less_div_10IhEEE10hipError_tT0_T1_T2_jT3_P12ihipStream_tbPNSt15iterator_traitsISJ_E10value_typeEPNSP_ISK_E10value_typeEPSL_NS1_7vsmem_tEENKUlT_SJ_SK_SL_E_clIPhSE_SF_SF_EESI_SY_SJ_SK_SL_EUlSY_E0_NS1_11comp_targetILNS1_3genE10ELNS1_11target_archE1201ELNS1_3gpuE5ELNS1_3repE0EEENS1_38merge_mergepath_config_static_selectorELNS0_4arch9wavefront6targetE0EEEvSK_.num_agpr, 0
	.set _ZN7rocprim17ROCPRIM_400000_NS6detail17trampoline_kernelINS0_14default_configENS1_38merge_sort_block_merge_config_selectorIhNS0_10empty_typeEEEZZNS1_27merge_sort_block_merge_implIS3_N6thrust23THRUST_200600_302600_NS6detail15normal_iteratorINS9_10device_ptrIhEEEEPS5_m11less_div_10IhEEE10hipError_tT0_T1_T2_jT3_P12ihipStream_tbPNSt15iterator_traitsISJ_E10value_typeEPNSP_ISK_E10value_typeEPSL_NS1_7vsmem_tEENKUlT_SJ_SK_SL_E_clIPhSE_SF_SF_EESI_SY_SJ_SK_SL_EUlSY_E0_NS1_11comp_targetILNS1_3genE10ELNS1_11target_archE1201ELNS1_3gpuE5ELNS1_3repE0EEENS1_38merge_mergepath_config_static_selectorELNS0_4arch9wavefront6targetE0EEEvSK_.numbered_sgpr, 0
	.set _ZN7rocprim17ROCPRIM_400000_NS6detail17trampoline_kernelINS0_14default_configENS1_38merge_sort_block_merge_config_selectorIhNS0_10empty_typeEEEZZNS1_27merge_sort_block_merge_implIS3_N6thrust23THRUST_200600_302600_NS6detail15normal_iteratorINS9_10device_ptrIhEEEEPS5_m11less_div_10IhEEE10hipError_tT0_T1_T2_jT3_P12ihipStream_tbPNSt15iterator_traitsISJ_E10value_typeEPNSP_ISK_E10value_typeEPSL_NS1_7vsmem_tEENKUlT_SJ_SK_SL_E_clIPhSE_SF_SF_EESI_SY_SJ_SK_SL_EUlSY_E0_NS1_11comp_targetILNS1_3genE10ELNS1_11target_archE1201ELNS1_3gpuE5ELNS1_3repE0EEENS1_38merge_mergepath_config_static_selectorELNS0_4arch9wavefront6targetE0EEEvSK_.num_named_barrier, 0
	.set _ZN7rocprim17ROCPRIM_400000_NS6detail17trampoline_kernelINS0_14default_configENS1_38merge_sort_block_merge_config_selectorIhNS0_10empty_typeEEEZZNS1_27merge_sort_block_merge_implIS3_N6thrust23THRUST_200600_302600_NS6detail15normal_iteratorINS9_10device_ptrIhEEEEPS5_m11less_div_10IhEEE10hipError_tT0_T1_T2_jT3_P12ihipStream_tbPNSt15iterator_traitsISJ_E10value_typeEPNSP_ISK_E10value_typeEPSL_NS1_7vsmem_tEENKUlT_SJ_SK_SL_E_clIPhSE_SF_SF_EESI_SY_SJ_SK_SL_EUlSY_E0_NS1_11comp_targetILNS1_3genE10ELNS1_11target_archE1201ELNS1_3gpuE5ELNS1_3repE0EEENS1_38merge_mergepath_config_static_selectorELNS0_4arch9wavefront6targetE0EEEvSK_.private_seg_size, 0
	.set _ZN7rocprim17ROCPRIM_400000_NS6detail17trampoline_kernelINS0_14default_configENS1_38merge_sort_block_merge_config_selectorIhNS0_10empty_typeEEEZZNS1_27merge_sort_block_merge_implIS3_N6thrust23THRUST_200600_302600_NS6detail15normal_iteratorINS9_10device_ptrIhEEEEPS5_m11less_div_10IhEEE10hipError_tT0_T1_T2_jT3_P12ihipStream_tbPNSt15iterator_traitsISJ_E10value_typeEPNSP_ISK_E10value_typeEPSL_NS1_7vsmem_tEENKUlT_SJ_SK_SL_E_clIPhSE_SF_SF_EESI_SY_SJ_SK_SL_EUlSY_E0_NS1_11comp_targetILNS1_3genE10ELNS1_11target_archE1201ELNS1_3gpuE5ELNS1_3repE0EEENS1_38merge_mergepath_config_static_selectorELNS0_4arch9wavefront6targetE0EEEvSK_.uses_vcc, 0
	.set _ZN7rocprim17ROCPRIM_400000_NS6detail17trampoline_kernelINS0_14default_configENS1_38merge_sort_block_merge_config_selectorIhNS0_10empty_typeEEEZZNS1_27merge_sort_block_merge_implIS3_N6thrust23THRUST_200600_302600_NS6detail15normal_iteratorINS9_10device_ptrIhEEEEPS5_m11less_div_10IhEEE10hipError_tT0_T1_T2_jT3_P12ihipStream_tbPNSt15iterator_traitsISJ_E10value_typeEPNSP_ISK_E10value_typeEPSL_NS1_7vsmem_tEENKUlT_SJ_SK_SL_E_clIPhSE_SF_SF_EESI_SY_SJ_SK_SL_EUlSY_E0_NS1_11comp_targetILNS1_3genE10ELNS1_11target_archE1201ELNS1_3gpuE5ELNS1_3repE0EEENS1_38merge_mergepath_config_static_selectorELNS0_4arch9wavefront6targetE0EEEvSK_.uses_flat_scratch, 0
	.set _ZN7rocprim17ROCPRIM_400000_NS6detail17trampoline_kernelINS0_14default_configENS1_38merge_sort_block_merge_config_selectorIhNS0_10empty_typeEEEZZNS1_27merge_sort_block_merge_implIS3_N6thrust23THRUST_200600_302600_NS6detail15normal_iteratorINS9_10device_ptrIhEEEEPS5_m11less_div_10IhEEE10hipError_tT0_T1_T2_jT3_P12ihipStream_tbPNSt15iterator_traitsISJ_E10value_typeEPNSP_ISK_E10value_typeEPSL_NS1_7vsmem_tEENKUlT_SJ_SK_SL_E_clIPhSE_SF_SF_EESI_SY_SJ_SK_SL_EUlSY_E0_NS1_11comp_targetILNS1_3genE10ELNS1_11target_archE1201ELNS1_3gpuE5ELNS1_3repE0EEENS1_38merge_mergepath_config_static_selectorELNS0_4arch9wavefront6targetE0EEEvSK_.has_dyn_sized_stack, 0
	.set _ZN7rocprim17ROCPRIM_400000_NS6detail17trampoline_kernelINS0_14default_configENS1_38merge_sort_block_merge_config_selectorIhNS0_10empty_typeEEEZZNS1_27merge_sort_block_merge_implIS3_N6thrust23THRUST_200600_302600_NS6detail15normal_iteratorINS9_10device_ptrIhEEEEPS5_m11less_div_10IhEEE10hipError_tT0_T1_T2_jT3_P12ihipStream_tbPNSt15iterator_traitsISJ_E10value_typeEPNSP_ISK_E10value_typeEPSL_NS1_7vsmem_tEENKUlT_SJ_SK_SL_E_clIPhSE_SF_SF_EESI_SY_SJ_SK_SL_EUlSY_E0_NS1_11comp_targetILNS1_3genE10ELNS1_11target_archE1201ELNS1_3gpuE5ELNS1_3repE0EEENS1_38merge_mergepath_config_static_selectorELNS0_4arch9wavefront6targetE0EEEvSK_.has_recursion, 0
	.set _ZN7rocprim17ROCPRIM_400000_NS6detail17trampoline_kernelINS0_14default_configENS1_38merge_sort_block_merge_config_selectorIhNS0_10empty_typeEEEZZNS1_27merge_sort_block_merge_implIS3_N6thrust23THRUST_200600_302600_NS6detail15normal_iteratorINS9_10device_ptrIhEEEEPS5_m11less_div_10IhEEE10hipError_tT0_T1_T2_jT3_P12ihipStream_tbPNSt15iterator_traitsISJ_E10value_typeEPNSP_ISK_E10value_typeEPSL_NS1_7vsmem_tEENKUlT_SJ_SK_SL_E_clIPhSE_SF_SF_EESI_SY_SJ_SK_SL_EUlSY_E0_NS1_11comp_targetILNS1_3genE10ELNS1_11target_archE1201ELNS1_3gpuE5ELNS1_3repE0EEENS1_38merge_mergepath_config_static_selectorELNS0_4arch9wavefront6targetE0EEEvSK_.has_indirect_call, 0
	.section	.AMDGPU.csdata,"",@progbits
; Kernel info:
; codeLenInByte = 0
; TotalNumSgprs: 0
; NumVgprs: 0
; ScratchSize: 0
; MemoryBound: 0
; FloatMode: 240
; IeeeMode: 1
; LDSByteSize: 0 bytes/workgroup (compile time only)
; SGPRBlocks: 0
; VGPRBlocks: 0
; NumSGPRsForWavesPerEU: 1
; NumVGPRsForWavesPerEU: 1
; Occupancy: 16
; WaveLimiterHint : 0
; COMPUTE_PGM_RSRC2:SCRATCH_EN: 0
; COMPUTE_PGM_RSRC2:USER_SGPR: 6
; COMPUTE_PGM_RSRC2:TRAP_HANDLER: 0
; COMPUTE_PGM_RSRC2:TGID_X_EN: 1
; COMPUTE_PGM_RSRC2:TGID_Y_EN: 0
; COMPUTE_PGM_RSRC2:TGID_Z_EN: 0
; COMPUTE_PGM_RSRC2:TIDIG_COMP_CNT: 0
	.section	.text._ZN7rocprim17ROCPRIM_400000_NS6detail17trampoline_kernelINS0_14default_configENS1_38merge_sort_block_merge_config_selectorIhNS0_10empty_typeEEEZZNS1_27merge_sort_block_merge_implIS3_N6thrust23THRUST_200600_302600_NS6detail15normal_iteratorINS9_10device_ptrIhEEEEPS5_m11less_div_10IhEEE10hipError_tT0_T1_T2_jT3_P12ihipStream_tbPNSt15iterator_traitsISJ_E10value_typeEPNSP_ISK_E10value_typeEPSL_NS1_7vsmem_tEENKUlT_SJ_SK_SL_E_clIPhSE_SF_SF_EESI_SY_SJ_SK_SL_EUlSY_E0_NS1_11comp_targetILNS1_3genE5ELNS1_11target_archE942ELNS1_3gpuE9ELNS1_3repE0EEENS1_38merge_mergepath_config_static_selectorELNS0_4arch9wavefront6targetE0EEEvSK_,"axG",@progbits,_ZN7rocprim17ROCPRIM_400000_NS6detail17trampoline_kernelINS0_14default_configENS1_38merge_sort_block_merge_config_selectorIhNS0_10empty_typeEEEZZNS1_27merge_sort_block_merge_implIS3_N6thrust23THRUST_200600_302600_NS6detail15normal_iteratorINS9_10device_ptrIhEEEEPS5_m11less_div_10IhEEE10hipError_tT0_T1_T2_jT3_P12ihipStream_tbPNSt15iterator_traitsISJ_E10value_typeEPNSP_ISK_E10value_typeEPSL_NS1_7vsmem_tEENKUlT_SJ_SK_SL_E_clIPhSE_SF_SF_EESI_SY_SJ_SK_SL_EUlSY_E0_NS1_11comp_targetILNS1_3genE5ELNS1_11target_archE942ELNS1_3gpuE9ELNS1_3repE0EEENS1_38merge_mergepath_config_static_selectorELNS0_4arch9wavefront6targetE0EEEvSK_,comdat
	.protected	_ZN7rocprim17ROCPRIM_400000_NS6detail17trampoline_kernelINS0_14default_configENS1_38merge_sort_block_merge_config_selectorIhNS0_10empty_typeEEEZZNS1_27merge_sort_block_merge_implIS3_N6thrust23THRUST_200600_302600_NS6detail15normal_iteratorINS9_10device_ptrIhEEEEPS5_m11less_div_10IhEEE10hipError_tT0_T1_T2_jT3_P12ihipStream_tbPNSt15iterator_traitsISJ_E10value_typeEPNSP_ISK_E10value_typeEPSL_NS1_7vsmem_tEENKUlT_SJ_SK_SL_E_clIPhSE_SF_SF_EESI_SY_SJ_SK_SL_EUlSY_E0_NS1_11comp_targetILNS1_3genE5ELNS1_11target_archE942ELNS1_3gpuE9ELNS1_3repE0EEENS1_38merge_mergepath_config_static_selectorELNS0_4arch9wavefront6targetE0EEEvSK_ ; -- Begin function _ZN7rocprim17ROCPRIM_400000_NS6detail17trampoline_kernelINS0_14default_configENS1_38merge_sort_block_merge_config_selectorIhNS0_10empty_typeEEEZZNS1_27merge_sort_block_merge_implIS3_N6thrust23THRUST_200600_302600_NS6detail15normal_iteratorINS9_10device_ptrIhEEEEPS5_m11less_div_10IhEEE10hipError_tT0_T1_T2_jT3_P12ihipStream_tbPNSt15iterator_traitsISJ_E10value_typeEPNSP_ISK_E10value_typeEPSL_NS1_7vsmem_tEENKUlT_SJ_SK_SL_E_clIPhSE_SF_SF_EESI_SY_SJ_SK_SL_EUlSY_E0_NS1_11comp_targetILNS1_3genE5ELNS1_11target_archE942ELNS1_3gpuE9ELNS1_3repE0EEENS1_38merge_mergepath_config_static_selectorELNS0_4arch9wavefront6targetE0EEEvSK_
	.globl	_ZN7rocprim17ROCPRIM_400000_NS6detail17trampoline_kernelINS0_14default_configENS1_38merge_sort_block_merge_config_selectorIhNS0_10empty_typeEEEZZNS1_27merge_sort_block_merge_implIS3_N6thrust23THRUST_200600_302600_NS6detail15normal_iteratorINS9_10device_ptrIhEEEEPS5_m11less_div_10IhEEE10hipError_tT0_T1_T2_jT3_P12ihipStream_tbPNSt15iterator_traitsISJ_E10value_typeEPNSP_ISK_E10value_typeEPSL_NS1_7vsmem_tEENKUlT_SJ_SK_SL_E_clIPhSE_SF_SF_EESI_SY_SJ_SK_SL_EUlSY_E0_NS1_11comp_targetILNS1_3genE5ELNS1_11target_archE942ELNS1_3gpuE9ELNS1_3repE0EEENS1_38merge_mergepath_config_static_selectorELNS0_4arch9wavefront6targetE0EEEvSK_
	.p2align	8
	.type	_ZN7rocprim17ROCPRIM_400000_NS6detail17trampoline_kernelINS0_14default_configENS1_38merge_sort_block_merge_config_selectorIhNS0_10empty_typeEEEZZNS1_27merge_sort_block_merge_implIS3_N6thrust23THRUST_200600_302600_NS6detail15normal_iteratorINS9_10device_ptrIhEEEEPS5_m11less_div_10IhEEE10hipError_tT0_T1_T2_jT3_P12ihipStream_tbPNSt15iterator_traitsISJ_E10value_typeEPNSP_ISK_E10value_typeEPSL_NS1_7vsmem_tEENKUlT_SJ_SK_SL_E_clIPhSE_SF_SF_EESI_SY_SJ_SK_SL_EUlSY_E0_NS1_11comp_targetILNS1_3genE5ELNS1_11target_archE942ELNS1_3gpuE9ELNS1_3repE0EEENS1_38merge_mergepath_config_static_selectorELNS0_4arch9wavefront6targetE0EEEvSK_,@function
_ZN7rocprim17ROCPRIM_400000_NS6detail17trampoline_kernelINS0_14default_configENS1_38merge_sort_block_merge_config_selectorIhNS0_10empty_typeEEEZZNS1_27merge_sort_block_merge_implIS3_N6thrust23THRUST_200600_302600_NS6detail15normal_iteratorINS9_10device_ptrIhEEEEPS5_m11less_div_10IhEEE10hipError_tT0_T1_T2_jT3_P12ihipStream_tbPNSt15iterator_traitsISJ_E10value_typeEPNSP_ISK_E10value_typeEPSL_NS1_7vsmem_tEENKUlT_SJ_SK_SL_E_clIPhSE_SF_SF_EESI_SY_SJ_SK_SL_EUlSY_E0_NS1_11comp_targetILNS1_3genE5ELNS1_11target_archE942ELNS1_3gpuE9ELNS1_3repE0EEENS1_38merge_mergepath_config_static_selectorELNS0_4arch9wavefront6targetE0EEEvSK_: ; @_ZN7rocprim17ROCPRIM_400000_NS6detail17trampoline_kernelINS0_14default_configENS1_38merge_sort_block_merge_config_selectorIhNS0_10empty_typeEEEZZNS1_27merge_sort_block_merge_implIS3_N6thrust23THRUST_200600_302600_NS6detail15normal_iteratorINS9_10device_ptrIhEEEEPS5_m11less_div_10IhEEE10hipError_tT0_T1_T2_jT3_P12ihipStream_tbPNSt15iterator_traitsISJ_E10value_typeEPNSP_ISK_E10value_typeEPSL_NS1_7vsmem_tEENKUlT_SJ_SK_SL_E_clIPhSE_SF_SF_EESI_SY_SJ_SK_SL_EUlSY_E0_NS1_11comp_targetILNS1_3genE5ELNS1_11target_archE942ELNS1_3gpuE9ELNS1_3repE0EEENS1_38merge_mergepath_config_static_selectorELNS0_4arch9wavefront6targetE0EEEvSK_
; %bb.0:
	.section	.rodata,"a",@progbits
	.p2align	6, 0x0
	.amdhsa_kernel _ZN7rocprim17ROCPRIM_400000_NS6detail17trampoline_kernelINS0_14default_configENS1_38merge_sort_block_merge_config_selectorIhNS0_10empty_typeEEEZZNS1_27merge_sort_block_merge_implIS3_N6thrust23THRUST_200600_302600_NS6detail15normal_iteratorINS9_10device_ptrIhEEEEPS5_m11less_div_10IhEEE10hipError_tT0_T1_T2_jT3_P12ihipStream_tbPNSt15iterator_traitsISJ_E10value_typeEPNSP_ISK_E10value_typeEPSL_NS1_7vsmem_tEENKUlT_SJ_SK_SL_E_clIPhSE_SF_SF_EESI_SY_SJ_SK_SL_EUlSY_E0_NS1_11comp_targetILNS1_3genE5ELNS1_11target_archE942ELNS1_3gpuE9ELNS1_3repE0EEENS1_38merge_mergepath_config_static_selectorELNS0_4arch9wavefront6targetE0EEEvSK_
		.amdhsa_group_segment_fixed_size 0
		.amdhsa_private_segment_fixed_size 0
		.amdhsa_kernarg_size 72
		.amdhsa_user_sgpr_count 6
		.amdhsa_user_sgpr_private_segment_buffer 1
		.amdhsa_user_sgpr_dispatch_ptr 0
		.amdhsa_user_sgpr_queue_ptr 0
		.amdhsa_user_sgpr_kernarg_segment_ptr 1
		.amdhsa_user_sgpr_dispatch_id 0
		.amdhsa_user_sgpr_flat_scratch_init 0
		.amdhsa_user_sgpr_private_segment_size 0
		.amdhsa_wavefront_size32 1
		.amdhsa_uses_dynamic_stack 0
		.amdhsa_system_sgpr_private_segment_wavefront_offset 0
		.amdhsa_system_sgpr_workgroup_id_x 1
		.amdhsa_system_sgpr_workgroup_id_y 0
		.amdhsa_system_sgpr_workgroup_id_z 0
		.amdhsa_system_sgpr_workgroup_info 0
		.amdhsa_system_vgpr_workitem_id 0
		.amdhsa_next_free_vgpr 1
		.amdhsa_next_free_sgpr 1
		.amdhsa_reserve_vcc 0
		.amdhsa_reserve_flat_scratch 0
		.amdhsa_float_round_mode_32 0
		.amdhsa_float_round_mode_16_64 0
		.amdhsa_float_denorm_mode_32 3
		.amdhsa_float_denorm_mode_16_64 3
		.amdhsa_dx10_clamp 1
		.amdhsa_ieee_mode 1
		.amdhsa_fp16_overflow 0
		.amdhsa_workgroup_processor_mode 1
		.amdhsa_memory_ordered 1
		.amdhsa_forward_progress 1
		.amdhsa_shared_vgpr_count 0
		.amdhsa_exception_fp_ieee_invalid_op 0
		.amdhsa_exception_fp_denorm_src 0
		.amdhsa_exception_fp_ieee_div_zero 0
		.amdhsa_exception_fp_ieee_overflow 0
		.amdhsa_exception_fp_ieee_underflow 0
		.amdhsa_exception_fp_ieee_inexact 0
		.amdhsa_exception_int_div_zero 0
	.end_amdhsa_kernel
	.section	.text._ZN7rocprim17ROCPRIM_400000_NS6detail17trampoline_kernelINS0_14default_configENS1_38merge_sort_block_merge_config_selectorIhNS0_10empty_typeEEEZZNS1_27merge_sort_block_merge_implIS3_N6thrust23THRUST_200600_302600_NS6detail15normal_iteratorINS9_10device_ptrIhEEEEPS5_m11less_div_10IhEEE10hipError_tT0_T1_T2_jT3_P12ihipStream_tbPNSt15iterator_traitsISJ_E10value_typeEPNSP_ISK_E10value_typeEPSL_NS1_7vsmem_tEENKUlT_SJ_SK_SL_E_clIPhSE_SF_SF_EESI_SY_SJ_SK_SL_EUlSY_E0_NS1_11comp_targetILNS1_3genE5ELNS1_11target_archE942ELNS1_3gpuE9ELNS1_3repE0EEENS1_38merge_mergepath_config_static_selectorELNS0_4arch9wavefront6targetE0EEEvSK_,"axG",@progbits,_ZN7rocprim17ROCPRIM_400000_NS6detail17trampoline_kernelINS0_14default_configENS1_38merge_sort_block_merge_config_selectorIhNS0_10empty_typeEEEZZNS1_27merge_sort_block_merge_implIS3_N6thrust23THRUST_200600_302600_NS6detail15normal_iteratorINS9_10device_ptrIhEEEEPS5_m11less_div_10IhEEE10hipError_tT0_T1_T2_jT3_P12ihipStream_tbPNSt15iterator_traitsISJ_E10value_typeEPNSP_ISK_E10value_typeEPSL_NS1_7vsmem_tEENKUlT_SJ_SK_SL_E_clIPhSE_SF_SF_EESI_SY_SJ_SK_SL_EUlSY_E0_NS1_11comp_targetILNS1_3genE5ELNS1_11target_archE942ELNS1_3gpuE9ELNS1_3repE0EEENS1_38merge_mergepath_config_static_selectorELNS0_4arch9wavefront6targetE0EEEvSK_,comdat
.Lfunc_end703:
	.size	_ZN7rocprim17ROCPRIM_400000_NS6detail17trampoline_kernelINS0_14default_configENS1_38merge_sort_block_merge_config_selectorIhNS0_10empty_typeEEEZZNS1_27merge_sort_block_merge_implIS3_N6thrust23THRUST_200600_302600_NS6detail15normal_iteratorINS9_10device_ptrIhEEEEPS5_m11less_div_10IhEEE10hipError_tT0_T1_T2_jT3_P12ihipStream_tbPNSt15iterator_traitsISJ_E10value_typeEPNSP_ISK_E10value_typeEPSL_NS1_7vsmem_tEENKUlT_SJ_SK_SL_E_clIPhSE_SF_SF_EESI_SY_SJ_SK_SL_EUlSY_E0_NS1_11comp_targetILNS1_3genE5ELNS1_11target_archE942ELNS1_3gpuE9ELNS1_3repE0EEENS1_38merge_mergepath_config_static_selectorELNS0_4arch9wavefront6targetE0EEEvSK_, .Lfunc_end703-_ZN7rocprim17ROCPRIM_400000_NS6detail17trampoline_kernelINS0_14default_configENS1_38merge_sort_block_merge_config_selectorIhNS0_10empty_typeEEEZZNS1_27merge_sort_block_merge_implIS3_N6thrust23THRUST_200600_302600_NS6detail15normal_iteratorINS9_10device_ptrIhEEEEPS5_m11less_div_10IhEEE10hipError_tT0_T1_T2_jT3_P12ihipStream_tbPNSt15iterator_traitsISJ_E10value_typeEPNSP_ISK_E10value_typeEPSL_NS1_7vsmem_tEENKUlT_SJ_SK_SL_E_clIPhSE_SF_SF_EESI_SY_SJ_SK_SL_EUlSY_E0_NS1_11comp_targetILNS1_3genE5ELNS1_11target_archE942ELNS1_3gpuE9ELNS1_3repE0EEENS1_38merge_mergepath_config_static_selectorELNS0_4arch9wavefront6targetE0EEEvSK_
                                        ; -- End function
	.set _ZN7rocprim17ROCPRIM_400000_NS6detail17trampoline_kernelINS0_14default_configENS1_38merge_sort_block_merge_config_selectorIhNS0_10empty_typeEEEZZNS1_27merge_sort_block_merge_implIS3_N6thrust23THRUST_200600_302600_NS6detail15normal_iteratorINS9_10device_ptrIhEEEEPS5_m11less_div_10IhEEE10hipError_tT0_T1_T2_jT3_P12ihipStream_tbPNSt15iterator_traitsISJ_E10value_typeEPNSP_ISK_E10value_typeEPSL_NS1_7vsmem_tEENKUlT_SJ_SK_SL_E_clIPhSE_SF_SF_EESI_SY_SJ_SK_SL_EUlSY_E0_NS1_11comp_targetILNS1_3genE5ELNS1_11target_archE942ELNS1_3gpuE9ELNS1_3repE0EEENS1_38merge_mergepath_config_static_selectorELNS0_4arch9wavefront6targetE0EEEvSK_.num_vgpr, 0
	.set _ZN7rocprim17ROCPRIM_400000_NS6detail17trampoline_kernelINS0_14default_configENS1_38merge_sort_block_merge_config_selectorIhNS0_10empty_typeEEEZZNS1_27merge_sort_block_merge_implIS3_N6thrust23THRUST_200600_302600_NS6detail15normal_iteratorINS9_10device_ptrIhEEEEPS5_m11less_div_10IhEEE10hipError_tT0_T1_T2_jT3_P12ihipStream_tbPNSt15iterator_traitsISJ_E10value_typeEPNSP_ISK_E10value_typeEPSL_NS1_7vsmem_tEENKUlT_SJ_SK_SL_E_clIPhSE_SF_SF_EESI_SY_SJ_SK_SL_EUlSY_E0_NS1_11comp_targetILNS1_3genE5ELNS1_11target_archE942ELNS1_3gpuE9ELNS1_3repE0EEENS1_38merge_mergepath_config_static_selectorELNS0_4arch9wavefront6targetE0EEEvSK_.num_agpr, 0
	.set _ZN7rocprim17ROCPRIM_400000_NS6detail17trampoline_kernelINS0_14default_configENS1_38merge_sort_block_merge_config_selectorIhNS0_10empty_typeEEEZZNS1_27merge_sort_block_merge_implIS3_N6thrust23THRUST_200600_302600_NS6detail15normal_iteratorINS9_10device_ptrIhEEEEPS5_m11less_div_10IhEEE10hipError_tT0_T1_T2_jT3_P12ihipStream_tbPNSt15iterator_traitsISJ_E10value_typeEPNSP_ISK_E10value_typeEPSL_NS1_7vsmem_tEENKUlT_SJ_SK_SL_E_clIPhSE_SF_SF_EESI_SY_SJ_SK_SL_EUlSY_E0_NS1_11comp_targetILNS1_3genE5ELNS1_11target_archE942ELNS1_3gpuE9ELNS1_3repE0EEENS1_38merge_mergepath_config_static_selectorELNS0_4arch9wavefront6targetE0EEEvSK_.numbered_sgpr, 0
	.set _ZN7rocprim17ROCPRIM_400000_NS6detail17trampoline_kernelINS0_14default_configENS1_38merge_sort_block_merge_config_selectorIhNS0_10empty_typeEEEZZNS1_27merge_sort_block_merge_implIS3_N6thrust23THRUST_200600_302600_NS6detail15normal_iteratorINS9_10device_ptrIhEEEEPS5_m11less_div_10IhEEE10hipError_tT0_T1_T2_jT3_P12ihipStream_tbPNSt15iterator_traitsISJ_E10value_typeEPNSP_ISK_E10value_typeEPSL_NS1_7vsmem_tEENKUlT_SJ_SK_SL_E_clIPhSE_SF_SF_EESI_SY_SJ_SK_SL_EUlSY_E0_NS1_11comp_targetILNS1_3genE5ELNS1_11target_archE942ELNS1_3gpuE9ELNS1_3repE0EEENS1_38merge_mergepath_config_static_selectorELNS0_4arch9wavefront6targetE0EEEvSK_.num_named_barrier, 0
	.set _ZN7rocprim17ROCPRIM_400000_NS6detail17trampoline_kernelINS0_14default_configENS1_38merge_sort_block_merge_config_selectorIhNS0_10empty_typeEEEZZNS1_27merge_sort_block_merge_implIS3_N6thrust23THRUST_200600_302600_NS6detail15normal_iteratorINS9_10device_ptrIhEEEEPS5_m11less_div_10IhEEE10hipError_tT0_T1_T2_jT3_P12ihipStream_tbPNSt15iterator_traitsISJ_E10value_typeEPNSP_ISK_E10value_typeEPSL_NS1_7vsmem_tEENKUlT_SJ_SK_SL_E_clIPhSE_SF_SF_EESI_SY_SJ_SK_SL_EUlSY_E0_NS1_11comp_targetILNS1_3genE5ELNS1_11target_archE942ELNS1_3gpuE9ELNS1_3repE0EEENS1_38merge_mergepath_config_static_selectorELNS0_4arch9wavefront6targetE0EEEvSK_.private_seg_size, 0
	.set _ZN7rocprim17ROCPRIM_400000_NS6detail17trampoline_kernelINS0_14default_configENS1_38merge_sort_block_merge_config_selectorIhNS0_10empty_typeEEEZZNS1_27merge_sort_block_merge_implIS3_N6thrust23THRUST_200600_302600_NS6detail15normal_iteratorINS9_10device_ptrIhEEEEPS5_m11less_div_10IhEEE10hipError_tT0_T1_T2_jT3_P12ihipStream_tbPNSt15iterator_traitsISJ_E10value_typeEPNSP_ISK_E10value_typeEPSL_NS1_7vsmem_tEENKUlT_SJ_SK_SL_E_clIPhSE_SF_SF_EESI_SY_SJ_SK_SL_EUlSY_E0_NS1_11comp_targetILNS1_3genE5ELNS1_11target_archE942ELNS1_3gpuE9ELNS1_3repE0EEENS1_38merge_mergepath_config_static_selectorELNS0_4arch9wavefront6targetE0EEEvSK_.uses_vcc, 0
	.set _ZN7rocprim17ROCPRIM_400000_NS6detail17trampoline_kernelINS0_14default_configENS1_38merge_sort_block_merge_config_selectorIhNS0_10empty_typeEEEZZNS1_27merge_sort_block_merge_implIS3_N6thrust23THRUST_200600_302600_NS6detail15normal_iteratorINS9_10device_ptrIhEEEEPS5_m11less_div_10IhEEE10hipError_tT0_T1_T2_jT3_P12ihipStream_tbPNSt15iterator_traitsISJ_E10value_typeEPNSP_ISK_E10value_typeEPSL_NS1_7vsmem_tEENKUlT_SJ_SK_SL_E_clIPhSE_SF_SF_EESI_SY_SJ_SK_SL_EUlSY_E0_NS1_11comp_targetILNS1_3genE5ELNS1_11target_archE942ELNS1_3gpuE9ELNS1_3repE0EEENS1_38merge_mergepath_config_static_selectorELNS0_4arch9wavefront6targetE0EEEvSK_.uses_flat_scratch, 0
	.set _ZN7rocprim17ROCPRIM_400000_NS6detail17trampoline_kernelINS0_14default_configENS1_38merge_sort_block_merge_config_selectorIhNS0_10empty_typeEEEZZNS1_27merge_sort_block_merge_implIS3_N6thrust23THRUST_200600_302600_NS6detail15normal_iteratorINS9_10device_ptrIhEEEEPS5_m11less_div_10IhEEE10hipError_tT0_T1_T2_jT3_P12ihipStream_tbPNSt15iterator_traitsISJ_E10value_typeEPNSP_ISK_E10value_typeEPSL_NS1_7vsmem_tEENKUlT_SJ_SK_SL_E_clIPhSE_SF_SF_EESI_SY_SJ_SK_SL_EUlSY_E0_NS1_11comp_targetILNS1_3genE5ELNS1_11target_archE942ELNS1_3gpuE9ELNS1_3repE0EEENS1_38merge_mergepath_config_static_selectorELNS0_4arch9wavefront6targetE0EEEvSK_.has_dyn_sized_stack, 0
	.set _ZN7rocprim17ROCPRIM_400000_NS6detail17trampoline_kernelINS0_14default_configENS1_38merge_sort_block_merge_config_selectorIhNS0_10empty_typeEEEZZNS1_27merge_sort_block_merge_implIS3_N6thrust23THRUST_200600_302600_NS6detail15normal_iteratorINS9_10device_ptrIhEEEEPS5_m11less_div_10IhEEE10hipError_tT0_T1_T2_jT3_P12ihipStream_tbPNSt15iterator_traitsISJ_E10value_typeEPNSP_ISK_E10value_typeEPSL_NS1_7vsmem_tEENKUlT_SJ_SK_SL_E_clIPhSE_SF_SF_EESI_SY_SJ_SK_SL_EUlSY_E0_NS1_11comp_targetILNS1_3genE5ELNS1_11target_archE942ELNS1_3gpuE9ELNS1_3repE0EEENS1_38merge_mergepath_config_static_selectorELNS0_4arch9wavefront6targetE0EEEvSK_.has_recursion, 0
	.set _ZN7rocprim17ROCPRIM_400000_NS6detail17trampoline_kernelINS0_14default_configENS1_38merge_sort_block_merge_config_selectorIhNS0_10empty_typeEEEZZNS1_27merge_sort_block_merge_implIS3_N6thrust23THRUST_200600_302600_NS6detail15normal_iteratorINS9_10device_ptrIhEEEEPS5_m11less_div_10IhEEE10hipError_tT0_T1_T2_jT3_P12ihipStream_tbPNSt15iterator_traitsISJ_E10value_typeEPNSP_ISK_E10value_typeEPSL_NS1_7vsmem_tEENKUlT_SJ_SK_SL_E_clIPhSE_SF_SF_EESI_SY_SJ_SK_SL_EUlSY_E0_NS1_11comp_targetILNS1_3genE5ELNS1_11target_archE942ELNS1_3gpuE9ELNS1_3repE0EEENS1_38merge_mergepath_config_static_selectorELNS0_4arch9wavefront6targetE0EEEvSK_.has_indirect_call, 0
	.section	.AMDGPU.csdata,"",@progbits
; Kernel info:
; codeLenInByte = 0
; TotalNumSgprs: 0
; NumVgprs: 0
; ScratchSize: 0
; MemoryBound: 0
; FloatMode: 240
; IeeeMode: 1
; LDSByteSize: 0 bytes/workgroup (compile time only)
; SGPRBlocks: 0
; VGPRBlocks: 0
; NumSGPRsForWavesPerEU: 1
; NumVGPRsForWavesPerEU: 1
; Occupancy: 16
; WaveLimiterHint : 0
; COMPUTE_PGM_RSRC2:SCRATCH_EN: 0
; COMPUTE_PGM_RSRC2:USER_SGPR: 6
; COMPUTE_PGM_RSRC2:TRAP_HANDLER: 0
; COMPUTE_PGM_RSRC2:TGID_X_EN: 1
; COMPUTE_PGM_RSRC2:TGID_Y_EN: 0
; COMPUTE_PGM_RSRC2:TGID_Z_EN: 0
; COMPUTE_PGM_RSRC2:TIDIG_COMP_CNT: 0
	.section	.text._ZN7rocprim17ROCPRIM_400000_NS6detail17trampoline_kernelINS0_14default_configENS1_38merge_sort_block_merge_config_selectorIhNS0_10empty_typeEEEZZNS1_27merge_sort_block_merge_implIS3_N6thrust23THRUST_200600_302600_NS6detail15normal_iteratorINS9_10device_ptrIhEEEEPS5_m11less_div_10IhEEE10hipError_tT0_T1_T2_jT3_P12ihipStream_tbPNSt15iterator_traitsISJ_E10value_typeEPNSP_ISK_E10value_typeEPSL_NS1_7vsmem_tEENKUlT_SJ_SK_SL_E_clIPhSE_SF_SF_EESI_SY_SJ_SK_SL_EUlSY_E0_NS1_11comp_targetILNS1_3genE4ELNS1_11target_archE910ELNS1_3gpuE8ELNS1_3repE0EEENS1_38merge_mergepath_config_static_selectorELNS0_4arch9wavefront6targetE0EEEvSK_,"axG",@progbits,_ZN7rocprim17ROCPRIM_400000_NS6detail17trampoline_kernelINS0_14default_configENS1_38merge_sort_block_merge_config_selectorIhNS0_10empty_typeEEEZZNS1_27merge_sort_block_merge_implIS3_N6thrust23THRUST_200600_302600_NS6detail15normal_iteratorINS9_10device_ptrIhEEEEPS5_m11less_div_10IhEEE10hipError_tT0_T1_T2_jT3_P12ihipStream_tbPNSt15iterator_traitsISJ_E10value_typeEPNSP_ISK_E10value_typeEPSL_NS1_7vsmem_tEENKUlT_SJ_SK_SL_E_clIPhSE_SF_SF_EESI_SY_SJ_SK_SL_EUlSY_E0_NS1_11comp_targetILNS1_3genE4ELNS1_11target_archE910ELNS1_3gpuE8ELNS1_3repE0EEENS1_38merge_mergepath_config_static_selectorELNS0_4arch9wavefront6targetE0EEEvSK_,comdat
	.protected	_ZN7rocprim17ROCPRIM_400000_NS6detail17trampoline_kernelINS0_14default_configENS1_38merge_sort_block_merge_config_selectorIhNS0_10empty_typeEEEZZNS1_27merge_sort_block_merge_implIS3_N6thrust23THRUST_200600_302600_NS6detail15normal_iteratorINS9_10device_ptrIhEEEEPS5_m11less_div_10IhEEE10hipError_tT0_T1_T2_jT3_P12ihipStream_tbPNSt15iterator_traitsISJ_E10value_typeEPNSP_ISK_E10value_typeEPSL_NS1_7vsmem_tEENKUlT_SJ_SK_SL_E_clIPhSE_SF_SF_EESI_SY_SJ_SK_SL_EUlSY_E0_NS1_11comp_targetILNS1_3genE4ELNS1_11target_archE910ELNS1_3gpuE8ELNS1_3repE0EEENS1_38merge_mergepath_config_static_selectorELNS0_4arch9wavefront6targetE0EEEvSK_ ; -- Begin function _ZN7rocprim17ROCPRIM_400000_NS6detail17trampoline_kernelINS0_14default_configENS1_38merge_sort_block_merge_config_selectorIhNS0_10empty_typeEEEZZNS1_27merge_sort_block_merge_implIS3_N6thrust23THRUST_200600_302600_NS6detail15normal_iteratorINS9_10device_ptrIhEEEEPS5_m11less_div_10IhEEE10hipError_tT0_T1_T2_jT3_P12ihipStream_tbPNSt15iterator_traitsISJ_E10value_typeEPNSP_ISK_E10value_typeEPSL_NS1_7vsmem_tEENKUlT_SJ_SK_SL_E_clIPhSE_SF_SF_EESI_SY_SJ_SK_SL_EUlSY_E0_NS1_11comp_targetILNS1_3genE4ELNS1_11target_archE910ELNS1_3gpuE8ELNS1_3repE0EEENS1_38merge_mergepath_config_static_selectorELNS0_4arch9wavefront6targetE0EEEvSK_
	.globl	_ZN7rocprim17ROCPRIM_400000_NS6detail17trampoline_kernelINS0_14default_configENS1_38merge_sort_block_merge_config_selectorIhNS0_10empty_typeEEEZZNS1_27merge_sort_block_merge_implIS3_N6thrust23THRUST_200600_302600_NS6detail15normal_iteratorINS9_10device_ptrIhEEEEPS5_m11less_div_10IhEEE10hipError_tT0_T1_T2_jT3_P12ihipStream_tbPNSt15iterator_traitsISJ_E10value_typeEPNSP_ISK_E10value_typeEPSL_NS1_7vsmem_tEENKUlT_SJ_SK_SL_E_clIPhSE_SF_SF_EESI_SY_SJ_SK_SL_EUlSY_E0_NS1_11comp_targetILNS1_3genE4ELNS1_11target_archE910ELNS1_3gpuE8ELNS1_3repE0EEENS1_38merge_mergepath_config_static_selectorELNS0_4arch9wavefront6targetE0EEEvSK_
	.p2align	8
	.type	_ZN7rocprim17ROCPRIM_400000_NS6detail17trampoline_kernelINS0_14default_configENS1_38merge_sort_block_merge_config_selectorIhNS0_10empty_typeEEEZZNS1_27merge_sort_block_merge_implIS3_N6thrust23THRUST_200600_302600_NS6detail15normal_iteratorINS9_10device_ptrIhEEEEPS5_m11less_div_10IhEEE10hipError_tT0_T1_T2_jT3_P12ihipStream_tbPNSt15iterator_traitsISJ_E10value_typeEPNSP_ISK_E10value_typeEPSL_NS1_7vsmem_tEENKUlT_SJ_SK_SL_E_clIPhSE_SF_SF_EESI_SY_SJ_SK_SL_EUlSY_E0_NS1_11comp_targetILNS1_3genE4ELNS1_11target_archE910ELNS1_3gpuE8ELNS1_3repE0EEENS1_38merge_mergepath_config_static_selectorELNS0_4arch9wavefront6targetE0EEEvSK_,@function
_ZN7rocprim17ROCPRIM_400000_NS6detail17trampoline_kernelINS0_14default_configENS1_38merge_sort_block_merge_config_selectorIhNS0_10empty_typeEEEZZNS1_27merge_sort_block_merge_implIS3_N6thrust23THRUST_200600_302600_NS6detail15normal_iteratorINS9_10device_ptrIhEEEEPS5_m11less_div_10IhEEE10hipError_tT0_T1_T2_jT3_P12ihipStream_tbPNSt15iterator_traitsISJ_E10value_typeEPNSP_ISK_E10value_typeEPSL_NS1_7vsmem_tEENKUlT_SJ_SK_SL_E_clIPhSE_SF_SF_EESI_SY_SJ_SK_SL_EUlSY_E0_NS1_11comp_targetILNS1_3genE4ELNS1_11target_archE910ELNS1_3gpuE8ELNS1_3repE0EEENS1_38merge_mergepath_config_static_selectorELNS0_4arch9wavefront6targetE0EEEvSK_: ; @_ZN7rocprim17ROCPRIM_400000_NS6detail17trampoline_kernelINS0_14default_configENS1_38merge_sort_block_merge_config_selectorIhNS0_10empty_typeEEEZZNS1_27merge_sort_block_merge_implIS3_N6thrust23THRUST_200600_302600_NS6detail15normal_iteratorINS9_10device_ptrIhEEEEPS5_m11less_div_10IhEEE10hipError_tT0_T1_T2_jT3_P12ihipStream_tbPNSt15iterator_traitsISJ_E10value_typeEPNSP_ISK_E10value_typeEPSL_NS1_7vsmem_tEENKUlT_SJ_SK_SL_E_clIPhSE_SF_SF_EESI_SY_SJ_SK_SL_EUlSY_E0_NS1_11comp_targetILNS1_3genE4ELNS1_11target_archE910ELNS1_3gpuE8ELNS1_3repE0EEENS1_38merge_mergepath_config_static_selectorELNS0_4arch9wavefront6targetE0EEEvSK_
; %bb.0:
	.section	.rodata,"a",@progbits
	.p2align	6, 0x0
	.amdhsa_kernel _ZN7rocprim17ROCPRIM_400000_NS6detail17trampoline_kernelINS0_14default_configENS1_38merge_sort_block_merge_config_selectorIhNS0_10empty_typeEEEZZNS1_27merge_sort_block_merge_implIS3_N6thrust23THRUST_200600_302600_NS6detail15normal_iteratorINS9_10device_ptrIhEEEEPS5_m11less_div_10IhEEE10hipError_tT0_T1_T2_jT3_P12ihipStream_tbPNSt15iterator_traitsISJ_E10value_typeEPNSP_ISK_E10value_typeEPSL_NS1_7vsmem_tEENKUlT_SJ_SK_SL_E_clIPhSE_SF_SF_EESI_SY_SJ_SK_SL_EUlSY_E0_NS1_11comp_targetILNS1_3genE4ELNS1_11target_archE910ELNS1_3gpuE8ELNS1_3repE0EEENS1_38merge_mergepath_config_static_selectorELNS0_4arch9wavefront6targetE0EEEvSK_
		.amdhsa_group_segment_fixed_size 0
		.amdhsa_private_segment_fixed_size 0
		.amdhsa_kernarg_size 72
		.amdhsa_user_sgpr_count 6
		.amdhsa_user_sgpr_private_segment_buffer 1
		.amdhsa_user_sgpr_dispatch_ptr 0
		.amdhsa_user_sgpr_queue_ptr 0
		.amdhsa_user_sgpr_kernarg_segment_ptr 1
		.amdhsa_user_sgpr_dispatch_id 0
		.amdhsa_user_sgpr_flat_scratch_init 0
		.amdhsa_user_sgpr_private_segment_size 0
		.amdhsa_wavefront_size32 1
		.amdhsa_uses_dynamic_stack 0
		.amdhsa_system_sgpr_private_segment_wavefront_offset 0
		.amdhsa_system_sgpr_workgroup_id_x 1
		.amdhsa_system_sgpr_workgroup_id_y 0
		.amdhsa_system_sgpr_workgroup_id_z 0
		.amdhsa_system_sgpr_workgroup_info 0
		.amdhsa_system_vgpr_workitem_id 0
		.amdhsa_next_free_vgpr 1
		.amdhsa_next_free_sgpr 1
		.amdhsa_reserve_vcc 0
		.amdhsa_reserve_flat_scratch 0
		.amdhsa_float_round_mode_32 0
		.amdhsa_float_round_mode_16_64 0
		.amdhsa_float_denorm_mode_32 3
		.amdhsa_float_denorm_mode_16_64 3
		.amdhsa_dx10_clamp 1
		.amdhsa_ieee_mode 1
		.amdhsa_fp16_overflow 0
		.amdhsa_workgroup_processor_mode 1
		.amdhsa_memory_ordered 1
		.amdhsa_forward_progress 1
		.amdhsa_shared_vgpr_count 0
		.amdhsa_exception_fp_ieee_invalid_op 0
		.amdhsa_exception_fp_denorm_src 0
		.amdhsa_exception_fp_ieee_div_zero 0
		.amdhsa_exception_fp_ieee_overflow 0
		.amdhsa_exception_fp_ieee_underflow 0
		.amdhsa_exception_fp_ieee_inexact 0
		.amdhsa_exception_int_div_zero 0
	.end_amdhsa_kernel
	.section	.text._ZN7rocprim17ROCPRIM_400000_NS6detail17trampoline_kernelINS0_14default_configENS1_38merge_sort_block_merge_config_selectorIhNS0_10empty_typeEEEZZNS1_27merge_sort_block_merge_implIS3_N6thrust23THRUST_200600_302600_NS6detail15normal_iteratorINS9_10device_ptrIhEEEEPS5_m11less_div_10IhEEE10hipError_tT0_T1_T2_jT3_P12ihipStream_tbPNSt15iterator_traitsISJ_E10value_typeEPNSP_ISK_E10value_typeEPSL_NS1_7vsmem_tEENKUlT_SJ_SK_SL_E_clIPhSE_SF_SF_EESI_SY_SJ_SK_SL_EUlSY_E0_NS1_11comp_targetILNS1_3genE4ELNS1_11target_archE910ELNS1_3gpuE8ELNS1_3repE0EEENS1_38merge_mergepath_config_static_selectorELNS0_4arch9wavefront6targetE0EEEvSK_,"axG",@progbits,_ZN7rocprim17ROCPRIM_400000_NS6detail17trampoline_kernelINS0_14default_configENS1_38merge_sort_block_merge_config_selectorIhNS0_10empty_typeEEEZZNS1_27merge_sort_block_merge_implIS3_N6thrust23THRUST_200600_302600_NS6detail15normal_iteratorINS9_10device_ptrIhEEEEPS5_m11less_div_10IhEEE10hipError_tT0_T1_T2_jT3_P12ihipStream_tbPNSt15iterator_traitsISJ_E10value_typeEPNSP_ISK_E10value_typeEPSL_NS1_7vsmem_tEENKUlT_SJ_SK_SL_E_clIPhSE_SF_SF_EESI_SY_SJ_SK_SL_EUlSY_E0_NS1_11comp_targetILNS1_3genE4ELNS1_11target_archE910ELNS1_3gpuE8ELNS1_3repE0EEENS1_38merge_mergepath_config_static_selectorELNS0_4arch9wavefront6targetE0EEEvSK_,comdat
.Lfunc_end704:
	.size	_ZN7rocprim17ROCPRIM_400000_NS6detail17trampoline_kernelINS0_14default_configENS1_38merge_sort_block_merge_config_selectorIhNS0_10empty_typeEEEZZNS1_27merge_sort_block_merge_implIS3_N6thrust23THRUST_200600_302600_NS6detail15normal_iteratorINS9_10device_ptrIhEEEEPS5_m11less_div_10IhEEE10hipError_tT0_T1_T2_jT3_P12ihipStream_tbPNSt15iterator_traitsISJ_E10value_typeEPNSP_ISK_E10value_typeEPSL_NS1_7vsmem_tEENKUlT_SJ_SK_SL_E_clIPhSE_SF_SF_EESI_SY_SJ_SK_SL_EUlSY_E0_NS1_11comp_targetILNS1_3genE4ELNS1_11target_archE910ELNS1_3gpuE8ELNS1_3repE0EEENS1_38merge_mergepath_config_static_selectorELNS0_4arch9wavefront6targetE0EEEvSK_, .Lfunc_end704-_ZN7rocprim17ROCPRIM_400000_NS6detail17trampoline_kernelINS0_14default_configENS1_38merge_sort_block_merge_config_selectorIhNS0_10empty_typeEEEZZNS1_27merge_sort_block_merge_implIS3_N6thrust23THRUST_200600_302600_NS6detail15normal_iteratorINS9_10device_ptrIhEEEEPS5_m11less_div_10IhEEE10hipError_tT0_T1_T2_jT3_P12ihipStream_tbPNSt15iterator_traitsISJ_E10value_typeEPNSP_ISK_E10value_typeEPSL_NS1_7vsmem_tEENKUlT_SJ_SK_SL_E_clIPhSE_SF_SF_EESI_SY_SJ_SK_SL_EUlSY_E0_NS1_11comp_targetILNS1_3genE4ELNS1_11target_archE910ELNS1_3gpuE8ELNS1_3repE0EEENS1_38merge_mergepath_config_static_selectorELNS0_4arch9wavefront6targetE0EEEvSK_
                                        ; -- End function
	.set _ZN7rocprim17ROCPRIM_400000_NS6detail17trampoline_kernelINS0_14default_configENS1_38merge_sort_block_merge_config_selectorIhNS0_10empty_typeEEEZZNS1_27merge_sort_block_merge_implIS3_N6thrust23THRUST_200600_302600_NS6detail15normal_iteratorINS9_10device_ptrIhEEEEPS5_m11less_div_10IhEEE10hipError_tT0_T1_T2_jT3_P12ihipStream_tbPNSt15iterator_traitsISJ_E10value_typeEPNSP_ISK_E10value_typeEPSL_NS1_7vsmem_tEENKUlT_SJ_SK_SL_E_clIPhSE_SF_SF_EESI_SY_SJ_SK_SL_EUlSY_E0_NS1_11comp_targetILNS1_3genE4ELNS1_11target_archE910ELNS1_3gpuE8ELNS1_3repE0EEENS1_38merge_mergepath_config_static_selectorELNS0_4arch9wavefront6targetE0EEEvSK_.num_vgpr, 0
	.set _ZN7rocprim17ROCPRIM_400000_NS6detail17trampoline_kernelINS0_14default_configENS1_38merge_sort_block_merge_config_selectorIhNS0_10empty_typeEEEZZNS1_27merge_sort_block_merge_implIS3_N6thrust23THRUST_200600_302600_NS6detail15normal_iteratorINS9_10device_ptrIhEEEEPS5_m11less_div_10IhEEE10hipError_tT0_T1_T2_jT3_P12ihipStream_tbPNSt15iterator_traitsISJ_E10value_typeEPNSP_ISK_E10value_typeEPSL_NS1_7vsmem_tEENKUlT_SJ_SK_SL_E_clIPhSE_SF_SF_EESI_SY_SJ_SK_SL_EUlSY_E0_NS1_11comp_targetILNS1_3genE4ELNS1_11target_archE910ELNS1_3gpuE8ELNS1_3repE0EEENS1_38merge_mergepath_config_static_selectorELNS0_4arch9wavefront6targetE0EEEvSK_.num_agpr, 0
	.set _ZN7rocprim17ROCPRIM_400000_NS6detail17trampoline_kernelINS0_14default_configENS1_38merge_sort_block_merge_config_selectorIhNS0_10empty_typeEEEZZNS1_27merge_sort_block_merge_implIS3_N6thrust23THRUST_200600_302600_NS6detail15normal_iteratorINS9_10device_ptrIhEEEEPS5_m11less_div_10IhEEE10hipError_tT0_T1_T2_jT3_P12ihipStream_tbPNSt15iterator_traitsISJ_E10value_typeEPNSP_ISK_E10value_typeEPSL_NS1_7vsmem_tEENKUlT_SJ_SK_SL_E_clIPhSE_SF_SF_EESI_SY_SJ_SK_SL_EUlSY_E0_NS1_11comp_targetILNS1_3genE4ELNS1_11target_archE910ELNS1_3gpuE8ELNS1_3repE0EEENS1_38merge_mergepath_config_static_selectorELNS0_4arch9wavefront6targetE0EEEvSK_.numbered_sgpr, 0
	.set _ZN7rocprim17ROCPRIM_400000_NS6detail17trampoline_kernelINS0_14default_configENS1_38merge_sort_block_merge_config_selectorIhNS0_10empty_typeEEEZZNS1_27merge_sort_block_merge_implIS3_N6thrust23THRUST_200600_302600_NS6detail15normal_iteratorINS9_10device_ptrIhEEEEPS5_m11less_div_10IhEEE10hipError_tT0_T1_T2_jT3_P12ihipStream_tbPNSt15iterator_traitsISJ_E10value_typeEPNSP_ISK_E10value_typeEPSL_NS1_7vsmem_tEENKUlT_SJ_SK_SL_E_clIPhSE_SF_SF_EESI_SY_SJ_SK_SL_EUlSY_E0_NS1_11comp_targetILNS1_3genE4ELNS1_11target_archE910ELNS1_3gpuE8ELNS1_3repE0EEENS1_38merge_mergepath_config_static_selectorELNS0_4arch9wavefront6targetE0EEEvSK_.num_named_barrier, 0
	.set _ZN7rocprim17ROCPRIM_400000_NS6detail17trampoline_kernelINS0_14default_configENS1_38merge_sort_block_merge_config_selectorIhNS0_10empty_typeEEEZZNS1_27merge_sort_block_merge_implIS3_N6thrust23THRUST_200600_302600_NS6detail15normal_iteratorINS9_10device_ptrIhEEEEPS5_m11less_div_10IhEEE10hipError_tT0_T1_T2_jT3_P12ihipStream_tbPNSt15iterator_traitsISJ_E10value_typeEPNSP_ISK_E10value_typeEPSL_NS1_7vsmem_tEENKUlT_SJ_SK_SL_E_clIPhSE_SF_SF_EESI_SY_SJ_SK_SL_EUlSY_E0_NS1_11comp_targetILNS1_3genE4ELNS1_11target_archE910ELNS1_3gpuE8ELNS1_3repE0EEENS1_38merge_mergepath_config_static_selectorELNS0_4arch9wavefront6targetE0EEEvSK_.private_seg_size, 0
	.set _ZN7rocprim17ROCPRIM_400000_NS6detail17trampoline_kernelINS0_14default_configENS1_38merge_sort_block_merge_config_selectorIhNS0_10empty_typeEEEZZNS1_27merge_sort_block_merge_implIS3_N6thrust23THRUST_200600_302600_NS6detail15normal_iteratorINS9_10device_ptrIhEEEEPS5_m11less_div_10IhEEE10hipError_tT0_T1_T2_jT3_P12ihipStream_tbPNSt15iterator_traitsISJ_E10value_typeEPNSP_ISK_E10value_typeEPSL_NS1_7vsmem_tEENKUlT_SJ_SK_SL_E_clIPhSE_SF_SF_EESI_SY_SJ_SK_SL_EUlSY_E0_NS1_11comp_targetILNS1_3genE4ELNS1_11target_archE910ELNS1_3gpuE8ELNS1_3repE0EEENS1_38merge_mergepath_config_static_selectorELNS0_4arch9wavefront6targetE0EEEvSK_.uses_vcc, 0
	.set _ZN7rocprim17ROCPRIM_400000_NS6detail17trampoline_kernelINS0_14default_configENS1_38merge_sort_block_merge_config_selectorIhNS0_10empty_typeEEEZZNS1_27merge_sort_block_merge_implIS3_N6thrust23THRUST_200600_302600_NS6detail15normal_iteratorINS9_10device_ptrIhEEEEPS5_m11less_div_10IhEEE10hipError_tT0_T1_T2_jT3_P12ihipStream_tbPNSt15iterator_traitsISJ_E10value_typeEPNSP_ISK_E10value_typeEPSL_NS1_7vsmem_tEENKUlT_SJ_SK_SL_E_clIPhSE_SF_SF_EESI_SY_SJ_SK_SL_EUlSY_E0_NS1_11comp_targetILNS1_3genE4ELNS1_11target_archE910ELNS1_3gpuE8ELNS1_3repE0EEENS1_38merge_mergepath_config_static_selectorELNS0_4arch9wavefront6targetE0EEEvSK_.uses_flat_scratch, 0
	.set _ZN7rocprim17ROCPRIM_400000_NS6detail17trampoline_kernelINS0_14default_configENS1_38merge_sort_block_merge_config_selectorIhNS0_10empty_typeEEEZZNS1_27merge_sort_block_merge_implIS3_N6thrust23THRUST_200600_302600_NS6detail15normal_iteratorINS9_10device_ptrIhEEEEPS5_m11less_div_10IhEEE10hipError_tT0_T1_T2_jT3_P12ihipStream_tbPNSt15iterator_traitsISJ_E10value_typeEPNSP_ISK_E10value_typeEPSL_NS1_7vsmem_tEENKUlT_SJ_SK_SL_E_clIPhSE_SF_SF_EESI_SY_SJ_SK_SL_EUlSY_E0_NS1_11comp_targetILNS1_3genE4ELNS1_11target_archE910ELNS1_3gpuE8ELNS1_3repE0EEENS1_38merge_mergepath_config_static_selectorELNS0_4arch9wavefront6targetE0EEEvSK_.has_dyn_sized_stack, 0
	.set _ZN7rocprim17ROCPRIM_400000_NS6detail17trampoline_kernelINS0_14default_configENS1_38merge_sort_block_merge_config_selectorIhNS0_10empty_typeEEEZZNS1_27merge_sort_block_merge_implIS3_N6thrust23THRUST_200600_302600_NS6detail15normal_iteratorINS9_10device_ptrIhEEEEPS5_m11less_div_10IhEEE10hipError_tT0_T1_T2_jT3_P12ihipStream_tbPNSt15iterator_traitsISJ_E10value_typeEPNSP_ISK_E10value_typeEPSL_NS1_7vsmem_tEENKUlT_SJ_SK_SL_E_clIPhSE_SF_SF_EESI_SY_SJ_SK_SL_EUlSY_E0_NS1_11comp_targetILNS1_3genE4ELNS1_11target_archE910ELNS1_3gpuE8ELNS1_3repE0EEENS1_38merge_mergepath_config_static_selectorELNS0_4arch9wavefront6targetE0EEEvSK_.has_recursion, 0
	.set _ZN7rocprim17ROCPRIM_400000_NS6detail17trampoline_kernelINS0_14default_configENS1_38merge_sort_block_merge_config_selectorIhNS0_10empty_typeEEEZZNS1_27merge_sort_block_merge_implIS3_N6thrust23THRUST_200600_302600_NS6detail15normal_iteratorINS9_10device_ptrIhEEEEPS5_m11less_div_10IhEEE10hipError_tT0_T1_T2_jT3_P12ihipStream_tbPNSt15iterator_traitsISJ_E10value_typeEPNSP_ISK_E10value_typeEPSL_NS1_7vsmem_tEENKUlT_SJ_SK_SL_E_clIPhSE_SF_SF_EESI_SY_SJ_SK_SL_EUlSY_E0_NS1_11comp_targetILNS1_3genE4ELNS1_11target_archE910ELNS1_3gpuE8ELNS1_3repE0EEENS1_38merge_mergepath_config_static_selectorELNS0_4arch9wavefront6targetE0EEEvSK_.has_indirect_call, 0
	.section	.AMDGPU.csdata,"",@progbits
; Kernel info:
; codeLenInByte = 0
; TotalNumSgprs: 0
; NumVgprs: 0
; ScratchSize: 0
; MemoryBound: 0
; FloatMode: 240
; IeeeMode: 1
; LDSByteSize: 0 bytes/workgroup (compile time only)
; SGPRBlocks: 0
; VGPRBlocks: 0
; NumSGPRsForWavesPerEU: 1
; NumVGPRsForWavesPerEU: 1
; Occupancy: 16
; WaveLimiterHint : 0
; COMPUTE_PGM_RSRC2:SCRATCH_EN: 0
; COMPUTE_PGM_RSRC2:USER_SGPR: 6
; COMPUTE_PGM_RSRC2:TRAP_HANDLER: 0
; COMPUTE_PGM_RSRC2:TGID_X_EN: 1
; COMPUTE_PGM_RSRC2:TGID_Y_EN: 0
; COMPUTE_PGM_RSRC2:TGID_Z_EN: 0
; COMPUTE_PGM_RSRC2:TIDIG_COMP_CNT: 0
	.section	.text._ZN7rocprim17ROCPRIM_400000_NS6detail17trampoline_kernelINS0_14default_configENS1_38merge_sort_block_merge_config_selectorIhNS0_10empty_typeEEEZZNS1_27merge_sort_block_merge_implIS3_N6thrust23THRUST_200600_302600_NS6detail15normal_iteratorINS9_10device_ptrIhEEEEPS5_m11less_div_10IhEEE10hipError_tT0_T1_T2_jT3_P12ihipStream_tbPNSt15iterator_traitsISJ_E10value_typeEPNSP_ISK_E10value_typeEPSL_NS1_7vsmem_tEENKUlT_SJ_SK_SL_E_clIPhSE_SF_SF_EESI_SY_SJ_SK_SL_EUlSY_E0_NS1_11comp_targetILNS1_3genE3ELNS1_11target_archE908ELNS1_3gpuE7ELNS1_3repE0EEENS1_38merge_mergepath_config_static_selectorELNS0_4arch9wavefront6targetE0EEEvSK_,"axG",@progbits,_ZN7rocprim17ROCPRIM_400000_NS6detail17trampoline_kernelINS0_14default_configENS1_38merge_sort_block_merge_config_selectorIhNS0_10empty_typeEEEZZNS1_27merge_sort_block_merge_implIS3_N6thrust23THRUST_200600_302600_NS6detail15normal_iteratorINS9_10device_ptrIhEEEEPS5_m11less_div_10IhEEE10hipError_tT0_T1_T2_jT3_P12ihipStream_tbPNSt15iterator_traitsISJ_E10value_typeEPNSP_ISK_E10value_typeEPSL_NS1_7vsmem_tEENKUlT_SJ_SK_SL_E_clIPhSE_SF_SF_EESI_SY_SJ_SK_SL_EUlSY_E0_NS1_11comp_targetILNS1_3genE3ELNS1_11target_archE908ELNS1_3gpuE7ELNS1_3repE0EEENS1_38merge_mergepath_config_static_selectorELNS0_4arch9wavefront6targetE0EEEvSK_,comdat
	.protected	_ZN7rocprim17ROCPRIM_400000_NS6detail17trampoline_kernelINS0_14default_configENS1_38merge_sort_block_merge_config_selectorIhNS0_10empty_typeEEEZZNS1_27merge_sort_block_merge_implIS3_N6thrust23THRUST_200600_302600_NS6detail15normal_iteratorINS9_10device_ptrIhEEEEPS5_m11less_div_10IhEEE10hipError_tT0_T1_T2_jT3_P12ihipStream_tbPNSt15iterator_traitsISJ_E10value_typeEPNSP_ISK_E10value_typeEPSL_NS1_7vsmem_tEENKUlT_SJ_SK_SL_E_clIPhSE_SF_SF_EESI_SY_SJ_SK_SL_EUlSY_E0_NS1_11comp_targetILNS1_3genE3ELNS1_11target_archE908ELNS1_3gpuE7ELNS1_3repE0EEENS1_38merge_mergepath_config_static_selectorELNS0_4arch9wavefront6targetE0EEEvSK_ ; -- Begin function _ZN7rocprim17ROCPRIM_400000_NS6detail17trampoline_kernelINS0_14default_configENS1_38merge_sort_block_merge_config_selectorIhNS0_10empty_typeEEEZZNS1_27merge_sort_block_merge_implIS3_N6thrust23THRUST_200600_302600_NS6detail15normal_iteratorINS9_10device_ptrIhEEEEPS5_m11less_div_10IhEEE10hipError_tT0_T1_T2_jT3_P12ihipStream_tbPNSt15iterator_traitsISJ_E10value_typeEPNSP_ISK_E10value_typeEPSL_NS1_7vsmem_tEENKUlT_SJ_SK_SL_E_clIPhSE_SF_SF_EESI_SY_SJ_SK_SL_EUlSY_E0_NS1_11comp_targetILNS1_3genE3ELNS1_11target_archE908ELNS1_3gpuE7ELNS1_3repE0EEENS1_38merge_mergepath_config_static_selectorELNS0_4arch9wavefront6targetE0EEEvSK_
	.globl	_ZN7rocprim17ROCPRIM_400000_NS6detail17trampoline_kernelINS0_14default_configENS1_38merge_sort_block_merge_config_selectorIhNS0_10empty_typeEEEZZNS1_27merge_sort_block_merge_implIS3_N6thrust23THRUST_200600_302600_NS6detail15normal_iteratorINS9_10device_ptrIhEEEEPS5_m11less_div_10IhEEE10hipError_tT0_T1_T2_jT3_P12ihipStream_tbPNSt15iterator_traitsISJ_E10value_typeEPNSP_ISK_E10value_typeEPSL_NS1_7vsmem_tEENKUlT_SJ_SK_SL_E_clIPhSE_SF_SF_EESI_SY_SJ_SK_SL_EUlSY_E0_NS1_11comp_targetILNS1_3genE3ELNS1_11target_archE908ELNS1_3gpuE7ELNS1_3repE0EEENS1_38merge_mergepath_config_static_selectorELNS0_4arch9wavefront6targetE0EEEvSK_
	.p2align	8
	.type	_ZN7rocprim17ROCPRIM_400000_NS6detail17trampoline_kernelINS0_14default_configENS1_38merge_sort_block_merge_config_selectorIhNS0_10empty_typeEEEZZNS1_27merge_sort_block_merge_implIS3_N6thrust23THRUST_200600_302600_NS6detail15normal_iteratorINS9_10device_ptrIhEEEEPS5_m11less_div_10IhEEE10hipError_tT0_T1_T2_jT3_P12ihipStream_tbPNSt15iterator_traitsISJ_E10value_typeEPNSP_ISK_E10value_typeEPSL_NS1_7vsmem_tEENKUlT_SJ_SK_SL_E_clIPhSE_SF_SF_EESI_SY_SJ_SK_SL_EUlSY_E0_NS1_11comp_targetILNS1_3genE3ELNS1_11target_archE908ELNS1_3gpuE7ELNS1_3repE0EEENS1_38merge_mergepath_config_static_selectorELNS0_4arch9wavefront6targetE0EEEvSK_,@function
_ZN7rocprim17ROCPRIM_400000_NS6detail17trampoline_kernelINS0_14default_configENS1_38merge_sort_block_merge_config_selectorIhNS0_10empty_typeEEEZZNS1_27merge_sort_block_merge_implIS3_N6thrust23THRUST_200600_302600_NS6detail15normal_iteratorINS9_10device_ptrIhEEEEPS5_m11less_div_10IhEEE10hipError_tT0_T1_T2_jT3_P12ihipStream_tbPNSt15iterator_traitsISJ_E10value_typeEPNSP_ISK_E10value_typeEPSL_NS1_7vsmem_tEENKUlT_SJ_SK_SL_E_clIPhSE_SF_SF_EESI_SY_SJ_SK_SL_EUlSY_E0_NS1_11comp_targetILNS1_3genE3ELNS1_11target_archE908ELNS1_3gpuE7ELNS1_3repE0EEENS1_38merge_mergepath_config_static_selectorELNS0_4arch9wavefront6targetE0EEEvSK_: ; @_ZN7rocprim17ROCPRIM_400000_NS6detail17trampoline_kernelINS0_14default_configENS1_38merge_sort_block_merge_config_selectorIhNS0_10empty_typeEEEZZNS1_27merge_sort_block_merge_implIS3_N6thrust23THRUST_200600_302600_NS6detail15normal_iteratorINS9_10device_ptrIhEEEEPS5_m11less_div_10IhEEE10hipError_tT0_T1_T2_jT3_P12ihipStream_tbPNSt15iterator_traitsISJ_E10value_typeEPNSP_ISK_E10value_typeEPSL_NS1_7vsmem_tEENKUlT_SJ_SK_SL_E_clIPhSE_SF_SF_EESI_SY_SJ_SK_SL_EUlSY_E0_NS1_11comp_targetILNS1_3genE3ELNS1_11target_archE908ELNS1_3gpuE7ELNS1_3repE0EEENS1_38merge_mergepath_config_static_selectorELNS0_4arch9wavefront6targetE0EEEvSK_
; %bb.0:
	.section	.rodata,"a",@progbits
	.p2align	6, 0x0
	.amdhsa_kernel _ZN7rocprim17ROCPRIM_400000_NS6detail17trampoline_kernelINS0_14default_configENS1_38merge_sort_block_merge_config_selectorIhNS0_10empty_typeEEEZZNS1_27merge_sort_block_merge_implIS3_N6thrust23THRUST_200600_302600_NS6detail15normal_iteratorINS9_10device_ptrIhEEEEPS5_m11less_div_10IhEEE10hipError_tT0_T1_T2_jT3_P12ihipStream_tbPNSt15iterator_traitsISJ_E10value_typeEPNSP_ISK_E10value_typeEPSL_NS1_7vsmem_tEENKUlT_SJ_SK_SL_E_clIPhSE_SF_SF_EESI_SY_SJ_SK_SL_EUlSY_E0_NS1_11comp_targetILNS1_3genE3ELNS1_11target_archE908ELNS1_3gpuE7ELNS1_3repE0EEENS1_38merge_mergepath_config_static_selectorELNS0_4arch9wavefront6targetE0EEEvSK_
		.amdhsa_group_segment_fixed_size 0
		.amdhsa_private_segment_fixed_size 0
		.amdhsa_kernarg_size 72
		.amdhsa_user_sgpr_count 6
		.amdhsa_user_sgpr_private_segment_buffer 1
		.amdhsa_user_sgpr_dispatch_ptr 0
		.amdhsa_user_sgpr_queue_ptr 0
		.amdhsa_user_sgpr_kernarg_segment_ptr 1
		.amdhsa_user_sgpr_dispatch_id 0
		.amdhsa_user_sgpr_flat_scratch_init 0
		.amdhsa_user_sgpr_private_segment_size 0
		.amdhsa_wavefront_size32 1
		.amdhsa_uses_dynamic_stack 0
		.amdhsa_system_sgpr_private_segment_wavefront_offset 0
		.amdhsa_system_sgpr_workgroup_id_x 1
		.amdhsa_system_sgpr_workgroup_id_y 0
		.amdhsa_system_sgpr_workgroup_id_z 0
		.amdhsa_system_sgpr_workgroup_info 0
		.amdhsa_system_vgpr_workitem_id 0
		.amdhsa_next_free_vgpr 1
		.amdhsa_next_free_sgpr 1
		.amdhsa_reserve_vcc 0
		.amdhsa_reserve_flat_scratch 0
		.amdhsa_float_round_mode_32 0
		.amdhsa_float_round_mode_16_64 0
		.amdhsa_float_denorm_mode_32 3
		.amdhsa_float_denorm_mode_16_64 3
		.amdhsa_dx10_clamp 1
		.amdhsa_ieee_mode 1
		.amdhsa_fp16_overflow 0
		.amdhsa_workgroup_processor_mode 1
		.amdhsa_memory_ordered 1
		.amdhsa_forward_progress 1
		.amdhsa_shared_vgpr_count 0
		.amdhsa_exception_fp_ieee_invalid_op 0
		.amdhsa_exception_fp_denorm_src 0
		.amdhsa_exception_fp_ieee_div_zero 0
		.amdhsa_exception_fp_ieee_overflow 0
		.amdhsa_exception_fp_ieee_underflow 0
		.amdhsa_exception_fp_ieee_inexact 0
		.amdhsa_exception_int_div_zero 0
	.end_amdhsa_kernel
	.section	.text._ZN7rocprim17ROCPRIM_400000_NS6detail17trampoline_kernelINS0_14default_configENS1_38merge_sort_block_merge_config_selectorIhNS0_10empty_typeEEEZZNS1_27merge_sort_block_merge_implIS3_N6thrust23THRUST_200600_302600_NS6detail15normal_iteratorINS9_10device_ptrIhEEEEPS5_m11less_div_10IhEEE10hipError_tT0_T1_T2_jT3_P12ihipStream_tbPNSt15iterator_traitsISJ_E10value_typeEPNSP_ISK_E10value_typeEPSL_NS1_7vsmem_tEENKUlT_SJ_SK_SL_E_clIPhSE_SF_SF_EESI_SY_SJ_SK_SL_EUlSY_E0_NS1_11comp_targetILNS1_3genE3ELNS1_11target_archE908ELNS1_3gpuE7ELNS1_3repE0EEENS1_38merge_mergepath_config_static_selectorELNS0_4arch9wavefront6targetE0EEEvSK_,"axG",@progbits,_ZN7rocprim17ROCPRIM_400000_NS6detail17trampoline_kernelINS0_14default_configENS1_38merge_sort_block_merge_config_selectorIhNS0_10empty_typeEEEZZNS1_27merge_sort_block_merge_implIS3_N6thrust23THRUST_200600_302600_NS6detail15normal_iteratorINS9_10device_ptrIhEEEEPS5_m11less_div_10IhEEE10hipError_tT0_T1_T2_jT3_P12ihipStream_tbPNSt15iterator_traitsISJ_E10value_typeEPNSP_ISK_E10value_typeEPSL_NS1_7vsmem_tEENKUlT_SJ_SK_SL_E_clIPhSE_SF_SF_EESI_SY_SJ_SK_SL_EUlSY_E0_NS1_11comp_targetILNS1_3genE3ELNS1_11target_archE908ELNS1_3gpuE7ELNS1_3repE0EEENS1_38merge_mergepath_config_static_selectorELNS0_4arch9wavefront6targetE0EEEvSK_,comdat
.Lfunc_end705:
	.size	_ZN7rocprim17ROCPRIM_400000_NS6detail17trampoline_kernelINS0_14default_configENS1_38merge_sort_block_merge_config_selectorIhNS0_10empty_typeEEEZZNS1_27merge_sort_block_merge_implIS3_N6thrust23THRUST_200600_302600_NS6detail15normal_iteratorINS9_10device_ptrIhEEEEPS5_m11less_div_10IhEEE10hipError_tT0_T1_T2_jT3_P12ihipStream_tbPNSt15iterator_traitsISJ_E10value_typeEPNSP_ISK_E10value_typeEPSL_NS1_7vsmem_tEENKUlT_SJ_SK_SL_E_clIPhSE_SF_SF_EESI_SY_SJ_SK_SL_EUlSY_E0_NS1_11comp_targetILNS1_3genE3ELNS1_11target_archE908ELNS1_3gpuE7ELNS1_3repE0EEENS1_38merge_mergepath_config_static_selectorELNS0_4arch9wavefront6targetE0EEEvSK_, .Lfunc_end705-_ZN7rocprim17ROCPRIM_400000_NS6detail17trampoline_kernelINS0_14default_configENS1_38merge_sort_block_merge_config_selectorIhNS0_10empty_typeEEEZZNS1_27merge_sort_block_merge_implIS3_N6thrust23THRUST_200600_302600_NS6detail15normal_iteratorINS9_10device_ptrIhEEEEPS5_m11less_div_10IhEEE10hipError_tT0_T1_T2_jT3_P12ihipStream_tbPNSt15iterator_traitsISJ_E10value_typeEPNSP_ISK_E10value_typeEPSL_NS1_7vsmem_tEENKUlT_SJ_SK_SL_E_clIPhSE_SF_SF_EESI_SY_SJ_SK_SL_EUlSY_E0_NS1_11comp_targetILNS1_3genE3ELNS1_11target_archE908ELNS1_3gpuE7ELNS1_3repE0EEENS1_38merge_mergepath_config_static_selectorELNS0_4arch9wavefront6targetE0EEEvSK_
                                        ; -- End function
	.set _ZN7rocprim17ROCPRIM_400000_NS6detail17trampoline_kernelINS0_14default_configENS1_38merge_sort_block_merge_config_selectorIhNS0_10empty_typeEEEZZNS1_27merge_sort_block_merge_implIS3_N6thrust23THRUST_200600_302600_NS6detail15normal_iteratorINS9_10device_ptrIhEEEEPS5_m11less_div_10IhEEE10hipError_tT0_T1_T2_jT3_P12ihipStream_tbPNSt15iterator_traitsISJ_E10value_typeEPNSP_ISK_E10value_typeEPSL_NS1_7vsmem_tEENKUlT_SJ_SK_SL_E_clIPhSE_SF_SF_EESI_SY_SJ_SK_SL_EUlSY_E0_NS1_11comp_targetILNS1_3genE3ELNS1_11target_archE908ELNS1_3gpuE7ELNS1_3repE0EEENS1_38merge_mergepath_config_static_selectorELNS0_4arch9wavefront6targetE0EEEvSK_.num_vgpr, 0
	.set _ZN7rocprim17ROCPRIM_400000_NS6detail17trampoline_kernelINS0_14default_configENS1_38merge_sort_block_merge_config_selectorIhNS0_10empty_typeEEEZZNS1_27merge_sort_block_merge_implIS3_N6thrust23THRUST_200600_302600_NS6detail15normal_iteratorINS9_10device_ptrIhEEEEPS5_m11less_div_10IhEEE10hipError_tT0_T1_T2_jT3_P12ihipStream_tbPNSt15iterator_traitsISJ_E10value_typeEPNSP_ISK_E10value_typeEPSL_NS1_7vsmem_tEENKUlT_SJ_SK_SL_E_clIPhSE_SF_SF_EESI_SY_SJ_SK_SL_EUlSY_E0_NS1_11comp_targetILNS1_3genE3ELNS1_11target_archE908ELNS1_3gpuE7ELNS1_3repE0EEENS1_38merge_mergepath_config_static_selectorELNS0_4arch9wavefront6targetE0EEEvSK_.num_agpr, 0
	.set _ZN7rocprim17ROCPRIM_400000_NS6detail17trampoline_kernelINS0_14default_configENS1_38merge_sort_block_merge_config_selectorIhNS0_10empty_typeEEEZZNS1_27merge_sort_block_merge_implIS3_N6thrust23THRUST_200600_302600_NS6detail15normal_iteratorINS9_10device_ptrIhEEEEPS5_m11less_div_10IhEEE10hipError_tT0_T1_T2_jT3_P12ihipStream_tbPNSt15iterator_traitsISJ_E10value_typeEPNSP_ISK_E10value_typeEPSL_NS1_7vsmem_tEENKUlT_SJ_SK_SL_E_clIPhSE_SF_SF_EESI_SY_SJ_SK_SL_EUlSY_E0_NS1_11comp_targetILNS1_3genE3ELNS1_11target_archE908ELNS1_3gpuE7ELNS1_3repE0EEENS1_38merge_mergepath_config_static_selectorELNS0_4arch9wavefront6targetE0EEEvSK_.numbered_sgpr, 0
	.set _ZN7rocprim17ROCPRIM_400000_NS6detail17trampoline_kernelINS0_14default_configENS1_38merge_sort_block_merge_config_selectorIhNS0_10empty_typeEEEZZNS1_27merge_sort_block_merge_implIS3_N6thrust23THRUST_200600_302600_NS6detail15normal_iteratorINS9_10device_ptrIhEEEEPS5_m11less_div_10IhEEE10hipError_tT0_T1_T2_jT3_P12ihipStream_tbPNSt15iterator_traitsISJ_E10value_typeEPNSP_ISK_E10value_typeEPSL_NS1_7vsmem_tEENKUlT_SJ_SK_SL_E_clIPhSE_SF_SF_EESI_SY_SJ_SK_SL_EUlSY_E0_NS1_11comp_targetILNS1_3genE3ELNS1_11target_archE908ELNS1_3gpuE7ELNS1_3repE0EEENS1_38merge_mergepath_config_static_selectorELNS0_4arch9wavefront6targetE0EEEvSK_.num_named_barrier, 0
	.set _ZN7rocprim17ROCPRIM_400000_NS6detail17trampoline_kernelINS0_14default_configENS1_38merge_sort_block_merge_config_selectorIhNS0_10empty_typeEEEZZNS1_27merge_sort_block_merge_implIS3_N6thrust23THRUST_200600_302600_NS6detail15normal_iteratorINS9_10device_ptrIhEEEEPS5_m11less_div_10IhEEE10hipError_tT0_T1_T2_jT3_P12ihipStream_tbPNSt15iterator_traitsISJ_E10value_typeEPNSP_ISK_E10value_typeEPSL_NS1_7vsmem_tEENKUlT_SJ_SK_SL_E_clIPhSE_SF_SF_EESI_SY_SJ_SK_SL_EUlSY_E0_NS1_11comp_targetILNS1_3genE3ELNS1_11target_archE908ELNS1_3gpuE7ELNS1_3repE0EEENS1_38merge_mergepath_config_static_selectorELNS0_4arch9wavefront6targetE0EEEvSK_.private_seg_size, 0
	.set _ZN7rocprim17ROCPRIM_400000_NS6detail17trampoline_kernelINS0_14default_configENS1_38merge_sort_block_merge_config_selectorIhNS0_10empty_typeEEEZZNS1_27merge_sort_block_merge_implIS3_N6thrust23THRUST_200600_302600_NS6detail15normal_iteratorINS9_10device_ptrIhEEEEPS5_m11less_div_10IhEEE10hipError_tT0_T1_T2_jT3_P12ihipStream_tbPNSt15iterator_traitsISJ_E10value_typeEPNSP_ISK_E10value_typeEPSL_NS1_7vsmem_tEENKUlT_SJ_SK_SL_E_clIPhSE_SF_SF_EESI_SY_SJ_SK_SL_EUlSY_E0_NS1_11comp_targetILNS1_3genE3ELNS1_11target_archE908ELNS1_3gpuE7ELNS1_3repE0EEENS1_38merge_mergepath_config_static_selectorELNS0_4arch9wavefront6targetE0EEEvSK_.uses_vcc, 0
	.set _ZN7rocprim17ROCPRIM_400000_NS6detail17trampoline_kernelINS0_14default_configENS1_38merge_sort_block_merge_config_selectorIhNS0_10empty_typeEEEZZNS1_27merge_sort_block_merge_implIS3_N6thrust23THRUST_200600_302600_NS6detail15normal_iteratorINS9_10device_ptrIhEEEEPS5_m11less_div_10IhEEE10hipError_tT0_T1_T2_jT3_P12ihipStream_tbPNSt15iterator_traitsISJ_E10value_typeEPNSP_ISK_E10value_typeEPSL_NS1_7vsmem_tEENKUlT_SJ_SK_SL_E_clIPhSE_SF_SF_EESI_SY_SJ_SK_SL_EUlSY_E0_NS1_11comp_targetILNS1_3genE3ELNS1_11target_archE908ELNS1_3gpuE7ELNS1_3repE0EEENS1_38merge_mergepath_config_static_selectorELNS0_4arch9wavefront6targetE0EEEvSK_.uses_flat_scratch, 0
	.set _ZN7rocprim17ROCPRIM_400000_NS6detail17trampoline_kernelINS0_14default_configENS1_38merge_sort_block_merge_config_selectorIhNS0_10empty_typeEEEZZNS1_27merge_sort_block_merge_implIS3_N6thrust23THRUST_200600_302600_NS6detail15normal_iteratorINS9_10device_ptrIhEEEEPS5_m11less_div_10IhEEE10hipError_tT0_T1_T2_jT3_P12ihipStream_tbPNSt15iterator_traitsISJ_E10value_typeEPNSP_ISK_E10value_typeEPSL_NS1_7vsmem_tEENKUlT_SJ_SK_SL_E_clIPhSE_SF_SF_EESI_SY_SJ_SK_SL_EUlSY_E0_NS1_11comp_targetILNS1_3genE3ELNS1_11target_archE908ELNS1_3gpuE7ELNS1_3repE0EEENS1_38merge_mergepath_config_static_selectorELNS0_4arch9wavefront6targetE0EEEvSK_.has_dyn_sized_stack, 0
	.set _ZN7rocprim17ROCPRIM_400000_NS6detail17trampoline_kernelINS0_14default_configENS1_38merge_sort_block_merge_config_selectorIhNS0_10empty_typeEEEZZNS1_27merge_sort_block_merge_implIS3_N6thrust23THRUST_200600_302600_NS6detail15normal_iteratorINS9_10device_ptrIhEEEEPS5_m11less_div_10IhEEE10hipError_tT0_T1_T2_jT3_P12ihipStream_tbPNSt15iterator_traitsISJ_E10value_typeEPNSP_ISK_E10value_typeEPSL_NS1_7vsmem_tEENKUlT_SJ_SK_SL_E_clIPhSE_SF_SF_EESI_SY_SJ_SK_SL_EUlSY_E0_NS1_11comp_targetILNS1_3genE3ELNS1_11target_archE908ELNS1_3gpuE7ELNS1_3repE0EEENS1_38merge_mergepath_config_static_selectorELNS0_4arch9wavefront6targetE0EEEvSK_.has_recursion, 0
	.set _ZN7rocprim17ROCPRIM_400000_NS6detail17trampoline_kernelINS0_14default_configENS1_38merge_sort_block_merge_config_selectorIhNS0_10empty_typeEEEZZNS1_27merge_sort_block_merge_implIS3_N6thrust23THRUST_200600_302600_NS6detail15normal_iteratorINS9_10device_ptrIhEEEEPS5_m11less_div_10IhEEE10hipError_tT0_T1_T2_jT3_P12ihipStream_tbPNSt15iterator_traitsISJ_E10value_typeEPNSP_ISK_E10value_typeEPSL_NS1_7vsmem_tEENKUlT_SJ_SK_SL_E_clIPhSE_SF_SF_EESI_SY_SJ_SK_SL_EUlSY_E0_NS1_11comp_targetILNS1_3genE3ELNS1_11target_archE908ELNS1_3gpuE7ELNS1_3repE0EEENS1_38merge_mergepath_config_static_selectorELNS0_4arch9wavefront6targetE0EEEvSK_.has_indirect_call, 0
	.section	.AMDGPU.csdata,"",@progbits
; Kernel info:
; codeLenInByte = 0
; TotalNumSgprs: 0
; NumVgprs: 0
; ScratchSize: 0
; MemoryBound: 0
; FloatMode: 240
; IeeeMode: 1
; LDSByteSize: 0 bytes/workgroup (compile time only)
; SGPRBlocks: 0
; VGPRBlocks: 0
; NumSGPRsForWavesPerEU: 1
; NumVGPRsForWavesPerEU: 1
; Occupancy: 16
; WaveLimiterHint : 0
; COMPUTE_PGM_RSRC2:SCRATCH_EN: 0
; COMPUTE_PGM_RSRC2:USER_SGPR: 6
; COMPUTE_PGM_RSRC2:TRAP_HANDLER: 0
; COMPUTE_PGM_RSRC2:TGID_X_EN: 1
; COMPUTE_PGM_RSRC2:TGID_Y_EN: 0
; COMPUTE_PGM_RSRC2:TGID_Z_EN: 0
; COMPUTE_PGM_RSRC2:TIDIG_COMP_CNT: 0
	.section	.text._ZN7rocprim17ROCPRIM_400000_NS6detail17trampoline_kernelINS0_14default_configENS1_38merge_sort_block_merge_config_selectorIhNS0_10empty_typeEEEZZNS1_27merge_sort_block_merge_implIS3_N6thrust23THRUST_200600_302600_NS6detail15normal_iteratorINS9_10device_ptrIhEEEEPS5_m11less_div_10IhEEE10hipError_tT0_T1_T2_jT3_P12ihipStream_tbPNSt15iterator_traitsISJ_E10value_typeEPNSP_ISK_E10value_typeEPSL_NS1_7vsmem_tEENKUlT_SJ_SK_SL_E_clIPhSE_SF_SF_EESI_SY_SJ_SK_SL_EUlSY_E0_NS1_11comp_targetILNS1_3genE2ELNS1_11target_archE906ELNS1_3gpuE6ELNS1_3repE0EEENS1_38merge_mergepath_config_static_selectorELNS0_4arch9wavefront6targetE0EEEvSK_,"axG",@progbits,_ZN7rocprim17ROCPRIM_400000_NS6detail17trampoline_kernelINS0_14default_configENS1_38merge_sort_block_merge_config_selectorIhNS0_10empty_typeEEEZZNS1_27merge_sort_block_merge_implIS3_N6thrust23THRUST_200600_302600_NS6detail15normal_iteratorINS9_10device_ptrIhEEEEPS5_m11less_div_10IhEEE10hipError_tT0_T1_T2_jT3_P12ihipStream_tbPNSt15iterator_traitsISJ_E10value_typeEPNSP_ISK_E10value_typeEPSL_NS1_7vsmem_tEENKUlT_SJ_SK_SL_E_clIPhSE_SF_SF_EESI_SY_SJ_SK_SL_EUlSY_E0_NS1_11comp_targetILNS1_3genE2ELNS1_11target_archE906ELNS1_3gpuE6ELNS1_3repE0EEENS1_38merge_mergepath_config_static_selectorELNS0_4arch9wavefront6targetE0EEEvSK_,comdat
	.protected	_ZN7rocprim17ROCPRIM_400000_NS6detail17trampoline_kernelINS0_14default_configENS1_38merge_sort_block_merge_config_selectorIhNS0_10empty_typeEEEZZNS1_27merge_sort_block_merge_implIS3_N6thrust23THRUST_200600_302600_NS6detail15normal_iteratorINS9_10device_ptrIhEEEEPS5_m11less_div_10IhEEE10hipError_tT0_T1_T2_jT3_P12ihipStream_tbPNSt15iterator_traitsISJ_E10value_typeEPNSP_ISK_E10value_typeEPSL_NS1_7vsmem_tEENKUlT_SJ_SK_SL_E_clIPhSE_SF_SF_EESI_SY_SJ_SK_SL_EUlSY_E0_NS1_11comp_targetILNS1_3genE2ELNS1_11target_archE906ELNS1_3gpuE6ELNS1_3repE0EEENS1_38merge_mergepath_config_static_selectorELNS0_4arch9wavefront6targetE0EEEvSK_ ; -- Begin function _ZN7rocprim17ROCPRIM_400000_NS6detail17trampoline_kernelINS0_14default_configENS1_38merge_sort_block_merge_config_selectorIhNS0_10empty_typeEEEZZNS1_27merge_sort_block_merge_implIS3_N6thrust23THRUST_200600_302600_NS6detail15normal_iteratorINS9_10device_ptrIhEEEEPS5_m11less_div_10IhEEE10hipError_tT0_T1_T2_jT3_P12ihipStream_tbPNSt15iterator_traitsISJ_E10value_typeEPNSP_ISK_E10value_typeEPSL_NS1_7vsmem_tEENKUlT_SJ_SK_SL_E_clIPhSE_SF_SF_EESI_SY_SJ_SK_SL_EUlSY_E0_NS1_11comp_targetILNS1_3genE2ELNS1_11target_archE906ELNS1_3gpuE6ELNS1_3repE0EEENS1_38merge_mergepath_config_static_selectorELNS0_4arch9wavefront6targetE0EEEvSK_
	.globl	_ZN7rocprim17ROCPRIM_400000_NS6detail17trampoline_kernelINS0_14default_configENS1_38merge_sort_block_merge_config_selectorIhNS0_10empty_typeEEEZZNS1_27merge_sort_block_merge_implIS3_N6thrust23THRUST_200600_302600_NS6detail15normal_iteratorINS9_10device_ptrIhEEEEPS5_m11less_div_10IhEEE10hipError_tT0_T1_T2_jT3_P12ihipStream_tbPNSt15iterator_traitsISJ_E10value_typeEPNSP_ISK_E10value_typeEPSL_NS1_7vsmem_tEENKUlT_SJ_SK_SL_E_clIPhSE_SF_SF_EESI_SY_SJ_SK_SL_EUlSY_E0_NS1_11comp_targetILNS1_3genE2ELNS1_11target_archE906ELNS1_3gpuE6ELNS1_3repE0EEENS1_38merge_mergepath_config_static_selectorELNS0_4arch9wavefront6targetE0EEEvSK_
	.p2align	8
	.type	_ZN7rocprim17ROCPRIM_400000_NS6detail17trampoline_kernelINS0_14default_configENS1_38merge_sort_block_merge_config_selectorIhNS0_10empty_typeEEEZZNS1_27merge_sort_block_merge_implIS3_N6thrust23THRUST_200600_302600_NS6detail15normal_iteratorINS9_10device_ptrIhEEEEPS5_m11less_div_10IhEEE10hipError_tT0_T1_T2_jT3_P12ihipStream_tbPNSt15iterator_traitsISJ_E10value_typeEPNSP_ISK_E10value_typeEPSL_NS1_7vsmem_tEENKUlT_SJ_SK_SL_E_clIPhSE_SF_SF_EESI_SY_SJ_SK_SL_EUlSY_E0_NS1_11comp_targetILNS1_3genE2ELNS1_11target_archE906ELNS1_3gpuE6ELNS1_3repE0EEENS1_38merge_mergepath_config_static_selectorELNS0_4arch9wavefront6targetE0EEEvSK_,@function
_ZN7rocprim17ROCPRIM_400000_NS6detail17trampoline_kernelINS0_14default_configENS1_38merge_sort_block_merge_config_selectorIhNS0_10empty_typeEEEZZNS1_27merge_sort_block_merge_implIS3_N6thrust23THRUST_200600_302600_NS6detail15normal_iteratorINS9_10device_ptrIhEEEEPS5_m11less_div_10IhEEE10hipError_tT0_T1_T2_jT3_P12ihipStream_tbPNSt15iterator_traitsISJ_E10value_typeEPNSP_ISK_E10value_typeEPSL_NS1_7vsmem_tEENKUlT_SJ_SK_SL_E_clIPhSE_SF_SF_EESI_SY_SJ_SK_SL_EUlSY_E0_NS1_11comp_targetILNS1_3genE2ELNS1_11target_archE906ELNS1_3gpuE6ELNS1_3repE0EEENS1_38merge_mergepath_config_static_selectorELNS0_4arch9wavefront6targetE0EEEvSK_: ; @_ZN7rocprim17ROCPRIM_400000_NS6detail17trampoline_kernelINS0_14default_configENS1_38merge_sort_block_merge_config_selectorIhNS0_10empty_typeEEEZZNS1_27merge_sort_block_merge_implIS3_N6thrust23THRUST_200600_302600_NS6detail15normal_iteratorINS9_10device_ptrIhEEEEPS5_m11less_div_10IhEEE10hipError_tT0_T1_T2_jT3_P12ihipStream_tbPNSt15iterator_traitsISJ_E10value_typeEPNSP_ISK_E10value_typeEPSL_NS1_7vsmem_tEENKUlT_SJ_SK_SL_E_clIPhSE_SF_SF_EESI_SY_SJ_SK_SL_EUlSY_E0_NS1_11comp_targetILNS1_3genE2ELNS1_11target_archE906ELNS1_3gpuE6ELNS1_3repE0EEENS1_38merge_mergepath_config_static_selectorELNS0_4arch9wavefront6targetE0EEEvSK_
; %bb.0:
	.section	.rodata,"a",@progbits
	.p2align	6, 0x0
	.amdhsa_kernel _ZN7rocprim17ROCPRIM_400000_NS6detail17trampoline_kernelINS0_14default_configENS1_38merge_sort_block_merge_config_selectorIhNS0_10empty_typeEEEZZNS1_27merge_sort_block_merge_implIS3_N6thrust23THRUST_200600_302600_NS6detail15normal_iteratorINS9_10device_ptrIhEEEEPS5_m11less_div_10IhEEE10hipError_tT0_T1_T2_jT3_P12ihipStream_tbPNSt15iterator_traitsISJ_E10value_typeEPNSP_ISK_E10value_typeEPSL_NS1_7vsmem_tEENKUlT_SJ_SK_SL_E_clIPhSE_SF_SF_EESI_SY_SJ_SK_SL_EUlSY_E0_NS1_11comp_targetILNS1_3genE2ELNS1_11target_archE906ELNS1_3gpuE6ELNS1_3repE0EEENS1_38merge_mergepath_config_static_selectorELNS0_4arch9wavefront6targetE0EEEvSK_
		.amdhsa_group_segment_fixed_size 0
		.amdhsa_private_segment_fixed_size 0
		.amdhsa_kernarg_size 72
		.amdhsa_user_sgpr_count 6
		.amdhsa_user_sgpr_private_segment_buffer 1
		.amdhsa_user_sgpr_dispatch_ptr 0
		.amdhsa_user_sgpr_queue_ptr 0
		.amdhsa_user_sgpr_kernarg_segment_ptr 1
		.amdhsa_user_sgpr_dispatch_id 0
		.amdhsa_user_sgpr_flat_scratch_init 0
		.amdhsa_user_sgpr_private_segment_size 0
		.amdhsa_wavefront_size32 1
		.amdhsa_uses_dynamic_stack 0
		.amdhsa_system_sgpr_private_segment_wavefront_offset 0
		.amdhsa_system_sgpr_workgroup_id_x 1
		.amdhsa_system_sgpr_workgroup_id_y 0
		.amdhsa_system_sgpr_workgroup_id_z 0
		.amdhsa_system_sgpr_workgroup_info 0
		.amdhsa_system_vgpr_workitem_id 0
		.amdhsa_next_free_vgpr 1
		.amdhsa_next_free_sgpr 1
		.amdhsa_reserve_vcc 0
		.amdhsa_reserve_flat_scratch 0
		.amdhsa_float_round_mode_32 0
		.amdhsa_float_round_mode_16_64 0
		.amdhsa_float_denorm_mode_32 3
		.amdhsa_float_denorm_mode_16_64 3
		.amdhsa_dx10_clamp 1
		.amdhsa_ieee_mode 1
		.amdhsa_fp16_overflow 0
		.amdhsa_workgroup_processor_mode 1
		.amdhsa_memory_ordered 1
		.amdhsa_forward_progress 1
		.amdhsa_shared_vgpr_count 0
		.amdhsa_exception_fp_ieee_invalid_op 0
		.amdhsa_exception_fp_denorm_src 0
		.amdhsa_exception_fp_ieee_div_zero 0
		.amdhsa_exception_fp_ieee_overflow 0
		.amdhsa_exception_fp_ieee_underflow 0
		.amdhsa_exception_fp_ieee_inexact 0
		.amdhsa_exception_int_div_zero 0
	.end_amdhsa_kernel
	.section	.text._ZN7rocprim17ROCPRIM_400000_NS6detail17trampoline_kernelINS0_14default_configENS1_38merge_sort_block_merge_config_selectorIhNS0_10empty_typeEEEZZNS1_27merge_sort_block_merge_implIS3_N6thrust23THRUST_200600_302600_NS6detail15normal_iteratorINS9_10device_ptrIhEEEEPS5_m11less_div_10IhEEE10hipError_tT0_T1_T2_jT3_P12ihipStream_tbPNSt15iterator_traitsISJ_E10value_typeEPNSP_ISK_E10value_typeEPSL_NS1_7vsmem_tEENKUlT_SJ_SK_SL_E_clIPhSE_SF_SF_EESI_SY_SJ_SK_SL_EUlSY_E0_NS1_11comp_targetILNS1_3genE2ELNS1_11target_archE906ELNS1_3gpuE6ELNS1_3repE0EEENS1_38merge_mergepath_config_static_selectorELNS0_4arch9wavefront6targetE0EEEvSK_,"axG",@progbits,_ZN7rocprim17ROCPRIM_400000_NS6detail17trampoline_kernelINS0_14default_configENS1_38merge_sort_block_merge_config_selectorIhNS0_10empty_typeEEEZZNS1_27merge_sort_block_merge_implIS3_N6thrust23THRUST_200600_302600_NS6detail15normal_iteratorINS9_10device_ptrIhEEEEPS5_m11less_div_10IhEEE10hipError_tT0_T1_T2_jT3_P12ihipStream_tbPNSt15iterator_traitsISJ_E10value_typeEPNSP_ISK_E10value_typeEPSL_NS1_7vsmem_tEENKUlT_SJ_SK_SL_E_clIPhSE_SF_SF_EESI_SY_SJ_SK_SL_EUlSY_E0_NS1_11comp_targetILNS1_3genE2ELNS1_11target_archE906ELNS1_3gpuE6ELNS1_3repE0EEENS1_38merge_mergepath_config_static_selectorELNS0_4arch9wavefront6targetE0EEEvSK_,comdat
.Lfunc_end706:
	.size	_ZN7rocprim17ROCPRIM_400000_NS6detail17trampoline_kernelINS0_14default_configENS1_38merge_sort_block_merge_config_selectorIhNS0_10empty_typeEEEZZNS1_27merge_sort_block_merge_implIS3_N6thrust23THRUST_200600_302600_NS6detail15normal_iteratorINS9_10device_ptrIhEEEEPS5_m11less_div_10IhEEE10hipError_tT0_T1_T2_jT3_P12ihipStream_tbPNSt15iterator_traitsISJ_E10value_typeEPNSP_ISK_E10value_typeEPSL_NS1_7vsmem_tEENKUlT_SJ_SK_SL_E_clIPhSE_SF_SF_EESI_SY_SJ_SK_SL_EUlSY_E0_NS1_11comp_targetILNS1_3genE2ELNS1_11target_archE906ELNS1_3gpuE6ELNS1_3repE0EEENS1_38merge_mergepath_config_static_selectorELNS0_4arch9wavefront6targetE0EEEvSK_, .Lfunc_end706-_ZN7rocprim17ROCPRIM_400000_NS6detail17trampoline_kernelINS0_14default_configENS1_38merge_sort_block_merge_config_selectorIhNS0_10empty_typeEEEZZNS1_27merge_sort_block_merge_implIS3_N6thrust23THRUST_200600_302600_NS6detail15normal_iteratorINS9_10device_ptrIhEEEEPS5_m11less_div_10IhEEE10hipError_tT0_T1_T2_jT3_P12ihipStream_tbPNSt15iterator_traitsISJ_E10value_typeEPNSP_ISK_E10value_typeEPSL_NS1_7vsmem_tEENKUlT_SJ_SK_SL_E_clIPhSE_SF_SF_EESI_SY_SJ_SK_SL_EUlSY_E0_NS1_11comp_targetILNS1_3genE2ELNS1_11target_archE906ELNS1_3gpuE6ELNS1_3repE0EEENS1_38merge_mergepath_config_static_selectorELNS0_4arch9wavefront6targetE0EEEvSK_
                                        ; -- End function
	.set _ZN7rocprim17ROCPRIM_400000_NS6detail17trampoline_kernelINS0_14default_configENS1_38merge_sort_block_merge_config_selectorIhNS0_10empty_typeEEEZZNS1_27merge_sort_block_merge_implIS3_N6thrust23THRUST_200600_302600_NS6detail15normal_iteratorINS9_10device_ptrIhEEEEPS5_m11less_div_10IhEEE10hipError_tT0_T1_T2_jT3_P12ihipStream_tbPNSt15iterator_traitsISJ_E10value_typeEPNSP_ISK_E10value_typeEPSL_NS1_7vsmem_tEENKUlT_SJ_SK_SL_E_clIPhSE_SF_SF_EESI_SY_SJ_SK_SL_EUlSY_E0_NS1_11comp_targetILNS1_3genE2ELNS1_11target_archE906ELNS1_3gpuE6ELNS1_3repE0EEENS1_38merge_mergepath_config_static_selectorELNS0_4arch9wavefront6targetE0EEEvSK_.num_vgpr, 0
	.set _ZN7rocprim17ROCPRIM_400000_NS6detail17trampoline_kernelINS0_14default_configENS1_38merge_sort_block_merge_config_selectorIhNS0_10empty_typeEEEZZNS1_27merge_sort_block_merge_implIS3_N6thrust23THRUST_200600_302600_NS6detail15normal_iteratorINS9_10device_ptrIhEEEEPS5_m11less_div_10IhEEE10hipError_tT0_T1_T2_jT3_P12ihipStream_tbPNSt15iterator_traitsISJ_E10value_typeEPNSP_ISK_E10value_typeEPSL_NS1_7vsmem_tEENKUlT_SJ_SK_SL_E_clIPhSE_SF_SF_EESI_SY_SJ_SK_SL_EUlSY_E0_NS1_11comp_targetILNS1_3genE2ELNS1_11target_archE906ELNS1_3gpuE6ELNS1_3repE0EEENS1_38merge_mergepath_config_static_selectorELNS0_4arch9wavefront6targetE0EEEvSK_.num_agpr, 0
	.set _ZN7rocprim17ROCPRIM_400000_NS6detail17trampoline_kernelINS0_14default_configENS1_38merge_sort_block_merge_config_selectorIhNS0_10empty_typeEEEZZNS1_27merge_sort_block_merge_implIS3_N6thrust23THRUST_200600_302600_NS6detail15normal_iteratorINS9_10device_ptrIhEEEEPS5_m11less_div_10IhEEE10hipError_tT0_T1_T2_jT3_P12ihipStream_tbPNSt15iterator_traitsISJ_E10value_typeEPNSP_ISK_E10value_typeEPSL_NS1_7vsmem_tEENKUlT_SJ_SK_SL_E_clIPhSE_SF_SF_EESI_SY_SJ_SK_SL_EUlSY_E0_NS1_11comp_targetILNS1_3genE2ELNS1_11target_archE906ELNS1_3gpuE6ELNS1_3repE0EEENS1_38merge_mergepath_config_static_selectorELNS0_4arch9wavefront6targetE0EEEvSK_.numbered_sgpr, 0
	.set _ZN7rocprim17ROCPRIM_400000_NS6detail17trampoline_kernelINS0_14default_configENS1_38merge_sort_block_merge_config_selectorIhNS0_10empty_typeEEEZZNS1_27merge_sort_block_merge_implIS3_N6thrust23THRUST_200600_302600_NS6detail15normal_iteratorINS9_10device_ptrIhEEEEPS5_m11less_div_10IhEEE10hipError_tT0_T1_T2_jT3_P12ihipStream_tbPNSt15iterator_traitsISJ_E10value_typeEPNSP_ISK_E10value_typeEPSL_NS1_7vsmem_tEENKUlT_SJ_SK_SL_E_clIPhSE_SF_SF_EESI_SY_SJ_SK_SL_EUlSY_E0_NS1_11comp_targetILNS1_3genE2ELNS1_11target_archE906ELNS1_3gpuE6ELNS1_3repE0EEENS1_38merge_mergepath_config_static_selectorELNS0_4arch9wavefront6targetE0EEEvSK_.num_named_barrier, 0
	.set _ZN7rocprim17ROCPRIM_400000_NS6detail17trampoline_kernelINS0_14default_configENS1_38merge_sort_block_merge_config_selectorIhNS0_10empty_typeEEEZZNS1_27merge_sort_block_merge_implIS3_N6thrust23THRUST_200600_302600_NS6detail15normal_iteratorINS9_10device_ptrIhEEEEPS5_m11less_div_10IhEEE10hipError_tT0_T1_T2_jT3_P12ihipStream_tbPNSt15iterator_traitsISJ_E10value_typeEPNSP_ISK_E10value_typeEPSL_NS1_7vsmem_tEENKUlT_SJ_SK_SL_E_clIPhSE_SF_SF_EESI_SY_SJ_SK_SL_EUlSY_E0_NS1_11comp_targetILNS1_3genE2ELNS1_11target_archE906ELNS1_3gpuE6ELNS1_3repE0EEENS1_38merge_mergepath_config_static_selectorELNS0_4arch9wavefront6targetE0EEEvSK_.private_seg_size, 0
	.set _ZN7rocprim17ROCPRIM_400000_NS6detail17trampoline_kernelINS0_14default_configENS1_38merge_sort_block_merge_config_selectorIhNS0_10empty_typeEEEZZNS1_27merge_sort_block_merge_implIS3_N6thrust23THRUST_200600_302600_NS6detail15normal_iteratorINS9_10device_ptrIhEEEEPS5_m11less_div_10IhEEE10hipError_tT0_T1_T2_jT3_P12ihipStream_tbPNSt15iterator_traitsISJ_E10value_typeEPNSP_ISK_E10value_typeEPSL_NS1_7vsmem_tEENKUlT_SJ_SK_SL_E_clIPhSE_SF_SF_EESI_SY_SJ_SK_SL_EUlSY_E0_NS1_11comp_targetILNS1_3genE2ELNS1_11target_archE906ELNS1_3gpuE6ELNS1_3repE0EEENS1_38merge_mergepath_config_static_selectorELNS0_4arch9wavefront6targetE0EEEvSK_.uses_vcc, 0
	.set _ZN7rocprim17ROCPRIM_400000_NS6detail17trampoline_kernelINS0_14default_configENS1_38merge_sort_block_merge_config_selectorIhNS0_10empty_typeEEEZZNS1_27merge_sort_block_merge_implIS3_N6thrust23THRUST_200600_302600_NS6detail15normal_iteratorINS9_10device_ptrIhEEEEPS5_m11less_div_10IhEEE10hipError_tT0_T1_T2_jT3_P12ihipStream_tbPNSt15iterator_traitsISJ_E10value_typeEPNSP_ISK_E10value_typeEPSL_NS1_7vsmem_tEENKUlT_SJ_SK_SL_E_clIPhSE_SF_SF_EESI_SY_SJ_SK_SL_EUlSY_E0_NS1_11comp_targetILNS1_3genE2ELNS1_11target_archE906ELNS1_3gpuE6ELNS1_3repE0EEENS1_38merge_mergepath_config_static_selectorELNS0_4arch9wavefront6targetE0EEEvSK_.uses_flat_scratch, 0
	.set _ZN7rocprim17ROCPRIM_400000_NS6detail17trampoline_kernelINS0_14default_configENS1_38merge_sort_block_merge_config_selectorIhNS0_10empty_typeEEEZZNS1_27merge_sort_block_merge_implIS3_N6thrust23THRUST_200600_302600_NS6detail15normal_iteratorINS9_10device_ptrIhEEEEPS5_m11less_div_10IhEEE10hipError_tT0_T1_T2_jT3_P12ihipStream_tbPNSt15iterator_traitsISJ_E10value_typeEPNSP_ISK_E10value_typeEPSL_NS1_7vsmem_tEENKUlT_SJ_SK_SL_E_clIPhSE_SF_SF_EESI_SY_SJ_SK_SL_EUlSY_E0_NS1_11comp_targetILNS1_3genE2ELNS1_11target_archE906ELNS1_3gpuE6ELNS1_3repE0EEENS1_38merge_mergepath_config_static_selectorELNS0_4arch9wavefront6targetE0EEEvSK_.has_dyn_sized_stack, 0
	.set _ZN7rocprim17ROCPRIM_400000_NS6detail17trampoline_kernelINS0_14default_configENS1_38merge_sort_block_merge_config_selectorIhNS0_10empty_typeEEEZZNS1_27merge_sort_block_merge_implIS3_N6thrust23THRUST_200600_302600_NS6detail15normal_iteratorINS9_10device_ptrIhEEEEPS5_m11less_div_10IhEEE10hipError_tT0_T1_T2_jT3_P12ihipStream_tbPNSt15iterator_traitsISJ_E10value_typeEPNSP_ISK_E10value_typeEPSL_NS1_7vsmem_tEENKUlT_SJ_SK_SL_E_clIPhSE_SF_SF_EESI_SY_SJ_SK_SL_EUlSY_E0_NS1_11comp_targetILNS1_3genE2ELNS1_11target_archE906ELNS1_3gpuE6ELNS1_3repE0EEENS1_38merge_mergepath_config_static_selectorELNS0_4arch9wavefront6targetE0EEEvSK_.has_recursion, 0
	.set _ZN7rocprim17ROCPRIM_400000_NS6detail17trampoline_kernelINS0_14default_configENS1_38merge_sort_block_merge_config_selectorIhNS0_10empty_typeEEEZZNS1_27merge_sort_block_merge_implIS3_N6thrust23THRUST_200600_302600_NS6detail15normal_iteratorINS9_10device_ptrIhEEEEPS5_m11less_div_10IhEEE10hipError_tT0_T1_T2_jT3_P12ihipStream_tbPNSt15iterator_traitsISJ_E10value_typeEPNSP_ISK_E10value_typeEPSL_NS1_7vsmem_tEENKUlT_SJ_SK_SL_E_clIPhSE_SF_SF_EESI_SY_SJ_SK_SL_EUlSY_E0_NS1_11comp_targetILNS1_3genE2ELNS1_11target_archE906ELNS1_3gpuE6ELNS1_3repE0EEENS1_38merge_mergepath_config_static_selectorELNS0_4arch9wavefront6targetE0EEEvSK_.has_indirect_call, 0
	.section	.AMDGPU.csdata,"",@progbits
; Kernel info:
; codeLenInByte = 0
; TotalNumSgprs: 0
; NumVgprs: 0
; ScratchSize: 0
; MemoryBound: 0
; FloatMode: 240
; IeeeMode: 1
; LDSByteSize: 0 bytes/workgroup (compile time only)
; SGPRBlocks: 0
; VGPRBlocks: 0
; NumSGPRsForWavesPerEU: 1
; NumVGPRsForWavesPerEU: 1
; Occupancy: 16
; WaveLimiterHint : 0
; COMPUTE_PGM_RSRC2:SCRATCH_EN: 0
; COMPUTE_PGM_RSRC2:USER_SGPR: 6
; COMPUTE_PGM_RSRC2:TRAP_HANDLER: 0
; COMPUTE_PGM_RSRC2:TGID_X_EN: 1
; COMPUTE_PGM_RSRC2:TGID_Y_EN: 0
; COMPUTE_PGM_RSRC2:TGID_Z_EN: 0
; COMPUTE_PGM_RSRC2:TIDIG_COMP_CNT: 0
	.section	.text._ZN7rocprim17ROCPRIM_400000_NS6detail17trampoline_kernelINS0_14default_configENS1_38merge_sort_block_merge_config_selectorIhNS0_10empty_typeEEEZZNS1_27merge_sort_block_merge_implIS3_N6thrust23THRUST_200600_302600_NS6detail15normal_iteratorINS9_10device_ptrIhEEEEPS5_m11less_div_10IhEEE10hipError_tT0_T1_T2_jT3_P12ihipStream_tbPNSt15iterator_traitsISJ_E10value_typeEPNSP_ISK_E10value_typeEPSL_NS1_7vsmem_tEENKUlT_SJ_SK_SL_E_clIPhSE_SF_SF_EESI_SY_SJ_SK_SL_EUlSY_E0_NS1_11comp_targetILNS1_3genE9ELNS1_11target_archE1100ELNS1_3gpuE3ELNS1_3repE0EEENS1_38merge_mergepath_config_static_selectorELNS0_4arch9wavefront6targetE0EEEvSK_,"axG",@progbits,_ZN7rocprim17ROCPRIM_400000_NS6detail17trampoline_kernelINS0_14default_configENS1_38merge_sort_block_merge_config_selectorIhNS0_10empty_typeEEEZZNS1_27merge_sort_block_merge_implIS3_N6thrust23THRUST_200600_302600_NS6detail15normal_iteratorINS9_10device_ptrIhEEEEPS5_m11less_div_10IhEEE10hipError_tT0_T1_T2_jT3_P12ihipStream_tbPNSt15iterator_traitsISJ_E10value_typeEPNSP_ISK_E10value_typeEPSL_NS1_7vsmem_tEENKUlT_SJ_SK_SL_E_clIPhSE_SF_SF_EESI_SY_SJ_SK_SL_EUlSY_E0_NS1_11comp_targetILNS1_3genE9ELNS1_11target_archE1100ELNS1_3gpuE3ELNS1_3repE0EEENS1_38merge_mergepath_config_static_selectorELNS0_4arch9wavefront6targetE0EEEvSK_,comdat
	.protected	_ZN7rocprim17ROCPRIM_400000_NS6detail17trampoline_kernelINS0_14default_configENS1_38merge_sort_block_merge_config_selectorIhNS0_10empty_typeEEEZZNS1_27merge_sort_block_merge_implIS3_N6thrust23THRUST_200600_302600_NS6detail15normal_iteratorINS9_10device_ptrIhEEEEPS5_m11less_div_10IhEEE10hipError_tT0_T1_T2_jT3_P12ihipStream_tbPNSt15iterator_traitsISJ_E10value_typeEPNSP_ISK_E10value_typeEPSL_NS1_7vsmem_tEENKUlT_SJ_SK_SL_E_clIPhSE_SF_SF_EESI_SY_SJ_SK_SL_EUlSY_E0_NS1_11comp_targetILNS1_3genE9ELNS1_11target_archE1100ELNS1_3gpuE3ELNS1_3repE0EEENS1_38merge_mergepath_config_static_selectorELNS0_4arch9wavefront6targetE0EEEvSK_ ; -- Begin function _ZN7rocprim17ROCPRIM_400000_NS6detail17trampoline_kernelINS0_14default_configENS1_38merge_sort_block_merge_config_selectorIhNS0_10empty_typeEEEZZNS1_27merge_sort_block_merge_implIS3_N6thrust23THRUST_200600_302600_NS6detail15normal_iteratorINS9_10device_ptrIhEEEEPS5_m11less_div_10IhEEE10hipError_tT0_T1_T2_jT3_P12ihipStream_tbPNSt15iterator_traitsISJ_E10value_typeEPNSP_ISK_E10value_typeEPSL_NS1_7vsmem_tEENKUlT_SJ_SK_SL_E_clIPhSE_SF_SF_EESI_SY_SJ_SK_SL_EUlSY_E0_NS1_11comp_targetILNS1_3genE9ELNS1_11target_archE1100ELNS1_3gpuE3ELNS1_3repE0EEENS1_38merge_mergepath_config_static_selectorELNS0_4arch9wavefront6targetE0EEEvSK_
	.globl	_ZN7rocprim17ROCPRIM_400000_NS6detail17trampoline_kernelINS0_14default_configENS1_38merge_sort_block_merge_config_selectorIhNS0_10empty_typeEEEZZNS1_27merge_sort_block_merge_implIS3_N6thrust23THRUST_200600_302600_NS6detail15normal_iteratorINS9_10device_ptrIhEEEEPS5_m11less_div_10IhEEE10hipError_tT0_T1_T2_jT3_P12ihipStream_tbPNSt15iterator_traitsISJ_E10value_typeEPNSP_ISK_E10value_typeEPSL_NS1_7vsmem_tEENKUlT_SJ_SK_SL_E_clIPhSE_SF_SF_EESI_SY_SJ_SK_SL_EUlSY_E0_NS1_11comp_targetILNS1_3genE9ELNS1_11target_archE1100ELNS1_3gpuE3ELNS1_3repE0EEENS1_38merge_mergepath_config_static_selectorELNS0_4arch9wavefront6targetE0EEEvSK_
	.p2align	8
	.type	_ZN7rocprim17ROCPRIM_400000_NS6detail17trampoline_kernelINS0_14default_configENS1_38merge_sort_block_merge_config_selectorIhNS0_10empty_typeEEEZZNS1_27merge_sort_block_merge_implIS3_N6thrust23THRUST_200600_302600_NS6detail15normal_iteratorINS9_10device_ptrIhEEEEPS5_m11less_div_10IhEEE10hipError_tT0_T1_T2_jT3_P12ihipStream_tbPNSt15iterator_traitsISJ_E10value_typeEPNSP_ISK_E10value_typeEPSL_NS1_7vsmem_tEENKUlT_SJ_SK_SL_E_clIPhSE_SF_SF_EESI_SY_SJ_SK_SL_EUlSY_E0_NS1_11comp_targetILNS1_3genE9ELNS1_11target_archE1100ELNS1_3gpuE3ELNS1_3repE0EEENS1_38merge_mergepath_config_static_selectorELNS0_4arch9wavefront6targetE0EEEvSK_,@function
_ZN7rocprim17ROCPRIM_400000_NS6detail17trampoline_kernelINS0_14default_configENS1_38merge_sort_block_merge_config_selectorIhNS0_10empty_typeEEEZZNS1_27merge_sort_block_merge_implIS3_N6thrust23THRUST_200600_302600_NS6detail15normal_iteratorINS9_10device_ptrIhEEEEPS5_m11less_div_10IhEEE10hipError_tT0_T1_T2_jT3_P12ihipStream_tbPNSt15iterator_traitsISJ_E10value_typeEPNSP_ISK_E10value_typeEPSL_NS1_7vsmem_tEENKUlT_SJ_SK_SL_E_clIPhSE_SF_SF_EESI_SY_SJ_SK_SL_EUlSY_E0_NS1_11comp_targetILNS1_3genE9ELNS1_11target_archE1100ELNS1_3gpuE3ELNS1_3repE0EEENS1_38merge_mergepath_config_static_selectorELNS0_4arch9wavefront6targetE0EEEvSK_: ; @_ZN7rocprim17ROCPRIM_400000_NS6detail17trampoline_kernelINS0_14default_configENS1_38merge_sort_block_merge_config_selectorIhNS0_10empty_typeEEEZZNS1_27merge_sort_block_merge_implIS3_N6thrust23THRUST_200600_302600_NS6detail15normal_iteratorINS9_10device_ptrIhEEEEPS5_m11less_div_10IhEEE10hipError_tT0_T1_T2_jT3_P12ihipStream_tbPNSt15iterator_traitsISJ_E10value_typeEPNSP_ISK_E10value_typeEPSL_NS1_7vsmem_tEENKUlT_SJ_SK_SL_E_clIPhSE_SF_SF_EESI_SY_SJ_SK_SL_EUlSY_E0_NS1_11comp_targetILNS1_3genE9ELNS1_11target_archE1100ELNS1_3gpuE3ELNS1_3repE0EEENS1_38merge_mergepath_config_static_selectorELNS0_4arch9wavefront6targetE0EEEvSK_
; %bb.0:
	.section	.rodata,"a",@progbits
	.p2align	6, 0x0
	.amdhsa_kernel _ZN7rocprim17ROCPRIM_400000_NS6detail17trampoline_kernelINS0_14default_configENS1_38merge_sort_block_merge_config_selectorIhNS0_10empty_typeEEEZZNS1_27merge_sort_block_merge_implIS3_N6thrust23THRUST_200600_302600_NS6detail15normal_iteratorINS9_10device_ptrIhEEEEPS5_m11less_div_10IhEEE10hipError_tT0_T1_T2_jT3_P12ihipStream_tbPNSt15iterator_traitsISJ_E10value_typeEPNSP_ISK_E10value_typeEPSL_NS1_7vsmem_tEENKUlT_SJ_SK_SL_E_clIPhSE_SF_SF_EESI_SY_SJ_SK_SL_EUlSY_E0_NS1_11comp_targetILNS1_3genE9ELNS1_11target_archE1100ELNS1_3gpuE3ELNS1_3repE0EEENS1_38merge_mergepath_config_static_selectorELNS0_4arch9wavefront6targetE0EEEvSK_
		.amdhsa_group_segment_fixed_size 0
		.amdhsa_private_segment_fixed_size 0
		.amdhsa_kernarg_size 72
		.amdhsa_user_sgpr_count 6
		.amdhsa_user_sgpr_private_segment_buffer 1
		.amdhsa_user_sgpr_dispatch_ptr 0
		.amdhsa_user_sgpr_queue_ptr 0
		.amdhsa_user_sgpr_kernarg_segment_ptr 1
		.amdhsa_user_sgpr_dispatch_id 0
		.amdhsa_user_sgpr_flat_scratch_init 0
		.amdhsa_user_sgpr_private_segment_size 0
		.amdhsa_wavefront_size32 1
		.amdhsa_uses_dynamic_stack 0
		.amdhsa_system_sgpr_private_segment_wavefront_offset 0
		.amdhsa_system_sgpr_workgroup_id_x 1
		.amdhsa_system_sgpr_workgroup_id_y 0
		.amdhsa_system_sgpr_workgroup_id_z 0
		.amdhsa_system_sgpr_workgroup_info 0
		.amdhsa_system_vgpr_workitem_id 0
		.amdhsa_next_free_vgpr 1
		.amdhsa_next_free_sgpr 1
		.amdhsa_reserve_vcc 0
		.amdhsa_reserve_flat_scratch 0
		.amdhsa_float_round_mode_32 0
		.amdhsa_float_round_mode_16_64 0
		.amdhsa_float_denorm_mode_32 3
		.amdhsa_float_denorm_mode_16_64 3
		.amdhsa_dx10_clamp 1
		.amdhsa_ieee_mode 1
		.amdhsa_fp16_overflow 0
		.amdhsa_workgroup_processor_mode 1
		.amdhsa_memory_ordered 1
		.amdhsa_forward_progress 1
		.amdhsa_shared_vgpr_count 0
		.amdhsa_exception_fp_ieee_invalid_op 0
		.amdhsa_exception_fp_denorm_src 0
		.amdhsa_exception_fp_ieee_div_zero 0
		.amdhsa_exception_fp_ieee_overflow 0
		.amdhsa_exception_fp_ieee_underflow 0
		.amdhsa_exception_fp_ieee_inexact 0
		.amdhsa_exception_int_div_zero 0
	.end_amdhsa_kernel
	.section	.text._ZN7rocprim17ROCPRIM_400000_NS6detail17trampoline_kernelINS0_14default_configENS1_38merge_sort_block_merge_config_selectorIhNS0_10empty_typeEEEZZNS1_27merge_sort_block_merge_implIS3_N6thrust23THRUST_200600_302600_NS6detail15normal_iteratorINS9_10device_ptrIhEEEEPS5_m11less_div_10IhEEE10hipError_tT0_T1_T2_jT3_P12ihipStream_tbPNSt15iterator_traitsISJ_E10value_typeEPNSP_ISK_E10value_typeEPSL_NS1_7vsmem_tEENKUlT_SJ_SK_SL_E_clIPhSE_SF_SF_EESI_SY_SJ_SK_SL_EUlSY_E0_NS1_11comp_targetILNS1_3genE9ELNS1_11target_archE1100ELNS1_3gpuE3ELNS1_3repE0EEENS1_38merge_mergepath_config_static_selectorELNS0_4arch9wavefront6targetE0EEEvSK_,"axG",@progbits,_ZN7rocprim17ROCPRIM_400000_NS6detail17trampoline_kernelINS0_14default_configENS1_38merge_sort_block_merge_config_selectorIhNS0_10empty_typeEEEZZNS1_27merge_sort_block_merge_implIS3_N6thrust23THRUST_200600_302600_NS6detail15normal_iteratorINS9_10device_ptrIhEEEEPS5_m11less_div_10IhEEE10hipError_tT0_T1_T2_jT3_P12ihipStream_tbPNSt15iterator_traitsISJ_E10value_typeEPNSP_ISK_E10value_typeEPSL_NS1_7vsmem_tEENKUlT_SJ_SK_SL_E_clIPhSE_SF_SF_EESI_SY_SJ_SK_SL_EUlSY_E0_NS1_11comp_targetILNS1_3genE9ELNS1_11target_archE1100ELNS1_3gpuE3ELNS1_3repE0EEENS1_38merge_mergepath_config_static_selectorELNS0_4arch9wavefront6targetE0EEEvSK_,comdat
.Lfunc_end707:
	.size	_ZN7rocprim17ROCPRIM_400000_NS6detail17trampoline_kernelINS0_14default_configENS1_38merge_sort_block_merge_config_selectorIhNS0_10empty_typeEEEZZNS1_27merge_sort_block_merge_implIS3_N6thrust23THRUST_200600_302600_NS6detail15normal_iteratorINS9_10device_ptrIhEEEEPS5_m11less_div_10IhEEE10hipError_tT0_T1_T2_jT3_P12ihipStream_tbPNSt15iterator_traitsISJ_E10value_typeEPNSP_ISK_E10value_typeEPSL_NS1_7vsmem_tEENKUlT_SJ_SK_SL_E_clIPhSE_SF_SF_EESI_SY_SJ_SK_SL_EUlSY_E0_NS1_11comp_targetILNS1_3genE9ELNS1_11target_archE1100ELNS1_3gpuE3ELNS1_3repE0EEENS1_38merge_mergepath_config_static_selectorELNS0_4arch9wavefront6targetE0EEEvSK_, .Lfunc_end707-_ZN7rocprim17ROCPRIM_400000_NS6detail17trampoline_kernelINS0_14default_configENS1_38merge_sort_block_merge_config_selectorIhNS0_10empty_typeEEEZZNS1_27merge_sort_block_merge_implIS3_N6thrust23THRUST_200600_302600_NS6detail15normal_iteratorINS9_10device_ptrIhEEEEPS5_m11less_div_10IhEEE10hipError_tT0_T1_T2_jT3_P12ihipStream_tbPNSt15iterator_traitsISJ_E10value_typeEPNSP_ISK_E10value_typeEPSL_NS1_7vsmem_tEENKUlT_SJ_SK_SL_E_clIPhSE_SF_SF_EESI_SY_SJ_SK_SL_EUlSY_E0_NS1_11comp_targetILNS1_3genE9ELNS1_11target_archE1100ELNS1_3gpuE3ELNS1_3repE0EEENS1_38merge_mergepath_config_static_selectorELNS0_4arch9wavefront6targetE0EEEvSK_
                                        ; -- End function
	.set _ZN7rocprim17ROCPRIM_400000_NS6detail17trampoline_kernelINS0_14default_configENS1_38merge_sort_block_merge_config_selectorIhNS0_10empty_typeEEEZZNS1_27merge_sort_block_merge_implIS3_N6thrust23THRUST_200600_302600_NS6detail15normal_iteratorINS9_10device_ptrIhEEEEPS5_m11less_div_10IhEEE10hipError_tT0_T1_T2_jT3_P12ihipStream_tbPNSt15iterator_traitsISJ_E10value_typeEPNSP_ISK_E10value_typeEPSL_NS1_7vsmem_tEENKUlT_SJ_SK_SL_E_clIPhSE_SF_SF_EESI_SY_SJ_SK_SL_EUlSY_E0_NS1_11comp_targetILNS1_3genE9ELNS1_11target_archE1100ELNS1_3gpuE3ELNS1_3repE0EEENS1_38merge_mergepath_config_static_selectorELNS0_4arch9wavefront6targetE0EEEvSK_.num_vgpr, 0
	.set _ZN7rocprim17ROCPRIM_400000_NS6detail17trampoline_kernelINS0_14default_configENS1_38merge_sort_block_merge_config_selectorIhNS0_10empty_typeEEEZZNS1_27merge_sort_block_merge_implIS3_N6thrust23THRUST_200600_302600_NS6detail15normal_iteratorINS9_10device_ptrIhEEEEPS5_m11less_div_10IhEEE10hipError_tT0_T1_T2_jT3_P12ihipStream_tbPNSt15iterator_traitsISJ_E10value_typeEPNSP_ISK_E10value_typeEPSL_NS1_7vsmem_tEENKUlT_SJ_SK_SL_E_clIPhSE_SF_SF_EESI_SY_SJ_SK_SL_EUlSY_E0_NS1_11comp_targetILNS1_3genE9ELNS1_11target_archE1100ELNS1_3gpuE3ELNS1_3repE0EEENS1_38merge_mergepath_config_static_selectorELNS0_4arch9wavefront6targetE0EEEvSK_.num_agpr, 0
	.set _ZN7rocprim17ROCPRIM_400000_NS6detail17trampoline_kernelINS0_14default_configENS1_38merge_sort_block_merge_config_selectorIhNS0_10empty_typeEEEZZNS1_27merge_sort_block_merge_implIS3_N6thrust23THRUST_200600_302600_NS6detail15normal_iteratorINS9_10device_ptrIhEEEEPS5_m11less_div_10IhEEE10hipError_tT0_T1_T2_jT3_P12ihipStream_tbPNSt15iterator_traitsISJ_E10value_typeEPNSP_ISK_E10value_typeEPSL_NS1_7vsmem_tEENKUlT_SJ_SK_SL_E_clIPhSE_SF_SF_EESI_SY_SJ_SK_SL_EUlSY_E0_NS1_11comp_targetILNS1_3genE9ELNS1_11target_archE1100ELNS1_3gpuE3ELNS1_3repE0EEENS1_38merge_mergepath_config_static_selectorELNS0_4arch9wavefront6targetE0EEEvSK_.numbered_sgpr, 0
	.set _ZN7rocprim17ROCPRIM_400000_NS6detail17trampoline_kernelINS0_14default_configENS1_38merge_sort_block_merge_config_selectorIhNS0_10empty_typeEEEZZNS1_27merge_sort_block_merge_implIS3_N6thrust23THRUST_200600_302600_NS6detail15normal_iteratorINS9_10device_ptrIhEEEEPS5_m11less_div_10IhEEE10hipError_tT0_T1_T2_jT3_P12ihipStream_tbPNSt15iterator_traitsISJ_E10value_typeEPNSP_ISK_E10value_typeEPSL_NS1_7vsmem_tEENKUlT_SJ_SK_SL_E_clIPhSE_SF_SF_EESI_SY_SJ_SK_SL_EUlSY_E0_NS1_11comp_targetILNS1_3genE9ELNS1_11target_archE1100ELNS1_3gpuE3ELNS1_3repE0EEENS1_38merge_mergepath_config_static_selectorELNS0_4arch9wavefront6targetE0EEEvSK_.num_named_barrier, 0
	.set _ZN7rocprim17ROCPRIM_400000_NS6detail17trampoline_kernelINS0_14default_configENS1_38merge_sort_block_merge_config_selectorIhNS0_10empty_typeEEEZZNS1_27merge_sort_block_merge_implIS3_N6thrust23THRUST_200600_302600_NS6detail15normal_iteratorINS9_10device_ptrIhEEEEPS5_m11less_div_10IhEEE10hipError_tT0_T1_T2_jT3_P12ihipStream_tbPNSt15iterator_traitsISJ_E10value_typeEPNSP_ISK_E10value_typeEPSL_NS1_7vsmem_tEENKUlT_SJ_SK_SL_E_clIPhSE_SF_SF_EESI_SY_SJ_SK_SL_EUlSY_E0_NS1_11comp_targetILNS1_3genE9ELNS1_11target_archE1100ELNS1_3gpuE3ELNS1_3repE0EEENS1_38merge_mergepath_config_static_selectorELNS0_4arch9wavefront6targetE0EEEvSK_.private_seg_size, 0
	.set _ZN7rocprim17ROCPRIM_400000_NS6detail17trampoline_kernelINS0_14default_configENS1_38merge_sort_block_merge_config_selectorIhNS0_10empty_typeEEEZZNS1_27merge_sort_block_merge_implIS3_N6thrust23THRUST_200600_302600_NS6detail15normal_iteratorINS9_10device_ptrIhEEEEPS5_m11less_div_10IhEEE10hipError_tT0_T1_T2_jT3_P12ihipStream_tbPNSt15iterator_traitsISJ_E10value_typeEPNSP_ISK_E10value_typeEPSL_NS1_7vsmem_tEENKUlT_SJ_SK_SL_E_clIPhSE_SF_SF_EESI_SY_SJ_SK_SL_EUlSY_E0_NS1_11comp_targetILNS1_3genE9ELNS1_11target_archE1100ELNS1_3gpuE3ELNS1_3repE0EEENS1_38merge_mergepath_config_static_selectorELNS0_4arch9wavefront6targetE0EEEvSK_.uses_vcc, 0
	.set _ZN7rocprim17ROCPRIM_400000_NS6detail17trampoline_kernelINS0_14default_configENS1_38merge_sort_block_merge_config_selectorIhNS0_10empty_typeEEEZZNS1_27merge_sort_block_merge_implIS3_N6thrust23THRUST_200600_302600_NS6detail15normal_iteratorINS9_10device_ptrIhEEEEPS5_m11less_div_10IhEEE10hipError_tT0_T1_T2_jT3_P12ihipStream_tbPNSt15iterator_traitsISJ_E10value_typeEPNSP_ISK_E10value_typeEPSL_NS1_7vsmem_tEENKUlT_SJ_SK_SL_E_clIPhSE_SF_SF_EESI_SY_SJ_SK_SL_EUlSY_E0_NS1_11comp_targetILNS1_3genE9ELNS1_11target_archE1100ELNS1_3gpuE3ELNS1_3repE0EEENS1_38merge_mergepath_config_static_selectorELNS0_4arch9wavefront6targetE0EEEvSK_.uses_flat_scratch, 0
	.set _ZN7rocprim17ROCPRIM_400000_NS6detail17trampoline_kernelINS0_14default_configENS1_38merge_sort_block_merge_config_selectorIhNS0_10empty_typeEEEZZNS1_27merge_sort_block_merge_implIS3_N6thrust23THRUST_200600_302600_NS6detail15normal_iteratorINS9_10device_ptrIhEEEEPS5_m11less_div_10IhEEE10hipError_tT0_T1_T2_jT3_P12ihipStream_tbPNSt15iterator_traitsISJ_E10value_typeEPNSP_ISK_E10value_typeEPSL_NS1_7vsmem_tEENKUlT_SJ_SK_SL_E_clIPhSE_SF_SF_EESI_SY_SJ_SK_SL_EUlSY_E0_NS1_11comp_targetILNS1_3genE9ELNS1_11target_archE1100ELNS1_3gpuE3ELNS1_3repE0EEENS1_38merge_mergepath_config_static_selectorELNS0_4arch9wavefront6targetE0EEEvSK_.has_dyn_sized_stack, 0
	.set _ZN7rocprim17ROCPRIM_400000_NS6detail17trampoline_kernelINS0_14default_configENS1_38merge_sort_block_merge_config_selectorIhNS0_10empty_typeEEEZZNS1_27merge_sort_block_merge_implIS3_N6thrust23THRUST_200600_302600_NS6detail15normal_iteratorINS9_10device_ptrIhEEEEPS5_m11less_div_10IhEEE10hipError_tT0_T1_T2_jT3_P12ihipStream_tbPNSt15iterator_traitsISJ_E10value_typeEPNSP_ISK_E10value_typeEPSL_NS1_7vsmem_tEENKUlT_SJ_SK_SL_E_clIPhSE_SF_SF_EESI_SY_SJ_SK_SL_EUlSY_E0_NS1_11comp_targetILNS1_3genE9ELNS1_11target_archE1100ELNS1_3gpuE3ELNS1_3repE0EEENS1_38merge_mergepath_config_static_selectorELNS0_4arch9wavefront6targetE0EEEvSK_.has_recursion, 0
	.set _ZN7rocprim17ROCPRIM_400000_NS6detail17trampoline_kernelINS0_14default_configENS1_38merge_sort_block_merge_config_selectorIhNS0_10empty_typeEEEZZNS1_27merge_sort_block_merge_implIS3_N6thrust23THRUST_200600_302600_NS6detail15normal_iteratorINS9_10device_ptrIhEEEEPS5_m11less_div_10IhEEE10hipError_tT0_T1_T2_jT3_P12ihipStream_tbPNSt15iterator_traitsISJ_E10value_typeEPNSP_ISK_E10value_typeEPSL_NS1_7vsmem_tEENKUlT_SJ_SK_SL_E_clIPhSE_SF_SF_EESI_SY_SJ_SK_SL_EUlSY_E0_NS1_11comp_targetILNS1_3genE9ELNS1_11target_archE1100ELNS1_3gpuE3ELNS1_3repE0EEENS1_38merge_mergepath_config_static_selectorELNS0_4arch9wavefront6targetE0EEEvSK_.has_indirect_call, 0
	.section	.AMDGPU.csdata,"",@progbits
; Kernel info:
; codeLenInByte = 0
; TotalNumSgprs: 0
; NumVgprs: 0
; ScratchSize: 0
; MemoryBound: 0
; FloatMode: 240
; IeeeMode: 1
; LDSByteSize: 0 bytes/workgroup (compile time only)
; SGPRBlocks: 0
; VGPRBlocks: 0
; NumSGPRsForWavesPerEU: 1
; NumVGPRsForWavesPerEU: 1
; Occupancy: 16
; WaveLimiterHint : 0
; COMPUTE_PGM_RSRC2:SCRATCH_EN: 0
; COMPUTE_PGM_RSRC2:USER_SGPR: 6
; COMPUTE_PGM_RSRC2:TRAP_HANDLER: 0
; COMPUTE_PGM_RSRC2:TGID_X_EN: 1
; COMPUTE_PGM_RSRC2:TGID_Y_EN: 0
; COMPUTE_PGM_RSRC2:TGID_Z_EN: 0
; COMPUTE_PGM_RSRC2:TIDIG_COMP_CNT: 0
	.section	.text._ZN7rocprim17ROCPRIM_400000_NS6detail17trampoline_kernelINS0_14default_configENS1_38merge_sort_block_merge_config_selectorIhNS0_10empty_typeEEEZZNS1_27merge_sort_block_merge_implIS3_N6thrust23THRUST_200600_302600_NS6detail15normal_iteratorINS9_10device_ptrIhEEEEPS5_m11less_div_10IhEEE10hipError_tT0_T1_T2_jT3_P12ihipStream_tbPNSt15iterator_traitsISJ_E10value_typeEPNSP_ISK_E10value_typeEPSL_NS1_7vsmem_tEENKUlT_SJ_SK_SL_E_clIPhSE_SF_SF_EESI_SY_SJ_SK_SL_EUlSY_E0_NS1_11comp_targetILNS1_3genE8ELNS1_11target_archE1030ELNS1_3gpuE2ELNS1_3repE0EEENS1_38merge_mergepath_config_static_selectorELNS0_4arch9wavefront6targetE0EEEvSK_,"axG",@progbits,_ZN7rocprim17ROCPRIM_400000_NS6detail17trampoline_kernelINS0_14default_configENS1_38merge_sort_block_merge_config_selectorIhNS0_10empty_typeEEEZZNS1_27merge_sort_block_merge_implIS3_N6thrust23THRUST_200600_302600_NS6detail15normal_iteratorINS9_10device_ptrIhEEEEPS5_m11less_div_10IhEEE10hipError_tT0_T1_T2_jT3_P12ihipStream_tbPNSt15iterator_traitsISJ_E10value_typeEPNSP_ISK_E10value_typeEPSL_NS1_7vsmem_tEENKUlT_SJ_SK_SL_E_clIPhSE_SF_SF_EESI_SY_SJ_SK_SL_EUlSY_E0_NS1_11comp_targetILNS1_3genE8ELNS1_11target_archE1030ELNS1_3gpuE2ELNS1_3repE0EEENS1_38merge_mergepath_config_static_selectorELNS0_4arch9wavefront6targetE0EEEvSK_,comdat
	.protected	_ZN7rocprim17ROCPRIM_400000_NS6detail17trampoline_kernelINS0_14default_configENS1_38merge_sort_block_merge_config_selectorIhNS0_10empty_typeEEEZZNS1_27merge_sort_block_merge_implIS3_N6thrust23THRUST_200600_302600_NS6detail15normal_iteratorINS9_10device_ptrIhEEEEPS5_m11less_div_10IhEEE10hipError_tT0_T1_T2_jT3_P12ihipStream_tbPNSt15iterator_traitsISJ_E10value_typeEPNSP_ISK_E10value_typeEPSL_NS1_7vsmem_tEENKUlT_SJ_SK_SL_E_clIPhSE_SF_SF_EESI_SY_SJ_SK_SL_EUlSY_E0_NS1_11comp_targetILNS1_3genE8ELNS1_11target_archE1030ELNS1_3gpuE2ELNS1_3repE0EEENS1_38merge_mergepath_config_static_selectorELNS0_4arch9wavefront6targetE0EEEvSK_ ; -- Begin function _ZN7rocprim17ROCPRIM_400000_NS6detail17trampoline_kernelINS0_14default_configENS1_38merge_sort_block_merge_config_selectorIhNS0_10empty_typeEEEZZNS1_27merge_sort_block_merge_implIS3_N6thrust23THRUST_200600_302600_NS6detail15normal_iteratorINS9_10device_ptrIhEEEEPS5_m11less_div_10IhEEE10hipError_tT0_T1_T2_jT3_P12ihipStream_tbPNSt15iterator_traitsISJ_E10value_typeEPNSP_ISK_E10value_typeEPSL_NS1_7vsmem_tEENKUlT_SJ_SK_SL_E_clIPhSE_SF_SF_EESI_SY_SJ_SK_SL_EUlSY_E0_NS1_11comp_targetILNS1_3genE8ELNS1_11target_archE1030ELNS1_3gpuE2ELNS1_3repE0EEENS1_38merge_mergepath_config_static_selectorELNS0_4arch9wavefront6targetE0EEEvSK_
	.globl	_ZN7rocprim17ROCPRIM_400000_NS6detail17trampoline_kernelINS0_14default_configENS1_38merge_sort_block_merge_config_selectorIhNS0_10empty_typeEEEZZNS1_27merge_sort_block_merge_implIS3_N6thrust23THRUST_200600_302600_NS6detail15normal_iteratorINS9_10device_ptrIhEEEEPS5_m11less_div_10IhEEE10hipError_tT0_T1_T2_jT3_P12ihipStream_tbPNSt15iterator_traitsISJ_E10value_typeEPNSP_ISK_E10value_typeEPSL_NS1_7vsmem_tEENKUlT_SJ_SK_SL_E_clIPhSE_SF_SF_EESI_SY_SJ_SK_SL_EUlSY_E0_NS1_11comp_targetILNS1_3genE8ELNS1_11target_archE1030ELNS1_3gpuE2ELNS1_3repE0EEENS1_38merge_mergepath_config_static_selectorELNS0_4arch9wavefront6targetE0EEEvSK_
	.p2align	8
	.type	_ZN7rocprim17ROCPRIM_400000_NS6detail17trampoline_kernelINS0_14default_configENS1_38merge_sort_block_merge_config_selectorIhNS0_10empty_typeEEEZZNS1_27merge_sort_block_merge_implIS3_N6thrust23THRUST_200600_302600_NS6detail15normal_iteratorINS9_10device_ptrIhEEEEPS5_m11less_div_10IhEEE10hipError_tT0_T1_T2_jT3_P12ihipStream_tbPNSt15iterator_traitsISJ_E10value_typeEPNSP_ISK_E10value_typeEPSL_NS1_7vsmem_tEENKUlT_SJ_SK_SL_E_clIPhSE_SF_SF_EESI_SY_SJ_SK_SL_EUlSY_E0_NS1_11comp_targetILNS1_3genE8ELNS1_11target_archE1030ELNS1_3gpuE2ELNS1_3repE0EEENS1_38merge_mergepath_config_static_selectorELNS0_4arch9wavefront6targetE0EEEvSK_,@function
_ZN7rocprim17ROCPRIM_400000_NS6detail17trampoline_kernelINS0_14default_configENS1_38merge_sort_block_merge_config_selectorIhNS0_10empty_typeEEEZZNS1_27merge_sort_block_merge_implIS3_N6thrust23THRUST_200600_302600_NS6detail15normal_iteratorINS9_10device_ptrIhEEEEPS5_m11less_div_10IhEEE10hipError_tT0_T1_T2_jT3_P12ihipStream_tbPNSt15iterator_traitsISJ_E10value_typeEPNSP_ISK_E10value_typeEPSL_NS1_7vsmem_tEENKUlT_SJ_SK_SL_E_clIPhSE_SF_SF_EESI_SY_SJ_SK_SL_EUlSY_E0_NS1_11comp_targetILNS1_3genE8ELNS1_11target_archE1030ELNS1_3gpuE2ELNS1_3repE0EEENS1_38merge_mergepath_config_static_selectorELNS0_4arch9wavefront6targetE0EEEvSK_: ; @_ZN7rocprim17ROCPRIM_400000_NS6detail17trampoline_kernelINS0_14default_configENS1_38merge_sort_block_merge_config_selectorIhNS0_10empty_typeEEEZZNS1_27merge_sort_block_merge_implIS3_N6thrust23THRUST_200600_302600_NS6detail15normal_iteratorINS9_10device_ptrIhEEEEPS5_m11less_div_10IhEEE10hipError_tT0_T1_T2_jT3_P12ihipStream_tbPNSt15iterator_traitsISJ_E10value_typeEPNSP_ISK_E10value_typeEPSL_NS1_7vsmem_tEENKUlT_SJ_SK_SL_E_clIPhSE_SF_SF_EESI_SY_SJ_SK_SL_EUlSY_E0_NS1_11comp_targetILNS1_3genE8ELNS1_11target_archE1030ELNS1_3gpuE2ELNS1_3repE0EEENS1_38merge_mergepath_config_static_selectorELNS0_4arch9wavefront6targetE0EEEvSK_
; %bb.0:
	s_clause 0x1
	s_load_dwordx2 s[22:23], s[4:5], 0x48
	s_load_dword s0, s[4:5], 0x38
	s_add_u32 s20, s4, 0x48
	s_addc_u32 s21, s5, 0
	s_waitcnt lgkmcnt(0)
	s_mul_i32 s1, s23, s8
	s_add_i32 s1, s1, s7
	s_mul_i32 s1, s1, s22
	s_add_i32 s18, s1, s6
	s_cmp_ge_u32 s18, s0
	s_cbranch_scc1 .LBB708_81
; %bb.1:
	s_clause 0x1
	s_load_dwordx2 s[0:1], s[4:5], 0x40
	s_load_dwordx4 s[8:11], s[4:5], 0x28
	s_mov_b32 s19, 0
	s_lshl_b64 s[2:3], s[18:19], 3
	s_waitcnt lgkmcnt(0)
	s_add_u32 s0, s0, s2
	s_addc_u32 s1, s1, s3
	s_lshl_b64 s[16:17], s[18:19], 10
	s_load_dwordx4 s[12:15], s[0:1], 0x0
	s_lshr_b64 s[0:1], s[10:11], 9
	s_mov_b32 s1, s19
	s_and_b32 s0, s0, -2
	s_sub_i32 s30, 0, s0
	s_and_b32 s0, s18, s30
	s_lshl_b64 s[24:25], s[0:1], 10
	s_sub_u32 s7, s16, s24
	s_subb_u32 s23, s17, s25
	s_lshl_b64 s[26:27], s[0:1], 11
	s_load_dwordx4 s[0:3], s[4:5], 0x8
	s_add_u32 s4, s26, s10
	s_addc_u32 s26, s27, s11
	s_add_u32 s5, s4, s7
	s_addc_u32 s7, s26, s23
	s_waitcnt lgkmcnt(0)
	s_sub_u32 s23, s5, s14
	s_subb_u32 s15, s7, s15
	s_add_u32 s28, s23, 0x400
	s_addc_u32 s29, s15, 0
	v_cmp_lt_u64_e64 s15, s[8:9], s[28:29]
	s_and_b32 s15, s15, exec_lo
	s_cselect_b32 s23, s8, s28
	s_or_b32 s15, s18, s30
	s_cmp_lg_u32 s15, -1
	s_mov_b32 s15, -1
	s_cbranch_scc1 .LBB708_3
; %bb.2:
	s_sub_u32 s24, s4, s24
	s_subb_u32 s25, s26, s25
	v_cmp_lt_u64_e64 s4, s[8:9], s[24:25]
	s_and_b32 s4, s4, exec_lo
	s_cselect_b32 s14, s8, s24
	s_add_u32 s10, s24, s10
	s_addc_u32 s11, s25, s11
	v_cmp_lt_u64_e64 s4, s[8:9], s[10:11]
	s_and_b32 s4, s4, exec_lo
	s_cselect_b32 s23, s8, s10
.LBB708_3:
	s_lshr_b64 s[24:25], s[8:9], 10
	v_mov_b32_e32 v1, 0
	s_cmp_lg_u64 s[24:25], s[18:19]
	s_cselect_b32 s4, -1, 0
	s_sub_u32 s10, s5, s12
	s_subb_u32 s11, s7, s13
	global_load_dword v2, v1, s[20:21] offset:14
	v_cmp_lt_u64_e64 s5, s[8:9], s[10:11]
	s_and_b32 s5, s5, exec_lo
	s_cselect_b32 s26, s9, s11
	s_cselect_b32 s9, s8, s10
	s_sub_i32 s5, s14, s12
	s_sub_i32 s7, s23, s9
	s_add_u32 s11, s0, s12
	s_addc_u32 s12, s1, s13
	s_add_u32 s9, s0, s9
	s_addc_u32 s10, s1, s26
	s_cmp_lt_u32 s6, s22
	s_cselect_b32 s0, 12, 18
	s_add_u32 s0, s20, s0
	s_addc_u32 s1, s21, 0
	s_cmp_eq_u64 s[24:25], s[18:19]
	global_load_ushort v1, v1, s[0:1]
	s_waitcnt vmcnt(1)
	v_lshrrev_b32_e32 v3, 16, v2
	v_and_b32_e32 v2, 0xffff, v2
	v_mul_lo_u32 v2, v2, v3
	s_waitcnt vmcnt(0)
	v_mul_lo_u32 v3, v2, v1
	v_add_nc_u32_e32 v5, v3, v0
	v_add_nc_u32_e32 v4, v5, v3
	s_cbranch_scc1 .LBB708_5
; %bb.4:
	v_sub_co_u32 v6, vcc_lo, v0, s5
	v_add_co_u32 v1, s0, s11, v0
	v_add_co_ci_u32_e64 v2, null, s12, 0, s0
	v_add_co_u32 v6, s0, s9, v6
	v_add_co_ci_u32_e64 v7, null, s10, 0, s0
	;; [unrolled: 2-line block ×3, first 2 shown]
	v_sub_co_u32 v10, s0, v5, s5
	v_cndmask_b32_e32 v1, v6, v1, vcc_lo
	v_cndmask_b32_e32 v2, v7, v2, vcc_lo
	v_sub_co_u32 v12, vcc_lo, v4, s5
	v_add_co_u32 v6, s1, s9, v10
	v_add_co_ci_u32_e64 v7, null, s10, 0, s1
	v_add_nc_u32_e32 v13, v4, v3
	v_cndmask_b32_e64 v6, v6, v8, s0
	v_add_co_u32 v10, s1, s11, v4
	v_cndmask_b32_e64 v7, v7, v9, s0
	v_add_co_u32 v8, s0, s9, v12
	v_add_co_ci_u32_e64 v9, null, s10, 0, s0
	v_add_co_u32 v12, s0, s11, v13
	v_add_co_ci_u32_e64 v14, null, s12, 0, s0
	v_sub_co_u32 v15, s0, v13, s5
	v_add_co_ci_u32_e64 v11, null, s12, 0, s1
	v_cndmask_b32_e32 v8, v8, v10, vcc_lo
	v_add_nc_u32_e32 v13, v13, v3
	v_add_co_u32 v10, s1, s9, v15
	v_cndmask_b32_e32 v9, v9, v11, vcc_lo
	v_add_co_ci_u32_e64 v11, null, s10, 0, s1
	v_sub_co_u32 v17, vcc_lo, v13, s5
	v_cndmask_b32_e64 v10, v10, v12, s0
	v_cndmask_b32_e64 v11, v11, v14, s0
	v_add_nc_u32_e32 v14, v13, v3
	v_add_co_u32 v12, s0, s9, v17
	v_add_co_u32 v15, s1, s11, v13
	v_add_co_ci_u32_e64 v13, null, s10, 0, s0
	v_add_co_u32 v17, s0, s11, v14
	v_add_co_ci_u32_e64 v16, null, s12, 0, s1
	v_add_co_ci_u32_e64 v18, null, s12, 0, s0
	v_sub_co_u32 v19, s0, v14, s5
	v_add_nc_u32_e32 v14, v14, v3
	v_cndmask_b32_e32 v13, v13, v16, vcc_lo
	v_cndmask_b32_e32 v12, v12, v15, vcc_lo
	v_add_co_u32 v16, s1, s9, v19
	v_add_nc_u32_e32 v19, v14, v3
	v_add_co_ci_u32_e64 v15, null, s10, 0, s1
	v_add_co_u32 v20, s1, s11, v14
	v_add_co_ci_u32_e64 v21, null, s12, 0, s1
	v_sub_co_u32 v14, vcc_lo, v14, s5
	v_add_co_u32 v22, s1, s11, v19
	v_add_co_ci_u32_e64 v23, null, s12, 0, s1
	v_sub_co_u32 v19, s1, v19, s5
	v_add_co_u32 v24, s6, s9, v14
	v_add_co_ci_u32_e64 v25, null, s10, 0, s6
	v_add_co_u32 v26, s6, s9, v19
	v_add_co_ci_u32_e64 v19, null, s10, 0, s6
	v_cndmask_b32_e64 v15, v15, v18, s0
	v_cndmask_b32_e64 v14, v16, v17, s0
	v_cndmask_b32_e32 v17, v25, v21, vcc_lo
	v_cndmask_b32_e32 v16, v24, v20, vcc_lo
	v_cndmask_b32_e64 v19, v19, v23, s1
	v_cndmask_b32_e64 v18, v26, v22, s1
	global_load_ubyte v1, v[1:2], off
	global_load_ubyte v2, v[6:7], off
	;; [unrolled: 1-line block ×8, first 2 shown]
	s_add_i32 s1, s5, s7
	s_waitcnt vmcnt(6)
	v_perm_b32 v1, v1, v2, 0xc0c0004
	s_waitcnt vmcnt(4)
	v_perm_b32 v2, v6, v7, 0xc0c0004
	;; [unrolled: 2-line block ×4, first 2 shown]
	v_lshl_or_b32 v1, v2, 16, v1
	v_lshl_or_b32 v2, v7, 16, v6
	s_cbranch_execz .LBB708_6
	s_branch .LBB708_21
.LBB708_5:
                                        ; implicit-def: $vgpr1_vgpr2
                                        ; implicit-def: $sgpr1
	s_andn2_b32 vcc_lo, exec_lo, s15
	s_cbranch_vccnz .LBB708_21
.LBB708_6:
	v_mov_b32_e32 v1, 0
	s_add_i32 s1, s5, s7
	s_mov_b32 s6, 0
	s_mov_b32 s0, exec_lo
	v_mov_b32_e32 v2, v1
	v_cmpx_gt_u32_e64 s1, v0
	s_cbranch_execnz .LBB708_82
; %bb.7:
	s_or_b32 exec_lo, exec_lo, s0
	s_mov_b32 s0, exec_lo
	v_cmpx_gt_u32_e64 s1, v5
	s_cbranch_execnz .LBB708_83
.LBB708_8:
	s_or_b32 exec_lo, exec_lo, s0
	s_mov_b32 s0, exec_lo
	v_cmpx_gt_u32_e64 s1, v4
	s_cbranch_execz .LBB708_10
.LBB708_9:
	v_sub_co_u32 v7, vcc_lo, v4, s5
	v_add_co_u32 v5, s6, s11, v4
	v_add_co_ci_u32_e64 v6, null, s12, 0, s6
	v_add_co_u32 v7, s6, s9, v7
	v_add_co_ci_u32_e64 v8, null, s10, 0, s6
	v_cndmask_b32_e32 v5, v7, v5, vcc_lo
	v_cndmask_b32_e32 v6, v8, v6, vcc_lo
	global_load_ubyte v5, v[5:6], off
	s_waitcnt vmcnt(0)
	v_perm_b32 v5, v5, v1, 0xc0c0304
	v_lshlrev_b32_e32 v5, 16, v5
	v_and_or_b32 v1, 0xffff, v1, v5
.LBB708_10:
	s_or_b32 exec_lo, exec_lo, s0
	v_add_nc_u32_e32 v4, v4, v3
	s_mov_b32 s0, exec_lo
	v_cmpx_gt_u32_e64 s1, v4
	s_cbranch_execz .LBB708_12
; %bb.11:
	v_sub_co_u32 v7, vcc_lo, v4, s5
	v_add_co_u32 v5, s6, s11, v4
	v_add_co_ci_u32_e64 v6, null, s12, 0, s6
	v_add_co_u32 v7, s6, s9, v7
	v_add_co_ci_u32_e64 v8, null, s10, 0, s6
	v_cndmask_b32_e32 v5, v7, v5, vcc_lo
	v_cndmask_b32_e32 v6, v8, v6, vcc_lo
	global_load_ubyte v5, v[5:6], off
	s_waitcnt vmcnt(0)
	v_perm_b32 v5, v1, v5, 0xc0c0006
	v_lshlrev_b32_e32 v5, 16, v5
	v_and_or_b32 v1, 0xffff, v1, v5
.LBB708_12:
	s_or_b32 exec_lo, exec_lo, s0
	v_add_nc_u32_e32 v4, v4, v3
	s_mov_b32 s0, exec_lo
	v_cmpx_gt_u32_e64 s1, v4
	s_cbranch_execz .LBB708_14
; %bb.13:
	v_sub_co_u32 v7, vcc_lo, v4, s5
	v_add_co_u32 v5, s6, s11, v4
	v_add_co_ci_u32_e64 v6, null, s12, 0, s6
	v_add_co_u32 v7, s6, s9, v7
	v_add_co_ci_u32_e64 v8, null, s10, 0, s6
	v_cndmask_b32_e32 v5, v7, v5, vcc_lo
	v_cndmask_b32_e32 v6, v8, v6, vcc_lo
	global_load_ubyte v5, v[5:6], off
	s_waitcnt vmcnt(0)
	v_perm_b32 v2, v5, v2, 0x3020104
.LBB708_14:
	s_or_b32 exec_lo, exec_lo, s0
	v_add_nc_u32_e32 v4, v4, v3
	s_mov_b32 s0, exec_lo
	v_cmpx_gt_u32_e64 s1, v4
	s_cbranch_execz .LBB708_16
; %bb.15:
	v_sub_co_u32 v7, vcc_lo, v4, s5
	v_add_co_u32 v5, s6, s11, v4
	v_add_co_ci_u32_e64 v6, null, s12, 0, s6
	v_add_co_u32 v7, s6, s9, v7
	v_add_co_ci_u32_e64 v8, null, s10, 0, s6
	v_cndmask_b32_e32 v5, v7, v5, vcc_lo
	v_cndmask_b32_e32 v6, v8, v6, vcc_lo
	global_load_ubyte v5, v[5:6], off
	s_waitcnt vmcnt(0)
	v_perm_b32 v2, v2, v5, 0x7060004
.LBB708_16:
	;; [unrolled: 17-line block ×3, first 2 shown]
	s_or_b32 exec_lo, exec_lo, s0
	v_add_nc_u32_e32 v3, v4, v3
	s_mov_b32 s0, exec_lo
	v_cmpx_gt_u32_e64 s1, v3
	s_cbranch_execz .LBB708_20
; %bb.19:
	v_add_co_u32 v5, s6, s11, v3
	v_sub_co_u32 v3, vcc_lo, v3, s5
	v_add_co_ci_u32_e64 v4, null, s12, 0, s6
	v_add_co_u32 v3, s6, s9, v3
	v_add_co_ci_u32_e64 v6, null, s10, 0, s6
	v_cndmask_b32_e32 v3, v3, v5, vcc_lo
	v_cndmask_b32_e32 v4, v6, v4, vcc_lo
	global_load_ubyte v3, v[3:4], off
	s_waitcnt vmcnt(0)
	v_perm_b32 v2, v2, v3, 0x60504
.LBB708_20:
	s_or_b32 exec_lo, exec_lo, s0
.LBB708_21:
	v_lshlrev_b32_e32 v5, 3, v0
	v_lshrrev_b64 v[3:4], 24, v[1:2]
	v_lshrrev_b32_e32 v6, 8, v1
	v_lshrrev_b32_e32 v8, 16, v1
	;; [unrolled: 1-line block ×3, first 2 shown]
	v_min_u32_e32 v9, s1, v5
	v_lshrrev_b32_e32 v4, 16, v2
	v_lshrrev_b32_e32 v12, 24, v2
	s_mov_b32 s0, exec_lo
	ds_write_b8 v0, v1
	ds_write_b8 v0, v6 offset:128
	v_sub_nc_u32_e64 v7, v9, s7 clamp
	v_min_u32_e32 v10, s5, v9
	ds_write_b8 v0, v8 offset:256
	ds_write_b8 v0, v3 offset:384
	;; [unrolled: 1-line block ×6, first 2 shown]
	s_waitcnt lgkmcnt(0)
	s_barrier
	buffer_gl0_inv
	v_cmpx_lt_u32_e64 v7, v10
	s_cbranch_execz .LBB708_25
; %bb.22:
	v_add_nc_u32_e32 v11, s5, v9
	s_mov_b32 s6, 0
	.p2align	6
.LBB708_23:                             ; =>This Inner Loop Header: Depth=1
	v_add_nc_u32_e32 v14, v10, v7
	v_lshrrev_b32_e32 v14, 1, v14
	v_xad_u32 v15, v14, -1, v11
	v_add_nc_u32_e32 v17, 1, v14
	ds_read_u8 v16, v14
	ds_read_u8 v15, v15
	s_waitcnt lgkmcnt(1)
	v_mul_lo_u16 v16, 0xcd, v16
	s_waitcnt lgkmcnt(0)
	v_mul_lo_u16 v15, 0xcd, v15
	v_lshrrev_b16 v16, 11, v16
	v_lshrrev_b16 v15, 11, v15
	v_cmp_lt_u16_e32 vcc_lo, v15, v16
	v_cndmask_b32_e32 v10, v10, v14, vcc_lo
	v_cndmask_b32_e32 v7, v17, v7, vcc_lo
	v_cmp_ge_u32_e32 vcc_lo, v7, v10
	s_or_b32 s6, vcc_lo, s6
	s_andn2_b32 exec_lo, exec_lo, s6
	s_cbranch_execnz .LBB708_23
; %bb.24:
	s_or_b32 exec_lo, exec_lo, s6
.LBB708_25:
	s_or_b32 exec_lo, exec_lo, s0
	v_sub_nc_u32_e32 v9, v9, v7
	v_cmp_ge_u32_e32 vcc_lo, s5, v7
	v_add_nc_u32_e32 v9, s5, v9
	v_cmp_ge_u32_e64 s0, s1, v9
	s_or_b32 s0, vcc_lo, s0
	s_and_saveexec_b32 s6, s0
	s_cbranch_execz .LBB708_61
; %bb.26:
	s_mov_b32 s7, exec_lo
	v_cmp_le_u32_e32 vcc_lo, s5, v7
                                        ; implicit-def: $vgpr1
	v_cmpx_gt_u32_e64 s5, v7
; %bb.27:
	ds_read_u8 v1, v7
; %bb.28:
	s_or_b32 exec_lo, exec_lo, s7
	v_cmp_le_u32_e64 s7, s1, v9
	s_mov_b32 s9, exec_lo
                                        ; implicit-def: $vgpr4
	v_cmpx_gt_u32_e64 s1, v9
; %bb.29:
	ds_read_u8 v4, v9
; %bb.30:
	s_or_b32 exec_lo, exec_lo, s9
	s_nor_b32 s9, vcc_lo, s7
	s_and_saveexec_b32 s0, s9
	s_cbranch_execz .LBB708_32
; %bb.31:
	s_waitcnt lgkmcnt(0)
	v_and_b32_e32 v2, 0xff, v4
	v_and_b32_e32 v3, 0xff, v1
	s_andn2_b32 s7, s7, exec_lo
	v_mul_lo_u16 v2, 0xcd, v2
	v_mul_lo_u16 v3, 0xcd, v3
	v_lshrrev_b16 v2, 11, v2
	v_lshrrev_b16 v3, 11, v3
	v_cmp_ge_u16_e32 vcc_lo, v2, v3
	s_and_b32 s9, vcc_lo, exec_lo
	s_or_b32 s7, s7, s9
.LBB708_32:
	s_or_b32 exec_lo, exec_lo, s0
	v_mov_b32_e32 v2, s5
	v_cndmask_b32_e64 v3, v9, v7, s7
	s_mov_b32 s9, -1
	s_mov_b32 s0, -1
	s_mov_b32 s10, exec_lo
	v_cndmask_b32_e64 v2, s1, v2, s7
	v_add_nc_u32_e32 v3, 1, v3
	v_add_nc_u32_e32 v2, -1, v2
	v_min_u32_e32 v2, v3, v2
	ds_read_u8 v8, v2
	v_cndmask_b32_e64 v2, v3, v9, s7
	v_cndmask_b32_e64 v3, v7, v3, s7
	s_waitcnt lgkmcnt(0)
	v_cndmask_b32_e64 v6, v8, v4, s7
	v_cndmask_b32_e64 v7, v1, v8, s7
	v_cmpx_gt_u32_e64 s1, v2
	s_cbranch_execz .LBB708_36
; %bb.33:
	s_mov_b32 s11, 0
	s_mov_b32 s0, exec_lo
	v_cmpx_gt_u32_e64 s5, v3
	s_cbranch_execz .LBB708_35
; %bb.34:
	v_and_b32_e32 v8, 0xff, v6
	v_and_b32_e32 v9, 0xff, v7
	v_mul_lo_u16 v8, 0xcd, v8
	v_mul_lo_u16 v9, 0xcd, v9
	v_lshrrev_b16 v8, 11, v8
	v_lshrrev_b16 v9, 11, v9
	v_cmp_ge_u16_e32 vcc_lo, v8, v9
	s_and_b32 s11, vcc_lo, exec_lo
.LBB708_35:
	s_or_b32 exec_lo, exec_lo, s0
	s_orn2_b32 s0, s11, exec_lo
.LBB708_36:
	s_or_b32 exec_lo, exec_lo, s10
	v_mov_b32_e32 v8, s5
	v_cndmask_b32_e64 v9, v2, v3, s0
	s_mov_b32 s10, exec_lo
	v_cndmask_b32_e64 v8, s1, v8, s0
	v_add_nc_u32_e32 v9, 1, v9
	v_add_nc_u32_e32 v8, -1, v8
	v_cndmask_b32_e64 v2, v9, v2, s0
	v_cndmask_b32_e64 v3, v3, v9, s0
	v_min_u32_e32 v8, v9, v8
	ds_read_u8 v10, v8
	s_waitcnt lgkmcnt(0)
	v_cndmask_b32_e64 v8, v10, v6, s0
	v_cndmask_b32_e64 v9, v7, v10, s0
	v_cmpx_gt_u32_e64 s1, v2
	s_cbranch_execz .LBB708_40
; %bb.37:
	s_mov_b32 s11, 0
	s_mov_b32 s9, exec_lo
	v_cmpx_gt_u32_e64 s5, v3
	s_cbranch_execz .LBB708_39
; %bb.38:
	v_and_b32_e32 v10, 0xff, v8
	v_and_b32_e32 v11, 0xff, v9
	v_mul_lo_u16 v10, 0xcd, v10
	v_mul_lo_u16 v11, 0xcd, v11
	v_lshrrev_b16 v10, 11, v10
	v_lshrrev_b16 v11, 11, v11
	v_cmp_ge_u16_e32 vcc_lo, v10, v11
	s_and_b32 s11, vcc_lo, exec_lo
.LBB708_39:
	s_or_b32 exec_lo, exec_lo, s9
	s_orn2_b32 s9, s11, exec_lo
.LBB708_40:
	s_or_b32 exec_lo, exec_lo, s10
	v_mov_b32_e32 v10, s5
	v_cndmask_b32_e64 v11, v2, v3, s9
	s_mov_b32 s11, -1
	s_mov_b32 s10, -1
	s_mov_b32 s12, exec_lo
	v_cndmask_b32_e64 v10, s1, v10, s9
	v_add_nc_u32_e32 v11, 1, v11
	v_add_nc_u32_e32 v10, -1, v10
	v_cndmask_b32_e64 v2, v11, v2, s9
	v_min_u32_e32 v10, v11, v10
	v_cndmask_b32_e64 v11, v3, v11, s9
	ds_read_u8 v10, v10
	s_waitcnt lgkmcnt(0)
	v_cndmask_b32_e64 v3, v10, v8, s9
	v_cndmask_b32_e64 v10, v9, v10, s9
	v_cmpx_gt_u32_e64 s1, v2
	s_cbranch_execz .LBB708_44
; %bb.41:
	s_mov_b32 s13, 0
	s_mov_b32 s10, exec_lo
	v_cmpx_gt_u32_e64 s5, v11
	s_cbranch_execz .LBB708_43
; %bb.42:
	v_and_b32_e32 v12, 0xff, v3
	v_and_b32_e32 v13, 0xff, v10
	v_mul_lo_u16 v12, 0xcd, v12
	v_mul_lo_u16 v13, 0xcd, v13
	v_lshrrev_b16 v12, 11, v12
	v_lshrrev_b16 v13, 11, v13
	v_cmp_ge_u16_e32 vcc_lo, v12, v13
	s_and_b32 s13, vcc_lo, exec_lo
.LBB708_43:
	s_or_b32 exec_lo, exec_lo, s10
	s_orn2_b32 s10, s13, exec_lo
.LBB708_44:
	s_or_b32 exec_lo, exec_lo, s12
	v_mov_b32_e32 v12, s5
	v_cndmask_b32_e64 v13, v2, v11, s10
	s_mov_b32 s12, exec_lo
	v_cndmask_b32_e64 v12, s1, v12, s10
	v_add_nc_u32_e32 v13, 1, v13
	v_add_nc_u32_e32 v12, -1, v12
	v_min_u32_e32 v12, v13, v12
	ds_read_u8 v14, v12
	v_cndmask_b32_e64 v12, v13, v2, s10
	v_cndmask_b32_e64 v13, v11, v13, s10
	s_waitcnt lgkmcnt(0)
	v_cndmask_b32_e64 v2, v14, v3, s10
	v_cndmask_b32_e64 v11, v10, v14, s10
	v_cmpx_gt_u32_e64 s1, v12
	s_cbranch_execz .LBB708_48
; %bb.45:
	s_mov_b32 s13, 0
	s_mov_b32 s11, exec_lo
	v_cmpx_gt_u32_e64 s5, v13
	s_cbranch_execz .LBB708_47
; %bb.46:
	v_and_b32_e32 v14, 0xff, v2
	v_and_b32_e32 v15, 0xff, v11
	v_mul_lo_u16 v14, 0xcd, v14
	v_mul_lo_u16 v15, 0xcd, v15
	v_lshrrev_b16 v14, 11, v14
	v_lshrrev_b16 v15, 11, v15
	v_cmp_ge_u16_e32 vcc_lo, v14, v15
	s_and_b32 s13, vcc_lo, exec_lo
.LBB708_47:
	s_or_b32 exec_lo, exec_lo, s11
	s_orn2_b32 s11, s13, exec_lo
.LBB708_48:
	s_or_b32 exec_lo, exec_lo, s12
	v_mov_b32_e32 v14, s5
	v_cndmask_b32_e64 v15, v12, v13, s11
	s_mov_b32 s12, -1
	s_mov_b32 s13, -1
	s_mov_b32 s14, exec_lo
	v_cndmask_b32_e64 v14, s1, v14, s11
	v_add_nc_u32_e32 v15, 1, v15
	v_add_nc_u32_e32 v14, -1, v14
	v_cndmask_b32_e64 v12, v15, v12, s11
	v_min_u32_e32 v14, v15, v14
	v_cndmask_b32_e64 v15, v13, v15, s11
	ds_read_u8 v14, v14
	s_waitcnt lgkmcnt(0)
	v_cndmask_b32_e64 v13, v14, v2, s11
	v_cndmask_b32_e64 v14, v11, v14, s11
	v_cmpx_gt_u32_e64 s1, v12
	s_cbranch_execz .LBB708_52
; %bb.49:
	s_mov_b32 s15, 0
	s_mov_b32 s13, exec_lo
	v_cmpx_gt_u32_e64 s5, v15
	s_cbranch_execz .LBB708_51
; %bb.50:
	v_and_b32_e32 v16, 0xff, v13
	v_and_b32_e32 v17, 0xff, v14
	v_mul_lo_u16 v16, 0xcd, v16
	v_mul_lo_u16 v17, 0xcd, v17
	v_lshrrev_b16 v16, 11, v16
	v_lshrrev_b16 v17, 11, v17
	v_cmp_ge_u16_e32 vcc_lo, v16, v17
	s_and_b32 s15, vcc_lo, exec_lo
.LBB708_51:
	s_or_b32 exec_lo, exec_lo, s13
	s_orn2_b32 s13, s15, exec_lo
.LBB708_52:
	s_or_b32 exec_lo, exec_lo, s14
	v_mov_b32_e32 v16, s5
	v_cndmask_b32_e64 v17, v12, v15, s13
	s_mov_b32 s14, exec_lo
	v_cndmask_b32_e64 v16, s1, v16, s13
	v_add_nc_u32_e32 v17, 1, v17
	v_add_nc_u32_e32 v16, -1, v16
	v_cndmask_b32_e64 v12, v17, v12, s13
	v_min_u32_e32 v16, v17, v16
	v_cndmask_b32_e64 v17, v15, v17, s13
	ds_read_u8 v16, v16
	s_waitcnt lgkmcnt(0)
	v_cndmask_b32_e64 v15, v16, v13, s13
	v_cndmask_b32_e64 v16, v14, v16, s13
	v_cmpx_gt_u32_e64 s1, v12
	s_cbranch_execz .LBB708_56
; %bb.53:
	s_mov_b32 s15, 0
	s_mov_b32 s12, exec_lo
	v_cmpx_gt_u32_e64 s5, v17
	s_cbranch_execz .LBB708_55
; %bb.54:
	v_and_b32_e32 v18, 0xff, v15
	v_and_b32_e32 v19, 0xff, v16
	v_mul_lo_u16 v18, 0xcd, v18
	v_mul_lo_u16 v19, 0xcd, v19
	v_lshrrev_b16 v18, 11, v18
	v_lshrrev_b16 v19, 11, v19
	v_cmp_ge_u16_e32 vcc_lo, v18, v19
	s_and_b32 s15, vcc_lo, exec_lo
.LBB708_55:
	s_or_b32 exec_lo, exec_lo, s12
	s_orn2_b32 s12, s15, exec_lo
.LBB708_56:
	s_or_b32 exec_lo, exec_lo, s14
	v_mov_b32_e32 v18, s5
	v_cndmask_b32_e64 v19, v12, v17, s12
	v_cndmask_b32_e64 v20, s1, v18, s12
	v_add_nc_u32_e32 v18, 1, v19
	v_add_nc_u32_e32 v19, -1, v20
	v_cndmask_b32_e64 v20, v18, v12, s12
	v_min_u32_e32 v19, v18, v19
	v_cmp_gt_u32_e32 vcc_lo, s1, v20
	ds_read_u8 v19, v19
	s_waitcnt lgkmcnt(0)
	v_cndmask_b32_e64 v12, v16, v19, s12
	s_and_saveexec_b32 s1, vcc_lo
	s_cbranch_execz .LBB708_60
; %bb.57:
	v_cndmask_b32_e64 v18, v17, v18, s12
	v_cndmask_b32_e64 v17, v19, v15, s12
	v_cmp_gt_u32_e32 vcc_lo, s5, v18
	s_and_saveexec_b32 s5, vcc_lo
	s_cbranch_execz .LBB708_59
; %bb.58:
	v_and_b32_e32 v18, 0xff, v17
	v_and_b32_e32 v19, 0xff, v12
	v_mul_lo_u16 v18, 0xcd, v18
	v_mul_lo_u16 v19, 0xcd, v19
	v_lshrrev_b16 v18, 11, v18
	v_lshrrev_b16 v19, 11, v19
	v_cmp_lt_u16_e32 vcc_lo, v18, v19
	v_cndmask_b32_e32 v17, v12, v17, vcc_lo
.LBB708_59:
	s_or_b32 exec_lo, exec_lo, s5
	v_mov_b32_e32 v12, v17
.LBB708_60:
	s_or_b32 exec_lo, exec_lo, s1
	v_cndmask_b32_e64 v13, v13, v14, s13
	v_cndmask_b32_e64 v2, v2, v11, s11
	;; [unrolled: 1-line block ×7, first 2 shown]
.LBB708_61:
	s_or_b32 exec_lo, exec_lo, s6
	v_lshrrev_b32_e32 v7, 2, v0
	v_perm_b32 v2, v2, v13, 0xc0c0004
	v_perm_b32 v4, v4, v12, 0xc0c0004
	;; [unrolled: 1-line block ×4, first 2 shown]
	v_and_b32_e32 v7, 28, v7
	s_add_u32 s0, s2, s16
	v_lshl_or_b32 v2, v4, 16, v2
	v_lshl_or_b32 v1, v3, 16, v1
	v_add_nc_u32_e32 v5, v7, v5
	s_barrier
	buffer_gl0_inv
	s_barrier
	buffer_gl0_inv
	s_addc_u32 s1, s3, s17
	ds_write2_b32 v5, v1, v2 offset1:1
	v_add_co_u32 v1, s0, s0, v0
	v_add_co_ci_u32_e64 v2, null, s1, 0, s0
	v_add_nc_u32_e32 v3, 4, v0
	v_add_nc_u32_e32 v4, 8, v0
	;; [unrolled: 1-line block ×7, first 2 shown]
	s_and_b32 vcc_lo, exec_lo, s4
	s_waitcnt lgkmcnt(0)
	s_cbranch_vccz .LBB708_63
; %bb.62:
	s_barrier
	buffer_gl0_inv
	ds_read_u8 v10, v0
	ds_read_u8 v11, v6 offset:512
	ds_read_u8 v12, v7 offset:640
	;; [unrolled: 1-line block ×7, first 2 shown]
	s_mov_b32 s0, -1
	s_waitcnt lgkmcnt(7)
	global_store_byte v[1:2], v10, off
	s_waitcnt lgkmcnt(2)
	global_store_byte v[1:2], v15, off offset:128
	s_waitcnt lgkmcnt(1)
	global_store_byte v[1:2], v16, off offset:256
	;; [unrolled: 2-line block ×3, first 2 shown]
	global_store_byte v[1:2], v11, off offset:512
	v_perm_b32 v10, v11, v12, 0xc0c0004
	v_perm_b32 v14, v13, v14, 0xc0c0004
	global_store_byte v[1:2], v12, off offset:640
	global_store_byte v[1:2], v13, off offset:768
	v_lshl_or_b32 v10, v14, 16, v10
	s_cbranch_execz .LBB708_64
	s_branch .LBB708_79
.LBB708_63:
	s_mov_b32 s0, 0
                                        ; implicit-def: $vgpr10
.LBB708_64:
	s_barrier
	s_waitcnt_vscnt null, 0x0
	buffer_gl0_inv
	ds_read_u8 v13, v0
	ds_read_u8 v12, v3 offset:128
	ds_read_u8 v11, v4 offset:256
	;; [unrolled: 1-line block ×7, first 2 shown]
	v_or_b32_e32 v7, 0x80, v0
	s_sub_i32 s0, s8, s16
	s_mov_b32 s1, exec_lo
	v_cmpx_gt_u32_e64 s0, v0
	s_cbranch_execz .LBB708_66
; %bb.65:
	s_waitcnt lgkmcnt(7)
	global_store_byte v[1:2], v13, off
.LBB708_66:
	s_or_b32 exec_lo, exec_lo, s1
	v_or_b32_e32 v8, 0x100, v0
	s_mov_b32 s1, exec_lo
	v_cmpx_gt_u32_e64 s0, v7
	s_cbranch_execz .LBB708_68
; %bb.67:
	s_waitcnt lgkmcnt(6)
	global_store_byte v[1:2], v12, off offset:128
.LBB708_68:
	s_or_b32 exec_lo, exec_lo, s1
	v_or_b32_e32 v7, 0x180, v0
	s_mov_b32 s1, exec_lo
	v_cmpx_gt_u32_e64 s0, v8
	s_cbranch_execz .LBB708_70
; %bb.69:
	s_waitcnt lgkmcnt(5)
	global_store_byte v[1:2], v11, off offset:256
.LBB708_70:
	;; [unrolled: 9-line block ×6, first 2 shown]
	s_or_b32 exec_lo, exec_lo, s1
	s_waitcnt lgkmcnt(2)
	v_perm_b32 v3, v3, v4, 0xc0c0004
	s_waitcnt lgkmcnt(0)
	v_perm_b32 v4, v5, v6, 0xc0c0004
	v_cmp_gt_u32_e64 s0, s0, v0
	v_lshl_or_b32 v10, v4, 16, v3
.LBB708_79:
	s_and_saveexec_b32 s1, s0
	s_cbranch_execz .LBB708_81
; %bb.80:
	v_lshrrev_b32_e32 v0, 24, v10
	global_store_byte v[1:2], v0, off offset:896
.LBB708_81:
	s_endpgm
.LBB708_82:
	v_sub_co_u32 v6, vcc_lo, v0, s5
	v_add_co_u32 v1, s13, s11, v0
	v_add_co_ci_u32_e64 v2, null, s12, 0, s13
	v_add_co_u32 v6, s13, s9, v6
	v_add_co_ci_u32_e64 v7, null, s10, 0, s13
	v_cndmask_b32_e32 v1, v6, v1, vcc_lo
	v_cndmask_b32_e32 v2, v7, v2, vcc_lo
	global_load_ubyte v1, v[1:2], off
	v_mov_b32_e32 v2, s6
	s_waitcnt vmcnt(0)
	v_and_b32_e32 v1, 0xffff, v1
	s_or_b32 exec_lo, exec_lo, s0
	s_mov_b32 s0, exec_lo
	v_cmpx_gt_u32_e64 s1, v5
	s_cbranch_execz .LBB708_8
.LBB708_83:
	v_add_co_u32 v7, s6, s11, v5
	v_sub_co_u32 v5, vcc_lo, v5, s5
	v_add_co_ci_u32_e64 v6, null, s12, 0, s6
	v_add_co_u32 v5, s6, s9, v5
	v_add_co_ci_u32_e64 v8, null, s10, 0, s6
	v_cndmask_b32_e32 v5, v5, v7, vcc_lo
	v_cndmask_b32_e32 v6, v8, v6, vcc_lo
	global_load_ubyte v5, v[5:6], off
	s_waitcnt vmcnt(0)
	v_perm_b32 v1, v1, v5, 0x7060004
	s_or_b32 exec_lo, exec_lo, s0
	s_mov_b32 s0, exec_lo
	v_cmpx_gt_u32_e64 s1, v4
	s_cbranch_execnz .LBB708_9
	s_branch .LBB708_10
	.section	.rodata,"a",@progbits
	.p2align	6, 0x0
	.amdhsa_kernel _ZN7rocprim17ROCPRIM_400000_NS6detail17trampoline_kernelINS0_14default_configENS1_38merge_sort_block_merge_config_selectorIhNS0_10empty_typeEEEZZNS1_27merge_sort_block_merge_implIS3_N6thrust23THRUST_200600_302600_NS6detail15normal_iteratorINS9_10device_ptrIhEEEEPS5_m11less_div_10IhEEE10hipError_tT0_T1_T2_jT3_P12ihipStream_tbPNSt15iterator_traitsISJ_E10value_typeEPNSP_ISK_E10value_typeEPSL_NS1_7vsmem_tEENKUlT_SJ_SK_SL_E_clIPhSE_SF_SF_EESI_SY_SJ_SK_SL_EUlSY_E0_NS1_11comp_targetILNS1_3genE8ELNS1_11target_archE1030ELNS1_3gpuE2ELNS1_3repE0EEENS1_38merge_mergepath_config_static_selectorELNS0_4arch9wavefront6targetE0EEEvSK_
		.amdhsa_group_segment_fixed_size 1056
		.amdhsa_private_segment_fixed_size 0
		.amdhsa_kernarg_size 328
		.amdhsa_user_sgpr_count 6
		.amdhsa_user_sgpr_private_segment_buffer 1
		.amdhsa_user_sgpr_dispatch_ptr 0
		.amdhsa_user_sgpr_queue_ptr 0
		.amdhsa_user_sgpr_kernarg_segment_ptr 1
		.amdhsa_user_sgpr_dispatch_id 0
		.amdhsa_user_sgpr_flat_scratch_init 0
		.amdhsa_user_sgpr_private_segment_size 0
		.amdhsa_wavefront_size32 1
		.amdhsa_uses_dynamic_stack 0
		.amdhsa_system_sgpr_private_segment_wavefront_offset 0
		.amdhsa_system_sgpr_workgroup_id_x 1
		.amdhsa_system_sgpr_workgroup_id_y 1
		.amdhsa_system_sgpr_workgroup_id_z 1
		.amdhsa_system_sgpr_workgroup_info 0
		.amdhsa_system_vgpr_workitem_id 0
		.amdhsa_next_free_vgpr 27
		.amdhsa_next_free_sgpr 31
		.amdhsa_reserve_vcc 1
		.amdhsa_reserve_flat_scratch 0
		.amdhsa_float_round_mode_32 0
		.amdhsa_float_round_mode_16_64 0
		.amdhsa_float_denorm_mode_32 3
		.amdhsa_float_denorm_mode_16_64 3
		.amdhsa_dx10_clamp 1
		.amdhsa_ieee_mode 1
		.amdhsa_fp16_overflow 0
		.amdhsa_workgroup_processor_mode 1
		.amdhsa_memory_ordered 1
		.amdhsa_forward_progress 1
		.amdhsa_shared_vgpr_count 0
		.amdhsa_exception_fp_ieee_invalid_op 0
		.amdhsa_exception_fp_denorm_src 0
		.amdhsa_exception_fp_ieee_div_zero 0
		.amdhsa_exception_fp_ieee_overflow 0
		.amdhsa_exception_fp_ieee_underflow 0
		.amdhsa_exception_fp_ieee_inexact 0
		.amdhsa_exception_int_div_zero 0
	.end_amdhsa_kernel
	.section	.text._ZN7rocprim17ROCPRIM_400000_NS6detail17trampoline_kernelINS0_14default_configENS1_38merge_sort_block_merge_config_selectorIhNS0_10empty_typeEEEZZNS1_27merge_sort_block_merge_implIS3_N6thrust23THRUST_200600_302600_NS6detail15normal_iteratorINS9_10device_ptrIhEEEEPS5_m11less_div_10IhEEE10hipError_tT0_T1_T2_jT3_P12ihipStream_tbPNSt15iterator_traitsISJ_E10value_typeEPNSP_ISK_E10value_typeEPSL_NS1_7vsmem_tEENKUlT_SJ_SK_SL_E_clIPhSE_SF_SF_EESI_SY_SJ_SK_SL_EUlSY_E0_NS1_11comp_targetILNS1_3genE8ELNS1_11target_archE1030ELNS1_3gpuE2ELNS1_3repE0EEENS1_38merge_mergepath_config_static_selectorELNS0_4arch9wavefront6targetE0EEEvSK_,"axG",@progbits,_ZN7rocprim17ROCPRIM_400000_NS6detail17trampoline_kernelINS0_14default_configENS1_38merge_sort_block_merge_config_selectorIhNS0_10empty_typeEEEZZNS1_27merge_sort_block_merge_implIS3_N6thrust23THRUST_200600_302600_NS6detail15normal_iteratorINS9_10device_ptrIhEEEEPS5_m11less_div_10IhEEE10hipError_tT0_T1_T2_jT3_P12ihipStream_tbPNSt15iterator_traitsISJ_E10value_typeEPNSP_ISK_E10value_typeEPSL_NS1_7vsmem_tEENKUlT_SJ_SK_SL_E_clIPhSE_SF_SF_EESI_SY_SJ_SK_SL_EUlSY_E0_NS1_11comp_targetILNS1_3genE8ELNS1_11target_archE1030ELNS1_3gpuE2ELNS1_3repE0EEENS1_38merge_mergepath_config_static_selectorELNS0_4arch9wavefront6targetE0EEEvSK_,comdat
.Lfunc_end708:
	.size	_ZN7rocprim17ROCPRIM_400000_NS6detail17trampoline_kernelINS0_14default_configENS1_38merge_sort_block_merge_config_selectorIhNS0_10empty_typeEEEZZNS1_27merge_sort_block_merge_implIS3_N6thrust23THRUST_200600_302600_NS6detail15normal_iteratorINS9_10device_ptrIhEEEEPS5_m11less_div_10IhEEE10hipError_tT0_T1_T2_jT3_P12ihipStream_tbPNSt15iterator_traitsISJ_E10value_typeEPNSP_ISK_E10value_typeEPSL_NS1_7vsmem_tEENKUlT_SJ_SK_SL_E_clIPhSE_SF_SF_EESI_SY_SJ_SK_SL_EUlSY_E0_NS1_11comp_targetILNS1_3genE8ELNS1_11target_archE1030ELNS1_3gpuE2ELNS1_3repE0EEENS1_38merge_mergepath_config_static_selectorELNS0_4arch9wavefront6targetE0EEEvSK_, .Lfunc_end708-_ZN7rocprim17ROCPRIM_400000_NS6detail17trampoline_kernelINS0_14default_configENS1_38merge_sort_block_merge_config_selectorIhNS0_10empty_typeEEEZZNS1_27merge_sort_block_merge_implIS3_N6thrust23THRUST_200600_302600_NS6detail15normal_iteratorINS9_10device_ptrIhEEEEPS5_m11less_div_10IhEEE10hipError_tT0_T1_T2_jT3_P12ihipStream_tbPNSt15iterator_traitsISJ_E10value_typeEPNSP_ISK_E10value_typeEPSL_NS1_7vsmem_tEENKUlT_SJ_SK_SL_E_clIPhSE_SF_SF_EESI_SY_SJ_SK_SL_EUlSY_E0_NS1_11comp_targetILNS1_3genE8ELNS1_11target_archE1030ELNS1_3gpuE2ELNS1_3repE0EEENS1_38merge_mergepath_config_static_selectorELNS0_4arch9wavefront6targetE0EEEvSK_
                                        ; -- End function
	.set _ZN7rocprim17ROCPRIM_400000_NS6detail17trampoline_kernelINS0_14default_configENS1_38merge_sort_block_merge_config_selectorIhNS0_10empty_typeEEEZZNS1_27merge_sort_block_merge_implIS3_N6thrust23THRUST_200600_302600_NS6detail15normal_iteratorINS9_10device_ptrIhEEEEPS5_m11less_div_10IhEEE10hipError_tT0_T1_T2_jT3_P12ihipStream_tbPNSt15iterator_traitsISJ_E10value_typeEPNSP_ISK_E10value_typeEPSL_NS1_7vsmem_tEENKUlT_SJ_SK_SL_E_clIPhSE_SF_SF_EESI_SY_SJ_SK_SL_EUlSY_E0_NS1_11comp_targetILNS1_3genE8ELNS1_11target_archE1030ELNS1_3gpuE2ELNS1_3repE0EEENS1_38merge_mergepath_config_static_selectorELNS0_4arch9wavefront6targetE0EEEvSK_.num_vgpr, 27
	.set _ZN7rocprim17ROCPRIM_400000_NS6detail17trampoline_kernelINS0_14default_configENS1_38merge_sort_block_merge_config_selectorIhNS0_10empty_typeEEEZZNS1_27merge_sort_block_merge_implIS3_N6thrust23THRUST_200600_302600_NS6detail15normal_iteratorINS9_10device_ptrIhEEEEPS5_m11less_div_10IhEEE10hipError_tT0_T1_T2_jT3_P12ihipStream_tbPNSt15iterator_traitsISJ_E10value_typeEPNSP_ISK_E10value_typeEPSL_NS1_7vsmem_tEENKUlT_SJ_SK_SL_E_clIPhSE_SF_SF_EESI_SY_SJ_SK_SL_EUlSY_E0_NS1_11comp_targetILNS1_3genE8ELNS1_11target_archE1030ELNS1_3gpuE2ELNS1_3repE0EEENS1_38merge_mergepath_config_static_selectorELNS0_4arch9wavefront6targetE0EEEvSK_.num_agpr, 0
	.set _ZN7rocprim17ROCPRIM_400000_NS6detail17trampoline_kernelINS0_14default_configENS1_38merge_sort_block_merge_config_selectorIhNS0_10empty_typeEEEZZNS1_27merge_sort_block_merge_implIS3_N6thrust23THRUST_200600_302600_NS6detail15normal_iteratorINS9_10device_ptrIhEEEEPS5_m11less_div_10IhEEE10hipError_tT0_T1_T2_jT3_P12ihipStream_tbPNSt15iterator_traitsISJ_E10value_typeEPNSP_ISK_E10value_typeEPSL_NS1_7vsmem_tEENKUlT_SJ_SK_SL_E_clIPhSE_SF_SF_EESI_SY_SJ_SK_SL_EUlSY_E0_NS1_11comp_targetILNS1_3genE8ELNS1_11target_archE1030ELNS1_3gpuE2ELNS1_3repE0EEENS1_38merge_mergepath_config_static_selectorELNS0_4arch9wavefront6targetE0EEEvSK_.numbered_sgpr, 31
	.set _ZN7rocprim17ROCPRIM_400000_NS6detail17trampoline_kernelINS0_14default_configENS1_38merge_sort_block_merge_config_selectorIhNS0_10empty_typeEEEZZNS1_27merge_sort_block_merge_implIS3_N6thrust23THRUST_200600_302600_NS6detail15normal_iteratorINS9_10device_ptrIhEEEEPS5_m11less_div_10IhEEE10hipError_tT0_T1_T2_jT3_P12ihipStream_tbPNSt15iterator_traitsISJ_E10value_typeEPNSP_ISK_E10value_typeEPSL_NS1_7vsmem_tEENKUlT_SJ_SK_SL_E_clIPhSE_SF_SF_EESI_SY_SJ_SK_SL_EUlSY_E0_NS1_11comp_targetILNS1_3genE8ELNS1_11target_archE1030ELNS1_3gpuE2ELNS1_3repE0EEENS1_38merge_mergepath_config_static_selectorELNS0_4arch9wavefront6targetE0EEEvSK_.num_named_barrier, 0
	.set _ZN7rocprim17ROCPRIM_400000_NS6detail17trampoline_kernelINS0_14default_configENS1_38merge_sort_block_merge_config_selectorIhNS0_10empty_typeEEEZZNS1_27merge_sort_block_merge_implIS3_N6thrust23THRUST_200600_302600_NS6detail15normal_iteratorINS9_10device_ptrIhEEEEPS5_m11less_div_10IhEEE10hipError_tT0_T1_T2_jT3_P12ihipStream_tbPNSt15iterator_traitsISJ_E10value_typeEPNSP_ISK_E10value_typeEPSL_NS1_7vsmem_tEENKUlT_SJ_SK_SL_E_clIPhSE_SF_SF_EESI_SY_SJ_SK_SL_EUlSY_E0_NS1_11comp_targetILNS1_3genE8ELNS1_11target_archE1030ELNS1_3gpuE2ELNS1_3repE0EEENS1_38merge_mergepath_config_static_selectorELNS0_4arch9wavefront6targetE0EEEvSK_.private_seg_size, 0
	.set _ZN7rocprim17ROCPRIM_400000_NS6detail17trampoline_kernelINS0_14default_configENS1_38merge_sort_block_merge_config_selectorIhNS0_10empty_typeEEEZZNS1_27merge_sort_block_merge_implIS3_N6thrust23THRUST_200600_302600_NS6detail15normal_iteratorINS9_10device_ptrIhEEEEPS5_m11less_div_10IhEEE10hipError_tT0_T1_T2_jT3_P12ihipStream_tbPNSt15iterator_traitsISJ_E10value_typeEPNSP_ISK_E10value_typeEPSL_NS1_7vsmem_tEENKUlT_SJ_SK_SL_E_clIPhSE_SF_SF_EESI_SY_SJ_SK_SL_EUlSY_E0_NS1_11comp_targetILNS1_3genE8ELNS1_11target_archE1030ELNS1_3gpuE2ELNS1_3repE0EEENS1_38merge_mergepath_config_static_selectorELNS0_4arch9wavefront6targetE0EEEvSK_.uses_vcc, 1
	.set _ZN7rocprim17ROCPRIM_400000_NS6detail17trampoline_kernelINS0_14default_configENS1_38merge_sort_block_merge_config_selectorIhNS0_10empty_typeEEEZZNS1_27merge_sort_block_merge_implIS3_N6thrust23THRUST_200600_302600_NS6detail15normal_iteratorINS9_10device_ptrIhEEEEPS5_m11less_div_10IhEEE10hipError_tT0_T1_T2_jT3_P12ihipStream_tbPNSt15iterator_traitsISJ_E10value_typeEPNSP_ISK_E10value_typeEPSL_NS1_7vsmem_tEENKUlT_SJ_SK_SL_E_clIPhSE_SF_SF_EESI_SY_SJ_SK_SL_EUlSY_E0_NS1_11comp_targetILNS1_3genE8ELNS1_11target_archE1030ELNS1_3gpuE2ELNS1_3repE0EEENS1_38merge_mergepath_config_static_selectorELNS0_4arch9wavefront6targetE0EEEvSK_.uses_flat_scratch, 0
	.set _ZN7rocprim17ROCPRIM_400000_NS6detail17trampoline_kernelINS0_14default_configENS1_38merge_sort_block_merge_config_selectorIhNS0_10empty_typeEEEZZNS1_27merge_sort_block_merge_implIS3_N6thrust23THRUST_200600_302600_NS6detail15normal_iteratorINS9_10device_ptrIhEEEEPS5_m11less_div_10IhEEE10hipError_tT0_T1_T2_jT3_P12ihipStream_tbPNSt15iterator_traitsISJ_E10value_typeEPNSP_ISK_E10value_typeEPSL_NS1_7vsmem_tEENKUlT_SJ_SK_SL_E_clIPhSE_SF_SF_EESI_SY_SJ_SK_SL_EUlSY_E0_NS1_11comp_targetILNS1_3genE8ELNS1_11target_archE1030ELNS1_3gpuE2ELNS1_3repE0EEENS1_38merge_mergepath_config_static_selectorELNS0_4arch9wavefront6targetE0EEEvSK_.has_dyn_sized_stack, 0
	.set _ZN7rocprim17ROCPRIM_400000_NS6detail17trampoline_kernelINS0_14default_configENS1_38merge_sort_block_merge_config_selectorIhNS0_10empty_typeEEEZZNS1_27merge_sort_block_merge_implIS3_N6thrust23THRUST_200600_302600_NS6detail15normal_iteratorINS9_10device_ptrIhEEEEPS5_m11less_div_10IhEEE10hipError_tT0_T1_T2_jT3_P12ihipStream_tbPNSt15iterator_traitsISJ_E10value_typeEPNSP_ISK_E10value_typeEPSL_NS1_7vsmem_tEENKUlT_SJ_SK_SL_E_clIPhSE_SF_SF_EESI_SY_SJ_SK_SL_EUlSY_E0_NS1_11comp_targetILNS1_3genE8ELNS1_11target_archE1030ELNS1_3gpuE2ELNS1_3repE0EEENS1_38merge_mergepath_config_static_selectorELNS0_4arch9wavefront6targetE0EEEvSK_.has_recursion, 0
	.set _ZN7rocprim17ROCPRIM_400000_NS6detail17trampoline_kernelINS0_14default_configENS1_38merge_sort_block_merge_config_selectorIhNS0_10empty_typeEEEZZNS1_27merge_sort_block_merge_implIS3_N6thrust23THRUST_200600_302600_NS6detail15normal_iteratorINS9_10device_ptrIhEEEEPS5_m11less_div_10IhEEE10hipError_tT0_T1_T2_jT3_P12ihipStream_tbPNSt15iterator_traitsISJ_E10value_typeEPNSP_ISK_E10value_typeEPSL_NS1_7vsmem_tEENKUlT_SJ_SK_SL_E_clIPhSE_SF_SF_EESI_SY_SJ_SK_SL_EUlSY_E0_NS1_11comp_targetILNS1_3genE8ELNS1_11target_archE1030ELNS1_3gpuE2ELNS1_3repE0EEENS1_38merge_mergepath_config_static_selectorELNS0_4arch9wavefront6targetE0EEEvSK_.has_indirect_call, 0
	.section	.AMDGPU.csdata,"",@progbits
; Kernel info:
; codeLenInByte = 4540
; TotalNumSgprs: 33
; NumVgprs: 27
; ScratchSize: 0
; MemoryBound: 0
; FloatMode: 240
; IeeeMode: 1
; LDSByteSize: 1056 bytes/workgroup (compile time only)
; SGPRBlocks: 0
; VGPRBlocks: 3
; NumSGPRsForWavesPerEU: 33
; NumVGPRsForWavesPerEU: 27
; Occupancy: 16
; WaveLimiterHint : 1
; COMPUTE_PGM_RSRC2:SCRATCH_EN: 0
; COMPUTE_PGM_RSRC2:USER_SGPR: 6
; COMPUTE_PGM_RSRC2:TRAP_HANDLER: 0
; COMPUTE_PGM_RSRC2:TGID_X_EN: 1
; COMPUTE_PGM_RSRC2:TGID_Y_EN: 1
; COMPUTE_PGM_RSRC2:TGID_Z_EN: 1
; COMPUTE_PGM_RSRC2:TIDIG_COMP_CNT: 0
	.section	.text._ZN7rocprim17ROCPRIM_400000_NS6detail17trampoline_kernelINS0_14default_configENS1_38merge_sort_block_merge_config_selectorIhNS0_10empty_typeEEEZZNS1_27merge_sort_block_merge_implIS3_N6thrust23THRUST_200600_302600_NS6detail15normal_iteratorINS9_10device_ptrIhEEEEPS5_m11less_div_10IhEEE10hipError_tT0_T1_T2_jT3_P12ihipStream_tbPNSt15iterator_traitsISJ_E10value_typeEPNSP_ISK_E10value_typeEPSL_NS1_7vsmem_tEENKUlT_SJ_SK_SL_E_clIPhSE_SF_SF_EESI_SY_SJ_SK_SL_EUlSY_E1_NS1_11comp_targetILNS1_3genE0ELNS1_11target_archE4294967295ELNS1_3gpuE0ELNS1_3repE0EEENS1_36merge_oddeven_config_static_selectorELNS0_4arch9wavefront6targetE0EEEvSK_,"axG",@progbits,_ZN7rocprim17ROCPRIM_400000_NS6detail17trampoline_kernelINS0_14default_configENS1_38merge_sort_block_merge_config_selectorIhNS0_10empty_typeEEEZZNS1_27merge_sort_block_merge_implIS3_N6thrust23THRUST_200600_302600_NS6detail15normal_iteratorINS9_10device_ptrIhEEEEPS5_m11less_div_10IhEEE10hipError_tT0_T1_T2_jT3_P12ihipStream_tbPNSt15iterator_traitsISJ_E10value_typeEPNSP_ISK_E10value_typeEPSL_NS1_7vsmem_tEENKUlT_SJ_SK_SL_E_clIPhSE_SF_SF_EESI_SY_SJ_SK_SL_EUlSY_E1_NS1_11comp_targetILNS1_3genE0ELNS1_11target_archE4294967295ELNS1_3gpuE0ELNS1_3repE0EEENS1_36merge_oddeven_config_static_selectorELNS0_4arch9wavefront6targetE0EEEvSK_,comdat
	.protected	_ZN7rocprim17ROCPRIM_400000_NS6detail17trampoline_kernelINS0_14default_configENS1_38merge_sort_block_merge_config_selectorIhNS0_10empty_typeEEEZZNS1_27merge_sort_block_merge_implIS3_N6thrust23THRUST_200600_302600_NS6detail15normal_iteratorINS9_10device_ptrIhEEEEPS5_m11less_div_10IhEEE10hipError_tT0_T1_T2_jT3_P12ihipStream_tbPNSt15iterator_traitsISJ_E10value_typeEPNSP_ISK_E10value_typeEPSL_NS1_7vsmem_tEENKUlT_SJ_SK_SL_E_clIPhSE_SF_SF_EESI_SY_SJ_SK_SL_EUlSY_E1_NS1_11comp_targetILNS1_3genE0ELNS1_11target_archE4294967295ELNS1_3gpuE0ELNS1_3repE0EEENS1_36merge_oddeven_config_static_selectorELNS0_4arch9wavefront6targetE0EEEvSK_ ; -- Begin function _ZN7rocprim17ROCPRIM_400000_NS6detail17trampoline_kernelINS0_14default_configENS1_38merge_sort_block_merge_config_selectorIhNS0_10empty_typeEEEZZNS1_27merge_sort_block_merge_implIS3_N6thrust23THRUST_200600_302600_NS6detail15normal_iteratorINS9_10device_ptrIhEEEEPS5_m11less_div_10IhEEE10hipError_tT0_T1_T2_jT3_P12ihipStream_tbPNSt15iterator_traitsISJ_E10value_typeEPNSP_ISK_E10value_typeEPSL_NS1_7vsmem_tEENKUlT_SJ_SK_SL_E_clIPhSE_SF_SF_EESI_SY_SJ_SK_SL_EUlSY_E1_NS1_11comp_targetILNS1_3genE0ELNS1_11target_archE4294967295ELNS1_3gpuE0ELNS1_3repE0EEENS1_36merge_oddeven_config_static_selectorELNS0_4arch9wavefront6targetE0EEEvSK_
	.globl	_ZN7rocprim17ROCPRIM_400000_NS6detail17trampoline_kernelINS0_14default_configENS1_38merge_sort_block_merge_config_selectorIhNS0_10empty_typeEEEZZNS1_27merge_sort_block_merge_implIS3_N6thrust23THRUST_200600_302600_NS6detail15normal_iteratorINS9_10device_ptrIhEEEEPS5_m11less_div_10IhEEE10hipError_tT0_T1_T2_jT3_P12ihipStream_tbPNSt15iterator_traitsISJ_E10value_typeEPNSP_ISK_E10value_typeEPSL_NS1_7vsmem_tEENKUlT_SJ_SK_SL_E_clIPhSE_SF_SF_EESI_SY_SJ_SK_SL_EUlSY_E1_NS1_11comp_targetILNS1_3genE0ELNS1_11target_archE4294967295ELNS1_3gpuE0ELNS1_3repE0EEENS1_36merge_oddeven_config_static_selectorELNS0_4arch9wavefront6targetE0EEEvSK_
	.p2align	8
	.type	_ZN7rocprim17ROCPRIM_400000_NS6detail17trampoline_kernelINS0_14default_configENS1_38merge_sort_block_merge_config_selectorIhNS0_10empty_typeEEEZZNS1_27merge_sort_block_merge_implIS3_N6thrust23THRUST_200600_302600_NS6detail15normal_iteratorINS9_10device_ptrIhEEEEPS5_m11less_div_10IhEEE10hipError_tT0_T1_T2_jT3_P12ihipStream_tbPNSt15iterator_traitsISJ_E10value_typeEPNSP_ISK_E10value_typeEPSL_NS1_7vsmem_tEENKUlT_SJ_SK_SL_E_clIPhSE_SF_SF_EESI_SY_SJ_SK_SL_EUlSY_E1_NS1_11comp_targetILNS1_3genE0ELNS1_11target_archE4294967295ELNS1_3gpuE0ELNS1_3repE0EEENS1_36merge_oddeven_config_static_selectorELNS0_4arch9wavefront6targetE0EEEvSK_,@function
_ZN7rocprim17ROCPRIM_400000_NS6detail17trampoline_kernelINS0_14default_configENS1_38merge_sort_block_merge_config_selectorIhNS0_10empty_typeEEEZZNS1_27merge_sort_block_merge_implIS3_N6thrust23THRUST_200600_302600_NS6detail15normal_iteratorINS9_10device_ptrIhEEEEPS5_m11less_div_10IhEEE10hipError_tT0_T1_T2_jT3_P12ihipStream_tbPNSt15iterator_traitsISJ_E10value_typeEPNSP_ISK_E10value_typeEPSL_NS1_7vsmem_tEENKUlT_SJ_SK_SL_E_clIPhSE_SF_SF_EESI_SY_SJ_SK_SL_EUlSY_E1_NS1_11comp_targetILNS1_3genE0ELNS1_11target_archE4294967295ELNS1_3gpuE0ELNS1_3repE0EEENS1_36merge_oddeven_config_static_selectorELNS0_4arch9wavefront6targetE0EEEvSK_: ; @_ZN7rocprim17ROCPRIM_400000_NS6detail17trampoline_kernelINS0_14default_configENS1_38merge_sort_block_merge_config_selectorIhNS0_10empty_typeEEEZZNS1_27merge_sort_block_merge_implIS3_N6thrust23THRUST_200600_302600_NS6detail15normal_iteratorINS9_10device_ptrIhEEEEPS5_m11less_div_10IhEEE10hipError_tT0_T1_T2_jT3_P12ihipStream_tbPNSt15iterator_traitsISJ_E10value_typeEPNSP_ISK_E10value_typeEPSL_NS1_7vsmem_tEENKUlT_SJ_SK_SL_E_clIPhSE_SF_SF_EESI_SY_SJ_SK_SL_EUlSY_E1_NS1_11comp_targetILNS1_3genE0ELNS1_11target_archE4294967295ELNS1_3gpuE0ELNS1_3repE0EEENS1_36merge_oddeven_config_static_selectorELNS0_4arch9wavefront6targetE0EEEvSK_
; %bb.0:
	.section	.rodata,"a",@progbits
	.p2align	6, 0x0
	.amdhsa_kernel _ZN7rocprim17ROCPRIM_400000_NS6detail17trampoline_kernelINS0_14default_configENS1_38merge_sort_block_merge_config_selectorIhNS0_10empty_typeEEEZZNS1_27merge_sort_block_merge_implIS3_N6thrust23THRUST_200600_302600_NS6detail15normal_iteratorINS9_10device_ptrIhEEEEPS5_m11less_div_10IhEEE10hipError_tT0_T1_T2_jT3_P12ihipStream_tbPNSt15iterator_traitsISJ_E10value_typeEPNSP_ISK_E10value_typeEPSL_NS1_7vsmem_tEENKUlT_SJ_SK_SL_E_clIPhSE_SF_SF_EESI_SY_SJ_SK_SL_EUlSY_E1_NS1_11comp_targetILNS1_3genE0ELNS1_11target_archE4294967295ELNS1_3gpuE0ELNS1_3repE0EEENS1_36merge_oddeven_config_static_selectorELNS0_4arch9wavefront6targetE0EEEvSK_
		.amdhsa_group_segment_fixed_size 0
		.amdhsa_private_segment_fixed_size 0
		.amdhsa_kernarg_size 56
		.amdhsa_user_sgpr_count 6
		.amdhsa_user_sgpr_private_segment_buffer 1
		.amdhsa_user_sgpr_dispatch_ptr 0
		.amdhsa_user_sgpr_queue_ptr 0
		.amdhsa_user_sgpr_kernarg_segment_ptr 1
		.amdhsa_user_sgpr_dispatch_id 0
		.amdhsa_user_sgpr_flat_scratch_init 0
		.amdhsa_user_sgpr_private_segment_size 0
		.amdhsa_wavefront_size32 1
		.amdhsa_uses_dynamic_stack 0
		.amdhsa_system_sgpr_private_segment_wavefront_offset 0
		.amdhsa_system_sgpr_workgroup_id_x 1
		.amdhsa_system_sgpr_workgroup_id_y 0
		.amdhsa_system_sgpr_workgroup_id_z 0
		.amdhsa_system_sgpr_workgroup_info 0
		.amdhsa_system_vgpr_workitem_id 0
		.amdhsa_next_free_vgpr 1
		.amdhsa_next_free_sgpr 1
		.amdhsa_reserve_vcc 0
		.amdhsa_reserve_flat_scratch 0
		.amdhsa_float_round_mode_32 0
		.amdhsa_float_round_mode_16_64 0
		.amdhsa_float_denorm_mode_32 3
		.amdhsa_float_denorm_mode_16_64 3
		.amdhsa_dx10_clamp 1
		.amdhsa_ieee_mode 1
		.amdhsa_fp16_overflow 0
		.amdhsa_workgroup_processor_mode 1
		.amdhsa_memory_ordered 1
		.amdhsa_forward_progress 1
		.amdhsa_shared_vgpr_count 0
		.amdhsa_exception_fp_ieee_invalid_op 0
		.amdhsa_exception_fp_denorm_src 0
		.amdhsa_exception_fp_ieee_div_zero 0
		.amdhsa_exception_fp_ieee_overflow 0
		.amdhsa_exception_fp_ieee_underflow 0
		.amdhsa_exception_fp_ieee_inexact 0
		.amdhsa_exception_int_div_zero 0
	.end_amdhsa_kernel
	.section	.text._ZN7rocprim17ROCPRIM_400000_NS6detail17trampoline_kernelINS0_14default_configENS1_38merge_sort_block_merge_config_selectorIhNS0_10empty_typeEEEZZNS1_27merge_sort_block_merge_implIS3_N6thrust23THRUST_200600_302600_NS6detail15normal_iteratorINS9_10device_ptrIhEEEEPS5_m11less_div_10IhEEE10hipError_tT0_T1_T2_jT3_P12ihipStream_tbPNSt15iterator_traitsISJ_E10value_typeEPNSP_ISK_E10value_typeEPSL_NS1_7vsmem_tEENKUlT_SJ_SK_SL_E_clIPhSE_SF_SF_EESI_SY_SJ_SK_SL_EUlSY_E1_NS1_11comp_targetILNS1_3genE0ELNS1_11target_archE4294967295ELNS1_3gpuE0ELNS1_3repE0EEENS1_36merge_oddeven_config_static_selectorELNS0_4arch9wavefront6targetE0EEEvSK_,"axG",@progbits,_ZN7rocprim17ROCPRIM_400000_NS6detail17trampoline_kernelINS0_14default_configENS1_38merge_sort_block_merge_config_selectorIhNS0_10empty_typeEEEZZNS1_27merge_sort_block_merge_implIS3_N6thrust23THRUST_200600_302600_NS6detail15normal_iteratorINS9_10device_ptrIhEEEEPS5_m11less_div_10IhEEE10hipError_tT0_T1_T2_jT3_P12ihipStream_tbPNSt15iterator_traitsISJ_E10value_typeEPNSP_ISK_E10value_typeEPSL_NS1_7vsmem_tEENKUlT_SJ_SK_SL_E_clIPhSE_SF_SF_EESI_SY_SJ_SK_SL_EUlSY_E1_NS1_11comp_targetILNS1_3genE0ELNS1_11target_archE4294967295ELNS1_3gpuE0ELNS1_3repE0EEENS1_36merge_oddeven_config_static_selectorELNS0_4arch9wavefront6targetE0EEEvSK_,comdat
.Lfunc_end709:
	.size	_ZN7rocprim17ROCPRIM_400000_NS6detail17trampoline_kernelINS0_14default_configENS1_38merge_sort_block_merge_config_selectorIhNS0_10empty_typeEEEZZNS1_27merge_sort_block_merge_implIS3_N6thrust23THRUST_200600_302600_NS6detail15normal_iteratorINS9_10device_ptrIhEEEEPS5_m11less_div_10IhEEE10hipError_tT0_T1_T2_jT3_P12ihipStream_tbPNSt15iterator_traitsISJ_E10value_typeEPNSP_ISK_E10value_typeEPSL_NS1_7vsmem_tEENKUlT_SJ_SK_SL_E_clIPhSE_SF_SF_EESI_SY_SJ_SK_SL_EUlSY_E1_NS1_11comp_targetILNS1_3genE0ELNS1_11target_archE4294967295ELNS1_3gpuE0ELNS1_3repE0EEENS1_36merge_oddeven_config_static_selectorELNS0_4arch9wavefront6targetE0EEEvSK_, .Lfunc_end709-_ZN7rocprim17ROCPRIM_400000_NS6detail17trampoline_kernelINS0_14default_configENS1_38merge_sort_block_merge_config_selectorIhNS0_10empty_typeEEEZZNS1_27merge_sort_block_merge_implIS3_N6thrust23THRUST_200600_302600_NS6detail15normal_iteratorINS9_10device_ptrIhEEEEPS5_m11less_div_10IhEEE10hipError_tT0_T1_T2_jT3_P12ihipStream_tbPNSt15iterator_traitsISJ_E10value_typeEPNSP_ISK_E10value_typeEPSL_NS1_7vsmem_tEENKUlT_SJ_SK_SL_E_clIPhSE_SF_SF_EESI_SY_SJ_SK_SL_EUlSY_E1_NS1_11comp_targetILNS1_3genE0ELNS1_11target_archE4294967295ELNS1_3gpuE0ELNS1_3repE0EEENS1_36merge_oddeven_config_static_selectorELNS0_4arch9wavefront6targetE0EEEvSK_
                                        ; -- End function
	.set _ZN7rocprim17ROCPRIM_400000_NS6detail17trampoline_kernelINS0_14default_configENS1_38merge_sort_block_merge_config_selectorIhNS0_10empty_typeEEEZZNS1_27merge_sort_block_merge_implIS3_N6thrust23THRUST_200600_302600_NS6detail15normal_iteratorINS9_10device_ptrIhEEEEPS5_m11less_div_10IhEEE10hipError_tT0_T1_T2_jT3_P12ihipStream_tbPNSt15iterator_traitsISJ_E10value_typeEPNSP_ISK_E10value_typeEPSL_NS1_7vsmem_tEENKUlT_SJ_SK_SL_E_clIPhSE_SF_SF_EESI_SY_SJ_SK_SL_EUlSY_E1_NS1_11comp_targetILNS1_3genE0ELNS1_11target_archE4294967295ELNS1_3gpuE0ELNS1_3repE0EEENS1_36merge_oddeven_config_static_selectorELNS0_4arch9wavefront6targetE0EEEvSK_.num_vgpr, 0
	.set _ZN7rocprim17ROCPRIM_400000_NS6detail17trampoline_kernelINS0_14default_configENS1_38merge_sort_block_merge_config_selectorIhNS0_10empty_typeEEEZZNS1_27merge_sort_block_merge_implIS3_N6thrust23THRUST_200600_302600_NS6detail15normal_iteratorINS9_10device_ptrIhEEEEPS5_m11less_div_10IhEEE10hipError_tT0_T1_T2_jT3_P12ihipStream_tbPNSt15iterator_traitsISJ_E10value_typeEPNSP_ISK_E10value_typeEPSL_NS1_7vsmem_tEENKUlT_SJ_SK_SL_E_clIPhSE_SF_SF_EESI_SY_SJ_SK_SL_EUlSY_E1_NS1_11comp_targetILNS1_3genE0ELNS1_11target_archE4294967295ELNS1_3gpuE0ELNS1_3repE0EEENS1_36merge_oddeven_config_static_selectorELNS0_4arch9wavefront6targetE0EEEvSK_.num_agpr, 0
	.set _ZN7rocprim17ROCPRIM_400000_NS6detail17trampoline_kernelINS0_14default_configENS1_38merge_sort_block_merge_config_selectorIhNS0_10empty_typeEEEZZNS1_27merge_sort_block_merge_implIS3_N6thrust23THRUST_200600_302600_NS6detail15normal_iteratorINS9_10device_ptrIhEEEEPS5_m11less_div_10IhEEE10hipError_tT0_T1_T2_jT3_P12ihipStream_tbPNSt15iterator_traitsISJ_E10value_typeEPNSP_ISK_E10value_typeEPSL_NS1_7vsmem_tEENKUlT_SJ_SK_SL_E_clIPhSE_SF_SF_EESI_SY_SJ_SK_SL_EUlSY_E1_NS1_11comp_targetILNS1_3genE0ELNS1_11target_archE4294967295ELNS1_3gpuE0ELNS1_3repE0EEENS1_36merge_oddeven_config_static_selectorELNS0_4arch9wavefront6targetE0EEEvSK_.numbered_sgpr, 0
	.set _ZN7rocprim17ROCPRIM_400000_NS6detail17trampoline_kernelINS0_14default_configENS1_38merge_sort_block_merge_config_selectorIhNS0_10empty_typeEEEZZNS1_27merge_sort_block_merge_implIS3_N6thrust23THRUST_200600_302600_NS6detail15normal_iteratorINS9_10device_ptrIhEEEEPS5_m11less_div_10IhEEE10hipError_tT0_T1_T2_jT3_P12ihipStream_tbPNSt15iterator_traitsISJ_E10value_typeEPNSP_ISK_E10value_typeEPSL_NS1_7vsmem_tEENKUlT_SJ_SK_SL_E_clIPhSE_SF_SF_EESI_SY_SJ_SK_SL_EUlSY_E1_NS1_11comp_targetILNS1_3genE0ELNS1_11target_archE4294967295ELNS1_3gpuE0ELNS1_3repE0EEENS1_36merge_oddeven_config_static_selectorELNS0_4arch9wavefront6targetE0EEEvSK_.num_named_barrier, 0
	.set _ZN7rocprim17ROCPRIM_400000_NS6detail17trampoline_kernelINS0_14default_configENS1_38merge_sort_block_merge_config_selectorIhNS0_10empty_typeEEEZZNS1_27merge_sort_block_merge_implIS3_N6thrust23THRUST_200600_302600_NS6detail15normal_iteratorINS9_10device_ptrIhEEEEPS5_m11less_div_10IhEEE10hipError_tT0_T1_T2_jT3_P12ihipStream_tbPNSt15iterator_traitsISJ_E10value_typeEPNSP_ISK_E10value_typeEPSL_NS1_7vsmem_tEENKUlT_SJ_SK_SL_E_clIPhSE_SF_SF_EESI_SY_SJ_SK_SL_EUlSY_E1_NS1_11comp_targetILNS1_3genE0ELNS1_11target_archE4294967295ELNS1_3gpuE0ELNS1_3repE0EEENS1_36merge_oddeven_config_static_selectorELNS0_4arch9wavefront6targetE0EEEvSK_.private_seg_size, 0
	.set _ZN7rocprim17ROCPRIM_400000_NS6detail17trampoline_kernelINS0_14default_configENS1_38merge_sort_block_merge_config_selectorIhNS0_10empty_typeEEEZZNS1_27merge_sort_block_merge_implIS3_N6thrust23THRUST_200600_302600_NS6detail15normal_iteratorINS9_10device_ptrIhEEEEPS5_m11less_div_10IhEEE10hipError_tT0_T1_T2_jT3_P12ihipStream_tbPNSt15iterator_traitsISJ_E10value_typeEPNSP_ISK_E10value_typeEPSL_NS1_7vsmem_tEENKUlT_SJ_SK_SL_E_clIPhSE_SF_SF_EESI_SY_SJ_SK_SL_EUlSY_E1_NS1_11comp_targetILNS1_3genE0ELNS1_11target_archE4294967295ELNS1_3gpuE0ELNS1_3repE0EEENS1_36merge_oddeven_config_static_selectorELNS0_4arch9wavefront6targetE0EEEvSK_.uses_vcc, 0
	.set _ZN7rocprim17ROCPRIM_400000_NS6detail17trampoline_kernelINS0_14default_configENS1_38merge_sort_block_merge_config_selectorIhNS0_10empty_typeEEEZZNS1_27merge_sort_block_merge_implIS3_N6thrust23THRUST_200600_302600_NS6detail15normal_iteratorINS9_10device_ptrIhEEEEPS5_m11less_div_10IhEEE10hipError_tT0_T1_T2_jT3_P12ihipStream_tbPNSt15iterator_traitsISJ_E10value_typeEPNSP_ISK_E10value_typeEPSL_NS1_7vsmem_tEENKUlT_SJ_SK_SL_E_clIPhSE_SF_SF_EESI_SY_SJ_SK_SL_EUlSY_E1_NS1_11comp_targetILNS1_3genE0ELNS1_11target_archE4294967295ELNS1_3gpuE0ELNS1_3repE0EEENS1_36merge_oddeven_config_static_selectorELNS0_4arch9wavefront6targetE0EEEvSK_.uses_flat_scratch, 0
	.set _ZN7rocprim17ROCPRIM_400000_NS6detail17trampoline_kernelINS0_14default_configENS1_38merge_sort_block_merge_config_selectorIhNS0_10empty_typeEEEZZNS1_27merge_sort_block_merge_implIS3_N6thrust23THRUST_200600_302600_NS6detail15normal_iteratorINS9_10device_ptrIhEEEEPS5_m11less_div_10IhEEE10hipError_tT0_T1_T2_jT3_P12ihipStream_tbPNSt15iterator_traitsISJ_E10value_typeEPNSP_ISK_E10value_typeEPSL_NS1_7vsmem_tEENKUlT_SJ_SK_SL_E_clIPhSE_SF_SF_EESI_SY_SJ_SK_SL_EUlSY_E1_NS1_11comp_targetILNS1_3genE0ELNS1_11target_archE4294967295ELNS1_3gpuE0ELNS1_3repE0EEENS1_36merge_oddeven_config_static_selectorELNS0_4arch9wavefront6targetE0EEEvSK_.has_dyn_sized_stack, 0
	.set _ZN7rocprim17ROCPRIM_400000_NS6detail17trampoline_kernelINS0_14default_configENS1_38merge_sort_block_merge_config_selectorIhNS0_10empty_typeEEEZZNS1_27merge_sort_block_merge_implIS3_N6thrust23THRUST_200600_302600_NS6detail15normal_iteratorINS9_10device_ptrIhEEEEPS5_m11less_div_10IhEEE10hipError_tT0_T1_T2_jT3_P12ihipStream_tbPNSt15iterator_traitsISJ_E10value_typeEPNSP_ISK_E10value_typeEPSL_NS1_7vsmem_tEENKUlT_SJ_SK_SL_E_clIPhSE_SF_SF_EESI_SY_SJ_SK_SL_EUlSY_E1_NS1_11comp_targetILNS1_3genE0ELNS1_11target_archE4294967295ELNS1_3gpuE0ELNS1_3repE0EEENS1_36merge_oddeven_config_static_selectorELNS0_4arch9wavefront6targetE0EEEvSK_.has_recursion, 0
	.set _ZN7rocprim17ROCPRIM_400000_NS6detail17trampoline_kernelINS0_14default_configENS1_38merge_sort_block_merge_config_selectorIhNS0_10empty_typeEEEZZNS1_27merge_sort_block_merge_implIS3_N6thrust23THRUST_200600_302600_NS6detail15normal_iteratorINS9_10device_ptrIhEEEEPS5_m11less_div_10IhEEE10hipError_tT0_T1_T2_jT3_P12ihipStream_tbPNSt15iterator_traitsISJ_E10value_typeEPNSP_ISK_E10value_typeEPSL_NS1_7vsmem_tEENKUlT_SJ_SK_SL_E_clIPhSE_SF_SF_EESI_SY_SJ_SK_SL_EUlSY_E1_NS1_11comp_targetILNS1_3genE0ELNS1_11target_archE4294967295ELNS1_3gpuE0ELNS1_3repE0EEENS1_36merge_oddeven_config_static_selectorELNS0_4arch9wavefront6targetE0EEEvSK_.has_indirect_call, 0
	.section	.AMDGPU.csdata,"",@progbits
; Kernel info:
; codeLenInByte = 0
; TotalNumSgprs: 0
; NumVgprs: 0
; ScratchSize: 0
; MemoryBound: 0
; FloatMode: 240
; IeeeMode: 1
; LDSByteSize: 0 bytes/workgroup (compile time only)
; SGPRBlocks: 0
; VGPRBlocks: 0
; NumSGPRsForWavesPerEU: 1
; NumVGPRsForWavesPerEU: 1
; Occupancy: 16
; WaveLimiterHint : 0
; COMPUTE_PGM_RSRC2:SCRATCH_EN: 0
; COMPUTE_PGM_RSRC2:USER_SGPR: 6
; COMPUTE_PGM_RSRC2:TRAP_HANDLER: 0
; COMPUTE_PGM_RSRC2:TGID_X_EN: 1
; COMPUTE_PGM_RSRC2:TGID_Y_EN: 0
; COMPUTE_PGM_RSRC2:TGID_Z_EN: 0
; COMPUTE_PGM_RSRC2:TIDIG_COMP_CNT: 0
	.section	.text._ZN7rocprim17ROCPRIM_400000_NS6detail17trampoline_kernelINS0_14default_configENS1_38merge_sort_block_merge_config_selectorIhNS0_10empty_typeEEEZZNS1_27merge_sort_block_merge_implIS3_N6thrust23THRUST_200600_302600_NS6detail15normal_iteratorINS9_10device_ptrIhEEEEPS5_m11less_div_10IhEEE10hipError_tT0_T1_T2_jT3_P12ihipStream_tbPNSt15iterator_traitsISJ_E10value_typeEPNSP_ISK_E10value_typeEPSL_NS1_7vsmem_tEENKUlT_SJ_SK_SL_E_clIPhSE_SF_SF_EESI_SY_SJ_SK_SL_EUlSY_E1_NS1_11comp_targetILNS1_3genE10ELNS1_11target_archE1201ELNS1_3gpuE5ELNS1_3repE0EEENS1_36merge_oddeven_config_static_selectorELNS0_4arch9wavefront6targetE0EEEvSK_,"axG",@progbits,_ZN7rocprim17ROCPRIM_400000_NS6detail17trampoline_kernelINS0_14default_configENS1_38merge_sort_block_merge_config_selectorIhNS0_10empty_typeEEEZZNS1_27merge_sort_block_merge_implIS3_N6thrust23THRUST_200600_302600_NS6detail15normal_iteratorINS9_10device_ptrIhEEEEPS5_m11less_div_10IhEEE10hipError_tT0_T1_T2_jT3_P12ihipStream_tbPNSt15iterator_traitsISJ_E10value_typeEPNSP_ISK_E10value_typeEPSL_NS1_7vsmem_tEENKUlT_SJ_SK_SL_E_clIPhSE_SF_SF_EESI_SY_SJ_SK_SL_EUlSY_E1_NS1_11comp_targetILNS1_3genE10ELNS1_11target_archE1201ELNS1_3gpuE5ELNS1_3repE0EEENS1_36merge_oddeven_config_static_selectorELNS0_4arch9wavefront6targetE0EEEvSK_,comdat
	.protected	_ZN7rocprim17ROCPRIM_400000_NS6detail17trampoline_kernelINS0_14default_configENS1_38merge_sort_block_merge_config_selectorIhNS0_10empty_typeEEEZZNS1_27merge_sort_block_merge_implIS3_N6thrust23THRUST_200600_302600_NS6detail15normal_iteratorINS9_10device_ptrIhEEEEPS5_m11less_div_10IhEEE10hipError_tT0_T1_T2_jT3_P12ihipStream_tbPNSt15iterator_traitsISJ_E10value_typeEPNSP_ISK_E10value_typeEPSL_NS1_7vsmem_tEENKUlT_SJ_SK_SL_E_clIPhSE_SF_SF_EESI_SY_SJ_SK_SL_EUlSY_E1_NS1_11comp_targetILNS1_3genE10ELNS1_11target_archE1201ELNS1_3gpuE5ELNS1_3repE0EEENS1_36merge_oddeven_config_static_selectorELNS0_4arch9wavefront6targetE0EEEvSK_ ; -- Begin function _ZN7rocprim17ROCPRIM_400000_NS6detail17trampoline_kernelINS0_14default_configENS1_38merge_sort_block_merge_config_selectorIhNS0_10empty_typeEEEZZNS1_27merge_sort_block_merge_implIS3_N6thrust23THRUST_200600_302600_NS6detail15normal_iteratorINS9_10device_ptrIhEEEEPS5_m11less_div_10IhEEE10hipError_tT0_T1_T2_jT3_P12ihipStream_tbPNSt15iterator_traitsISJ_E10value_typeEPNSP_ISK_E10value_typeEPSL_NS1_7vsmem_tEENKUlT_SJ_SK_SL_E_clIPhSE_SF_SF_EESI_SY_SJ_SK_SL_EUlSY_E1_NS1_11comp_targetILNS1_3genE10ELNS1_11target_archE1201ELNS1_3gpuE5ELNS1_3repE0EEENS1_36merge_oddeven_config_static_selectorELNS0_4arch9wavefront6targetE0EEEvSK_
	.globl	_ZN7rocprim17ROCPRIM_400000_NS6detail17trampoline_kernelINS0_14default_configENS1_38merge_sort_block_merge_config_selectorIhNS0_10empty_typeEEEZZNS1_27merge_sort_block_merge_implIS3_N6thrust23THRUST_200600_302600_NS6detail15normal_iteratorINS9_10device_ptrIhEEEEPS5_m11less_div_10IhEEE10hipError_tT0_T1_T2_jT3_P12ihipStream_tbPNSt15iterator_traitsISJ_E10value_typeEPNSP_ISK_E10value_typeEPSL_NS1_7vsmem_tEENKUlT_SJ_SK_SL_E_clIPhSE_SF_SF_EESI_SY_SJ_SK_SL_EUlSY_E1_NS1_11comp_targetILNS1_3genE10ELNS1_11target_archE1201ELNS1_3gpuE5ELNS1_3repE0EEENS1_36merge_oddeven_config_static_selectorELNS0_4arch9wavefront6targetE0EEEvSK_
	.p2align	8
	.type	_ZN7rocprim17ROCPRIM_400000_NS6detail17trampoline_kernelINS0_14default_configENS1_38merge_sort_block_merge_config_selectorIhNS0_10empty_typeEEEZZNS1_27merge_sort_block_merge_implIS3_N6thrust23THRUST_200600_302600_NS6detail15normal_iteratorINS9_10device_ptrIhEEEEPS5_m11less_div_10IhEEE10hipError_tT0_T1_T2_jT3_P12ihipStream_tbPNSt15iterator_traitsISJ_E10value_typeEPNSP_ISK_E10value_typeEPSL_NS1_7vsmem_tEENKUlT_SJ_SK_SL_E_clIPhSE_SF_SF_EESI_SY_SJ_SK_SL_EUlSY_E1_NS1_11comp_targetILNS1_3genE10ELNS1_11target_archE1201ELNS1_3gpuE5ELNS1_3repE0EEENS1_36merge_oddeven_config_static_selectorELNS0_4arch9wavefront6targetE0EEEvSK_,@function
_ZN7rocprim17ROCPRIM_400000_NS6detail17trampoline_kernelINS0_14default_configENS1_38merge_sort_block_merge_config_selectorIhNS0_10empty_typeEEEZZNS1_27merge_sort_block_merge_implIS3_N6thrust23THRUST_200600_302600_NS6detail15normal_iteratorINS9_10device_ptrIhEEEEPS5_m11less_div_10IhEEE10hipError_tT0_T1_T2_jT3_P12ihipStream_tbPNSt15iterator_traitsISJ_E10value_typeEPNSP_ISK_E10value_typeEPSL_NS1_7vsmem_tEENKUlT_SJ_SK_SL_E_clIPhSE_SF_SF_EESI_SY_SJ_SK_SL_EUlSY_E1_NS1_11comp_targetILNS1_3genE10ELNS1_11target_archE1201ELNS1_3gpuE5ELNS1_3repE0EEENS1_36merge_oddeven_config_static_selectorELNS0_4arch9wavefront6targetE0EEEvSK_: ; @_ZN7rocprim17ROCPRIM_400000_NS6detail17trampoline_kernelINS0_14default_configENS1_38merge_sort_block_merge_config_selectorIhNS0_10empty_typeEEEZZNS1_27merge_sort_block_merge_implIS3_N6thrust23THRUST_200600_302600_NS6detail15normal_iteratorINS9_10device_ptrIhEEEEPS5_m11less_div_10IhEEE10hipError_tT0_T1_T2_jT3_P12ihipStream_tbPNSt15iterator_traitsISJ_E10value_typeEPNSP_ISK_E10value_typeEPSL_NS1_7vsmem_tEENKUlT_SJ_SK_SL_E_clIPhSE_SF_SF_EESI_SY_SJ_SK_SL_EUlSY_E1_NS1_11comp_targetILNS1_3genE10ELNS1_11target_archE1201ELNS1_3gpuE5ELNS1_3repE0EEENS1_36merge_oddeven_config_static_selectorELNS0_4arch9wavefront6targetE0EEEvSK_
; %bb.0:
	.section	.rodata,"a",@progbits
	.p2align	6, 0x0
	.amdhsa_kernel _ZN7rocprim17ROCPRIM_400000_NS6detail17trampoline_kernelINS0_14default_configENS1_38merge_sort_block_merge_config_selectorIhNS0_10empty_typeEEEZZNS1_27merge_sort_block_merge_implIS3_N6thrust23THRUST_200600_302600_NS6detail15normal_iteratorINS9_10device_ptrIhEEEEPS5_m11less_div_10IhEEE10hipError_tT0_T1_T2_jT3_P12ihipStream_tbPNSt15iterator_traitsISJ_E10value_typeEPNSP_ISK_E10value_typeEPSL_NS1_7vsmem_tEENKUlT_SJ_SK_SL_E_clIPhSE_SF_SF_EESI_SY_SJ_SK_SL_EUlSY_E1_NS1_11comp_targetILNS1_3genE10ELNS1_11target_archE1201ELNS1_3gpuE5ELNS1_3repE0EEENS1_36merge_oddeven_config_static_selectorELNS0_4arch9wavefront6targetE0EEEvSK_
		.amdhsa_group_segment_fixed_size 0
		.amdhsa_private_segment_fixed_size 0
		.amdhsa_kernarg_size 56
		.amdhsa_user_sgpr_count 6
		.amdhsa_user_sgpr_private_segment_buffer 1
		.amdhsa_user_sgpr_dispatch_ptr 0
		.amdhsa_user_sgpr_queue_ptr 0
		.amdhsa_user_sgpr_kernarg_segment_ptr 1
		.amdhsa_user_sgpr_dispatch_id 0
		.amdhsa_user_sgpr_flat_scratch_init 0
		.amdhsa_user_sgpr_private_segment_size 0
		.amdhsa_wavefront_size32 1
		.amdhsa_uses_dynamic_stack 0
		.amdhsa_system_sgpr_private_segment_wavefront_offset 0
		.amdhsa_system_sgpr_workgroup_id_x 1
		.amdhsa_system_sgpr_workgroup_id_y 0
		.amdhsa_system_sgpr_workgroup_id_z 0
		.amdhsa_system_sgpr_workgroup_info 0
		.amdhsa_system_vgpr_workitem_id 0
		.amdhsa_next_free_vgpr 1
		.amdhsa_next_free_sgpr 1
		.amdhsa_reserve_vcc 0
		.amdhsa_reserve_flat_scratch 0
		.amdhsa_float_round_mode_32 0
		.amdhsa_float_round_mode_16_64 0
		.amdhsa_float_denorm_mode_32 3
		.amdhsa_float_denorm_mode_16_64 3
		.amdhsa_dx10_clamp 1
		.amdhsa_ieee_mode 1
		.amdhsa_fp16_overflow 0
		.amdhsa_workgroup_processor_mode 1
		.amdhsa_memory_ordered 1
		.amdhsa_forward_progress 1
		.amdhsa_shared_vgpr_count 0
		.amdhsa_exception_fp_ieee_invalid_op 0
		.amdhsa_exception_fp_denorm_src 0
		.amdhsa_exception_fp_ieee_div_zero 0
		.amdhsa_exception_fp_ieee_overflow 0
		.amdhsa_exception_fp_ieee_underflow 0
		.amdhsa_exception_fp_ieee_inexact 0
		.amdhsa_exception_int_div_zero 0
	.end_amdhsa_kernel
	.section	.text._ZN7rocprim17ROCPRIM_400000_NS6detail17trampoline_kernelINS0_14default_configENS1_38merge_sort_block_merge_config_selectorIhNS0_10empty_typeEEEZZNS1_27merge_sort_block_merge_implIS3_N6thrust23THRUST_200600_302600_NS6detail15normal_iteratorINS9_10device_ptrIhEEEEPS5_m11less_div_10IhEEE10hipError_tT0_T1_T2_jT3_P12ihipStream_tbPNSt15iterator_traitsISJ_E10value_typeEPNSP_ISK_E10value_typeEPSL_NS1_7vsmem_tEENKUlT_SJ_SK_SL_E_clIPhSE_SF_SF_EESI_SY_SJ_SK_SL_EUlSY_E1_NS1_11comp_targetILNS1_3genE10ELNS1_11target_archE1201ELNS1_3gpuE5ELNS1_3repE0EEENS1_36merge_oddeven_config_static_selectorELNS0_4arch9wavefront6targetE0EEEvSK_,"axG",@progbits,_ZN7rocprim17ROCPRIM_400000_NS6detail17trampoline_kernelINS0_14default_configENS1_38merge_sort_block_merge_config_selectorIhNS0_10empty_typeEEEZZNS1_27merge_sort_block_merge_implIS3_N6thrust23THRUST_200600_302600_NS6detail15normal_iteratorINS9_10device_ptrIhEEEEPS5_m11less_div_10IhEEE10hipError_tT0_T1_T2_jT3_P12ihipStream_tbPNSt15iterator_traitsISJ_E10value_typeEPNSP_ISK_E10value_typeEPSL_NS1_7vsmem_tEENKUlT_SJ_SK_SL_E_clIPhSE_SF_SF_EESI_SY_SJ_SK_SL_EUlSY_E1_NS1_11comp_targetILNS1_3genE10ELNS1_11target_archE1201ELNS1_3gpuE5ELNS1_3repE0EEENS1_36merge_oddeven_config_static_selectorELNS0_4arch9wavefront6targetE0EEEvSK_,comdat
.Lfunc_end710:
	.size	_ZN7rocprim17ROCPRIM_400000_NS6detail17trampoline_kernelINS0_14default_configENS1_38merge_sort_block_merge_config_selectorIhNS0_10empty_typeEEEZZNS1_27merge_sort_block_merge_implIS3_N6thrust23THRUST_200600_302600_NS6detail15normal_iteratorINS9_10device_ptrIhEEEEPS5_m11less_div_10IhEEE10hipError_tT0_T1_T2_jT3_P12ihipStream_tbPNSt15iterator_traitsISJ_E10value_typeEPNSP_ISK_E10value_typeEPSL_NS1_7vsmem_tEENKUlT_SJ_SK_SL_E_clIPhSE_SF_SF_EESI_SY_SJ_SK_SL_EUlSY_E1_NS1_11comp_targetILNS1_3genE10ELNS1_11target_archE1201ELNS1_3gpuE5ELNS1_3repE0EEENS1_36merge_oddeven_config_static_selectorELNS0_4arch9wavefront6targetE0EEEvSK_, .Lfunc_end710-_ZN7rocprim17ROCPRIM_400000_NS6detail17trampoline_kernelINS0_14default_configENS1_38merge_sort_block_merge_config_selectorIhNS0_10empty_typeEEEZZNS1_27merge_sort_block_merge_implIS3_N6thrust23THRUST_200600_302600_NS6detail15normal_iteratorINS9_10device_ptrIhEEEEPS5_m11less_div_10IhEEE10hipError_tT0_T1_T2_jT3_P12ihipStream_tbPNSt15iterator_traitsISJ_E10value_typeEPNSP_ISK_E10value_typeEPSL_NS1_7vsmem_tEENKUlT_SJ_SK_SL_E_clIPhSE_SF_SF_EESI_SY_SJ_SK_SL_EUlSY_E1_NS1_11comp_targetILNS1_3genE10ELNS1_11target_archE1201ELNS1_3gpuE5ELNS1_3repE0EEENS1_36merge_oddeven_config_static_selectorELNS0_4arch9wavefront6targetE0EEEvSK_
                                        ; -- End function
	.set _ZN7rocprim17ROCPRIM_400000_NS6detail17trampoline_kernelINS0_14default_configENS1_38merge_sort_block_merge_config_selectorIhNS0_10empty_typeEEEZZNS1_27merge_sort_block_merge_implIS3_N6thrust23THRUST_200600_302600_NS6detail15normal_iteratorINS9_10device_ptrIhEEEEPS5_m11less_div_10IhEEE10hipError_tT0_T1_T2_jT3_P12ihipStream_tbPNSt15iterator_traitsISJ_E10value_typeEPNSP_ISK_E10value_typeEPSL_NS1_7vsmem_tEENKUlT_SJ_SK_SL_E_clIPhSE_SF_SF_EESI_SY_SJ_SK_SL_EUlSY_E1_NS1_11comp_targetILNS1_3genE10ELNS1_11target_archE1201ELNS1_3gpuE5ELNS1_3repE0EEENS1_36merge_oddeven_config_static_selectorELNS0_4arch9wavefront6targetE0EEEvSK_.num_vgpr, 0
	.set _ZN7rocprim17ROCPRIM_400000_NS6detail17trampoline_kernelINS0_14default_configENS1_38merge_sort_block_merge_config_selectorIhNS0_10empty_typeEEEZZNS1_27merge_sort_block_merge_implIS3_N6thrust23THRUST_200600_302600_NS6detail15normal_iteratorINS9_10device_ptrIhEEEEPS5_m11less_div_10IhEEE10hipError_tT0_T1_T2_jT3_P12ihipStream_tbPNSt15iterator_traitsISJ_E10value_typeEPNSP_ISK_E10value_typeEPSL_NS1_7vsmem_tEENKUlT_SJ_SK_SL_E_clIPhSE_SF_SF_EESI_SY_SJ_SK_SL_EUlSY_E1_NS1_11comp_targetILNS1_3genE10ELNS1_11target_archE1201ELNS1_3gpuE5ELNS1_3repE0EEENS1_36merge_oddeven_config_static_selectorELNS0_4arch9wavefront6targetE0EEEvSK_.num_agpr, 0
	.set _ZN7rocprim17ROCPRIM_400000_NS6detail17trampoline_kernelINS0_14default_configENS1_38merge_sort_block_merge_config_selectorIhNS0_10empty_typeEEEZZNS1_27merge_sort_block_merge_implIS3_N6thrust23THRUST_200600_302600_NS6detail15normal_iteratorINS9_10device_ptrIhEEEEPS5_m11less_div_10IhEEE10hipError_tT0_T1_T2_jT3_P12ihipStream_tbPNSt15iterator_traitsISJ_E10value_typeEPNSP_ISK_E10value_typeEPSL_NS1_7vsmem_tEENKUlT_SJ_SK_SL_E_clIPhSE_SF_SF_EESI_SY_SJ_SK_SL_EUlSY_E1_NS1_11comp_targetILNS1_3genE10ELNS1_11target_archE1201ELNS1_3gpuE5ELNS1_3repE0EEENS1_36merge_oddeven_config_static_selectorELNS0_4arch9wavefront6targetE0EEEvSK_.numbered_sgpr, 0
	.set _ZN7rocprim17ROCPRIM_400000_NS6detail17trampoline_kernelINS0_14default_configENS1_38merge_sort_block_merge_config_selectorIhNS0_10empty_typeEEEZZNS1_27merge_sort_block_merge_implIS3_N6thrust23THRUST_200600_302600_NS6detail15normal_iteratorINS9_10device_ptrIhEEEEPS5_m11less_div_10IhEEE10hipError_tT0_T1_T2_jT3_P12ihipStream_tbPNSt15iterator_traitsISJ_E10value_typeEPNSP_ISK_E10value_typeEPSL_NS1_7vsmem_tEENKUlT_SJ_SK_SL_E_clIPhSE_SF_SF_EESI_SY_SJ_SK_SL_EUlSY_E1_NS1_11comp_targetILNS1_3genE10ELNS1_11target_archE1201ELNS1_3gpuE5ELNS1_3repE0EEENS1_36merge_oddeven_config_static_selectorELNS0_4arch9wavefront6targetE0EEEvSK_.num_named_barrier, 0
	.set _ZN7rocprim17ROCPRIM_400000_NS6detail17trampoline_kernelINS0_14default_configENS1_38merge_sort_block_merge_config_selectorIhNS0_10empty_typeEEEZZNS1_27merge_sort_block_merge_implIS3_N6thrust23THRUST_200600_302600_NS6detail15normal_iteratorINS9_10device_ptrIhEEEEPS5_m11less_div_10IhEEE10hipError_tT0_T1_T2_jT3_P12ihipStream_tbPNSt15iterator_traitsISJ_E10value_typeEPNSP_ISK_E10value_typeEPSL_NS1_7vsmem_tEENKUlT_SJ_SK_SL_E_clIPhSE_SF_SF_EESI_SY_SJ_SK_SL_EUlSY_E1_NS1_11comp_targetILNS1_3genE10ELNS1_11target_archE1201ELNS1_3gpuE5ELNS1_3repE0EEENS1_36merge_oddeven_config_static_selectorELNS0_4arch9wavefront6targetE0EEEvSK_.private_seg_size, 0
	.set _ZN7rocprim17ROCPRIM_400000_NS6detail17trampoline_kernelINS0_14default_configENS1_38merge_sort_block_merge_config_selectorIhNS0_10empty_typeEEEZZNS1_27merge_sort_block_merge_implIS3_N6thrust23THRUST_200600_302600_NS6detail15normal_iteratorINS9_10device_ptrIhEEEEPS5_m11less_div_10IhEEE10hipError_tT0_T1_T2_jT3_P12ihipStream_tbPNSt15iterator_traitsISJ_E10value_typeEPNSP_ISK_E10value_typeEPSL_NS1_7vsmem_tEENKUlT_SJ_SK_SL_E_clIPhSE_SF_SF_EESI_SY_SJ_SK_SL_EUlSY_E1_NS1_11comp_targetILNS1_3genE10ELNS1_11target_archE1201ELNS1_3gpuE5ELNS1_3repE0EEENS1_36merge_oddeven_config_static_selectorELNS0_4arch9wavefront6targetE0EEEvSK_.uses_vcc, 0
	.set _ZN7rocprim17ROCPRIM_400000_NS6detail17trampoline_kernelINS0_14default_configENS1_38merge_sort_block_merge_config_selectorIhNS0_10empty_typeEEEZZNS1_27merge_sort_block_merge_implIS3_N6thrust23THRUST_200600_302600_NS6detail15normal_iteratorINS9_10device_ptrIhEEEEPS5_m11less_div_10IhEEE10hipError_tT0_T1_T2_jT3_P12ihipStream_tbPNSt15iterator_traitsISJ_E10value_typeEPNSP_ISK_E10value_typeEPSL_NS1_7vsmem_tEENKUlT_SJ_SK_SL_E_clIPhSE_SF_SF_EESI_SY_SJ_SK_SL_EUlSY_E1_NS1_11comp_targetILNS1_3genE10ELNS1_11target_archE1201ELNS1_3gpuE5ELNS1_3repE0EEENS1_36merge_oddeven_config_static_selectorELNS0_4arch9wavefront6targetE0EEEvSK_.uses_flat_scratch, 0
	.set _ZN7rocprim17ROCPRIM_400000_NS6detail17trampoline_kernelINS0_14default_configENS1_38merge_sort_block_merge_config_selectorIhNS0_10empty_typeEEEZZNS1_27merge_sort_block_merge_implIS3_N6thrust23THRUST_200600_302600_NS6detail15normal_iteratorINS9_10device_ptrIhEEEEPS5_m11less_div_10IhEEE10hipError_tT0_T1_T2_jT3_P12ihipStream_tbPNSt15iterator_traitsISJ_E10value_typeEPNSP_ISK_E10value_typeEPSL_NS1_7vsmem_tEENKUlT_SJ_SK_SL_E_clIPhSE_SF_SF_EESI_SY_SJ_SK_SL_EUlSY_E1_NS1_11comp_targetILNS1_3genE10ELNS1_11target_archE1201ELNS1_3gpuE5ELNS1_3repE0EEENS1_36merge_oddeven_config_static_selectorELNS0_4arch9wavefront6targetE0EEEvSK_.has_dyn_sized_stack, 0
	.set _ZN7rocprim17ROCPRIM_400000_NS6detail17trampoline_kernelINS0_14default_configENS1_38merge_sort_block_merge_config_selectorIhNS0_10empty_typeEEEZZNS1_27merge_sort_block_merge_implIS3_N6thrust23THRUST_200600_302600_NS6detail15normal_iteratorINS9_10device_ptrIhEEEEPS5_m11less_div_10IhEEE10hipError_tT0_T1_T2_jT3_P12ihipStream_tbPNSt15iterator_traitsISJ_E10value_typeEPNSP_ISK_E10value_typeEPSL_NS1_7vsmem_tEENKUlT_SJ_SK_SL_E_clIPhSE_SF_SF_EESI_SY_SJ_SK_SL_EUlSY_E1_NS1_11comp_targetILNS1_3genE10ELNS1_11target_archE1201ELNS1_3gpuE5ELNS1_3repE0EEENS1_36merge_oddeven_config_static_selectorELNS0_4arch9wavefront6targetE0EEEvSK_.has_recursion, 0
	.set _ZN7rocprim17ROCPRIM_400000_NS6detail17trampoline_kernelINS0_14default_configENS1_38merge_sort_block_merge_config_selectorIhNS0_10empty_typeEEEZZNS1_27merge_sort_block_merge_implIS3_N6thrust23THRUST_200600_302600_NS6detail15normal_iteratorINS9_10device_ptrIhEEEEPS5_m11less_div_10IhEEE10hipError_tT0_T1_T2_jT3_P12ihipStream_tbPNSt15iterator_traitsISJ_E10value_typeEPNSP_ISK_E10value_typeEPSL_NS1_7vsmem_tEENKUlT_SJ_SK_SL_E_clIPhSE_SF_SF_EESI_SY_SJ_SK_SL_EUlSY_E1_NS1_11comp_targetILNS1_3genE10ELNS1_11target_archE1201ELNS1_3gpuE5ELNS1_3repE0EEENS1_36merge_oddeven_config_static_selectorELNS0_4arch9wavefront6targetE0EEEvSK_.has_indirect_call, 0
	.section	.AMDGPU.csdata,"",@progbits
; Kernel info:
; codeLenInByte = 0
; TotalNumSgprs: 0
; NumVgprs: 0
; ScratchSize: 0
; MemoryBound: 0
; FloatMode: 240
; IeeeMode: 1
; LDSByteSize: 0 bytes/workgroup (compile time only)
; SGPRBlocks: 0
; VGPRBlocks: 0
; NumSGPRsForWavesPerEU: 1
; NumVGPRsForWavesPerEU: 1
; Occupancy: 16
; WaveLimiterHint : 0
; COMPUTE_PGM_RSRC2:SCRATCH_EN: 0
; COMPUTE_PGM_RSRC2:USER_SGPR: 6
; COMPUTE_PGM_RSRC2:TRAP_HANDLER: 0
; COMPUTE_PGM_RSRC2:TGID_X_EN: 1
; COMPUTE_PGM_RSRC2:TGID_Y_EN: 0
; COMPUTE_PGM_RSRC2:TGID_Z_EN: 0
; COMPUTE_PGM_RSRC2:TIDIG_COMP_CNT: 0
	.section	.text._ZN7rocprim17ROCPRIM_400000_NS6detail17trampoline_kernelINS0_14default_configENS1_38merge_sort_block_merge_config_selectorIhNS0_10empty_typeEEEZZNS1_27merge_sort_block_merge_implIS3_N6thrust23THRUST_200600_302600_NS6detail15normal_iteratorINS9_10device_ptrIhEEEEPS5_m11less_div_10IhEEE10hipError_tT0_T1_T2_jT3_P12ihipStream_tbPNSt15iterator_traitsISJ_E10value_typeEPNSP_ISK_E10value_typeEPSL_NS1_7vsmem_tEENKUlT_SJ_SK_SL_E_clIPhSE_SF_SF_EESI_SY_SJ_SK_SL_EUlSY_E1_NS1_11comp_targetILNS1_3genE5ELNS1_11target_archE942ELNS1_3gpuE9ELNS1_3repE0EEENS1_36merge_oddeven_config_static_selectorELNS0_4arch9wavefront6targetE0EEEvSK_,"axG",@progbits,_ZN7rocprim17ROCPRIM_400000_NS6detail17trampoline_kernelINS0_14default_configENS1_38merge_sort_block_merge_config_selectorIhNS0_10empty_typeEEEZZNS1_27merge_sort_block_merge_implIS3_N6thrust23THRUST_200600_302600_NS6detail15normal_iteratorINS9_10device_ptrIhEEEEPS5_m11less_div_10IhEEE10hipError_tT0_T1_T2_jT3_P12ihipStream_tbPNSt15iterator_traitsISJ_E10value_typeEPNSP_ISK_E10value_typeEPSL_NS1_7vsmem_tEENKUlT_SJ_SK_SL_E_clIPhSE_SF_SF_EESI_SY_SJ_SK_SL_EUlSY_E1_NS1_11comp_targetILNS1_3genE5ELNS1_11target_archE942ELNS1_3gpuE9ELNS1_3repE0EEENS1_36merge_oddeven_config_static_selectorELNS0_4arch9wavefront6targetE0EEEvSK_,comdat
	.protected	_ZN7rocprim17ROCPRIM_400000_NS6detail17trampoline_kernelINS0_14default_configENS1_38merge_sort_block_merge_config_selectorIhNS0_10empty_typeEEEZZNS1_27merge_sort_block_merge_implIS3_N6thrust23THRUST_200600_302600_NS6detail15normal_iteratorINS9_10device_ptrIhEEEEPS5_m11less_div_10IhEEE10hipError_tT0_T1_T2_jT3_P12ihipStream_tbPNSt15iterator_traitsISJ_E10value_typeEPNSP_ISK_E10value_typeEPSL_NS1_7vsmem_tEENKUlT_SJ_SK_SL_E_clIPhSE_SF_SF_EESI_SY_SJ_SK_SL_EUlSY_E1_NS1_11comp_targetILNS1_3genE5ELNS1_11target_archE942ELNS1_3gpuE9ELNS1_3repE0EEENS1_36merge_oddeven_config_static_selectorELNS0_4arch9wavefront6targetE0EEEvSK_ ; -- Begin function _ZN7rocprim17ROCPRIM_400000_NS6detail17trampoline_kernelINS0_14default_configENS1_38merge_sort_block_merge_config_selectorIhNS0_10empty_typeEEEZZNS1_27merge_sort_block_merge_implIS3_N6thrust23THRUST_200600_302600_NS6detail15normal_iteratorINS9_10device_ptrIhEEEEPS5_m11less_div_10IhEEE10hipError_tT0_T1_T2_jT3_P12ihipStream_tbPNSt15iterator_traitsISJ_E10value_typeEPNSP_ISK_E10value_typeEPSL_NS1_7vsmem_tEENKUlT_SJ_SK_SL_E_clIPhSE_SF_SF_EESI_SY_SJ_SK_SL_EUlSY_E1_NS1_11comp_targetILNS1_3genE5ELNS1_11target_archE942ELNS1_3gpuE9ELNS1_3repE0EEENS1_36merge_oddeven_config_static_selectorELNS0_4arch9wavefront6targetE0EEEvSK_
	.globl	_ZN7rocprim17ROCPRIM_400000_NS6detail17trampoline_kernelINS0_14default_configENS1_38merge_sort_block_merge_config_selectorIhNS0_10empty_typeEEEZZNS1_27merge_sort_block_merge_implIS3_N6thrust23THRUST_200600_302600_NS6detail15normal_iteratorINS9_10device_ptrIhEEEEPS5_m11less_div_10IhEEE10hipError_tT0_T1_T2_jT3_P12ihipStream_tbPNSt15iterator_traitsISJ_E10value_typeEPNSP_ISK_E10value_typeEPSL_NS1_7vsmem_tEENKUlT_SJ_SK_SL_E_clIPhSE_SF_SF_EESI_SY_SJ_SK_SL_EUlSY_E1_NS1_11comp_targetILNS1_3genE5ELNS1_11target_archE942ELNS1_3gpuE9ELNS1_3repE0EEENS1_36merge_oddeven_config_static_selectorELNS0_4arch9wavefront6targetE0EEEvSK_
	.p2align	8
	.type	_ZN7rocprim17ROCPRIM_400000_NS6detail17trampoline_kernelINS0_14default_configENS1_38merge_sort_block_merge_config_selectorIhNS0_10empty_typeEEEZZNS1_27merge_sort_block_merge_implIS3_N6thrust23THRUST_200600_302600_NS6detail15normal_iteratorINS9_10device_ptrIhEEEEPS5_m11less_div_10IhEEE10hipError_tT0_T1_T2_jT3_P12ihipStream_tbPNSt15iterator_traitsISJ_E10value_typeEPNSP_ISK_E10value_typeEPSL_NS1_7vsmem_tEENKUlT_SJ_SK_SL_E_clIPhSE_SF_SF_EESI_SY_SJ_SK_SL_EUlSY_E1_NS1_11comp_targetILNS1_3genE5ELNS1_11target_archE942ELNS1_3gpuE9ELNS1_3repE0EEENS1_36merge_oddeven_config_static_selectorELNS0_4arch9wavefront6targetE0EEEvSK_,@function
_ZN7rocprim17ROCPRIM_400000_NS6detail17trampoline_kernelINS0_14default_configENS1_38merge_sort_block_merge_config_selectorIhNS0_10empty_typeEEEZZNS1_27merge_sort_block_merge_implIS3_N6thrust23THRUST_200600_302600_NS6detail15normal_iteratorINS9_10device_ptrIhEEEEPS5_m11less_div_10IhEEE10hipError_tT0_T1_T2_jT3_P12ihipStream_tbPNSt15iterator_traitsISJ_E10value_typeEPNSP_ISK_E10value_typeEPSL_NS1_7vsmem_tEENKUlT_SJ_SK_SL_E_clIPhSE_SF_SF_EESI_SY_SJ_SK_SL_EUlSY_E1_NS1_11comp_targetILNS1_3genE5ELNS1_11target_archE942ELNS1_3gpuE9ELNS1_3repE0EEENS1_36merge_oddeven_config_static_selectorELNS0_4arch9wavefront6targetE0EEEvSK_: ; @_ZN7rocprim17ROCPRIM_400000_NS6detail17trampoline_kernelINS0_14default_configENS1_38merge_sort_block_merge_config_selectorIhNS0_10empty_typeEEEZZNS1_27merge_sort_block_merge_implIS3_N6thrust23THRUST_200600_302600_NS6detail15normal_iteratorINS9_10device_ptrIhEEEEPS5_m11less_div_10IhEEE10hipError_tT0_T1_T2_jT3_P12ihipStream_tbPNSt15iterator_traitsISJ_E10value_typeEPNSP_ISK_E10value_typeEPSL_NS1_7vsmem_tEENKUlT_SJ_SK_SL_E_clIPhSE_SF_SF_EESI_SY_SJ_SK_SL_EUlSY_E1_NS1_11comp_targetILNS1_3genE5ELNS1_11target_archE942ELNS1_3gpuE9ELNS1_3repE0EEENS1_36merge_oddeven_config_static_selectorELNS0_4arch9wavefront6targetE0EEEvSK_
; %bb.0:
	.section	.rodata,"a",@progbits
	.p2align	6, 0x0
	.amdhsa_kernel _ZN7rocprim17ROCPRIM_400000_NS6detail17trampoline_kernelINS0_14default_configENS1_38merge_sort_block_merge_config_selectorIhNS0_10empty_typeEEEZZNS1_27merge_sort_block_merge_implIS3_N6thrust23THRUST_200600_302600_NS6detail15normal_iteratorINS9_10device_ptrIhEEEEPS5_m11less_div_10IhEEE10hipError_tT0_T1_T2_jT3_P12ihipStream_tbPNSt15iterator_traitsISJ_E10value_typeEPNSP_ISK_E10value_typeEPSL_NS1_7vsmem_tEENKUlT_SJ_SK_SL_E_clIPhSE_SF_SF_EESI_SY_SJ_SK_SL_EUlSY_E1_NS1_11comp_targetILNS1_3genE5ELNS1_11target_archE942ELNS1_3gpuE9ELNS1_3repE0EEENS1_36merge_oddeven_config_static_selectorELNS0_4arch9wavefront6targetE0EEEvSK_
		.amdhsa_group_segment_fixed_size 0
		.amdhsa_private_segment_fixed_size 0
		.amdhsa_kernarg_size 56
		.amdhsa_user_sgpr_count 6
		.amdhsa_user_sgpr_private_segment_buffer 1
		.amdhsa_user_sgpr_dispatch_ptr 0
		.amdhsa_user_sgpr_queue_ptr 0
		.amdhsa_user_sgpr_kernarg_segment_ptr 1
		.amdhsa_user_sgpr_dispatch_id 0
		.amdhsa_user_sgpr_flat_scratch_init 0
		.amdhsa_user_sgpr_private_segment_size 0
		.amdhsa_wavefront_size32 1
		.amdhsa_uses_dynamic_stack 0
		.amdhsa_system_sgpr_private_segment_wavefront_offset 0
		.amdhsa_system_sgpr_workgroup_id_x 1
		.amdhsa_system_sgpr_workgroup_id_y 0
		.amdhsa_system_sgpr_workgroup_id_z 0
		.amdhsa_system_sgpr_workgroup_info 0
		.amdhsa_system_vgpr_workitem_id 0
		.amdhsa_next_free_vgpr 1
		.amdhsa_next_free_sgpr 1
		.amdhsa_reserve_vcc 0
		.amdhsa_reserve_flat_scratch 0
		.amdhsa_float_round_mode_32 0
		.amdhsa_float_round_mode_16_64 0
		.amdhsa_float_denorm_mode_32 3
		.amdhsa_float_denorm_mode_16_64 3
		.amdhsa_dx10_clamp 1
		.amdhsa_ieee_mode 1
		.amdhsa_fp16_overflow 0
		.amdhsa_workgroup_processor_mode 1
		.amdhsa_memory_ordered 1
		.amdhsa_forward_progress 1
		.amdhsa_shared_vgpr_count 0
		.amdhsa_exception_fp_ieee_invalid_op 0
		.amdhsa_exception_fp_denorm_src 0
		.amdhsa_exception_fp_ieee_div_zero 0
		.amdhsa_exception_fp_ieee_overflow 0
		.amdhsa_exception_fp_ieee_underflow 0
		.amdhsa_exception_fp_ieee_inexact 0
		.amdhsa_exception_int_div_zero 0
	.end_amdhsa_kernel
	.section	.text._ZN7rocprim17ROCPRIM_400000_NS6detail17trampoline_kernelINS0_14default_configENS1_38merge_sort_block_merge_config_selectorIhNS0_10empty_typeEEEZZNS1_27merge_sort_block_merge_implIS3_N6thrust23THRUST_200600_302600_NS6detail15normal_iteratorINS9_10device_ptrIhEEEEPS5_m11less_div_10IhEEE10hipError_tT0_T1_T2_jT3_P12ihipStream_tbPNSt15iterator_traitsISJ_E10value_typeEPNSP_ISK_E10value_typeEPSL_NS1_7vsmem_tEENKUlT_SJ_SK_SL_E_clIPhSE_SF_SF_EESI_SY_SJ_SK_SL_EUlSY_E1_NS1_11comp_targetILNS1_3genE5ELNS1_11target_archE942ELNS1_3gpuE9ELNS1_3repE0EEENS1_36merge_oddeven_config_static_selectorELNS0_4arch9wavefront6targetE0EEEvSK_,"axG",@progbits,_ZN7rocprim17ROCPRIM_400000_NS6detail17trampoline_kernelINS0_14default_configENS1_38merge_sort_block_merge_config_selectorIhNS0_10empty_typeEEEZZNS1_27merge_sort_block_merge_implIS3_N6thrust23THRUST_200600_302600_NS6detail15normal_iteratorINS9_10device_ptrIhEEEEPS5_m11less_div_10IhEEE10hipError_tT0_T1_T2_jT3_P12ihipStream_tbPNSt15iterator_traitsISJ_E10value_typeEPNSP_ISK_E10value_typeEPSL_NS1_7vsmem_tEENKUlT_SJ_SK_SL_E_clIPhSE_SF_SF_EESI_SY_SJ_SK_SL_EUlSY_E1_NS1_11comp_targetILNS1_3genE5ELNS1_11target_archE942ELNS1_3gpuE9ELNS1_3repE0EEENS1_36merge_oddeven_config_static_selectorELNS0_4arch9wavefront6targetE0EEEvSK_,comdat
.Lfunc_end711:
	.size	_ZN7rocprim17ROCPRIM_400000_NS6detail17trampoline_kernelINS0_14default_configENS1_38merge_sort_block_merge_config_selectorIhNS0_10empty_typeEEEZZNS1_27merge_sort_block_merge_implIS3_N6thrust23THRUST_200600_302600_NS6detail15normal_iteratorINS9_10device_ptrIhEEEEPS5_m11less_div_10IhEEE10hipError_tT0_T1_T2_jT3_P12ihipStream_tbPNSt15iterator_traitsISJ_E10value_typeEPNSP_ISK_E10value_typeEPSL_NS1_7vsmem_tEENKUlT_SJ_SK_SL_E_clIPhSE_SF_SF_EESI_SY_SJ_SK_SL_EUlSY_E1_NS1_11comp_targetILNS1_3genE5ELNS1_11target_archE942ELNS1_3gpuE9ELNS1_3repE0EEENS1_36merge_oddeven_config_static_selectorELNS0_4arch9wavefront6targetE0EEEvSK_, .Lfunc_end711-_ZN7rocprim17ROCPRIM_400000_NS6detail17trampoline_kernelINS0_14default_configENS1_38merge_sort_block_merge_config_selectorIhNS0_10empty_typeEEEZZNS1_27merge_sort_block_merge_implIS3_N6thrust23THRUST_200600_302600_NS6detail15normal_iteratorINS9_10device_ptrIhEEEEPS5_m11less_div_10IhEEE10hipError_tT0_T1_T2_jT3_P12ihipStream_tbPNSt15iterator_traitsISJ_E10value_typeEPNSP_ISK_E10value_typeEPSL_NS1_7vsmem_tEENKUlT_SJ_SK_SL_E_clIPhSE_SF_SF_EESI_SY_SJ_SK_SL_EUlSY_E1_NS1_11comp_targetILNS1_3genE5ELNS1_11target_archE942ELNS1_3gpuE9ELNS1_3repE0EEENS1_36merge_oddeven_config_static_selectorELNS0_4arch9wavefront6targetE0EEEvSK_
                                        ; -- End function
	.set _ZN7rocprim17ROCPRIM_400000_NS6detail17trampoline_kernelINS0_14default_configENS1_38merge_sort_block_merge_config_selectorIhNS0_10empty_typeEEEZZNS1_27merge_sort_block_merge_implIS3_N6thrust23THRUST_200600_302600_NS6detail15normal_iteratorINS9_10device_ptrIhEEEEPS5_m11less_div_10IhEEE10hipError_tT0_T1_T2_jT3_P12ihipStream_tbPNSt15iterator_traitsISJ_E10value_typeEPNSP_ISK_E10value_typeEPSL_NS1_7vsmem_tEENKUlT_SJ_SK_SL_E_clIPhSE_SF_SF_EESI_SY_SJ_SK_SL_EUlSY_E1_NS1_11comp_targetILNS1_3genE5ELNS1_11target_archE942ELNS1_3gpuE9ELNS1_3repE0EEENS1_36merge_oddeven_config_static_selectorELNS0_4arch9wavefront6targetE0EEEvSK_.num_vgpr, 0
	.set _ZN7rocprim17ROCPRIM_400000_NS6detail17trampoline_kernelINS0_14default_configENS1_38merge_sort_block_merge_config_selectorIhNS0_10empty_typeEEEZZNS1_27merge_sort_block_merge_implIS3_N6thrust23THRUST_200600_302600_NS6detail15normal_iteratorINS9_10device_ptrIhEEEEPS5_m11less_div_10IhEEE10hipError_tT0_T1_T2_jT3_P12ihipStream_tbPNSt15iterator_traitsISJ_E10value_typeEPNSP_ISK_E10value_typeEPSL_NS1_7vsmem_tEENKUlT_SJ_SK_SL_E_clIPhSE_SF_SF_EESI_SY_SJ_SK_SL_EUlSY_E1_NS1_11comp_targetILNS1_3genE5ELNS1_11target_archE942ELNS1_3gpuE9ELNS1_3repE0EEENS1_36merge_oddeven_config_static_selectorELNS0_4arch9wavefront6targetE0EEEvSK_.num_agpr, 0
	.set _ZN7rocprim17ROCPRIM_400000_NS6detail17trampoline_kernelINS0_14default_configENS1_38merge_sort_block_merge_config_selectorIhNS0_10empty_typeEEEZZNS1_27merge_sort_block_merge_implIS3_N6thrust23THRUST_200600_302600_NS6detail15normal_iteratorINS9_10device_ptrIhEEEEPS5_m11less_div_10IhEEE10hipError_tT0_T1_T2_jT3_P12ihipStream_tbPNSt15iterator_traitsISJ_E10value_typeEPNSP_ISK_E10value_typeEPSL_NS1_7vsmem_tEENKUlT_SJ_SK_SL_E_clIPhSE_SF_SF_EESI_SY_SJ_SK_SL_EUlSY_E1_NS1_11comp_targetILNS1_3genE5ELNS1_11target_archE942ELNS1_3gpuE9ELNS1_3repE0EEENS1_36merge_oddeven_config_static_selectorELNS0_4arch9wavefront6targetE0EEEvSK_.numbered_sgpr, 0
	.set _ZN7rocprim17ROCPRIM_400000_NS6detail17trampoline_kernelINS0_14default_configENS1_38merge_sort_block_merge_config_selectorIhNS0_10empty_typeEEEZZNS1_27merge_sort_block_merge_implIS3_N6thrust23THRUST_200600_302600_NS6detail15normal_iteratorINS9_10device_ptrIhEEEEPS5_m11less_div_10IhEEE10hipError_tT0_T1_T2_jT3_P12ihipStream_tbPNSt15iterator_traitsISJ_E10value_typeEPNSP_ISK_E10value_typeEPSL_NS1_7vsmem_tEENKUlT_SJ_SK_SL_E_clIPhSE_SF_SF_EESI_SY_SJ_SK_SL_EUlSY_E1_NS1_11comp_targetILNS1_3genE5ELNS1_11target_archE942ELNS1_3gpuE9ELNS1_3repE0EEENS1_36merge_oddeven_config_static_selectorELNS0_4arch9wavefront6targetE0EEEvSK_.num_named_barrier, 0
	.set _ZN7rocprim17ROCPRIM_400000_NS6detail17trampoline_kernelINS0_14default_configENS1_38merge_sort_block_merge_config_selectorIhNS0_10empty_typeEEEZZNS1_27merge_sort_block_merge_implIS3_N6thrust23THRUST_200600_302600_NS6detail15normal_iteratorINS9_10device_ptrIhEEEEPS5_m11less_div_10IhEEE10hipError_tT0_T1_T2_jT3_P12ihipStream_tbPNSt15iterator_traitsISJ_E10value_typeEPNSP_ISK_E10value_typeEPSL_NS1_7vsmem_tEENKUlT_SJ_SK_SL_E_clIPhSE_SF_SF_EESI_SY_SJ_SK_SL_EUlSY_E1_NS1_11comp_targetILNS1_3genE5ELNS1_11target_archE942ELNS1_3gpuE9ELNS1_3repE0EEENS1_36merge_oddeven_config_static_selectorELNS0_4arch9wavefront6targetE0EEEvSK_.private_seg_size, 0
	.set _ZN7rocprim17ROCPRIM_400000_NS6detail17trampoline_kernelINS0_14default_configENS1_38merge_sort_block_merge_config_selectorIhNS0_10empty_typeEEEZZNS1_27merge_sort_block_merge_implIS3_N6thrust23THRUST_200600_302600_NS6detail15normal_iteratorINS9_10device_ptrIhEEEEPS5_m11less_div_10IhEEE10hipError_tT0_T1_T2_jT3_P12ihipStream_tbPNSt15iterator_traitsISJ_E10value_typeEPNSP_ISK_E10value_typeEPSL_NS1_7vsmem_tEENKUlT_SJ_SK_SL_E_clIPhSE_SF_SF_EESI_SY_SJ_SK_SL_EUlSY_E1_NS1_11comp_targetILNS1_3genE5ELNS1_11target_archE942ELNS1_3gpuE9ELNS1_3repE0EEENS1_36merge_oddeven_config_static_selectorELNS0_4arch9wavefront6targetE0EEEvSK_.uses_vcc, 0
	.set _ZN7rocprim17ROCPRIM_400000_NS6detail17trampoline_kernelINS0_14default_configENS1_38merge_sort_block_merge_config_selectorIhNS0_10empty_typeEEEZZNS1_27merge_sort_block_merge_implIS3_N6thrust23THRUST_200600_302600_NS6detail15normal_iteratorINS9_10device_ptrIhEEEEPS5_m11less_div_10IhEEE10hipError_tT0_T1_T2_jT3_P12ihipStream_tbPNSt15iterator_traitsISJ_E10value_typeEPNSP_ISK_E10value_typeEPSL_NS1_7vsmem_tEENKUlT_SJ_SK_SL_E_clIPhSE_SF_SF_EESI_SY_SJ_SK_SL_EUlSY_E1_NS1_11comp_targetILNS1_3genE5ELNS1_11target_archE942ELNS1_3gpuE9ELNS1_3repE0EEENS1_36merge_oddeven_config_static_selectorELNS0_4arch9wavefront6targetE0EEEvSK_.uses_flat_scratch, 0
	.set _ZN7rocprim17ROCPRIM_400000_NS6detail17trampoline_kernelINS0_14default_configENS1_38merge_sort_block_merge_config_selectorIhNS0_10empty_typeEEEZZNS1_27merge_sort_block_merge_implIS3_N6thrust23THRUST_200600_302600_NS6detail15normal_iteratorINS9_10device_ptrIhEEEEPS5_m11less_div_10IhEEE10hipError_tT0_T1_T2_jT3_P12ihipStream_tbPNSt15iterator_traitsISJ_E10value_typeEPNSP_ISK_E10value_typeEPSL_NS1_7vsmem_tEENKUlT_SJ_SK_SL_E_clIPhSE_SF_SF_EESI_SY_SJ_SK_SL_EUlSY_E1_NS1_11comp_targetILNS1_3genE5ELNS1_11target_archE942ELNS1_3gpuE9ELNS1_3repE0EEENS1_36merge_oddeven_config_static_selectorELNS0_4arch9wavefront6targetE0EEEvSK_.has_dyn_sized_stack, 0
	.set _ZN7rocprim17ROCPRIM_400000_NS6detail17trampoline_kernelINS0_14default_configENS1_38merge_sort_block_merge_config_selectorIhNS0_10empty_typeEEEZZNS1_27merge_sort_block_merge_implIS3_N6thrust23THRUST_200600_302600_NS6detail15normal_iteratorINS9_10device_ptrIhEEEEPS5_m11less_div_10IhEEE10hipError_tT0_T1_T2_jT3_P12ihipStream_tbPNSt15iterator_traitsISJ_E10value_typeEPNSP_ISK_E10value_typeEPSL_NS1_7vsmem_tEENKUlT_SJ_SK_SL_E_clIPhSE_SF_SF_EESI_SY_SJ_SK_SL_EUlSY_E1_NS1_11comp_targetILNS1_3genE5ELNS1_11target_archE942ELNS1_3gpuE9ELNS1_3repE0EEENS1_36merge_oddeven_config_static_selectorELNS0_4arch9wavefront6targetE0EEEvSK_.has_recursion, 0
	.set _ZN7rocprim17ROCPRIM_400000_NS6detail17trampoline_kernelINS0_14default_configENS1_38merge_sort_block_merge_config_selectorIhNS0_10empty_typeEEEZZNS1_27merge_sort_block_merge_implIS3_N6thrust23THRUST_200600_302600_NS6detail15normal_iteratorINS9_10device_ptrIhEEEEPS5_m11less_div_10IhEEE10hipError_tT0_T1_T2_jT3_P12ihipStream_tbPNSt15iterator_traitsISJ_E10value_typeEPNSP_ISK_E10value_typeEPSL_NS1_7vsmem_tEENKUlT_SJ_SK_SL_E_clIPhSE_SF_SF_EESI_SY_SJ_SK_SL_EUlSY_E1_NS1_11comp_targetILNS1_3genE5ELNS1_11target_archE942ELNS1_3gpuE9ELNS1_3repE0EEENS1_36merge_oddeven_config_static_selectorELNS0_4arch9wavefront6targetE0EEEvSK_.has_indirect_call, 0
	.section	.AMDGPU.csdata,"",@progbits
; Kernel info:
; codeLenInByte = 0
; TotalNumSgprs: 0
; NumVgprs: 0
; ScratchSize: 0
; MemoryBound: 0
; FloatMode: 240
; IeeeMode: 1
; LDSByteSize: 0 bytes/workgroup (compile time only)
; SGPRBlocks: 0
; VGPRBlocks: 0
; NumSGPRsForWavesPerEU: 1
; NumVGPRsForWavesPerEU: 1
; Occupancy: 16
; WaveLimiterHint : 0
; COMPUTE_PGM_RSRC2:SCRATCH_EN: 0
; COMPUTE_PGM_RSRC2:USER_SGPR: 6
; COMPUTE_PGM_RSRC2:TRAP_HANDLER: 0
; COMPUTE_PGM_RSRC2:TGID_X_EN: 1
; COMPUTE_PGM_RSRC2:TGID_Y_EN: 0
; COMPUTE_PGM_RSRC2:TGID_Z_EN: 0
; COMPUTE_PGM_RSRC2:TIDIG_COMP_CNT: 0
	.section	.text._ZN7rocprim17ROCPRIM_400000_NS6detail17trampoline_kernelINS0_14default_configENS1_38merge_sort_block_merge_config_selectorIhNS0_10empty_typeEEEZZNS1_27merge_sort_block_merge_implIS3_N6thrust23THRUST_200600_302600_NS6detail15normal_iteratorINS9_10device_ptrIhEEEEPS5_m11less_div_10IhEEE10hipError_tT0_T1_T2_jT3_P12ihipStream_tbPNSt15iterator_traitsISJ_E10value_typeEPNSP_ISK_E10value_typeEPSL_NS1_7vsmem_tEENKUlT_SJ_SK_SL_E_clIPhSE_SF_SF_EESI_SY_SJ_SK_SL_EUlSY_E1_NS1_11comp_targetILNS1_3genE4ELNS1_11target_archE910ELNS1_3gpuE8ELNS1_3repE0EEENS1_36merge_oddeven_config_static_selectorELNS0_4arch9wavefront6targetE0EEEvSK_,"axG",@progbits,_ZN7rocprim17ROCPRIM_400000_NS6detail17trampoline_kernelINS0_14default_configENS1_38merge_sort_block_merge_config_selectorIhNS0_10empty_typeEEEZZNS1_27merge_sort_block_merge_implIS3_N6thrust23THRUST_200600_302600_NS6detail15normal_iteratorINS9_10device_ptrIhEEEEPS5_m11less_div_10IhEEE10hipError_tT0_T1_T2_jT3_P12ihipStream_tbPNSt15iterator_traitsISJ_E10value_typeEPNSP_ISK_E10value_typeEPSL_NS1_7vsmem_tEENKUlT_SJ_SK_SL_E_clIPhSE_SF_SF_EESI_SY_SJ_SK_SL_EUlSY_E1_NS1_11comp_targetILNS1_3genE4ELNS1_11target_archE910ELNS1_3gpuE8ELNS1_3repE0EEENS1_36merge_oddeven_config_static_selectorELNS0_4arch9wavefront6targetE0EEEvSK_,comdat
	.protected	_ZN7rocprim17ROCPRIM_400000_NS6detail17trampoline_kernelINS0_14default_configENS1_38merge_sort_block_merge_config_selectorIhNS0_10empty_typeEEEZZNS1_27merge_sort_block_merge_implIS3_N6thrust23THRUST_200600_302600_NS6detail15normal_iteratorINS9_10device_ptrIhEEEEPS5_m11less_div_10IhEEE10hipError_tT0_T1_T2_jT3_P12ihipStream_tbPNSt15iterator_traitsISJ_E10value_typeEPNSP_ISK_E10value_typeEPSL_NS1_7vsmem_tEENKUlT_SJ_SK_SL_E_clIPhSE_SF_SF_EESI_SY_SJ_SK_SL_EUlSY_E1_NS1_11comp_targetILNS1_3genE4ELNS1_11target_archE910ELNS1_3gpuE8ELNS1_3repE0EEENS1_36merge_oddeven_config_static_selectorELNS0_4arch9wavefront6targetE0EEEvSK_ ; -- Begin function _ZN7rocprim17ROCPRIM_400000_NS6detail17trampoline_kernelINS0_14default_configENS1_38merge_sort_block_merge_config_selectorIhNS0_10empty_typeEEEZZNS1_27merge_sort_block_merge_implIS3_N6thrust23THRUST_200600_302600_NS6detail15normal_iteratorINS9_10device_ptrIhEEEEPS5_m11less_div_10IhEEE10hipError_tT0_T1_T2_jT3_P12ihipStream_tbPNSt15iterator_traitsISJ_E10value_typeEPNSP_ISK_E10value_typeEPSL_NS1_7vsmem_tEENKUlT_SJ_SK_SL_E_clIPhSE_SF_SF_EESI_SY_SJ_SK_SL_EUlSY_E1_NS1_11comp_targetILNS1_3genE4ELNS1_11target_archE910ELNS1_3gpuE8ELNS1_3repE0EEENS1_36merge_oddeven_config_static_selectorELNS0_4arch9wavefront6targetE0EEEvSK_
	.globl	_ZN7rocprim17ROCPRIM_400000_NS6detail17trampoline_kernelINS0_14default_configENS1_38merge_sort_block_merge_config_selectorIhNS0_10empty_typeEEEZZNS1_27merge_sort_block_merge_implIS3_N6thrust23THRUST_200600_302600_NS6detail15normal_iteratorINS9_10device_ptrIhEEEEPS5_m11less_div_10IhEEE10hipError_tT0_T1_T2_jT3_P12ihipStream_tbPNSt15iterator_traitsISJ_E10value_typeEPNSP_ISK_E10value_typeEPSL_NS1_7vsmem_tEENKUlT_SJ_SK_SL_E_clIPhSE_SF_SF_EESI_SY_SJ_SK_SL_EUlSY_E1_NS1_11comp_targetILNS1_3genE4ELNS1_11target_archE910ELNS1_3gpuE8ELNS1_3repE0EEENS1_36merge_oddeven_config_static_selectorELNS0_4arch9wavefront6targetE0EEEvSK_
	.p2align	8
	.type	_ZN7rocprim17ROCPRIM_400000_NS6detail17trampoline_kernelINS0_14default_configENS1_38merge_sort_block_merge_config_selectorIhNS0_10empty_typeEEEZZNS1_27merge_sort_block_merge_implIS3_N6thrust23THRUST_200600_302600_NS6detail15normal_iteratorINS9_10device_ptrIhEEEEPS5_m11less_div_10IhEEE10hipError_tT0_T1_T2_jT3_P12ihipStream_tbPNSt15iterator_traitsISJ_E10value_typeEPNSP_ISK_E10value_typeEPSL_NS1_7vsmem_tEENKUlT_SJ_SK_SL_E_clIPhSE_SF_SF_EESI_SY_SJ_SK_SL_EUlSY_E1_NS1_11comp_targetILNS1_3genE4ELNS1_11target_archE910ELNS1_3gpuE8ELNS1_3repE0EEENS1_36merge_oddeven_config_static_selectorELNS0_4arch9wavefront6targetE0EEEvSK_,@function
_ZN7rocprim17ROCPRIM_400000_NS6detail17trampoline_kernelINS0_14default_configENS1_38merge_sort_block_merge_config_selectorIhNS0_10empty_typeEEEZZNS1_27merge_sort_block_merge_implIS3_N6thrust23THRUST_200600_302600_NS6detail15normal_iteratorINS9_10device_ptrIhEEEEPS5_m11less_div_10IhEEE10hipError_tT0_T1_T2_jT3_P12ihipStream_tbPNSt15iterator_traitsISJ_E10value_typeEPNSP_ISK_E10value_typeEPSL_NS1_7vsmem_tEENKUlT_SJ_SK_SL_E_clIPhSE_SF_SF_EESI_SY_SJ_SK_SL_EUlSY_E1_NS1_11comp_targetILNS1_3genE4ELNS1_11target_archE910ELNS1_3gpuE8ELNS1_3repE0EEENS1_36merge_oddeven_config_static_selectorELNS0_4arch9wavefront6targetE0EEEvSK_: ; @_ZN7rocprim17ROCPRIM_400000_NS6detail17trampoline_kernelINS0_14default_configENS1_38merge_sort_block_merge_config_selectorIhNS0_10empty_typeEEEZZNS1_27merge_sort_block_merge_implIS3_N6thrust23THRUST_200600_302600_NS6detail15normal_iteratorINS9_10device_ptrIhEEEEPS5_m11less_div_10IhEEE10hipError_tT0_T1_T2_jT3_P12ihipStream_tbPNSt15iterator_traitsISJ_E10value_typeEPNSP_ISK_E10value_typeEPSL_NS1_7vsmem_tEENKUlT_SJ_SK_SL_E_clIPhSE_SF_SF_EESI_SY_SJ_SK_SL_EUlSY_E1_NS1_11comp_targetILNS1_3genE4ELNS1_11target_archE910ELNS1_3gpuE8ELNS1_3repE0EEENS1_36merge_oddeven_config_static_selectorELNS0_4arch9wavefront6targetE0EEEvSK_
; %bb.0:
	.section	.rodata,"a",@progbits
	.p2align	6, 0x0
	.amdhsa_kernel _ZN7rocprim17ROCPRIM_400000_NS6detail17trampoline_kernelINS0_14default_configENS1_38merge_sort_block_merge_config_selectorIhNS0_10empty_typeEEEZZNS1_27merge_sort_block_merge_implIS3_N6thrust23THRUST_200600_302600_NS6detail15normal_iteratorINS9_10device_ptrIhEEEEPS5_m11less_div_10IhEEE10hipError_tT0_T1_T2_jT3_P12ihipStream_tbPNSt15iterator_traitsISJ_E10value_typeEPNSP_ISK_E10value_typeEPSL_NS1_7vsmem_tEENKUlT_SJ_SK_SL_E_clIPhSE_SF_SF_EESI_SY_SJ_SK_SL_EUlSY_E1_NS1_11comp_targetILNS1_3genE4ELNS1_11target_archE910ELNS1_3gpuE8ELNS1_3repE0EEENS1_36merge_oddeven_config_static_selectorELNS0_4arch9wavefront6targetE0EEEvSK_
		.amdhsa_group_segment_fixed_size 0
		.amdhsa_private_segment_fixed_size 0
		.amdhsa_kernarg_size 56
		.amdhsa_user_sgpr_count 6
		.amdhsa_user_sgpr_private_segment_buffer 1
		.amdhsa_user_sgpr_dispatch_ptr 0
		.amdhsa_user_sgpr_queue_ptr 0
		.amdhsa_user_sgpr_kernarg_segment_ptr 1
		.amdhsa_user_sgpr_dispatch_id 0
		.amdhsa_user_sgpr_flat_scratch_init 0
		.amdhsa_user_sgpr_private_segment_size 0
		.amdhsa_wavefront_size32 1
		.amdhsa_uses_dynamic_stack 0
		.amdhsa_system_sgpr_private_segment_wavefront_offset 0
		.amdhsa_system_sgpr_workgroup_id_x 1
		.amdhsa_system_sgpr_workgroup_id_y 0
		.amdhsa_system_sgpr_workgroup_id_z 0
		.amdhsa_system_sgpr_workgroup_info 0
		.amdhsa_system_vgpr_workitem_id 0
		.amdhsa_next_free_vgpr 1
		.amdhsa_next_free_sgpr 1
		.amdhsa_reserve_vcc 0
		.amdhsa_reserve_flat_scratch 0
		.amdhsa_float_round_mode_32 0
		.amdhsa_float_round_mode_16_64 0
		.amdhsa_float_denorm_mode_32 3
		.amdhsa_float_denorm_mode_16_64 3
		.amdhsa_dx10_clamp 1
		.amdhsa_ieee_mode 1
		.amdhsa_fp16_overflow 0
		.amdhsa_workgroup_processor_mode 1
		.amdhsa_memory_ordered 1
		.amdhsa_forward_progress 1
		.amdhsa_shared_vgpr_count 0
		.amdhsa_exception_fp_ieee_invalid_op 0
		.amdhsa_exception_fp_denorm_src 0
		.amdhsa_exception_fp_ieee_div_zero 0
		.amdhsa_exception_fp_ieee_overflow 0
		.amdhsa_exception_fp_ieee_underflow 0
		.amdhsa_exception_fp_ieee_inexact 0
		.amdhsa_exception_int_div_zero 0
	.end_amdhsa_kernel
	.section	.text._ZN7rocprim17ROCPRIM_400000_NS6detail17trampoline_kernelINS0_14default_configENS1_38merge_sort_block_merge_config_selectorIhNS0_10empty_typeEEEZZNS1_27merge_sort_block_merge_implIS3_N6thrust23THRUST_200600_302600_NS6detail15normal_iteratorINS9_10device_ptrIhEEEEPS5_m11less_div_10IhEEE10hipError_tT0_T1_T2_jT3_P12ihipStream_tbPNSt15iterator_traitsISJ_E10value_typeEPNSP_ISK_E10value_typeEPSL_NS1_7vsmem_tEENKUlT_SJ_SK_SL_E_clIPhSE_SF_SF_EESI_SY_SJ_SK_SL_EUlSY_E1_NS1_11comp_targetILNS1_3genE4ELNS1_11target_archE910ELNS1_3gpuE8ELNS1_3repE0EEENS1_36merge_oddeven_config_static_selectorELNS0_4arch9wavefront6targetE0EEEvSK_,"axG",@progbits,_ZN7rocprim17ROCPRIM_400000_NS6detail17trampoline_kernelINS0_14default_configENS1_38merge_sort_block_merge_config_selectorIhNS0_10empty_typeEEEZZNS1_27merge_sort_block_merge_implIS3_N6thrust23THRUST_200600_302600_NS6detail15normal_iteratorINS9_10device_ptrIhEEEEPS5_m11less_div_10IhEEE10hipError_tT0_T1_T2_jT3_P12ihipStream_tbPNSt15iterator_traitsISJ_E10value_typeEPNSP_ISK_E10value_typeEPSL_NS1_7vsmem_tEENKUlT_SJ_SK_SL_E_clIPhSE_SF_SF_EESI_SY_SJ_SK_SL_EUlSY_E1_NS1_11comp_targetILNS1_3genE4ELNS1_11target_archE910ELNS1_3gpuE8ELNS1_3repE0EEENS1_36merge_oddeven_config_static_selectorELNS0_4arch9wavefront6targetE0EEEvSK_,comdat
.Lfunc_end712:
	.size	_ZN7rocprim17ROCPRIM_400000_NS6detail17trampoline_kernelINS0_14default_configENS1_38merge_sort_block_merge_config_selectorIhNS0_10empty_typeEEEZZNS1_27merge_sort_block_merge_implIS3_N6thrust23THRUST_200600_302600_NS6detail15normal_iteratorINS9_10device_ptrIhEEEEPS5_m11less_div_10IhEEE10hipError_tT0_T1_T2_jT3_P12ihipStream_tbPNSt15iterator_traitsISJ_E10value_typeEPNSP_ISK_E10value_typeEPSL_NS1_7vsmem_tEENKUlT_SJ_SK_SL_E_clIPhSE_SF_SF_EESI_SY_SJ_SK_SL_EUlSY_E1_NS1_11comp_targetILNS1_3genE4ELNS1_11target_archE910ELNS1_3gpuE8ELNS1_3repE0EEENS1_36merge_oddeven_config_static_selectorELNS0_4arch9wavefront6targetE0EEEvSK_, .Lfunc_end712-_ZN7rocprim17ROCPRIM_400000_NS6detail17trampoline_kernelINS0_14default_configENS1_38merge_sort_block_merge_config_selectorIhNS0_10empty_typeEEEZZNS1_27merge_sort_block_merge_implIS3_N6thrust23THRUST_200600_302600_NS6detail15normal_iteratorINS9_10device_ptrIhEEEEPS5_m11less_div_10IhEEE10hipError_tT0_T1_T2_jT3_P12ihipStream_tbPNSt15iterator_traitsISJ_E10value_typeEPNSP_ISK_E10value_typeEPSL_NS1_7vsmem_tEENKUlT_SJ_SK_SL_E_clIPhSE_SF_SF_EESI_SY_SJ_SK_SL_EUlSY_E1_NS1_11comp_targetILNS1_3genE4ELNS1_11target_archE910ELNS1_3gpuE8ELNS1_3repE0EEENS1_36merge_oddeven_config_static_selectorELNS0_4arch9wavefront6targetE0EEEvSK_
                                        ; -- End function
	.set _ZN7rocprim17ROCPRIM_400000_NS6detail17trampoline_kernelINS0_14default_configENS1_38merge_sort_block_merge_config_selectorIhNS0_10empty_typeEEEZZNS1_27merge_sort_block_merge_implIS3_N6thrust23THRUST_200600_302600_NS6detail15normal_iteratorINS9_10device_ptrIhEEEEPS5_m11less_div_10IhEEE10hipError_tT0_T1_T2_jT3_P12ihipStream_tbPNSt15iterator_traitsISJ_E10value_typeEPNSP_ISK_E10value_typeEPSL_NS1_7vsmem_tEENKUlT_SJ_SK_SL_E_clIPhSE_SF_SF_EESI_SY_SJ_SK_SL_EUlSY_E1_NS1_11comp_targetILNS1_3genE4ELNS1_11target_archE910ELNS1_3gpuE8ELNS1_3repE0EEENS1_36merge_oddeven_config_static_selectorELNS0_4arch9wavefront6targetE0EEEvSK_.num_vgpr, 0
	.set _ZN7rocprim17ROCPRIM_400000_NS6detail17trampoline_kernelINS0_14default_configENS1_38merge_sort_block_merge_config_selectorIhNS0_10empty_typeEEEZZNS1_27merge_sort_block_merge_implIS3_N6thrust23THRUST_200600_302600_NS6detail15normal_iteratorINS9_10device_ptrIhEEEEPS5_m11less_div_10IhEEE10hipError_tT0_T1_T2_jT3_P12ihipStream_tbPNSt15iterator_traitsISJ_E10value_typeEPNSP_ISK_E10value_typeEPSL_NS1_7vsmem_tEENKUlT_SJ_SK_SL_E_clIPhSE_SF_SF_EESI_SY_SJ_SK_SL_EUlSY_E1_NS1_11comp_targetILNS1_3genE4ELNS1_11target_archE910ELNS1_3gpuE8ELNS1_3repE0EEENS1_36merge_oddeven_config_static_selectorELNS0_4arch9wavefront6targetE0EEEvSK_.num_agpr, 0
	.set _ZN7rocprim17ROCPRIM_400000_NS6detail17trampoline_kernelINS0_14default_configENS1_38merge_sort_block_merge_config_selectorIhNS0_10empty_typeEEEZZNS1_27merge_sort_block_merge_implIS3_N6thrust23THRUST_200600_302600_NS6detail15normal_iteratorINS9_10device_ptrIhEEEEPS5_m11less_div_10IhEEE10hipError_tT0_T1_T2_jT3_P12ihipStream_tbPNSt15iterator_traitsISJ_E10value_typeEPNSP_ISK_E10value_typeEPSL_NS1_7vsmem_tEENKUlT_SJ_SK_SL_E_clIPhSE_SF_SF_EESI_SY_SJ_SK_SL_EUlSY_E1_NS1_11comp_targetILNS1_3genE4ELNS1_11target_archE910ELNS1_3gpuE8ELNS1_3repE0EEENS1_36merge_oddeven_config_static_selectorELNS0_4arch9wavefront6targetE0EEEvSK_.numbered_sgpr, 0
	.set _ZN7rocprim17ROCPRIM_400000_NS6detail17trampoline_kernelINS0_14default_configENS1_38merge_sort_block_merge_config_selectorIhNS0_10empty_typeEEEZZNS1_27merge_sort_block_merge_implIS3_N6thrust23THRUST_200600_302600_NS6detail15normal_iteratorINS9_10device_ptrIhEEEEPS5_m11less_div_10IhEEE10hipError_tT0_T1_T2_jT3_P12ihipStream_tbPNSt15iterator_traitsISJ_E10value_typeEPNSP_ISK_E10value_typeEPSL_NS1_7vsmem_tEENKUlT_SJ_SK_SL_E_clIPhSE_SF_SF_EESI_SY_SJ_SK_SL_EUlSY_E1_NS1_11comp_targetILNS1_3genE4ELNS1_11target_archE910ELNS1_3gpuE8ELNS1_3repE0EEENS1_36merge_oddeven_config_static_selectorELNS0_4arch9wavefront6targetE0EEEvSK_.num_named_barrier, 0
	.set _ZN7rocprim17ROCPRIM_400000_NS6detail17trampoline_kernelINS0_14default_configENS1_38merge_sort_block_merge_config_selectorIhNS0_10empty_typeEEEZZNS1_27merge_sort_block_merge_implIS3_N6thrust23THRUST_200600_302600_NS6detail15normal_iteratorINS9_10device_ptrIhEEEEPS5_m11less_div_10IhEEE10hipError_tT0_T1_T2_jT3_P12ihipStream_tbPNSt15iterator_traitsISJ_E10value_typeEPNSP_ISK_E10value_typeEPSL_NS1_7vsmem_tEENKUlT_SJ_SK_SL_E_clIPhSE_SF_SF_EESI_SY_SJ_SK_SL_EUlSY_E1_NS1_11comp_targetILNS1_3genE4ELNS1_11target_archE910ELNS1_3gpuE8ELNS1_3repE0EEENS1_36merge_oddeven_config_static_selectorELNS0_4arch9wavefront6targetE0EEEvSK_.private_seg_size, 0
	.set _ZN7rocprim17ROCPRIM_400000_NS6detail17trampoline_kernelINS0_14default_configENS1_38merge_sort_block_merge_config_selectorIhNS0_10empty_typeEEEZZNS1_27merge_sort_block_merge_implIS3_N6thrust23THRUST_200600_302600_NS6detail15normal_iteratorINS9_10device_ptrIhEEEEPS5_m11less_div_10IhEEE10hipError_tT0_T1_T2_jT3_P12ihipStream_tbPNSt15iterator_traitsISJ_E10value_typeEPNSP_ISK_E10value_typeEPSL_NS1_7vsmem_tEENKUlT_SJ_SK_SL_E_clIPhSE_SF_SF_EESI_SY_SJ_SK_SL_EUlSY_E1_NS1_11comp_targetILNS1_3genE4ELNS1_11target_archE910ELNS1_3gpuE8ELNS1_3repE0EEENS1_36merge_oddeven_config_static_selectorELNS0_4arch9wavefront6targetE0EEEvSK_.uses_vcc, 0
	.set _ZN7rocprim17ROCPRIM_400000_NS6detail17trampoline_kernelINS0_14default_configENS1_38merge_sort_block_merge_config_selectorIhNS0_10empty_typeEEEZZNS1_27merge_sort_block_merge_implIS3_N6thrust23THRUST_200600_302600_NS6detail15normal_iteratorINS9_10device_ptrIhEEEEPS5_m11less_div_10IhEEE10hipError_tT0_T1_T2_jT3_P12ihipStream_tbPNSt15iterator_traitsISJ_E10value_typeEPNSP_ISK_E10value_typeEPSL_NS1_7vsmem_tEENKUlT_SJ_SK_SL_E_clIPhSE_SF_SF_EESI_SY_SJ_SK_SL_EUlSY_E1_NS1_11comp_targetILNS1_3genE4ELNS1_11target_archE910ELNS1_3gpuE8ELNS1_3repE0EEENS1_36merge_oddeven_config_static_selectorELNS0_4arch9wavefront6targetE0EEEvSK_.uses_flat_scratch, 0
	.set _ZN7rocprim17ROCPRIM_400000_NS6detail17trampoline_kernelINS0_14default_configENS1_38merge_sort_block_merge_config_selectorIhNS0_10empty_typeEEEZZNS1_27merge_sort_block_merge_implIS3_N6thrust23THRUST_200600_302600_NS6detail15normal_iteratorINS9_10device_ptrIhEEEEPS5_m11less_div_10IhEEE10hipError_tT0_T1_T2_jT3_P12ihipStream_tbPNSt15iterator_traitsISJ_E10value_typeEPNSP_ISK_E10value_typeEPSL_NS1_7vsmem_tEENKUlT_SJ_SK_SL_E_clIPhSE_SF_SF_EESI_SY_SJ_SK_SL_EUlSY_E1_NS1_11comp_targetILNS1_3genE4ELNS1_11target_archE910ELNS1_3gpuE8ELNS1_3repE0EEENS1_36merge_oddeven_config_static_selectorELNS0_4arch9wavefront6targetE0EEEvSK_.has_dyn_sized_stack, 0
	.set _ZN7rocprim17ROCPRIM_400000_NS6detail17trampoline_kernelINS0_14default_configENS1_38merge_sort_block_merge_config_selectorIhNS0_10empty_typeEEEZZNS1_27merge_sort_block_merge_implIS3_N6thrust23THRUST_200600_302600_NS6detail15normal_iteratorINS9_10device_ptrIhEEEEPS5_m11less_div_10IhEEE10hipError_tT0_T1_T2_jT3_P12ihipStream_tbPNSt15iterator_traitsISJ_E10value_typeEPNSP_ISK_E10value_typeEPSL_NS1_7vsmem_tEENKUlT_SJ_SK_SL_E_clIPhSE_SF_SF_EESI_SY_SJ_SK_SL_EUlSY_E1_NS1_11comp_targetILNS1_3genE4ELNS1_11target_archE910ELNS1_3gpuE8ELNS1_3repE0EEENS1_36merge_oddeven_config_static_selectorELNS0_4arch9wavefront6targetE0EEEvSK_.has_recursion, 0
	.set _ZN7rocprim17ROCPRIM_400000_NS6detail17trampoline_kernelINS0_14default_configENS1_38merge_sort_block_merge_config_selectorIhNS0_10empty_typeEEEZZNS1_27merge_sort_block_merge_implIS3_N6thrust23THRUST_200600_302600_NS6detail15normal_iteratorINS9_10device_ptrIhEEEEPS5_m11less_div_10IhEEE10hipError_tT0_T1_T2_jT3_P12ihipStream_tbPNSt15iterator_traitsISJ_E10value_typeEPNSP_ISK_E10value_typeEPSL_NS1_7vsmem_tEENKUlT_SJ_SK_SL_E_clIPhSE_SF_SF_EESI_SY_SJ_SK_SL_EUlSY_E1_NS1_11comp_targetILNS1_3genE4ELNS1_11target_archE910ELNS1_3gpuE8ELNS1_3repE0EEENS1_36merge_oddeven_config_static_selectorELNS0_4arch9wavefront6targetE0EEEvSK_.has_indirect_call, 0
	.section	.AMDGPU.csdata,"",@progbits
; Kernel info:
; codeLenInByte = 0
; TotalNumSgprs: 0
; NumVgprs: 0
; ScratchSize: 0
; MemoryBound: 0
; FloatMode: 240
; IeeeMode: 1
; LDSByteSize: 0 bytes/workgroup (compile time only)
; SGPRBlocks: 0
; VGPRBlocks: 0
; NumSGPRsForWavesPerEU: 1
; NumVGPRsForWavesPerEU: 1
; Occupancy: 16
; WaveLimiterHint : 0
; COMPUTE_PGM_RSRC2:SCRATCH_EN: 0
; COMPUTE_PGM_RSRC2:USER_SGPR: 6
; COMPUTE_PGM_RSRC2:TRAP_HANDLER: 0
; COMPUTE_PGM_RSRC2:TGID_X_EN: 1
; COMPUTE_PGM_RSRC2:TGID_Y_EN: 0
; COMPUTE_PGM_RSRC2:TGID_Z_EN: 0
; COMPUTE_PGM_RSRC2:TIDIG_COMP_CNT: 0
	.section	.text._ZN7rocprim17ROCPRIM_400000_NS6detail17trampoline_kernelINS0_14default_configENS1_38merge_sort_block_merge_config_selectorIhNS0_10empty_typeEEEZZNS1_27merge_sort_block_merge_implIS3_N6thrust23THRUST_200600_302600_NS6detail15normal_iteratorINS9_10device_ptrIhEEEEPS5_m11less_div_10IhEEE10hipError_tT0_T1_T2_jT3_P12ihipStream_tbPNSt15iterator_traitsISJ_E10value_typeEPNSP_ISK_E10value_typeEPSL_NS1_7vsmem_tEENKUlT_SJ_SK_SL_E_clIPhSE_SF_SF_EESI_SY_SJ_SK_SL_EUlSY_E1_NS1_11comp_targetILNS1_3genE3ELNS1_11target_archE908ELNS1_3gpuE7ELNS1_3repE0EEENS1_36merge_oddeven_config_static_selectorELNS0_4arch9wavefront6targetE0EEEvSK_,"axG",@progbits,_ZN7rocprim17ROCPRIM_400000_NS6detail17trampoline_kernelINS0_14default_configENS1_38merge_sort_block_merge_config_selectorIhNS0_10empty_typeEEEZZNS1_27merge_sort_block_merge_implIS3_N6thrust23THRUST_200600_302600_NS6detail15normal_iteratorINS9_10device_ptrIhEEEEPS5_m11less_div_10IhEEE10hipError_tT0_T1_T2_jT3_P12ihipStream_tbPNSt15iterator_traitsISJ_E10value_typeEPNSP_ISK_E10value_typeEPSL_NS1_7vsmem_tEENKUlT_SJ_SK_SL_E_clIPhSE_SF_SF_EESI_SY_SJ_SK_SL_EUlSY_E1_NS1_11comp_targetILNS1_3genE3ELNS1_11target_archE908ELNS1_3gpuE7ELNS1_3repE0EEENS1_36merge_oddeven_config_static_selectorELNS0_4arch9wavefront6targetE0EEEvSK_,comdat
	.protected	_ZN7rocprim17ROCPRIM_400000_NS6detail17trampoline_kernelINS0_14default_configENS1_38merge_sort_block_merge_config_selectorIhNS0_10empty_typeEEEZZNS1_27merge_sort_block_merge_implIS3_N6thrust23THRUST_200600_302600_NS6detail15normal_iteratorINS9_10device_ptrIhEEEEPS5_m11less_div_10IhEEE10hipError_tT0_T1_T2_jT3_P12ihipStream_tbPNSt15iterator_traitsISJ_E10value_typeEPNSP_ISK_E10value_typeEPSL_NS1_7vsmem_tEENKUlT_SJ_SK_SL_E_clIPhSE_SF_SF_EESI_SY_SJ_SK_SL_EUlSY_E1_NS1_11comp_targetILNS1_3genE3ELNS1_11target_archE908ELNS1_3gpuE7ELNS1_3repE0EEENS1_36merge_oddeven_config_static_selectorELNS0_4arch9wavefront6targetE0EEEvSK_ ; -- Begin function _ZN7rocprim17ROCPRIM_400000_NS6detail17trampoline_kernelINS0_14default_configENS1_38merge_sort_block_merge_config_selectorIhNS0_10empty_typeEEEZZNS1_27merge_sort_block_merge_implIS3_N6thrust23THRUST_200600_302600_NS6detail15normal_iteratorINS9_10device_ptrIhEEEEPS5_m11less_div_10IhEEE10hipError_tT0_T1_T2_jT3_P12ihipStream_tbPNSt15iterator_traitsISJ_E10value_typeEPNSP_ISK_E10value_typeEPSL_NS1_7vsmem_tEENKUlT_SJ_SK_SL_E_clIPhSE_SF_SF_EESI_SY_SJ_SK_SL_EUlSY_E1_NS1_11comp_targetILNS1_3genE3ELNS1_11target_archE908ELNS1_3gpuE7ELNS1_3repE0EEENS1_36merge_oddeven_config_static_selectorELNS0_4arch9wavefront6targetE0EEEvSK_
	.globl	_ZN7rocprim17ROCPRIM_400000_NS6detail17trampoline_kernelINS0_14default_configENS1_38merge_sort_block_merge_config_selectorIhNS0_10empty_typeEEEZZNS1_27merge_sort_block_merge_implIS3_N6thrust23THRUST_200600_302600_NS6detail15normal_iteratorINS9_10device_ptrIhEEEEPS5_m11less_div_10IhEEE10hipError_tT0_T1_T2_jT3_P12ihipStream_tbPNSt15iterator_traitsISJ_E10value_typeEPNSP_ISK_E10value_typeEPSL_NS1_7vsmem_tEENKUlT_SJ_SK_SL_E_clIPhSE_SF_SF_EESI_SY_SJ_SK_SL_EUlSY_E1_NS1_11comp_targetILNS1_3genE3ELNS1_11target_archE908ELNS1_3gpuE7ELNS1_3repE0EEENS1_36merge_oddeven_config_static_selectorELNS0_4arch9wavefront6targetE0EEEvSK_
	.p2align	8
	.type	_ZN7rocprim17ROCPRIM_400000_NS6detail17trampoline_kernelINS0_14default_configENS1_38merge_sort_block_merge_config_selectorIhNS0_10empty_typeEEEZZNS1_27merge_sort_block_merge_implIS3_N6thrust23THRUST_200600_302600_NS6detail15normal_iteratorINS9_10device_ptrIhEEEEPS5_m11less_div_10IhEEE10hipError_tT0_T1_T2_jT3_P12ihipStream_tbPNSt15iterator_traitsISJ_E10value_typeEPNSP_ISK_E10value_typeEPSL_NS1_7vsmem_tEENKUlT_SJ_SK_SL_E_clIPhSE_SF_SF_EESI_SY_SJ_SK_SL_EUlSY_E1_NS1_11comp_targetILNS1_3genE3ELNS1_11target_archE908ELNS1_3gpuE7ELNS1_3repE0EEENS1_36merge_oddeven_config_static_selectorELNS0_4arch9wavefront6targetE0EEEvSK_,@function
_ZN7rocprim17ROCPRIM_400000_NS6detail17trampoline_kernelINS0_14default_configENS1_38merge_sort_block_merge_config_selectorIhNS0_10empty_typeEEEZZNS1_27merge_sort_block_merge_implIS3_N6thrust23THRUST_200600_302600_NS6detail15normal_iteratorINS9_10device_ptrIhEEEEPS5_m11less_div_10IhEEE10hipError_tT0_T1_T2_jT3_P12ihipStream_tbPNSt15iterator_traitsISJ_E10value_typeEPNSP_ISK_E10value_typeEPSL_NS1_7vsmem_tEENKUlT_SJ_SK_SL_E_clIPhSE_SF_SF_EESI_SY_SJ_SK_SL_EUlSY_E1_NS1_11comp_targetILNS1_3genE3ELNS1_11target_archE908ELNS1_3gpuE7ELNS1_3repE0EEENS1_36merge_oddeven_config_static_selectorELNS0_4arch9wavefront6targetE0EEEvSK_: ; @_ZN7rocprim17ROCPRIM_400000_NS6detail17trampoline_kernelINS0_14default_configENS1_38merge_sort_block_merge_config_selectorIhNS0_10empty_typeEEEZZNS1_27merge_sort_block_merge_implIS3_N6thrust23THRUST_200600_302600_NS6detail15normal_iteratorINS9_10device_ptrIhEEEEPS5_m11less_div_10IhEEE10hipError_tT0_T1_T2_jT3_P12ihipStream_tbPNSt15iterator_traitsISJ_E10value_typeEPNSP_ISK_E10value_typeEPSL_NS1_7vsmem_tEENKUlT_SJ_SK_SL_E_clIPhSE_SF_SF_EESI_SY_SJ_SK_SL_EUlSY_E1_NS1_11comp_targetILNS1_3genE3ELNS1_11target_archE908ELNS1_3gpuE7ELNS1_3repE0EEENS1_36merge_oddeven_config_static_selectorELNS0_4arch9wavefront6targetE0EEEvSK_
; %bb.0:
	.section	.rodata,"a",@progbits
	.p2align	6, 0x0
	.amdhsa_kernel _ZN7rocprim17ROCPRIM_400000_NS6detail17trampoline_kernelINS0_14default_configENS1_38merge_sort_block_merge_config_selectorIhNS0_10empty_typeEEEZZNS1_27merge_sort_block_merge_implIS3_N6thrust23THRUST_200600_302600_NS6detail15normal_iteratorINS9_10device_ptrIhEEEEPS5_m11less_div_10IhEEE10hipError_tT0_T1_T2_jT3_P12ihipStream_tbPNSt15iterator_traitsISJ_E10value_typeEPNSP_ISK_E10value_typeEPSL_NS1_7vsmem_tEENKUlT_SJ_SK_SL_E_clIPhSE_SF_SF_EESI_SY_SJ_SK_SL_EUlSY_E1_NS1_11comp_targetILNS1_3genE3ELNS1_11target_archE908ELNS1_3gpuE7ELNS1_3repE0EEENS1_36merge_oddeven_config_static_selectorELNS0_4arch9wavefront6targetE0EEEvSK_
		.amdhsa_group_segment_fixed_size 0
		.amdhsa_private_segment_fixed_size 0
		.amdhsa_kernarg_size 56
		.amdhsa_user_sgpr_count 6
		.amdhsa_user_sgpr_private_segment_buffer 1
		.amdhsa_user_sgpr_dispatch_ptr 0
		.amdhsa_user_sgpr_queue_ptr 0
		.amdhsa_user_sgpr_kernarg_segment_ptr 1
		.amdhsa_user_sgpr_dispatch_id 0
		.amdhsa_user_sgpr_flat_scratch_init 0
		.amdhsa_user_sgpr_private_segment_size 0
		.amdhsa_wavefront_size32 1
		.amdhsa_uses_dynamic_stack 0
		.amdhsa_system_sgpr_private_segment_wavefront_offset 0
		.amdhsa_system_sgpr_workgroup_id_x 1
		.amdhsa_system_sgpr_workgroup_id_y 0
		.amdhsa_system_sgpr_workgroup_id_z 0
		.amdhsa_system_sgpr_workgroup_info 0
		.amdhsa_system_vgpr_workitem_id 0
		.amdhsa_next_free_vgpr 1
		.amdhsa_next_free_sgpr 1
		.amdhsa_reserve_vcc 0
		.amdhsa_reserve_flat_scratch 0
		.amdhsa_float_round_mode_32 0
		.amdhsa_float_round_mode_16_64 0
		.amdhsa_float_denorm_mode_32 3
		.amdhsa_float_denorm_mode_16_64 3
		.amdhsa_dx10_clamp 1
		.amdhsa_ieee_mode 1
		.amdhsa_fp16_overflow 0
		.amdhsa_workgroup_processor_mode 1
		.amdhsa_memory_ordered 1
		.amdhsa_forward_progress 1
		.amdhsa_shared_vgpr_count 0
		.amdhsa_exception_fp_ieee_invalid_op 0
		.amdhsa_exception_fp_denorm_src 0
		.amdhsa_exception_fp_ieee_div_zero 0
		.amdhsa_exception_fp_ieee_overflow 0
		.amdhsa_exception_fp_ieee_underflow 0
		.amdhsa_exception_fp_ieee_inexact 0
		.amdhsa_exception_int_div_zero 0
	.end_amdhsa_kernel
	.section	.text._ZN7rocprim17ROCPRIM_400000_NS6detail17trampoline_kernelINS0_14default_configENS1_38merge_sort_block_merge_config_selectorIhNS0_10empty_typeEEEZZNS1_27merge_sort_block_merge_implIS3_N6thrust23THRUST_200600_302600_NS6detail15normal_iteratorINS9_10device_ptrIhEEEEPS5_m11less_div_10IhEEE10hipError_tT0_T1_T2_jT3_P12ihipStream_tbPNSt15iterator_traitsISJ_E10value_typeEPNSP_ISK_E10value_typeEPSL_NS1_7vsmem_tEENKUlT_SJ_SK_SL_E_clIPhSE_SF_SF_EESI_SY_SJ_SK_SL_EUlSY_E1_NS1_11comp_targetILNS1_3genE3ELNS1_11target_archE908ELNS1_3gpuE7ELNS1_3repE0EEENS1_36merge_oddeven_config_static_selectorELNS0_4arch9wavefront6targetE0EEEvSK_,"axG",@progbits,_ZN7rocprim17ROCPRIM_400000_NS6detail17trampoline_kernelINS0_14default_configENS1_38merge_sort_block_merge_config_selectorIhNS0_10empty_typeEEEZZNS1_27merge_sort_block_merge_implIS3_N6thrust23THRUST_200600_302600_NS6detail15normal_iteratorINS9_10device_ptrIhEEEEPS5_m11less_div_10IhEEE10hipError_tT0_T1_T2_jT3_P12ihipStream_tbPNSt15iterator_traitsISJ_E10value_typeEPNSP_ISK_E10value_typeEPSL_NS1_7vsmem_tEENKUlT_SJ_SK_SL_E_clIPhSE_SF_SF_EESI_SY_SJ_SK_SL_EUlSY_E1_NS1_11comp_targetILNS1_3genE3ELNS1_11target_archE908ELNS1_3gpuE7ELNS1_3repE0EEENS1_36merge_oddeven_config_static_selectorELNS0_4arch9wavefront6targetE0EEEvSK_,comdat
.Lfunc_end713:
	.size	_ZN7rocprim17ROCPRIM_400000_NS6detail17trampoline_kernelINS0_14default_configENS1_38merge_sort_block_merge_config_selectorIhNS0_10empty_typeEEEZZNS1_27merge_sort_block_merge_implIS3_N6thrust23THRUST_200600_302600_NS6detail15normal_iteratorINS9_10device_ptrIhEEEEPS5_m11less_div_10IhEEE10hipError_tT0_T1_T2_jT3_P12ihipStream_tbPNSt15iterator_traitsISJ_E10value_typeEPNSP_ISK_E10value_typeEPSL_NS1_7vsmem_tEENKUlT_SJ_SK_SL_E_clIPhSE_SF_SF_EESI_SY_SJ_SK_SL_EUlSY_E1_NS1_11comp_targetILNS1_3genE3ELNS1_11target_archE908ELNS1_3gpuE7ELNS1_3repE0EEENS1_36merge_oddeven_config_static_selectorELNS0_4arch9wavefront6targetE0EEEvSK_, .Lfunc_end713-_ZN7rocprim17ROCPRIM_400000_NS6detail17trampoline_kernelINS0_14default_configENS1_38merge_sort_block_merge_config_selectorIhNS0_10empty_typeEEEZZNS1_27merge_sort_block_merge_implIS3_N6thrust23THRUST_200600_302600_NS6detail15normal_iteratorINS9_10device_ptrIhEEEEPS5_m11less_div_10IhEEE10hipError_tT0_T1_T2_jT3_P12ihipStream_tbPNSt15iterator_traitsISJ_E10value_typeEPNSP_ISK_E10value_typeEPSL_NS1_7vsmem_tEENKUlT_SJ_SK_SL_E_clIPhSE_SF_SF_EESI_SY_SJ_SK_SL_EUlSY_E1_NS1_11comp_targetILNS1_3genE3ELNS1_11target_archE908ELNS1_3gpuE7ELNS1_3repE0EEENS1_36merge_oddeven_config_static_selectorELNS0_4arch9wavefront6targetE0EEEvSK_
                                        ; -- End function
	.set _ZN7rocprim17ROCPRIM_400000_NS6detail17trampoline_kernelINS0_14default_configENS1_38merge_sort_block_merge_config_selectorIhNS0_10empty_typeEEEZZNS1_27merge_sort_block_merge_implIS3_N6thrust23THRUST_200600_302600_NS6detail15normal_iteratorINS9_10device_ptrIhEEEEPS5_m11less_div_10IhEEE10hipError_tT0_T1_T2_jT3_P12ihipStream_tbPNSt15iterator_traitsISJ_E10value_typeEPNSP_ISK_E10value_typeEPSL_NS1_7vsmem_tEENKUlT_SJ_SK_SL_E_clIPhSE_SF_SF_EESI_SY_SJ_SK_SL_EUlSY_E1_NS1_11comp_targetILNS1_3genE3ELNS1_11target_archE908ELNS1_3gpuE7ELNS1_3repE0EEENS1_36merge_oddeven_config_static_selectorELNS0_4arch9wavefront6targetE0EEEvSK_.num_vgpr, 0
	.set _ZN7rocprim17ROCPRIM_400000_NS6detail17trampoline_kernelINS0_14default_configENS1_38merge_sort_block_merge_config_selectorIhNS0_10empty_typeEEEZZNS1_27merge_sort_block_merge_implIS3_N6thrust23THRUST_200600_302600_NS6detail15normal_iteratorINS9_10device_ptrIhEEEEPS5_m11less_div_10IhEEE10hipError_tT0_T1_T2_jT3_P12ihipStream_tbPNSt15iterator_traitsISJ_E10value_typeEPNSP_ISK_E10value_typeEPSL_NS1_7vsmem_tEENKUlT_SJ_SK_SL_E_clIPhSE_SF_SF_EESI_SY_SJ_SK_SL_EUlSY_E1_NS1_11comp_targetILNS1_3genE3ELNS1_11target_archE908ELNS1_3gpuE7ELNS1_3repE0EEENS1_36merge_oddeven_config_static_selectorELNS0_4arch9wavefront6targetE0EEEvSK_.num_agpr, 0
	.set _ZN7rocprim17ROCPRIM_400000_NS6detail17trampoline_kernelINS0_14default_configENS1_38merge_sort_block_merge_config_selectorIhNS0_10empty_typeEEEZZNS1_27merge_sort_block_merge_implIS3_N6thrust23THRUST_200600_302600_NS6detail15normal_iteratorINS9_10device_ptrIhEEEEPS5_m11less_div_10IhEEE10hipError_tT0_T1_T2_jT3_P12ihipStream_tbPNSt15iterator_traitsISJ_E10value_typeEPNSP_ISK_E10value_typeEPSL_NS1_7vsmem_tEENKUlT_SJ_SK_SL_E_clIPhSE_SF_SF_EESI_SY_SJ_SK_SL_EUlSY_E1_NS1_11comp_targetILNS1_3genE3ELNS1_11target_archE908ELNS1_3gpuE7ELNS1_3repE0EEENS1_36merge_oddeven_config_static_selectorELNS0_4arch9wavefront6targetE0EEEvSK_.numbered_sgpr, 0
	.set _ZN7rocprim17ROCPRIM_400000_NS6detail17trampoline_kernelINS0_14default_configENS1_38merge_sort_block_merge_config_selectorIhNS0_10empty_typeEEEZZNS1_27merge_sort_block_merge_implIS3_N6thrust23THRUST_200600_302600_NS6detail15normal_iteratorINS9_10device_ptrIhEEEEPS5_m11less_div_10IhEEE10hipError_tT0_T1_T2_jT3_P12ihipStream_tbPNSt15iterator_traitsISJ_E10value_typeEPNSP_ISK_E10value_typeEPSL_NS1_7vsmem_tEENKUlT_SJ_SK_SL_E_clIPhSE_SF_SF_EESI_SY_SJ_SK_SL_EUlSY_E1_NS1_11comp_targetILNS1_3genE3ELNS1_11target_archE908ELNS1_3gpuE7ELNS1_3repE0EEENS1_36merge_oddeven_config_static_selectorELNS0_4arch9wavefront6targetE0EEEvSK_.num_named_barrier, 0
	.set _ZN7rocprim17ROCPRIM_400000_NS6detail17trampoline_kernelINS0_14default_configENS1_38merge_sort_block_merge_config_selectorIhNS0_10empty_typeEEEZZNS1_27merge_sort_block_merge_implIS3_N6thrust23THRUST_200600_302600_NS6detail15normal_iteratorINS9_10device_ptrIhEEEEPS5_m11less_div_10IhEEE10hipError_tT0_T1_T2_jT3_P12ihipStream_tbPNSt15iterator_traitsISJ_E10value_typeEPNSP_ISK_E10value_typeEPSL_NS1_7vsmem_tEENKUlT_SJ_SK_SL_E_clIPhSE_SF_SF_EESI_SY_SJ_SK_SL_EUlSY_E1_NS1_11comp_targetILNS1_3genE3ELNS1_11target_archE908ELNS1_3gpuE7ELNS1_3repE0EEENS1_36merge_oddeven_config_static_selectorELNS0_4arch9wavefront6targetE0EEEvSK_.private_seg_size, 0
	.set _ZN7rocprim17ROCPRIM_400000_NS6detail17trampoline_kernelINS0_14default_configENS1_38merge_sort_block_merge_config_selectorIhNS0_10empty_typeEEEZZNS1_27merge_sort_block_merge_implIS3_N6thrust23THRUST_200600_302600_NS6detail15normal_iteratorINS9_10device_ptrIhEEEEPS5_m11less_div_10IhEEE10hipError_tT0_T1_T2_jT3_P12ihipStream_tbPNSt15iterator_traitsISJ_E10value_typeEPNSP_ISK_E10value_typeEPSL_NS1_7vsmem_tEENKUlT_SJ_SK_SL_E_clIPhSE_SF_SF_EESI_SY_SJ_SK_SL_EUlSY_E1_NS1_11comp_targetILNS1_3genE3ELNS1_11target_archE908ELNS1_3gpuE7ELNS1_3repE0EEENS1_36merge_oddeven_config_static_selectorELNS0_4arch9wavefront6targetE0EEEvSK_.uses_vcc, 0
	.set _ZN7rocprim17ROCPRIM_400000_NS6detail17trampoline_kernelINS0_14default_configENS1_38merge_sort_block_merge_config_selectorIhNS0_10empty_typeEEEZZNS1_27merge_sort_block_merge_implIS3_N6thrust23THRUST_200600_302600_NS6detail15normal_iteratorINS9_10device_ptrIhEEEEPS5_m11less_div_10IhEEE10hipError_tT0_T1_T2_jT3_P12ihipStream_tbPNSt15iterator_traitsISJ_E10value_typeEPNSP_ISK_E10value_typeEPSL_NS1_7vsmem_tEENKUlT_SJ_SK_SL_E_clIPhSE_SF_SF_EESI_SY_SJ_SK_SL_EUlSY_E1_NS1_11comp_targetILNS1_3genE3ELNS1_11target_archE908ELNS1_3gpuE7ELNS1_3repE0EEENS1_36merge_oddeven_config_static_selectorELNS0_4arch9wavefront6targetE0EEEvSK_.uses_flat_scratch, 0
	.set _ZN7rocprim17ROCPRIM_400000_NS6detail17trampoline_kernelINS0_14default_configENS1_38merge_sort_block_merge_config_selectorIhNS0_10empty_typeEEEZZNS1_27merge_sort_block_merge_implIS3_N6thrust23THRUST_200600_302600_NS6detail15normal_iteratorINS9_10device_ptrIhEEEEPS5_m11less_div_10IhEEE10hipError_tT0_T1_T2_jT3_P12ihipStream_tbPNSt15iterator_traitsISJ_E10value_typeEPNSP_ISK_E10value_typeEPSL_NS1_7vsmem_tEENKUlT_SJ_SK_SL_E_clIPhSE_SF_SF_EESI_SY_SJ_SK_SL_EUlSY_E1_NS1_11comp_targetILNS1_3genE3ELNS1_11target_archE908ELNS1_3gpuE7ELNS1_3repE0EEENS1_36merge_oddeven_config_static_selectorELNS0_4arch9wavefront6targetE0EEEvSK_.has_dyn_sized_stack, 0
	.set _ZN7rocprim17ROCPRIM_400000_NS6detail17trampoline_kernelINS0_14default_configENS1_38merge_sort_block_merge_config_selectorIhNS0_10empty_typeEEEZZNS1_27merge_sort_block_merge_implIS3_N6thrust23THRUST_200600_302600_NS6detail15normal_iteratorINS9_10device_ptrIhEEEEPS5_m11less_div_10IhEEE10hipError_tT0_T1_T2_jT3_P12ihipStream_tbPNSt15iterator_traitsISJ_E10value_typeEPNSP_ISK_E10value_typeEPSL_NS1_7vsmem_tEENKUlT_SJ_SK_SL_E_clIPhSE_SF_SF_EESI_SY_SJ_SK_SL_EUlSY_E1_NS1_11comp_targetILNS1_3genE3ELNS1_11target_archE908ELNS1_3gpuE7ELNS1_3repE0EEENS1_36merge_oddeven_config_static_selectorELNS0_4arch9wavefront6targetE0EEEvSK_.has_recursion, 0
	.set _ZN7rocprim17ROCPRIM_400000_NS6detail17trampoline_kernelINS0_14default_configENS1_38merge_sort_block_merge_config_selectorIhNS0_10empty_typeEEEZZNS1_27merge_sort_block_merge_implIS3_N6thrust23THRUST_200600_302600_NS6detail15normal_iteratorINS9_10device_ptrIhEEEEPS5_m11less_div_10IhEEE10hipError_tT0_T1_T2_jT3_P12ihipStream_tbPNSt15iterator_traitsISJ_E10value_typeEPNSP_ISK_E10value_typeEPSL_NS1_7vsmem_tEENKUlT_SJ_SK_SL_E_clIPhSE_SF_SF_EESI_SY_SJ_SK_SL_EUlSY_E1_NS1_11comp_targetILNS1_3genE3ELNS1_11target_archE908ELNS1_3gpuE7ELNS1_3repE0EEENS1_36merge_oddeven_config_static_selectorELNS0_4arch9wavefront6targetE0EEEvSK_.has_indirect_call, 0
	.section	.AMDGPU.csdata,"",@progbits
; Kernel info:
; codeLenInByte = 0
; TotalNumSgprs: 0
; NumVgprs: 0
; ScratchSize: 0
; MemoryBound: 0
; FloatMode: 240
; IeeeMode: 1
; LDSByteSize: 0 bytes/workgroup (compile time only)
; SGPRBlocks: 0
; VGPRBlocks: 0
; NumSGPRsForWavesPerEU: 1
; NumVGPRsForWavesPerEU: 1
; Occupancy: 16
; WaveLimiterHint : 0
; COMPUTE_PGM_RSRC2:SCRATCH_EN: 0
; COMPUTE_PGM_RSRC2:USER_SGPR: 6
; COMPUTE_PGM_RSRC2:TRAP_HANDLER: 0
; COMPUTE_PGM_RSRC2:TGID_X_EN: 1
; COMPUTE_PGM_RSRC2:TGID_Y_EN: 0
; COMPUTE_PGM_RSRC2:TGID_Z_EN: 0
; COMPUTE_PGM_RSRC2:TIDIG_COMP_CNT: 0
	.section	.text._ZN7rocprim17ROCPRIM_400000_NS6detail17trampoline_kernelINS0_14default_configENS1_38merge_sort_block_merge_config_selectorIhNS0_10empty_typeEEEZZNS1_27merge_sort_block_merge_implIS3_N6thrust23THRUST_200600_302600_NS6detail15normal_iteratorINS9_10device_ptrIhEEEEPS5_m11less_div_10IhEEE10hipError_tT0_T1_T2_jT3_P12ihipStream_tbPNSt15iterator_traitsISJ_E10value_typeEPNSP_ISK_E10value_typeEPSL_NS1_7vsmem_tEENKUlT_SJ_SK_SL_E_clIPhSE_SF_SF_EESI_SY_SJ_SK_SL_EUlSY_E1_NS1_11comp_targetILNS1_3genE2ELNS1_11target_archE906ELNS1_3gpuE6ELNS1_3repE0EEENS1_36merge_oddeven_config_static_selectorELNS0_4arch9wavefront6targetE0EEEvSK_,"axG",@progbits,_ZN7rocprim17ROCPRIM_400000_NS6detail17trampoline_kernelINS0_14default_configENS1_38merge_sort_block_merge_config_selectorIhNS0_10empty_typeEEEZZNS1_27merge_sort_block_merge_implIS3_N6thrust23THRUST_200600_302600_NS6detail15normal_iteratorINS9_10device_ptrIhEEEEPS5_m11less_div_10IhEEE10hipError_tT0_T1_T2_jT3_P12ihipStream_tbPNSt15iterator_traitsISJ_E10value_typeEPNSP_ISK_E10value_typeEPSL_NS1_7vsmem_tEENKUlT_SJ_SK_SL_E_clIPhSE_SF_SF_EESI_SY_SJ_SK_SL_EUlSY_E1_NS1_11comp_targetILNS1_3genE2ELNS1_11target_archE906ELNS1_3gpuE6ELNS1_3repE0EEENS1_36merge_oddeven_config_static_selectorELNS0_4arch9wavefront6targetE0EEEvSK_,comdat
	.protected	_ZN7rocprim17ROCPRIM_400000_NS6detail17trampoline_kernelINS0_14default_configENS1_38merge_sort_block_merge_config_selectorIhNS0_10empty_typeEEEZZNS1_27merge_sort_block_merge_implIS3_N6thrust23THRUST_200600_302600_NS6detail15normal_iteratorINS9_10device_ptrIhEEEEPS5_m11less_div_10IhEEE10hipError_tT0_T1_T2_jT3_P12ihipStream_tbPNSt15iterator_traitsISJ_E10value_typeEPNSP_ISK_E10value_typeEPSL_NS1_7vsmem_tEENKUlT_SJ_SK_SL_E_clIPhSE_SF_SF_EESI_SY_SJ_SK_SL_EUlSY_E1_NS1_11comp_targetILNS1_3genE2ELNS1_11target_archE906ELNS1_3gpuE6ELNS1_3repE0EEENS1_36merge_oddeven_config_static_selectorELNS0_4arch9wavefront6targetE0EEEvSK_ ; -- Begin function _ZN7rocprim17ROCPRIM_400000_NS6detail17trampoline_kernelINS0_14default_configENS1_38merge_sort_block_merge_config_selectorIhNS0_10empty_typeEEEZZNS1_27merge_sort_block_merge_implIS3_N6thrust23THRUST_200600_302600_NS6detail15normal_iteratorINS9_10device_ptrIhEEEEPS5_m11less_div_10IhEEE10hipError_tT0_T1_T2_jT3_P12ihipStream_tbPNSt15iterator_traitsISJ_E10value_typeEPNSP_ISK_E10value_typeEPSL_NS1_7vsmem_tEENKUlT_SJ_SK_SL_E_clIPhSE_SF_SF_EESI_SY_SJ_SK_SL_EUlSY_E1_NS1_11comp_targetILNS1_3genE2ELNS1_11target_archE906ELNS1_3gpuE6ELNS1_3repE0EEENS1_36merge_oddeven_config_static_selectorELNS0_4arch9wavefront6targetE0EEEvSK_
	.globl	_ZN7rocprim17ROCPRIM_400000_NS6detail17trampoline_kernelINS0_14default_configENS1_38merge_sort_block_merge_config_selectorIhNS0_10empty_typeEEEZZNS1_27merge_sort_block_merge_implIS3_N6thrust23THRUST_200600_302600_NS6detail15normal_iteratorINS9_10device_ptrIhEEEEPS5_m11less_div_10IhEEE10hipError_tT0_T1_T2_jT3_P12ihipStream_tbPNSt15iterator_traitsISJ_E10value_typeEPNSP_ISK_E10value_typeEPSL_NS1_7vsmem_tEENKUlT_SJ_SK_SL_E_clIPhSE_SF_SF_EESI_SY_SJ_SK_SL_EUlSY_E1_NS1_11comp_targetILNS1_3genE2ELNS1_11target_archE906ELNS1_3gpuE6ELNS1_3repE0EEENS1_36merge_oddeven_config_static_selectorELNS0_4arch9wavefront6targetE0EEEvSK_
	.p2align	8
	.type	_ZN7rocprim17ROCPRIM_400000_NS6detail17trampoline_kernelINS0_14default_configENS1_38merge_sort_block_merge_config_selectorIhNS0_10empty_typeEEEZZNS1_27merge_sort_block_merge_implIS3_N6thrust23THRUST_200600_302600_NS6detail15normal_iteratorINS9_10device_ptrIhEEEEPS5_m11less_div_10IhEEE10hipError_tT0_T1_T2_jT3_P12ihipStream_tbPNSt15iterator_traitsISJ_E10value_typeEPNSP_ISK_E10value_typeEPSL_NS1_7vsmem_tEENKUlT_SJ_SK_SL_E_clIPhSE_SF_SF_EESI_SY_SJ_SK_SL_EUlSY_E1_NS1_11comp_targetILNS1_3genE2ELNS1_11target_archE906ELNS1_3gpuE6ELNS1_3repE0EEENS1_36merge_oddeven_config_static_selectorELNS0_4arch9wavefront6targetE0EEEvSK_,@function
_ZN7rocprim17ROCPRIM_400000_NS6detail17trampoline_kernelINS0_14default_configENS1_38merge_sort_block_merge_config_selectorIhNS0_10empty_typeEEEZZNS1_27merge_sort_block_merge_implIS3_N6thrust23THRUST_200600_302600_NS6detail15normal_iteratorINS9_10device_ptrIhEEEEPS5_m11less_div_10IhEEE10hipError_tT0_T1_T2_jT3_P12ihipStream_tbPNSt15iterator_traitsISJ_E10value_typeEPNSP_ISK_E10value_typeEPSL_NS1_7vsmem_tEENKUlT_SJ_SK_SL_E_clIPhSE_SF_SF_EESI_SY_SJ_SK_SL_EUlSY_E1_NS1_11comp_targetILNS1_3genE2ELNS1_11target_archE906ELNS1_3gpuE6ELNS1_3repE0EEENS1_36merge_oddeven_config_static_selectorELNS0_4arch9wavefront6targetE0EEEvSK_: ; @_ZN7rocprim17ROCPRIM_400000_NS6detail17trampoline_kernelINS0_14default_configENS1_38merge_sort_block_merge_config_selectorIhNS0_10empty_typeEEEZZNS1_27merge_sort_block_merge_implIS3_N6thrust23THRUST_200600_302600_NS6detail15normal_iteratorINS9_10device_ptrIhEEEEPS5_m11less_div_10IhEEE10hipError_tT0_T1_T2_jT3_P12ihipStream_tbPNSt15iterator_traitsISJ_E10value_typeEPNSP_ISK_E10value_typeEPSL_NS1_7vsmem_tEENKUlT_SJ_SK_SL_E_clIPhSE_SF_SF_EESI_SY_SJ_SK_SL_EUlSY_E1_NS1_11comp_targetILNS1_3genE2ELNS1_11target_archE906ELNS1_3gpuE6ELNS1_3repE0EEENS1_36merge_oddeven_config_static_selectorELNS0_4arch9wavefront6targetE0EEEvSK_
; %bb.0:
	.section	.rodata,"a",@progbits
	.p2align	6, 0x0
	.amdhsa_kernel _ZN7rocprim17ROCPRIM_400000_NS6detail17trampoline_kernelINS0_14default_configENS1_38merge_sort_block_merge_config_selectorIhNS0_10empty_typeEEEZZNS1_27merge_sort_block_merge_implIS3_N6thrust23THRUST_200600_302600_NS6detail15normal_iteratorINS9_10device_ptrIhEEEEPS5_m11less_div_10IhEEE10hipError_tT0_T1_T2_jT3_P12ihipStream_tbPNSt15iterator_traitsISJ_E10value_typeEPNSP_ISK_E10value_typeEPSL_NS1_7vsmem_tEENKUlT_SJ_SK_SL_E_clIPhSE_SF_SF_EESI_SY_SJ_SK_SL_EUlSY_E1_NS1_11comp_targetILNS1_3genE2ELNS1_11target_archE906ELNS1_3gpuE6ELNS1_3repE0EEENS1_36merge_oddeven_config_static_selectorELNS0_4arch9wavefront6targetE0EEEvSK_
		.amdhsa_group_segment_fixed_size 0
		.amdhsa_private_segment_fixed_size 0
		.amdhsa_kernarg_size 56
		.amdhsa_user_sgpr_count 6
		.amdhsa_user_sgpr_private_segment_buffer 1
		.amdhsa_user_sgpr_dispatch_ptr 0
		.amdhsa_user_sgpr_queue_ptr 0
		.amdhsa_user_sgpr_kernarg_segment_ptr 1
		.amdhsa_user_sgpr_dispatch_id 0
		.amdhsa_user_sgpr_flat_scratch_init 0
		.amdhsa_user_sgpr_private_segment_size 0
		.amdhsa_wavefront_size32 1
		.amdhsa_uses_dynamic_stack 0
		.amdhsa_system_sgpr_private_segment_wavefront_offset 0
		.amdhsa_system_sgpr_workgroup_id_x 1
		.amdhsa_system_sgpr_workgroup_id_y 0
		.amdhsa_system_sgpr_workgroup_id_z 0
		.amdhsa_system_sgpr_workgroup_info 0
		.amdhsa_system_vgpr_workitem_id 0
		.amdhsa_next_free_vgpr 1
		.amdhsa_next_free_sgpr 1
		.amdhsa_reserve_vcc 0
		.amdhsa_reserve_flat_scratch 0
		.amdhsa_float_round_mode_32 0
		.amdhsa_float_round_mode_16_64 0
		.amdhsa_float_denorm_mode_32 3
		.amdhsa_float_denorm_mode_16_64 3
		.amdhsa_dx10_clamp 1
		.amdhsa_ieee_mode 1
		.amdhsa_fp16_overflow 0
		.amdhsa_workgroup_processor_mode 1
		.amdhsa_memory_ordered 1
		.amdhsa_forward_progress 1
		.amdhsa_shared_vgpr_count 0
		.amdhsa_exception_fp_ieee_invalid_op 0
		.amdhsa_exception_fp_denorm_src 0
		.amdhsa_exception_fp_ieee_div_zero 0
		.amdhsa_exception_fp_ieee_overflow 0
		.amdhsa_exception_fp_ieee_underflow 0
		.amdhsa_exception_fp_ieee_inexact 0
		.amdhsa_exception_int_div_zero 0
	.end_amdhsa_kernel
	.section	.text._ZN7rocprim17ROCPRIM_400000_NS6detail17trampoline_kernelINS0_14default_configENS1_38merge_sort_block_merge_config_selectorIhNS0_10empty_typeEEEZZNS1_27merge_sort_block_merge_implIS3_N6thrust23THRUST_200600_302600_NS6detail15normal_iteratorINS9_10device_ptrIhEEEEPS5_m11less_div_10IhEEE10hipError_tT0_T1_T2_jT3_P12ihipStream_tbPNSt15iterator_traitsISJ_E10value_typeEPNSP_ISK_E10value_typeEPSL_NS1_7vsmem_tEENKUlT_SJ_SK_SL_E_clIPhSE_SF_SF_EESI_SY_SJ_SK_SL_EUlSY_E1_NS1_11comp_targetILNS1_3genE2ELNS1_11target_archE906ELNS1_3gpuE6ELNS1_3repE0EEENS1_36merge_oddeven_config_static_selectorELNS0_4arch9wavefront6targetE0EEEvSK_,"axG",@progbits,_ZN7rocprim17ROCPRIM_400000_NS6detail17trampoline_kernelINS0_14default_configENS1_38merge_sort_block_merge_config_selectorIhNS0_10empty_typeEEEZZNS1_27merge_sort_block_merge_implIS3_N6thrust23THRUST_200600_302600_NS6detail15normal_iteratorINS9_10device_ptrIhEEEEPS5_m11less_div_10IhEEE10hipError_tT0_T1_T2_jT3_P12ihipStream_tbPNSt15iterator_traitsISJ_E10value_typeEPNSP_ISK_E10value_typeEPSL_NS1_7vsmem_tEENKUlT_SJ_SK_SL_E_clIPhSE_SF_SF_EESI_SY_SJ_SK_SL_EUlSY_E1_NS1_11comp_targetILNS1_3genE2ELNS1_11target_archE906ELNS1_3gpuE6ELNS1_3repE0EEENS1_36merge_oddeven_config_static_selectorELNS0_4arch9wavefront6targetE0EEEvSK_,comdat
.Lfunc_end714:
	.size	_ZN7rocprim17ROCPRIM_400000_NS6detail17trampoline_kernelINS0_14default_configENS1_38merge_sort_block_merge_config_selectorIhNS0_10empty_typeEEEZZNS1_27merge_sort_block_merge_implIS3_N6thrust23THRUST_200600_302600_NS6detail15normal_iteratorINS9_10device_ptrIhEEEEPS5_m11less_div_10IhEEE10hipError_tT0_T1_T2_jT3_P12ihipStream_tbPNSt15iterator_traitsISJ_E10value_typeEPNSP_ISK_E10value_typeEPSL_NS1_7vsmem_tEENKUlT_SJ_SK_SL_E_clIPhSE_SF_SF_EESI_SY_SJ_SK_SL_EUlSY_E1_NS1_11comp_targetILNS1_3genE2ELNS1_11target_archE906ELNS1_3gpuE6ELNS1_3repE0EEENS1_36merge_oddeven_config_static_selectorELNS0_4arch9wavefront6targetE0EEEvSK_, .Lfunc_end714-_ZN7rocprim17ROCPRIM_400000_NS6detail17trampoline_kernelINS0_14default_configENS1_38merge_sort_block_merge_config_selectorIhNS0_10empty_typeEEEZZNS1_27merge_sort_block_merge_implIS3_N6thrust23THRUST_200600_302600_NS6detail15normal_iteratorINS9_10device_ptrIhEEEEPS5_m11less_div_10IhEEE10hipError_tT0_T1_T2_jT3_P12ihipStream_tbPNSt15iterator_traitsISJ_E10value_typeEPNSP_ISK_E10value_typeEPSL_NS1_7vsmem_tEENKUlT_SJ_SK_SL_E_clIPhSE_SF_SF_EESI_SY_SJ_SK_SL_EUlSY_E1_NS1_11comp_targetILNS1_3genE2ELNS1_11target_archE906ELNS1_3gpuE6ELNS1_3repE0EEENS1_36merge_oddeven_config_static_selectorELNS0_4arch9wavefront6targetE0EEEvSK_
                                        ; -- End function
	.set _ZN7rocprim17ROCPRIM_400000_NS6detail17trampoline_kernelINS0_14default_configENS1_38merge_sort_block_merge_config_selectorIhNS0_10empty_typeEEEZZNS1_27merge_sort_block_merge_implIS3_N6thrust23THRUST_200600_302600_NS6detail15normal_iteratorINS9_10device_ptrIhEEEEPS5_m11less_div_10IhEEE10hipError_tT0_T1_T2_jT3_P12ihipStream_tbPNSt15iterator_traitsISJ_E10value_typeEPNSP_ISK_E10value_typeEPSL_NS1_7vsmem_tEENKUlT_SJ_SK_SL_E_clIPhSE_SF_SF_EESI_SY_SJ_SK_SL_EUlSY_E1_NS1_11comp_targetILNS1_3genE2ELNS1_11target_archE906ELNS1_3gpuE6ELNS1_3repE0EEENS1_36merge_oddeven_config_static_selectorELNS0_4arch9wavefront6targetE0EEEvSK_.num_vgpr, 0
	.set _ZN7rocprim17ROCPRIM_400000_NS6detail17trampoline_kernelINS0_14default_configENS1_38merge_sort_block_merge_config_selectorIhNS0_10empty_typeEEEZZNS1_27merge_sort_block_merge_implIS3_N6thrust23THRUST_200600_302600_NS6detail15normal_iteratorINS9_10device_ptrIhEEEEPS5_m11less_div_10IhEEE10hipError_tT0_T1_T2_jT3_P12ihipStream_tbPNSt15iterator_traitsISJ_E10value_typeEPNSP_ISK_E10value_typeEPSL_NS1_7vsmem_tEENKUlT_SJ_SK_SL_E_clIPhSE_SF_SF_EESI_SY_SJ_SK_SL_EUlSY_E1_NS1_11comp_targetILNS1_3genE2ELNS1_11target_archE906ELNS1_3gpuE6ELNS1_3repE0EEENS1_36merge_oddeven_config_static_selectorELNS0_4arch9wavefront6targetE0EEEvSK_.num_agpr, 0
	.set _ZN7rocprim17ROCPRIM_400000_NS6detail17trampoline_kernelINS0_14default_configENS1_38merge_sort_block_merge_config_selectorIhNS0_10empty_typeEEEZZNS1_27merge_sort_block_merge_implIS3_N6thrust23THRUST_200600_302600_NS6detail15normal_iteratorINS9_10device_ptrIhEEEEPS5_m11less_div_10IhEEE10hipError_tT0_T1_T2_jT3_P12ihipStream_tbPNSt15iterator_traitsISJ_E10value_typeEPNSP_ISK_E10value_typeEPSL_NS1_7vsmem_tEENKUlT_SJ_SK_SL_E_clIPhSE_SF_SF_EESI_SY_SJ_SK_SL_EUlSY_E1_NS1_11comp_targetILNS1_3genE2ELNS1_11target_archE906ELNS1_3gpuE6ELNS1_3repE0EEENS1_36merge_oddeven_config_static_selectorELNS0_4arch9wavefront6targetE0EEEvSK_.numbered_sgpr, 0
	.set _ZN7rocprim17ROCPRIM_400000_NS6detail17trampoline_kernelINS0_14default_configENS1_38merge_sort_block_merge_config_selectorIhNS0_10empty_typeEEEZZNS1_27merge_sort_block_merge_implIS3_N6thrust23THRUST_200600_302600_NS6detail15normal_iteratorINS9_10device_ptrIhEEEEPS5_m11less_div_10IhEEE10hipError_tT0_T1_T2_jT3_P12ihipStream_tbPNSt15iterator_traitsISJ_E10value_typeEPNSP_ISK_E10value_typeEPSL_NS1_7vsmem_tEENKUlT_SJ_SK_SL_E_clIPhSE_SF_SF_EESI_SY_SJ_SK_SL_EUlSY_E1_NS1_11comp_targetILNS1_3genE2ELNS1_11target_archE906ELNS1_3gpuE6ELNS1_3repE0EEENS1_36merge_oddeven_config_static_selectorELNS0_4arch9wavefront6targetE0EEEvSK_.num_named_barrier, 0
	.set _ZN7rocprim17ROCPRIM_400000_NS6detail17trampoline_kernelINS0_14default_configENS1_38merge_sort_block_merge_config_selectorIhNS0_10empty_typeEEEZZNS1_27merge_sort_block_merge_implIS3_N6thrust23THRUST_200600_302600_NS6detail15normal_iteratorINS9_10device_ptrIhEEEEPS5_m11less_div_10IhEEE10hipError_tT0_T1_T2_jT3_P12ihipStream_tbPNSt15iterator_traitsISJ_E10value_typeEPNSP_ISK_E10value_typeEPSL_NS1_7vsmem_tEENKUlT_SJ_SK_SL_E_clIPhSE_SF_SF_EESI_SY_SJ_SK_SL_EUlSY_E1_NS1_11comp_targetILNS1_3genE2ELNS1_11target_archE906ELNS1_3gpuE6ELNS1_3repE0EEENS1_36merge_oddeven_config_static_selectorELNS0_4arch9wavefront6targetE0EEEvSK_.private_seg_size, 0
	.set _ZN7rocprim17ROCPRIM_400000_NS6detail17trampoline_kernelINS0_14default_configENS1_38merge_sort_block_merge_config_selectorIhNS0_10empty_typeEEEZZNS1_27merge_sort_block_merge_implIS3_N6thrust23THRUST_200600_302600_NS6detail15normal_iteratorINS9_10device_ptrIhEEEEPS5_m11less_div_10IhEEE10hipError_tT0_T1_T2_jT3_P12ihipStream_tbPNSt15iterator_traitsISJ_E10value_typeEPNSP_ISK_E10value_typeEPSL_NS1_7vsmem_tEENKUlT_SJ_SK_SL_E_clIPhSE_SF_SF_EESI_SY_SJ_SK_SL_EUlSY_E1_NS1_11comp_targetILNS1_3genE2ELNS1_11target_archE906ELNS1_3gpuE6ELNS1_3repE0EEENS1_36merge_oddeven_config_static_selectorELNS0_4arch9wavefront6targetE0EEEvSK_.uses_vcc, 0
	.set _ZN7rocprim17ROCPRIM_400000_NS6detail17trampoline_kernelINS0_14default_configENS1_38merge_sort_block_merge_config_selectorIhNS0_10empty_typeEEEZZNS1_27merge_sort_block_merge_implIS3_N6thrust23THRUST_200600_302600_NS6detail15normal_iteratorINS9_10device_ptrIhEEEEPS5_m11less_div_10IhEEE10hipError_tT0_T1_T2_jT3_P12ihipStream_tbPNSt15iterator_traitsISJ_E10value_typeEPNSP_ISK_E10value_typeEPSL_NS1_7vsmem_tEENKUlT_SJ_SK_SL_E_clIPhSE_SF_SF_EESI_SY_SJ_SK_SL_EUlSY_E1_NS1_11comp_targetILNS1_3genE2ELNS1_11target_archE906ELNS1_3gpuE6ELNS1_3repE0EEENS1_36merge_oddeven_config_static_selectorELNS0_4arch9wavefront6targetE0EEEvSK_.uses_flat_scratch, 0
	.set _ZN7rocprim17ROCPRIM_400000_NS6detail17trampoline_kernelINS0_14default_configENS1_38merge_sort_block_merge_config_selectorIhNS0_10empty_typeEEEZZNS1_27merge_sort_block_merge_implIS3_N6thrust23THRUST_200600_302600_NS6detail15normal_iteratorINS9_10device_ptrIhEEEEPS5_m11less_div_10IhEEE10hipError_tT0_T1_T2_jT3_P12ihipStream_tbPNSt15iterator_traitsISJ_E10value_typeEPNSP_ISK_E10value_typeEPSL_NS1_7vsmem_tEENKUlT_SJ_SK_SL_E_clIPhSE_SF_SF_EESI_SY_SJ_SK_SL_EUlSY_E1_NS1_11comp_targetILNS1_3genE2ELNS1_11target_archE906ELNS1_3gpuE6ELNS1_3repE0EEENS1_36merge_oddeven_config_static_selectorELNS0_4arch9wavefront6targetE0EEEvSK_.has_dyn_sized_stack, 0
	.set _ZN7rocprim17ROCPRIM_400000_NS6detail17trampoline_kernelINS0_14default_configENS1_38merge_sort_block_merge_config_selectorIhNS0_10empty_typeEEEZZNS1_27merge_sort_block_merge_implIS3_N6thrust23THRUST_200600_302600_NS6detail15normal_iteratorINS9_10device_ptrIhEEEEPS5_m11less_div_10IhEEE10hipError_tT0_T1_T2_jT3_P12ihipStream_tbPNSt15iterator_traitsISJ_E10value_typeEPNSP_ISK_E10value_typeEPSL_NS1_7vsmem_tEENKUlT_SJ_SK_SL_E_clIPhSE_SF_SF_EESI_SY_SJ_SK_SL_EUlSY_E1_NS1_11comp_targetILNS1_3genE2ELNS1_11target_archE906ELNS1_3gpuE6ELNS1_3repE0EEENS1_36merge_oddeven_config_static_selectorELNS0_4arch9wavefront6targetE0EEEvSK_.has_recursion, 0
	.set _ZN7rocprim17ROCPRIM_400000_NS6detail17trampoline_kernelINS0_14default_configENS1_38merge_sort_block_merge_config_selectorIhNS0_10empty_typeEEEZZNS1_27merge_sort_block_merge_implIS3_N6thrust23THRUST_200600_302600_NS6detail15normal_iteratorINS9_10device_ptrIhEEEEPS5_m11less_div_10IhEEE10hipError_tT0_T1_T2_jT3_P12ihipStream_tbPNSt15iterator_traitsISJ_E10value_typeEPNSP_ISK_E10value_typeEPSL_NS1_7vsmem_tEENKUlT_SJ_SK_SL_E_clIPhSE_SF_SF_EESI_SY_SJ_SK_SL_EUlSY_E1_NS1_11comp_targetILNS1_3genE2ELNS1_11target_archE906ELNS1_3gpuE6ELNS1_3repE0EEENS1_36merge_oddeven_config_static_selectorELNS0_4arch9wavefront6targetE0EEEvSK_.has_indirect_call, 0
	.section	.AMDGPU.csdata,"",@progbits
; Kernel info:
; codeLenInByte = 0
; TotalNumSgprs: 0
; NumVgprs: 0
; ScratchSize: 0
; MemoryBound: 0
; FloatMode: 240
; IeeeMode: 1
; LDSByteSize: 0 bytes/workgroup (compile time only)
; SGPRBlocks: 0
; VGPRBlocks: 0
; NumSGPRsForWavesPerEU: 1
; NumVGPRsForWavesPerEU: 1
; Occupancy: 16
; WaveLimiterHint : 0
; COMPUTE_PGM_RSRC2:SCRATCH_EN: 0
; COMPUTE_PGM_RSRC2:USER_SGPR: 6
; COMPUTE_PGM_RSRC2:TRAP_HANDLER: 0
; COMPUTE_PGM_RSRC2:TGID_X_EN: 1
; COMPUTE_PGM_RSRC2:TGID_Y_EN: 0
; COMPUTE_PGM_RSRC2:TGID_Z_EN: 0
; COMPUTE_PGM_RSRC2:TIDIG_COMP_CNT: 0
	.section	.text._ZN7rocprim17ROCPRIM_400000_NS6detail17trampoline_kernelINS0_14default_configENS1_38merge_sort_block_merge_config_selectorIhNS0_10empty_typeEEEZZNS1_27merge_sort_block_merge_implIS3_N6thrust23THRUST_200600_302600_NS6detail15normal_iteratorINS9_10device_ptrIhEEEEPS5_m11less_div_10IhEEE10hipError_tT0_T1_T2_jT3_P12ihipStream_tbPNSt15iterator_traitsISJ_E10value_typeEPNSP_ISK_E10value_typeEPSL_NS1_7vsmem_tEENKUlT_SJ_SK_SL_E_clIPhSE_SF_SF_EESI_SY_SJ_SK_SL_EUlSY_E1_NS1_11comp_targetILNS1_3genE9ELNS1_11target_archE1100ELNS1_3gpuE3ELNS1_3repE0EEENS1_36merge_oddeven_config_static_selectorELNS0_4arch9wavefront6targetE0EEEvSK_,"axG",@progbits,_ZN7rocprim17ROCPRIM_400000_NS6detail17trampoline_kernelINS0_14default_configENS1_38merge_sort_block_merge_config_selectorIhNS0_10empty_typeEEEZZNS1_27merge_sort_block_merge_implIS3_N6thrust23THRUST_200600_302600_NS6detail15normal_iteratorINS9_10device_ptrIhEEEEPS5_m11less_div_10IhEEE10hipError_tT0_T1_T2_jT3_P12ihipStream_tbPNSt15iterator_traitsISJ_E10value_typeEPNSP_ISK_E10value_typeEPSL_NS1_7vsmem_tEENKUlT_SJ_SK_SL_E_clIPhSE_SF_SF_EESI_SY_SJ_SK_SL_EUlSY_E1_NS1_11comp_targetILNS1_3genE9ELNS1_11target_archE1100ELNS1_3gpuE3ELNS1_3repE0EEENS1_36merge_oddeven_config_static_selectorELNS0_4arch9wavefront6targetE0EEEvSK_,comdat
	.protected	_ZN7rocprim17ROCPRIM_400000_NS6detail17trampoline_kernelINS0_14default_configENS1_38merge_sort_block_merge_config_selectorIhNS0_10empty_typeEEEZZNS1_27merge_sort_block_merge_implIS3_N6thrust23THRUST_200600_302600_NS6detail15normal_iteratorINS9_10device_ptrIhEEEEPS5_m11less_div_10IhEEE10hipError_tT0_T1_T2_jT3_P12ihipStream_tbPNSt15iterator_traitsISJ_E10value_typeEPNSP_ISK_E10value_typeEPSL_NS1_7vsmem_tEENKUlT_SJ_SK_SL_E_clIPhSE_SF_SF_EESI_SY_SJ_SK_SL_EUlSY_E1_NS1_11comp_targetILNS1_3genE9ELNS1_11target_archE1100ELNS1_3gpuE3ELNS1_3repE0EEENS1_36merge_oddeven_config_static_selectorELNS0_4arch9wavefront6targetE0EEEvSK_ ; -- Begin function _ZN7rocprim17ROCPRIM_400000_NS6detail17trampoline_kernelINS0_14default_configENS1_38merge_sort_block_merge_config_selectorIhNS0_10empty_typeEEEZZNS1_27merge_sort_block_merge_implIS3_N6thrust23THRUST_200600_302600_NS6detail15normal_iteratorINS9_10device_ptrIhEEEEPS5_m11less_div_10IhEEE10hipError_tT0_T1_T2_jT3_P12ihipStream_tbPNSt15iterator_traitsISJ_E10value_typeEPNSP_ISK_E10value_typeEPSL_NS1_7vsmem_tEENKUlT_SJ_SK_SL_E_clIPhSE_SF_SF_EESI_SY_SJ_SK_SL_EUlSY_E1_NS1_11comp_targetILNS1_3genE9ELNS1_11target_archE1100ELNS1_3gpuE3ELNS1_3repE0EEENS1_36merge_oddeven_config_static_selectorELNS0_4arch9wavefront6targetE0EEEvSK_
	.globl	_ZN7rocprim17ROCPRIM_400000_NS6detail17trampoline_kernelINS0_14default_configENS1_38merge_sort_block_merge_config_selectorIhNS0_10empty_typeEEEZZNS1_27merge_sort_block_merge_implIS3_N6thrust23THRUST_200600_302600_NS6detail15normal_iteratorINS9_10device_ptrIhEEEEPS5_m11less_div_10IhEEE10hipError_tT0_T1_T2_jT3_P12ihipStream_tbPNSt15iterator_traitsISJ_E10value_typeEPNSP_ISK_E10value_typeEPSL_NS1_7vsmem_tEENKUlT_SJ_SK_SL_E_clIPhSE_SF_SF_EESI_SY_SJ_SK_SL_EUlSY_E1_NS1_11comp_targetILNS1_3genE9ELNS1_11target_archE1100ELNS1_3gpuE3ELNS1_3repE0EEENS1_36merge_oddeven_config_static_selectorELNS0_4arch9wavefront6targetE0EEEvSK_
	.p2align	8
	.type	_ZN7rocprim17ROCPRIM_400000_NS6detail17trampoline_kernelINS0_14default_configENS1_38merge_sort_block_merge_config_selectorIhNS0_10empty_typeEEEZZNS1_27merge_sort_block_merge_implIS3_N6thrust23THRUST_200600_302600_NS6detail15normal_iteratorINS9_10device_ptrIhEEEEPS5_m11less_div_10IhEEE10hipError_tT0_T1_T2_jT3_P12ihipStream_tbPNSt15iterator_traitsISJ_E10value_typeEPNSP_ISK_E10value_typeEPSL_NS1_7vsmem_tEENKUlT_SJ_SK_SL_E_clIPhSE_SF_SF_EESI_SY_SJ_SK_SL_EUlSY_E1_NS1_11comp_targetILNS1_3genE9ELNS1_11target_archE1100ELNS1_3gpuE3ELNS1_3repE0EEENS1_36merge_oddeven_config_static_selectorELNS0_4arch9wavefront6targetE0EEEvSK_,@function
_ZN7rocprim17ROCPRIM_400000_NS6detail17trampoline_kernelINS0_14default_configENS1_38merge_sort_block_merge_config_selectorIhNS0_10empty_typeEEEZZNS1_27merge_sort_block_merge_implIS3_N6thrust23THRUST_200600_302600_NS6detail15normal_iteratorINS9_10device_ptrIhEEEEPS5_m11less_div_10IhEEE10hipError_tT0_T1_T2_jT3_P12ihipStream_tbPNSt15iterator_traitsISJ_E10value_typeEPNSP_ISK_E10value_typeEPSL_NS1_7vsmem_tEENKUlT_SJ_SK_SL_E_clIPhSE_SF_SF_EESI_SY_SJ_SK_SL_EUlSY_E1_NS1_11comp_targetILNS1_3genE9ELNS1_11target_archE1100ELNS1_3gpuE3ELNS1_3repE0EEENS1_36merge_oddeven_config_static_selectorELNS0_4arch9wavefront6targetE0EEEvSK_: ; @_ZN7rocprim17ROCPRIM_400000_NS6detail17trampoline_kernelINS0_14default_configENS1_38merge_sort_block_merge_config_selectorIhNS0_10empty_typeEEEZZNS1_27merge_sort_block_merge_implIS3_N6thrust23THRUST_200600_302600_NS6detail15normal_iteratorINS9_10device_ptrIhEEEEPS5_m11less_div_10IhEEE10hipError_tT0_T1_T2_jT3_P12ihipStream_tbPNSt15iterator_traitsISJ_E10value_typeEPNSP_ISK_E10value_typeEPSL_NS1_7vsmem_tEENKUlT_SJ_SK_SL_E_clIPhSE_SF_SF_EESI_SY_SJ_SK_SL_EUlSY_E1_NS1_11comp_targetILNS1_3genE9ELNS1_11target_archE1100ELNS1_3gpuE3ELNS1_3repE0EEENS1_36merge_oddeven_config_static_selectorELNS0_4arch9wavefront6targetE0EEEvSK_
; %bb.0:
	.section	.rodata,"a",@progbits
	.p2align	6, 0x0
	.amdhsa_kernel _ZN7rocprim17ROCPRIM_400000_NS6detail17trampoline_kernelINS0_14default_configENS1_38merge_sort_block_merge_config_selectorIhNS0_10empty_typeEEEZZNS1_27merge_sort_block_merge_implIS3_N6thrust23THRUST_200600_302600_NS6detail15normal_iteratorINS9_10device_ptrIhEEEEPS5_m11less_div_10IhEEE10hipError_tT0_T1_T2_jT3_P12ihipStream_tbPNSt15iterator_traitsISJ_E10value_typeEPNSP_ISK_E10value_typeEPSL_NS1_7vsmem_tEENKUlT_SJ_SK_SL_E_clIPhSE_SF_SF_EESI_SY_SJ_SK_SL_EUlSY_E1_NS1_11comp_targetILNS1_3genE9ELNS1_11target_archE1100ELNS1_3gpuE3ELNS1_3repE0EEENS1_36merge_oddeven_config_static_selectorELNS0_4arch9wavefront6targetE0EEEvSK_
		.amdhsa_group_segment_fixed_size 0
		.amdhsa_private_segment_fixed_size 0
		.amdhsa_kernarg_size 56
		.amdhsa_user_sgpr_count 6
		.amdhsa_user_sgpr_private_segment_buffer 1
		.amdhsa_user_sgpr_dispatch_ptr 0
		.amdhsa_user_sgpr_queue_ptr 0
		.amdhsa_user_sgpr_kernarg_segment_ptr 1
		.amdhsa_user_sgpr_dispatch_id 0
		.amdhsa_user_sgpr_flat_scratch_init 0
		.amdhsa_user_sgpr_private_segment_size 0
		.amdhsa_wavefront_size32 1
		.amdhsa_uses_dynamic_stack 0
		.amdhsa_system_sgpr_private_segment_wavefront_offset 0
		.amdhsa_system_sgpr_workgroup_id_x 1
		.amdhsa_system_sgpr_workgroup_id_y 0
		.amdhsa_system_sgpr_workgroup_id_z 0
		.amdhsa_system_sgpr_workgroup_info 0
		.amdhsa_system_vgpr_workitem_id 0
		.amdhsa_next_free_vgpr 1
		.amdhsa_next_free_sgpr 1
		.amdhsa_reserve_vcc 0
		.amdhsa_reserve_flat_scratch 0
		.amdhsa_float_round_mode_32 0
		.amdhsa_float_round_mode_16_64 0
		.amdhsa_float_denorm_mode_32 3
		.amdhsa_float_denorm_mode_16_64 3
		.amdhsa_dx10_clamp 1
		.amdhsa_ieee_mode 1
		.amdhsa_fp16_overflow 0
		.amdhsa_workgroup_processor_mode 1
		.amdhsa_memory_ordered 1
		.amdhsa_forward_progress 1
		.amdhsa_shared_vgpr_count 0
		.amdhsa_exception_fp_ieee_invalid_op 0
		.amdhsa_exception_fp_denorm_src 0
		.amdhsa_exception_fp_ieee_div_zero 0
		.amdhsa_exception_fp_ieee_overflow 0
		.amdhsa_exception_fp_ieee_underflow 0
		.amdhsa_exception_fp_ieee_inexact 0
		.amdhsa_exception_int_div_zero 0
	.end_amdhsa_kernel
	.section	.text._ZN7rocprim17ROCPRIM_400000_NS6detail17trampoline_kernelINS0_14default_configENS1_38merge_sort_block_merge_config_selectorIhNS0_10empty_typeEEEZZNS1_27merge_sort_block_merge_implIS3_N6thrust23THRUST_200600_302600_NS6detail15normal_iteratorINS9_10device_ptrIhEEEEPS5_m11less_div_10IhEEE10hipError_tT0_T1_T2_jT3_P12ihipStream_tbPNSt15iterator_traitsISJ_E10value_typeEPNSP_ISK_E10value_typeEPSL_NS1_7vsmem_tEENKUlT_SJ_SK_SL_E_clIPhSE_SF_SF_EESI_SY_SJ_SK_SL_EUlSY_E1_NS1_11comp_targetILNS1_3genE9ELNS1_11target_archE1100ELNS1_3gpuE3ELNS1_3repE0EEENS1_36merge_oddeven_config_static_selectorELNS0_4arch9wavefront6targetE0EEEvSK_,"axG",@progbits,_ZN7rocprim17ROCPRIM_400000_NS6detail17trampoline_kernelINS0_14default_configENS1_38merge_sort_block_merge_config_selectorIhNS0_10empty_typeEEEZZNS1_27merge_sort_block_merge_implIS3_N6thrust23THRUST_200600_302600_NS6detail15normal_iteratorINS9_10device_ptrIhEEEEPS5_m11less_div_10IhEEE10hipError_tT0_T1_T2_jT3_P12ihipStream_tbPNSt15iterator_traitsISJ_E10value_typeEPNSP_ISK_E10value_typeEPSL_NS1_7vsmem_tEENKUlT_SJ_SK_SL_E_clIPhSE_SF_SF_EESI_SY_SJ_SK_SL_EUlSY_E1_NS1_11comp_targetILNS1_3genE9ELNS1_11target_archE1100ELNS1_3gpuE3ELNS1_3repE0EEENS1_36merge_oddeven_config_static_selectorELNS0_4arch9wavefront6targetE0EEEvSK_,comdat
.Lfunc_end715:
	.size	_ZN7rocprim17ROCPRIM_400000_NS6detail17trampoline_kernelINS0_14default_configENS1_38merge_sort_block_merge_config_selectorIhNS0_10empty_typeEEEZZNS1_27merge_sort_block_merge_implIS3_N6thrust23THRUST_200600_302600_NS6detail15normal_iteratorINS9_10device_ptrIhEEEEPS5_m11less_div_10IhEEE10hipError_tT0_T1_T2_jT3_P12ihipStream_tbPNSt15iterator_traitsISJ_E10value_typeEPNSP_ISK_E10value_typeEPSL_NS1_7vsmem_tEENKUlT_SJ_SK_SL_E_clIPhSE_SF_SF_EESI_SY_SJ_SK_SL_EUlSY_E1_NS1_11comp_targetILNS1_3genE9ELNS1_11target_archE1100ELNS1_3gpuE3ELNS1_3repE0EEENS1_36merge_oddeven_config_static_selectorELNS0_4arch9wavefront6targetE0EEEvSK_, .Lfunc_end715-_ZN7rocprim17ROCPRIM_400000_NS6detail17trampoline_kernelINS0_14default_configENS1_38merge_sort_block_merge_config_selectorIhNS0_10empty_typeEEEZZNS1_27merge_sort_block_merge_implIS3_N6thrust23THRUST_200600_302600_NS6detail15normal_iteratorINS9_10device_ptrIhEEEEPS5_m11less_div_10IhEEE10hipError_tT0_T1_T2_jT3_P12ihipStream_tbPNSt15iterator_traitsISJ_E10value_typeEPNSP_ISK_E10value_typeEPSL_NS1_7vsmem_tEENKUlT_SJ_SK_SL_E_clIPhSE_SF_SF_EESI_SY_SJ_SK_SL_EUlSY_E1_NS1_11comp_targetILNS1_3genE9ELNS1_11target_archE1100ELNS1_3gpuE3ELNS1_3repE0EEENS1_36merge_oddeven_config_static_selectorELNS0_4arch9wavefront6targetE0EEEvSK_
                                        ; -- End function
	.set _ZN7rocprim17ROCPRIM_400000_NS6detail17trampoline_kernelINS0_14default_configENS1_38merge_sort_block_merge_config_selectorIhNS0_10empty_typeEEEZZNS1_27merge_sort_block_merge_implIS3_N6thrust23THRUST_200600_302600_NS6detail15normal_iteratorINS9_10device_ptrIhEEEEPS5_m11less_div_10IhEEE10hipError_tT0_T1_T2_jT3_P12ihipStream_tbPNSt15iterator_traitsISJ_E10value_typeEPNSP_ISK_E10value_typeEPSL_NS1_7vsmem_tEENKUlT_SJ_SK_SL_E_clIPhSE_SF_SF_EESI_SY_SJ_SK_SL_EUlSY_E1_NS1_11comp_targetILNS1_3genE9ELNS1_11target_archE1100ELNS1_3gpuE3ELNS1_3repE0EEENS1_36merge_oddeven_config_static_selectorELNS0_4arch9wavefront6targetE0EEEvSK_.num_vgpr, 0
	.set _ZN7rocprim17ROCPRIM_400000_NS6detail17trampoline_kernelINS0_14default_configENS1_38merge_sort_block_merge_config_selectorIhNS0_10empty_typeEEEZZNS1_27merge_sort_block_merge_implIS3_N6thrust23THRUST_200600_302600_NS6detail15normal_iteratorINS9_10device_ptrIhEEEEPS5_m11less_div_10IhEEE10hipError_tT0_T1_T2_jT3_P12ihipStream_tbPNSt15iterator_traitsISJ_E10value_typeEPNSP_ISK_E10value_typeEPSL_NS1_7vsmem_tEENKUlT_SJ_SK_SL_E_clIPhSE_SF_SF_EESI_SY_SJ_SK_SL_EUlSY_E1_NS1_11comp_targetILNS1_3genE9ELNS1_11target_archE1100ELNS1_3gpuE3ELNS1_3repE0EEENS1_36merge_oddeven_config_static_selectorELNS0_4arch9wavefront6targetE0EEEvSK_.num_agpr, 0
	.set _ZN7rocprim17ROCPRIM_400000_NS6detail17trampoline_kernelINS0_14default_configENS1_38merge_sort_block_merge_config_selectorIhNS0_10empty_typeEEEZZNS1_27merge_sort_block_merge_implIS3_N6thrust23THRUST_200600_302600_NS6detail15normal_iteratorINS9_10device_ptrIhEEEEPS5_m11less_div_10IhEEE10hipError_tT0_T1_T2_jT3_P12ihipStream_tbPNSt15iterator_traitsISJ_E10value_typeEPNSP_ISK_E10value_typeEPSL_NS1_7vsmem_tEENKUlT_SJ_SK_SL_E_clIPhSE_SF_SF_EESI_SY_SJ_SK_SL_EUlSY_E1_NS1_11comp_targetILNS1_3genE9ELNS1_11target_archE1100ELNS1_3gpuE3ELNS1_3repE0EEENS1_36merge_oddeven_config_static_selectorELNS0_4arch9wavefront6targetE0EEEvSK_.numbered_sgpr, 0
	.set _ZN7rocprim17ROCPRIM_400000_NS6detail17trampoline_kernelINS0_14default_configENS1_38merge_sort_block_merge_config_selectorIhNS0_10empty_typeEEEZZNS1_27merge_sort_block_merge_implIS3_N6thrust23THRUST_200600_302600_NS6detail15normal_iteratorINS9_10device_ptrIhEEEEPS5_m11less_div_10IhEEE10hipError_tT0_T1_T2_jT3_P12ihipStream_tbPNSt15iterator_traitsISJ_E10value_typeEPNSP_ISK_E10value_typeEPSL_NS1_7vsmem_tEENKUlT_SJ_SK_SL_E_clIPhSE_SF_SF_EESI_SY_SJ_SK_SL_EUlSY_E1_NS1_11comp_targetILNS1_3genE9ELNS1_11target_archE1100ELNS1_3gpuE3ELNS1_3repE0EEENS1_36merge_oddeven_config_static_selectorELNS0_4arch9wavefront6targetE0EEEvSK_.num_named_barrier, 0
	.set _ZN7rocprim17ROCPRIM_400000_NS6detail17trampoline_kernelINS0_14default_configENS1_38merge_sort_block_merge_config_selectorIhNS0_10empty_typeEEEZZNS1_27merge_sort_block_merge_implIS3_N6thrust23THRUST_200600_302600_NS6detail15normal_iteratorINS9_10device_ptrIhEEEEPS5_m11less_div_10IhEEE10hipError_tT0_T1_T2_jT3_P12ihipStream_tbPNSt15iterator_traitsISJ_E10value_typeEPNSP_ISK_E10value_typeEPSL_NS1_7vsmem_tEENKUlT_SJ_SK_SL_E_clIPhSE_SF_SF_EESI_SY_SJ_SK_SL_EUlSY_E1_NS1_11comp_targetILNS1_3genE9ELNS1_11target_archE1100ELNS1_3gpuE3ELNS1_3repE0EEENS1_36merge_oddeven_config_static_selectorELNS0_4arch9wavefront6targetE0EEEvSK_.private_seg_size, 0
	.set _ZN7rocprim17ROCPRIM_400000_NS6detail17trampoline_kernelINS0_14default_configENS1_38merge_sort_block_merge_config_selectorIhNS0_10empty_typeEEEZZNS1_27merge_sort_block_merge_implIS3_N6thrust23THRUST_200600_302600_NS6detail15normal_iteratorINS9_10device_ptrIhEEEEPS5_m11less_div_10IhEEE10hipError_tT0_T1_T2_jT3_P12ihipStream_tbPNSt15iterator_traitsISJ_E10value_typeEPNSP_ISK_E10value_typeEPSL_NS1_7vsmem_tEENKUlT_SJ_SK_SL_E_clIPhSE_SF_SF_EESI_SY_SJ_SK_SL_EUlSY_E1_NS1_11comp_targetILNS1_3genE9ELNS1_11target_archE1100ELNS1_3gpuE3ELNS1_3repE0EEENS1_36merge_oddeven_config_static_selectorELNS0_4arch9wavefront6targetE0EEEvSK_.uses_vcc, 0
	.set _ZN7rocprim17ROCPRIM_400000_NS6detail17trampoline_kernelINS0_14default_configENS1_38merge_sort_block_merge_config_selectorIhNS0_10empty_typeEEEZZNS1_27merge_sort_block_merge_implIS3_N6thrust23THRUST_200600_302600_NS6detail15normal_iteratorINS9_10device_ptrIhEEEEPS5_m11less_div_10IhEEE10hipError_tT0_T1_T2_jT3_P12ihipStream_tbPNSt15iterator_traitsISJ_E10value_typeEPNSP_ISK_E10value_typeEPSL_NS1_7vsmem_tEENKUlT_SJ_SK_SL_E_clIPhSE_SF_SF_EESI_SY_SJ_SK_SL_EUlSY_E1_NS1_11comp_targetILNS1_3genE9ELNS1_11target_archE1100ELNS1_3gpuE3ELNS1_3repE0EEENS1_36merge_oddeven_config_static_selectorELNS0_4arch9wavefront6targetE0EEEvSK_.uses_flat_scratch, 0
	.set _ZN7rocprim17ROCPRIM_400000_NS6detail17trampoline_kernelINS0_14default_configENS1_38merge_sort_block_merge_config_selectorIhNS0_10empty_typeEEEZZNS1_27merge_sort_block_merge_implIS3_N6thrust23THRUST_200600_302600_NS6detail15normal_iteratorINS9_10device_ptrIhEEEEPS5_m11less_div_10IhEEE10hipError_tT0_T1_T2_jT3_P12ihipStream_tbPNSt15iterator_traitsISJ_E10value_typeEPNSP_ISK_E10value_typeEPSL_NS1_7vsmem_tEENKUlT_SJ_SK_SL_E_clIPhSE_SF_SF_EESI_SY_SJ_SK_SL_EUlSY_E1_NS1_11comp_targetILNS1_3genE9ELNS1_11target_archE1100ELNS1_3gpuE3ELNS1_3repE0EEENS1_36merge_oddeven_config_static_selectorELNS0_4arch9wavefront6targetE0EEEvSK_.has_dyn_sized_stack, 0
	.set _ZN7rocprim17ROCPRIM_400000_NS6detail17trampoline_kernelINS0_14default_configENS1_38merge_sort_block_merge_config_selectorIhNS0_10empty_typeEEEZZNS1_27merge_sort_block_merge_implIS3_N6thrust23THRUST_200600_302600_NS6detail15normal_iteratorINS9_10device_ptrIhEEEEPS5_m11less_div_10IhEEE10hipError_tT0_T1_T2_jT3_P12ihipStream_tbPNSt15iterator_traitsISJ_E10value_typeEPNSP_ISK_E10value_typeEPSL_NS1_7vsmem_tEENKUlT_SJ_SK_SL_E_clIPhSE_SF_SF_EESI_SY_SJ_SK_SL_EUlSY_E1_NS1_11comp_targetILNS1_3genE9ELNS1_11target_archE1100ELNS1_3gpuE3ELNS1_3repE0EEENS1_36merge_oddeven_config_static_selectorELNS0_4arch9wavefront6targetE0EEEvSK_.has_recursion, 0
	.set _ZN7rocprim17ROCPRIM_400000_NS6detail17trampoline_kernelINS0_14default_configENS1_38merge_sort_block_merge_config_selectorIhNS0_10empty_typeEEEZZNS1_27merge_sort_block_merge_implIS3_N6thrust23THRUST_200600_302600_NS6detail15normal_iteratorINS9_10device_ptrIhEEEEPS5_m11less_div_10IhEEE10hipError_tT0_T1_T2_jT3_P12ihipStream_tbPNSt15iterator_traitsISJ_E10value_typeEPNSP_ISK_E10value_typeEPSL_NS1_7vsmem_tEENKUlT_SJ_SK_SL_E_clIPhSE_SF_SF_EESI_SY_SJ_SK_SL_EUlSY_E1_NS1_11comp_targetILNS1_3genE9ELNS1_11target_archE1100ELNS1_3gpuE3ELNS1_3repE0EEENS1_36merge_oddeven_config_static_selectorELNS0_4arch9wavefront6targetE0EEEvSK_.has_indirect_call, 0
	.section	.AMDGPU.csdata,"",@progbits
; Kernel info:
; codeLenInByte = 0
; TotalNumSgprs: 0
; NumVgprs: 0
; ScratchSize: 0
; MemoryBound: 0
; FloatMode: 240
; IeeeMode: 1
; LDSByteSize: 0 bytes/workgroup (compile time only)
; SGPRBlocks: 0
; VGPRBlocks: 0
; NumSGPRsForWavesPerEU: 1
; NumVGPRsForWavesPerEU: 1
; Occupancy: 16
; WaveLimiterHint : 0
; COMPUTE_PGM_RSRC2:SCRATCH_EN: 0
; COMPUTE_PGM_RSRC2:USER_SGPR: 6
; COMPUTE_PGM_RSRC2:TRAP_HANDLER: 0
; COMPUTE_PGM_RSRC2:TGID_X_EN: 1
; COMPUTE_PGM_RSRC2:TGID_Y_EN: 0
; COMPUTE_PGM_RSRC2:TGID_Z_EN: 0
; COMPUTE_PGM_RSRC2:TIDIG_COMP_CNT: 0
	.section	.text._ZN7rocprim17ROCPRIM_400000_NS6detail17trampoline_kernelINS0_14default_configENS1_38merge_sort_block_merge_config_selectorIhNS0_10empty_typeEEEZZNS1_27merge_sort_block_merge_implIS3_N6thrust23THRUST_200600_302600_NS6detail15normal_iteratorINS9_10device_ptrIhEEEEPS5_m11less_div_10IhEEE10hipError_tT0_T1_T2_jT3_P12ihipStream_tbPNSt15iterator_traitsISJ_E10value_typeEPNSP_ISK_E10value_typeEPSL_NS1_7vsmem_tEENKUlT_SJ_SK_SL_E_clIPhSE_SF_SF_EESI_SY_SJ_SK_SL_EUlSY_E1_NS1_11comp_targetILNS1_3genE8ELNS1_11target_archE1030ELNS1_3gpuE2ELNS1_3repE0EEENS1_36merge_oddeven_config_static_selectorELNS0_4arch9wavefront6targetE0EEEvSK_,"axG",@progbits,_ZN7rocprim17ROCPRIM_400000_NS6detail17trampoline_kernelINS0_14default_configENS1_38merge_sort_block_merge_config_selectorIhNS0_10empty_typeEEEZZNS1_27merge_sort_block_merge_implIS3_N6thrust23THRUST_200600_302600_NS6detail15normal_iteratorINS9_10device_ptrIhEEEEPS5_m11less_div_10IhEEE10hipError_tT0_T1_T2_jT3_P12ihipStream_tbPNSt15iterator_traitsISJ_E10value_typeEPNSP_ISK_E10value_typeEPSL_NS1_7vsmem_tEENKUlT_SJ_SK_SL_E_clIPhSE_SF_SF_EESI_SY_SJ_SK_SL_EUlSY_E1_NS1_11comp_targetILNS1_3genE8ELNS1_11target_archE1030ELNS1_3gpuE2ELNS1_3repE0EEENS1_36merge_oddeven_config_static_selectorELNS0_4arch9wavefront6targetE0EEEvSK_,comdat
	.protected	_ZN7rocprim17ROCPRIM_400000_NS6detail17trampoline_kernelINS0_14default_configENS1_38merge_sort_block_merge_config_selectorIhNS0_10empty_typeEEEZZNS1_27merge_sort_block_merge_implIS3_N6thrust23THRUST_200600_302600_NS6detail15normal_iteratorINS9_10device_ptrIhEEEEPS5_m11less_div_10IhEEE10hipError_tT0_T1_T2_jT3_P12ihipStream_tbPNSt15iterator_traitsISJ_E10value_typeEPNSP_ISK_E10value_typeEPSL_NS1_7vsmem_tEENKUlT_SJ_SK_SL_E_clIPhSE_SF_SF_EESI_SY_SJ_SK_SL_EUlSY_E1_NS1_11comp_targetILNS1_3genE8ELNS1_11target_archE1030ELNS1_3gpuE2ELNS1_3repE0EEENS1_36merge_oddeven_config_static_selectorELNS0_4arch9wavefront6targetE0EEEvSK_ ; -- Begin function _ZN7rocprim17ROCPRIM_400000_NS6detail17trampoline_kernelINS0_14default_configENS1_38merge_sort_block_merge_config_selectorIhNS0_10empty_typeEEEZZNS1_27merge_sort_block_merge_implIS3_N6thrust23THRUST_200600_302600_NS6detail15normal_iteratorINS9_10device_ptrIhEEEEPS5_m11less_div_10IhEEE10hipError_tT0_T1_T2_jT3_P12ihipStream_tbPNSt15iterator_traitsISJ_E10value_typeEPNSP_ISK_E10value_typeEPSL_NS1_7vsmem_tEENKUlT_SJ_SK_SL_E_clIPhSE_SF_SF_EESI_SY_SJ_SK_SL_EUlSY_E1_NS1_11comp_targetILNS1_3genE8ELNS1_11target_archE1030ELNS1_3gpuE2ELNS1_3repE0EEENS1_36merge_oddeven_config_static_selectorELNS0_4arch9wavefront6targetE0EEEvSK_
	.globl	_ZN7rocprim17ROCPRIM_400000_NS6detail17trampoline_kernelINS0_14default_configENS1_38merge_sort_block_merge_config_selectorIhNS0_10empty_typeEEEZZNS1_27merge_sort_block_merge_implIS3_N6thrust23THRUST_200600_302600_NS6detail15normal_iteratorINS9_10device_ptrIhEEEEPS5_m11less_div_10IhEEE10hipError_tT0_T1_T2_jT3_P12ihipStream_tbPNSt15iterator_traitsISJ_E10value_typeEPNSP_ISK_E10value_typeEPSL_NS1_7vsmem_tEENKUlT_SJ_SK_SL_E_clIPhSE_SF_SF_EESI_SY_SJ_SK_SL_EUlSY_E1_NS1_11comp_targetILNS1_3genE8ELNS1_11target_archE1030ELNS1_3gpuE2ELNS1_3repE0EEENS1_36merge_oddeven_config_static_selectorELNS0_4arch9wavefront6targetE0EEEvSK_
	.p2align	8
	.type	_ZN7rocprim17ROCPRIM_400000_NS6detail17trampoline_kernelINS0_14default_configENS1_38merge_sort_block_merge_config_selectorIhNS0_10empty_typeEEEZZNS1_27merge_sort_block_merge_implIS3_N6thrust23THRUST_200600_302600_NS6detail15normal_iteratorINS9_10device_ptrIhEEEEPS5_m11less_div_10IhEEE10hipError_tT0_T1_T2_jT3_P12ihipStream_tbPNSt15iterator_traitsISJ_E10value_typeEPNSP_ISK_E10value_typeEPSL_NS1_7vsmem_tEENKUlT_SJ_SK_SL_E_clIPhSE_SF_SF_EESI_SY_SJ_SK_SL_EUlSY_E1_NS1_11comp_targetILNS1_3genE8ELNS1_11target_archE1030ELNS1_3gpuE2ELNS1_3repE0EEENS1_36merge_oddeven_config_static_selectorELNS0_4arch9wavefront6targetE0EEEvSK_,@function
_ZN7rocprim17ROCPRIM_400000_NS6detail17trampoline_kernelINS0_14default_configENS1_38merge_sort_block_merge_config_selectorIhNS0_10empty_typeEEEZZNS1_27merge_sort_block_merge_implIS3_N6thrust23THRUST_200600_302600_NS6detail15normal_iteratorINS9_10device_ptrIhEEEEPS5_m11less_div_10IhEEE10hipError_tT0_T1_T2_jT3_P12ihipStream_tbPNSt15iterator_traitsISJ_E10value_typeEPNSP_ISK_E10value_typeEPSL_NS1_7vsmem_tEENKUlT_SJ_SK_SL_E_clIPhSE_SF_SF_EESI_SY_SJ_SK_SL_EUlSY_E1_NS1_11comp_targetILNS1_3genE8ELNS1_11target_archE1030ELNS1_3gpuE2ELNS1_3repE0EEENS1_36merge_oddeven_config_static_selectorELNS0_4arch9wavefront6targetE0EEEvSK_: ; @_ZN7rocprim17ROCPRIM_400000_NS6detail17trampoline_kernelINS0_14default_configENS1_38merge_sort_block_merge_config_selectorIhNS0_10empty_typeEEEZZNS1_27merge_sort_block_merge_implIS3_N6thrust23THRUST_200600_302600_NS6detail15normal_iteratorINS9_10device_ptrIhEEEEPS5_m11less_div_10IhEEE10hipError_tT0_T1_T2_jT3_P12ihipStream_tbPNSt15iterator_traitsISJ_E10value_typeEPNSP_ISK_E10value_typeEPSL_NS1_7vsmem_tEENKUlT_SJ_SK_SL_E_clIPhSE_SF_SF_EESI_SY_SJ_SK_SL_EUlSY_E1_NS1_11comp_targetILNS1_3genE8ELNS1_11target_archE1030ELNS1_3gpuE2ELNS1_3repE0EEENS1_36merge_oddeven_config_static_selectorELNS0_4arch9wavefront6targetE0EEEvSK_
; %bb.0:
	s_load_dword s7, s[4:5], 0x20
	s_waitcnt lgkmcnt(0)
	s_lshr_b32 s0, s7, 8
	s_cmp_lg_u32 s6, s0
	s_cselect_b32 s13, -1, 0
	s_cmp_eq_u32 s6, s0
	s_cselect_b32 s12, -1, 0
	s_lshl_b32 s2, s6, 8
	s_sub_i32 s0, s7, s2
	v_cmp_gt_u32_e64 s1, s0, v0
	s_or_b32 s0, s13, s1
	s_and_saveexec_b32 s3, s0
	s_cbranch_execz .LBB716_20
; %bb.1:
	s_clause 0x1
	s_load_dwordx4 s[8:11], s[4:5], 0x0
	s_load_dword s5, s[4:5], 0x28
	v_add_nc_u32_e32 v3, s2, v0
	s_waitcnt lgkmcnt(0)
	s_add_u32 s14, s8, s2
	s_addc_u32 s15, s9, 0
	s_lshr_b32 s0, s5, 8
	global_load_ubyte v1, v0, s[14:15]
	s_sub_i32 s3, 0, s0
	s_mov_b32 s2, 0
	s_and_b32 s3, s6, s3
	s_and_b32 s0, s3, s0
	s_lshl_b32 s6, s3, 8
	s_sub_i32 s3, 0, s5
	s_cmp_eq_u32 s0, 0
	s_cselect_b32 s0, -1, 0
	s_and_b32 s4, s0, exec_lo
	s_cselect_b32 s3, s5, s3
	s_add_i32 s3, s3, s6
	s_cmp_lt_u32 s3, s7
	s_cbranch_scc1 .LBB716_3
; %bb.2:
	v_cmp_gt_u32_e32 vcc_lo, s7, v3
	s_or_b32 s2, vcc_lo, s13
	s_and_b32 s2, s2, exec_lo
	s_cbranch_execz .LBB716_4
	s_branch .LBB716_18
.LBB716_3:
.LBB716_4:
	s_waitcnt vmcnt(0)
	v_and_b32_e32 v0, 0xff, v1
	s_min_u32 s4, s3, s7
	s_and_b32 vcc_lo, exec_lo, s12
	s_add_i32 s13, s6, s4
	s_min_u32 s6, s6, s4
	v_subrev_nc_u32_e32 v2, s13, v3
	v_mul_lo_u16 v3, 0xcd, v0
	s_add_i32 s5, s4, s5
	s_min_u32 s5, s5, s7
	v_add_nc_u32_e32 v0, s6, v2
	v_lshrrev_b16 v2, 11, v3
	s_cbranch_vccz .LBB716_12
; %bb.5:
                                        ; implicit-def: $vgpr3
	s_and_saveexec_b32 s6, s1
	s_cbranch_execz .LBB716_11
; %bb.6:
	v_mov_b32_e32 v3, s4
	s_cmp_ge_u32 s3, s5
	s_cbranch_scc1 .LBB716_10
; %bb.7:
	v_mov_b32_e32 v4, s5
	v_mov_b32_e32 v3, s4
	s_mov_b32 s1, 0
	.p2align	6
.LBB716_8:                              ; =>This Inner Loop Header: Depth=1
	v_add_nc_u32_e32 v5, v3, v4
	v_lshrrev_b32_e32 v5, 1, v5
	global_load_ubyte v6, v5, s[8:9]
	s_waitcnt vmcnt(0)
	v_mul_lo_u16 v6, 0xcd, v6
	v_lshrrev_b16 v6, 11, v6
	v_cmp_lt_u16_e32 vcc_lo, v6, v2
	v_cndmask_b32_e64 v7, 0, 1, vcc_lo
	v_cmp_ge_u16_e32 vcc_lo, v2, v6
	v_cndmask_b32_e64 v6, 0, 1, vcc_lo
	v_cndmask_b32_e64 v6, v6, v7, s0
	v_add_nc_u32_e32 v7, 1, v5
	v_and_b32_e32 v6, 1, v6
	v_cmp_eq_u32_e32 vcc_lo, 1, v6
	v_cndmask_b32_e32 v4, v5, v4, vcc_lo
	v_cndmask_b32_e32 v3, v3, v7, vcc_lo
	v_cmp_ge_u32_e32 vcc_lo, v3, v4
	s_or_b32 s1, vcc_lo, s1
	s_andn2_b32 exec_lo, exec_lo, s1
	s_cbranch_execnz .LBB716_8
; %bb.9:
	s_or_b32 exec_lo, exec_lo, s1
.LBB716_10:
	v_add_nc_u32_e32 v3, v3, v0
	s_or_b32 s2, s2, exec_lo
.LBB716_11:
	s_or_b32 exec_lo, exec_lo, s6
	s_branch .LBB716_18
.LBB716_12:
                                        ; implicit-def: $vgpr3
	s_cbranch_execz .LBB716_18
; %bb.13:
	v_mov_b32_e32 v3, s4
	s_cmp_ge_u32 s3, s5
	s_cbranch_scc1 .LBB716_17
; %bb.14:
	v_mov_b32_e32 v4, s5
	v_mov_b32_e32 v3, s4
	s_mov_b32 s1, 0
	.p2align	6
.LBB716_15:                             ; =>This Inner Loop Header: Depth=1
	v_add_nc_u32_e32 v5, v3, v4
	v_lshrrev_b32_e32 v5, 1, v5
	global_load_ubyte v6, v5, s[8:9]
	s_waitcnt vmcnt(0)
	v_mul_lo_u16 v6, 0xcd, v6
	v_lshrrev_b16 v6, 11, v6
	v_cmp_lt_u16_e32 vcc_lo, v6, v2
	v_cndmask_b32_e64 v7, 0, 1, vcc_lo
	v_cmp_ge_u16_e32 vcc_lo, v2, v6
	v_cndmask_b32_e64 v6, 0, 1, vcc_lo
	v_cndmask_b32_e64 v6, v6, v7, s0
	v_add_nc_u32_e32 v7, 1, v5
	v_and_b32_e32 v6, 1, v6
	v_cmp_eq_u32_e32 vcc_lo, 1, v6
	v_cndmask_b32_e32 v4, v5, v4, vcc_lo
	v_cndmask_b32_e32 v3, v3, v7, vcc_lo
	v_cmp_ge_u32_e32 vcc_lo, v3, v4
	s_or_b32 s1, vcc_lo, s1
	s_andn2_b32 exec_lo, exec_lo, s1
	s_cbranch_execnz .LBB716_15
; %bb.16:
	s_or_b32 exec_lo, exec_lo, s1
.LBB716_17:
	v_add_nc_u32_e32 v3, v3, v0
	s_mov_b32 s2, -1
.LBB716_18:
	s_and_b32 exec_lo, exec_lo, s2
	s_cbranch_execz .LBB716_20
; %bb.19:
	s_waitcnt vmcnt(0)
	global_store_byte v3, v1, s[10:11]
.LBB716_20:
	s_endpgm
	.section	.rodata,"a",@progbits
	.p2align	6, 0x0
	.amdhsa_kernel _ZN7rocprim17ROCPRIM_400000_NS6detail17trampoline_kernelINS0_14default_configENS1_38merge_sort_block_merge_config_selectorIhNS0_10empty_typeEEEZZNS1_27merge_sort_block_merge_implIS3_N6thrust23THRUST_200600_302600_NS6detail15normal_iteratorINS9_10device_ptrIhEEEEPS5_m11less_div_10IhEEE10hipError_tT0_T1_T2_jT3_P12ihipStream_tbPNSt15iterator_traitsISJ_E10value_typeEPNSP_ISK_E10value_typeEPSL_NS1_7vsmem_tEENKUlT_SJ_SK_SL_E_clIPhSE_SF_SF_EESI_SY_SJ_SK_SL_EUlSY_E1_NS1_11comp_targetILNS1_3genE8ELNS1_11target_archE1030ELNS1_3gpuE2ELNS1_3repE0EEENS1_36merge_oddeven_config_static_selectorELNS0_4arch9wavefront6targetE0EEEvSK_
		.amdhsa_group_segment_fixed_size 0
		.amdhsa_private_segment_fixed_size 0
		.amdhsa_kernarg_size 56
		.amdhsa_user_sgpr_count 6
		.amdhsa_user_sgpr_private_segment_buffer 1
		.amdhsa_user_sgpr_dispatch_ptr 0
		.amdhsa_user_sgpr_queue_ptr 0
		.amdhsa_user_sgpr_kernarg_segment_ptr 1
		.amdhsa_user_sgpr_dispatch_id 0
		.amdhsa_user_sgpr_flat_scratch_init 0
		.amdhsa_user_sgpr_private_segment_size 0
		.amdhsa_wavefront_size32 1
		.amdhsa_uses_dynamic_stack 0
		.amdhsa_system_sgpr_private_segment_wavefront_offset 0
		.amdhsa_system_sgpr_workgroup_id_x 1
		.amdhsa_system_sgpr_workgroup_id_y 0
		.amdhsa_system_sgpr_workgroup_id_z 0
		.amdhsa_system_sgpr_workgroup_info 0
		.amdhsa_system_vgpr_workitem_id 0
		.amdhsa_next_free_vgpr 8
		.amdhsa_next_free_sgpr 16
		.amdhsa_reserve_vcc 1
		.amdhsa_reserve_flat_scratch 0
		.amdhsa_float_round_mode_32 0
		.amdhsa_float_round_mode_16_64 0
		.amdhsa_float_denorm_mode_32 3
		.amdhsa_float_denorm_mode_16_64 3
		.amdhsa_dx10_clamp 1
		.amdhsa_ieee_mode 1
		.amdhsa_fp16_overflow 0
		.amdhsa_workgroup_processor_mode 1
		.amdhsa_memory_ordered 1
		.amdhsa_forward_progress 1
		.amdhsa_shared_vgpr_count 0
		.amdhsa_exception_fp_ieee_invalid_op 0
		.amdhsa_exception_fp_denorm_src 0
		.amdhsa_exception_fp_ieee_div_zero 0
		.amdhsa_exception_fp_ieee_overflow 0
		.amdhsa_exception_fp_ieee_underflow 0
		.amdhsa_exception_fp_ieee_inexact 0
		.amdhsa_exception_int_div_zero 0
	.end_amdhsa_kernel
	.section	.text._ZN7rocprim17ROCPRIM_400000_NS6detail17trampoline_kernelINS0_14default_configENS1_38merge_sort_block_merge_config_selectorIhNS0_10empty_typeEEEZZNS1_27merge_sort_block_merge_implIS3_N6thrust23THRUST_200600_302600_NS6detail15normal_iteratorINS9_10device_ptrIhEEEEPS5_m11less_div_10IhEEE10hipError_tT0_T1_T2_jT3_P12ihipStream_tbPNSt15iterator_traitsISJ_E10value_typeEPNSP_ISK_E10value_typeEPSL_NS1_7vsmem_tEENKUlT_SJ_SK_SL_E_clIPhSE_SF_SF_EESI_SY_SJ_SK_SL_EUlSY_E1_NS1_11comp_targetILNS1_3genE8ELNS1_11target_archE1030ELNS1_3gpuE2ELNS1_3repE0EEENS1_36merge_oddeven_config_static_selectorELNS0_4arch9wavefront6targetE0EEEvSK_,"axG",@progbits,_ZN7rocprim17ROCPRIM_400000_NS6detail17trampoline_kernelINS0_14default_configENS1_38merge_sort_block_merge_config_selectorIhNS0_10empty_typeEEEZZNS1_27merge_sort_block_merge_implIS3_N6thrust23THRUST_200600_302600_NS6detail15normal_iteratorINS9_10device_ptrIhEEEEPS5_m11less_div_10IhEEE10hipError_tT0_T1_T2_jT3_P12ihipStream_tbPNSt15iterator_traitsISJ_E10value_typeEPNSP_ISK_E10value_typeEPSL_NS1_7vsmem_tEENKUlT_SJ_SK_SL_E_clIPhSE_SF_SF_EESI_SY_SJ_SK_SL_EUlSY_E1_NS1_11comp_targetILNS1_3genE8ELNS1_11target_archE1030ELNS1_3gpuE2ELNS1_3repE0EEENS1_36merge_oddeven_config_static_selectorELNS0_4arch9wavefront6targetE0EEEvSK_,comdat
.Lfunc_end716:
	.size	_ZN7rocprim17ROCPRIM_400000_NS6detail17trampoline_kernelINS0_14default_configENS1_38merge_sort_block_merge_config_selectorIhNS0_10empty_typeEEEZZNS1_27merge_sort_block_merge_implIS3_N6thrust23THRUST_200600_302600_NS6detail15normal_iteratorINS9_10device_ptrIhEEEEPS5_m11less_div_10IhEEE10hipError_tT0_T1_T2_jT3_P12ihipStream_tbPNSt15iterator_traitsISJ_E10value_typeEPNSP_ISK_E10value_typeEPSL_NS1_7vsmem_tEENKUlT_SJ_SK_SL_E_clIPhSE_SF_SF_EESI_SY_SJ_SK_SL_EUlSY_E1_NS1_11comp_targetILNS1_3genE8ELNS1_11target_archE1030ELNS1_3gpuE2ELNS1_3repE0EEENS1_36merge_oddeven_config_static_selectorELNS0_4arch9wavefront6targetE0EEEvSK_, .Lfunc_end716-_ZN7rocprim17ROCPRIM_400000_NS6detail17trampoline_kernelINS0_14default_configENS1_38merge_sort_block_merge_config_selectorIhNS0_10empty_typeEEEZZNS1_27merge_sort_block_merge_implIS3_N6thrust23THRUST_200600_302600_NS6detail15normal_iteratorINS9_10device_ptrIhEEEEPS5_m11less_div_10IhEEE10hipError_tT0_T1_T2_jT3_P12ihipStream_tbPNSt15iterator_traitsISJ_E10value_typeEPNSP_ISK_E10value_typeEPSL_NS1_7vsmem_tEENKUlT_SJ_SK_SL_E_clIPhSE_SF_SF_EESI_SY_SJ_SK_SL_EUlSY_E1_NS1_11comp_targetILNS1_3genE8ELNS1_11target_archE1030ELNS1_3gpuE2ELNS1_3repE0EEENS1_36merge_oddeven_config_static_selectorELNS0_4arch9wavefront6targetE0EEEvSK_
                                        ; -- End function
	.set _ZN7rocprim17ROCPRIM_400000_NS6detail17trampoline_kernelINS0_14default_configENS1_38merge_sort_block_merge_config_selectorIhNS0_10empty_typeEEEZZNS1_27merge_sort_block_merge_implIS3_N6thrust23THRUST_200600_302600_NS6detail15normal_iteratorINS9_10device_ptrIhEEEEPS5_m11less_div_10IhEEE10hipError_tT0_T1_T2_jT3_P12ihipStream_tbPNSt15iterator_traitsISJ_E10value_typeEPNSP_ISK_E10value_typeEPSL_NS1_7vsmem_tEENKUlT_SJ_SK_SL_E_clIPhSE_SF_SF_EESI_SY_SJ_SK_SL_EUlSY_E1_NS1_11comp_targetILNS1_3genE8ELNS1_11target_archE1030ELNS1_3gpuE2ELNS1_3repE0EEENS1_36merge_oddeven_config_static_selectorELNS0_4arch9wavefront6targetE0EEEvSK_.num_vgpr, 8
	.set _ZN7rocprim17ROCPRIM_400000_NS6detail17trampoline_kernelINS0_14default_configENS1_38merge_sort_block_merge_config_selectorIhNS0_10empty_typeEEEZZNS1_27merge_sort_block_merge_implIS3_N6thrust23THRUST_200600_302600_NS6detail15normal_iteratorINS9_10device_ptrIhEEEEPS5_m11less_div_10IhEEE10hipError_tT0_T1_T2_jT3_P12ihipStream_tbPNSt15iterator_traitsISJ_E10value_typeEPNSP_ISK_E10value_typeEPSL_NS1_7vsmem_tEENKUlT_SJ_SK_SL_E_clIPhSE_SF_SF_EESI_SY_SJ_SK_SL_EUlSY_E1_NS1_11comp_targetILNS1_3genE8ELNS1_11target_archE1030ELNS1_3gpuE2ELNS1_3repE0EEENS1_36merge_oddeven_config_static_selectorELNS0_4arch9wavefront6targetE0EEEvSK_.num_agpr, 0
	.set _ZN7rocprim17ROCPRIM_400000_NS6detail17trampoline_kernelINS0_14default_configENS1_38merge_sort_block_merge_config_selectorIhNS0_10empty_typeEEEZZNS1_27merge_sort_block_merge_implIS3_N6thrust23THRUST_200600_302600_NS6detail15normal_iteratorINS9_10device_ptrIhEEEEPS5_m11less_div_10IhEEE10hipError_tT0_T1_T2_jT3_P12ihipStream_tbPNSt15iterator_traitsISJ_E10value_typeEPNSP_ISK_E10value_typeEPSL_NS1_7vsmem_tEENKUlT_SJ_SK_SL_E_clIPhSE_SF_SF_EESI_SY_SJ_SK_SL_EUlSY_E1_NS1_11comp_targetILNS1_3genE8ELNS1_11target_archE1030ELNS1_3gpuE2ELNS1_3repE0EEENS1_36merge_oddeven_config_static_selectorELNS0_4arch9wavefront6targetE0EEEvSK_.numbered_sgpr, 16
	.set _ZN7rocprim17ROCPRIM_400000_NS6detail17trampoline_kernelINS0_14default_configENS1_38merge_sort_block_merge_config_selectorIhNS0_10empty_typeEEEZZNS1_27merge_sort_block_merge_implIS3_N6thrust23THRUST_200600_302600_NS6detail15normal_iteratorINS9_10device_ptrIhEEEEPS5_m11less_div_10IhEEE10hipError_tT0_T1_T2_jT3_P12ihipStream_tbPNSt15iterator_traitsISJ_E10value_typeEPNSP_ISK_E10value_typeEPSL_NS1_7vsmem_tEENKUlT_SJ_SK_SL_E_clIPhSE_SF_SF_EESI_SY_SJ_SK_SL_EUlSY_E1_NS1_11comp_targetILNS1_3genE8ELNS1_11target_archE1030ELNS1_3gpuE2ELNS1_3repE0EEENS1_36merge_oddeven_config_static_selectorELNS0_4arch9wavefront6targetE0EEEvSK_.num_named_barrier, 0
	.set _ZN7rocprim17ROCPRIM_400000_NS6detail17trampoline_kernelINS0_14default_configENS1_38merge_sort_block_merge_config_selectorIhNS0_10empty_typeEEEZZNS1_27merge_sort_block_merge_implIS3_N6thrust23THRUST_200600_302600_NS6detail15normal_iteratorINS9_10device_ptrIhEEEEPS5_m11less_div_10IhEEE10hipError_tT0_T1_T2_jT3_P12ihipStream_tbPNSt15iterator_traitsISJ_E10value_typeEPNSP_ISK_E10value_typeEPSL_NS1_7vsmem_tEENKUlT_SJ_SK_SL_E_clIPhSE_SF_SF_EESI_SY_SJ_SK_SL_EUlSY_E1_NS1_11comp_targetILNS1_3genE8ELNS1_11target_archE1030ELNS1_3gpuE2ELNS1_3repE0EEENS1_36merge_oddeven_config_static_selectorELNS0_4arch9wavefront6targetE0EEEvSK_.private_seg_size, 0
	.set _ZN7rocprim17ROCPRIM_400000_NS6detail17trampoline_kernelINS0_14default_configENS1_38merge_sort_block_merge_config_selectorIhNS0_10empty_typeEEEZZNS1_27merge_sort_block_merge_implIS3_N6thrust23THRUST_200600_302600_NS6detail15normal_iteratorINS9_10device_ptrIhEEEEPS5_m11less_div_10IhEEE10hipError_tT0_T1_T2_jT3_P12ihipStream_tbPNSt15iterator_traitsISJ_E10value_typeEPNSP_ISK_E10value_typeEPSL_NS1_7vsmem_tEENKUlT_SJ_SK_SL_E_clIPhSE_SF_SF_EESI_SY_SJ_SK_SL_EUlSY_E1_NS1_11comp_targetILNS1_3genE8ELNS1_11target_archE1030ELNS1_3gpuE2ELNS1_3repE0EEENS1_36merge_oddeven_config_static_selectorELNS0_4arch9wavefront6targetE0EEEvSK_.uses_vcc, 1
	.set _ZN7rocprim17ROCPRIM_400000_NS6detail17trampoline_kernelINS0_14default_configENS1_38merge_sort_block_merge_config_selectorIhNS0_10empty_typeEEEZZNS1_27merge_sort_block_merge_implIS3_N6thrust23THRUST_200600_302600_NS6detail15normal_iteratorINS9_10device_ptrIhEEEEPS5_m11less_div_10IhEEE10hipError_tT0_T1_T2_jT3_P12ihipStream_tbPNSt15iterator_traitsISJ_E10value_typeEPNSP_ISK_E10value_typeEPSL_NS1_7vsmem_tEENKUlT_SJ_SK_SL_E_clIPhSE_SF_SF_EESI_SY_SJ_SK_SL_EUlSY_E1_NS1_11comp_targetILNS1_3genE8ELNS1_11target_archE1030ELNS1_3gpuE2ELNS1_3repE0EEENS1_36merge_oddeven_config_static_selectorELNS0_4arch9wavefront6targetE0EEEvSK_.uses_flat_scratch, 0
	.set _ZN7rocprim17ROCPRIM_400000_NS6detail17trampoline_kernelINS0_14default_configENS1_38merge_sort_block_merge_config_selectorIhNS0_10empty_typeEEEZZNS1_27merge_sort_block_merge_implIS3_N6thrust23THRUST_200600_302600_NS6detail15normal_iteratorINS9_10device_ptrIhEEEEPS5_m11less_div_10IhEEE10hipError_tT0_T1_T2_jT3_P12ihipStream_tbPNSt15iterator_traitsISJ_E10value_typeEPNSP_ISK_E10value_typeEPSL_NS1_7vsmem_tEENKUlT_SJ_SK_SL_E_clIPhSE_SF_SF_EESI_SY_SJ_SK_SL_EUlSY_E1_NS1_11comp_targetILNS1_3genE8ELNS1_11target_archE1030ELNS1_3gpuE2ELNS1_3repE0EEENS1_36merge_oddeven_config_static_selectorELNS0_4arch9wavefront6targetE0EEEvSK_.has_dyn_sized_stack, 0
	.set _ZN7rocprim17ROCPRIM_400000_NS6detail17trampoline_kernelINS0_14default_configENS1_38merge_sort_block_merge_config_selectorIhNS0_10empty_typeEEEZZNS1_27merge_sort_block_merge_implIS3_N6thrust23THRUST_200600_302600_NS6detail15normal_iteratorINS9_10device_ptrIhEEEEPS5_m11less_div_10IhEEE10hipError_tT0_T1_T2_jT3_P12ihipStream_tbPNSt15iterator_traitsISJ_E10value_typeEPNSP_ISK_E10value_typeEPSL_NS1_7vsmem_tEENKUlT_SJ_SK_SL_E_clIPhSE_SF_SF_EESI_SY_SJ_SK_SL_EUlSY_E1_NS1_11comp_targetILNS1_3genE8ELNS1_11target_archE1030ELNS1_3gpuE2ELNS1_3repE0EEENS1_36merge_oddeven_config_static_selectorELNS0_4arch9wavefront6targetE0EEEvSK_.has_recursion, 0
	.set _ZN7rocprim17ROCPRIM_400000_NS6detail17trampoline_kernelINS0_14default_configENS1_38merge_sort_block_merge_config_selectorIhNS0_10empty_typeEEEZZNS1_27merge_sort_block_merge_implIS3_N6thrust23THRUST_200600_302600_NS6detail15normal_iteratorINS9_10device_ptrIhEEEEPS5_m11less_div_10IhEEE10hipError_tT0_T1_T2_jT3_P12ihipStream_tbPNSt15iterator_traitsISJ_E10value_typeEPNSP_ISK_E10value_typeEPSL_NS1_7vsmem_tEENKUlT_SJ_SK_SL_E_clIPhSE_SF_SF_EESI_SY_SJ_SK_SL_EUlSY_E1_NS1_11comp_targetILNS1_3genE8ELNS1_11target_archE1030ELNS1_3gpuE2ELNS1_3repE0EEENS1_36merge_oddeven_config_static_selectorELNS0_4arch9wavefront6targetE0EEEvSK_.has_indirect_call, 0
	.section	.AMDGPU.csdata,"",@progbits
; Kernel info:
; codeLenInByte = 656
; TotalNumSgprs: 18
; NumVgprs: 8
; ScratchSize: 0
; MemoryBound: 0
; FloatMode: 240
; IeeeMode: 1
; LDSByteSize: 0 bytes/workgroup (compile time only)
; SGPRBlocks: 0
; VGPRBlocks: 0
; NumSGPRsForWavesPerEU: 18
; NumVGPRsForWavesPerEU: 8
; Occupancy: 16
; WaveLimiterHint : 0
; COMPUTE_PGM_RSRC2:SCRATCH_EN: 0
; COMPUTE_PGM_RSRC2:USER_SGPR: 6
; COMPUTE_PGM_RSRC2:TRAP_HANDLER: 0
; COMPUTE_PGM_RSRC2:TGID_X_EN: 1
; COMPUTE_PGM_RSRC2:TGID_Y_EN: 0
; COMPUTE_PGM_RSRC2:TGID_Z_EN: 0
; COMPUTE_PGM_RSRC2:TIDIG_COMP_CNT: 0
	.section	.text._ZN7rocprim17ROCPRIM_400000_NS6detail17trampoline_kernelINS0_14default_configENS1_38merge_sort_block_merge_config_selectorIhNS0_10empty_typeEEEZZNS1_27merge_sort_block_merge_implIS3_N6thrust23THRUST_200600_302600_NS6detail15normal_iteratorINS9_10device_ptrIhEEEEPS5_m11less_div_10IhEEE10hipError_tT0_T1_T2_jT3_P12ihipStream_tbPNSt15iterator_traitsISJ_E10value_typeEPNSP_ISK_E10value_typeEPSL_NS1_7vsmem_tEENKUlT_SJ_SK_SL_E_clISE_PhSF_SF_EESI_SY_SJ_SK_SL_EUlSY_E_NS1_11comp_targetILNS1_3genE0ELNS1_11target_archE4294967295ELNS1_3gpuE0ELNS1_3repE0EEENS1_48merge_mergepath_partition_config_static_selectorELNS0_4arch9wavefront6targetE0EEEvSK_,"axG",@progbits,_ZN7rocprim17ROCPRIM_400000_NS6detail17trampoline_kernelINS0_14default_configENS1_38merge_sort_block_merge_config_selectorIhNS0_10empty_typeEEEZZNS1_27merge_sort_block_merge_implIS3_N6thrust23THRUST_200600_302600_NS6detail15normal_iteratorINS9_10device_ptrIhEEEEPS5_m11less_div_10IhEEE10hipError_tT0_T1_T2_jT3_P12ihipStream_tbPNSt15iterator_traitsISJ_E10value_typeEPNSP_ISK_E10value_typeEPSL_NS1_7vsmem_tEENKUlT_SJ_SK_SL_E_clISE_PhSF_SF_EESI_SY_SJ_SK_SL_EUlSY_E_NS1_11comp_targetILNS1_3genE0ELNS1_11target_archE4294967295ELNS1_3gpuE0ELNS1_3repE0EEENS1_48merge_mergepath_partition_config_static_selectorELNS0_4arch9wavefront6targetE0EEEvSK_,comdat
	.protected	_ZN7rocprim17ROCPRIM_400000_NS6detail17trampoline_kernelINS0_14default_configENS1_38merge_sort_block_merge_config_selectorIhNS0_10empty_typeEEEZZNS1_27merge_sort_block_merge_implIS3_N6thrust23THRUST_200600_302600_NS6detail15normal_iteratorINS9_10device_ptrIhEEEEPS5_m11less_div_10IhEEE10hipError_tT0_T1_T2_jT3_P12ihipStream_tbPNSt15iterator_traitsISJ_E10value_typeEPNSP_ISK_E10value_typeEPSL_NS1_7vsmem_tEENKUlT_SJ_SK_SL_E_clISE_PhSF_SF_EESI_SY_SJ_SK_SL_EUlSY_E_NS1_11comp_targetILNS1_3genE0ELNS1_11target_archE4294967295ELNS1_3gpuE0ELNS1_3repE0EEENS1_48merge_mergepath_partition_config_static_selectorELNS0_4arch9wavefront6targetE0EEEvSK_ ; -- Begin function _ZN7rocprim17ROCPRIM_400000_NS6detail17trampoline_kernelINS0_14default_configENS1_38merge_sort_block_merge_config_selectorIhNS0_10empty_typeEEEZZNS1_27merge_sort_block_merge_implIS3_N6thrust23THRUST_200600_302600_NS6detail15normal_iteratorINS9_10device_ptrIhEEEEPS5_m11less_div_10IhEEE10hipError_tT0_T1_T2_jT3_P12ihipStream_tbPNSt15iterator_traitsISJ_E10value_typeEPNSP_ISK_E10value_typeEPSL_NS1_7vsmem_tEENKUlT_SJ_SK_SL_E_clISE_PhSF_SF_EESI_SY_SJ_SK_SL_EUlSY_E_NS1_11comp_targetILNS1_3genE0ELNS1_11target_archE4294967295ELNS1_3gpuE0ELNS1_3repE0EEENS1_48merge_mergepath_partition_config_static_selectorELNS0_4arch9wavefront6targetE0EEEvSK_
	.globl	_ZN7rocprim17ROCPRIM_400000_NS6detail17trampoline_kernelINS0_14default_configENS1_38merge_sort_block_merge_config_selectorIhNS0_10empty_typeEEEZZNS1_27merge_sort_block_merge_implIS3_N6thrust23THRUST_200600_302600_NS6detail15normal_iteratorINS9_10device_ptrIhEEEEPS5_m11less_div_10IhEEE10hipError_tT0_T1_T2_jT3_P12ihipStream_tbPNSt15iterator_traitsISJ_E10value_typeEPNSP_ISK_E10value_typeEPSL_NS1_7vsmem_tEENKUlT_SJ_SK_SL_E_clISE_PhSF_SF_EESI_SY_SJ_SK_SL_EUlSY_E_NS1_11comp_targetILNS1_3genE0ELNS1_11target_archE4294967295ELNS1_3gpuE0ELNS1_3repE0EEENS1_48merge_mergepath_partition_config_static_selectorELNS0_4arch9wavefront6targetE0EEEvSK_
	.p2align	8
	.type	_ZN7rocprim17ROCPRIM_400000_NS6detail17trampoline_kernelINS0_14default_configENS1_38merge_sort_block_merge_config_selectorIhNS0_10empty_typeEEEZZNS1_27merge_sort_block_merge_implIS3_N6thrust23THRUST_200600_302600_NS6detail15normal_iteratorINS9_10device_ptrIhEEEEPS5_m11less_div_10IhEEE10hipError_tT0_T1_T2_jT3_P12ihipStream_tbPNSt15iterator_traitsISJ_E10value_typeEPNSP_ISK_E10value_typeEPSL_NS1_7vsmem_tEENKUlT_SJ_SK_SL_E_clISE_PhSF_SF_EESI_SY_SJ_SK_SL_EUlSY_E_NS1_11comp_targetILNS1_3genE0ELNS1_11target_archE4294967295ELNS1_3gpuE0ELNS1_3repE0EEENS1_48merge_mergepath_partition_config_static_selectorELNS0_4arch9wavefront6targetE0EEEvSK_,@function
_ZN7rocprim17ROCPRIM_400000_NS6detail17trampoline_kernelINS0_14default_configENS1_38merge_sort_block_merge_config_selectorIhNS0_10empty_typeEEEZZNS1_27merge_sort_block_merge_implIS3_N6thrust23THRUST_200600_302600_NS6detail15normal_iteratorINS9_10device_ptrIhEEEEPS5_m11less_div_10IhEEE10hipError_tT0_T1_T2_jT3_P12ihipStream_tbPNSt15iterator_traitsISJ_E10value_typeEPNSP_ISK_E10value_typeEPSL_NS1_7vsmem_tEENKUlT_SJ_SK_SL_E_clISE_PhSF_SF_EESI_SY_SJ_SK_SL_EUlSY_E_NS1_11comp_targetILNS1_3genE0ELNS1_11target_archE4294967295ELNS1_3gpuE0ELNS1_3repE0EEENS1_48merge_mergepath_partition_config_static_selectorELNS0_4arch9wavefront6targetE0EEEvSK_: ; @_ZN7rocprim17ROCPRIM_400000_NS6detail17trampoline_kernelINS0_14default_configENS1_38merge_sort_block_merge_config_selectorIhNS0_10empty_typeEEEZZNS1_27merge_sort_block_merge_implIS3_N6thrust23THRUST_200600_302600_NS6detail15normal_iteratorINS9_10device_ptrIhEEEEPS5_m11less_div_10IhEEE10hipError_tT0_T1_T2_jT3_P12ihipStream_tbPNSt15iterator_traitsISJ_E10value_typeEPNSP_ISK_E10value_typeEPSL_NS1_7vsmem_tEENKUlT_SJ_SK_SL_E_clISE_PhSF_SF_EESI_SY_SJ_SK_SL_EUlSY_E_NS1_11comp_targetILNS1_3genE0ELNS1_11target_archE4294967295ELNS1_3gpuE0ELNS1_3repE0EEENS1_48merge_mergepath_partition_config_static_selectorELNS0_4arch9wavefront6targetE0EEEvSK_
; %bb.0:
	.section	.rodata,"a",@progbits
	.p2align	6, 0x0
	.amdhsa_kernel _ZN7rocprim17ROCPRIM_400000_NS6detail17trampoline_kernelINS0_14default_configENS1_38merge_sort_block_merge_config_selectorIhNS0_10empty_typeEEEZZNS1_27merge_sort_block_merge_implIS3_N6thrust23THRUST_200600_302600_NS6detail15normal_iteratorINS9_10device_ptrIhEEEEPS5_m11less_div_10IhEEE10hipError_tT0_T1_T2_jT3_P12ihipStream_tbPNSt15iterator_traitsISJ_E10value_typeEPNSP_ISK_E10value_typeEPSL_NS1_7vsmem_tEENKUlT_SJ_SK_SL_E_clISE_PhSF_SF_EESI_SY_SJ_SK_SL_EUlSY_E_NS1_11comp_targetILNS1_3genE0ELNS1_11target_archE4294967295ELNS1_3gpuE0ELNS1_3repE0EEENS1_48merge_mergepath_partition_config_static_selectorELNS0_4arch9wavefront6targetE0EEEvSK_
		.amdhsa_group_segment_fixed_size 0
		.amdhsa_private_segment_fixed_size 0
		.amdhsa_kernarg_size 48
		.amdhsa_user_sgpr_count 6
		.amdhsa_user_sgpr_private_segment_buffer 1
		.amdhsa_user_sgpr_dispatch_ptr 0
		.amdhsa_user_sgpr_queue_ptr 0
		.amdhsa_user_sgpr_kernarg_segment_ptr 1
		.amdhsa_user_sgpr_dispatch_id 0
		.amdhsa_user_sgpr_flat_scratch_init 0
		.amdhsa_user_sgpr_private_segment_size 0
		.amdhsa_wavefront_size32 1
		.amdhsa_uses_dynamic_stack 0
		.amdhsa_system_sgpr_private_segment_wavefront_offset 0
		.amdhsa_system_sgpr_workgroup_id_x 1
		.amdhsa_system_sgpr_workgroup_id_y 0
		.amdhsa_system_sgpr_workgroup_id_z 0
		.amdhsa_system_sgpr_workgroup_info 0
		.amdhsa_system_vgpr_workitem_id 0
		.amdhsa_next_free_vgpr 1
		.amdhsa_next_free_sgpr 1
		.amdhsa_reserve_vcc 0
		.amdhsa_reserve_flat_scratch 0
		.amdhsa_float_round_mode_32 0
		.amdhsa_float_round_mode_16_64 0
		.amdhsa_float_denorm_mode_32 3
		.amdhsa_float_denorm_mode_16_64 3
		.amdhsa_dx10_clamp 1
		.amdhsa_ieee_mode 1
		.amdhsa_fp16_overflow 0
		.amdhsa_workgroup_processor_mode 1
		.amdhsa_memory_ordered 1
		.amdhsa_forward_progress 1
		.amdhsa_shared_vgpr_count 0
		.amdhsa_exception_fp_ieee_invalid_op 0
		.amdhsa_exception_fp_denorm_src 0
		.amdhsa_exception_fp_ieee_div_zero 0
		.amdhsa_exception_fp_ieee_overflow 0
		.amdhsa_exception_fp_ieee_underflow 0
		.amdhsa_exception_fp_ieee_inexact 0
		.amdhsa_exception_int_div_zero 0
	.end_amdhsa_kernel
	.section	.text._ZN7rocprim17ROCPRIM_400000_NS6detail17trampoline_kernelINS0_14default_configENS1_38merge_sort_block_merge_config_selectorIhNS0_10empty_typeEEEZZNS1_27merge_sort_block_merge_implIS3_N6thrust23THRUST_200600_302600_NS6detail15normal_iteratorINS9_10device_ptrIhEEEEPS5_m11less_div_10IhEEE10hipError_tT0_T1_T2_jT3_P12ihipStream_tbPNSt15iterator_traitsISJ_E10value_typeEPNSP_ISK_E10value_typeEPSL_NS1_7vsmem_tEENKUlT_SJ_SK_SL_E_clISE_PhSF_SF_EESI_SY_SJ_SK_SL_EUlSY_E_NS1_11comp_targetILNS1_3genE0ELNS1_11target_archE4294967295ELNS1_3gpuE0ELNS1_3repE0EEENS1_48merge_mergepath_partition_config_static_selectorELNS0_4arch9wavefront6targetE0EEEvSK_,"axG",@progbits,_ZN7rocprim17ROCPRIM_400000_NS6detail17trampoline_kernelINS0_14default_configENS1_38merge_sort_block_merge_config_selectorIhNS0_10empty_typeEEEZZNS1_27merge_sort_block_merge_implIS3_N6thrust23THRUST_200600_302600_NS6detail15normal_iteratorINS9_10device_ptrIhEEEEPS5_m11less_div_10IhEEE10hipError_tT0_T1_T2_jT3_P12ihipStream_tbPNSt15iterator_traitsISJ_E10value_typeEPNSP_ISK_E10value_typeEPSL_NS1_7vsmem_tEENKUlT_SJ_SK_SL_E_clISE_PhSF_SF_EESI_SY_SJ_SK_SL_EUlSY_E_NS1_11comp_targetILNS1_3genE0ELNS1_11target_archE4294967295ELNS1_3gpuE0ELNS1_3repE0EEENS1_48merge_mergepath_partition_config_static_selectorELNS0_4arch9wavefront6targetE0EEEvSK_,comdat
.Lfunc_end717:
	.size	_ZN7rocprim17ROCPRIM_400000_NS6detail17trampoline_kernelINS0_14default_configENS1_38merge_sort_block_merge_config_selectorIhNS0_10empty_typeEEEZZNS1_27merge_sort_block_merge_implIS3_N6thrust23THRUST_200600_302600_NS6detail15normal_iteratorINS9_10device_ptrIhEEEEPS5_m11less_div_10IhEEE10hipError_tT0_T1_T2_jT3_P12ihipStream_tbPNSt15iterator_traitsISJ_E10value_typeEPNSP_ISK_E10value_typeEPSL_NS1_7vsmem_tEENKUlT_SJ_SK_SL_E_clISE_PhSF_SF_EESI_SY_SJ_SK_SL_EUlSY_E_NS1_11comp_targetILNS1_3genE0ELNS1_11target_archE4294967295ELNS1_3gpuE0ELNS1_3repE0EEENS1_48merge_mergepath_partition_config_static_selectorELNS0_4arch9wavefront6targetE0EEEvSK_, .Lfunc_end717-_ZN7rocprim17ROCPRIM_400000_NS6detail17trampoline_kernelINS0_14default_configENS1_38merge_sort_block_merge_config_selectorIhNS0_10empty_typeEEEZZNS1_27merge_sort_block_merge_implIS3_N6thrust23THRUST_200600_302600_NS6detail15normal_iteratorINS9_10device_ptrIhEEEEPS5_m11less_div_10IhEEE10hipError_tT0_T1_T2_jT3_P12ihipStream_tbPNSt15iterator_traitsISJ_E10value_typeEPNSP_ISK_E10value_typeEPSL_NS1_7vsmem_tEENKUlT_SJ_SK_SL_E_clISE_PhSF_SF_EESI_SY_SJ_SK_SL_EUlSY_E_NS1_11comp_targetILNS1_3genE0ELNS1_11target_archE4294967295ELNS1_3gpuE0ELNS1_3repE0EEENS1_48merge_mergepath_partition_config_static_selectorELNS0_4arch9wavefront6targetE0EEEvSK_
                                        ; -- End function
	.set _ZN7rocprim17ROCPRIM_400000_NS6detail17trampoline_kernelINS0_14default_configENS1_38merge_sort_block_merge_config_selectorIhNS0_10empty_typeEEEZZNS1_27merge_sort_block_merge_implIS3_N6thrust23THRUST_200600_302600_NS6detail15normal_iteratorINS9_10device_ptrIhEEEEPS5_m11less_div_10IhEEE10hipError_tT0_T1_T2_jT3_P12ihipStream_tbPNSt15iterator_traitsISJ_E10value_typeEPNSP_ISK_E10value_typeEPSL_NS1_7vsmem_tEENKUlT_SJ_SK_SL_E_clISE_PhSF_SF_EESI_SY_SJ_SK_SL_EUlSY_E_NS1_11comp_targetILNS1_3genE0ELNS1_11target_archE4294967295ELNS1_3gpuE0ELNS1_3repE0EEENS1_48merge_mergepath_partition_config_static_selectorELNS0_4arch9wavefront6targetE0EEEvSK_.num_vgpr, 0
	.set _ZN7rocprim17ROCPRIM_400000_NS6detail17trampoline_kernelINS0_14default_configENS1_38merge_sort_block_merge_config_selectorIhNS0_10empty_typeEEEZZNS1_27merge_sort_block_merge_implIS3_N6thrust23THRUST_200600_302600_NS6detail15normal_iteratorINS9_10device_ptrIhEEEEPS5_m11less_div_10IhEEE10hipError_tT0_T1_T2_jT3_P12ihipStream_tbPNSt15iterator_traitsISJ_E10value_typeEPNSP_ISK_E10value_typeEPSL_NS1_7vsmem_tEENKUlT_SJ_SK_SL_E_clISE_PhSF_SF_EESI_SY_SJ_SK_SL_EUlSY_E_NS1_11comp_targetILNS1_3genE0ELNS1_11target_archE4294967295ELNS1_3gpuE0ELNS1_3repE0EEENS1_48merge_mergepath_partition_config_static_selectorELNS0_4arch9wavefront6targetE0EEEvSK_.num_agpr, 0
	.set _ZN7rocprim17ROCPRIM_400000_NS6detail17trampoline_kernelINS0_14default_configENS1_38merge_sort_block_merge_config_selectorIhNS0_10empty_typeEEEZZNS1_27merge_sort_block_merge_implIS3_N6thrust23THRUST_200600_302600_NS6detail15normal_iteratorINS9_10device_ptrIhEEEEPS5_m11less_div_10IhEEE10hipError_tT0_T1_T2_jT3_P12ihipStream_tbPNSt15iterator_traitsISJ_E10value_typeEPNSP_ISK_E10value_typeEPSL_NS1_7vsmem_tEENKUlT_SJ_SK_SL_E_clISE_PhSF_SF_EESI_SY_SJ_SK_SL_EUlSY_E_NS1_11comp_targetILNS1_3genE0ELNS1_11target_archE4294967295ELNS1_3gpuE0ELNS1_3repE0EEENS1_48merge_mergepath_partition_config_static_selectorELNS0_4arch9wavefront6targetE0EEEvSK_.numbered_sgpr, 0
	.set _ZN7rocprim17ROCPRIM_400000_NS6detail17trampoline_kernelINS0_14default_configENS1_38merge_sort_block_merge_config_selectorIhNS0_10empty_typeEEEZZNS1_27merge_sort_block_merge_implIS3_N6thrust23THRUST_200600_302600_NS6detail15normal_iteratorINS9_10device_ptrIhEEEEPS5_m11less_div_10IhEEE10hipError_tT0_T1_T2_jT3_P12ihipStream_tbPNSt15iterator_traitsISJ_E10value_typeEPNSP_ISK_E10value_typeEPSL_NS1_7vsmem_tEENKUlT_SJ_SK_SL_E_clISE_PhSF_SF_EESI_SY_SJ_SK_SL_EUlSY_E_NS1_11comp_targetILNS1_3genE0ELNS1_11target_archE4294967295ELNS1_3gpuE0ELNS1_3repE0EEENS1_48merge_mergepath_partition_config_static_selectorELNS0_4arch9wavefront6targetE0EEEvSK_.num_named_barrier, 0
	.set _ZN7rocprim17ROCPRIM_400000_NS6detail17trampoline_kernelINS0_14default_configENS1_38merge_sort_block_merge_config_selectorIhNS0_10empty_typeEEEZZNS1_27merge_sort_block_merge_implIS3_N6thrust23THRUST_200600_302600_NS6detail15normal_iteratorINS9_10device_ptrIhEEEEPS5_m11less_div_10IhEEE10hipError_tT0_T1_T2_jT3_P12ihipStream_tbPNSt15iterator_traitsISJ_E10value_typeEPNSP_ISK_E10value_typeEPSL_NS1_7vsmem_tEENKUlT_SJ_SK_SL_E_clISE_PhSF_SF_EESI_SY_SJ_SK_SL_EUlSY_E_NS1_11comp_targetILNS1_3genE0ELNS1_11target_archE4294967295ELNS1_3gpuE0ELNS1_3repE0EEENS1_48merge_mergepath_partition_config_static_selectorELNS0_4arch9wavefront6targetE0EEEvSK_.private_seg_size, 0
	.set _ZN7rocprim17ROCPRIM_400000_NS6detail17trampoline_kernelINS0_14default_configENS1_38merge_sort_block_merge_config_selectorIhNS0_10empty_typeEEEZZNS1_27merge_sort_block_merge_implIS3_N6thrust23THRUST_200600_302600_NS6detail15normal_iteratorINS9_10device_ptrIhEEEEPS5_m11less_div_10IhEEE10hipError_tT0_T1_T2_jT3_P12ihipStream_tbPNSt15iterator_traitsISJ_E10value_typeEPNSP_ISK_E10value_typeEPSL_NS1_7vsmem_tEENKUlT_SJ_SK_SL_E_clISE_PhSF_SF_EESI_SY_SJ_SK_SL_EUlSY_E_NS1_11comp_targetILNS1_3genE0ELNS1_11target_archE4294967295ELNS1_3gpuE0ELNS1_3repE0EEENS1_48merge_mergepath_partition_config_static_selectorELNS0_4arch9wavefront6targetE0EEEvSK_.uses_vcc, 0
	.set _ZN7rocprim17ROCPRIM_400000_NS6detail17trampoline_kernelINS0_14default_configENS1_38merge_sort_block_merge_config_selectorIhNS0_10empty_typeEEEZZNS1_27merge_sort_block_merge_implIS3_N6thrust23THRUST_200600_302600_NS6detail15normal_iteratorINS9_10device_ptrIhEEEEPS5_m11less_div_10IhEEE10hipError_tT0_T1_T2_jT3_P12ihipStream_tbPNSt15iterator_traitsISJ_E10value_typeEPNSP_ISK_E10value_typeEPSL_NS1_7vsmem_tEENKUlT_SJ_SK_SL_E_clISE_PhSF_SF_EESI_SY_SJ_SK_SL_EUlSY_E_NS1_11comp_targetILNS1_3genE0ELNS1_11target_archE4294967295ELNS1_3gpuE0ELNS1_3repE0EEENS1_48merge_mergepath_partition_config_static_selectorELNS0_4arch9wavefront6targetE0EEEvSK_.uses_flat_scratch, 0
	.set _ZN7rocprim17ROCPRIM_400000_NS6detail17trampoline_kernelINS0_14default_configENS1_38merge_sort_block_merge_config_selectorIhNS0_10empty_typeEEEZZNS1_27merge_sort_block_merge_implIS3_N6thrust23THRUST_200600_302600_NS6detail15normal_iteratorINS9_10device_ptrIhEEEEPS5_m11less_div_10IhEEE10hipError_tT0_T1_T2_jT3_P12ihipStream_tbPNSt15iterator_traitsISJ_E10value_typeEPNSP_ISK_E10value_typeEPSL_NS1_7vsmem_tEENKUlT_SJ_SK_SL_E_clISE_PhSF_SF_EESI_SY_SJ_SK_SL_EUlSY_E_NS1_11comp_targetILNS1_3genE0ELNS1_11target_archE4294967295ELNS1_3gpuE0ELNS1_3repE0EEENS1_48merge_mergepath_partition_config_static_selectorELNS0_4arch9wavefront6targetE0EEEvSK_.has_dyn_sized_stack, 0
	.set _ZN7rocprim17ROCPRIM_400000_NS6detail17trampoline_kernelINS0_14default_configENS1_38merge_sort_block_merge_config_selectorIhNS0_10empty_typeEEEZZNS1_27merge_sort_block_merge_implIS3_N6thrust23THRUST_200600_302600_NS6detail15normal_iteratorINS9_10device_ptrIhEEEEPS5_m11less_div_10IhEEE10hipError_tT0_T1_T2_jT3_P12ihipStream_tbPNSt15iterator_traitsISJ_E10value_typeEPNSP_ISK_E10value_typeEPSL_NS1_7vsmem_tEENKUlT_SJ_SK_SL_E_clISE_PhSF_SF_EESI_SY_SJ_SK_SL_EUlSY_E_NS1_11comp_targetILNS1_3genE0ELNS1_11target_archE4294967295ELNS1_3gpuE0ELNS1_3repE0EEENS1_48merge_mergepath_partition_config_static_selectorELNS0_4arch9wavefront6targetE0EEEvSK_.has_recursion, 0
	.set _ZN7rocprim17ROCPRIM_400000_NS6detail17trampoline_kernelINS0_14default_configENS1_38merge_sort_block_merge_config_selectorIhNS0_10empty_typeEEEZZNS1_27merge_sort_block_merge_implIS3_N6thrust23THRUST_200600_302600_NS6detail15normal_iteratorINS9_10device_ptrIhEEEEPS5_m11less_div_10IhEEE10hipError_tT0_T1_T2_jT3_P12ihipStream_tbPNSt15iterator_traitsISJ_E10value_typeEPNSP_ISK_E10value_typeEPSL_NS1_7vsmem_tEENKUlT_SJ_SK_SL_E_clISE_PhSF_SF_EESI_SY_SJ_SK_SL_EUlSY_E_NS1_11comp_targetILNS1_3genE0ELNS1_11target_archE4294967295ELNS1_3gpuE0ELNS1_3repE0EEENS1_48merge_mergepath_partition_config_static_selectorELNS0_4arch9wavefront6targetE0EEEvSK_.has_indirect_call, 0
	.section	.AMDGPU.csdata,"",@progbits
; Kernel info:
; codeLenInByte = 0
; TotalNumSgprs: 0
; NumVgprs: 0
; ScratchSize: 0
; MemoryBound: 0
; FloatMode: 240
; IeeeMode: 1
; LDSByteSize: 0 bytes/workgroup (compile time only)
; SGPRBlocks: 0
; VGPRBlocks: 0
; NumSGPRsForWavesPerEU: 1
; NumVGPRsForWavesPerEU: 1
; Occupancy: 16
; WaveLimiterHint : 0
; COMPUTE_PGM_RSRC2:SCRATCH_EN: 0
; COMPUTE_PGM_RSRC2:USER_SGPR: 6
; COMPUTE_PGM_RSRC2:TRAP_HANDLER: 0
; COMPUTE_PGM_RSRC2:TGID_X_EN: 1
; COMPUTE_PGM_RSRC2:TGID_Y_EN: 0
; COMPUTE_PGM_RSRC2:TGID_Z_EN: 0
; COMPUTE_PGM_RSRC2:TIDIG_COMP_CNT: 0
	.section	.text._ZN7rocprim17ROCPRIM_400000_NS6detail17trampoline_kernelINS0_14default_configENS1_38merge_sort_block_merge_config_selectorIhNS0_10empty_typeEEEZZNS1_27merge_sort_block_merge_implIS3_N6thrust23THRUST_200600_302600_NS6detail15normal_iteratorINS9_10device_ptrIhEEEEPS5_m11less_div_10IhEEE10hipError_tT0_T1_T2_jT3_P12ihipStream_tbPNSt15iterator_traitsISJ_E10value_typeEPNSP_ISK_E10value_typeEPSL_NS1_7vsmem_tEENKUlT_SJ_SK_SL_E_clISE_PhSF_SF_EESI_SY_SJ_SK_SL_EUlSY_E_NS1_11comp_targetILNS1_3genE10ELNS1_11target_archE1201ELNS1_3gpuE5ELNS1_3repE0EEENS1_48merge_mergepath_partition_config_static_selectorELNS0_4arch9wavefront6targetE0EEEvSK_,"axG",@progbits,_ZN7rocprim17ROCPRIM_400000_NS6detail17trampoline_kernelINS0_14default_configENS1_38merge_sort_block_merge_config_selectorIhNS0_10empty_typeEEEZZNS1_27merge_sort_block_merge_implIS3_N6thrust23THRUST_200600_302600_NS6detail15normal_iteratorINS9_10device_ptrIhEEEEPS5_m11less_div_10IhEEE10hipError_tT0_T1_T2_jT3_P12ihipStream_tbPNSt15iterator_traitsISJ_E10value_typeEPNSP_ISK_E10value_typeEPSL_NS1_7vsmem_tEENKUlT_SJ_SK_SL_E_clISE_PhSF_SF_EESI_SY_SJ_SK_SL_EUlSY_E_NS1_11comp_targetILNS1_3genE10ELNS1_11target_archE1201ELNS1_3gpuE5ELNS1_3repE0EEENS1_48merge_mergepath_partition_config_static_selectorELNS0_4arch9wavefront6targetE0EEEvSK_,comdat
	.protected	_ZN7rocprim17ROCPRIM_400000_NS6detail17trampoline_kernelINS0_14default_configENS1_38merge_sort_block_merge_config_selectorIhNS0_10empty_typeEEEZZNS1_27merge_sort_block_merge_implIS3_N6thrust23THRUST_200600_302600_NS6detail15normal_iteratorINS9_10device_ptrIhEEEEPS5_m11less_div_10IhEEE10hipError_tT0_T1_T2_jT3_P12ihipStream_tbPNSt15iterator_traitsISJ_E10value_typeEPNSP_ISK_E10value_typeEPSL_NS1_7vsmem_tEENKUlT_SJ_SK_SL_E_clISE_PhSF_SF_EESI_SY_SJ_SK_SL_EUlSY_E_NS1_11comp_targetILNS1_3genE10ELNS1_11target_archE1201ELNS1_3gpuE5ELNS1_3repE0EEENS1_48merge_mergepath_partition_config_static_selectorELNS0_4arch9wavefront6targetE0EEEvSK_ ; -- Begin function _ZN7rocprim17ROCPRIM_400000_NS6detail17trampoline_kernelINS0_14default_configENS1_38merge_sort_block_merge_config_selectorIhNS0_10empty_typeEEEZZNS1_27merge_sort_block_merge_implIS3_N6thrust23THRUST_200600_302600_NS6detail15normal_iteratorINS9_10device_ptrIhEEEEPS5_m11less_div_10IhEEE10hipError_tT0_T1_T2_jT3_P12ihipStream_tbPNSt15iterator_traitsISJ_E10value_typeEPNSP_ISK_E10value_typeEPSL_NS1_7vsmem_tEENKUlT_SJ_SK_SL_E_clISE_PhSF_SF_EESI_SY_SJ_SK_SL_EUlSY_E_NS1_11comp_targetILNS1_3genE10ELNS1_11target_archE1201ELNS1_3gpuE5ELNS1_3repE0EEENS1_48merge_mergepath_partition_config_static_selectorELNS0_4arch9wavefront6targetE0EEEvSK_
	.globl	_ZN7rocprim17ROCPRIM_400000_NS6detail17trampoline_kernelINS0_14default_configENS1_38merge_sort_block_merge_config_selectorIhNS0_10empty_typeEEEZZNS1_27merge_sort_block_merge_implIS3_N6thrust23THRUST_200600_302600_NS6detail15normal_iteratorINS9_10device_ptrIhEEEEPS5_m11less_div_10IhEEE10hipError_tT0_T1_T2_jT3_P12ihipStream_tbPNSt15iterator_traitsISJ_E10value_typeEPNSP_ISK_E10value_typeEPSL_NS1_7vsmem_tEENKUlT_SJ_SK_SL_E_clISE_PhSF_SF_EESI_SY_SJ_SK_SL_EUlSY_E_NS1_11comp_targetILNS1_3genE10ELNS1_11target_archE1201ELNS1_3gpuE5ELNS1_3repE0EEENS1_48merge_mergepath_partition_config_static_selectorELNS0_4arch9wavefront6targetE0EEEvSK_
	.p2align	8
	.type	_ZN7rocprim17ROCPRIM_400000_NS6detail17trampoline_kernelINS0_14default_configENS1_38merge_sort_block_merge_config_selectorIhNS0_10empty_typeEEEZZNS1_27merge_sort_block_merge_implIS3_N6thrust23THRUST_200600_302600_NS6detail15normal_iteratorINS9_10device_ptrIhEEEEPS5_m11less_div_10IhEEE10hipError_tT0_T1_T2_jT3_P12ihipStream_tbPNSt15iterator_traitsISJ_E10value_typeEPNSP_ISK_E10value_typeEPSL_NS1_7vsmem_tEENKUlT_SJ_SK_SL_E_clISE_PhSF_SF_EESI_SY_SJ_SK_SL_EUlSY_E_NS1_11comp_targetILNS1_3genE10ELNS1_11target_archE1201ELNS1_3gpuE5ELNS1_3repE0EEENS1_48merge_mergepath_partition_config_static_selectorELNS0_4arch9wavefront6targetE0EEEvSK_,@function
_ZN7rocprim17ROCPRIM_400000_NS6detail17trampoline_kernelINS0_14default_configENS1_38merge_sort_block_merge_config_selectorIhNS0_10empty_typeEEEZZNS1_27merge_sort_block_merge_implIS3_N6thrust23THRUST_200600_302600_NS6detail15normal_iteratorINS9_10device_ptrIhEEEEPS5_m11less_div_10IhEEE10hipError_tT0_T1_T2_jT3_P12ihipStream_tbPNSt15iterator_traitsISJ_E10value_typeEPNSP_ISK_E10value_typeEPSL_NS1_7vsmem_tEENKUlT_SJ_SK_SL_E_clISE_PhSF_SF_EESI_SY_SJ_SK_SL_EUlSY_E_NS1_11comp_targetILNS1_3genE10ELNS1_11target_archE1201ELNS1_3gpuE5ELNS1_3repE0EEENS1_48merge_mergepath_partition_config_static_selectorELNS0_4arch9wavefront6targetE0EEEvSK_: ; @_ZN7rocprim17ROCPRIM_400000_NS6detail17trampoline_kernelINS0_14default_configENS1_38merge_sort_block_merge_config_selectorIhNS0_10empty_typeEEEZZNS1_27merge_sort_block_merge_implIS3_N6thrust23THRUST_200600_302600_NS6detail15normal_iteratorINS9_10device_ptrIhEEEEPS5_m11less_div_10IhEEE10hipError_tT0_T1_T2_jT3_P12ihipStream_tbPNSt15iterator_traitsISJ_E10value_typeEPNSP_ISK_E10value_typeEPSL_NS1_7vsmem_tEENKUlT_SJ_SK_SL_E_clISE_PhSF_SF_EESI_SY_SJ_SK_SL_EUlSY_E_NS1_11comp_targetILNS1_3genE10ELNS1_11target_archE1201ELNS1_3gpuE5ELNS1_3repE0EEENS1_48merge_mergepath_partition_config_static_selectorELNS0_4arch9wavefront6targetE0EEEvSK_
; %bb.0:
	.section	.rodata,"a",@progbits
	.p2align	6, 0x0
	.amdhsa_kernel _ZN7rocprim17ROCPRIM_400000_NS6detail17trampoline_kernelINS0_14default_configENS1_38merge_sort_block_merge_config_selectorIhNS0_10empty_typeEEEZZNS1_27merge_sort_block_merge_implIS3_N6thrust23THRUST_200600_302600_NS6detail15normal_iteratorINS9_10device_ptrIhEEEEPS5_m11less_div_10IhEEE10hipError_tT0_T1_T2_jT3_P12ihipStream_tbPNSt15iterator_traitsISJ_E10value_typeEPNSP_ISK_E10value_typeEPSL_NS1_7vsmem_tEENKUlT_SJ_SK_SL_E_clISE_PhSF_SF_EESI_SY_SJ_SK_SL_EUlSY_E_NS1_11comp_targetILNS1_3genE10ELNS1_11target_archE1201ELNS1_3gpuE5ELNS1_3repE0EEENS1_48merge_mergepath_partition_config_static_selectorELNS0_4arch9wavefront6targetE0EEEvSK_
		.amdhsa_group_segment_fixed_size 0
		.amdhsa_private_segment_fixed_size 0
		.amdhsa_kernarg_size 48
		.amdhsa_user_sgpr_count 6
		.amdhsa_user_sgpr_private_segment_buffer 1
		.amdhsa_user_sgpr_dispatch_ptr 0
		.amdhsa_user_sgpr_queue_ptr 0
		.amdhsa_user_sgpr_kernarg_segment_ptr 1
		.amdhsa_user_sgpr_dispatch_id 0
		.amdhsa_user_sgpr_flat_scratch_init 0
		.amdhsa_user_sgpr_private_segment_size 0
		.amdhsa_wavefront_size32 1
		.amdhsa_uses_dynamic_stack 0
		.amdhsa_system_sgpr_private_segment_wavefront_offset 0
		.amdhsa_system_sgpr_workgroup_id_x 1
		.amdhsa_system_sgpr_workgroup_id_y 0
		.amdhsa_system_sgpr_workgroup_id_z 0
		.amdhsa_system_sgpr_workgroup_info 0
		.amdhsa_system_vgpr_workitem_id 0
		.amdhsa_next_free_vgpr 1
		.amdhsa_next_free_sgpr 1
		.amdhsa_reserve_vcc 0
		.amdhsa_reserve_flat_scratch 0
		.amdhsa_float_round_mode_32 0
		.amdhsa_float_round_mode_16_64 0
		.amdhsa_float_denorm_mode_32 3
		.amdhsa_float_denorm_mode_16_64 3
		.amdhsa_dx10_clamp 1
		.amdhsa_ieee_mode 1
		.amdhsa_fp16_overflow 0
		.amdhsa_workgroup_processor_mode 1
		.amdhsa_memory_ordered 1
		.amdhsa_forward_progress 1
		.amdhsa_shared_vgpr_count 0
		.amdhsa_exception_fp_ieee_invalid_op 0
		.amdhsa_exception_fp_denorm_src 0
		.amdhsa_exception_fp_ieee_div_zero 0
		.amdhsa_exception_fp_ieee_overflow 0
		.amdhsa_exception_fp_ieee_underflow 0
		.amdhsa_exception_fp_ieee_inexact 0
		.amdhsa_exception_int_div_zero 0
	.end_amdhsa_kernel
	.section	.text._ZN7rocprim17ROCPRIM_400000_NS6detail17trampoline_kernelINS0_14default_configENS1_38merge_sort_block_merge_config_selectorIhNS0_10empty_typeEEEZZNS1_27merge_sort_block_merge_implIS3_N6thrust23THRUST_200600_302600_NS6detail15normal_iteratorINS9_10device_ptrIhEEEEPS5_m11less_div_10IhEEE10hipError_tT0_T1_T2_jT3_P12ihipStream_tbPNSt15iterator_traitsISJ_E10value_typeEPNSP_ISK_E10value_typeEPSL_NS1_7vsmem_tEENKUlT_SJ_SK_SL_E_clISE_PhSF_SF_EESI_SY_SJ_SK_SL_EUlSY_E_NS1_11comp_targetILNS1_3genE10ELNS1_11target_archE1201ELNS1_3gpuE5ELNS1_3repE0EEENS1_48merge_mergepath_partition_config_static_selectorELNS0_4arch9wavefront6targetE0EEEvSK_,"axG",@progbits,_ZN7rocprim17ROCPRIM_400000_NS6detail17trampoline_kernelINS0_14default_configENS1_38merge_sort_block_merge_config_selectorIhNS0_10empty_typeEEEZZNS1_27merge_sort_block_merge_implIS3_N6thrust23THRUST_200600_302600_NS6detail15normal_iteratorINS9_10device_ptrIhEEEEPS5_m11less_div_10IhEEE10hipError_tT0_T1_T2_jT3_P12ihipStream_tbPNSt15iterator_traitsISJ_E10value_typeEPNSP_ISK_E10value_typeEPSL_NS1_7vsmem_tEENKUlT_SJ_SK_SL_E_clISE_PhSF_SF_EESI_SY_SJ_SK_SL_EUlSY_E_NS1_11comp_targetILNS1_3genE10ELNS1_11target_archE1201ELNS1_3gpuE5ELNS1_3repE0EEENS1_48merge_mergepath_partition_config_static_selectorELNS0_4arch9wavefront6targetE0EEEvSK_,comdat
.Lfunc_end718:
	.size	_ZN7rocprim17ROCPRIM_400000_NS6detail17trampoline_kernelINS0_14default_configENS1_38merge_sort_block_merge_config_selectorIhNS0_10empty_typeEEEZZNS1_27merge_sort_block_merge_implIS3_N6thrust23THRUST_200600_302600_NS6detail15normal_iteratorINS9_10device_ptrIhEEEEPS5_m11less_div_10IhEEE10hipError_tT0_T1_T2_jT3_P12ihipStream_tbPNSt15iterator_traitsISJ_E10value_typeEPNSP_ISK_E10value_typeEPSL_NS1_7vsmem_tEENKUlT_SJ_SK_SL_E_clISE_PhSF_SF_EESI_SY_SJ_SK_SL_EUlSY_E_NS1_11comp_targetILNS1_3genE10ELNS1_11target_archE1201ELNS1_3gpuE5ELNS1_3repE0EEENS1_48merge_mergepath_partition_config_static_selectorELNS0_4arch9wavefront6targetE0EEEvSK_, .Lfunc_end718-_ZN7rocprim17ROCPRIM_400000_NS6detail17trampoline_kernelINS0_14default_configENS1_38merge_sort_block_merge_config_selectorIhNS0_10empty_typeEEEZZNS1_27merge_sort_block_merge_implIS3_N6thrust23THRUST_200600_302600_NS6detail15normal_iteratorINS9_10device_ptrIhEEEEPS5_m11less_div_10IhEEE10hipError_tT0_T1_T2_jT3_P12ihipStream_tbPNSt15iterator_traitsISJ_E10value_typeEPNSP_ISK_E10value_typeEPSL_NS1_7vsmem_tEENKUlT_SJ_SK_SL_E_clISE_PhSF_SF_EESI_SY_SJ_SK_SL_EUlSY_E_NS1_11comp_targetILNS1_3genE10ELNS1_11target_archE1201ELNS1_3gpuE5ELNS1_3repE0EEENS1_48merge_mergepath_partition_config_static_selectorELNS0_4arch9wavefront6targetE0EEEvSK_
                                        ; -- End function
	.set _ZN7rocprim17ROCPRIM_400000_NS6detail17trampoline_kernelINS0_14default_configENS1_38merge_sort_block_merge_config_selectorIhNS0_10empty_typeEEEZZNS1_27merge_sort_block_merge_implIS3_N6thrust23THRUST_200600_302600_NS6detail15normal_iteratorINS9_10device_ptrIhEEEEPS5_m11less_div_10IhEEE10hipError_tT0_T1_T2_jT3_P12ihipStream_tbPNSt15iterator_traitsISJ_E10value_typeEPNSP_ISK_E10value_typeEPSL_NS1_7vsmem_tEENKUlT_SJ_SK_SL_E_clISE_PhSF_SF_EESI_SY_SJ_SK_SL_EUlSY_E_NS1_11comp_targetILNS1_3genE10ELNS1_11target_archE1201ELNS1_3gpuE5ELNS1_3repE0EEENS1_48merge_mergepath_partition_config_static_selectorELNS0_4arch9wavefront6targetE0EEEvSK_.num_vgpr, 0
	.set _ZN7rocprim17ROCPRIM_400000_NS6detail17trampoline_kernelINS0_14default_configENS1_38merge_sort_block_merge_config_selectorIhNS0_10empty_typeEEEZZNS1_27merge_sort_block_merge_implIS3_N6thrust23THRUST_200600_302600_NS6detail15normal_iteratorINS9_10device_ptrIhEEEEPS5_m11less_div_10IhEEE10hipError_tT0_T1_T2_jT3_P12ihipStream_tbPNSt15iterator_traitsISJ_E10value_typeEPNSP_ISK_E10value_typeEPSL_NS1_7vsmem_tEENKUlT_SJ_SK_SL_E_clISE_PhSF_SF_EESI_SY_SJ_SK_SL_EUlSY_E_NS1_11comp_targetILNS1_3genE10ELNS1_11target_archE1201ELNS1_3gpuE5ELNS1_3repE0EEENS1_48merge_mergepath_partition_config_static_selectorELNS0_4arch9wavefront6targetE0EEEvSK_.num_agpr, 0
	.set _ZN7rocprim17ROCPRIM_400000_NS6detail17trampoline_kernelINS0_14default_configENS1_38merge_sort_block_merge_config_selectorIhNS0_10empty_typeEEEZZNS1_27merge_sort_block_merge_implIS3_N6thrust23THRUST_200600_302600_NS6detail15normal_iteratorINS9_10device_ptrIhEEEEPS5_m11less_div_10IhEEE10hipError_tT0_T1_T2_jT3_P12ihipStream_tbPNSt15iterator_traitsISJ_E10value_typeEPNSP_ISK_E10value_typeEPSL_NS1_7vsmem_tEENKUlT_SJ_SK_SL_E_clISE_PhSF_SF_EESI_SY_SJ_SK_SL_EUlSY_E_NS1_11comp_targetILNS1_3genE10ELNS1_11target_archE1201ELNS1_3gpuE5ELNS1_3repE0EEENS1_48merge_mergepath_partition_config_static_selectorELNS0_4arch9wavefront6targetE0EEEvSK_.numbered_sgpr, 0
	.set _ZN7rocprim17ROCPRIM_400000_NS6detail17trampoline_kernelINS0_14default_configENS1_38merge_sort_block_merge_config_selectorIhNS0_10empty_typeEEEZZNS1_27merge_sort_block_merge_implIS3_N6thrust23THRUST_200600_302600_NS6detail15normal_iteratorINS9_10device_ptrIhEEEEPS5_m11less_div_10IhEEE10hipError_tT0_T1_T2_jT3_P12ihipStream_tbPNSt15iterator_traitsISJ_E10value_typeEPNSP_ISK_E10value_typeEPSL_NS1_7vsmem_tEENKUlT_SJ_SK_SL_E_clISE_PhSF_SF_EESI_SY_SJ_SK_SL_EUlSY_E_NS1_11comp_targetILNS1_3genE10ELNS1_11target_archE1201ELNS1_3gpuE5ELNS1_3repE0EEENS1_48merge_mergepath_partition_config_static_selectorELNS0_4arch9wavefront6targetE0EEEvSK_.num_named_barrier, 0
	.set _ZN7rocprim17ROCPRIM_400000_NS6detail17trampoline_kernelINS0_14default_configENS1_38merge_sort_block_merge_config_selectorIhNS0_10empty_typeEEEZZNS1_27merge_sort_block_merge_implIS3_N6thrust23THRUST_200600_302600_NS6detail15normal_iteratorINS9_10device_ptrIhEEEEPS5_m11less_div_10IhEEE10hipError_tT0_T1_T2_jT3_P12ihipStream_tbPNSt15iterator_traitsISJ_E10value_typeEPNSP_ISK_E10value_typeEPSL_NS1_7vsmem_tEENKUlT_SJ_SK_SL_E_clISE_PhSF_SF_EESI_SY_SJ_SK_SL_EUlSY_E_NS1_11comp_targetILNS1_3genE10ELNS1_11target_archE1201ELNS1_3gpuE5ELNS1_3repE0EEENS1_48merge_mergepath_partition_config_static_selectorELNS0_4arch9wavefront6targetE0EEEvSK_.private_seg_size, 0
	.set _ZN7rocprim17ROCPRIM_400000_NS6detail17trampoline_kernelINS0_14default_configENS1_38merge_sort_block_merge_config_selectorIhNS0_10empty_typeEEEZZNS1_27merge_sort_block_merge_implIS3_N6thrust23THRUST_200600_302600_NS6detail15normal_iteratorINS9_10device_ptrIhEEEEPS5_m11less_div_10IhEEE10hipError_tT0_T1_T2_jT3_P12ihipStream_tbPNSt15iterator_traitsISJ_E10value_typeEPNSP_ISK_E10value_typeEPSL_NS1_7vsmem_tEENKUlT_SJ_SK_SL_E_clISE_PhSF_SF_EESI_SY_SJ_SK_SL_EUlSY_E_NS1_11comp_targetILNS1_3genE10ELNS1_11target_archE1201ELNS1_3gpuE5ELNS1_3repE0EEENS1_48merge_mergepath_partition_config_static_selectorELNS0_4arch9wavefront6targetE0EEEvSK_.uses_vcc, 0
	.set _ZN7rocprim17ROCPRIM_400000_NS6detail17trampoline_kernelINS0_14default_configENS1_38merge_sort_block_merge_config_selectorIhNS0_10empty_typeEEEZZNS1_27merge_sort_block_merge_implIS3_N6thrust23THRUST_200600_302600_NS6detail15normal_iteratorINS9_10device_ptrIhEEEEPS5_m11less_div_10IhEEE10hipError_tT0_T1_T2_jT3_P12ihipStream_tbPNSt15iterator_traitsISJ_E10value_typeEPNSP_ISK_E10value_typeEPSL_NS1_7vsmem_tEENKUlT_SJ_SK_SL_E_clISE_PhSF_SF_EESI_SY_SJ_SK_SL_EUlSY_E_NS1_11comp_targetILNS1_3genE10ELNS1_11target_archE1201ELNS1_3gpuE5ELNS1_3repE0EEENS1_48merge_mergepath_partition_config_static_selectorELNS0_4arch9wavefront6targetE0EEEvSK_.uses_flat_scratch, 0
	.set _ZN7rocprim17ROCPRIM_400000_NS6detail17trampoline_kernelINS0_14default_configENS1_38merge_sort_block_merge_config_selectorIhNS0_10empty_typeEEEZZNS1_27merge_sort_block_merge_implIS3_N6thrust23THRUST_200600_302600_NS6detail15normal_iteratorINS9_10device_ptrIhEEEEPS5_m11less_div_10IhEEE10hipError_tT0_T1_T2_jT3_P12ihipStream_tbPNSt15iterator_traitsISJ_E10value_typeEPNSP_ISK_E10value_typeEPSL_NS1_7vsmem_tEENKUlT_SJ_SK_SL_E_clISE_PhSF_SF_EESI_SY_SJ_SK_SL_EUlSY_E_NS1_11comp_targetILNS1_3genE10ELNS1_11target_archE1201ELNS1_3gpuE5ELNS1_3repE0EEENS1_48merge_mergepath_partition_config_static_selectorELNS0_4arch9wavefront6targetE0EEEvSK_.has_dyn_sized_stack, 0
	.set _ZN7rocprim17ROCPRIM_400000_NS6detail17trampoline_kernelINS0_14default_configENS1_38merge_sort_block_merge_config_selectorIhNS0_10empty_typeEEEZZNS1_27merge_sort_block_merge_implIS3_N6thrust23THRUST_200600_302600_NS6detail15normal_iteratorINS9_10device_ptrIhEEEEPS5_m11less_div_10IhEEE10hipError_tT0_T1_T2_jT3_P12ihipStream_tbPNSt15iterator_traitsISJ_E10value_typeEPNSP_ISK_E10value_typeEPSL_NS1_7vsmem_tEENKUlT_SJ_SK_SL_E_clISE_PhSF_SF_EESI_SY_SJ_SK_SL_EUlSY_E_NS1_11comp_targetILNS1_3genE10ELNS1_11target_archE1201ELNS1_3gpuE5ELNS1_3repE0EEENS1_48merge_mergepath_partition_config_static_selectorELNS0_4arch9wavefront6targetE0EEEvSK_.has_recursion, 0
	.set _ZN7rocprim17ROCPRIM_400000_NS6detail17trampoline_kernelINS0_14default_configENS1_38merge_sort_block_merge_config_selectorIhNS0_10empty_typeEEEZZNS1_27merge_sort_block_merge_implIS3_N6thrust23THRUST_200600_302600_NS6detail15normal_iteratorINS9_10device_ptrIhEEEEPS5_m11less_div_10IhEEE10hipError_tT0_T1_T2_jT3_P12ihipStream_tbPNSt15iterator_traitsISJ_E10value_typeEPNSP_ISK_E10value_typeEPSL_NS1_7vsmem_tEENKUlT_SJ_SK_SL_E_clISE_PhSF_SF_EESI_SY_SJ_SK_SL_EUlSY_E_NS1_11comp_targetILNS1_3genE10ELNS1_11target_archE1201ELNS1_3gpuE5ELNS1_3repE0EEENS1_48merge_mergepath_partition_config_static_selectorELNS0_4arch9wavefront6targetE0EEEvSK_.has_indirect_call, 0
	.section	.AMDGPU.csdata,"",@progbits
; Kernel info:
; codeLenInByte = 0
; TotalNumSgprs: 0
; NumVgprs: 0
; ScratchSize: 0
; MemoryBound: 0
; FloatMode: 240
; IeeeMode: 1
; LDSByteSize: 0 bytes/workgroup (compile time only)
; SGPRBlocks: 0
; VGPRBlocks: 0
; NumSGPRsForWavesPerEU: 1
; NumVGPRsForWavesPerEU: 1
; Occupancy: 16
; WaveLimiterHint : 0
; COMPUTE_PGM_RSRC2:SCRATCH_EN: 0
; COMPUTE_PGM_RSRC2:USER_SGPR: 6
; COMPUTE_PGM_RSRC2:TRAP_HANDLER: 0
; COMPUTE_PGM_RSRC2:TGID_X_EN: 1
; COMPUTE_PGM_RSRC2:TGID_Y_EN: 0
; COMPUTE_PGM_RSRC2:TGID_Z_EN: 0
; COMPUTE_PGM_RSRC2:TIDIG_COMP_CNT: 0
	.section	.text._ZN7rocprim17ROCPRIM_400000_NS6detail17trampoline_kernelINS0_14default_configENS1_38merge_sort_block_merge_config_selectorIhNS0_10empty_typeEEEZZNS1_27merge_sort_block_merge_implIS3_N6thrust23THRUST_200600_302600_NS6detail15normal_iteratorINS9_10device_ptrIhEEEEPS5_m11less_div_10IhEEE10hipError_tT0_T1_T2_jT3_P12ihipStream_tbPNSt15iterator_traitsISJ_E10value_typeEPNSP_ISK_E10value_typeEPSL_NS1_7vsmem_tEENKUlT_SJ_SK_SL_E_clISE_PhSF_SF_EESI_SY_SJ_SK_SL_EUlSY_E_NS1_11comp_targetILNS1_3genE5ELNS1_11target_archE942ELNS1_3gpuE9ELNS1_3repE0EEENS1_48merge_mergepath_partition_config_static_selectorELNS0_4arch9wavefront6targetE0EEEvSK_,"axG",@progbits,_ZN7rocprim17ROCPRIM_400000_NS6detail17trampoline_kernelINS0_14default_configENS1_38merge_sort_block_merge_config_selectorIhNS0_10empty_typeEEEZZNS1_27merge_sort_block_merge_implIS3_N6thrust23THRUST_200600_302600_NS6detail15normal_iteratorINS9_10device_ptrIhEEEEPS5_m11less_div_10IhEEE10hipError_tT0_T1_T2_jT3_P12ihipStream_tbPNSt15iterator_traitsISJ_E10value_typeEPNSP_ISK_E10value_typeEPSL_NS1_7vsmem_tEENKUlT_SJ_SK_SL_E_clISE_PhSF_SF_EESI_SY_SJ_SK_SL_EUlSY_E_NS1_11comp_targetILNS1_3genE5ELNS1_11target_archE942ELNS1_3gpuE9ELNS1_3repE0EEENS1_48merge_mergepath_partition_config_static_selectorELNS0_4arch9wavefront6targetE0EEEvSK_,comdat
	.protected	_ZN7rocprim17ROCPRIM_400000_NS6detail17trampoline_kernelINS0_14default_configENS1_38merge_sort_block_merge_config_selectorIhNS0_10empty_typeEEEZZNS1_27merge_sort_block_merge_implIS3_N6thrust23THRUST_200600_302600_NS6detail15normal_iteratorINS9_10device_ptrIhEEEEPS5_m11less_div_10IhEEE10hipError_tT0_T1_T2_jT3_P12ihipStream_tbPNSt15iterator_traitsISJ_E10value_typeEPNSP_ISK_E10value_typeEPSL_NS1_7vsmem_tEENKUlT_SJ_SK_SL_E_clISE_PhSF_SF_EESI_SY_SJ_SK_SL_EUlSY_E_NS1_11comp_targetILNS1_3genE5ELNS1_11target_archE942ELNS1_3gpuE9ELNS1_3repE0EEENS1_48merge_mergepath_partition_config_static_selectorELNS0_4arch9wavefront6targetE0EEEvSK_ ; -- Begin function _ZN7rocprim17ROCPRIM_400000_NS6detail17trampoline_kernelINS0_14default_configENS1_38merge_sort_block_merge_config_selectorIhNS0_10empty_typeEEEZZNS1_27merge_sort_block_merge_implIS3_N6thrust23THRUST_200600_302600_NS6detail15normal_iteratorINS9_10device_ptrIhEEEEPS5_m11less_div_10IhEEE10hipError_tT0_T1_T2_jT3_P12ihipStream_tbPNSt15iterator_traitsISJ_E10value_typeEPNSP_ISK_E10value_typeEPSL_NS1_7vsmem_tEENKUlT_SJ_SK_SL_E_clISE_PhSF_SF_EESI_SY_SJ_SK_SL_EUlSY_E_NS1_11comp_targetILNS1_3genE5ELNS1_11target_archE942ELNS1_3gpuE9ELNS1_3repE0EEENS1_48merge_mergepath_partition_config_static_selectorELNS0_4arch9wavefront6targetE0EEEvSK_
	.globl	_ZN7rocprim17ROCPRIM_400000_NS6detail17trampoline_kernelINS0_14default_configENS1_38merge_sort_block_merge_config_selectorIhNS0_10empty_typeEEEZZNS1_27merge_sort_block_merge_implIS3_N6thrust23THRUST_200600_302600_NS6detail15normal_iteratorINS9_10device_ptrIhEEEEPS5_m11less_div_10IhEEE10hipError_tT0_T1_T2_jT3_P12ihipStream_tbPNSt15iterator_traitsISJ_E10value_typeEPNSP_ISK_E10value_typeEPSL_NS1_7vsmem_tEENKUlT_SJ_SK_SL_E_clISE_PhSF_SF_EESI_SY_SJ_SK_SL_EUlSY_E_NS1_11comp_targetILNS1_3genE5ELNS1_11target_archE942ELNS1_3gpuE9ELNS1_3repE0EEENS1_48merge_mergepath_partition_config_static_selectorELNS0_4arch9wavefront6targetE0EEEvSK_
	.p2align	8
	.type	_ZN7rocprim17ROCPRIM_400000_NS6detail17trampoline_kernelINS0_14default_configENS1_38merge_sort_block_merge_config_selectorIhNS0_10empty_typeEEEZZNS1_27merge_sort_block_merge_implIS3_N6thrust23THRUST_200600_302600_NS6detail15normal_iteratorINS9_10device_ptrIhEEEEPS5_m11less_div_10IhEEE10hipError_tT0_T1_T2_jT3_P12ihipStream_tbPNSt15iterator_traitsISJ_E10value_typeEPNSP_ISK_E10value_typeEPSL_NS1_7vsmem_tEENKUlT_SJ_SK_SL_E_clISE_PhSF_SF_EESI_SY_SJ_SK_SL_EUlSY_E_NS1_11comp_targetILNS1_3genE5ELNS1_11target_archE942ELNS1_3gpuE9ELNS1_3repE0EEENS1_48merge_mergepath_partition_config_static_selectorELNS0_4arch9wavefront6targetE0EEEvSK_,@function
_ZN7rocprim17ROCPRIM_400000_NS6detail17trampoline_kernelINS0_14default_configENS1_38merge_sort_block_merge_config_selectorIhNS0_10empty_typeEEEZZNS1_27merge_sort_block_merge_implIS3_N6thrust23THRUST_200600_302600_NS6detail15normal_iteratorINS9_10device_ptrIhEEEEPS5_m11less_div_10IhEEE10hipError_tT0_T1_T2_jT3_P12ihipStream_tbPNSt15iterator_traitsISJ_E10value_typeEPNSP_ISK_E10value_typeEPSL_NS1_7vsmem_tEENKUlT_SJ_SK_SL_E_clISE_PhSF_SF_EESI_SY_SJ_SK_SL_EUlSY_E_NS1_11comp_targetILNS1_3genE5ELNS1_11target_archE942ELNS1_3gpuE9ELNS1_3repE0EEENS1_48merge_mergepath_partition_config_static_selectorELNS0_4arch9wavefront6targetE0EEEvSK_: ; @_ZN7rocprim17ROCPRIM_400000_NS6detail17trampoline_kernelINS0_14default_configENS1_38merge_sort_block_merge_config_selectorIhNS0_10empty_typeEEEZZNS1_27merge_sort_block_merge_implIS3_N6thrust23THRUST_200600_302600_NS6detail15normal_iteratorINS9_10device_ptrIhEEEEPS5_m11less_div_10IhEEE10hipError_tT0_T1_T2_jT3_P12ihipStream_tbPNSt15iterator_traitsISJ_E10value_typeEPNSP_ISK_E10value_typeEPSL_NS1_7vsmem_tEENKUlT_SJ_SK_SL_E_clISE_PhSF_SF_EESI_SY_SJ_SK_SL_EUlSY_E_NS1_11comp_targetILNS1_3genE5ELNS1_11target_archE942ELNS1_3gpuE9ELNS1_3repE0EEENS1_48merge_mergepath_partition_config_static_selectorELNS0_4arch9wavefront6targetE0EEEvSK_
; %bb.0:
	.section	.rodata,"a",@progbits
	.p2align	6, 0x0
	.amdhsa_kernel _ZN7rocprim17ROCPRIM_400000_NS6detail17trampoline_kernelINS0_14default_configENS1_38merge_sort_block_merge_config_selectorIhNS0_10empty_typeEEEZZNS1_27merge_sort_block_merge_implIS3_N6thrust23THRUST_200600_302600_NS6detail15normal_iteratorINS9_10device_ptrIhEEEEPS5_m11less_div_10IhEEE10hipError_tT0_T1_T2_jT3_P12ihipStream_tbPNSt15iterator_traitsISJ_E10value_typeEPNSP_ISK_E10value_typeEPSL_NS1_7vsmem_tEENKUlT_SJ_SK_SL_E_clISE_PhSF_SF_EESI_SY_SJ_SK_SL_EUlSY_E_NS1_11comp_targetILNS1_3genE5ELNS1_11target_archE942ELNS1_3gpuE9ELNS1_3repE0EEENS1_48merge_mergepath_partition_config_static_selectorELNS0_4arch9wavefront6targetE0EEEvSK_
		.amdhsa_group_segment_fixed_size 0
		.amdhsa_private_segment_fixed_size 0
		.amdhsa_kernarg_size 48
		.amdhsa_user_sgpr_count 6
		.amdhsa_user_sgpr_private_segment_buffer 1
		.amdhsa_user_sgpr_dispatch_ptr 0
		.amdhsa_user_sgpr_queue_ptr 0
		.amdhsa_user_sgpr_kernarg_segment_ptr 1
		.amdhsa_user_sgpr_dispatch_id 0
		.amdhsa_user_sgpr_flat_scratch_init 0
		.amdhsa_user_sgpr_private_segment_size 0
		.amdhsa_wavefront_size32 1
		.amdhsa_uses_dynamic_stack 0
		.amdhsa_system_sgpr_private_segment_wavefront_offset 0
		.amdhsa_system_sgpr_workgroup_id_x 1
		.amdhsa_system_sgpr_workgroup_id_y 0
		.amdhsa_system_sgpr_workgroup_id_z 0
		.amdhsa_system_sgpr_workgroup_info 0
		.amdhsa_system_vgpr_workitem_id 0
		.amdhsa_next_free_vgpr 1
		.amdhsa_next_free_sgpr 1
		.amdhsa_reserve_vcc 0
		.amdhsa_reserve_flat_scratch 0
		.amdhsa_float_round_mode_32 0
		.amdhsa_float_round_mode_16_64 0
		.amdhsa_float_denorm_mode_32 3
		.amdhsa_float_denorm_mode_16_64 3
		.amdhsa_dx10_clamp 1
		.amdhsa_ieee_mode 1
		.amdhsa_fp16_overflow 0
		.amdhsa_workgroup_processor_mode 1
		.amdhsa_memory_ordered 1
		.amdhsa_forward_progress 1
		.amdhsa_shared_vgpr_count 0
		.amdhsa_exception_fp_ieee_invalid_op 0
		.amdhsa_exception_fp_denorm_src 0
		.amdhsa_exception_fp_ieee_div_zero 0
		.amdhsa_exception_fp_ieee_overflow 0
		.amdhsa_exception_fp_ieee_underflow 0
		.amdhsa_exception_fp_ieee_inexact 0
		.amdhsa_exception_int_div_zero 0
	.end_amdhsa_kernel
	.section	.text._ZN7rocprim17ROCPRIM_400000_NS6detail17trampoline_kernelINS0_14default_configENS1_38merge_sort_block_merge_config_selectorIhNS0_10empty_typeEEEZZNS1_27merge_sort_block_merge_implIS3_N6thrust23THRUST_200600_302600_NS6detail15normal_iteratorINS9_10device_ptrIhEEEEPS5_m11less_div_10IhEEE10hipError_tT0_T1_T2_jT3_P12ihipStream_tbPNSt15iterator_traitsISJ_E10value_typeEPNSP_ISK_E10value_typeEPSL_NS1_7vsmem_tEENKUlT_SJ_SK_SL_E_clISE_PhSF_SF_EESI_SY_SJ_SK_SL_EUlSY_E_NS1_11comp_targetILNS1_3genE5ELNS1_11target_archE942ELNS1_3gpuE9ELNS1_3repE0EEENS1_48merge_mergepath_partition_config_static_selectorELNS0_4arch9wavefront6targetE0EEEvSK_,"axG",@progbits,_ZN7rocprim17ROCPRIM_400000_NS6detail17trampoline_kernelINS0_14default_configENS1_38merge_sort_block_merge_config_selectorIhNS0_10empty_typeEEEZZNS1_27merge_sort_block_merge_implIS3_N6thrust23THRUST_200600_302600_NS6detail15normal_iteratorINS9_10device_ptrIhEEEEPS5_m11less_div_10IhEEE10hipError_tT0_T1_T2_jT3_P12ihipStream_tbPNSt15iterator_traitsISJ_E10value_typeEPNSP_ISK_E10value_typeEPSL_NS1_7vsmem_tEENKUlT_SJ_SK_SL_E_clISE_PhSF_SF_EESI_SY_SJ_SK_SL_EUlSY_E_NS1_11comp_targetILNS1_3genE5ELNS1_11target_archE942ELNS1_3gpuE9ELNS1_3repE0EEENS1_48merge_mergepath_partition_config_static_selectorELNS0_4arch9wavefront6targetE0EEEvSK_,comdat
.Lfunc_end719:
	.size	_ZN7rocprim17ROCPRIM_400000_NS6detail17trampoline_kernelINS0_14default_configENS1_38merge_sort_block_merge_config_selectorIhNS0_10empty_typeEEEZZNS1_27merge_sort_block_merge_implIS3_N6thrust23THRUST_200600_302600_NS6detail15normal_iteratorINS9_10device_ptrIhEEEEPS5_m11less_div_10IhEEE10hipError_tT0_T1_T2_jT3_P12ihipStream_tbPNSt15iterator_traitsISJ_E10value_typeEPNSP_ISK_E10value_typeEPSL_NS1_7vsmem_tEENKUlT_SJ_SK_SL_E_clISE_PhSF_SF_EESI_SY_SJ_SK_SL_EUlSY_E_NS1_11comp_targetILNS1_3genE5ELNS1_11target_archE942ELNS1_3gpuE9ELNS1_3repE0EEENS1_48merge_mergepath_partition_config_static_selectorELNS0_4arch9wavefront6targetE0EEEvSK_, .Lfunc_end719-_ZN7rocprim17ROCPRIM_400000_NS6detail17trampoline_kernelINS0_14default_configENS1_38merge_sort_block_merge_config_selectorIhNS0_10empty_typeEEEZZNS1_27merge_sort_block_merge_implIS3_N6thrust23THRUST_200600_302600_NS6detail15normal_iteratorINS9_10device_ptrIhEEEEPS5_m11less_div_10IhEEE10hipError_tT0_T1_T2_jT3_P12ihipStream_tbPNSt15iterator_traitsISJ_E10value_typeEPNSP_ISK_E10value_typeEPSL_NS1_7vsmem_tEENKUlT_SJ_SK_SL_E_clISE_PhSF_SF_EESI_SY_SJ_SK_SL_EUlSY_E_NS1_11comp_targetILNS1_3genE5ELNS1_11target_archE942ELNS1_3gpuE9ELNS1_3repE0EEENS1_48merge_mergepath_partition_config_static_selectorELNS0_4arch9wavefront6targetE0EEEvSK_
                                        ; -- End function
	.set _ZN7rocprim17ROCPRIM_400000_NS6detail17trampoline_kernelINS0_14default_configENS1_38merge_sort_block_merge_config_selectorIhNS0_10empty_typeEEEZZNS1_27merge_sort_block_merge_implIS3_N6thrust23THRUST_200600_302600_NS6detail15normal_iteratorINS9_10device_ptrIhEEEEPS5_m11less_div_10IhEEE10hipError_tT0_T1_T2_jT3_P12ihipStream_tbPNSt15iterator_traitsISJ_E10value_typeEPNSP_ISK_E10value_typeEPSL_NS1_7vsmem_tEENKUlT_SJ_SK_SL_E_clISE_PhSF_SF_EESI_SY_SJ_SK_SL_EUlSY_E_NS1_11comp_targetILNS1_3genE5ELNS1_11target_archE942ELNS1_3gpuE9ELNS1_3repE0EEENS1_48merge_mergepath_partition_config_static_selectorELNS0_4arch9wavefront6targetE0EEEvSK_.num_vgpr, 0
	.set _ZN7rocprim17ROCPRIM_400000_NS6detail17trampoline_kernelINS0_14default_configENS1_38merge_sort_block_merge_config_selectorIhNS0_10empty_typeEEEZZNS1_27merge_sort_block_merge_implIS3_N6thrust23THRUST_200600_302600_NS6detail15normal_iteratorINS9_10device_ptrIhEEEEPS5_m11less_div_10IhEEE10hipError_tT0_T1_T2_jT3_P12ihipStream_tbPNSt15iterator_traitsISJ_E10value_typeEPNSP_ISK_E10value_typeEPSL_NS1_7vsmem_tEENKUlT_SJ_SK_SL_E_clISE_PhSF_SF_EESI_SY_SJ_SK_SL_EUlSY_E_NS1_11comp_targetILNS1_3genE5ELNS1_11target_archE942ELNS1_3gpuE9ELNS1_3repE0EEENS1_48merge_mergepath_partition_config_static_selectorELNS0_4arch9wavefront6targetE0EEEvSK_.num_agpr, 0
	.set _ZN7rocprim17ROCPRIM_400000_NS6detail17trampoline_kernelINS0_14default_configENS1_38merge_sort_block_merge_config_selectorIhNS0_10empty_typeEEEZZNS1_27merge_sort_block_merge_implIS3_N6thrust23THRUST_200600_302600_NS6detail15normal_iteratorINS9_10device_ptrIhEEEEPS5_m11less_div_10IhEEE10hipError_tT0_T1_T2_jT3_P12ihipStream_tbPNSt15iterator_traitsISJ_E10value_typeEPNSP_ISK_E10value_typeEPSL_NS1_7vsmem_tEENKUlT_SJ_SK_SL_E_clISE_PhSF_SF_EESI_SY_SJ_SK_SL_EUlSY_E_NS1_11comp_targetILNS1_3genE5ELNS1_11target_archE942ELNS1_3gpuE9ELNS1_3repE0EEENS1_48merge_mergepath_partition_config_static_selectorELNS0_4arch9wavefront6targetE0EEEvSK_.numbered_sgpr, 0
	.set _ZN7rocprim17ROCPRIM_400000_NS6detail17trampoline_kernelINS0_14default_configENS1_38merge_sort_block_merge_config_selectorIhNS0_10empty_typeEEEZZNS1_27merge_sort_block_merge_implIS3_N6thrust23THRUST_200600_302600_NS6detail15normal_iteratorINS9_10device_ptrIhEEEEPS5_m11less_div_10IhEEE10hipError_tT0_T1_T2_jT3_P12ihipStream_tbPNSt15iterator_traitsISJ_E10value_typeEPNSP_ISK_E10value_typeEPSL_NS1_7vsmem_tEENKUlT_SJ_SK_SL_E_clISE_PhSF_SF_EESI_SY_SJ_SK_SL_EUlSY_E_NS1_11comp_targetILNS1_3genE5ELNS1_11target_archE942ELNS1_3gpuE9ELNS1_3repE0EEENS1_48merge_mergepath_partition_config_static_selectorELNS0_4arch9wavefront6targetE0EEEvSK_.num_named_barrier, 0
	.set _ZN7rocprim17ROCPRIM_400000_NS6detail17trampoline_kernelINS0_14default_configENS1_38merge_sort_block_merge_config_selectorIhNS0_10empty_typeEEEZZNS1_27merge_sort_block_merge_implIS3_N6thrust23THRUST_200600_302600_NS6detail15normal_iteratorINS9_10device_ptrIhEEEEPS5_m11less_div_10IhEEE10hipError_tT0_T1_T2_jT3_P12ihipStream_tbPNSt15iterator_traitsISJ_E10value_typeEPNSP_ISK_E10value_typeEPSL_NS1_7vsmem_tEENKUlT_SJ_SK_SL_E_clISE_PhSF_SF_EESI_SY_SJ_SK_SL_EUlSY_E_NS1_11comp_targetILNS1_3genE5ELNS1_11target_archE942ELNS1_3gpuE9ELNS1_3repE0EEENS1_48merge_mergepath_partition_config_static_selectorELNS0_4arch9wavefront6targetE0EEEvSK_.private_seg_size, 0
	.set _ZN7rocprim17ROCPRIM_400000_NS6detail17trampoline_kernelINS0_14default_configENS1_38merge_sort_block_merge_config_selectorIhNS0_10empty_typeEEEZZNS1_27merge_sort_block_merge_implIS3_N6thrust23THRUST_200600_302600_NS6detail15normal_iteratorINS9_10device_ptrIhEEEEPS5_m11less_div_10IhEEE10hipError_tT0_T1_T2_jT3_P12ihipStream_tbPNSt15iterator_traitsISJ_E10value_typeEPNSP_ISK_E10value_typeEPSL_NS1_7vsmem_tEENKUlT_SJ_SK_SL_E_clISE_PhSF_SF_EESI_SY_SJ_SK_SL_EUlSY_E_NS1_11comp_targetILNS1_3genE5ELNS1_11target_archE942ELNS1_3gpuE9ELNS1_3repE0EEENS1_48merge_mergepath_partition_config_static_selectorELNS0_4arch9wavefront6targetE0EEEvSK_.uses_vcc, 0
	.set _ZN7rocprim17ROCPRIM_400000_NS6detail17trampoline_kernelINS0_14default_configENS1_38merge_sort_block_merge_config_selectorIhNS0_10empty_typeEEEZZNS1_27merge_sort_block_merge_implIS3_N6thrust23THRUST_200600_302600_NS6detail15normal_iteratorINS9_10device_ptrIhEEEEPS5_m11less_div_10IhEEE10hipError_tT0_T1_T2_jT3_P12ihipStream_tbPNSt15iterator_traitsISJ_E10value_typeEPNSP_ISK_E10value_typeEPSL_NS1_7vsmem_tEENKUlT_SJ_SK_SL_E_clISE_PhSF_SF_EESI_SY_SJ_SK_SL_EUlSY_E_NS1_11comp_targetILNS1_3genE5ELNS1_11target_archE942ELNS1_3gpuE9ELNS1_3repE0EEENS1_48merge_mergepath_partition_config_static_selectorELNS0_4arch9wavefront6targetE0EEEvSK_.uses_flat_scratch, 0
	.set _ZN7rocprim17ROCPRIM_400000_NS6detail17trampoline_kernelINS0_14default_configENS1_38merge_sort_block_merge_config_selectorIhNS0_10empty_typeEEEZZNS1_27merge_sort_block_merge_implIS3_N6thrust23THRUST_200600_302600_NS6detail15normal_iteratorINS9_10device_ptrIhEEEEPS5_m11less_div_10IhEEE10hipError_tT0_T1_T2_jT3_P12ihipStream_tbPNSt15iterator_traitsISJ_E10value_typeEPNSP_ISK_E10value_typeEPSL_NS1_7vsmem_tEENKUlT_SJ_SK_SL_E_clISE_PhSF_SF_EESI_SY_SJ_SK_SL_EUlSY_E_NS1_11comp_targetILNS1_3genE5ELNS1_11target_archE942ELNS1_3gpuE9ELNS1_3repE0EEENS1_48merge_mergepath_partition_config_static_selectorELNS0_4arch9wavefront6targetE0EEEvSK_.has_dyn_sized_stack, 0
	.set _ZN7rocprim17ROCPRIM_400000_NS6detail17trampoline_kernelINS0_14default_configENS1_38merge_sort_block_merge_config_selectorIhNS0_10empty_typeEEEZZNS1_27merge_sort_block_merge_implIS3_N6thrust23THRUST_200600_302600_NS6detail15normal_iteratorINS9_10device_ptrIhEEEEPS5_m11less_div_10IhEEE10hipError_tT0_T1_T2_jT3_P12ihipStream_tbPNSt15iterator_traitsISJ_E10value_typeEPNSP_ISK_E10value_typeEPSL_NS1_7vsmem_tEENKUlT_SJ_SK_SL_E_clISE_PhSF_SF_EESI_SY_SJ_SK_SL_EUlSY_E_NS1_11comp_targetILNS1_3genE5ELNS1_11target_archE942ELNS1_3gpuE9ELNS1_3repE0EEENS1_48merge_mergepath_partition_config_static_selectorELNS0_4arch9wavefront6targetE0EEEvSK_.has_recursion, 0
	.set _ZN7rocprim17ROCPRIM_400000_NS6detail17trampoline_kernelINS0_14default_configENS1_38merge_sort_block_merge_config_selectorIhNS0_10empty_typeEEEZZNS1_27merge_sort_block_merge_implIS3_N6thrust23THRUST_200600_302600_NS6detail15normal_iteratorINS9_10device_ptrIhEEEEPS5_m11less_div_10IhEEE10hipError_tT0_T1_T2_jT3_P12ihipStream_tbPNSt15iterator_traitsISJ_E10value_typeEPNSP_ISK_E10value_typeEPSL_NS1_7vsmem_tEENKUlT_SJ_SK_SL_E_clISE_PhSF_SF_EESI_SY_SJ_SK_SL_EUlSY_E_NS1_11comp_targetILNS1_3genE5ELNS1_11target_archE942ELNS1_3gpuE9ELNS1_3repE0EEENS1_48merge_mergepath_partition_config_static_selectorELNS0_4arch9wavefront6targetE0EEEvSK_.has_indirect_call, 0
	.section	.AMDGPU.csdata,"",@progbits
; Kernel info:
; codeLenInByte = 0
; TotalNumSgprs: 0
; NumVgprs: 0
; ScratchSize: 0
; MemoryBound: 0
; FloatMode: 240
; IeeeMode: 1
; LDSByteSize: 0 bytes/workgroup (compile time only)
; SGPRBlocks: 0
; VGPRBlocks: 0
; NumSGPRsForWavesPerEU: 1
; NumVGPRsForWavesPerEU: 1
; Occupancy: 16
; WaveLimiterHint : 0
; COMPUTE_PGM_RSRC2:SCRATCH_EN: 0
; COMPUTE_PGM_RSRC2:USER_SGPR: 6
; COMPUTE_PGM_RSRC2:TRAP_HANDLER: 0
; COMPUTE_PGM_RSRC2:TGID_X_EN: 1
; COMPUTE_PGM_RSRC2:TGID_Y_EN: 0
; COMPUTE_PGM_RSRC2:TGID_Z_EN: 0
; COMPUTE_PGM_RSRC2:TIDIG_COMP_CNT: 0
	.section	.text._ZN7rocprim17ROCPRIM_400000_NS6detail17trampoline_kernelINS0_14default_configENS1_38merge_sort_block_merge_config_selectorIhNS0_10empty_typeEEEZZNS1_27merge_sort_block_merge_implIS3_N6thrust23THRUST_200600_302600_NS6detail15normal_iteratorINS9_10device_ptrIhEEEEPS5_m11less_div_10IhEEE10hipError_tT0_T1_T2_jT3_P12ihipStream_tbPNSt15iterator_traitsISJ_E10value_typeEPNSP_ISK_E10value_typeEPSL_NS1_7vsmem_tEENKUlT_SJ_SK_SL_E_clISE_PhSF_SF_EESI_SY_SJ_SK_SL_EUlSY_E_NS1_11comp_targetILNS1_3genE4ELNS1_11target_archE910ELNS1_3gpuE8ELNS1_3repE0EEENS1_48merge_mergepath_partition_config_static_selectorELNS0_4arch9wavefront6targetE0EEEvSK_,"axG",@progbits,_ZN7rocprim17ROCPRIM_400000_NS6detail17trampoline_kernelINS0_14default_configENS1_38merge_sort_block_merge_config_selectorIhNS0_10empty_typeEEEZZNS1_27merge_sort_block_merge_implIS3_N6thrust23THRUST_200600_302600_NS6detail15normal_iteratorINS9_10device_ptrIhEEEEPS5_m11less_div_10IhEEE10hipError_tT0_T1_T2_jT3_P12ihipStream_tbPNSt15iterator_traitsISJ_E10value_typeEPNSP_ISK_E10value_typeEPSL_NS1_7vsmem_tEENKUlT_SJ_SK_SL_E_clISE_PhSF_SF_EESI_SY_SJ_SK_SL_EUlSY_E_NS1_11comp_targetILNS1_3genE4ELNS1_11target_archE910ELNS1_3gpuE8ELNS1_3repE0EEENS1_48merge_mergepath_partition_config_static_selectorELNS0_4arch9wavefront6targetE0EEEvSK_,comdat
	.protected	_ZN7rocprim17ROCPRIM_400000_NS6detail17trampoline_kernelINS0_14default_configENS1_38merge_sort_block_merge_config_selectorIhNS0_10empty_typeEEEZZNS1_27merge_sort_block_merge_implIS3_N6thrust23THRUST_200600_302600_NS6detail15normal_iteratorINS9_10device_ptrIhEEEEPS5_m11less_div_10IhEEE10hipError_tT0_T1_T2_jT3_P12ihipStream_tbPNSt15iterator_traitsISJ_E10value_typeEPNSP_ISK_E10value_typeEPSL_NS1_7vsmem_tEENKUlT_SJ_SK_SL_E_clISE_PhSF_SF_EESI_SY_SJ_SK_SL_EUlSY_E_NS1_11comp_targetILNS1_3genE4ELNS1_11target_archE910ELNS1_3gpuE8ELNS1_3repE0EEENS1_48merge_mergepath_partition_config_static_selectorELNS0_4arch9wavefront6targetE0EEEvSK_ ; -- Begin function _ZN7rocprim17ROCPRIM_400000_NS6detail17trampoline_kernelINS0_14default_configENS1_38merge_sort_block_merge_config_selectorIhNS0_10empty_typeEEEZZNS1_27merge_sort_block_merge_implIS3_N6thrust23THRUST_200600_302600_NS6detail15normal_iteratorINS9_10device_ptrIhEEEEPS5_m11less_div_10IhEEE10hipError_tT0_T1_T2_jT3_P12ihipStream_tbPNSt15iterator_traitsISJ_E10value_typeEPNSP_ISK_E10value_typeEPSL_NS1_7vsmem_tEENKUlT_SJ_SK_SL_E_clISE_PhSF_SF_EESI_SY_SJ_SK_SL_EUlSY_E_NS1_11comp_targetILNS1_3genE4ELNS1_11target_archE910ELNS1_3gpuE8ELNS1_3repE0EEENS1_48merge_mergepath_partition_config_static_selectorELNS0_4arch9wavefront6targetE0EEEvSK_
	.globl	_ZN7rocprim17ROCPRIM_400000_NS6detail17trampoline_kernelINS0_14default_configENS1_38merge_sort_block_merge_config_selectorIhNS0_10empty_typeEEEZZNS1_27merge_sort_block_merge_implIS3_N6thrust23THRUST_200600_302600_NS6detail15normal_iteratorINS9_10device_ptrIhEEEEPS5_m11less_div_10IhEEE10hipError_tT0_T1_T2_jT3_P12ihipStream_tbPNSt15iterator_traitsISJ_E10value_typeEPNSP_ISK_E10value_typeEPSL_NS1_7vsmem_tEENKUlT_SJ_SK_SL_E_clISE_PhSF_SF_EESI_SY_SJ_SK_SL_EUlSY_E_NS1_11comp_targetILNS1_3genE4ELNS1_11target_archE910ELNS1_3gpuE8ELNS1_3repE0EEENS1_48merge_mergepath_partition_config_static_selectorELNS0_4arch9wavefront6targetE0EEEvSK_
	.p2align	8
	.type	_ZN7rocprim17ROCPRIM_400000_NS6detail17trampoline_kernelINS0_14default_configENS1_38merge_sort_block_merge_config_selectorIhNS0_10empty_typeEEEZZNS1_27merge_sort_block_merge_implIS3_N6thrust23THRUST_200600_302600_NS6detail15normal_iteratorINS9_10device_ptrIhEEEEPS5_m11less_div_10IhEEE10hipError_tT0_T1_T2_jT3_P12ihipStream_tbPNSt15iterator_traitsISJ_E10value_typeEPNSP_ISK_E10value_typeEPSL_NS1_7vsmem_tEENKUlT_SJ_SK_SL_E_clISE_PhSF_SF_EESI_SY_SJ_SK_SL_EUlSY_E_NS1_11comp_targetILNS1_3genE4ELNS1_11target_archE910ELNS1_3gpuE8ELNS1_3repE0EEENS1_48merge_mergepath_partition_config_static_selectorELNS0_4arch9wavefront6targetE0EEEvSK_,@function
_ZN7rocprim17ROCPRIM_400000_NS6detail17trampoline_kernelINS0_14default_configENS1_38merge_sort_block_merge_config_selectorIhNS0_10empty_typeEEEZZNS1_27merge_sort_block_merge_implIS3_N6thrust23THRUST_200600_302600_NS6detail15normal_iteratorINS9_10device_ptrIhEEEEPS5_m11less_div_10IhEEE10hipError_tT0_T1_T2_jT3_P12ihipStream_tbPNSt15iterator_traitsISJ_E10value_typeEPNSP_ISK_E10value_typeEPSL_NS1_7vsmem_tEENKUlT_SJ_SK_SL_E_clISE_PhSF_SF_EESI_SY_SJ_SK_SL_EUlSY_E_NS1_11comp_targetILNS1_3genE4ELNS1_11target_archE910ELNS1_3gpuE8ELNS1_3repE0EEENS1_48merge_mergepath_partition_config_static_selectorELNS0_4arch9wavefront6targetE0EEEvSK_: ; @_ZN7rocprim17ROCPRIM_400000_NS6detail17trampoline_kernelINS0_14default_configENS1_38merge_sort_block_merge_config_selectorIhNS0_10empty_typeEEEZZNS1_27merge_sort_block_merge_implIS3_N6thrust23THRUST_200600_302600_NS6detail15normal_iteratorINS9_10device_ptrIhEEEEPS5_m11less_div_10IhEEE10hipError_tT0_T1_T2_jT3_P12ihipStream_tbPNSt15iterator_traitsISJ_E10value_typeEPNSP_ISK_E10value_typeEPSL_NS1_7vsmem_tEENKUlT_SJ_SK_SL_E_clISE_PhSF_SF_EESI_SY_SJ_SK_SL_EUlSY_E_NS1_11comp_targetILNS1_3genE4ELNS1_11target_archE910ELNS1_3gpuE8ELNS1_3repE0EEENS1_48merge_mergepath_partition_config_static_selectorELNS0_4arch9wavefront6targetE0EEEvSK_
; %bb.0:
	.section	.rodata,"a",@progbits
	.p2align	6, 0x0
	.amdhsa_kernel _ZN7rocprim17ROCPRIM_400000_NS6detail17trampoline_kernelINS0_14default_configENS1_38merge_sort_block_merge_config_selectorIhNS0_10empty_typeEEEZZNS1_27merge_sort_block_merge_implIS3_N6thrust23THRUST_200600_302600_NS6detail15normal_iteratorINS9_10device_ptrIhEEEEPS5_m11less_div_10IhEEE10hipError_tT0_T1_T2_jT3_P12ihipStream_tbPNSt15iterator_traitsISJ_E10value_typeEPNSP_ISK_E10value_typeEPSL_NS1_7vsmem_tEENKUlT_SJ_SK_SL_E_clISE_PhSF_SF_EESI_SY_SJ_SK_SL_EUlSY_E_NS1_11comp_targetILNS1_3genE4ELNS1_11target_archE910ELNS1_3gpuE8ELNS1_3repE0EEENS1_48merge_mergepath_partition_config_static_selectorELNS0_4arch9wavefront6targetE0EEEvSK_
		.amdhsa_group_segment_fixed_size 0
		.amdhsa_private_segment_fixed_size 0
		.amdhsa_kernarg_size 48
		.amdhsa_user_sgpr_count 6
		.amdhsa_user_sgpr_private_segment_buffer 1
		.amdhsa_user_sgpr_dispatch_ptr 0
		.amdhsa_user_sgpr_queue_ptr 0
		.amdhsa_user_sgpr_kernarg_segment_ptr 1
		.amdhsa_user_sgpr_dispatch_id 0
		.amdhsa_user_sgpr_flat_scratch_init 0
		.amdhsa_user_sgpr_private_segment_size 0
		.amdhsa_wavefront_size32 1
		.amdhsa_uses_dynamic_stack 0
		.amdhsa_system_sgpr_private_segment_wavefront_offset 0
		.amdhsa_system_sgpr_workgroup_id_x 1
		.amdhsa_system_sgpr_workgroup_id_y 0
		.amdhsa_system_sgpr_workgroup_id_z 0
		.amdhsa_system_sgpr_workgroup_info 0
		.amdhsa_system_vgpr_workitem_id 0
		.amdhsa_next_free_vgpr 1
		.amdhsa_next_free_sgpr 1
		.amdhsa_reserve_vcc 0
		.amdhsa_reserve_flat_scratch 0
		.amdhsa_float_round_mode_32 0
		.amdhsa_float_round_mode_16_64 0
		.amdhsa_float_denorm_mode_32 3
		.amdhsa_float_denorm_mode_16_64 3
		.amdhsa_dx10_clamp 1
		.amdhsa_ieee_mode 1
		.amdhsa_fp16_overflow 0
		.amdhsa_workgroup_processor_mode 1
		.amdhsa_memory_ordered 1
		.amdhsa_forward_progress 1
		.amdhsa_shared_vgpr_count 0
		.amdhsa_exception_fp_ieee_invalid_op 0
		.amdhsa_exception_fp_denorm_src 0
		.amdhsa_exception_fp_ieee_div_zero 0
		.amdhsa_exception_fp_ieee_overflow 0
		.amdhsa_exception_fp_ieee_underflow 0
		.amdhsa_exception_fp_ieee_inexact 0
		.amdhsa_exception_int_div_zero 0
	.end_amdhsa_kernel
	.section	.text._ZN7rocprim17ROCPRIM_400000_NS6detail17trampoline_kernelINS0_14default_configENS1_38merge_sort_block_merge_config_selectorIhNS0_10empty_typeEEEZZNS1_27merge_sort_block_merge_implIS3_N6thrust23THRUST_200600_302600_NS6detail15normal_iteratorINS9_10device_ptrIhEEEEPS5_m11less_div_10IhEEE10hipError_tT0_T1_T2_jT3_P12ihipStream_tbPNSt15iterator_traitsISJ_E10value_typeEPNSP_ISK_E10value_typeEPSL_NS1_7vsmem_tEENKUlT_SJ_SK_SL_E_clISE_PhSF_SF_EESI_SY_SJ_SK_SL_EUlSY_E_NS1_11comp_targetILNS1_3genE4ELNS1_11target_archE910ELNS1_3gpuE8ELNS1_3repE0EEENS1_48merge_mergepath_partition_config_static_selectorELNS0_4arch9wavefront6targetE0EEEvSK_,"axG",@progbits,_ZN7rocprim17ROCPRIM_400000_NS6detail17trampoline_kernelINS0_14default_configENS1_38merge_sort_block_merge_config_selectorIhNS0_10empty_typeEEEZZNS1_27merge_sort_block_merge_implIS3_N6thrust23THRUST_200600_302600_NS6detail15normal_iteratorINS9_10device_ptrIhEEEEPS5_m11less_div_10IhEEE10hipError_tT0_T1_T2_jT3_P12ihipStream_tbPNSt15iterator_traitsISJ_E10value_typeEPNSP_ISK_E10value_typeEPSL_NS1_7vsmem_tEENKUlT_SJ_SK_SL_E_clISE_PhSF_SF_EESI_SY_SJ_SK_SL_EUlSY_E_NS1_11comp_targetILNS1_3genE4ELNS1_11target_archE910ELNS1_3gpuE8ELNS1_3repE0EEENS1_48merge_mergepath_partition_config_static_selectorELNS0_4arch9wavefront6targetE0EEEvSK_,comdat
.Lfunc_end720:
	.size	_ZN7rocprim17ROCPRIM_400000_NS6detail17trampoline_kernelINS0_14default_configENS1_38merge_sort_block_merge_config_selectorIhNS0_10empty_typeEEEZZNS1_27merge_sort_block_merge_implIS3_N6thrust23THRUST_200600_302600_NS6detail15normal_iteratorINS9_10device_ptrIhEEEEPS5_m11less_div_10IhEEE10hipError_tT0_T1_T2_jT3_P12ihipStream_tbPNSt15iterator_traitsISJ_E10value_typeEPNSP_ISK_E10value_typeEPSL_NS1_7vsmem_tEENKUlT_SJ_SK_SL_E_clISE_PhSF_SF_EESI_SY_SJ_SK_SL_EUlSY_E_NS1_11comp_targetILNS1_3genE4ELNS1_11target_archE910ELNS1_3gpuE8ELNS1_3repE0EEENS1_48merge_mergepath_partition_config_static_selectorELNS0_4arch9wavefront6targetE0EEEvSK_, .Lfunc_end720-_ZN7rocprim17ROCPRIM_400000_NS6detail17trampoline_kernelINS0_14default_configENS1_38merge_sort_block_merge_config_selectorIhNS0_10empty_typeEEEZZNS1_27merge_sort_block_merge_implIS3_N6thrust23THRUST_200600_302600_NS6detail15normal_iteratorINS9_10device_ptrIhEEEEPS5_m11less_div_10IhEEE10hipError_tT0_T1_T2_jT3_P12ihipStream_tbPNSt15iterator_traitsISJ_E10value_typeEPNSP_ISK_E10value_typeEPSL_NS1_7vsmem_tEENKUlT_SJ_SK_SL_E_clISE_PhSF_SF_EESI_SY_SJ_SK_SL_EUlSY_E_NS1_11comp_targetILNS1_3genE4ELNS1_11target_archE910ELNS1_3gpuE8ELNS1_3repE0EEENS1_48merge_mergepath_partition_config_static_selectorELNS0_4arch9wavefront6targetE0EEEvSK_
                                        ; -- End function
	.set _ZN7rocprim17ROCPRIM_400000_NS6detail17trampoline_kernelINS0_14default_configENS1_38merge_sort_block_merge_config_selectorIhNS0_10empty_typeEEEZZNS1_27merge_sort_block_merge_implIS3_N6thrust23THRUST_200600_302600_NS6detail15normal_iteratorINS9_10device_ptrIhEEEEPS5_m11less_div_10IhEEE10hipError_tT0_T1_T2_jT3_P12ihipStream_tbPNSt15iterator_traitsISJ_E10value_typeEPNSP_ISK_E10value_typeEPSL_NS1_7vsmem_tEENKUlT_SJ_SK_SL_E_clISE_PhSF_SF_EESI_SY_SJ_SK_SL_EUlSY_E_NS1_11comp_targetILNS1_3genE4ELNS1_11target_archE910ELNS1_3gpuE8ELNS1_3repE0EEENS1_48merge_mergepath_partition_config_static_selectorELNS0_4arch9wavefront6targetE0EEEvSK_.num_vgpr, 0
	.set _ZN7rocprim17ROCPRIM_400000_NS6detail17trampoline_kernelINS0_14default_configENS1_38merge_sort_block_merge_config_selectorIhNS0_10empty_typeEEEZZNS1_27merge_sort_block_merge_implIS3_N6thrust23THRUST_200600_302600_NS6detail15normal_iteratorINS9_10device_ptrIhEEEEPS5_m11less_div_10IhEEE10hipError_tT0_T1_T2_jT3_P12ihipStream_tbPNSt15iterator_traitsISJ_E10value_typeEPNSP_ISK_E10value_typeEPSL_NS1_7vsmem_tEENKUlT_SJ_SK_SL_E_clISE_PhSF_SF_EESI_SY_SJ_SK_SL_EUlSY_E_NS1_11comp_targetILNS1_3genE4ELNS1_11target_archE910ELNS1_3gpuE8ELNS1_3repE0EEENS1_48merge_mergepath_partition_config_static_selectorELNS0_4arch9wavefront6targetE0EEEvSK_.num_agpr, 0
	.set _ZN7rocprim17ROCPRIM_400000_NS6detail17trampoline_kernelINS0_14default_configENS1_38merge_sort_block_merge_config_selectorIhNS0_10empty_typeEEEZZNS1_27merge_sort_block_merge_implIS3_N6thrust23THRUST_200600_302600_NS6detail15normal_iteratorINS9_10device_ptrIhEEEEPS5_m11less_div_10IhEEE10hipError_tT0_T1_T2_jT3_P12ihipStream_tbPNSt15iterator_traitsISJ_E10value_typeEPNSP_ISK_E10value_typeEPSL_NS1_7vsmem_tEENKUlT_SJ_SK_SL_E_clISE_PhSF_SF_EESI_SY_SJ_SK_SL_EUlSY_E_NS1_11comp_targetILNS1_3genE4ELNS1_11target_archE910ELNS1_3gpuE8ELNS1_3repE0EEENS1_48merge_mergepath_partition_config_static_selectorELNS0_4arch9wavefront6targetE0EEEvSK_.numbered_sgpr, 0
	.set _ZN7rocprim17ROCPRIM_400000_NS6detail17trampoline_kernelINS0_14default_configENS1_38merge_sort_block_merge_config_selectorIhNS0_10empty_typeEEEZZNS1_27merge_sort_block_merge_implIS3_N6thrust23THRUST_200600_302600_NS6detail15normal_iteratorINS9_10device_ptrIhEEEEPS5_m11less_div_10IhEEE10hipError_tT0_T1_T2_jT3_P12ihipStream_tbPNSt15iterator_traitsISJ_E10value_typeEPNSP_ISK_E10value_typeEPSL_NS1_7vsmem_tEENKUlT_SJ_SK_SL_E_clISE_PhSF_SF_EESI_SY_SJ_SK_SL_EUlSY_E_NS1_11comp_targetILNS1_3genE4ELNS1_11target_archE910ELNS1_3gpuE8ELNS1_3repE0EEENS1_48merge_mergepath_partition_config_static_selectorELNS0_4arch9wavefront6targetE0EEEvSK_.num_named_barrier, 0
	.set _ZN7rocprim17ROCPRIM_400000_NS6detail17trampoline_kernelINS0_14default_configENS1_38merge_sort_block_merge_config_selectorIhNS0_10empty_typeEEEZZNS1_27merge_sort_block_merge_implIS3_N6thrust23THRUST_200600_302600_NS6detail15normal_iteratorINS9_10device_ptrIhEEEEPS5_m11less_div_10IhEEE10hipError_tT0_T1_T2_jT3_P12ihipStream_tbPNSt15iterator_traitsISJ_E10value_typeEPNSP_ISK_E10value_typeEPSL_NS1_7vsmem_tEENKUlT_SJ_SK_SL_E_clISE_PhSF_SF_EESI_SY_SJ_SK_SL_EUlSY_E_NS1_11comp_targetILNS1_3genE4ELNS1_11target_archE910ELNS1_3gpuE8ELNS1_3repE0EEENS1_48merge_mergepath_partition_config_static_selectorELNS0_4arch9wavefront6targetE0EEEvSK_.private_seg_size, 0
	.set _ZN7rocprim17ROCPRIM_400000_NS6detail17trampoline_kernelINS0_14default_configENS1_38merge_sort_block_merge_config_selectorIhNS0_10empty_typeEEEZZNS1_27merge_sort_block_merge_implIS3_N6thrust23THRUST_200600_302600_NS6detail15normal_iteratorINS9_10device_ptrIhEEEEPS5_m11less_div_10IhEEE10hipError_tT0_T1_T2_jT3_P12ihipStream_tbPNSt15iterator_traitsISJ_E10value_typeEPNSP_ISK_E10value_typeEPSL_NS1_7vsmem_tEENKUlT_SJ_SK_SL_E_clISE_PhSF_SF_EESI_SY_SJ_SK_SL_EUlSY_E_NS1_11comp_targetILNS1_3genE4ELNS1_11target_archE910ELNS1_3gpuE8ELNS1_3repE0EEENS1_48merge_mergepath_partition_config_static_selectorELNS0_4arch9wavefront6targetE0EEEvSK_.uses_vcc, 0
	.set _ZN7rocprim17ROCPRIM_400000_NS6detail17trampoline_kernelINS0_14default_configENS1_38merge_sort_block_merge_config_selectorIhNS0_10empty_typeEEEZZNS1_27merge_sort_block_merge_implIS3_N6thrust23THRUST_200600_302600_NS6detail15normal_iteratorINS9_10device_ptrIhEEEEPS5_m11less_div_10IhEEE10hipError_tT0_T1_T2_jT3_P12ihipStream_tbPNSt15iterator_traitsISJ_E10value_typeEPNSP_ISK_E10value_typeEPSL_NS1_7vsmem_tEENKUlT_SJ_SK_SL_E_clISE_PhSF_SF_EESI_SY_SJ_SK_SL_EUlSY_E_NS1_11comp_targetILNS1_3genE4ELNS1_11target_archE910ELNS1_3gpuE8ELNS1_3repE0EEENS1_48merge_mergepath_partition_config_static_selectorELNS0_4arch9wavefront6targetE0EEEvSK_.uses_flat_scratch, 0
	.set _ZN7rocprim17ROCPRIM_400000_NS6detail17trampoline_kernelINS0_14default_configENS1_38merge_sort_block_merge_config_selectorIhNS0_10empty_typeEEEZZNS1_27merge_sort_block_merge_implIS3_N6thrust23THRUST_200600_302600_NS6detail15normal_iteratorINS9_10device_ptrIhEEEEPS5_m11less_div_10IhEEE10hipError_tT0_T1_T2_jT3_P12ihipStream_tbPNSt15iterator_traitsISJ_E10value_typeEPNSP_ISK_E10value_typeEPSL_NS1_7vsmem_tEENKUlT_SJ_SK_SL_E_clISE_PhSF_SF_EESI_SY_SJ_SK_SL_EUlSY_E_NS1_11comp_targetILNS1_3genE4ELNS1_11target_archE910ELNS1_3gpuE8ELNS1_3repE0EEENS1_48merge_mergepath_partition_config_static_selectorELNS0_4arch9wavefront6targetE0EEEvSK_.has_dyn_sized_stack, 0
	.set _ZN7rocprim17ROCPRIM_400000_NS6detail17trampoline_kernelINS0_14default_configENS1_38merge_sort_block_merge_config_selectorIhNS0_10empty_typeEEEZZNS1_27merge_sort_block_merge_implIS3_N6thrust23THRUST_200600_302600_NS6detail15normal_iteratorINS9_10device_ptrIhEEEEPS5_m11less_div_10IhEEE10hipError_tT0_T1_T2_jT3_P12ihipStream_tbPNSt15iterator_traitsISJ_E10value_typeEPNSP_ISK_E10value_typeEPSL_NS1_7vsmem_tEENKUlT_SJ_SK_SL_E_clISE_PhSF_SF_EESI_SY_SJ_SK_SL_EUlSY_E_NS1_11comp_targetILNS1_3genE4ELNS1_11target_archE910ELNS1_3gpuE8ELNS1_3repE0EEENS1_48merge_mergepath_partition_config_static_selectorELNS0_4arch9wavefront6targetE0EEEvSK_.has_recursion, 0
	.set _ZN7rocprim17ROCPRIM_400000_NS6detail17trampoline_kernelINS0_14default_configENS1_38merge_sort_block_merge_config_selectorIhNS0_10empty_typeEEEZZNS1_27merge_sort_block_merge_implIS3_N6thrust23THRUST_200600_302600_NS6detail15normal_iteratorINS9_10device_ptrIhEEEEPS5_m11less_div_10IhEEE10hipError_tT0_T1_T2_jT3_P12ihipStream_tbPNSt15iterator_traitsISJ_E10value_typeEPNSP_ISK_E10value_typeEPSL_NS1_7vsmem_tEENKUlT_SJ_SK_SL_E_clISE_PhSF_SF_EESI_SY_SJ_SK_SL_EUlSY_E_NS1_11comp_targetILNS1_3genE4ELNS1_11target_archE910ELNS1_3gpuE8ELNS1_3repE0EEENS1_48merge_mergepath_partition_config_static_selectorELNS0_4arch9wavefront6targetE0EEEvSK_.has_indirect_call, 0
	.section	.AMDGPU.csdata,"",@progbits
; Kernel info:
; codeLenInByte = 0
; TotalNumSgprs: 0
; NumVgprs: 0
; ScratchSize: 0
; MemoryBound: 0
; FloatMode: 240
; IeeeMode: 1
; LDSByteSize: 0 bytes/workgroup (compile time only)
; SGPRBlocks: 0
; VGPRBlocks: 0
; NumSGPRsForWavesPerEU: 1
; NumVGPRsForWavesPerEU: 1
; Occupancy: 16
; WaveLimiterHint : 0
; COMPUTE_PGM_RSRC2:SCRATCH_EN: 0
; COMPUTE_PGM_RSRC2:USER_SGPR: 6
; COMPUTE_PGM_RSRC2:TRAP_HANDLER: 0
; COMPUTE_PGM_RSRC2:TGID_X_EN: 1
; COMPUTE_PGM_RSRC2:TGID_Y_EN: 0
; COMPUTE_PGM_RSRC2:TGID_Z_EN: 0
; COMPUTE_PGM_RSRC2:TIDIG_COMP_CNT: 0
	.section	.text._ZN7rocprim17ROCPRIM_400000_NS6detail17trampoline_kernelINS0_14default_configENS1_38merge_sort_block_merge_config_selectorIhNS0_10empty_typeEEEZZNS1_27merge_sort_block_merge_implIS3_N6thrust23THRUST_200600_302600_NS6detail15normal_iteratorINS9_10device_ptrIhEEEEPS5_m11less_div_10IhEEE10hipError_tT0_T1_T2_jT3_P12ihipStream_tbPNSt15iterator_traitsISJ_E10value_typeEPNSP_ISK_E10value_typeEPSL_NS1_7vsmem_tEENKUlT_SJ_SK_SL_E_clISE_PhSF_SF_EESI_SY_SJ_SK_SL_EUlSY_E_NS1_11comp_targetILNS1_3genE3ELNS1_11target_archE908ELNS1_3gpuE7ELNS1_3repE0EEENS1_48merge_mergepath_partition_config_static_selectorELNS0_4arch9wavefront6targetE0EEEvSK_,"axG",@progbits,_ZN7rocprim17ROCPRIM_400000_NS6detail17trampoline_kernelINS0_14default_configENS1_38merge_sort_block_merge_config_selectorIhNS0_10empty_typeEEEZZNS1_27merge_sort_block_merge_implIS3_N6thrust23THRUST_200600_302600_NS6detail15normal_iteratorINS9_10device_ptrIhEEEEPS5_m11less_div_10IhEEE10hipError_tT0_T1_T2_jT3_P12ihipStream_tbPNSt15iterator_traitsISJ_E10value_typeEPNSP_ISK_E10value_typeEPSL_NS1_7vsmem_tEENKUlT_SJ_SK_SL_E_clISE_PhSF_SF_EESI_SY_SJ_SK_SL_EUlSY_E_NS1_11comp_targetILNS1_3genE3ELNS1_11target_archE908ELNS1_3gpuE7ELNS1_3repE0EEENS1_48merge_mergepath_partition_config_static_selectorELNS0_4arch9wavefront6targetE0EEEvSK_,comdat
	.protected	_ZN7rocprim17ROCPRIM_400000_NS6detail17trampoline_kernelINS0_14default_configENS1_38merge_sort_block_merge_config_selectorIhNS0_10empty_typeEEEZZNS1_27merge_sort_block_merge_implIS3_N6thrust23THRUST_200600_302600_NS6detail15normal_iteratorINS9_10device_ptrIhEEEEPS5_m11less_div_10IhEEE10hipError_tT0_T1_T2_jT3_P12ihipStream_tbPNSt15iterator_traitsISJ_E10value_typeEPNSP_ISK_E10value_typeEPSL_NS1_7vsmem_tEENKUlT_SJ_SK_SL_E_clISE_PhSF_SF_EESI_SY_SJ_SK_SL_EUlSY_E_NS1_11comp_targetILNS1_3genE3ELNS1_11target_archE908ELNS1_3gpuE7ELNS1_3repE0EEENS1_48merge_mergepath_partition_config_static_selectorELNS0_4arch9wavefront6targetE0EEEvSK_ ; -- Begin function _ZN7rocprim17ROCPRIM_400000_NS6detail17trampoline_kernelINS0_14default_configENS1_38merge_sort_block_merge_config_selectorIhNS0_10empty_typeEEEZZNS1_27merge_sort_block_merge_implIS3_N6thrust23THRUST_200600_302600_NS6detail15normal_iteratorINS9_10device_ptrIhEEEEPS5_m11less_div_10IhEEE10hipError_tT0_T1_T2_jT3_P12ihipStream_tbPNSt15iterator_traitsISJ_E10value_typeEPNSP_ISK_E10value_typeEPSL_NS1_7vsmem_tEENKUlT_SJ_SK_SL_E_clISE_PhSF_SF_EESI_SY_SJ_SK_SL_EUlSY_E_NS1_11comp_targetILNS1_3genE3ELNS1_11target_archE908ELNS1_3gpuE7ELNS1_3repE0EEENS1_48merge_mergepath_partition_config_static_selectorELNS0_4arch9wavefront6targetE0EEEvSK_
	.globl	_ZN7rocprim17ROCPRIM_400000_NS6detail17trampoline_kernelINS0_14default_configENS1_38merge_sort_block_merge_config_selectorIhNS0_10empty_typeEEEZZNS1_27merge_sort_block_merge_implIS3_N6thrust23THRUST_200600_302600_NS6detail15normal_iteratorINS9_10device_ptrIhEEEEPS5_m11less_div_10IhEEE10hipError_tT0_T1_T2_jT3_P12ihipStream_tbPNSt15iterator_traitsISJ_E10value_typeEPNSP_ISK_E10value_typeEPSL_NS1_7vsmem_tEENKUlT_SJ_SK_SL_E_clISE_PhSF_SF_EESI_SY_SJ_SK_SL_EUlSY_E_NS1_11comp_targetILNS1_3genE3ELNS1_11target_archE908ELNS1_3gpuE7ELNS1_3repE0EEENS1_48merge_mergepath_partition_config_static_selectorELNS0_4arch9wavefront6targetE0EEEvSK_
	.p2align	8
	.type	_ZN7rocprim17ROCPRIM_400000_NS6detail17trampoline_kernelINS0_14default_configENS1_38merge_sort_block_merge_config_selectorIhNS0_10empty_typeEEEZZNS1_27merge_sort_block_merge_implIS3_N6thrust23THRUST_200600_302600_NS6detail15normal_iteratorINS9_10device_ptrIhEEEEPS5_m11less_div_10IhEEE10hipError_tT0_T1_T2_jT3_P12ihipStream_tbPNSt15iterator_traitsISJ_E10value_typeEPNSP_ISK_E10value_typeEPSL_NS1_7vsmem_tEENKUlT_SJ_SK_SL_E_clISE_PhSF_SF_EESI_SY_SJ_SK_SL_EUlSY_E_NS1_11comp_targetILNS1_3genE3ELNS1_11target_archE908ELNS1_3gpuE7ELNS1_3repE0EEENS1_48merge_mergepath_partition_config_static_selectorELNS0_4arch9wavefront6targetE0EEEvSK_,@function
_ZN7rocprim17ROCPRIM_400000_NS6detail17trampoline_kernelINS0_14default_configENS1_38merge_sort_block_merge_config_selectorIhNS0_10empty_typeEEEZZNS1_27merge_sort_block_merge_implIS3_N6thrust23THRUST_200600_302600_NS6detail15normal_iteratorINS9_10device_ptrIhEEEEPS5_m11less_div_10IhEEE10hipError_tT0_T1_T2_jT3_P12ihipStream_tbPNSt15iterator_traitsISJ_E10value_typeEPNSP_ISK_E10value_typeEPSL_NS1_7vsmem_tEENKUlT_SJ_SK_SL_E_clISE_PhSF_SF_EESI_SY_SJ_SK_SL_EUlSY_E_NS1_11comp_targetILNS1_3genE3ELNS1_11target_archE908ELNS1_3gpuE7ELNS1_3repE0EEENS1_48merge_mergepath_partition_config_static_selectorELNS0_4arch9wavefront6targetE0EEEvSK_: ; @_ZN7rocprim17ROCPRIM_400000_NS6detail17trampoline_kernelINS0_14default_configENS1_38merge_sort_block_merge_config_selectorIhNS0_10empty_typeEEEZZNS1_27merge_sort_block_merge_implIS3_N6thrust23THRUST_200600_302600_NS6detail15normal_iteratorINS9_10device_ptrIhEEEEPS5_m11less_div_10IhEEE10hipError_tT0_T1_T2_jT3_P12ihipStream_tbPNSt15iterator_traitsISJ_E10value_typeEPNSP_ISK_E10value_typeEPSL_NS1_7vsmem_tEENKUlT_SJ_SK_SL_E_clISE_PhSF_SF_EESI_SY_SJ_SK_SL_EUlSY_E_NS1_11comp_targetILNS1_3genE3ELNS1_11target_archE908ELNS1_3gpuE7ELNS1_3repE0EEENS1_48merge_mergepath_partition_config_static_selectorELNS0_4arch9wavefront6targetE0EEEvSK_
; %bb.0:
	.section	.rodata,"a",@progbits
	.p2align	6, 0x0
	.amdhsa_kernel _ZN7rocprim17ROCPRIM_400000_NS6detail17trampoline_kernelINS0_14default_configENS1_38merge_sort_block_merge_config_selectorIhNS0_10empty_typeEEEZZNS1_27merge_sort_block_merge_implIS3_N6thrust23THRUST_200600_302600_NS6detail15normal_iteratorINS9_10device_ptrIhEEEEPS5_m11less_div_10IhEEE10hipError_tT0_T1_T2_jT3_P12ihipStream_tbPNSt15iterator_traitsISJ_E10value_typeEPNSP_ISK_E10value_typeEPSL_NS1_7vsmem_tEENKUlT_SJ_SK_SL_E_clISE_PhSF_SF_EESI_SY_SJ_SK_SL_EUlSY_E_NS1_11comp_targetILNS1_3genE3ELNS1_11target_archE908ELNS1_3gpuE7ELNS1_3repE0EEENS1_48merge_mergepath_partition_config_static_selectorELNS0_4arch9wavefront6targetE0EEEvSK_
		.amdhsa_group_segment_fixed_size 0
		.amdhsa_private_segment_fixed_size 0
		.amdhsa_kernarg_size 48
		.amdhsa_user_sgpr_count 6
		.amdhsa_user_sgpr_private_segment_buffer 1
		.amdhsa_user_sgpr_dispatch_ptr 0
		.amdhsa_user_sgpr_queue_ptr 0
		.amdhsa_user_sgpr_kernarg_segment_ptr 1
		.amdhsa_user_sgpr_dispatch_id 0
		.amdhsa_user_sgpr_flat_scratch_init 0
		.amdhsa_user_sgpr_private_segment_size 0
		.amdhsa_wavefront_size32 1
		.amdhsa_uses_dynamic_stack 0
		.amdhsa_system_sgpr_private_segment_wavefront_offset 0
		.amdhsa_system_sgpr_workgroup_id_x 1
		.amdhsa_system_sgpr_workgroup_id_y 0
		.amdhsa_system_sgpr_workgroup_id_z 0
		.amdhsa_system_sgpr_workgroup_info 0
		.amdhsa_system_vgpr_workitem_id 0
		.amdhsa_next_free_vgpr 1
		.amdhsa_next_free_sgpr 1
		.amdhsa_reserve_vcc 0
		.amdhsa_reserve_flat_scratch 0
		.amdhsa_float_round_mode_32 0
		.amdhsa_float_round_mode_16_64 0
		.amdhsa_float_denorm_mode_32 3
		.amdhsa_float_denorm_mode_16_64 3
		.amdhsa_dx10_clamp 1
		.amdhsa_ieee_mode 1
		.amdhsa_fp16_overflow 0
		.amdhsa_workgroup_processor_mode 1
		.amdhsa_memory_ordered 1
		.amdhsa_forward_progress 1
		.amdhsa_shared_vgpr_count 0
		.amdhsa_exception_fp_ieee_invalid_op 0
		.amdhsa_exception_fp_denorm_src 0
		.amdhsa_exception_fp_ieee_div_zero 0
		.amdhsa_exception_fp_ieee_overflow 0
		.amdhsa_exception_fp_ieee_underflow 0
		.amdhsa_exception_fp_ieee_inexact 0
		.amdhsa_exception_int_div_zero 0
	.end_amdhsa_kernel
	.section	.text._ZN7rocprim17ROCPRIM_400000_NS6detail17trampoline_kernelINS0_14default_configENS1_38merge_sort_block_merge_config_selectorIhNS0_10empty_typeEEEZZNS1_27merge_sort_block_merge_implIS3_N6thrust23THRUST_200600_302600_NS6detail15normal_iteratorINS9_10device_ptrIhEEEEPS5_m11less_div_10IhEEE10hipError_tT0_T1_T2_jT3_P12ihipStream_tbPNSt15iterator_traitsISJ_E10value_typeEPNSP_ISK_E10value_typeEPSL_NS1_7vsmem_tEENKUlT_SJ_SK_SL_E_clISE_PhSF_SF_EESI_SY_SJ_SK_SL_EUlSY_E_NS1_11comp_targetILNS1_3genE3ELNS1_11target_archE908ELNS1_3gpuE7ELNS1_3repE0EEENS1_48merge_mergepath_partition_config_static_selectorELNS0_4arch9wavefront6targetE0EEEvSK_,"axG",@progbits,_ZN7rocprim17ROCPRIM_400000_NS6detail17trampoline_kernelINS0_14default_configENS1_38merge_sort_block_merge_config_selectorIhNS0_10empty_typeEEEZZNS1_27merge_sort_block_merge_implIS3_N6thrust23THRUST_200600_302600_NS6detail15normal_iteratorINS9_10device_ptrIhEEEEPS5_m11less_div_10IhEEE10hipError_tT0_T1_T2_jT3_P12ihipStream_tbPNSt15iterator_traitsISJ_E10value_typeEPNSP_ISK_E10value_typeEPSL_NS1_7vsmem_tEENKUlT_SJ_SK_SL_E_clISE_PhSF_SF_EESI_SY_SJ_SK_SL_EUlSY_E_NS1_11comp_targetILNS1_3genE3ELNS1_11target_archE908ELNS1_3gpuE7ELNS1_3repE0EEENS1_48merge_mergepath_partition_config_static_selectorELNS0_4arch9wavefront6targetE0EEEvSK_,comdat
.Lfunc_end721:
	.size	_ZN7rocprim17ROCPRIM_400000_NS6detail17trampoline_kernelINS0_14default_configENS1_38merge_sort_block_merge_config_selectorIhNS0_10empty_typeEEEZZNS1_27merge_sort_block_merge_implIS3_N6thrust23THRUST_200600_302600_NS6detail15normal_iteratorINS9_10device_ptrIhEEEEPS5_m11less_div_10IhEEE10hipError_tT0_T1_T2_jT3_P12ihipStream_tbPNSt15iterator_traitsISJ_E10value_typeEPNSP_ISK_E10value_typeEPSL_NS1_7vsmem_tEENKUlT_SJ_SK_SL_E_clISE_PhSF_SF_EESI_SY_SJ_SK_SL_EUlSY_E_NS1_11comp_targetILNS1_3genE3ELNS1_11target_archE908ELNS1_3gpuE7ELNS1_3repE0EEENS1_48merge_mergepath_partition_config_static_selectorELNS0_4arch9wavefront6targetE0EEEvSK_, .Lfunc_end721-_ZN7rocprim17ROCPRIM_400000_NS6detail17trampoline_kernelINS0_14default_configENS1_38merge_sort_block_merge_config_selectorIhNS0_10empty_typeEEEZZNS1_27merge_sort_block_merge_implIS3_N6thrust23THRUST_200600_302600_NS6detail15normal_iteratorINS9_10device_ptrIhEEEEPS5_m11less_div_10IhEEE10hipError_tT0_T1_T2_jT3_P12ihipStream_tbPNSt15iterator_traitsISJ_E10value_typeEPNSP_ISK_E10value_typeEPSL_NS1_7vsmem_tEENKUlT_SJ_SK_SL_E_clISE_PhSF_SF_EESI_SY_SJ_SK_SL_EUlSY_E_NS1_11comp_targetILNS1_3genE3ELNS1_11target_archE908ELNS1_3gpuE7ELNS1_3repE0EEENS1_48merge_mergepath_partition_config_static_selectorELNS0_4arch9wavefront6targetE0EEEvSK_
                                        ; -- End function
	.set _ZN7rocprim17ROCPRIM_400000_NS6detail17trampoline_kernelINS0_14default_configENS1_38merge_sort_block_merge_config_selectorIhNS0_10empty_typeEEEZZNS1_27merge_sort_block_merge_implIS3_N6thrust23THRUST_200600_302600_NS6detail15normal_iteratorINS9_10device_ptrIhEEEEPS5_m11less_div_10IhEEE10hipError_tT0_T1_T2_jT3_P12ihipStream_tbPNSt15iterator_traitsISJ_E10value_typeEPNSP_ISK_E10value_typeEPSL_NS1_7vsmem_tEENKUlT_SJ_SK_SL_E_clISE_PhSF_SF_EESI_SY_SJ_SK_SL_EUlSY_E_NS1_11comp_targetILNS1_3genE3ELNS1_11target_archE908ELNS1_3gpuE7ELNS1_3repE0EEENS1_48merge_mergepath_partition_config_static_selectorELNS0_4arch9wavefront6targetE0EEEvSK_.num_vgpr, 0
	.set _ZN7rocprim17ROCPRIM_400000_NS6detail17trampoline_kernelINS0_14default_configENS1_38merge_sort_block_merge_config_selectorIhNS0_10empty_typeEEEZZNS1_27merge_sort_block_merge_implIS3_N6thrust23THRUST_200600_302600_NS6detail15normal_iteratorINS9_10device_ptrIhEEEEPS5_m11less_div_10IhEEE10hipError_tT0_T1_T2_jT3_P12ihipStream_tbPNSt15iterator_traitsISJ_E10value_typeEPNSP_ISK_E10value_typeEPSL_NS1_7vsmem_tEENKUlT_SJ_SK_SL_E_clISE_PhSF_SF_EESI_SY_SJ_SK_SL_EUlSY_E_NS1_11comp_targetILNS1_3genE3ELNS1_11target_archE908ELNS1_3gpuE7ELNS1_3repE0EEENS1_48merge_mergepath_partition_config_static_selectorELNS0_4arch9wavefront6targetE0EEEvSK_.num_agpr, 0
	.set _ZN7rocprim17ROCPRIM_400000_NS6detail17trampoline_kernelINS0_14default_configENS1_38merge_sort_block_merge_config_selectorIhNS0_10empty_typeEEEZZNS1_27merge_sort_block_merge_implIS3_N6thrust23THRUST_200600_302600_NS6detail15normal_iteratorINS9_10device_ptrIhEEEEPS5_m11less_div_10IhEEE10hipError_tT0_T1_T2_jT3_P12ihipStream_tbPNSt15iterator_traitsISJ_E10value_typeEPNSP_ISK_E10value_typeEPSL_NS1_7vsmem_tEENKUlT_SJ_SK_SL_E_clISE_PhSF_SF_EESI_SY_SJ_SK_SL_EUlSY_E_NS1_11comp_targetILNS1_3genE3ELNS1_11target_archE908ELNS1_3gpuE7ELNS1_3repE0EEENS1_48merge_mergepath_partition_config_static_selectorELNS0_4arch9wavefront6targetE0EEEvSK_.numbered_sgpr, 0
	.set _ZN7rocprim17ROCPRIM_400000_NS6detail17trampoline_kernelINS0_14default_configENS1_38merge_sort_block_merge_config_selectorIhNS0_10empty_typeEEEZZNS1_27merge_sort_block_merge_implIS3_N6thrust23THRUST_200600_302600_NS6detail15normal_iteratorINS9_10device_ptrIhEEEEPS5_m11less_div_10IhEEE10hipError_tT0_T1_T2_jT3_P12ihipStream_tbPNSt15iterator_traitsISJ_E10value_typeEPNSP_ISK_E10value_typeEPSL_NS1_7vsmem_tEENKUlT_SJ_SK_SL_E_clISE_PhSF_SF_EESI_SY_SJ_SK_SL_EUlSY_E_NS1_11comp_targetILNS1_3genE3ELNS1_11target_archE908ELNS1_3gpuE7ELNS1_3repE0EEENS1_48merge_mergepath_partition_config_static_selectorELNS0_4arch9wavefront6targetE0EEEvSK_.num_named_barrier, 0
	.set _ZN7rocprim17ROCPRIM_400000_NS6detail17trampoline_kernelINS0_14default_configENS1_38merge_sort_block_merge_config_selectorIhNS0_10empty_typeEEEZZNS1_27merge_sort_block_merge_implIS3_N6thrust23THRUST_200600_302600_NS6detail15normal_iteratorINS9_10device_ptrIhEEEEPS5_m11less_div_10IhEEE10hipError_tT0_T1_T2_jT3_P12ihipStream_tbPNSt15iterator_traitsISJ_E10value_typeEPNSP_ISK_E10value_typeEPSL_NS1_7vsmem_tEENKUlT_SJ_SK_SL_E_clISE_PhSF_SF_EESI_SY_SJ_SK_SL_EUlSY_E_NS1_11comp_targetILNS1_3genE3ELNS1_11target_archE908ELNS1_3gpuE7ELNS1_3repE0EEENS1_48merge_mergepath_partition_config_static_selectorELNS0_4arch9wavefront6targetE0EEEvSK_.private_seg_size, 0
	.set _ZN7rocprim17ROCPRIM_400000_NS6detail17trampoline_kernelINS0_14default_configENS1_38merge_sort_block_merge_config_selectorIhNS0_10empty_typeEEEZZNS1_27merge_sort_block_merge_implIS3_N6thrust23THRUST_200600_302600_NS6detail15normal_iteratorINS9_10device_ptrIhEEEEPS5_m11less_div_10IhEEE10hipError_tT0_T1_T2_jT3_P12ihipStream_tbPNSt15iterator_traitsISJ_E10value_typeEPNSP_ISK_E10value_typeEPSL_NS1_7vsmem_tEENKUlT_SJ_SK_SL_E_clISE_PhSF_SF_EESI_SY_SJ_SK_SL_EUlSY_E_NS1_11comp_targetILNS1_3genE3ELNS1_11target_archE908ELNS1_3gpuE7ELNS1_3repE0EEENS1_48merge_mergepath_partition_config_static_selectorELNS0_4arch9wavefront6targetE0EEEvSK_.uses_vcc, 0
	.set _ZN7rocprim17ROCPRIM_400000_NS6detail17trampoline_kernelINS0_14default_configENS1_38merge_sort_block_merge_config_selectorIhNS0_10empty_typeEEEZZNS1_27merge_sort_block_merge_implIS3_N6thrust23THRUST_200600_302600_NS6detail15normal_iteratorINS9_10device_ptrIhEEEEPS5_m11less_div_10IhEEE10hipError_tT0_T1_T2_jT3_P12ihipStream_tbPNSt15iterator_traitsISJ_E10value_typeEPNSP_ISK_E10value_typeEPSL_NS1_7vsmem_tEENKUlT_SJ_SK_SL_E_clISE_PhSF_SF_EESI_SY_SJ_SK_SL_EUlSY_E_NS1_11comp_targetILNS1_3genE3ELNS1_11target_archE908ELNS1_3gpuE7ELNS1_3repE0EEENS1_48merge_mergepath_partition_config_static_selectorELNS0_4arch9wavefront6targetE0EEEvSK_.uses_flat_scratch, 0
	.set _ZN7rocprim17ROCPRIM_400000_NS6detail17trampoline_kernelINS0_14default_configENS1_38merge_sort_block_merge_config_selectorIhNS0_10empty_typeEEEZZNS1_27merge_sort_block_merge_implIS3_N6thrust23THRUST_200600_302600_NS6detail15normal_iteratorINS9_10device_ptrIhEEEEPS5_m11less_div_10IhEEE10hipError_tT0_T1_T2_jT3_P12ihipStream_tbPNSt15iterator_traitsISJ_E10value_typeEPNSP_ISK_E10value_typeEPSL_NS1_7vsmem_tEENKUlT_SJ_SK_SL_E_clISE_PhSF_SF_EESI_SY_SJ_SK_SL_EUlSY_E_NS1_11comp_targetILNS1_3genE3ELNS1_11target_archE908ELNS1_3gpuE7ELNS1_3repE0EEENS1_48merge_mergepath_partition_config_static_selectorELNS0_4arch9wavefront6targetE0EEEvSK_.has_dyn_sized_stack, 0
	.set _ZN7rocprim17ROCPRIM_400000_NS6detail17trampoline_kernelINS0_14default_configENS1_38merge_sort_block_merge_config_selectorIhNS0_10empty_typeEEEZZNS1_27merge_sort_block_merge_implIS3_N6thrust23THRUST_200600_302600_NS6detail15normal_iteratorINS9_10device_ptrIhEEEEPS5_m11less_div_10IhEEE10hipError_tT0_T1_T2_jT3_P12ihipStream_tbPNSt15iterator_traitsISJ_E10value_typeEPNSP_ISK_E10value_typeEPSL_NS1_7vsmem_tEENKUlT_SJ_SK_SL_E_clISE_PhSF_SF_EESI_SY_SJ_SK_SL_EUlSY_E_NS1_11comp_targetILNS1_3genE3ELNS1_11target_archE908ELNS1_3gpuE7ELNS1_3repE0EEENS1_48merge_mergepath_partition_config_static_selectorELNS0_4arch9wavefront6targetE0EEEvSK_.has_recursion, 0
	.set _ZN7rocprim17ROCPRIM_400000_NS6detail17trampoline_kernelINS0_14default_configENS1_38merge_sort_block_merge_config_selectorIhNS0_10empty_typeEEEZZNS1_27merge_sort_block_merge_implIS3_N6thrust23THRUST_200600_302600_NS6detail15normal_iteratorINS9_10device_ptrIhEEEEPS5_m11less_div_10IhEEE10hipError_tT0_T1_T2_jT3_P12ihipStream_tbPNSt15iterator_traitsISJ_E10value_typeEPNSP_ISK_E10value_typeEPSL_NS1_7vsmem_tEENKUlT_SJ_SK_SL_E_clISE_PhSF_SF_EESI_SY_SJ_SK_SL_EUlSY_E_NS1_11comp_targetILNS1_3genE3ELNS1_11target_archE908ELNS1_3gpuE7ELNS1_3repE0EEENS1_48merge_mergepath_partition_config_static_selectorELNS0_4arch9wavefront6targetE0EEEvSK_.has_indirect_call, 0
	.section	.AMDGPU.csdata,"",@progbits
; Kernel info:
; codeLenInByte = 0
; TotalNumSgprs: 0
; NumVgprs: 0
; ScratchSize: 0
; MemoryBound: 0
; FloatMode: 240
; IeeeMode: 1
; LDSByteSize: 0 bytes/workgroup (compile time only)
; SGPRBlocks: 0
; VGPRBlocks: 0
; NumSGPRsForWavesPerEU: 1
; NumVGPRsForWavesPerEU: 1
; Occupancy: 16
; WaveLimiterHint : 0
; COMPUTE_PGM_RSRC2:SCRATCH_EN: 0
; COMPUTE_PGM_RSRC2:USER_SGPR: 6
; COMPUTE_PGM_RSRC2:TRAP_HANDLER: 0
; COMPUTE_PGM_RSRC2:TGID_X_EN: 1
; COMPUTE_PGM_RSRC2:TGID_Y_EN: 0
; COMPUTE_PGM_RSRC2:TGID_Z_EN: 0
; COMPUTE_PGM_RSRC2:TIDIG_COMP_CNT: 0
	.section	.text._ZN7rocprim17ROCPRIM_400000_NS6detail17trampoline_kernelINS0_14default_configENS1_38merge_sort_block_merge_config_selectorIhNS0_10empty_typeEEEZZNS1_27merge_sort_block_merge_implIS3_N6thrust23THRUST_200600_302600_NS6detail15normal_iteratorINS9_10device_ptrIhEEEEPS5_m11less_div_10IhEEE10hipError_tT0_T1_T2_jT3_P12ihipStream_tbPNSt15iterator_traitsISJ_E10value_typeEPNSP_ISK_E10value_typeEPSL_NS1_7vsmem_tEENKUlT_SJ_SK_SL_E_clISE_PhSF_SF_EESI_SY_SJ_SK_SL_EUlSY_E_NS1_11comp_targetILNS1_3genE2ELNS1_11target_archE906ELNS1_3gpuE6ELNS1_3repE0EEENS1_48merge_mergepath_partition_config_static_selectorELNS0_4arch9wavefront6targetE0EEEvSK_,"axG",@progbits,_ZN7rocprim17ROCPRIM_400000_NS6detail17trampoline_kernelINS0_14default_configENS1_38merge_sort_block_merge_config_selectorIhNS0_10empty_typeEEEZZNS1_27merge_sort_block_merge_implIS3_N6thrust23THRUST_200600_302600_NS6detail15normal_iteratorINS9_10device_ptrIhEEEEPS5_m11less_div_10IhEEE10hipError_tT0_T1_T2_jT3_P12ihipStream_tbPNSt15iterator_traitsISJ_E10value_typeEPNSP_ISK_E10value_typeEPSL_NS1_7vsmem_tEENKUlT_SJ_SK_SL_E_clISE_PhSF_SF_EESI_SY_SJ_SK_SL_EUlSY_E_NS1_11comp_targetILNS1_3genE2ELNS1_11target_archE906ELNS1_3gpuE6ELNS1_3repE0EEENS1_48merge_mergepath_partition_config_static_selectorELNS0_4arch9wavefront6targetE0EEEvSK_,comdat
	.protected	_ZN7rocprim17ROCPRIM_400000_NS6detail17trampoline_kernelINS0_14default_configENS1_38merge_sort_block_merge_config_selectorIhNS0_10empty_typeEEEZZNS1_27merge_sort_block_merge_implIS3_N6thrust23THRUST_200600_302600_NS6detail15normal_iteratorINS9_10device_ptrIhEEEEPS5_m11less_div_10IhEEE10hipError_tT0_T1_T2_jT3_P12ihipStream_tbPNSt15iterator_traitsISJ_E10value_typeEPNSP_ISK_E10value_typeEPSL_NS1_7vsmem_tEENKUlT_SJ_SK_SL_E_clISE_PhSF_SF_EESI_SY_SJ_SK_SL_EUlSY_E_NS1_11comp_targetILNS1_3genE2ELNS1_11target_archE906ELNS1_3gpuE6ELNS1_3repE0EEENS1_48merge_mergepath_partition_config_static_selectorELNS0_4arch9wavefront6targetE0EEEvSK_ ; -- Begin function _ZN7rocprim17ROCPRIM_400000_NS6detail17trampoline_kernelINS0_14default_configENS1_38merge_sort_block_merge_config_selectorIhNS0_10empty_typeEEEZZNS1_27merge_sort_block_merge_implIS3_N6thrust23THRUST_200600_302600_NS6detail15normal_iteratorINS9_10device_ptrIhEEEEPS5_m11less_div_10IhEEE10hipError_tT0_T1_T2_jT3_P12ihipStream_tbPNSt15iterator_traitsISJ_E10value_typeEPNSP_ISK_E10value_typeEPSL_NS1_7vsmem_tEENKUlT_SJ_SK_SL_E_clISE_PhSF_SF_EESI_SY_SJ_SK_SL_EUlSY_E_NS1_11comp_targetILNS1_3genE2ELNS1_11target_archE906ELNS1_3gpuE6ELNS1_3repE0EEENS1_48merge_mergepath_partition_config_static_selectorELNS0_4arch9wavefront6targetE0EEEvSK_
	.globl	_ZN7rocprim17ROCPRIM_400000_NS6detail17trampoline_kernelINS0_14default_configENS1_38merge_sort_block_merge_config_selectorIhNS0_10empty_typeEEEZZNS1_27merge_sort_block_merge_implIS3_N6thrust23THRUST_200600_302600_NS6detail15normal_iteratorINS9_10device_ptrIhEEEEPS5_m11less_div_10IhEEE10hipError_tT0_T1_T2_jT3_P12ihipStream_tbPNSt15iterator_traitsISJ_E10value_typeEPNSP_ISK_E10value_typeEPSL_NS1_7vsmem_tEENKUlT_SJ_SK_SL_E_clISE_PhSF_SF_EESI_SY_SJ_SK_SL_EUlSY_E_NS1_11comp_targetILNS1_3genE2ELNS1_11target_archE906ELNS1_3gpuE6ELNS1_3repE0EEENS1_48merge_mergepath_partition_config_static_selectorELNS0_4arch9wavefront6targetE0EEEvSK_
	.p2align	8
	.type	_ZN7rocprim17ROCPRIM_400000_NS6detail17trampoline_kernelINS0_14default_configENS1_38merge_sort_block_merge_config_selectorIhNS0_10empty_typeEEEZZNS1_27merge_sort_block_merge_implIS3_N6thrust23THRUST_200600_302600_NS6detail15normal_iteratorINS9_10device_ptrIhEEEEPS5_m11less_div_10IhEEE10hipError_tT0_T1_T2_jT3_P12ihipStream_tbPNSt15iterator_traitsISJ_E10value_typeEPNSP_ISK_E10value_typeEPSL_NS1_7vsmem_tEENKUlT_SJ_SK_SL_E_clISE_PhSF_SF_EESI_SY_SJ_SK_SL_EUlSY_E_NS1_11comp_targetILNS1_3genE2ELNS1_11target_archE906ELNS1_3gpuE6ELNS1_3repE0EEENS1_48merge_mergepath_partition_config_static_selectorELNS0_4arch9wavefront6targetE0EEEvSK_,@function
_ZN7rocprim17ROCPRIM_400000_NS6detail17trampoline_kernelINS0_14default_configENS1_38merge_sort_block_merge_config_selectorIhNS0_10empty_typeEEEZZNS1_27merge_sort_block_merge_implIS3_N6thrust23THRUST_200600_302600_NS6detail15normal_iteratorINS9_10device_ptrIhEEEEPS5_m11less_div_10IhEEE10hipError_tT0_T1_T2_jT3_P12ihipStream_tbPNSt15iterator_traitsISJ_E10value_typeEPNSP_ISK_E10value_typeEPSL_NS1_7vsmem_tEENKUlT_SJ_SK_SL_E_clISE_PhSF_SF_EESI_SY_SJ_SK_SL_EUlSY_E_NS1_11comp_targetILNS1_3genE2ELNS1_11target_archE906ELNS1_3gpuE6ELNS1_3repE0EEENS1_48merge_mergepath_partition_config_static_selectorELNS0_4arch9wavefront6targetE0EEEvSK_: ; @_ZN7rocprim17ROCPRIM_400000_NS6detail17trampoline_kernelINS0_14default_configENS1_38merge_sort_block_merge_config_selectorIhNS0_10empty_typeEEEZZNS1_27merge_sort_block_merge_implIS3_N6thrust23THRUST_200600_302600_NS6detail15normal_iteratorINS9_10device_ptrIhEEEEPS5_m11less_div_10IhEEE10hipError_tT0_T1_T2_jT3_P12ihipStream_tbPNSt15iterator_traitsISJ_E10value_typeEPNSP_ISK_E10value_typeEPSL_NS1_7vsmem_tEENKUlT_SJ_SK_SL_E_clISE_PhSF_SF_EESI_SY_SJ_SK_SL_EUlSY_E_NS1_11comp_targetILNS1_3genE2ELNS1_11target_archE906ELNS1_3gpuE6ELNS1_3repE0EEENS1_48merge_mergepath_partition_config_static_selectorELNS0_4arch9wavefront6targetE0EEEvSK_
; %bb.0:
	.section	.rodata,"a",@progbits
	.p2align	6, 0x0
	.amdhsa_kernel _ZN7rocprim17ROCPRIM_400000_NS6detail17trampoline_kernelINS0_14default_configENS1_38merge_sort_block_merge_config_selectorIhNS0_10empty_typeEEEZZNS1_27merge_sort_block_merge_implIS3_N6thrust23THRUST_200600_302600_NS6detail15normal_iteratorINS9_10device_ptrIhEEEEPS5_m11less_div_10IhEEE10hipError_tT0_T1_T2_jT3_P12ihipStream_tbPNSt15iterator_traitsISJ_E10value_typeEPNSP_ISK_E10value_typeEPSL_NS1_7vsmem_tEENKUlT_SJ_SK_SL_E_clISE_PhSF_SF_EESI_SY_SJ_SK_SL_EUlSY_E_NS1_11comp_targetILNS1_3genE2ELNS1_11target_archE906ELNS1_3gpuE6ELNS1_3repE0EEENS1_48merge_mergepath_partition_config_static_selectorELNS0_4arch9wavefront6targetE0EEEvSK_
		.amdhsa_group_segment_fixed_size 0
		.amdhsa_private_segment_fixed_size 0
		.amdhsa_kernarg_size 48
		.amdhsa_user_sgpr_count 6
		.amdhsa_user_sgpr_private_segment_buffer 1
		.amdhsa_user_sgpr_dispatch_ptr 0
		.amdhsa_user_sgpr_queue_ptr 0
		.amdhsa_user_sgpr_kernarg_segment_ptr 1
		.amdhsa_user_sgpr_dispatch_id 0
		.amdhsa_user_sgpr_flat_scratch_init 0
		.amdhsa_user_sgpr_private_segment_size 0
		.amdhsa_wavefront_size32 1
		.amdhsa_uses_dynamic_stack 0
		.amdhsa_system_sgpr_private_segment_wavefront_offset 0
		.amdhsa_system_sgpr_workgroup_id_x 1
		.amdhsa_system_sgpr_workgroup_id_y 0
		.amdhsa_system_sgpr_workgroup_id_z 0
		.amdhsa_system_sgpr_workgroup_info 0
		.amdhsa_system_vgpr_workitem_id 0
		.amdhsa_next_free_vgpr 1
		.amdhsa_next_free_sgpr 1
		.amdhsa_reserve_vcc 0
		.amdhsa_reserve_flat_scratch 0
		.amdhsa_float_round_mode_32 0
		.amdhsa_float_round_mode_16_64 0
		.amdhsa_float_denorm_mode_32 3
		.amdhsa_float_denorm_mode_16_64 3
		.amdhsa_dx10_clamp 1
		.amdhsa_ieee_mode 1
		.amdhsa_fp16_overflow 0
		.amdhsa_workgroup_processor_mode 1
		.amdhsa_memory_ordered 1
		.amdhsa_forward_progress 1
		.amdhsa_shared_vgpr_count 0
		.amdhsa_exception_fp_ieee_invalid_op 0
		.amdhsa_exception_fp_denorm_src 0
		.amdhsa_exception_fp_ieee_div_zero 0
		.amdhsa_exception_fp_ieee_overflow 0
		.amdhsa_exception_fp_ieee_underflow 0
		.amdhsa_exception_fp_ieee_inexact 0
		.amdhsa_exception_int_div_zero 0
	.end_amdhsa_kernel
	.section	.text._ZN7rocprim17ROCPRIM_400000_NS6detail17trampoline_kernelINS0_14default_configENS1_38merge_sort_block_merge_config_selectorIhNS0_10empty_typeEEEZZNS1_27merge_sort_block_merge_implIS3_N6thrust23THRUST_200600_302600_NS6detail15normal_iteratorINS9_10device_ptrIhEEEEPS5_m11less_div_10IhEEE10hipError_tT0_T1_T2_jT3_P12ihipStream_tbPNSt15iterator_traitsISJ_E10value_typeEPNSP_ISK_E10value_typeEPSL_NS1_7vsmem_tEENKUlT_SJ_SK_SL_E_clISE_PhSF_SF_EESI_SY_SJ_SK_SL_EUlSY_E_NS1_11comp_targetILNS1_3genE2ELNS1_11target_archE906ELNS1_3gpuE6ELNS1_3repE0EEENS1_48merge_mergepath_partition_config_static_selectorELNS0_4arch9wavefront6targetE0EEEvSK_,"axG",@progbits,_ZN7rocprim17ROCPRIM_400000_NS6detail17trampoline_kernelINS0_14default_configENS1_38merge_sort_block_merge_config_selectorIhNS0_10empty_typeEEEZZNS1_27merge_sort_block_merge_implIS3_N6thrust23THRUST_200600_302600_NS6detail15normal_iteratorINS9_10device_ptrIhEEEEPS5_m11less_div_10IhEEE10hipError_tT0_T1_T2_jT3_P12ihipStream_tbPNSt15iterator_traitsISJ_E10value_typeEPNSP_ISK_E10value_typeEPSL_NS1_7vsmem_tEENKUlT_SJ_SK_SL_E_clISE_PhSF_SF_EESI_SY_SJ_SK_SL_EUlSY_E_NS1_11comp_targetILNS1_3genE2ELNS1_11target_archE906ELNS1_3gpuE6ELNS1_3repE0EEENS1_48merge_mergepath_partition_config_static_selectorELNS0_4arch9wavefront6targetE0EEEvSK_,comdat
.Lfunc_end722:
	.size	_ZN7rocprim17ROCPRIM_400000_NS6detail17trampoline_kernelINS0_14default_configENS1_38merge_sort_block_merge_config_selectorIhNS0_10empty_typeEEEZZNS1_27merge_sort_block_merge_implIS3_N6thrust23THRUST_200600_302600_NS6detail15normal_iteratorINS9_10device_ptrIhEEEEPS5_m11less_div_10IhEEE10hipError_tT0_T1_T2_jT3_P12ihipStream_tbPNSt15iterator_traitsISJ_E10value_typeEPNSP_ISK_E10value_typeEPSL_NS1_7vsmem_tEENKUlT_SJ_SK_SL_E_clISE_PhSF_SF_EESI_SY_SJ_SK_SL_EUlSY_E_NS1_11comp_targetILNS1_3genE2ELNS1_11target_archE906ELNS1_3gpuE6ELNS1_3repE0EEENS1_48merge_mergepath_partition_config_static_selectorELNS0_4arch9wavefront6targetE0EEEvSK_, .Lfunc_end722-_ZN7rocprim17ROCPRIM_400000_NS6detail17trampoline_kernelINS0_14default_configENS1_38merge_sort_block_merge_config_selectorIhNS0_10empty_typeEEEZZNS1_27merge_sort_block_merge_implIS3_N6thrust23THRUST_200600_302600_NS6detail15normal_iteratorINS9_10device_ptrIhEEEEPS5_m11less_div_10IhEEE10hipError_tT0_T1_T2_jT3_P12ihipStream_tbPNSt15iterator_traitsISJ_E10value_typeEPNSP_ISK_E10value_typeEPSL_NS1_7vsmem_tEENKUlT_SJ_SK_SL_E_clISE_PhSF_SF_EESI_SY_SJ_SK_SL_EUlSY_E_NS1_11comp_targetILNS1_3genE2ELNS1_11target_archE906ELNS1_3gpuE6ELNS1_3repE0EEENS1_48merge_mergepath_partition_config_static_selectorELNS0_4arch9wavefront6targetE0EEEvSK_
                                        ; -- End function
	.set _ZN7rocprim17ROCPRIM_400000_NS6detail17trampoline_kernelINS0_14default_configENS1_38merge_sort_block_merge_config_selectorIhNS0_10empty_typeEEEZZNS1_27merge_sort_block_merge_implIS3_N6thrust23THRUST_200600_302600_NS6detail15normal_iteratorINS9_10device_ptrIhEEEEPS5_m11less_div_10IhEEE10hipError_tT0_T1_T2_jT3_P12ihipStream_tbPNSt15iterator_traitsISJ_E10value_typeEPNSP_ISK_E10value_typeEPSL_NS1_7vsmem_tEENKUlT_SJ_SK_SL_E_clISE_PhSF_SF_EESI_SY_SJ_SK_SL_EUlSY_E_NS1_11comp_targetILNS1_3genE2ELNS1_11target_archE906ELNS1_3gpuE6ELNS1_3repE0EEENS1_48merge_mergepath_partition_config_static_selectorELNS0_4arch9wavefront6targetE0EEEvSK_.num_vgpr, 0
	.set _ZN7rocprim17ROCPRIM_400000_NS6detail17trampoline_kernelINS0_14default_configENS1_38merge_sort_block_merge_config_selectorIhNS0_10empty_typeEEEZZNS1_27merge_sort_block_merge_implIS3_N6thrust23THRUST_200600_302600_NS6detail15normal_iteratorINS9_10device_ptrIhEEEEPS5_m11less_div_10IhEEE10hipError_tT0_T1_T2_jT3_P12ihipStream_tbPNSt15iterator_traitsISJ_E10value_typeEPNSP_ISK_E10value_typeEPSL_NS1_7vsmem_tEENKUlT_SJ_SK_SL_E_clISE_PhSF_SF_EESI_SY_SJ_SK_SL_EUlSY_E_NS1_11comp_targetILNS1_3genE2ELNS1_11target_archE906ELNS1_3gpuE6ELNS1_3repE0EEENS1_48merge_mergepath_partition_config_static_selectorELNS0_4arch9wavefront6targetE0EEEvSK_.num_agpr, 0
	.set _ZN7rocprim17ROCPRIM_400000_NS6detail17trampoline_kernelINS0_14default_configENS1_38merge_sort_block_merge_config_selectorIhNS0_10empty_typeEEEZZNS1_27merge_sort_block_merge_implIS3_N6thrust23THRUST_200600_302600_NS6detail15normal_iteratorINS9_10device_ptrIhEEEEPS5_m11less_div_10IhEEE10hipError_tT0_T1_T2_jT3_P12ihipStream_tbPNSt15iterator_traitsISJ_E10value_typeEPNSP_ISK_E10value_typeEPSL_NS1_7vsmem_tEENKUlT_SJ_SK_SL_E_clISE_PhSF_SF_EESI_SY_SJ_SK_SL_EUlSY_E_NS1_11comp_targetILNS1_3genE2ELNS1_11target_archE906ELNS1_3gpuE6ELNS1_3repE0EEENS1_48merge_mergepath_partition_config_static_selectorELNS0_4arch9wavefront6targetE0EEEvSK_.numbered_sgpr, 0
	.set _ZN7rocprim17ROCPRIM_400000_NS6detail17trampoline_kernelINS0_14default_configENS1_38merge_sort_block_merge_config_selectorIhNS0_10empty_typeEEEZZNS1_27merge_sort_block_merge_implIS3_N6thrust23THRUST_200600_302600_NS6detail15normal_iteratorINS9_10device_ptrIhEEEEPS5_m11less_div_10IhEEE10hipError_tT0_T1_T2_jT3_P12ihipStream_tbPNSt15iterator_traitsISJ_E10value_typeEPNSP_ISK_E10value_typeEPSL_NS1_7vsmem_tEENKUlT_SJ_SK_SL_E_clISE_PhSF_SF_EESI_SY_SJ_SK_SL_EUlSY_E_NS1_11comp_targetILNS1_3genE2ELNS1_11target_archE906ELNS1_3gpuE6ELNS1_3repE0EEENS1_48merge_mergepath_partition_config_static_selectorELNS0_4arch9wavefront6targetE0EEEvSK_.num_named_barrier, 0
	.set _ZN7rocprim17ROCPRIM_400000_NS6detail17trampoline_kernelINS0_14default_configENS1_38merge_sort_block_merge_config_selectorIhNS0_10empty_typeEEEZZNS1_27merge_sort_block_merge_implIS3_N6thrust23THRUST_200600_302600_NS6detail15normal_iteratorINS9_10device_ptrIhEEEEPS5_m11less_div_10IhEEE10hipError_tT0_T1_T2_jT3_P12ihipStream_tbPNSt15iterator_traitsISJ_E10value_typeEPNSP_ISK_E10value_typeEPSL_NS1_7vsmem_tEENKUlT_SJ_SK_SL_E_clISE_PhSF_SF_EESI_SY_SJ_SK_SL_EUlSY_E_NS1_11comp_targetILNS1_3genE2ELNS1_11target_archE906ELNS1_3gpuE6ELNS1_3repE0EEENS1_48merge_mergepath_partition_config_static_selectorELNS0_4arch9wavefront6targetE0EEEvSK_.private_seg_size, 0
	.set _ZN7rocprim17ROCPRIM_400000_NS6detail17trampoline_kernelINS0_14default_configENS1_38merge_sort_block_merge_config_selectorIhNS0_10empty_typeEEEZZNS1_27merge_sort_block_merge_implIS3_N6thrust23THRUST_200600_302600_NS6detail15normal_iteratorINS9_10device_ptrIhEEEEPS5_m11less_div_10IhEEE10hipError_tT0_T1_T2_jT3_P12ihipStream_tbPNSt15iterator_traitsISJ_E10value_typeEPNSP_ISK_E10value_typeEPSL_NS1_7vsmem_tEENKUlT_SJ_SK_SL_E_clISE_PhSF_SF_EESI_SY_SJ_SK_SL_EUlSY_E_NS1_11comp_targetILNS1_3genE2ELNS1_11target_archE906ELNS1_3gpuE6ELNS1_3repE0EEENS1_48merge_mergepath_partition_config_static_selectorELNS0_4arch9wavefront6targetE0EEEvSK_.uses_vcc, 0
	.set _ZN7rocprim17ROCPRIM_400000_NS6detail17trampoline_kernelINS0_14default_configENS1_38merge_sort_block_merge_config_selectorIhNS0_10empty_typeEEEZZNS1_27merge_sort_block_merge_implIS3_N6thrust23THRUST_200600_302600_NS6detail15normal_iteratorINS9_10device_ptrIhEEEEPS5_m11less_div_10IhEEE10hipError_tT0_T1_T2_jT3_P12ihipStream_tbPNSt15iterator_traitsISJ_E10value_typeEPNSP_ISK_E10value_typeEPSL_NS1_7vsmem_tEENKUlT_SJ_SK_SL_E_clISE_PhSF_SF_EESI_SY_SJ_SK_SL_EUlSY_E_NS1_11comp_targetILNS1_3genE2ELNS1_11target_archE906ELNS1_3gpuE6ELNS1_3repE0EEENS1_48merge_mergepath_partition_config_static_selectorELNS0_4arch9wavefront6targetE0EEEvSK_.uses_flat_scratch, 0
	.set _ZN7rocprim17ROCPRIM_400000_NS6detail17trampoline_kernelINS0_14default_configENS1_38merge_sort_block_merge_config_selectorIhNS0_10empty_typeEEEZZNS1_27merge_sort_block_merge_implIS3_N6thrust23THRUST_200600_302600_NS6detail15normal_iteratorINS9_10device_ptrIhEEEEPS5_m11less_div_10IhEEE10hipError_tT0_T1_T2_jT3_P12ihipStream_tbPNSt15iterator_traitsISJ_E10value_typeEPNSP_ISK_E10value_typeEPSL_NS1_7vsmem_tEENKUlT_SJ_SK_SL_E_clISE_PhSF_SF_EESI_SY_SJ_SK_SL_EUlSY_E_NS1_11comp_targetILNS1_3genE2ELNS1_11target_archE906ELNS1_3gpuE6ELNS1_3repE0EEENS1_48merge_mergepath_partition_config_static_selectorELNS0_4arch9wavefront6targetE0EEEvSK_.has_dyn_sized_stack, 0
	.set _ZN7rocprim17ROCPRIM_400000_NS6detail17trampoline_kernelINS0_14default_configENS1_38merge_sort_block_merge_config_selectorIhNS0_10empty_typeEEEZZNS1_27merge_sort_block_merge_implIS3_N6thrust23THRUST_200600_302600_NS6detail15normal_iteratorINS9_10device_ptrIhEEEEPS5_m11less_div_10IhEEE10hipError_tT0_T1_T2_jT3_P12ihipStream_tbPNSt15iterator_traitsISJ_E10value_typeEPNSP_ISK_E10value_typeEPSL_NS1_7vsmem_tEENKUlT_SJ_SK_SL_E_clISE_PhSF_SF_EESI_SY_SJ_SK_SL_EUlSY_E_NS1_11comp_targetILNS1_3genE2ELNS1_11target_archE906ELNS1_3gpuE6ELNS1_3repE0EEENS1_48merge_mergepath_partition_config_static_selectorELNS0_4arch9wavefront6targetE0EEEvSK_.has_recursion, 0
	.set _ZN7rocprim17ROCPRIM_400000_NS6detail17trampoline_kernelINS0_14default_configENS1_38merge_sort_block_merge_config_selectorIhNS0_10empty_typeEEEZZNS1_27merge_sort_block_merge_implIS3_N6thrust23THRUST_200600_302600_NS6detail15normal_iteratorINS9_10device_ptrIhEEEEPS5_m11less_div_10IhEEE10hipError_tT0_T1_T2_jT3_P12ihipStream_tbPNSt15iterator_traitsISJ_E10value_typeEPNSP_ISK_E10value_typeEPSL_NS1_7vsmem_tEENKUlT_SJ_SK_SL_E_clISE_PhSF_SF_EESI_SY_SJ_SK_SL_EUlSY_E_NS1_11comp_targetILNS1_3genE2ELNS1_11target_archE906ELNS1_3gpuE6ELNS1_3repE0EEENS1_48merge_mergepath_partition_config_static_selectorELNS0_4arch9wavefront6targetE0EEEvSK_.has_indirect_call, 0
	.section	.AMDGPU.csdata,"",@progbits
; Kernel info:
; codeLenInByte = 0
; TotalNumSgprs: 0
; NumVgprs: 0
; ScratchSize: 0
; MemoryBound: 0
; FloatMode: 240
; IeeeMode: 1
; LDSByteSize: 0 bytes/workgroup (compile time only)
; SGPRBlocks: 0
; VGPRBlocks: 0
; NumSGPRsForWavesPerEU: 1
; NumVGPRsForWavesPerEU: 1
; Occupancy: 16
; WaveLimiterHint : 0
; COMPUTE_PGM_RSRC2:SCRATCH_EN: 0
; COMPUTE_PGM_RSRC2:USER_SGPR: 6
; COMPUTE_PGM_RSRC2:TRAP_HANDLER: 0
; COMPUTE_PGM_RSRC2:TGID_X_EN: 1
; COMPUTE_PGM_RSRC2:TGID_Y_EN: 0
; COMPUTE_PGM_RSRC2:TGID_Z_EN: 0
; COMPUTE_PGM_RSRC2:TIDIG_COMP_CNT: 0
	.section	.text._ZN7rocprim17ROCPRIM_400000_NS6detail17trampoline_kernelINS0_14default_configENS1_38merge_sort_block_merge_config_selectorIhNS0_10empty_typeEEEZZNS1_27merge_sort_block_merge_implIS3_N6thrust23THRUST_200600_302600_NS6detail15normal_iteratorINS9_10device_ptrIhEEEEPS5_m11less_div_10IhEEE10hipError_tT0_T1_T2_jT3_P12ihipStream_tbPNSt15iterator_traitsISJ_E10value_typeEPNSP_ISK_E10value_typeEPSL_NS1_7vsmem_tEENKUlT_SJ_SK_SL_E_clISE_PhSF_SF_EESI_SY_SJ_SK_SL_EUlSY_E_NS1_11comp_targetILNS1_3genE9ELNS1_11target_archE1100ELNS1_3gpuE3ELNS1_3repE0EEENS1_48merge_mergepath_partition_config_static_selectorELNS0_4arch9wavefront6targetE0EEEvSK_,"axG",@progbits,_ZN7rocprim17ROCPRIM_400000_NS6detail17trampoline_kernelINS0_14default_configENS1_38merge_sort_block_merge_config_selectorIhNS0_10empty_typeEEEZZNS1_27merge_sort_block_merge_implIS3_N6thrust23THRUST_200600_302600_NS6detail15normal_iteratorINS9_10device_ptrIhEEEEPS5_m11less_div_10IhEEE10hipError_tT0_T1_T2_jT3_P12ihipStream_tbPNSt15iterator_traitsISJ_E10value_typeEPNSP_ISK_E10value_typeEPSL_NS1_7vsmem_tEENKUlT_SJ_SK_SL_E_clISE_PhSF_SF_EESI_SY_SJ_SK_SL_EUlSY_E_NS1_11comp_targetILNS1_3genE9ELNS1_11target_archE1100ELNS1_3gpuE3ELNS1_3repE0EEENS1_48merge_mergepath_partition_config_static_selectorELNS0_4arch9wavefront6targetE0EEEvSK_,comdat
	.protected	_ZN7rocprim17ROCPRIM_400000_NS6detail17trampoline_kernelINS0_14default_configENS1_38merge_sort_block_merge_config_selectorIhNS0_10empty_typeEEEZZNS1_27merge_sort_block_merge_implIS3_N6thrust23THRUST_200600_302600_NS6detail15normal_iteratorINS9_10device_ptrIhEEEEPS5_m11less_div_10IhEEE10hipError_tT0_T1_T2_jT3_P12ihipStream_tbPNSt15iterator_traitsISJ_E10value_typeEPNSP_ISK_E10value_typeEPSL_NS1_7vsmem_tEENKUlT_SJ_SK_SL_E_clISE_PhSF_SF_EESI_SY_SJ_SK_SL_EUlSY_E_NS1_11comp_targetILNS1_3genE9ELNS1_11target_archE1100ELNS1_3gpuE3ELNS1_3repE0EEENS1_48merge_mergepath_partition_config_static_selectorELNS0_4arch9wavefront6targetE0EEEvSK_ ; -- Begin function _ZN7rocprim17ROCPRIM_400000_NS6detail17trampoline_kernelINS0_14default_configENS1_38merge_sort_block_merge_config_selectorIhNS0_10empty_typeEEEZZNS1_27merge_sort_block_merge_implIS3_N6thrust23THRUST_200600_302600_NS6detail15normal_iteratorINS9_10device_ptrIhEEEEPS5_m11less_div_10IhEEE10hipError_tT0_T1_T2_jT3_P12ihipStream_tbPNSt15iterator_traitsISJ_E10value_typeEPNSP_ISK_E10value_typeEPSL_NS1_7vsmem_tEENKUlT_SJ_SK_SL_E_clISE_PhSF_SF_EESI_SY_SJ_SK_SL_EUlSY_E_NS1_11comp_targetILNS1_3genE9ELNS1_11target_archE1100ELNS1_3gpuE3ELNS1_3repE0EEENS1_48merge_mergepath_partition_config_static_selectorELNS0_4arch9wavefront6targetE0EEEvSK_
	.globl	_ZN7rocprim17ROCPRIM_400000_NS6detail17trampoline_kernelINS0_14default_configENS1_38merge_sort_block_merge_config_selectorIhNS0_10empty_typeEEEZZNS1_27merge_sort_block_merge_implIS3_N6thrust23THRUST_200600_302600_NS6detail15normal_iteratorINS9_10device_ptrIhEEEEPS5_m11less_div_10IhEEE10hipError_tT0_T1_T2_jT3_P12ihipStream_tbPNSt15iterator_traitsISJ_E10value_typeEPNSP_ISK_E10value_typeEPSL_NS1_7vsmem_tEENKUlT_SJ_SK_SL_E_clISE_PhSF_SF_EESI_SY_SJ_SK_SL_EUlSY_E_NS1_11comp_targetILNS1_3genE9ELNS1_11target_archE1100ELNS1_3gpuE3ELNS1_3repE0EEENS1_48merge_mergepath_partition_config_static_selectorELNS0_4arch9wavefront6targetE0EEEvSK_
	.p2align	8
	.type	_ZN7rocprim17ROCPRIM_400000_NS6detail17trampoline_kernelINS0_14default_configENS1_38merge_sort_block_merge_config_selectorIhNS0_10empty_typeEEEZZNS1_27merge_sort_block_merge_implIS3_N6thrust23THRUST_200600_302600_NS6detail15normal_iteratorINS9_10device_ptrIhEEEEPS5_m11less_div_10IhEEE10hipError_tT0_T1_T2_jT3_P12ihipStream_tbPNSt15iterator_traitsISJ_E10value_typeEPNSP_ISK_E10value_typeEPSL_NS1_7vsmem_tEENKUlT_SJ_SK_SL_E_clISE_PhSF_SF_EESI_SY_SJ_SK_SL_EUlSY_E_NS1_11comp_targetILNS1_3genE9ELNS1_11target_archE1100ELNS1_3gpuE3ELNS1_3repE0EEENS1_48merge_mergepath_partition_config_static_selectorELNS0_4arch9wavefront6targetE0EEEvSK_,@function
_ZN7rocprim17ROCPRIM_400000_NS6detail17trampoline_kernelINS0_14default_configENS1_38merge_sort_block_merge_config_selectorIhNS0_10empty_typeEEEZZNS1_27merge_sort_block_merge_implIS3_N6thrust23THRUST_200600_302600_NS6detail15normal_iteratorINS9_10device_ptrIhEEEEPS5_m11less_div_10IhEEE10hipError_tT0_T1_T2_jT3_P12ihipStream_tbPNSt15iterator_traitsISJ_E10value_typeEPNSP_ISK_E10value_typeEPSL_NS1_7vsmem_tEENKUlT_SJ_SK_SL_E_clISE_PhSF_SF_EESI_SY_SJ_SK_SL_EUlSY_E_NS1_11comp_targetILNS1_3genE9ELNS1_11target_archE1100ELNS1_3gpuE3ELNS1_3repE0EEENS1_48merge_mergepath_partition_config_static_selectorELNS0_4arch9wavefront6targetE0EEEvSK_: ; @_ZN7rocprim17ROCPRIM_400000_NS6detail17trampoline_kernelINS0_14default_configENS1_38merge_sort_block_merge_config_selectorIhNS0_10empty_typeEEEZZNS1_27merge_sort_block_merge_implIS3_N6thrust23THRUST_200600_302600_NS6detail15normal_iteratorINS9_10device_ptrIhEEEEPS5_m11less_div_10IhEEE10hipError_tT0_T1_T2_jT3_P12ihipStream_tbPNSt15iterator_traitsISJ_E10value_typeEPNSP_ISK_E10value_typeEPSL_NS1_7vsmem_tEENKUlT_SJ_SK_SL_E_clISE_PhSF_SF_EESI_SY_SJ_SK_SL_EUlSY_E_NS1_11comp_targetILNS1_3genE9ELNS1_11target_archE1100ELNS1_3gpuE3ELNS1_3repE0EEENS1_48merge_mergepath_partition_config_static_selectorELNS0_4arch9wavefront6targetE0EEEvSK_
; %bb.0:
	.section	.rodata,"a",@progbits
	.p2align	6, 0x0
	.amdhsa_kernel _ZN7rocprim17ROCPRIM_400000_NS6detail17trampoline_kernelINS0_14default_configENS1_38merge_sort_block_merge_config_selectorIhNS0_10empty_typeEEEZZNS1_27merge_sort_block_merge_implIS3_N6thrust23THRUST_200600_302600_NS6detail15normal_iteratorINS9_10device_ptrIhEEEEPS5_m11less_div_10IhEEE10hipError_tT0_T1_T2_jT3_P12ihipStream_tbPNSt15iterator_traitsISJ_E10value_typeEPNSP_ISK_E10value_typeEPSL_NS1_7vsmem_tEENKUlT_SJ_SK_SL_E_clISE_PhSF_SF_EESI_SY_SJ_SK_SL_EUlSY_E_NS1_11comp_targetILNS1_3genE9ELNS1_11target_archE1100ELNS1_3gpuE3ELNS1_3repE0EEENS1_48merge_mergepath_partition_config_static_selectorELNS0_4arch9wavefront6targetE0EEEvSK_
		.amdhsa_group_segment_fixed_size 0
		.amdhsa_private_segment_fixed_size 0
		.amdhsa_kernarg_size 48
		.amdhsa_user_sgpr_count 6
		.amdhsa_user_sgpr_private_segment_buffer 1
		.amdhsa_user_sgpr_dispatch_ptr 0
		.amdhsa_user_sgpr_queue_ptr 0
		.amdhsa_user_sgpr_kernarg_segment_ptr 1
		.amdhsa_user_sgpr_dispatch_id 0
		.amdhsa_user_sgpr_flat_scratch_init 0
		.amdhsa_user_sgpr_private_segment_size 0
		.amdhsa_wavefront_size32 1
		.amdhsa_uses_dynamic_stack 0
		.amdhsa_system_sgpr_private_segment_wavefront_offset 0
		.amdhsa_system_sgpr_workgroup_id_x 1
		.amdhsa_system_sgpr_workgroup_id_y 0
		.amdhsa_system_sgpr_workgroup_id_z 0
		.amdhsa_system_sgpr_workgroup_info 0
		.amdhsa_system_vgpr_workitem_id 0
		.amdhsa_next_free_vgpr 1
		.amdhsa_next_free_sgpr 1
		.amdhsa_reserve_vcc 0
		.amdhsa_reserve_flat_scratch 0
		.amdhsa_float_round_mode_32 0
		.amdhsa_float_round_mode_16_64 0
		.amdhsa_float_denorm_mode_32 3
		.amdhsa_float_denorm_mode_16_64 3
		.amdhsa_dx10_clamp 1
		.amdhsa_ieee_mode 1
		.amdhsa_fp16_overflow 0
		.amdhsa_workgroup_processor_mode 1
		.amdhsa_memory_ordered 1
		.amdhsa_forward_progress 1
		.amdhsa_shared_vgpr_count 0
		.amdhsa_exception_fp_ieee_invalid_op 0
		.amdhsa_exception_fp_denorm_src 0
		.amdhsa_exception_fp_ieee_div_zero 0
		.amdhsa_exception_fp_ieee_overflow 0
		.amdhsa_exception_fp_ieee_underflow 0
		.amdhsa_exception_fp_ieee_inexact 0
		.amdhsa_exception_int_div_zero 0
	.end_amdhsa_kernel
	.section	.text._ZN7rocprim17ROCPRIM_400000_NS6detail17trampoline_kernelINS0_14default_configENS1_38merge_sort_block_merge_config_selectorIhNS0_10empty_typeEEEZZNS1_27merge_sort_block_merge_implIS3_N6thrust23THRUST_200600_302600_NS6detail15normal_iteratorINS9_10device_ptrIhEEEEPS5_m11less_div_10IhEEE10hipError_tT0_T1_T2_jT3_P12ihipStream_tbPNSt15iterator_traitsISJ_E10value_typeEPNSP_ISK_E10value_typeEPSL_NS1_7vsmem_tEENKUlT_SJ_SK_SL_E_clISE_PhSF_SF_EESI_SY_SJ_SK_SL_EUlSY_E_NS1_11comp_targetILNS1_3genE9ELNS1_11target_archE1100ELNS1_3gpuE3ELNS1_3repE0EEENS1_48merge_mergepath_partition_config_static_selectorELNS0_4arch9wavefront6targetE0EEEvSK_,"axG",@progbits,_ZN7rocprim17ROCPRIM_400000_NS6detail17trampoline_kernelINS0_14default_configENS1_38merge_sort_block_merge_config_selectorIhNS0_10empty_typeEEEZZNS1_27merge_sort_block_merge_implIS3_N6thrust23THRUST_200600_302600_NS6detail15normal_iteratorINS9_10device_ptrIhEEEEPS5_m11less_div_10IhEEE10hipError_tT0_T1_T2_jT3_P12ihipStream_tbPNSt15iterator_traitsISJ_E10value_typeEPNSP_ISK_E10value_typeEPSL_NS1_7vsmem_tEENKUlT_SJ_SK_SL_E_clISE_PhSF_SF_EESI_SY_SJ_SK_SL_EUlSY_E_NS1_11comp_targetILNS1_3genE9ELNS1_11target_archE1100ELNS1_3gpuE3ELNS1_3repE0EEENS1_48merge_mergepath_partition_config_static_selectorELNS0_4arch9wavefront6targetE0EEEvSK_,comdat
.Lfunc_end723:
	.size	_ZN7rocprim17ROCPRIM_400000_NS6detail17trampoline_kernelINS0_14default_configENS1_38merge_sort_block_merge_config_selectorIhNS0_10empty_typeEEEZZNS1_27merge_sort_block_merge_implIS3_N6thrust23THRUST_200600_302600_NS6detail15normal_iteratorINS9_10device_ptrIhEEEEPS5_m11less_div_10IhEEE10hipError_tT0_T1_T2_jT3_P12ihipStream_tbPNSt15iterator_traitsISJ_E10value_typeEPNSP_ISK_E10value_typeEPSL_NS1_7vsmem_tEENKUlT_SJ_SK_SL_E_clISE_PhSF_SF_EESI_SY_SJ_SK_SL_EUlSY_E_NS1_11comp_targetILNS1_3genE9ELNS1_11target_archE1100ELNS1_3gpuE3ELNS1_3repE0EEENS1_48merge_mergepath_partition_config_static_selectorELNS0_4arch9wavefront6targetE0EEEvSK_, .Lfunc_end723-_ZN7rocprim17ROCPRIM_400000_NS6detail17trampoline_kernelINS0_14default_configENS1_38merge_sort_block_merge_config_selectorIhNS0_10empty_typeEEEZZNS1_27merge_sort_block_merge_implIS3_N6thrust23THRUST_200600_302600_NS6detail15normal_iteratorINS9_10device_ptrIhEEEEPS5_m11less_div_10IhEEE10hipError_tT0_T1_T2_jT3_P12ihipStream_tbPNSt15iterator_traitsISJ_E10value_typeEPNSP_ISK_E10value_typeEPSL_NS1_7vsmem_tEENKUlT_SJ_SK_SL_E_clISE_PhSF_SF_EESI_SY_SJ_SK_SL_EUlSY_E_NS1_11comp_targetILNS1_3genE9ELNS1_11target_archE1100ELNS1_3gpuE3ELNS1_3repE0EEENS1_48merge_mergepath_partition_config_static_selectorELNS0_4arch9wavefront6targetE0EEEvSK_
                                        ; -- End function
	.set _ZN7rocprim17ROCPRIM_400000_NS6detail17trampoline_kernelINS0_14default_configENS1_38merge_sort_block_merge_config_selectorIhNS0_10empty_typeEEEZZNS1_27merge_sort_block_merge_implIS3_N6thrust23THRUST_200600_302600_NS6detail15normal_iteratorINS9_10device_ptrIhEEEEPS5_m11less_div_10IhEEE10hipError_tT0_T1_T2_jT3_P12ihipStream_tbPNSt15iterator_traitsISJ_E10value_typeEPNSP_ISK_E10value_typeEPSL_NS1_7vsmem_tEENKUlT_SJ_SK_SL_E_clISE_PhSF_SF_EESI_SY_SJ_SK_SL_EUlSY_E_NS1_11comp_targetILNS1_3genE9ELNS1_11target_archE1100ELNS1_3gpuE3ELNS1_3repE0EEENS1_48merge_mergepath_partition_config_static_selectorELNS0_4arch9wavefront6targetE0EEEvSK_.num_vgpr, 0
	.set _ZN7rocprim17ROCPRIM_400000_NS6detail17trampoline_kernelINS0_14default_configENS1_38merge_sort_block_merge_config_selectorIhNS0_10empty_typeEEEZZNS1_27merge_sort_block_merge_implIS3_N6thrust23THRUST_200600_302600_NS6detail15normal_iteratorINS9_10device_ptrIhEEEEPS5_m11less_div_10IhEEE10hipError_tT0_T1_T2_jT3_P12ihipStream_tbPNSt15iterator_traitsISJ_E10value_typeEPNSP_ISK_E10value_typeEPSL_NS1_7vsmem_tEENKUlT_SJ_SK_SL_E_clISE_PhSF_SF_EESI_SY_SJ_SK_SL_EUlSY_E_NS1_11comp_targetILNS1_3genE9ELNS1_11target_archE1100ELNS1_3gpuE3ELNS1_3repE0EEENS1_48merge_mergepath_partition_config_static_selectorELNS0_4arch9wavefront6targetE0EEEvSK_.num_agpr, 0
	.set _ZN7rocprim17ROCPRIM_400000_NS6detail17trampoline_kernelINS0_14default_configENS1_38merge_sort_block_merge_config_selectorIhNS0_10empty_typeEEEZZNS1_27merge_sort_block_merge_implIS3_N6thrust23THRUST_200600_302600_NS6detail15normal_iteratorINS9_10device_ptrIhEEEEPS5_m11less_div_10IhEEE10hipError_tT0_T1_T2_jT3_P12ihipStream_tbPNSt15iterator_traitsISJ_E10value_typeEPNSP_ISK_E10value_typeEPSL_NS1_7vsmem_tEENKUlT_SJ_SK_SL_E_clISE_PhSF_SF_EESI_SY_SJ_SK_SL_EUlSY_E_NS1_11comp_targetILNS1_3genE9ELNS1_11target_archE1100ELNS1_3gpuE3ELNS1_3repE0EEENS1_48merge_mergepath_partition_config_static_selectorELNS0_4arch9wavefront6targetE0EEEvSK_.numbered_sgpr, 0
	.set _ZN7rocprim17ROCPRIM_400000_NS6detail17trampoline_kernelINS0_14default_configENS1_38merge_sort_block_merge_config_selectorIhNS0_10empty_typeEEEZZNS1_27merge_sort_block_merge_implIS3_N6thrust23THRUST_200600_302600_NS6detail15normal_iteratorINS9_10device_ptrIhEEEEPS5_m11less_div_10IhEEE10hipError_tT0_T1_T2_jT3_P12ihipStream_tbPNSt15iterator_traitsISJ_E10value_typeEPNSP_ISK_E10value_typeEPSL_NS1_7vsmem_tEENKUlT_SJ_SK_SL_E_clISE_PhSF_SF_EESI_SY_SJ_SK_SL_EUlSY_E_NS1_11comp_targetILNS1_3genE9ELNS1_11target_archE1100ELNS1_3gpuE3ELNS1_3repE0EEENS1_48merge_mergepath_partition_config_static_selectorELNS0_4arch9wavefront6targetE0EEEvSK_.num_named_barrier, 0
	.set _ZN7rocprim17ROCPRIM_400000_NS6detail17trampoline_kernelINS0_14default_configENS1_38merge_sort_block_merge_config_selectorIhNS0_10empty_typeEEEZZNS1_27merge_sort_block_merge_implIS3_N6thrust23THRUST_200600_302600_NS6detail15normal_iteratorINS9_10device_ptrIhEEEEPS5_m11less_div_10IhEEE10hipError_tT0_T1_T2_jT3_P12ihipStream_tbPNSt15iterator_traitsISJ_E10value_typeEPNSP_ISK_E10value_typeEPSL_NS1_7vsmem_tEENKUlT_SJ_SK_SL_E_clISE_PhSF_SF_EESI_SY_SJ_SK_SL_EUlSY_E_NS1_11comp_targetILNS1_3genE9ELNS1_11target_archE1100ELNS1_3gpuE3ELNS1_3repE0EEENS1_48merge_mergepath_partition_config_static_selectorELNS0_4arch9wavefront6targetE0EEEvSK_.private_seg_size, 0
	.set _ZN7rocprim17ROCPRIM_400000_NS6detail17trampoline_kernelINS0_14default_configENS1_38merge_sort_block_merge_config_selectorIhNS0_10empty_typeEEEZZNS1_27merge_sort_block_merge_implIS3_N6thrust23THRUST_200600_302600_NS6detail15normal_iteratorINS9_10device_ptrIhEEEEPS5_m11less_div_10IhEEE10hipError_tT0_T1_T2_jT3_P12ihipStream_tbPNSt15iterator_traitsISJ_E10value_typeEPNSP_ISK_E10value_typeEPSL_NS1_7vsmem_tEENKUlT_SJ_SK_SL_E_clISE_PhSF_SF_EESI_SY_SJ_SK_SL_EUlSY_E_NS1_11comp_targetILNS1_3genE9ELNS1_11target_archE1100ELNS1_3gpuE3ELNS1_3repE0EEENS1_48merge_mergepath_partition_config_static_selectorELNS0_4arch9wavefront6targetE0EEEvSK_.uses_vcc, 0
	.set _ZN7rocprim17ROCPRIM_400000_NS6detail17trampoline_kernelINS0_14default_configENS1_38merge_sort_block_merge_config_selectorIhNS0_10empty_typeEEEZZNS1_27merge_sort_block_merge_implIS3_N6thrust23THRUST_200600_302600_NS6detail15normal_iteratorINS9_10device_ptrIhEEEEPS5_m11less_div_10IhEEE10hipError_tT0_T1_T2_jT3_P12ihipStream_tbPNSt15iterator_traitsISJ_E10value_typeEPNSP_ISK_E10value_typeEPSL_NS1_7vsmem_tEENKUlT_SJ_SK_SL_E_clISE_PhSF_SF_EESI_SY_SJ_SK_SL_EUlSY_E_NS1_11comp_targetILNS1_3genE9ELNS1_11target_archE1100ELNS1_3gpuE3ELNS1_3repE0EEENS1_48merge_mergepath_partition_config_static_selectorELNS0_4arch9wavefront6targetE0EEEvSK_.uses_flat_scratch, 0
	.set _ZN7rocprim17ROCPRIM_400000_NS6detail17trampoline_kernelINS0_14default_configENS1_38merge_sort_block_merge_config_selectorIhNS0_10empty_typeEEEZZNS1_27merge_sort_block_merge_implIS3_N6thrust23THRUST_200600_302600_NS6detail15normal_iteratorINS9_10device_ptrIhEEEEPS5_m11less_div_10IhEEE10hipError_tT0_T1_T2_jT3_P12ihipStream_tbPNSt15iterator_traitsISJ_E10value_typeEPNSP_ISK_E10value_typeEPSL_NS1_7vsmem_tEENKUlT_SJ_SK_SL_E_clISE_PhSF_SF_EESI_SY_SJ_SK_SL_EUlSY_E_NS1_11comp_targetILNS1_3genE9ELNS1_11target_archE1100ELNS1_3gpuE3ELNS1_3repE0EEENS1_48merge_mergepath_partition_config_static_selectorELNS0_4arch9wavefront6targetE0EEEvSK_.has_dyn_sized_stack, 0
	.set _ZN7rocprim17ROCPRIM_400000_NS6detail17trampoline_kernelINS0_14default_configENS1_38merge_sort_block_merge_config_selectorIhNS0_10empty_typeEEEZZNS1_27merge_sort_block_merge_implIS3_N6thrust23THRUST_200600_302600_NS6detail15normal_iteratorINS9_10device_ptrIhEEEEPS5_m11less_div_10IhEEE10hipError_tT0_T1_T2_jT3_P12ihipStream_tbPNSt15iterator_traitsISJ_E10value_typeEPNSP_ISK_E10value_typeEPSL_NS1_7vsmem_tEENKUlT_SJ_SK_SL_E_clISE_PhSF_SF_EESI_SY_SJ_SK_SL_EUlSY_E_NS1_11comp_targetILNS1_3genE9ELNS1_11target_archE1100ELNS1_3gpuE3ELNS1_3repE0EEENS1_48merge_mergepath_partition_config_static_selectorELNS0_4arch9wavefront6targetE0EEEvSK_.has_recursion, 0
	.set _ZN7rocprim17ROCPRIM_400000_NS6detail17trampoline_kernelINS0_14default_configENS1_38merge_sort_block_merge_config_selectorIhNS0_10empty_typeEEEZZNS1_27merge_sort_block_merge_implIS3_N6thrust23THRUST_200600_302600_NS6detail15normal_iteratorINS9_10device_ptrIhEEEEPS5_m11less_div_10IhEEE10hipError_tT0_T1_T2_jT3_P12ihipStream_tbPNSt15iterator_traitsISJ_E10value_typeEPNSP_ISK_E10value_typeEPSL_NS1_7vsmem_tEENKUlT_SJ_SK_SL_E_clISE_PhSF_SF_EESI_SY_SJ_SK_SL_EUlSY_E_NS1_11comp_targetILNS1_3genE9ELNS1_11target_archE1100ELNS1_3gpuE3ELNS1_3repE0EEENS1_48merge_mergepath_partition_config_static_selectorELNS0_4arch9wavefront6targetE0EEEvSK_.has_indirect_call, 0
	.section	.AMDGPU.csdata,"",@progbits
; Kernel info:
; codeLenInByte = 0
; TotalNumSgprs: 0
; NumVgprs: 0
; ScratchSize: 0
; MemoryBound: 0
; FloatMode: 240
; IeeeMode: 1
; LDSByteSize: 0 bytes/workgroup (compile time only)
; SGPRBlocks: 0
; VGPRBlocks: 0
; NumSGPRsForWavesPerEU: 1
; NumVGPRsForWavesPerEU: 1
; Occupancy: 16
; WaveLimiterHint : 0
; COMPUTE_PGM_RSRC2:SCRATCH_EN: 0
; COMPUTE_PGM_RSRC2:USER_SGPR: 6
; COMPUTE_PGM_RSRC2:TRAP_HANDLER: 0
; COMPUTE_PGM_RSRC2:TGID_X_EN: 1
; COMPUTE_PGM_RSRC2:TGID_Y_EN: 0
; COMPUTE_PGM_RSRC2:TGID_Z_EN: 0
; COMPUTE_PGM_RSRC2:TIDIG_COMP_CNT: 0
	.section	.text._ZN7rocprim17ROCPRIM_400000_NS6detail17trampoline_kernelINS0_14default_configENS1_38merge_sort_block_merge_config_selectorIhNS0_10empty_typeEEEZZNS1_27merge_sort_block_merge_implIS3_N6thrust23THRUST_200600_302600_NS6detail15normal_iteratorINS9_10device_ptrIhEEEEPS5_m11less_div_10IhEEE10hipError_tT0_T1_T2_jT3_P12ihipStream_tbPNSt15iterator_traitsISJ_E10value_typeEPNSP_ISK_E10value_typeEPSL_NS1_7vsmem_tEENKUlT_SJ_SK_SL_E_clISE_PhSF_SF_EESI_SY_SJ_SK_SL_EUlSY_E_NS1_11comp_targetILNS1_3genE8ELNS1_11target_archE1030ELNS1_3gpuE2ELNS1_3repE0EEENS1_48merge_mergepath_partition_config_static_selectorELNS0_4arch9wavefront6targetE0EEEvSK_,"axG",@progbits,_ZN7rocprim17ROCPRIM_400000_NS6detail17trampoline_kernelINS0_14default_configENS1_38merge_sort_block_merge_config_selectorIhNS0_10empty_typeEEEZZNS1_27merge_sort_block_merge_implIS3_N6thrust23THRUST_200600_302600_NS6detail15normal_iteratorINS9_10device_ptrIhEEEEPS5_m11less_div_10IhEEE10hipError_tT0_T1_T2_jT3_P12ihipStream_tbPNSt15iterator_traitsISJ_E10value_typeEPNSP_ISK_E10value_typeEPSL_NS1_7vsmem_tEENKUlT_SJ_SK_SL_E_clISE_PhSF_SF_EESI_SY_SJ_SK_SL_EUlSY_E_NS1_11comp_targetILNS1_3genE8ELNS1_11target_archE1030ELNS1_3gpuE2ELNS1_3repE0EEENS1_48merge_mergepath_partition_config_static_selectorELNS0_4arch9wavefront6targetE0EEEvSK_,comdat
	.protected	_ZN7rocprim17ROCPRIM_400000_NS6detail17trampoline_kernelINS0_14default_configENS1_38merge_sort_block_merge_config_selectorIhNS0_10empty_typeEEEZZNS1_27merge_sort_block_merge_implIS3_N6thrust23THRUST_200600_302600_NS6detail15normal_iteratorINS9_10device_ptrIhEEEEPS5_m11less_div_10IhEEE10hipError_tT0_T1_T2_jT3_P12ihipStream_tbPNSt15iterator_traitsISJ_E10value_typeEPNSP_ISK_E10value_typeEPSL_NS1_7vsmem_tEENKUlT_SJ_SK_SL_E_clISE_PhSF_SF_EESI_SY_SJ_SK_SL_EUlSY_E_NS1_11comp_targetILNS1_3genE8ELNS1_11target_archE1030ELNS1_3gpuE2ELNS1_3repE0EEENS1_48merge_mergepath_partition_config_static_selectorELNS0_4arch9wavefront6targetE0EEEvSK_ ; -- Begin function _ZN7rocprim17ROCPRIM_400000_NS6detail17trampoline_kernelINS0_14default_configENS1_38merge_sort_block_merge_config_selectorIhNS0_10empty_typeEEEZZNS1_27merge_sort_block_merge_implIS3_N6thrust23THRUST_200600_302600_NS6detail15normal_iteratorINS9_10device_ptrIhEEEEPS5_m11less_div_10IhEEE10hipError_tT0_T1_T2_jT3_P12ihipStream_tbPNSt15iterator_traitsISJ_E10value_typeEPNSP_ISK_E10value_typeEPSL_NS1_7vsmem_tEENKUlT_SJ_SK_SL_E_clISE_PhSF_SF_EESI_SY_SJ_SK_SL_EUlSY_E_NS1_11comp_targetILNS1_3genE8ELNS1_11target_archE1030ELNS1_3gpuE2ELNS1_3repE0EEENS1_48merge_mergepath_partition_config_static_selectorELNS0_4arch9wavefront6targetE0EEEvSK_
	.globl	_ZN7rocprim17ROCPRIM_400000_NS6detail17trampoline_kernelINS0_14default_configENS1_38merge_sort_block_merge_config_selectorIhNS0_10empty_typeEEEZZNS1_27merge_sort_block_merge_implIS3_N6thrust23THRUST_200600_302600_NS6detail15normal_iteratorINS9_10device_ptrIhEEEEPS5_m11less_div_10IhEEE10hipError_tT0_T1_T2_jT3_P12ihipStream_tbPNSt15iterator_traitsISJ_E10value_typeEPNSP_ISK_E10value_typeEPSL_NS1_7vsmem_tEENKUlT_SJ_SK_SL_E_clISE_PhSF_SF_EESI_SY_SJ_SK_SL_EUlSY_E_NS1_11comp_targetILNS1_3genE8ELNS1_11target_archE1030ELNS1_3gpuE2ELNS1_3repE0EEENS1_48merge_mergepath_partition_config_static_selectorELNS0_4arch9wavefront6targetE0EEEvSK_
	.p2align	8
	.type	_ZN7rocprim17ROCPRIM_400000_NS6detail17trampoline_kernelINS0_14default_configENS1_38merge_sort_block_merge_config_selectorIhNS0_10empty_typeEEEZZNS1_27merge_sort_block_merge_implIS3_N6thrust23THRUST_200600_302600_NS6detail15normal_iteratorINS9_10device_ptrIhEEEEPS5_m11less_div_10IhEEE10hipError_tT0_T1_T2_jT3_P12ihipStream_tbPNSt15iterator_traitsISJ_E10value_typeEPNSP_ISK_E10value_typeEPSL_NS1_7vsmem_tEENKUlT_SJ_SK_SL_E_clISE_PhSF_SF_EESI_SY_SJ_SK_SL_EUlSY_E_NS1_11comp_targetILNS1_3genE8ELNS1_11target_archE1030ELNS1_3gpuE2ELNS1_3repE0EEENS1_48merge_mergepath_partition_config_static_selectorELNS0_4arch9wavefront6targetE0EEEvSK_,@function
_ZN7rocprim17ROCPRIM_400000_NS6detail17trampoline_kernelINS0_14default_configENS1_38merge_sort_block_merge_config_selectorIhNS0_10empty_typeEEEZZNS1_27merge_sort_block_merge_implIS3_N6thrust23THRUST_200600_302600_NS6detail15normal_iteratorINS9_10device_ptrIhEEEEPS5_m11less_div_10IhEEE10hipError_tT0_T1_T2_jT3_P12ihipStream_tbPNSt15iterator_traitsISJ_E10value_typeEPNSP_ISK_E10value_typeEPSL_NS1_7vsmem_tEENKUlT_SJ_SK_SL_E_clISE_PhSF_SF_EESI_SY_SJ_SK_SL_EUlSY_E_NS1_11comp_targetILNS1_3genE8ELNS1_11target_archE1030ELNS1_3gpuE2ELNS1_3repE0EEENS1_48merge_mergepath_partition_config_static_selectorELNS0_4arch9wavefront6targetE0EEEvSK_: ; @_ZN7rocprim17ROCPRIM_400000_NS6detail17trampoline_kernelINS0_14default_configENS1_38merge_sort_block_merge_config_selectorIhNS0_10empty_typeEEEZZNS1_27merge_sort_block_merge_implIS3_N6thrust23THRUST_200600_302600_NS6detail15normal_iteratorINS9_10device_ptrIhEEEEPS5_m11less_div_10IhEEE10hipError_tT0_T1_T2_jT3_P12ihipStream_tbPNSt15iterator_traitsISJ_E10value_typeEPNSP_ISK_E10value_typeEPSL_NS1_7vsmem_tEENKUlT_SJ_SK_SL_E_clISE_PhSF_SF_EESI_SY_SJ_SK_SL_EUlSY_E_NS1_11comp_targetILNS1_3genE8ELNS1_11target_archE1030ELNS1_3gpuE2ELNS1_3repE0EEENS1_48merge_mergepath_partition_config_static_selectorELNS0_4arch9wavefront6targetE0EEEvSK_
; %bb.0:
	s_load_dword s0, s[4:5], 0x0
	v_lshl_or_b32 v0, s6, 7, v0
	s_waitcnt lgkmcnt(0)
	v_cmp_gt_u32_e32 vcc_lo, s0, v0
	s_and_saveexec_b32 s0, vcc_lo
	s_cbranch_execz .LBB724_6
; %bb.1:
	s_load_dwordx4 s[0:3], s[4:5], 0x8
	v_mov_b32_e32 v2, 0
	v_mov_b32_e32 v12, v2
	s_waitcnt lgkmcnt(0)
	s_lshr_b64 s[6:7], s[0:1], 9
	s_and_b32 s6, s6, -2
	s_sub_i32 s7, 0, s6
	s_add_i32 s6, s6, -1
	v_and_b32_e32 v1, s7, v0
	v_and_b32_e32 v11, s6, v0
	v_lshlrev_b64 v[3:4], 10, v[1:2]
	v_add_co_u32 v5, vcc_lo, v3, s0
	v_add_co_ci_u32_e64 v6, null, s1, v4, vcc_lo
	v_cmp_lt_u64_e32 vcc_lo, s[2:3], v[5:6]
	v_cndmask_b32_e64 v10, v5, s2, vcc_lo
	v_cndmask_b32_e64 v1, v6, s3, vcc_lo
	v_add_co_u32 v5, vcc_lo, v10, s0
	v_add_co_ci_u32_e64 v6, null, s1, v1, vcc_lo
	v_cmp_lt_u64_e32 vcc_lo, s[2:3], v[3:4]
	s_mov_b32 s1, 0
	v_cmp_lt_u64_e64 s0, s[2:3], v[5:6]
	v_cndmask_b32_e64 v9, v3, s2, vcc_lo
	v_cndmask_b32_e64 v8, v4, s3, vcc_lo
	v_lshlrev_b64 v[2:3], 10, v[11:12]
	v_cndmask_b32_e64 v14, v5, s2, s0
	v_cndmask_b32_e64 v13, v6, s3, s0
	s_load_dwordx2 s[2:3], s[4:5], 0x28
	v_sub_co_u32 v4, vcc_lo, v14, v9
	v_sub_co_ci_u32_e64 v5, null, v13, v8, vcc_lo
	v_cmp_lt_u64_e32 vcc_lo, v[4:5], v[2:3]
	v_cndmask_b32_e32 v7, v3, v5, vcc_lo
	v_cndmask_b32_e32 v6, v2, v4, vcc_lo
	v_sub_co_u32 v2, vcc_lo, v10, v14
	v_sub_co_ci_u32_e64 v3, null, v1, v13, vcc_lo
	v_add_co_u32 v2, vcc_lo, v6, v2
	v_add_co_ci_u32_e64 v3, null, v7, v3, vcc_lo
	v_sub_co_u32 v4, vcc_lo, v10, v9
	v_sub_co_ci_u32_e64 v5, null, v1, v8, vcc_lo
	v_cmp_gt_u64_e32 vcc_lo, v[2:3], v[6:7]
	v_cmp_lt_u64_e64 s0, v[6:7], v[4:5]
	v_cndmask_b32_e64 v3, v3, 0, vcc_lo
	v_cndmask_b32_e64 v2, v2, 0, vcc_lo
	v_cndmask_b32_e64 v5, v5, v7, s0
	v_cndmask_b32_e64 v4, v4, v6, s0
	s_mov_b32 s0, exec_lo
	v_cmpx_lt_u64_e64 v[2:3], v[4:5]
	s_cbranch_execz .LBB724_5
; %bb.2:
	s_load_dwordx2 s[4:5], s[4:5], 0x18
	s_waitcnt lgkmcnt(0)
	v_add_co_u32 v11, vcc_lo, s4, v10
	v_add_co_ci_u32_e64 v12, null, s5, v1, vcc_lo
	v_add_co_u32 v1, vcc_lo, s4, v9
	v_add_co_ci_u32_e64 v10, null, s5, v8, vcc_lo
	;; [unrolled: 2-line block ×3, first 2 shown]
	s_inst_prefetch 0x1
	.p2align	6
.LBB724_3:                              ; =>This Inner Loop Header: Depth=1
	v_add_co_u32 v11, vcc_lo, v4, v2
	v_add_co_ci_u32_e64 v12, null, v5, v3, vcc_lo
	v_lshrrev_b64 v[11:12], 1, v[11:12]
	v_not_b32_e32 v15, v11
	v_not_b32_e32 v16, v12
	v_add_co_u32 v13, vcc_lo, v1, v11
	v_add_co_ci_u32_e64 v14, null, v10, v12, vcc_lo
	v_add_co_u32 v15, vcc_lo, v6, v15
	v_add_co_ci_u32_e64 v16, null, v7, v16, vcc_lo
	flat_load_ubyte v13, v[13:14]
	flat_load_ubyte v14, v[15:16]
	v_add_co_u32 v15, vcc_lo, v11, 1
	v_add_co_ci_u32_e64 v16, null, 0, v12, vcc_lo
	s_waitcnt vmcnt(1) lgkmcnt(1)
	v_mul_lo_u16 v13, 0xcd, v13
	s_waitcnt vmcnt(0) lgkmcnt(0)
	v_mul_lo_u16 v14, 0xcd, v14
	v_lshrrev_b16 v13, 11, v13
	v_lshrrev_b16 v14, 11, v14
	v_cmp_lt_u16_e32 vcc_lo, v14, v13
	v_cndmask_b32_e32 v5, v5, v12, vcc_lo
	v_cndmask_b32_e32 v4, v4, v11, vcc_lo
	;; [unrolled: 1-line block ×4, first 2 shown]
	v_cmp_ge_u64_e32 vcc_lo, v[2:3], v[4:5]
	s_or_b32 s1, vcc_lo, s1
	s_andn2_b32 exec_lo, exec_lo, s1
	s_cbranch_execnz .LBB724_3
; %bb.4:
	s_inst_prefetch 0x2
	s_or_b32 exec_lo, exec_lo, s1
.LBB724_5:
	s_or_b32 exec_lo, exec_lo, s0
	v_mov_b32_e32 v1, 0
	v_add_co_u32 v2, vcc_lo, v2, v9
	v_add_co_ci_u32_e64 v3, null, v3, v8, vcc_lo
	v_lshlrev_b64 v[0:1], 3, v[0:1]
	s_waitcnt lgkmcnt(0)
	v_add_co_u32 v0, vcc_lo, s2, v0
	v_add_co_ci_u32_e64 v1, null, s3, v1, vcc_lo
	global_store_dwordx2 v[0:1], v[2:3], off
.LBB724_6:
	s_endpgm
	.section	.rodata,"a",@progbits
	.p2align	6, 0x0
	.amdhsa_kernel _ZN7rocprim17ROCPRIM_400000_NS6detail17trampoline_kernelINS0_14default_configENS1_38merge_sort_block_merge_config_selectorIhNS0_10empty_typeEEEZZNS1_27merge_sort_block_merge_implIS3_N6thrust23THRUST_200600_302600_NS6detail15normal_iteratorINS9_10device_ptrIhEEEEPS5_m11less_div_10IhEEE10hipError_tT0_T1_T2_jT3_P12ihipStream_tbPNSt15iterator_traitsISJ_E10value_typeEPNSP_ISK_E10value_typeEPSL_NS1_7vsmem_tEENKUlT_SJ_SK_SL_E_clISE_PhSF_SF_EESI_SY_SJ_SK_SL_EUlSY_E_NS1_11comp_targetILNS1_3genE8ELNS1_11target_archE1030ELNS1_3gpuE2ELNS1_3repE0EEENS1_48merge_mergepath_partition_config_static_selectorELNS0_4arch9wavefront6targetE0EEEvSK_
		.amdhsa_group_segment_fixed_size 0
		.amdhsa_private_segment_fixed_size 0
		.amdhsa_kernarg_size 48
		.amdhsa_user_sgpr_count 6
		.amdhsa_user_sgpr_private_segment_buffer 1
		.amdhsa_user_sgpr_dispatch_ptr 0
		.amdhsa_user_sgpr_queue_ptr 0
		.amdhsa_user_sgpr_kernarg_segment_ptr 1
		.amdhsa_user_sgpr_dispatch_id 0
		.amdhsa_user_sgpr_flat_scratch_init 0
		.amdhsa_user_sgpr_private_segment_size 0
		.amdhsa_wavefront_size32 1
		.amdhsa_uses_dynamic_stack 0
		.amdhsa_system_sgpr_private_segment_wavefront_offset 0
		.amdhsa_system_sgpr_workgroup_id_x 1
		.amdhsa_system_sgpr_workgroup_id_y 0
		.amdhsa_system_sgpr_workgroup_id_z 0
		.amdhsa_system_sgpr_workgroup_info 0
		.amdhsa_system_vgpr_workitem_id 0
		.amdhsa_next_free_vgpr 17
		.amdhsa_next_free_sgpr 8
		.amdhsa_reserve_vcc 1
		.amdhsa_reserve_flat_scratch 0
		.amdhsa_float_round_mode_32 0
		.amdhsa_float_round_mode_16_64 0
		.amdhsa_float_denorm_mode_32 3
		.amdhsa_float_denorm_mode_16_64 3
		.amdhsa_dx10_clamp 1
		.amdhsa_ieee_mode 1
		.amdhsa_fp16_overflow 0
		.amdhsa_workgroup_processor_mode 1
		.amdhsa_memory_ordered 1
		.amdhsa_forward_progress 1
		.amdhsa_shared_vgpr_count 0
		.amdhsa_exception_fp_ieee_invalid_op 0
		.amdhsa_exception_fp_denorm_src 0
		.amdhsa_exception_fp_ieee_div_zero 0
		.amdhsa_exception_fp_ieee_overflow 0
		.amdhsa_exception_fp_ieee_underflow 0
		.amdhsa_exception_fp_ieee_inexact 0
		.amdhsa_exception_int_div_zero 0
	.end_amdhsa_kernel
	.section	.text._ZN7rocprim17ROCPRIM_400000_NS6detail17trampoline_kernelINS0_14default_configENS1_38merge_sort_block_merge_config_selectorIhNS0_10empty_typeEEEZZNS1_27merge_sort_block_merge_implIS3_N6thrust23THRUST_200600_302600_NS6detail15normal_iteratorINS9_10device_ptrIhEEEEPS5_m11less_div_10IhEEE10hipError_tT0_T1_T2_jT3_P12ihipStream_tbPNSt15iterator_traitsISJ_E10value_typeEPNSP_ISK_E10value_typeEPSL_NS1_7vsmem_tEENKUlT_SJ_SK_SL_E_clISE_PhSF_SF_EESI_SY_SJ_SK_SL_EUlSY_E_NS1_11comp_targetILNS1_3genE8ELNS1_11target_archE1030ELNS1_3gpuE2ELNS1_3repE0EEENS1_48merge_mergepath_partition_config_static_selectorELNS0_4arch9wavefront6targetE0EEEvSK_,"axG",@progbits,_ZN7rocprim17ROCPRIM_400000_NS6detail17trampoline_kernelINS0_14default_configENS1_38merge_sort_block_merge_config_selectorIhNS0_10empty_typeEEEZZNS1_27merge_sort_block_merge_implIS3_N6thrust23THRUST_200600_302600_NS6detail15normal_iteratorINS9_10device_ptrIhEEEEPS5_m11less_div_10IhEEE10hipError_tT0_T1_T2_jT3_P12ihipStream_tbPNSt15iterator_traitsISJ_E10value_typeEPNSP_ISK_E10value_typeEPSL_NS1_7vsmem_tEENKUlT_SJ_SK_SL_E_clISE_PhSF_SF_EESI_SY_SJ_SK_SL_EUlSY_E_NS1_11comp_targetILNS1_3genE8ELNS1_11target_archE1030ELNS1_3gpuE2ELNS1_3repE0EEENS1_48merge_mergepath_partition_config_static_selectorELNS0_4arch9wavefront6targetE0EEEvSK_,comdat
.Lfunc_end724:
	.size	_ZN7rocprim17ROCPRIM_400000_NS6detail17trampoline_kernelINS0_14default_configENS1_38merge_sort_block_merge_config_selectorIhNS0_10empty_typeEEEZZNS1_27merge_sort_block_merge_implIS3_N6thrust23THRUST_200600_302600_NS6detail15normal_iteratorINS9_10device_ptrIhEEEEPS5_m11less_div_10IhEEE10hipError_tT0_T1_T2_jT3_P12ihipStream_tbPNSt15iterator_traitsISJ_E10value_typeEPNSP_ISK_E10value_typeEPSL_NS1_7vsmem_tEENKUlT_SJ_SK_SL_E_clISE_PhSF_SF_EESI_SY_SJ_SK_SL_EUlSY_E_NS1_11comp_targetILNS1_3genE8ELNS1_11target_archE1030ELNS1_3gpuE2ELNS1_3repE0EEENS1_48merge_mergepath_partition_config_static_selectorELNS0_4arch9wavefront6targetE0EEEvSK_, .Lfunc_end724-_ZN7rocprim17ROCPRIM_400000_NS6detail17trampoline_kernelINS0_14default_configENS1_38merge_sort_block_merge_config_selectorIhNS0_10empty_typeEEEZZNS1_27merge_sort_block_merge_implIS3_N6thrust23THRUST_200600_302600_NS6detail15normal_iteratorINS9_10device_ptrIhEEEEPS5_m11less_div_10IhEEE10hipError_tT0_T1_T2_jT3_P12ihipStream_tbPNSt15iterator_traitsISJ_E10value_typeEPNSP_ISK_E10value_typeEPSL_NS1_7vsmem_tEENKUlT_SJ_SK_SL_E_clISE_PhSF_SF_EESI_SY_SJ_SK_SL_EUlSY_E_NS1_11comp_targetILNS1_3genE8ELNS1_11target_archE1030ELNS1_3gpuE2ELNS1_3repE0EEENS1_48merge_mergepath_partition_config_static_selectorELNS0_4arch9wavefront6targetE0EEEvSK_
                                        ; -- End function
	.set _ZN7rocprim17ROCPRIM_400000_NS6detail17trampoline_kernelINS0_14default_configENS1_38merge_sort_block_merge_config_selectorIhNS0_10empty_typeEEEZZNS1_27merge_sort_block_merge_implIS3_N6thrust23THRUST_200600_302600_NS6detail15normal_iteratorINS9_10device_ptrIhEEEEPS5_m11less_div_10IhEEE10hipError_tT0_T1_T2_jT3_P12ihipStream_tbPNSt15iterator_traitsISJ_E10value_typeEPNSP_ISK_E10value_typeEPSL_NS1_7vsmem_tEENKUlT_SJ_SK_SL_E_clISE_PhSF_SF_EESI_SY_SJ_SK_SL_EUlSY_E_NS1_11comp_targetILNS1_3genE8ELNS1_11target_archE1030ELNS1_3gpuE2ELNS1_3repE0EEENS1_48merge_mergepath_partition_config_static_selectorELNS0_4arch9wavefront6targetE0EEEvSK_.num_vgpr, 17
	.set _ZN7rocprim17ROCPRIM_400000_NS6detail17trampoline_kernelINS0_14default_configENS1_38merge_sort_block_merge_config_selectorIhNS0_10empty_typeEEEZZNS1_27merge_sort_block_merge_implIS3_N6thrust23THRUST_200600_302600_NS6detail15normal_iteratorINS9_10device_ptrIhEEEEPS5_m11less_div_10IhEEE10hipError_tT0_T1_T2_jT3_P12ihipStream_tbPNSt15iterator_traitsISJ_E10value_typeEPNSP_ISK_E10value_typeEPSL_NS1_7vsmem_tEENKUlT_SJ_SK_SL_E_clISE_PhSF_SF_EESI_SY_SJ_SK_SL_EUlSY_E_NS1_11comp_targetILNS1_3genE8ELNS1_11target_archE1030ELNS1_3gpuE2ELNS1_3repE0EEENS1_48merge_mergepath_partition_config_static_selectorELNS0_4arch9wavefront6targetE0EEEvSK_.num_agpr, 0
	.set _ZN7rocprim17ROCPRIM_400000_NS6detail17trampoline_kernelINS0_14default_configENS1_38merge_sort_block_merge_config_selectorIhNS0_10empty_typeEEEZZNS1_27merge_sort_block_merge_implIS3_N6thrust23THRUST_200600_302600_NS6detail15normal_iteratorINS9_10device_ptrIhEEEEPS5_m11less_div_10IhEEE10hipError_tT0_T1_T2_jT3_P12ihipStream_tbPNSt15iterator_traitsISJ_E10value_typeEPNSP_ISK_E10value_typeEPSL_NS1_7vsmem_tEENKUlT_SJ_SK_SL_E_clISE_PhSF_SF_EESI_SY_SJ_SK_SL_EUlSY_E_NS1_11comp_targetILNS1_3genE8ELNS1_11target_archE1030ELNS1_3gpuE2ELNS1_3repE0EEENS1_48merge_mergepath_partition_config_static_selectorELNS0_4arch9wavefront6targetE0EEEvSK_.numbered_sgpr, 8
	.set _ZN7rocprim17ROCPRIM_400000_NS6detail17trampoline_kernelINS0_14default_configENS1_38merge_sort_block_merge_config_selectorIhNS0_10empty_typeEEEZZNS1_27merge_sort_block_merge_implIS3_N6thrust23THRUST_200600_302600_NS6detail15normal_iteratorINS9_10device_ptrIhEEEEPS5_m11less_div_10IhEEE10hipError_tT0_T1_T2_jT3_P12ihipStream_tbPNSt15iterator_traitsISJ_E10value_typeEPNSP_ISK_E10value_typeEPSL_NS1_7vsmem_tEENKUlT_SJ_SK_SL_E_clISE_PhSF_SF_EESI_SY_SJ_SK_SL_EUlSY_E_NS1_11comp_targetILNS1_3genE8ELNS1_11target_archE1030ELNS1_3gpuE2ELNS1_3repE0EEENS1_48merge_mergepath_partition_config_static_selectorELNS0_4arch9wavefront6targetE0EEEvSK_.num_named_barrier, 0
	.set _ZN7rocprim17ROCPRIM_400000_NS6detail17trampoline_kernelINS0_14default_configENS1_38merge_sort_block_merge_config_selectorIhNS0_10empty_typeEEEZZNS1_27merge_sort_block_merge_implIS3_N6thrust23THRUST_200600_302600_NS6detail15normal_iteratorINS9_10device_ptrIhEEEEPS5_m11less_div_10IhEEE10hipError_tT0_T1_T2_jT3_P12ihipStream_tbPNSt15iterator_traitsISJ_E10value_typeEPNSP_ISK_E10value_typeEPSL_NS1_7vsmem_tEENKUlT_SJ_SK_SL_E_clISE_PhSF_SF_EESI_SY_SJ_SK_SL_EUlSY_E_NS1_11comp_targetILNS1_3genE8ELNS1_11target_archE1030ELNS1_3gpuE2ELNS1_3repE0EEENS1_48merge_mergepath_partition_config_static_selectorELNS0_4arch9wavefront6targetE0EEEvSK_.private_seg_size, 0
	.set _ZN7rocprim17ROCPRIM_400000_NS6detail17trampoline_kernelINS0_14default_configENS1_38merge_sort_block_merge_config_selectorIhNS0_10empty_typeEEEZZNS1_27merge_sort_block_merge_implIS3_N6thrust23THRUST_200600_302600_NS6detail15normal_iteratorINS9_10device_ptrIhEEEEPS5_m11less_div_10IhEEE10hipError_tT0_T1_T2_jT3_P12ihipStream_tbPNSt15iterator_traitsISJ_E10value_typeEPNSP_ISK_E10value_typeEPSL_NS1_7vsmem_tEENKUlT_SJ_SK_SL_E_clISE_PhSF_SF_EESI_SY_SJ_SK_SL_EUlSY_E_NS1_11comp_targetILNS1_3genE8ELNS1_11target_archE1030ELNS1_3gpuE2ELNS1_3repE0EEENS1_48merge_mergepath_partition_config_static_selectorELNS0_4arch9wavefront6targetE0EEEvSK_.uses_vcc, 1
	.set _ZN7rocprim17ROCPRIM_400000_NS6detail17trampoline_kernelINS0_14default_configENS1_38merge_sort_block_merge_config_selectorIhNS0_10empty_typeEEEZZNS1_27merge_sort_block_merge_implIS3_N6thrust23THRUST_200600_302600_NS6detail15normal_iteratorINS9_10device_ptrIhEEEEPS5_m11less_div_10IhEEE10hipError_tT0_T1_T2_jT3_P12ihipStream_tbPNSt15iterator_traitsISJ_E10value_typeEPNSP_ISK_E10value_typeEPSL_NS1_7vsmem_tEENKUlT_SJ_SK_SL_E_clISE_PhSF_SF_EESI_SY_SJ_SK_SL_EUlSY_E_NS1_11comp_targetILNS1_3genE8ELNS1_11target_archE1030ELNS1_3gpuE2ELNS1_3repE0EEENS1_48merge_mergepath_partition_config_static_selectorELNS0_4arch9wavefront6targetE0EEEvSK_.uses_flat_scratch, 0
	.set _ZN7rocprim17ROCPRIM_400000_NS6detail17trampoline_kernelINS0_14default_configENS1_38merge_sort_block_merge_config_selectorIhNS0_10empty_typeEEEZZNS1_27merge_sort_block_merge_implIS3_N6thrust23THRUST_200600_302600_NS6detail15normal_iteratorINS9_10device_ptrIhEEEEPS5_m11less_div_10IhEEE10hipError_tT0_T1_T2_jT3_P12ihipStream_tbPNSt15iterator_traitsISJ_E10value_typeEPNSP_ISK_E10value_typeEPSL_NS1_7vsmem_tEENKUlT_SJ_SK_SL_E_clISE_PhSF_SF_EESI_SY_SJ_SK_SL_EUlSY_E_NS1_11comp_targetILNS1_3genE8ELNS1_11target_archE1030ELNS1_3gpuE2ELNS1_3repE0EEENS1_48merge_mergepath_partition_config_static_selectorELNS0_4arch9wavefront6targetE0EEEvSK_.has_dyn_sized_stack, 0
	.set _ZN7rocprim17ROCPRIM_400000_NS6detail17trampoline_kernelINS0_14default_configENS1_38merge_sort_block_merge_config_selectorIhNS0_10empty_typeEEEZZNS1_27merge_sort_block_merge_implIS3_N6thrust23THRUST_200600_302600_NS6detail15normal_iteratorINS9_10device_ptrIhEEEEPS5_m11less_div_10IhEEE10hipError_tT0_T1_T2_jT3_P12ihipStream_tbPNSt15iterator_traitsISJ_E10value_typeEPNSP_ISK_E10value_typeEPSL_NS1_7vsmem_tEENKUlT_SJ_SK_SL_E_clISE_PhSF_SF_EESI_SY_SJ_SK_SL_EUlSY_E_NS1_11comp_targetILNS1_3genE8ELNS1_11target_archE1030ELNS1_3gpuE2ELNS1_3repE0EEENS1_48merge_mergepath_partition_config_static_selectorELNS0_4arch9wavefront6targetE0EEEvSK_.has_recursion, 0
	.set _ZN7rocprim17ROCPRIM_400000_NS6detail17trampoline_kernelINS0_14default_configENS1_38merge_sort_block_merge_config_selectorIhNS0_10empty_typeEEEZZNS1_27merge_sort_block_merge_implIS3_N6thrust23THRUST_200600_302600_NS6detail15normal_iteratorINS9_10device_ptrIhEEEEPS5_m11less_div_10IhEEE10hipError_tT0_T1_T2_jT3_P12ihipStream_tbPNSt15iterator_traitsISJ_E10value_typeEPNSP_ISK_E10value_typeEPSL_NS1_7vsmem_tEENKUlT_SJ_SK_SL_E_clISE_PhSF_SF_EESI_SY_SJ_SK_SL_EUlSY_E_NS1_11comp_targetILNS1_3genE8ELNS1_11target_archE1030ELNS1_3gpuE2ELNS1_3repE0EEENS1_48merge_mergepath_partition_config_static_selectorELNS0_4arch9wavefront6targetE0EEEvSK_.has_indirect_call, 0
	.section	.AMDGPU.csdata,"",@progbits
; Kernel info:
; codeLenInByte = 700
; TotalNumSgprs: 10
; NumVgprs: 17
; ScratchSize: 0
; MemoryBound: 0
; FloatMode: 240
; IeeeMode: 1
; LDSByteSize: 0 bytes/workgroup (compile time only)
; SGPRBlocks: 0
; VGPRBlocks: 2
; NumSGPRsForWavesPerEU: 10
; NumVGPRsForWavesPerEU: 17
; Occupancy: 16
; WaveLimiterHint : 0
; COMPUTE_PGM_RSRC2:SCRATCH_EN: 0
; COMPUTE_PGM_RSRC2:USER_SGPR: 6
; COMPUTE_PGM_RSRC2:TRAP_HANDLER: 0
; COMPUTE_PGM_RSRC2:TGID_X_EN: 1
; COMPUTE_PGM_RSRC2:TGID_Y_EN: 0
; COMPUTE_PGM_RSRC2:TGID_Z_EN: 0
; COMPUTE_PGM_RSRC2:TIDIG_COMP_CNT: 0
	.section	.text._ZN7rocprim17ROCPRIM_400000_NS6detail17trampoline_kernelINS0_14default_configENS1_38merge_sort_block_merge_config_selectorIhNS0_10empty_typeEEEZZNS1_27merge_sort_block_merge_implIS3_N6thrust23THRUST_200600_302600_NS6detail15normal_iteratorINS9_10device_ptrIhEEEEPS5_m11less_div_10IhEEE10hipError_tT0_T1_T2_jT3_P12ihipStream_tbPNSt15iterator_traitsISJ_E10value_typeEPNSP_ISK_E10value_typeEPSL_NS1_7vsmem_tEENKUlT_SJ_SK_SL_E_clISE_PhSF_SF_EESI_SY_SJ_SK_SL_EUlSY_E0_NS1_11comp_targetILNS1_3genE0ELNS1_11target_archE4294967295ELNS1_3gpuE0ELNS1_3repE0EEENS1_38merge_mergepath_config_static_selectorELNS0_4arch9wavefront6targetE0EEEvSK_,"axG",@progbits,_ZN7rocprim17ROCPRIM_400000_NS6detail17trampoline_kernelINS0_14default_configENS1_38merge_sort_block_merge_config_selectorIhNS0_10empty_typeEEEZZNS1_27merge_sort_block_merge_implIS3_N6thrust23THRUST_200600_302600_NS6detail15normal_iteratorINS9_10device_ptrIhEEEEPS5_m11less_div_10IhEEE10hipError_tT0_T1_T2_jT3_P12ihipStream_tbPNSt15iterator_traitsISJ_E10value_typeEPNSP_ISK_E10value_typeEPSL_NS1_7vsmem_tEENKUlT_SJ_SK_SL_E_clISE_PhSF_SF_EESI_SY_SJ_SK_SL_EUlSY_E0_NS1_11comp_targetILNS1_3genE0ELNS1_11target_archE4294967295ELNS1_3gpuE0ELNS1_3repE0EEENS1_38merge_mergepath_config_static_selectorELNS0_4arch9wavefront6targetE0EEEvSK_,comdat
	.protected	_ZN7rocprim17ROCPRIM_400000_NS6detail17trampoline_kernelINS0_14default_configENS1_38merge_sort_block_merge_config_selectorIhNS0_10empty_typeEEEZZNS1_27merge_sort_block_merge_implIS3_N6thrust23THRUST_200600_302600_NS6detail15normal_iteratorINS9_10device_ptrIhEEEEPS5_m11less_div_10IhEEE10hipError_tT0_T1_T2_jT3_P12ihipStream_tbPNSt15iterator_traitsISJ_E10value_typeEPNSP_ISK_E10value_typeEPSL_NS1_7vsmem_tEENKUlT_SJ_SK_SL_E_clISE_PhSF_SF_EESI_SY_SJ_SK_SL_EUlSY_E0_NS1_11comp_targetILNS1_3genE0ELNS1_11target_archE4294967295ELNS1_3gpuE0ELNS1_3repE0EEENS1_38merge_mergepath_config_static_selectorELNS0_4arch9wavefront6targetE0EEEvSK_ ; -- Begin function _ZN7rocprim17ROCPRIM_400000_NS6detail17trampoline_kernelINS0_14default_configENS1_38merge_sort_block_merge_config_selectorIhNS0_10empty_typeEEEZZNS1_27merge_sort_block_merge_implIS3_N6thrust23THRUST_200600_302600_NS6detail15normal_iteratorINS9_10device_ptrIhEEEEPS5_m11less_div_10IhEEE10hipError_tT0_T1_T2_jT3_P12ihipStream_tbPNSt15iterator_traitsISJ_E10value_typeEPNSP_ISK_E10value_typeEPSL_NS1_7vsmem_tEENKUlT_SJ_SK_SL_E_clISE_PhSF_SF_EESI_SY_SJ_SK_SL_EUlSY_E0_NS1_11comp_targetILNS1_3genE0ELNS1_11target_archE4294967295ELNS1_3gpuE0ELNS1_3repE0EEENS1_38merge_mergepath_config_static_selectorELNS0_4arch9wavefront6targetE0EEEvSK_
	.globl	_ZN7rocprim17ROCPRIM_400000_NS6detail17trampoline_kernelINS0_14default_configENS1_38merge_sort_block_merge_config_selectorIhNS0_10empty_typeEEEZZNS1_27merge_sort_block_merge_implIS3_N6thrust23THRUST_200600_302600_NS6detail15normal_iteratorINS9_10device_ptrIhEEEEPS5_m11less_div_10IhEEE10hipError_tT0_T1_T2_jT3_P12ihipStream_tbPNSt15iterator_traitsISJ_E10value_typeEPNSP_ISK_E10value_typeEPSL_NS1_7vsmem_tEENKUlT_SJ_SK_SL_E_clISE_PhSF_SF_EESI_SY_SJ_SK_SL_EUlSY_E0_NS1_11comp_targetILNS1_3genE0ELNS1_11target_archE4294967295ELNS1_3gpuE0ELNS1_3repE0EEENS1_38merge_mergepath_config_static_selectorELNS0_4arch9wavefront6targetE0EEEvSK_
	.p2align	8
	.type	_ZN7rocprim17ROCPRIM_400000_NS6detail17trampoline_kernelINS0_14default_configENS1_38merge_sort_block_merge_config_selectorIhNS0_10empty_typeEEEZZNS1_27merge_sort_block_merge_implIS3_N6thrust23THRUST_200600_302600_NS6detail15normal_iteratorINS9_10device_ptrIhEEEEPS5_m11less_div_10IhEEE10hipError_tT0_T1_T2_jT3_P12ihipStream_tbPNSt15iterator_traitsISJ_E10value_typeEPNSP_ISK_E10value_typeEPSL_NS1_7vsmem_tEENKUlT_SJ_SK_SL_E_clISE_PhSF_SF_EESI_SY_SJ_SK_SL_EUlSY_E0_NS1_11comp_targetILNS1_3genE0ELNS1_11target_archE4294967295ELNS1_3gpuE0ELNS1_3repE0EEENS1_38merge_mergepath_config_static_selectorELNS0_4arch9wavefront6targetE0EEEvSK_,@function
_ZN7rocprim17ROCPRIM_400000_NS6detail17trampoline_kernelINS0_14default_configENS1_38merge_sort_block_merge_config_selectorIhNS0_10empty_typeEEEZZNS1_27merge_sort_block_merge_implIS3_N6thrust23THRUST_200600_302600_NS6detail15normal_iteratorINS9_10device_ptrIhEEEEPS5_m11less_div_10IhEEE10hipError_tT0_T1_T2_jT3_P12ihipStream_tbPNSt15iterator_traitsISJ_E10value_typeEPNSP_ISK_E10value_typeEPSL_NS1_7vsmem_tEENKUlT_SJ_SK_SL_E_clISE_PhSF_SF_EESI_SY_SJ_SK_SL_EUlSY_E0_NS1_11comp_targetILNS1_3genE0ELNS1_11target_archE4294967295ELNS1_3gpuE0ELNS1_3repE0EEENS1_38merge_mergepath_config_static_selectorELNS0_4arch9wavefront6targetE0EEEvSK_: ; @_ZN7rocprim17ROCPRIM_400000_NS6detail17trampoline_kernelINS0_14default_configENS1_38merge_sort_block_merge_config_selectorIhNS0_10empty_typeEEEZZNS1_27merge_sort_block_merge_implIS3_N6thrust23THRUST_200600_302600_NS6detail15normal_iteratorINS9_10device_ptrIhEEEEPS5_m11less_div_10IhEEE10hipError_tT0_T1_T2_jT3_P12ihipStream_tbPNSt15iterator_traitsISJ_E10value_typeEPNSP_ISK_E10value_typeEPSL_NS1_7vsmem_tEENKUlT_SJ_SK_SL_E_clISE_PhSF_SF_EESI_SY_SJ_SK_SL_EUlSY_E0_NS1_11comp_targetILNS1_3genE0ELNS1_11target_archE4294967295ELNS1_3gpuE0ELNS1_3repE0EEENS1_38merge_mergepath_config_static_selectorELNS0_4arch9wavefront6targetE0EEEvSK_
; %bb.0:
	.section	.rodata,"a",@progbits
	.p2align	6, 0x0
	.amdhsa_kernel _ZN7rocprim17ROCPRIM_400000_NS6detail17trampoline_kernelINS0_14default_configENS1_38merge_sort_block_merge_config_selectorIhNS0_10empty_typeEEEZZNS1_27merge_sort_block_merge_implIS3_N6thrust23THRUST_200600_302600_NS6detail15normal_iteratorINS9_10device_ptrIhEEEEPS5_m11less_div_10IhEEE10hipError_tT0_T1_T2_jT3_P12ihipStream_tbPNSt15iterator_traitsISJ_E10value_typeEPNSP_ISK_E10value_typeEPSL_NS1_7vsmem_tEENKUlT_SJ_SK_SL_E_clISE_PhSF_SF_EESI_SY_SJ_SK_SL_EUlSY_E0_NS1_11comp_targetILNS1_3genE0ELNS1_11target_archE4294967295ELNS1_3gpuE0ELNS1_3repE0EEENS1_38merge_mergepath_config_static_selectorELNS0_4arch9wavefront6targetE0EEEvSK_
		.amdhsa_group_segment_fixed_size 0
		.amdhsa_private_segment_fixed_size 0
		.amdhsa_kernarg_size 72
		.amdhsa_user_sgpr_count 6
		.amdhsa_user_sgpr_private_segment_buffer 1
		.amdhsa_user_sgpr_dispatch_ptr 0
		.amdhsa_user_sgpr_queue_ptr 0
		.amdhsa_user_sgpr_kernarg_segment_ptr 1
		.amdhsa_user_sgpr_dispatch_id 0
		.amdhsa_user_sgpr_flat_scratch_init 0
		.amdhsa_user_sgpr_private_segment_size 0
		.amdhsa_wavefront_size32 1
		.amdhsa_uses_dynamic_stack 0
		.amdhsa_system_sgpr_private_segment_wavefront_offset 0
		.amdhsa_system_sgpr_workgroup_id_x 1
		.amdhsa_system_sgpr_workgroup_id_y 0
		.amdhsa_system_sgpr_workgroup_id_z 0
		.amdhsa_system_sgpr_workgroup_info 0
		.amdhsa_system_vgpr_workitem_id 0
		.amdhsa_next_free_vgpr 1
		.amdhsa_next_free_sgpr 1
		.amdhsa_reserve_vcc 0
		.amdhsa_reserve_flat_scratch 0
		.amdhsa_float_round_mode_32 0
		.amdhsa_float_round_mode_16_64 0
		.amdhsa_float_denorm_mode_32 3
		.amdhsa_float_denorm_mode_16_64 3
		.amdhsa_dx10_clamp 1
		.amdhsa_ieee_mode 1
		.amdhsa_fp16_overflow 0
		.amdhsa_workgroup_processor_mode 1
		.amdhsa_memory_ordered 1
		.amdhsa_forward_progress 1
		.amdhsa_shared_vgpr_count 0
		.amdhsa_exception_fp_ieee_invalid_op 0
		.amdhsa_exception_fp_denorm_src 0
		.amdhsa_exception_fp_ieee_div_zero 0
		.amdhsa_exception_fp_ieee_overflow 0
		.amdhsa_exception_fp_ieee_underflow 0
		.amdhsa_exception_fp_ieee_inexact 0
		.amdhsa_exception_int_div_zero 0
	.end_amdhsa_kernel
	.section	.text._ZN7rocprim17ROCPRIM_400000_NS6detail17trampoline_kernelINS0_14default_configENS1_38merge_sort_block_merge_config_selectorIhNS0_10empty_typeEEEZZNS1_27merge_sort_block_merge_implIS3_N6thrust23THRUST_200600_302600_NS6detail15normal_iteratorINS9_10device_ptrIhEEEEPS5_m11less_div_10IhEEE10hipError_tT0_T1_T2_jT3_P12ihipStream_tbPNSt15iterator_traitsISJ_E10value_typeEPNSP_ISK_E10value_typeEPSL_NS1_7vsmem_tEENKUlT_SJ_SK_SL_E_clISE_PhSF_SF_EESI_SY_SJ_SK_SL_EUlSY_E0_NS1_11comp_targetILNS1_3genE0ELNS1_11target_archE4294967295ELNS1_3gpuE0ELNS1_3repE0EEENS1_38merge_mergepath_config_static_selectorELNS0_4arch9wavefront6targetE0EEEvSK_,"axG",@progbits,_ZN7rocprim17ROCPRIM_400000_NS6detail17trampoline_kernelINS0_14default_configENS1_38merge_sort_block_merge_config_selectorIhNS0_10empty_typeEEEZZNS1_27merge_sort_block_merge_implIS3_N6thrust23THRUST_200600_302600_NS6detail15normal_iteratorINS9_10device_ptrIhEEEEPS5_m11less_div_10IhEEE10hipError_tT0_T1_T2_jT3_P12ihipStream_tbPNSt15iterator_traitsISJ_E10value_typeEPNSP_ISK_E10value_typeEPSL_NS1_7vsmem_tEENKUlT_SJ_SK_SL_E_clISE_PhSF_SF_EESI_SY_SJ_SK_SL_EUlSY_E0_NS1_11comp_targetILNS1_3genE0ELNS1_11target_archE4294967295ELNS1_3gpuE0ELNS1_3repE0EEENS1_38merge_mergepath_config_static_selectorELNS0_4arch9wavefront6targetE0EEEvSK_,comdat
.Lfunc_end725:
	.size	_ZN7rocprim17ROCPRIM_400000_NS6detail17trampoline_kernelINS0_14default_configENS1_38merge_sort_block_merge_config_selectorIhNS0_10empty_typeEEEZZNS1_27merge_sort_block_merge_implIS3_N6thrust23THRUST_200600_302600_NS6detail15normal_iteratorINS9_10device_ptrIhEEEEPS5_m11less_div_10IhEEE10hipError_tT0_T1_T2_jT3_P12ihipStream_tbPNSt15iterator_traitsISJ_E10value_typeEPNSP_ISK_E10value_typeEPSL_NS1_7vsmem_tEENKUlT_SJ_SK_SL_E_clISE_PhSF_SF_EESI_SY_SJ_SK_SL_EUlSY_E0_NS1_11comp_targetILNS1_3genE0ELNS1_11target_archE4294967295ELNS1_3gpuE0ELNS1_3repE0EEENS1_38merge_mergepath_config_static_selectorELNS0_4arch9wavefront6targetE0EEEvSK_, .Lfunc_end725-_ZN7rocprim17ROCPRIM_400000_NS6detail17trampoline_kernelINS0_14default_configENS1_38merge_sort_block_merge_config_selectorIhNS0_10empty_typeEEEZZNS1_27merge_sort_block_merge_implIS3_N6thrust23THRUST_200600_302600_NS6detail15normal_iteratorINS9_10device_ptrIhEEEEPS5_m11less_div_10IhEEE10hipError_tT0_T1_T2_jT3_P12ihipStream_tbPNSt15iterator_traitsISJ_E10value_typeEPNSP_ISK_E10value_typeEPSL_NS1_7vsmem_tEENKUlT_SJ_SK_SL_E_clISE_PhSF_SF_EESI_SY_SJ_SK_SL_EUlSY_E0_NS1_11comp_targetILNS1_3genE0ELNS1_11target_archE4294967295ELNS1_3gpuE0ELNS1_3repE0EEENS1_38merge_mergepath_config_static_selectorELNS0_4arch9wavefront6targetE0EEEvSK_
                                        ; -- End function
	.set _ZN7rocprim17ROCPRIM_400000_NS6detail17trampoline_kernelINS0_14default_configENS1_38merge_sort_block_merge_config_selectorIhNS0_10empty_typeEEEZZNS1_27merge_sort_block_merge_implIS3_N6thrust23THRUST_200600_302600_NS6detail15normal_iteratorINS9_10device_ptrIhEEEEPS5_m11less_div_10IhEEE10hipError_tT0_T1_T2_jT3_P12ihipStream_tbPNSt15iterator_traitsISJ_E10value_typeEPNSP_ISK_E10value_typeEPSL_NS1_7vsmem_tEENKUlT_SJ_SK_SL_E_clISE_PhSF_SF_EESI_SY_SJ_SK_SL_EUlSY_E0_NS1_11comp_targetILNS1_3genE0ELNS1_11target_archE4294967295ELNS1_3gpuE0ELNS1_3repE0EEENS1_38merge_mergepath_config_static_selectorELNS0_4arch9wavefront6targetE0EEEvSK_.num_vgpr, 0
	.set _ZN7rocprim17ROCPRIM_400000_NS6detail17trampoline_kernelINS0_14default_configENS1_38merge_sort_block_merge_config_selectorIhNS0_10empty_typeEEEZZNS1_27merge_sort_block_merge_implIS3_N6thrust23THRUST_200600_302600_NS6detail15normal_iteratorINS9_10device_ptrIhEEEEPS5_m11less_div_10IhEEE10hipError_tT0_T1_T2_jT3_P12ihipStream_tbPNSt15iterator_traitsISJ_E10value_typeEPNSP_ISK_E10value_typeEPSL_NS1_7vsmem_tEENKUlT_SJ_SK_SL_E_clISE_PhSF_SF_EESI_SY_SJ_SK_SL_EUlSY_E0_NS1_11comp_targetILNS1_3genE0ELNS1_11target_archE4294967295ELNS1_3gpuE0ELNS1_3repE0EEENS1_38merge_mergepath_config_static_selectorELNS0_4arch9wavefront6targetE0EEEvSK_.num_agpr, 0
	.set _ZN7rocprim17ROCPRIM_400000_NS6detail17trampoline_kernelINS0_14default_configENS1_38merge_sort_block_merge_config_selectorIhNS0_10empty_typeEEEZZNS1_27merge_sort_block_merge_implIS3_N6thrust23THRUST_200600_302600_NS6detail15normal_iteratorINS9_10device_ptrIhEEEEPS5_m11less_div_10IhEEE10hipError_tT0_T1_T2_jT3_P12ihipStream_tbPNSt15iterator_traitsISJ_E10value_typeEPNSP_ISK_E10value_typeEPSL_NS1_7vsmem_tEENKUlT_SJ_SK_SL_E_clISE_PhSF_SF_EESI_SY_SJ_SK_SL_EUlSY_E0_NS1_11comp_targetILNS1_3genE0ELNS1_11target_archE4294967295ELNS1_3gpuE0ELNS1_3repE0EEENS1_38merge_mergepath_config_static_selectorELNS0_4arch9wavefront6targetE0EEEvSK_.numbered_sgpr, 0
	.set _ZN7rocprim17ROCPRIM_400000_NS6detail17trampoline_kernelINS0_14default_configENS1_38merge_sort_block_merge_config_selectorIhNS0_10empty_typeEEEZZNS1_27merge_sort_block_merge_implIS3_N6thrust23THRUST_200600_302600_NS6detail15normal_iteratorINS9_10device_ptrIhEEEEPS5_m11less_div_10IhEEE10hipError_tT0_T1_T2_jT3_P12ihipStream_tbPNSt15iterator_traitsISJ_E10value_typeEPNSP_ISK_E10value_typeEPSL_NS1_7vsmem_tEENKUlT_SJ_SK_SL_E_clISE_PhSF_SF_EESI_SY_SJ_SK_SL_EUlSY_E0_NS1_11comp_targetILNS1_3genE0ELNS1_11target_archE4294967295ELNS1_3gpuE0ELNS1_3repE0EEENS1_38merge_mergepath_config_static_selectorELNS0_4arch9wavefront6targetE0EEEvSK_.num_named_barrier, 0
	.set _ZN7rocprim17ROCPRIM_400000_NS6detail17trampoline_kernelINS0_14default_configENS1_38merge_sort_block_merge_config_selectorIhNS0_10empty_typeEEEZZNS1_27merge_sort_block_merge_implIS3_N6thrust23THRUST_200600_302600_NS6detail15normal_iteratorINS9_10device_ptrIhEEEEPS5_m11less_div_10IhEEE10hipError_tT0_T1_T2_jT3_P12ihipStream_tbPNSt15iterator_traitsISJ_E10value_typeEPNSP_ISK_E10value_typeEPSL_NS1_7vsmem_tEENKUlT_SJ_SK_SL_E_clISE_PhSF_SF_EESI_SY_SJ_SK_SL_EUlSY_E0_NS1_11comp_targetILNS1_3genE0ELNS1_11target_archE4294967295ELNS1_3gpuE0ELNS1_3repE0EEENS1_38merge_mergepath_config_static_selectorELNS0_4arch9wavefront6targetE0EEEvSK_.private_seg_size, 0
	.set _ZN7rocprim17ROCPRIM_400000_NS6detail17trampoline_kernelINS0_14default_configENS1_38merge_sort_block_merge_config_selectorIhNS0_10empty_typeEEEZZNS1_27merge_sort_block_merge_implIS3_N6thrust23THRUST_200600_302600_NS6detail15normal_iteratorINS9_10device_ptrIhEEEEPS5_m11less_div_10IhEEE10hipError_tT0_T1_T2_jT3_P12ihipStream_tbPNSt15iterator_traitsISJ_E10value_typeEPNSP_ISK_E10value_typeEPSL_NS1_7vsmem_tEENKUlT_SJ_SK_SL_E_clISE_PhSF_SF_EESI_SY_SJ_SK_SL_EUlSY_E0_NS1_11comp_targetILNS1_3genE0ELNS1_11target_archE4294967295ELNS1_3gpuE0ELNS1_3repE0EEENS1_38merge_mergepath_config_static_selectorELNS0_4arch9wavefront6targetE0EEEvSK_.uses_vcc, 0
	.set _ZN7rocprim17ROCPRIM_400000_NS6detail17trampoline_kernelINS0_14default_configENS1_38merge_sort_block_merge_config_selectorIhNS0_10empty_typeEEEZZNS1_27merge_sort_block_merge_implIS3_N6thrust23THRUST_200600_302600_NS6detail15normal_iteratorINS9_10device_ptrIhEEEEPS5_m11less_div_10IhEEE10hipError_tT0_T1_T2_jT3_P12ihipStream_tbPNSt15iterator_traitsISJ_E10value_typeEPNSP_ISK_E10value_typeEPSL_NS1_7vsmem_tEENKUlT_SJ_SK_SL_E_clISE_PhSF_SF_EESI_SY_SJ_SK_SL_EUlSY_E0_NS1_11comp_targetILNS1_3genE0ELNS1_11target_archE4294967295ELNS1_3gpuE0ELNS1_3repE0EEENS1_38merge_mergepath_config_static_selectorELNS0_4arch9wavefront6targetE0EEEvSK_.uses_flat_scratch, 0
	.set _ZN7rocprim17ROCPRIM_400000_NS6detail17trampoline_kernelINS0_14default_configENS1_38merge_sort_block_merge_config_selectorIhNS0_10empty_typeEEEZZNS1_27merge_sort_block_merge_implIS3_N6thrust23THRUST_200600_302600_NS6detail15normal_iteratorINS9_10device_ptrIhEEEEPS5_m11less_div_10IhEEE10hipError_tT0_T1_T2_jT3_P12ihipStream_tbPNSt15iterator_traitsISJ_E10value_typeEPNSP_ISK_E10value_typeEPSL_NS1_7vsmem_tEENKUlT_SJ_SK_SL_E_clISE_PhSF_SF_EESI_SY_SJ_SK_SL_EUlSY_E0_NS1_11comp_targetILNS1_3genE0ELNS1_11target_archE4294967295ELNS1_3gpuE0ELNS1_3repE0EEENS1_38merge_mergepath_config_static_selectorELNS0_4arch9wavefront6targetE0EEEvSK_.has_dyn_sized_stack, 0
	.set _ZN7rocprim17ROCPRIM_400000_NS6detail17trampoline_kernelINS0_14default_configENS1_38merge_sort_block_merge_config_selectorIhNS0_10empty_typeEEEZZNS1_27merge_sort_block_merge_implIS3_N6thrust23THRUST_200600_302600_NS6detail15normal_iteratorINS9_10device_ptrIhEEEEPS5_m11less_div_10IhEEE10hipError_tT0_T1_T2_jT3_P12ihipStream_tbPNSt15iterator_traitsISJ_E10value_typeEPNSP_ISK_E10value_typeEPSL_NS1_7vsmem_tEENKUlT_SJ_SK_SL_E_clISE_PhSF_SF_EESI_SY_SJ_SK_SL_EUlSY_E0_NS1_11comp_targetILNS1_3genE0ELNS1_11target_archE4294967295ELNS1_3gpuE0ELNS1_3repE0EEENS1_38merge_mergepath_config_static_selectorELNS0_4arch9wavefront6targetE0EEEvSK_.has_recursion, 0
	.set _ZN7rocprim17ROCPRIM_400000_NS6detail17trampoline_kernelINS0_14default_configENS1_38merge_sort_block_merge_config_selectorIhNS0_10empty_typeEEEZZNS1_27merge_sort_block_merge_implIS3_N6thrust23THRUST_200600_302600_NS6detail15normal_iteratorINS9_10device_ptrIhEEEEPS5_m11less_div_10IhEEE10hipError_tT0_T1_T2_jT3_P12ihipStream_tbPNSt15iterator_traitsISJ_E10value_typeEPNSP_ISK_E10value_typeEPSL_NS1_7vsmem_tEENKUlT_SJ_SK_SL_E_clISE_PhSF_SF_EESI_SY_SJ_SK_SL_EUlSY_E0_NS1_11comp_targetILNS1_3genE0ELNS1_11target_archE4294967295ELNS1_3gpuE0ELNS1_3repE0EEENS1_38merge_mergepath_config_static_selectorELNS0_4arch9wavefront6targetE0EEEvSK_.has_indirect_call, 0
	.section	.AMDGPU.csdata,"",@progbits
; Kernel info:
; codeLenInByte = 0
; TotalNumSgprs: 0
; NumVgprs: 0
; ScratchSize: 0
; MemoryBound: 0
; FloatMode: 240
; IeeeMode: 1
; LDSByteSize: 0 bytes/workgroup (compile time only)
; SGPRBlocks: 0
; VGPRBlocks: 0
; NumSGPRsForWavesPerEU: 1
; NumVGPRsForWavesPerEU: 1
; Occupancy: 16
; WaveLimiterHint : 0
; COMPUTE_PGM_RSRC2:SCRATCH_EN: 0
; COMPUTE_PGM_RSRC2:USER_SGPR: 6
; COMPUTE_PGM_RSRC2:TRAP_HANDLER: 0
; COMPUTE_PGM_RSRC2:TGID_X_EN: 1
; COMPUTE_PGM_RSRC2:TGID_Y_EN: 0
; COMPUTE_PGM_RSRC2:TGID_Z_EN: 0
; COMPUTE_PGM_RSRC2:TIDIG_COMP_CNT: 0
	.section	.text._ZN7rocprim17ROCPRIM_400000_NS6detail17trampoline_kernelINS0_14default_configENS1_38merge_sort_block_merge_config_selectorIhNS0_10empty_typeEEEZZNS1_27merge_sort_block_merge_implIS3_N6thrust23THRUST_200600_302600_NS6detail15normal_iteratorINS9_10device_ptrIhEEEEPS5_m11less_div_10IhEEE10hipError_tT0_T1_T2_jT3_P12ihipStream_tbPNSt15iterator_traitsISJ_E10value_typeEPNSP_ISK_E10value_typeEPSL_NS1_7vsmem_tEENKUlT_SJ_SK_SL_E_clISE_PhSF_SF_EESI_SY_SJ_SK_SL_EUlSY_E0_NS1_11comp_targetILNS1_3genE10ELNS1_11target_archE1201ELNS1_3gpuE5ELNS1_3repE0EEENS1_38merge_mergepath_config_static_selectorELNS0_4arch9wavefront6targetE0EEEvSK_,"axG",@progbits,_ZN7rocprim17ROCPRIM_400000_NS6detail17trampoline_kernelINS0_14default_configENS1_38merge_sort_block_merge_config_selectorIhNS0_10empty_typeEEEZZNS1_27merge_sort_block_merge_implIS3_N6thrust23THRUST_200600_302600_NS6detail15normal_iteratorINS9_10device_ptrIhEEEEPS5_m11less_div_10IhEEE10hipError_tT0_T1_T2_jT3_P12ihipStream_tbPNSt15iterator_traitsISJ_E10value_typeEPNSP_ISK_E10value_typeEPSL_NS1_7vsmem_tEENKUlT_SJ_SK_SL_E_clISE_PhSF_SF_EESI_SY_SJ_SK_SL_EUlSY_E0_NS1_11comp_targetILNS1_3genE10ELNS1_11target_archE1201ELNS1_3gpuE5ELNS1_3repE0EEENS1_38merge_mergepath_config_static_selectorELNS0_4arch9wavefront6targetE0EEEvSK_,comdat
	.protected	_ZN7rocprim17ROCPRIM_400000_NS6detail17trampoline_kernelINS0_14default_configENS1_38merge_sort_block_merge_config_selectorIhNS0_10empty_typeEEEZZNS1_27merge_sort_block_merge_implIS3_N6thrust23THRUST_200600_302600_NS6detail15normal_iteratorINS9_10device_ptrIhEEEEPS5_m11less_div_10IhEEE10hipError_tT0_T1_T2_jT3_P12ihipStream_tbPNSt15iterator_traitsISJ_E10value_typeEPNSP_ISK_E10value_typeEPSL_NS1_7vsmem_tEENKUlT_SJ_SK_SL_E_clISE_PhSF_SF_EESI_SY_SJ_SK_SL_EUlSY_E0_NS1_11comp_targetILNS1_3genE10ELNS1_11target_archE1201ELNS1_3gpuE5ELNS1_3repE0EEENS1_38merge_mergepath_config_static_selectorELNS0_4arch9wavefront6targetE0EEEvSK_ ; -- Begin function _ZN7rocprim17ROCPRIM_400000_NS6detail17trampoline_kernelINS0_14default_configENS1_38merge_sort_block_merge_config_selectorIhNS0_10empty_typeEEEZZNS1_27merge_sort_block_merge_implIS3_N6thrust23THRUST_200600_302600_NS6detail15normal_iteratorINS9_10device_ptrIhEEEEPS5_m11less_div_10IhEEE10hipError_tT0_T1_T2_jT3_P12ihipStream_tbPNSt15iterator_traitsISJ_E10value_typeEPNSP_ISK_E10value_typeEPSL_NS1_7vsmem_tEENKUlT_SJ_SK_SL_E_clISE_PhSF_SF_EESI_SY_SJ_SK_SL_EUlSY_E0_NS1_11comp_targetILNS1_3genE10ELNS1_11target_archE1201ELNS1_3gpuE5ELNS1_3repE0EEENS1_38merge_mergepath_config_static_selectorELNS0_4arch9wavefront6targetE0EEEvSK_
	.globl	_ZN7rocprim17ROCPRIM_400000_NS6detail17trampoline_kernelINS0_14default_configENS1_38merge_sort_block_merge_config_selectorIhNS0_10empty_typeEEEZZNS1_27merge_sort_block_merge_implIS3_N6thrust23THRUST_200600_302600_NS6detail15normal_iteratorINS9_10device_ptrIhEEEEPS5_m11less_div_10IhEEE10hipError_tT0_T1_T2_jT3_P12ihipStream_tbPNSt15iterator_traitsISJ_E10value_typeEPNSP_ISK_E10value_typeEPSL_NS1_7vsmem_tEENKUlT_SJ_SK_SL_E_clISE_PhSF_SF_EESI_SY_SJ_SK_SL_EUlSY_E0_NS1_11comp_targetILNS1_3genE10ELNS1_11target_archE1201ELNS1_3gpuE5ELNS1_3repE0EEENS1_38merge_mergepath_config_static_selectorELNS0_4arch9wavefront6targetE0EEEvSK_
	.p2align	8
	.type	_ZN7rocprim17ROCPRIM_400000_NS6detail17trampoline_kernelINS0_14default_configENS1_38merge_sort_block_merge_config_selectorIhNS0_10empty_typeEEEZZNS1_27merge_sort_block_merge_implIS3_N6thrust23THRUST_200600_302600_NS6detail15normal_iteratorINS9_10device_ptrIhEEEEPS5_m11less_div_10IhEEE10hipError_tT0_T1_T2_jT3_P12ihipStream_tbPNSt15iterator_traitsISJ_E10value_typeEPNSP_ISK_E10value_typeEPSL_NS1_7vsmem_tEENKUlT_SJ_SK_SL_E_clISE_PhSF_SF_EESI_SY_SJ_SK_SL_EUlSY_E0_NS1_11comp_targetILNS1_3genE10ELNS1_11target_archE1201ELNS1_3gpuE5ELNS1_3repE0EEENS1_38merge_mergepath_config_static_selectorELNS0_4arch9wavefront6targetE0EEEvSK_,@function
_ZN7rocprim17ROCPRIM_400000_NS6detail17trampoline_kernelINS0_14default_configENS1_38merge_sort_block_merge_config_selectorIhNS0_10empty_typeEEEZZNS1_27merge_sort_block_merge_implIS3_N6thrust23THRUST_200600_302600_NS6detail15normal_iteratorINS9_10device_ptrIhEEEEPS5_m11less_div_10IhEEE10hipError_tT0_T1_T2_jT3_P12ihipStream_tbPNSt15iterator_traitsISJ_E10value_typeEPNSP_ISK_E10value_typeEPSL_NS1_7vsmem_tEENKUlT_SJ_SK_SL_E_clISE_PhSF_SF_EESI_SY_SJ_SK_SL_EUlSY_E0_NS1_11comp_targetILNS1_3genE10ELNS1_11target_archE1201ELNS1_3gpuE5ELNS1_3repE0EEENS1_38merge_mergepath_config_static_selectorELNS0_4arch9wavefront6targetE0EEEvSK_: ; @_ZN7rocprim17ROCPRIM_400000_NS6detail17trampoline_kernelINS0_14default_configENS1_38merge_sort_block_merge_config_selectorIhNS0_10empty_typeEEEZZNS1_27merge_sort_block_merge_implIS3_N6thrust23THRUST_200600_302600_NS6detail15normal_iteratorINS9_10device_ptrIhEEEEPS5_m11less_div_10IhEEE10hipError_tT0_T1_T2_jT3_P12ihipStream_tbPNSt15iterator_traitsISJ_E10value_typeEPNSP_ISK_E10value_typeEPSL_NS1_7vsmem_tEENKUlT_SJ_SK_SL_E_clISE_PhSF_SF_EESI_SY_SJ_SK_SL_EUlSY_E0_NS1_11comp_targetILNS1_3genE10ELNS1_11target_archE1201ELNS1_3gpuE5ELNS1_3repE0EEENS1_38merge_mergepath_config_static_selectorELNS0_4arch9wavefront6targetE0EEEvSK_
; %bb.0:
	.section	.rodata,"a",@progbits
	.p2align	6, 0x0
	.amdhsa_kernel _ZN7rocprim17ROCPRIM_400000_NS6detail17trampoline_kernelINS0_14default_configENS1_38merge_sort_block_merge_config_selectorIhNS0_10empty_typeEEEZZNS1_27merge_sort_block_merge_implIS3_N6thrust23THRUST_200600_302600_NS6detail15normal_iteratorINS9_10device_ptrIhEEEEPS5_m11less_div_10IhEEE10hipError_tT0_T1_T2_jT3_P12ihipStream_tbPNSt15iterator_traitsISJ_E10value_typeEPNSP_ISK_E10value_typeEPSL_NS1_7vsmem_tEENKUlT_SJ_SK_SL_E_clISE_PhSF_SF_EESI_SY_SJ_SK_SL_EUlSY_E0_NS1_11comp_targetILNS1_3genE10ELNS1_11target_archE1201ELNS1_3gpuE5ELNS1_3repE0EEENS1_38merge_mergepath_config_static_selectorELNS0_4arch9wavefront6targetE0EEEvSK_
		.amdhsa_group_segment_fixed_size 0
		.amdhsa_private_segment_fixed_size 0
		.amdhsa_kernarg_size 72
		.amdhsa_user_sgpr_count 6
		.amdhsa_user_sgpr_private_segment_buffer 1
		.amdhsa_user_sgpr_dispatch_ptr 0
		.amdhsa_user_sgpr_queue_ptr 0
		.amdhsa_user_sgpr_kernarg_segment_ptr 1
		.amdhsa_user_sgpr_dispatch_id 0
		.amdhsa_user_sgpr_flat_scratch_init 0
		.amdhsa_user_sgpr_private_segment_size 0
		.amdhsa_wavefront_size32 1
		.amdhsa_uses_dynamic_stack 0
		.amdhsa_system_sgpr_private_segment_wavefront_offset 0
		.amdhsa_system_sgpr_workgroup_id_x 1
		.amdhsa_system_sgpr_workgroup_id_y 0
		.amdhsa_system_sgpr_workgroup_id_z 0
		.amdhsa_system_sgpr_workgroup_info 0
		.amdhsa_system_vgpr_workitem_id 0
		.amdhsa_next_free_vgpr 1
		.amdhsa_next_free_sgpr 1
		.amdhsa_reserve_vcc 0
		.amdhsa_reserve_flat_scratch 0
		.amdhsa_float_round_mode_32 0
		.amdhsa_float_round_mode_16_64 0
		.amdhsa_float_denorm_mode_32 3
		.amdhsa_float_denorm_mode_16_64 3
		.amdhsa_dx10_clamp 1
		.amdhsa_ieee_mode 1
		.amdhsa_fp16_overflow 0
		.amdhsa_workgroup_processor_mode 1
		.amdhsa_memory_ordered 1
		.amdhsa_forward_progress 1
		.amdhsa_shared_vgpr_count 0
		.amdhsa_exception_fp_ieee_invalid_op 0
		.amdhsa_exception_fp_denorm_src 0
		.amdhsa_exception_fp_ieee_div_zero 0
		.amdhsa_exception_fp_ieee_overflow 0
		.amdhsa_exception_fp_ieee_underflow 0
		.amdhsa_exception_fp_ieee_inexact 0
		.amdhsa_exception_int_div_zero 0
	.end_amdhsa_kernel
	.section	.text._ZN7rocprim17ROCPRIM_400000_NS6detail17trampoline_kernelINS0_14default_configENS1_38merge_sort_block_merge_config_selectorIhNS0_10empty_typeEEEZZNS1_27merge_sort_block_merge_implIS3_N6thrust23THRUST_200600_302600_NS6detail15normal_iteratorINS9_10device_ptrIhEEEEPS5_m11less_div_10IhEEE10hipError_tT0_T1_T2_jT3_P12ihipStream_tbPNSt15iterator_traitsISJ_E10value_typeEPNSP_ISK_E10value_typeEPSL_NS1_7vsmem_tEENKUlT_SJ_SK_SL_E_clISE_PhSF_SF_EESI_SY_SJ_SK_SL_EUlSY_E0_NS1_11comp_targetILNS1_3genE10ELNS1_11target_archE1201ELNS1_3gpuE5ELNS1_3repE0EEENS1_38merge_mergepath_config_static_selectorELNS0_4arch9wavefront6targetE0EEEvSK_,"axG",@progbits,_ZN7rocprim17ROCPRIM_400000_NS6detail17trampoline_kernelINS0_14default_configENS1_38merge_sort_block_merge_config_selectorIhNS0_10empty_typeEEEZZNS1_27merge_sort_block_merge_implIS3_N6thrust23THRUST_200600_302600_NS6detail15normal_iteratorINS9_10device_ptrIhEEEEPS5_m11less_div_10IhEEE10hipError_tT0_T1_T2_jT3_P12ihipStream_tbPNSt15iterator_traitsISJ_E10value_typeEPNSP_ISK_E10value_typeEPSL_NS1_7vsmem_tEENKUlT_SJ_SK_SL_E_clISE_PhSF_SF_EESI_SY_SJ_SK_SL_EUlSY_E0_NS1_11comp_targetILNS1_3genE10ELNS1_11target_archE1201ELNS1_3gpuE5ELNS1_3repE0EEENS1_38merge_mergepath_config_static_selectorELNS0_4arch9wavefront6targetE0EEEvSK_,comdat
.Lfunc_end726:
	.size	_ZN7rocprim17ROCPRIM_400000_NS6detail17trampoline_kernelINS0_14default_configENS1_38merge_sort_block_merge_config_selectorIhNS0_10empty_typeEEEZZNS1_27merge_sort_block_merge_implIS3_N6thrust23THRUST_200600_302600_NS6detail15normal_iteratorINS9_10device_ptrIhEEEEPS5_m11less_div_10IhEEE10hipError_tT0_T1_T2_jT3_P12ihipStream_tbPNSt15iterator_traitsISJ_E10value_typeEPNSP_ISK_E10value_typeEPSL_NS1_7vsmem_tEENKUlT_SJ_SK_SL_E_clISE_PhSF_SF_EESI_SY_SJ_SK_SL_EUlSY_E0_NS1_11comp_targetILNS1_3genE10ELNS1_11target_archE1201ELNS1_3gpuE5ELNS1_3repE0EEENS1_38merge_mergepath_config_static_selectorELNS0_4arch9wavefront6targetE0EEEvSK_, .Lfunc_end726-_ZN7rocprim17ROCPRIM_400000_NS6detail17trampoline_kernelINS0_14default_configENS1_38merge_sort_block_merge_config_selectorIhNS0_10empty_typeEEEZZNS1_27merge_sort_block_merge_implIS3_N6thrust23THRUST_200600_302600_NS6detail15normal_iteratorINS9_10device_ptrIhEEEEPS5_m11less_div_10IhEEE10hipError_tT0_T1_T2_jT3_P12ihipStream_tbPNSt15iterator_traitsISJ_E10value_typeEPNSP_ISK_E10value_typeEPSL_NS1_7vsmem_tEENKUlT_SJ_SK_SL_E_clISE_PhSF_SF_EESI_SY_SJ_SK_SL_EUlSY_E0_NS1_11comp_targetILNS1_3genE10ELNS1_11target_archE1201ELNS1_3gpuE5ELNS1_3repE0EEENS1_38merge_mergepath_config_static_selectorELNS0_4arch9wavefront6targetE0EEEvSK_
                                        ; -- End function
	.set _ZN7rocprim17ROCPRIM_400000_NS6detail17trampoline_kernelINS0_14default_configENS1_38merge_sort_block_merge_config_selectorIhNS0_10empty_typeEEEZZNS1_27merge_sort_block_merge_implIS3_N6thrust23THRUST_200600_302600_NS6detail15normal_iteratorINS9_10device_ptrIhEEEEPS5_m11less_div_10IhEEE10hipError_tT0_T1_T2_jT3_P12ihipStream_tbPNSt15iterator_traitsISJ_E10value_typeEPNSP_ISK_E10value_typeEPSL_NS1_7vsmem_tEENKUlT_SJ_SK_SL_E_clISE_PhSF_SF_EESI_SY_SJ_SK_SL_EUlSY_E0_NS1_11comp_targetILNS1_3genE10ELNS1_11target_archE1201ELNS1_3gpuE5ELNS1_3repE0EEENS1_38merge_mergepath_config_static_selectorELNS0_4arch9wavefront6targetE0EEEvSK_.num_vgpr, 0
	.set _ZN7rocprim17ROCPRIM_400000_NS6detail17trampoline_kernelINS0_14default_configENS1_38merge_sort_block_merge_config_selectorIhNS0_10empty_typeEEEZZNS1_27merge_sort_block_merge_implIS3_N6thrust23THRUST_200600_302600_NS6detail15normal_iteratorINS9_10device_ptrIhEEEEPS5_m11less_div_10IhEEE10hipError_tT0_T1_T2_jT3_P12ihipStream_tbPNSt15iterator_traitsISJ_E10value_typeEPNSP_ISK_E10value_typeEPSL_NS1_7vsmem_tEENKUlT_SJ_SK_SL_E_clISE_PhSF_SF_EESI_SY_SJ_SK_SL_EUlSY_E0_NS1_11comp_targetILNS1_3genE10ELNS1_11target_archE1201ELNS1_3gpuE5ELNS1_3repE0EEENS1_38merge_mergepath_config_static_selectorELNS0_4arch9wavefront6targetE0EEEvSK_.num_agpr, 0
	.set _ZN7rocprim17ROCPRIM_400000_NS6detail17trampoline_kernelINS0_14default_configENS1_38merge_sort_block_merge_config_selectorIhNS0_10empty_typeEEEZZNS1_27merge_sort_block_merge_implIS3_N6thrust23THRUST_200600_302600_NS6detail15normal_iteratorINS9_10device_ptrIhEEEEPS5_m11less_div_10IhEEE10hipError_tT0_T1_T2_jT3_P12ihipStream_tbPNSt15iterator_traitsISJ_E10value_typeEPNSP_ISK_E10value_typeEPSL_NS1_7vsmem_tEENKUlT_SJ_SK_SL_E_clISE_PhSF_SF_EESI_SY_SJ_SK_SL_EUlSY_E0_NS1_11comp_targetILNS1_3genE10ELNS1_11target_archE1201ELNS1_3gpuE5ELNS1_3repE0EEENS1_38merge_mergepath_config_static_selectorELNS0_4arch9wavefront6targetE0EEEvSK_.numbered_sgpr, 0
	.set _ZN7rocprim17ROCPRIM_400000_NS6detail17trampoline_kernelINS0_14default_configENS1_38merge_sort_block_merge_config_selectorIhNS0_10empty_typeEEEZZNS1_27merge_sort_block_merge_implIS3_N6thrust23THRUST_200600_302600_NS6detail15normal_iteratorINS9_10device_ptrIhEEEEPS5_m11less_div_10IhEEE10hipError_tT0_T1_T2_jT3_P12ihipStream_tbPNSt15iterator_traitsISJ_E10value_typeEPNSP_ISK_E10value_typeEPSL_NS1_7vsmem_tEENKUlT_SJ_SK_SL_E_clISE_PhSF_SF_EESI_SY_SJ_SK_SL_EUlSY_E0_NS1_11comp_targetILNS1_3genE10ELNS1_11target_archE1201ELNS1_3gpuE5ELNS1_3repE0EEENS1_38merge_mergepath_config_static_selectorELNS0_4arch9wavefront6targetE0EEEvSK_.num_named_barrier, 0
	.set _ZN7rocprim17ROCPRIM_400000_NS6detail17trampoline_kernelINS0_14default_configENS1_38merge_sort_block_merge_config_selectorIhNS0_10empty_typeEEEZZNS1_27merge_sort_block_merge_implIS3_N6thrust23THRUST_200600_302600_NS6detail15normal_iteratorINS9_10device_ptrIhEEEEPS5_m11less_div_10IhEEE10hipError_tT0_T1_T2_jT3_P12ihipStream_tbPNSt15iterator_traitsISJ_E10value_typeEPNSP_ISK_E10value_typeEPSL_NS1_7vsmem_tEENKUlT_SJ_SK_SL_E_clISE_PhSF_SF_EESI_SY_SJ_SK_SL_EUlSY_E0_NS1_11comp_targetILNS1_3genE10ELNS1_11target_archE1201ELNS1_3gpuE5ELNS1_3repE0EEENS1_38merge_mergepath_config_static_selectorELNS0_4arch9wavefront6targetE0EEEvSK_.private_seg_size, 0
	.set _ZN7rocprim17ROCPRIM_400000_NS6detail17trampoline_kernelINS0_14default_configENS1_38merge_sort_block_merge_config_selectorIhNS0_10empty_typeEEEZZNS1_27merge_sort_block_merge_implIS3_N6thrust23THRUST_200600_302600_NS6detail15normal_iteratorINS9_10device_ptrIhEEEEPS5_m11less_div_10IhEEE10hipError_tT0_T1_T2_jT3_P12ihipStream_tbPNSt15iterator_traitsISJ_E10value_typeEPNSP_ISK_E10value_typeEPSL_NS1_7vsmem_tEENKUlT_SJ_SK_SL_E_clISE_PhSF_SF_EESI_SY_SJ_SK_SL_EUlSY_E0_NS1_11comp_targetILNS1_3genE10ELNS1_11target_archE1201ELNS1_3gpuE5ELNS1_3repE0EEENS1_38merge_mergepath_config_static_selectorELNS0_4arch9wavefront6targetE0EEEvSK_.uses_vcc, 0
	.set _ZN7rocprim17ROCPRIM_400000_NS6detail17trampoline_kernelINS0_14default_configENS1_38merge_sort_block_merge_config_selectorIhNS0_10empty_typeEEEZZNS1_27merge_sort_block_merge_implIS3_N6thrust23THRUST_200600_302600_NS6detail15normal_iteratorINS9_10device_ptrIhEEEEPS5_m11less_div_10IhEEE10hipError_tT0_T1_T2_jT3_P12ihipStream_tbPNSt15iterator_traitsISJ_E10value_typeEPNSP_ISK_E10value_typeEPSL_NS1_7vsmem_tEENKUlT_SJ_SK_SL_E_clISE_PhSF_SF_EESI_SY_SJ_SK_SL_EUlSY_E0_NS1_11comp_targetILNS1_3genE10ELNS1_11target_archE1201ELNS1_3gpuE5ELNS1_3repE0EEENS1_38merge_mergepath_config_static_selectorELNS0_4arch9wavefront6targetE0EEEvSK_.uses_flat_scratch, 0
	.set _ZN7rocprim17ROCPRIM_400000_NS6detail17trampoline_kernelINS0_14default_configENS1_38merge_sort_block_merge_config_selectorIhNS0_10empty_typeEEEZZNS1_27merge_sort_block_merge_implIS3_N6thrust23THRUST_200600_302600_NS6detail15normal_iteratorINS9_10device_ptrIhEEEEPS5_m11less_div_10IhEEE10hipError_tT0_T1_T2_jT3_P12ihipStream_tbPNSt15iterator_traitsISJ_E10value_typeEPNSP_ISK_E10value_typeEPSL_NS1_7vsmem_tEENKUlT_SJ_SK_SL_E_clISE_PhSF_SF_EESI_SY_SJ_SK_SL_EUlSY_E0_NS1_11comp_targetILNS1_3genE10ELNS1_11target_archE1201ELNS1_3gpuE5ELNS1_3repE0EEENS1_38merge_mergepath_config_static_selectorELNS0_4arch9wavefront6targetE0EEEvSK_.has_dyn_sized_stack, 0
	.set _ZN7rocprim17ROCPRIM_400000_NS6detail17trampoline_kernelINS0_14default_configENS1_38merge_sort_block_merge_config_selectorIhNS0_10empty_typeEEEZZNS1_27merge_sort_block_merge_implIS3_N6thrust23THRUST_200600_302600_NS6detail15normal_iteratorINS9_10device_ptrIhEEEEPS5_m11less_div_10IhEEE10hipError_tT0_T1_T2_jT3_P12ihipStream_tbPNSt15iterator_traitsISJ_E10value_typeEPNSP_ISK_E10value_typeEPSL_NS1_7vsmem_tEENKUlT_SJ_SK_SL_E_clISE_PhSF_SF_EESI_SY_SJ_SK_SL_EUlSY_E0_NS1_11comp_targetILNS1_3genE10ELNS1_11target_archE1201ELNS1_3gpuE5ELNS1_3repE0EEENS1_38merge_mergepath_config_static_selectorELNS0_4arch9wavefront6targetE0EEEvSK_.has_recursion, 0
	.set _ZN7rocprim17ROCPRIM_400000_NS6detail17trampoline_kernelINS0_14default_configENS1_38merge_sort_block_merge_config_selectorIhNS0_10empty_typeEEEZZNS1_27merge_sort_block_merge_implIS3_N6thrust23THRUST_200600_302600_NS6detail15normal_iteratorINS9_10device_ptrIhEEEEPS5_m11less_div_10IhEEE10hipError_tT0_T1_T2_jT3_P12ihipStream_tbPNSt15iterator_traitsISJ_E10value_typeEPNSP_ISK_E10value_typeEPSL_NS1_7vsmem_tEENKUlT_SJ_SK_SL_E_clISE_PhSF_SF_EESI_SY_SJ_SK_SL_EUlSY_E0_NS1_11comp_targetILNS1_3genE10ELNS1_11target_archE1201ELNS1_3gpuE5ELNS1_3repE0EEENS1_38merge_mergepath_config_static_selectorELNS0_4arch9wavefront6targetE0EEEvSK_.has_indirect_call, 0
	.section	.AMDGPU.csdata,"",@progbits
; Kernel info:
; codeLenInByte = 0
; TotalNumSgprs: 0
; NumVgprs: 0
; ScratchSize: 0
; MemoryBound: 0
; FloatMode: 240
; IeeeMode: 1
; LDSByteSize: 0 bytes/workgroup (compile time only)
; SGPRBlocks: 0
; VGPRBlocks: 0
; NumSGPRsForWavesPerEU: 1
; NumVGPRsForWavesPerEU: 1
; Occupancy: 16
; WaveLimiterHint : 0
; COMPUTE_PGM_RSRC2:SCRATCH_EN: 0
; COMPUTE_PGM_RSRC2:USER_SGPR: 6
; COMPUTE_PGM_RSRC2:TRAP_HANDLER: 0
; COMPUTE_PGM_RSRC2:TGID_X_EN: 1
; COMPUTE_PGM_RSRC2:TGID_Y_EN: 0
; COMPUTE_PGM_RSRC2:TGID_Z_EN: 0
; COMPUTE_PGM_RSRC2:TIDIG_COMP_CNT: 0
	.section	.text._ZN7rocprim17ROCPRIM_400000_NS6detail17trampoline_kernelINS0_14default_configENS1_38merge_sort_block_merge_config_selectorIhNS0_10empty_typeEEEZZNS1_27merge_sort_block_merge_implIS3_N6thrust23THRUST_200600_302600_NS6detail15normal_iteratorINS9_10device_ptrIhEEEEPS5_m11less_div_10IhEEE10hipError_tT0_T1_T2_jT3_P12ihipStream_tbPNSt15iterator_traitsISJ_E10value_typeEPNSP_ISK_E10value_typeEPSL_NS1_7vsmem_tEENKUlT_SJ_SK_SL_E_clISE_PhSF_SF_EESI_SY_SJ_SK_SL_EUlSY_E0_NS1_11comp_targetILNS1_3genE5ELNS1_11target_archE942ELNS1_3gpuE9ELNS1_3repE0EEENS1_38merge_mergepath_config_static_selectorELNS0_4arch9wavefront6targetE0EEEvSK_,"axG",@progbits,_ZN7rocprim17ROCPRIM_400000_NS6detail17trampoline_kernelINS0_14default_configENS1_38merge_sort_block_merge_config_selectorIhNS0_10empty_typeEEEZZNS1_27merge_sort_block_merge_implIS3_N6thrust23THRUST_200600_302600_NS6detail15normal_iteratorINS9_10device_ptrIhEEEEPS5_m11less_div_10IhEEE10hipError_tT0_T1_T2_jT3_P12ihipStream_tbPNSt15iterator_traitsISJ_E10value_typeEPNSP_ISK_E10value_typeEPSL_NS1_7vsmem_tEENKUlT_SJ_SK_SL_E_clISE_PhSF_SF_EESI_SY_SJ_SK_SL_EUlSY_E0_NS1_11comp_targetILNS1_3genE5ELNS1_11target_archE942ELNS1_3gpuE9ELNS1_3repE0EEENS1_38merge_mergepath_config_static_selectorELNS0_4arch9wavefront6targetE0EEEvSK_,comdat
	.protected	_ZN7rocprim17ROCPRIM_400000_NS6detail17trampoline_kernelINS0_14default_configENS1_38merge_sort_block_merge_config_selectorIhNS0_10empty_typeEEEZZNS1_27merge_sort_block_merge_implIS3_N6thrust23THRUST_200600_302600_NS6detail15normal_iteratorINS9_10device_ptrIhEEEEPS5_m11less_div_10IhEEE10hipError_tT0_T1_T2_jT3_P12ihipStream_tbPNSt15iterator_traitsISJ_E10value_typeEPNSP_ISK_E10value_typeEPSL_NS1_7vsmem_tEENKUlT_SJ_SK_SL_E_clISE_PhSF_SF_EESI_SY_SJ_SK_SL_EUlSY_E0_NS1_11comp_targetILNS1_3genE5ELNS1_11target_archE942ELNS1_3gpuE9ELNS1_3repE0EEENS1_38merge_mergepath_config_static_selectorELNS0_4arch9wavefront6targetE0EEEvSK_ ; -- Begin function _ZN7rocprim17ROCPRIM_400000_NS6detail17trampoline_kernelINS0_14default_configENS1_38merge_sort_block_merge_config_selectorIhNS0_10empty_typeEEEZZNS1_27merge_sort_block_merge_implIS3_N6thrust23THRUST_200600_302600_NS6detail15normal_iteratorINS9_10device_ptrIhEEEEPS5_m11less_div_10IhEEE10hipError_tT0_T1_T2_jT3_P12ihipStream_tbPNSt15iterator_traitsISJ_E10value_typeEPNSP_ISK_E10value_typeEPSL_NS1_7vsmem_tEENKUlT_SJ_SK_SL_E_clISE_PhSF_SF_EESI_SY_SJ_SK_SL_EUlSY_E0_NS1_11comp_targetILNS1_3genE5ELNS1_11target_archE942ELNS1_3gpuE9ELNS1_3repE0EEENS1_38merge_mergepath_config_static_selectorELNS0_4arch9wavefront6targetE0EEEvSK_
	.globl	_ZN7rocprim17ROCPRIM_400000_NS6detail17trampoline_kernelINS0_14default_configENS1_38merge_sort_block_merge_config_selectorIhNS0_10empty_typeEEEZZNS1_27merge_sort_block_merge_implIS3_N6thrust23THRUST_200600_302600_NS6detail15normal_iteratorINS9_10device_ptrIhEEEEPS5_m11less_div_10IhEEE10hipError_tT0_T1_T2_jT3_P12ihipStream_tbPNSt15iterator_traitsISJ_E10value_typeEPNSP_ISK_E10value_typeEPSL_NS1_7vsmem_tEENKUlT_SJ_SK_SL_E_clISE_PhSF_SF_EESI_SY_SJ_SK_SL_EUlSY_E0_NS1_11comp_targetILNS1_3genE5ELNS1_11target_archE942ELNS1_3gpuE9ELNS1_3repE0EEENS1_38merge_mergepath_config_static_selectorELNS0_4arch9wavefront6targetE0EEEvSK_
	.p2align	8
	.type	_ZN7rocprim17ROCPRIM_400000_NS6detail17trampoline_kernelINS0_14default_configENS1_38merge_sort_block_merge_config_selectorIhNS0_10empty_typeEEEZZNS1_27merge_sort_block_merge_implIS3_N6thrust23THRUST_200600_302600_NS6detail15normal_iteratorINS9_10device_ptrIhEEEEPS5_m11less_div_10IhEEE10hipError_tT0_T1_T2_jT3_P12ihipStream_tbPNSt15iterator_traitsISJ_E10value_typeEPNSP_ISK_E10value_typeEPSL_NS1_7vsmem_tEENKUlT_SJ_SK_SL_E_clISE_PhSF_SF_EESI_SY_SJ_SK_SL_EUlSY_E0_NS1_11comp_targetILNS1_3genE5ELNS1_11target_archE942ELNS1_3gpuE9ELNS1_3repE0EEENS1_38merge_mergepath_config_static_selectorELNS0_4arch9wavefront6targetE0EEEvSK_,@function
_ZN7rocprim17ROCPRIM_400000_NS6detail17trampoline_kernelINS0_14default_configENS1_38merge_sort_block_merge_config_selectorIhNS0_10empty_typeEEEZZNS1_27merge_sort_block_merge_implIS3_N6thrust23THRUST_200600_302600_NS6detail15normal_iteratorINS9_10device_ptrIhEEEEPS5_m11less_div_10IhEEE10hipError_tT0_T1_T2_jT3_P12ihipStream_tbPNSt15iterator_traitsISJ_E10value_typeEPNSP_ISK_E10value_typeEPSL_NS1_7vsmem_tEENKUlT_SJ_SK_SL_E_clISE_PhSF_SF_EESI_SY_SJ_SK_SL_EUlSY_E0_NS1_11comp_targetILNS1_3genE5ELNS1_11target_archE942ELNS1_3gpuE9ELNS1_3repE0EEENS1_38merge_mergepath_config_static_selectorELNS0_4arch9wavefront6targetE0EEEvSK_: ; @_ZN7rocprim17ROCPRIM_400000_NS6detail17trampoline_kernelINS0_14default_configENS1_38merge_sort_block_merge_config_selectorIhNS0_10empty_typeEEEZZNS1_27merge_sort_block_merge_implIS3_N6thrust23THRUST_200600_302600_NS6detail15normal_iteratorINS9_10device_ptrIhEEEEPS5_m11less_div_10IhEEE10hipError_tT0_T1_T2_jT3_P12ihipStream_tbPNSt15iterator_traitsISJ_E10value_typeEPNSP_ISK_E10value_typeEPSL_NS1_7vsmem_tEENKUlT_SJ_SK_SL_E_clISE_PhSF_SF_EESI_SY_SJ_SK_SL_EUlSY_E0_NS1_11comp_targetILNS1_3genE5ELNS1_11target_archE942ELNS1_3gpuE9ELNS1_3repE0EEENS1_38merge_mergepath_config_static_selectorELNS0_4arch9wavefront6targetE0EEEvSK_
; %bb.0:
	.section	.rodata,"a",@progbits
	.p2align	6, 0x0
	.amdhsa_kernel _ZN7rocprim17ROCPRIM_400000_NS6detail17trampoline_kernelINS0_14default_configENS1_38merge_sort_block_merge_config_selectorIhNS0_10empty_typeEEEZZNS1_27merge_sort_block_merge_implIS3_N6thrust23THRUST_200600_302600_NS6detail15normal_iteratorINS9_10device_ptrIhEEEEPS5_m11less_div_10IhEEE10hipError_tT0_T1_T2_jT3_P12ihipStream_tbPNSt15iterator_traitsISJ_E10value_typeEPNSP_ISK_E10value_typeEPSL_NS1_7vsmem_tEENKUlT_SJ_SK_SL_E_clISE_PhSF_SF_EESI_SY_SJ_SK_SL_EUlSY_E0_NS1_11comp_targetILNS1_3genE5ELNS1_11target_archE942ELNS1_3gpuE9ELNS1_3repE0EEENS1_38merge_mergepath_config_static_selectorELNS0_4arch9wavefront6targetE0EEEvSK_
		.amdhsa_group_segment_fixed_size 0
		.amdhsa_private_segment_fixed_size 0
		.amdhsa_kernarg_size 72
		.amdhsa_user_sgpr_count 6
		.amdhsa_user_sgpr_private_segment_buffer 1
		.amdhsa_user_sgpr_dispatch_ptr 0
		.amdhsa_user_sgpr_queue_ptr 0
		.amdhsa_user_sgpr_kernarg_segment_ptr 1
		.amdhsa_user_sgpr_dispatch_id 0
		.amdhsa_user_sgpr_flat_scratch_init 0
		.amdhsa_user_sgpr_private_segment_size 0
		.amdhsa_wavefront_size32 1
		.amdhsa_uses_dynamic_stack 0
		.amdhsa_system_sgpr_private_segment_wavefront_offset 0
		.amdhsa_system_sgpr_workgroup_id_x 1
		.amdhsa_system_sgpr_workgroup_id_y 0
		.amdhsa_system_sgpr_workgroup_id_z 0
		.amdhsa_system_sgpr_workgroup_info 0
		.amdhsa_system_vgpr_workitem_id 0
		.amdhsa_next_free_vgpr 1
		.amdhsa_next_free_sgpr 1
		.amdhsa_reserve_vcc 0
		.amdhsa_reserve_flat_scratch 0
		.amdhsa_float_round_mode_32 0
		.amdhsa_float_round_mode_16_64 0
		.amdhsa_float_denorm_mode_32 3
		.amdhsa_float_denorm_mode_16_64 3
		.amdhsa_dx10_clamp 1
		.amdhsa_ieee_mode 1
		.amdhsa_fp16_overflow 0
		.amdhsa_workgroup_processor_mode 1
		.amdhsa_memory_ordered 1
		.amdhsa_forward_progress 1
		.amdhsa_shared_vgpr_count 0
		.amdhsa_exception_fp_ieee_invalid_op 0
		.amdhsa_exception_fp_denorm_src 0
		.amdhsa_exception_fp_ieee_div_zero 0
		.amdhsa_exception_fp_ieee_overflow 0
		.amdhsa_exception_fp_ieee_underflow 0
		.amdhsa_exception_fp_ieee_inexact 0
		.amdhsa_exception_int_div_zero 0
	.end_amdhsa_kernel
	.section	.text._ZN7rocprim17ROCPRIM_400000_NS6detail17trampoline_kernelINS0_14default_configENS1_38merge_sort_block_merge_config_selectorIhNS0_10empty_typeEEEZZNS1_27merge_sort_block_merge_implIS3_N6thrust23THRUST_200600_302600_NS6detail15normal_iteratorINS9_10device_ptrIhEEEEPS5_m11less_div_10IhEEE10hipError_tT0_T1_T2_jT3_P12ihipStream_tbPNSt15iterator_traitsISJ_E10value_typeEPNSP_ISK_E10value_typeEPSL_NS1_7vsmem_tEENKUlT_SJ_SK_SL_E_clISE_PhSF_SF_EESI_SY_SJ_SK_SL_EUlSY_E0_NS1_11comp_targetILNS1_3genE5ELNS1_11target_archE942ELNS1_3gpuE9ELNS1_3repE0EEENS1_38merge_mergepath_config_static_selectorELNS0_4arch9wavefront6targetE0EEEvSK_,"axG",@progbits,_ZN7rocprim17ROCPRIM_400000_NS6detail17trampoline_kernelINS0_14default_configENS1_38merge_sort_block_merge_config_selectorIhNS0_10empty_typeEEEZZNS1_27merge_sort_block_merge_implIS3_N6thrust23THRUST_200600_302600_NS6detail15normal_iteratorINS9_10device_ptrIhEEEEPS5_m11less_div_10IhEEE10hipError_tT0_T1_T2_jT3_P12ihipStream_tbPNSt15iterator_traitsISJ_E10value_typeEPNSP_ISK_E10value_typeEPSL_NS1_7vsmem_tEENKUlT_SJ_SK_SL_E_clISE_PhSF_SF_EESI_SY_SJ_SK_SL_EUlSY_E0_NS1_11comp_targetILNS1_3genE5ELNS1_11target_archE942ELNS1_3gpuE9ELNS1_3repE0EEENS1_38merge_mergepath_config_static_selectorELNS0_4arch9wavefront6targetE0EEEvSK_,comdat
.Lfunc_end727:
	.size	_ZN7rocprim17ROCPRIM_400000_NS6detail17trampoline_kernelINS0_14default_configENS1_38merge_sort_block_merge_config_selectorIhNS0_10empty_typeEEEZZNS1_27merge_sort_block_merge_implIS3_N6thrust23THRUST_200600_302600_NS6detail15normal_iteratorINS9_10device_ptrIhEEEEPS5_m11less_div_10IhEEE10hipError_tT0_T1_T2_jT3_P12ihipStream_tbPNSt15iterator_traitsISJ_E10value_typeEPNSP_ISK_E10value_typeEPSL_NS1_7vsmem_tEENKUlT_SJ_SK_SL_E_clISE_PhSF_SF_EESI_SY_SJ_SK_SL_EUlSY_E0_NS1_11comp_targetILNS1_3genE5ELNS1_11target_archE942ELNS1_3gpuE9ELNS1_3repE0EEENS1_38merge_mergepath_config_static_selectorELNS0_4arch9wavefront6targetE0EEEvSK_, .Lfunc_end727-_ZN7rocprim17ROCPRIM_400000_NS6detail17trampoline_kernelINS0_14default_configENS1_38merge_sort_block_merge_config_selectorIhNS0_10empty_typeEEEZZNS1_27merge_sort_block_merge_implIS3_N6thrust23THRUST_200600_302600_NS6detail15normal_iteratorINS9_10device_ptrIhEEEEPS5_m11less_div_10IhEEE10hipError_tT0_T1_T2_jT3_P12ihipStream_tbPNSt15iterator_traitsISJ_E10value_typeEPNSP_ISK_E10value_typeEPSL_NS1_7vsmem_tEENKUlT_SJ_SK_SL_E_clISE_PhSF_SF_EESI_SY_SJ_SK_SL_EUlSY_E0_NS1_11comp_targetILNS1_3genE5ELNS1_11target_archE942ELNS1_3gpuE9ELNS1_3repE0EEENS1_38merge_mergepath_config_static_selectorELNS0_4arch9wavefront6targetE0EEEvSK_
                                        ; -- End function
	.set _ZN7rocprim17ROCPRIM_400000_NS6detail17trampoline_kernelINS0_14default_configENS1_38merge_sort_block_merge_config_selectorIhNS0_10empty_typeEEEZZNS1_27merge_sort_block_merge_implIS3_N6thrust23THRUST_200600_302600_NS6detail15normal_iteratorINS9_10device_ptrIhEEEEPS5_m11less_div_10IhEEE10hipError_tT0_T1_T2_jT3_P12ihipStream_tbPNSt15iterator_traitsISJ_E10value_typeEPNSP_ISK_E10value_typeEPSL_NS1_7vsmem_tEENKUlT_SJ_SK_SL_E_clISE_PhSF_SF_EESI_SY_SJ_SK_SL_EUlSY_E0_NS1_11comp_targetILNS1_3genE5ELNS1_11target_archE942ELNS1_3gpuE9ELNS1_3repE0EEENS1_38merge_mergepath_config_static_selectorELNS0_4arch9wavefront6targetE0EEEvSK_.num_vgpr, 0
	.set _ZN7rocprim17ROCPRIM_400000_NS6detail17trampoline_kernelINS0_14default_configENS1_38merge_sort_block_merge_config_selectorIhNS0_10empty_typeEEEZZNS1_27merge_sort_block_merge_implIS3_N6thrust23THRUST_200600_302600_NS6detail15normal_iteratorINS9_10device_ptrIhEEEEPS5_m11less_div_10IhEEE10hipError_tT0_T1_T2_jT3_P12ihipStream_tbPNSt15iterator_traitsISJ_E10value_typeEPNSP_ISK_E10value_typeEPSL_NS1_7vsmem_tEENKUlT_SJ_SK_SL_E_clISE_PhSF_SF_EESI_SY_SJ_SK_SL_EUlSY_E0_NS1_11comp_targetILNS1_3genE5ELNS1_11target_archE942ELNS1_3gpuE9ELNS1_3repE0EEENS1_38merge_mergepath_config_static_selectorELNS0_4arch9wavefront6targetE0EEEvSK_.num_agpr, 0
	.set _ZN7rocprim17ROCPRIM_400000_NS6detail17trampoline_kernelINS0_14default_configENS1_38merge_sort_block_merge_config_selectorIhNS0_10empty_typeEEEZZNS1_27merge_sort_block_merge_implIS3_N6thrust23THRUST_200600_302600_NS6detail15normal_iteratorINS9_10device_ptrIhEEEEPS5_m11less_div_10IhEEE10hipError_tT0_T1_T2_jT3_P12ihipStream_tbPNSt15iterator_traitsISJ_E10value_typeEPNSP_ISK_E10value_typeEPSL_NS1_7vsmem_tEENKUlT_SJ_SK_SL_E_clISE_PhSF_SF_EESI_SY_SJ_SK_SL_EUlSY_E0_NS1_11comp_targetILNS1_3genE5ELNS1_11target_archE942ELNS1_3gpuE9ELNS1_3repE0EEENS1_38merge_mergepath_config_static_selectorELNS0_4arch9wavefront6targetE0EEEvSK_.numbered_sgpr, 0
	.set _ZN7rocprim17ROCPRIM_400000_NS6detail17trampoline_kernelINS0_14default_configENS1_38merge_sort_block_merge_config_selectorIhNS0_10empty_typeEEEZZNS1_27merge_sort_block_merge_implIS3_N6thrust23THRUST_200600_302600_NS6detail15normal_iteratorINS9_10device_ptrIhEEEEPS5_m11less_div_10IhEEE10hipError_tT0_T1_T2_jT3_P12ihipStream_tbPNSt15iterator_traitsISJ_E10value_typeEPNSP_ISK_E10value_typeEPSL_NS1_7vsmem_tEENKUlT_SJ_SK_SL_E_clISE_PhSF_SF_EESI_SY_SJ_SK_SL_EUlSY_E0_NS1_11comp_targetILNS1_3genE5ELNS1_11target_archE942ELNS1_3gpuE9ELNS1_3repE0EEENS1_38merge_mergepath_config_static_selectorELNS0_4arch9wavefront6targetE0EEEvSK_.num_named_barrier, 0
	.set _ZN7rocprim17ROCPRIM_400000_NS6detail17trampoline_kernelINS0_14default_configENS1_38merge_sort_block_merge_config_selectorIhNS0_10empty_typeEEEZZNS1_27merge_sort_block_merge_implIS3_N6thrust23THRUST_200600_302600_NS6detail15normal_iteratorINS9_10device_ptrIhEEEEPS5_m11less_div_10IhEEE10hipError_tT0_T1_T2_jT3_P12ihipStream_tbPNSt15iterator_traitsISJ_E10value_typeEPNSP_ISK_E10value_typeEPSL_NS1_7vsmem_tEENKUlT_SJ_SK_SL_E_clISE_PhSF_SF_EESI_SY_SJ_SK_SL_EUlSY_E0_NS1_11comp_targetILNS1_3genE5ELNS1_11target_archE942ELNS1_3gpuE9ELNS1_3repE0EEENS1_38merge_mergepath_config_static_selectorELNS0_4arch9wavefront6targetE0EEEvSK_.private_seg_size, 0
	.set _ZN7rocprim17ROCPRIM_400000_NS6detail17trampoline_kernelINS0_14default_configENS1_38merge_sort_block_merge_config_selectorIhNS0_10empty_typeEEEZZNS1_27merge_sort_block_merge_implIS3_N6thrust23THRUST_200600_302600_NS6detail15normal_iteratorINS9_10device_ptrIhEEEEPS5_m11less_div_10IhEEE10hipError_tT0_T1_T2_jT3_P12ihipStream_tbPNSt15iterator_traitsISJ_E10value_typeEPNSP_ISK_E10value_typeEPSL_NS1_7vsmem_tEENKUlT_SJ_SK_SL_E_clISE_PhSF_SF_EESI_SY_SJ_SK_SL_EUlSY_E0_NS1_11comp_targetILNS1_3genE5ELNS1_11target_archE942ELNS1_3gpuE9ELNS1_3repE0EEENS1_38merge_mergepath_config_static_selectorELNS0_4arch9wavefront6targetE0EEEvSK_.uses_vcc, 0
	.set _ZN7rocprim17ROCPRIM_400000_NS6detail17trampoline_kernelINS0_14default_configENS1_38merge_sort_block_merge_config_selectorIhNS0_10empty_typeEEEZZNS1_27merge_sort_block_merge_implIS3_N6thrust23THRUST_200600_302600_NS6detail15normal_iteratorINS9_10device_ptrIhEEEEPS5_m11less_div_10IhEEE10hipError_tT0_T1_T2_jT3_P12ihipStream_tbPNSt15iterator_traitsISJ_E10value_typeEPNSP_ISK_E10value_typeEPSL_NS1_7vsmem_tEENKUlT_SJ_SK_SL_E_clISE_PhSF_SF_EESI_SY_SJ_SK_SL_EUlSY_E0_NS1_11comp_targetILNS1_3genE5ELNS1_11target_archE942ELNS1_3gpuE9ELNS1_3repE0EEENS1_38merge_mergepath_config_static_selectorELNS0_4arch9wavefront6targetE0EEEvSK_.uses_flat_scratch, 0
	.set _ZN7rocprim17ROCPRIM_400000_NS6detail17trampoline_kernelINS0_14default_configENS1_38merge_sort_block_merge_config_selectorIhNS0_10empty_typeEEEZZNS1_27merge_sort_block_merge_implIS3_N6thrust23THRUST_200600_302600_NS6detail15normal_iteratorINS9_10device_ptrIhEEEEPS5_m11less_div_10IhEEE10hipError_tT0_T1_T2_jT3_P12ihipStream_tbPNSt15iterator_traitsISJ_E10value_typeEPNSP_ISK_E10value_typeEPSL_NS1_7vsmem_tEENKUlT_SJ_SK_SL_E_clISE_PhSF_SF_EESI_SY_SJ_SK_SL_EUlSY_E0_NS1_11comp_targetILNS1_3genE5ELNS1_11target_archE942ELNS1_3gpuE9ELNS1_3repE0EEENS1_38merge_mergepath_config_static_selectorELNS0_4arch9wavefront6targetE0EEEvSK_.has_dyn_sized_stack, 0
	.set _ZN7rocprim17ROCPRIM_400000_NS6detail17trampoline_kernelINS0_14default_configENS1_38merge_sort_block_merge_config_selectorIhNS0_10empty_typeEEEZZNS1_27merge_sort_block_merge_implIS3_N6thrust23THRUST_200600_302600_NS6detail15normal_iteratorINS9_10device_ptrIhEEEEPS5_m11less_div_10IhEEE10hipError_tT0_T1_T2_jT3_P12ihipStream_tbPNSt15iterator_traitsISJ_E10value_typeEPNSP_ISK_E10value_typeEPSL_NS1_7vsmem_tEENKUlT_SJ_SK_SL_E_clISE_PhSF_SF_EESI_SY_SJ_SK_SL_EUlSY_E0_NS1_11comp_targetILNS1_3genE5ELNS1_11target_archE942ELNS1_3gpuE9ELNS1_3repE0EEENS1_38merge_mergepath_config_static_selectorELNS0_4arch9wavefront6targetE0EEEvSK_.has_recursion, 0
	.set _ZN7rocprim17ROCPRIM_400000_NS6detail17trampoline_kernelINS0_14default_configENS1_38merge_sort_block_merge_config_selectorIhNS0_10empty_typeEEEZZNS1_27merge_sort_block_merge_implIS3_N6thrust23THRUST_200600_302600_NS6detail15normal_iteratorINS9_10device_ptrIhEEEEPS5_m11less_div_10IhEEE10hipError_tT0_T1_T2_jT3_P12ihipStream_tbPNSt15iterator_traitsISJ_E10value_typeEPNSP_ISK_E10value_typeEPSL_NS1_7vsmem_tEENKUlT_SJ_SK_SL_E_clISE_PhSF_SF_EESI_SY_SJ_SK_SL_EUlSY_E0_NS1_11comp_targetILNS1_3genE5ELNS1_11target_archE942ELNS1_3gpuE9ELNS1_3repE0EEENS1_38merge_mergepath_config_static_selectorELNS0_4arch9wavefront6targetE0EEEvSK_.has_indirect_call, 0
	.section	.AMDGPU.csdata,"",@progbits
; Kernel info:
; codeLenInByte = 0
; TotalNumSgprs: 0
; NumVgprs: 0
; ScratchSize: 0
; MemoryBound: 0
; FloatMode: 240
; IeeeMode: 1
; LDSByteSize: 0 bytes/workgroup (compile time only)
; SGPRBlocks: 0
; VGPRBlocks: 0
; NumSGPRsForWavesPerEU: 1
; NumVGPRsForWavesPerEU: 1
; Occupancy: 16
; WaveLimiterHint : 0
; COMPUTE_PGM_RSRC2:SCRATCH_EN: 0
; COMPUTE_PGM_RSRC2:USER_SGPR: 6
; COMPUTE_PGM_RSRC2:TRAP_HANDLER: 0
; COMPUTE_PGM_RSRC2:TGID_X_EN: 1
; COMPUTE_PGM_RSRC2:TGID_Y_EN: 0
; COMPUTE_PGM_RSRC2:TGID_Z_EN: 0
; COMPUTE_PGM_RSRC2:TIDIG_COMP_CNT: 0
	.section	.text._ZN7rocprim17ROCPRIM_400000_NS6detail17trampoline_kernelINS0_14default_configENS1_38merge_sort_block_merge_config_selectorIhNS0_10empty_typeEEEZZNS1_27merge_sort_block_merge_implIS3_N6thrust23THRUST_200600_302600_NS6detail15normal_iteratorINS9_10device_ptrIhEEEEPS5_m11less_div_10IhEEE10hipError_tT0_T1_T2_jT3_P12ihipStream_tbPNSt15iterator_traitsISJ_E10value_typeEPNSP_ISK_E10value_typeEPSL_NS1_7vsmem_tEENKUlT_SJ_SK_SL_E_clISE_PhSF_SF_EESI_SY_SJ_SK_SL_EUlSY_E0_NS1_11comp_targetILNS1_3genE4ELNS1_11target_archE910ELNS1_3gpuE8ELNS1_3repE0EEENS1_38merge_mergepath_config_static_selectorELNS0_4arch9wavefront6targetE0EEEvSK_,"axG",@progbits,_ZN7rocprim17ROCPRIM_400000_NS6detail17trampoline_kernelINS0_14default_configENS1_38merge_sort_block_merge_config_selectorIhNS0_10empty_typeEEEZZNS1_27merge_sort_block_merge_implIS3_N6thrust23THRUST_200600_302600_NS6detail15normal_iteratorINS9_10device_ptrIhEEEEPS5_m11less_div_10IhEEE10hipError_tT0_T1_T2_jT3_P12ihipStream_tbPNSt15iterator_traitsISJ_E10value_typeEPNSP_ISK_E10value_typeEPSL_NS1_7vsmem_tEENKUlT_SJ_SK_SL_E_clISE_PhSF_SF_EESI_SY_SJ_SK_SL_EUlSY_E0_NS1_11comp_targetILNS1_3genE4ELNS1_11target_archE910ELNS1_3gpuE8ELNS1_3repE0EEENS1_38merge_mergepath_config_static_selectorELNS0_4arch9wavefront6targetE0EEEvSK_,comdat
	.protected	_ZN7rocprim17ROCPRIM_400000_NS6detail17trampoline_kernelINS0_14default_configENS1_38merge_sort_block_merge_config_selectorIhNS0_10empty_typeEEEZZNS1_27merge_sort_block_merge_implIS3_N6thrust23THRUST_200600_302600_NS6detail15normal_iteratorINS9_10device_ptrIhEEEEPS5_m11less_div_10IhEEE10hipError_tT0_T1_T2_jT3_P12ihipStream_tbPNSt15iterator_traitsISJ_E10value_typeEPNSP_ISK_E10value_typeEPSL_NS1_7vsmem_tEENKUlT_SJ_SK_SL_E_clISE_PhSF_SF_EESI_SY_SJ_SK_SL_EUlSY_E0_NS1_11comp_targetILNS1_3genE4ELNS1_11target_archE910ELNS1_3gpuE8ELNS1_3repE0EEENS1_38merge_mergepath_config_static_selectorELNS0_4arch9wavefront6targetE0EEEvSK_ ; -- Begin function _ZN7rocprim17ROCPRIM_400000_NS6detail17trampoline_kernelINS0_14default_configENS1_38merge_sort_block_merge_config_selectorIhNS0_10empty_typeEEEZZNS1_27merge_sort_block_merge_implIS3_N6thrust23THRUST_200600_302600_NS6detail15normal_iteratorINS9_10device_ptrIhEEEEPS5_m11less_div_10IhEEE10hipError_tT0_T1_T2_jT3_P12ihipStream_tbPNSt15iterator_traitsISJ_E10value_typeEPNSP_ISK_E10value_typeEPSL_NS1_7vsmem_tEENKUlT_SJ_SK_SL_E_clISE_PhSF_SF_EESI_SY_SJ_SK_SL_EUlSY_E0_NS1_11comp_targetILNS1_3genE4ELNS1_11target_archE910ELNS1_3gpuE8ELNS1_3repE0EEENS1_38merge_mergepath_config_static_selectorELNS0_4arch9wavefront6targetE0EEEvSK_
	.globl	_ZN7rocprim17ROCPRIM_400000_NS6detail17trampoline_kernelINS0_14default_configENS1_38merge_sort_block_merge_config_selectorIhNS0_10empty_typeEEEZZNS1_27merge_sort_block_merge_implIS3_N6thrust23THRUST_200600_302600_NS6detail15normal_iteratorINS9_10device_ptrIhEEEEPS5_m11less_div_10IhEEE10hipError_tT0_T1_T2_jT3_P12ihipStream_tbPNSt15iterator_traitsISJ_E10value_typeEPNSP_ISK_E10value_typeEPSL_NS1_7vsmem_tEENKUlT_SJ_SK_SL_E_clISE_PhSF_SF_EESI_SY_SJ_SK_SL_EUlSY_E0_NS1_11comp_targetILNS1_3genE4ELNS1_11target_archE910ELNS1_3gpuE8ELNS1_3repE0EEENS1_38merge_mergepath_config_static_selectorELNS0_4arch9wavefront6targetE0EEEvSK_
	.p2align	8
	.type	_ZN7rocprim17ROCPRIM_400000_NS6detail17trampoline_kernelINS0_14default_configENS1_38merge_sort_block_merge_config_selectorIhNS0_10empty_typeEEEZZNS1_27merge_sort_block_merge_implIS3_N6thrust23THRUST_200600_302600_NS6detail15normal_iteratorINS9_10device_ptrIhEEEEPS5_m11less_div_10IhEEE10hipError_tT0_T1_T2_jT3_P12ihipStream_tbPNSt15iterator_traitsISJ_E10value_typeEPNSP_ISK_E10value_typeEPSL_NS1_7vsmem_tEENKUlT_SJ_SK_SL_E_clISE_PhSF_SF_EESI_SY_SJ_SK_SL_EUlSY_E0_NS1_11comp_targetILNS1_3genE4ELNS1_11target_archE910ELNS1_3gpuE8ELNS1_3repE0EEENS1_38merge_mergepath_config_static_selectorELNS0_4arch9wavefront6targetE0EEEvSK_,@function
_ZN7rocprim17ROCPRIM_400000_NS6detail17trampoline_kernelINS0_14default_configENS1_38merge_sort_block_merge_config_selectorIhNS0_10empty_typeEEEZZNS1_27merge_sort_block_merge_implIS3_N6thrust23THRUST_200600_302600_NS6detail15normal_iteratorINS9_10device_ptrIhEEEEPS5_m11less_div_10IhEEE10hipError_tT0_T1_T2_jT3_P12ihipStream_tbPNSt15iterator_traitsISJ_E10value_typeEPNSP_ISK_E10value_typeEPSL_NS1_7vsmem_tEENKUlT_SJ_SK_SL_E_clISE_PhSF_SF_EESI_SY_SJ_SK_SL_EUlSY_E0_NS1_11comp_targetILNS1_3genE4ELNS1_11target_archE910ELNS1_3gpuE8ELNS1_3repE0EEENS1_38merge_mergepath_config_static_selectorELNS0_4arch9wavefront6targetE0EEEvSK_: ; @_ZN7rocprim17ROCPRIM_400000_NS6detail17trampoline_kernelINS0_14default_configENS1_38merge_sort_block_merge_config_selectorIhNS0_10empty_typeEEEZZNS1_27merge_sort_block_merge_implIS3_N6thrust23THRUST_200600_302600_NS6detail15normal_iteratorINS9_10device_ptrIhEEEEPS5_m11less_div_10IhEEE10hipError_tT0_T1_T2_jT3_P12ihipStream_tbPNSt15iterator_traitsISJ_E10value_typeEPNSP_ISK_E10value_typeEPSL_NS1_7vsmem_tEENKUlT_SJ_SK_SL_E_clISE_PhSF_SF_EESI_SY_SJ_SK_SL_EUlSY_E0_NS1_11comp_targetILNS1_3genE4ELNS1_11target_archE910ELNS1_3gpuE8ELNS1_3repE0EEENS1_38merge_mergepath_config_static_selectorELNS0_4arch9wavefront6targetE0EEEvSK_
; %bb.0:
	.section	.rodata,"a",@progbits
	.p2align	6, 0x0
	.amdhsa_kernel _ZN7rocprim17ROCPRIM_400000_NS6detail17trampoline_kernelINS0_14default_configENS1_38merge_sort_block_merge_config_selectorIhNS0_10empty_typeEEEZZNS1_27merge_sort_block_merge_implIS3_N6thrust23THRUST_200600_302600_NS6detail15normal_iteratorINS9_10device_ptrIhEEEEPS5_m11less_div_10IhEEE10hipError_tT0_T1_T2_jT3_P12ihipStream_tbPNSt15iterator_traitsISJ_E10value_typeEPNSP_ISK_E10value_typeEPSL_NS1_7vsmem_tEENKUlT_SJ_SK_SL_E_clISE_PhSF_SF_EESI_SY_SJ_SK_SL_EUlSY_E0_NS1_11comp_targetILNS1_3genE4ELNS1_11target_archE910ELNS1_3gpuE8ELNS1_3repE0EEENS1_38merge_mergepath_config_static_selectorELNS0_4arch9wavefront6targetE0EEEvSK_
		.amdhsa_group_segment_fixed_size 0
		.amdhsa_private_segment_fixed_size 0
		.amdhsa_kernarg_size 72
		.amdhsa_user_sgpr_count 6
		.amdhsa_user_sgpr_private_segment_buffer 1
		.amdhsa_user_sgpr_dispatch_ptr 0
		.amdhsa_user_sgpr_queue_ptr 0
		.amdhsa_user_sgpr_kernarg_segment_ptr 1
		.amdhsa_user_sgpr_dispatch_id 0
		.amdhsa_user_sgpr_flat_scratch_init 0
		.amdhsa_user_sgpr_private_segment_size 0
		.amdhsa_wavefront_size32 1
		.amdhsa_uses_dynamic_stack 0
		.amdhsa_system_sgpr_private_segment_wavefront_offset 0
		.amdhsa_system_sgpr_workgroup_id_x 1
		.amdhsa_system_sgpr_workgroup_id_y 0
		.amdhsa_system_sgpr_workgroup_id_z 0
		.amdhsa_system_sgpr_workgroup_info 0
		.amdhsa_system_vgpr_workitem_id 0
		.amdhsa_next_free_vgpr 1
		.amdhsa_next_free_sgpr 1
		.amdhsa_reserve_vcc 0
		.amdhsa_reserve_flat_scratch 0
		.amdhsa_float_round_mode_32 0
		.amdhsa_float_round_mode_16_64 0
		.amdhsa_float_denorm_mode_32 3
		.amdhsa_float_denorm_mode_16_64 3
		.amdhsa_dx10_clamp 1
		.amdhsa_ieee_mode 1
		.amdhsa_fp16_overflow 0
		.amdhsa_workgroup_processor_mode 1
		.amdhsa_memory_ordered 1
		.amdhsa_forward_progress 1
		.amdhsa_shared_vgpr_count 0
		.amdhsa_exception_fp_ieee_invalid_op 0
		.amdhsa_exception_fp_denorm_src 0
		.amdhsa_exception_fp_ieee_div_zero 0
		.amdhsa_exception_fp_ieee_overflow 0
		.amdhsa_exception_fp_ieee_underflow 0
		.amdhsa_exception_fp_ieee_inexact 0
		.amdhsa_exception_int_div_zero 0
	.end_amdhsa_kernel
	.section	.text._ZN7rocprim17ROCPRIM_400000_NS6detail17trampoline_kernelINS0_14default_configENS1_38merge_sort_block_merge_config_selectorIhNS0_10empty_typeEEEZZNS1_27merge_sort_block_merge_implIS3_N6thrust23THRUST_200600_302600_NS6detail15normal_iteratorINS9_10device_ptrIhEEEEPS5_m11less_div_10IhEEE10hipError_tT0_T1_T2_jT3_P12ihipStream_tbPNSt15iterator_traitsISJ_E10value_typeEPNSP_ISK_E10value_typeEPSL_NS1_7vsmem_tEENKUlT_SJ_SK_SL_E_clISE_PhSF_SF_EESI_SY_SJ_SK_SL_EUlSY_E0_NS1_11comp_targetILNS1_3genE4ELNS1_11target_archE910ELNS1_3gpuE8ELNS1_3repE0EEENS1_38merge_mergepath_config_static_selectorELNS0_4arch9wavefront6targetE0EEEvSK_,"axG",@progbits,_ZN7rocprim17ROCPRIM_400000_NS6detail17trampoline_kernelINS0_14default_configENS1_38merge_sort_block_merge_config_selectorIhNS0_10empty_typeEEEZZNS1_27merge_sort_block_merge_implIS3_N6thrust23THRUST_200600_302600_NS6detail15normal_iteratorINS9_10device_ptrIhEEEEPS5_m11less_div_10IhEEE10hipError_tT0_T1_T2_jT3_P12ihipStream_tbPNSt15iterator_traitsISJ_E10value_typeEPNSP_ISK_E10value_typeEPSL_NS1_7vsmem_tEENKUlT_SJ_SK_SL_E_clISE_PhSF_SF_EESI_SY_SJ_SK_SL_EUlSY_E0_NS1_11comp_targetILNS1_3genE4ELNS1_11target_archE910ELNS1_3gpuE8ELNS1_3repE0EEENS1_38merge_mergepath_config_static_selectorELNS0_4arch9wavefront6targetE0EEEvSK_,comdat
.Lfunc_end728:
	.size	_ZN7rocprim17ROCPRIM_400000_NS6detail17trampoline_kernelINS0_14default_configENS1_38merge_sort_block_merge_config_selectorIhNS0_10empty_typeEEEZZNS1_27merge_sort_block_merge_implIS3_N6thrust23THRUST_200600_302600_NS6detail15normal_iteratorINS9_10device_ptrIhEEEEPS5_m11less_div_10IhEEE10hipError_tT0_T1_T2_jT3_P12ihipStream_tbPNSt15iterator_traitsISJ_E10value_typeEPNSP_ISK_E10value_typeEPSL_NS1_7vsmem_tEENKUlT_SJ_SK_SL_E_clISE_PhSF_SF_EESI_SY_SJ_SK_SL_EUlSY_E0_NS1_11comp_targetILNS1_3genE4ELNS1_11target_archE910ELNS1_3gpuE8ELNS1_3repE0EEENS1_38merge_mergepath_config_static_selectorELNS0_4arch9wavefront6targetE0EEEvSK_, .Lfunc_end728-_ZN7rocprim17ROCPRIM_400000_NS6detail17trampoline_kernelINS0_14default_configENS1_38merge_sort_block_merge_config_selectorIhNS0_10empty_typeEEEZZNS1_27merge_sort_block_merge_implIS3_N6thrust23THRUST_200600_302600_NS6detail15normal_iteratorINS9_10device_ptrIhEEEEPS5_m11less_div_10IhEEE10hipError_tT0_T1_T2_jT3_P12ihipStream_tbPNSt15iterator_traitsISJ_E10value_typeEPNSP_ISK_E10value_typeEPSL_NS1_7vsmem_tEENKUlT_SJ_SK_SL_E_clISE_PhSF_SF_EESI_SY_SJ_SK_SL_EUlSY_E0_NS1_11comp_targetILNS1_3genE4ELNS1_11target_archE910ELNS1_3gpuE8ELNS1_3repE0EEENS1_38merge_mergepath_config_static_selectorELNS0_4arch9wavefront6targetE0EEEvSK_
                                        ; -- End function
	.set _ZN7rocprim17ROCPRIM_400000_NS6detail17trampoline_kernelINS0_14default_configENS1_38merge_sort_block_merge_config_selectorIhNS0_10empty_typeEEEZZNS1_27merge_sort_block_merge_implIS3_N6thrust23THRUST_200600_302600_NS6detail15normal_iteratorINS9_10device_ptrIhEEEEPS5_m11less_div_10IhEEE10hipError_tT0_T1_T2_jT3_P12ihipStream_tbPNSt15iterator_traitsISJ_E10value_typeEPNSP_ISK_E10value_typeEPSL_NS1_7vsmem_tEENKUlT_SJ_SK_SL_E_clISE_PhSF_SF_EESI_SY_SJ_SK_SL_EUlSY_E0_NS1_11comp_targetILNS1_3genE4ELNS1_11target_archE910ELNS1_3gpuE8ELNS1_3repE0EEENS1_38merge_mergepath_config_static_selectorELNS0_4arch9wavefront6targetE0EEEvSK_.num_vgpr, 0
	.set _ZN7rocprim17ROCPRIM_400000_NS6detail17trampoline_kernelINS0_14default_configENS1_38merge_sort_block_merge_config_selectorIhNS0_10empty_typeEEEZZNS1_27merge_sort_block_merge_implIS3_N6thrust23THRUST_200600_302600_NS6detail15normal_iteratorINS9_10device_ptrIhEEEEPS5_m11less_div_10IhEEE10hipError_tT0_T1_T2_jT3_P12ihipStream_tbPNSt15iterator_traitsISJ_E10value_typeEPNSP_ISK_E10value_typeEPSL_NS1_7vsmem_tEENKUlT_SJ_SK_SL_E_clISE_PhSF_SF_EESI_SY_SJ_SK_SL_EUlSY_E0_NS1_11comp_targetILNS1_3genE4ELNS1_11target_archE910ELNS1_3gpuE8ELNS1_3repE0EEENS1_38merge_mergepath_config_static_selectorELNS0_4arch9wavefront6targetE0EEEvSK_.num_agpr, 0
	.set _ZN7rocprim17ROCPRIM_400000_NS6detail17trampoline_kernelINS0_14default_configENS1_38merge_sort_block_merge_config_selectorIhNS0_10empty_typeEEEZZNS1_27merge_sort_block_merge_implIS3_N6thrust23THRUST_200600_302600_NS6detail15normal_iteratorINS9_10device_ptrIhEEEEPS5_m11less_div_10IhEEE10hipError_tT0_T1_T2_jT3_P12ihipStream_tbPNSt15iterator_traitsISJ_E10value_typeEPNSP_ISK_E10value_typeEPSL_NS1_7vsmem_tEENKUlT_SJ_SK_SL_E_clISE_PhSF_SF_EESI_SY_SJ_SK_SL_EUlSY_E0_NS1_11comp_targetILNS1_3genE4ELNS1_11target_archE910ELNS1_3gpuE8ELNS1_3repE0EEENS1_38merge_mergepath_config_static_selectorELNS0_4arch9wavefront6targetE0EEEvSK_.numbered_sgpr, 0
	.set _ZN7rocprim17ROCPRIM_400000_NS6detail17trampoline_kernelINS0_14default_configENS1_38merge_sort_block_merge_config_selectorIhNS0_10empty_typeEEEZZNS1_27merge_sort_block_merge_implIS3_N6thrust23THRUST_200600_302600_NS6detail15normal_iteratorINS9_10device_ptrIhEEEEPS5_m11less_div_10IhEEE10hipError_tT0_T1_T2_jT3_P12ihipStream_tbPNSt15iterator_traitsISJ_E10value_typeEPNSP_ISK_E10value_typeEPSL_NS1_7vsmem_tEENKUlT_SJ_SK_SL_E_clISE_PhSF_SF_EESI_SY_SJ_SK_SL_EUlSY_E0_NS1_11comp_targetILNS1_3genE4ELNS1_11target_archE910ELNS1_3gpuE8ELNS1_3repE0EEENS1_38merge_mergepath_config_static_selectorELNS0_4arch9wavefront6targetE0EEEvSK_.num_named_barrier, 0
	.set _ZN7rocprim17ROCPRIM_400000_NS6detail17trampoline_kernelINS0_14default_configENS1_38merge_sort_block_merge_config_selectorIhNS0_10empty_typeEEEZZNS1_27merge_sort_block_merge_implIS3_N6thrust23THRUST_200600_302600_NS6detail15normal_iteratorINS9_10device_ptrIhEEEEPS5_m11less_div_10IhEEE10hipError_tT0_T1_T2_jT3_P12ihipStream_tbPNSt15iterator_traitsISJ_E10value_typeEPNSP_ISK_E10value_typeEPSL_NS1_7vsmem_tEENKUlT_SJ_SK_SL_E_clISE_PhSF_SF_EESI_SY_SJ_SK_SL_EUlSY_E0_NS1_11comp_targetILNS1_3genE4ELNS1_11target_archE910ELNS1_3gpuE8ELNS1_3repE0EEENS1_38merge_mergepath_config_static_selectorELNS0_4arch9wavefront6targetE0EEEvSK_.private_seg_size, 0
	.set _ZN7rocprim17ROCPRIM_400000_NS6detail17trampoline_kernelINS0_14default_configENS1_38merge_sort_block_merge_config_selectorIhNS0_10empty_typeEEEZZNS1_27merge_sort_block_merge_implIS3_N6thrust23THRUST_200600_302600_NS6detail15normal_iteratorINS9_10device_ptrIhEEEEPS5_m11less_div_10IhEEE10hipError_tT0_T1_T2_jT3_P12ihipStream_tbPNSt15iterator_traitsISJ_E10value_typeEPNSP_ISK_E10value_typeEPSL_NS1_7vsmem_tEENKUlT_SJ_SK_SL_E_clISE_PhSF_SF_EESI_SY_SJ_SK_SL_EUlSY_E0_NS1_11comp_targetILNS1_3genE4ELNS1_11target_archE910ELNS1_3gpuE8ELNS1_3repE0EEENS1_38merge_mergepath_config_static_selectorELNS0_4arch9wavefront6targetE0EEEvSK_.uses_vcc, 0
	.set _ZN7rocprim17ROCPRIM_400000_NS6detail17trampoline_kernelINS0_14default_configENS1_38merge_sort_block_merge_config_selectorIhNS0_10empty_typeEEEZZNS1_27merge_sort_block_merge_implIS3_N6thrust23THRUST_200600_302600_NS6detail15normal_iteratorINS9_10device_ptrIhEEEEPS5_m11less_div_10IhEEE10hipError_tT0_T1_T2_jT3_P12ihipStream_tbPNSt15iterator_traitsISJ_E10value_typeEPNSP_ISK_E10value_typeEPSL_NS1_7vsmem_tEENKUlT_SJ_SK_SL_E_clISE_PhSF_SF_EESI_SY_SJ_SK_SL_EUlSY_E0_NS1_11comp_targetILNS1_3genE4ELNS1_11target_archE910ELNS1_3gpuE8ELNS1_3repE0EEENS1_38merge_mergepath_config_static_selectorELNS0_4arch9wavefront6targetE0EEEvSK_.uses_flat_scratch, 0
	.set _ZN7rocprim17ROCPRIM_400000_NS6detail17trampoline_kernelINS0_14default_configENS1_38merge_sort_block_merge_config_selectorIhNS0_10empty_typeEEEZZNS1_27merge_sort_block_merge_implIS3_N6thrust23THRUST_200600_302600_NS6detail15normal_iteratorINS9_10device_ptrIhEEEEPS5_m11less_div_10IhEEE10hipError_tT0_T1_T2_jT3_P12ihipStream_tbPNSt15iterator_traitsISJ_E10value_typeEPNSP_ISK_E10value_typeEPSL_NS1_7vsmem_tEENKUlT_SJ_SK_SL_E_clISE_PhSF_SF_EESI_SY_SJ_SK_SL_EUlSY_E0_NS1_11comp_targetILNS1_3genE4ELNS1_11target_archE910ELNS1_3gpuE8ELNS1_3repE0EEENS1_38merge_mergepath_config_static_selectorELNS0_4arch9wavefront6targetE0EEEvSK_.has_dyn_sized_stack, 0
	.set _ZN7rocprim17ROCPRIM_400000_NS6detail17trampoline_kernelINS0_14default_configENS1_38merge_sort_block_merge_config_selectorIhNS0_10empty_typeEEEZZNS1_27merge_sort_block_merge_implIS3_N6thrust23THRUST_200600_302600_NS6detail15normal_iteratorINS9_10device_ptrIhEEEEPS5_m11less_div_10IhEEE10hipError_tT0_T1_T2_jT3_P12ihipStream_tbPNSt15iterator_traitsISJ_E10value_typeEPNSP_ISK_E10value_typeEPSL_NS1_7vsmem_tEENKUlT_SJ_SK_SL_E_clISE_PhSF_SF_EESI_SY_SJ_SK_SL_EUlSY_E0_NS1_11comp_targetILNS1_3genE4ELNS1_11target_archE910ELNS1_3gpuE8ELNS1_3repE0EEENS1_38merge_mergepath_config_static_selectorELNS0_4arch9wavefront6targetE0EEEvSK_.has_recursion, 0
	.set _ZN7rocprim17ROCPRIM_400000_NS6detail17trampoline_kernelINS0_14default_configENS1_38merge_sort_block_merge_config_selectorIhNS0_10empty_typeEEEZZNS1_27merge_sort_block_merge_implIS3_N6thrust23THRUST_200600_302600_NS6detail15normal_iteratorINS9_10device_ptrIhEEEEPS5_m11less_div_10IhEEE10hipError_tT0_T1_T2_jT3_P12ihipStream_tbPNSt15iterator_traitsISJ_E10value_typeEPNSP_ISK_E10value_typeEPSL_NS1_7vsmem_tEENKUlT_SJ_SK_SL_E_clISE_PhSF_SF_EESI_SY_SJ_SK_SL_EUlSY_E0_NS1_11comp_targetILNS1_3genE4ELNS1_11target_archE910ELNS1_3gpuE8ELNS1_3repE0EEENS1_38merge_mergepath_config_static_selectorELNS0_4arch9wavefront6targetE0EEEvSK_.has_indirect_call, 0
	.section	.AMDGPU.csdata,"",@progbits
; Kernel info:
; codeLenInByte = 0
; TotalNumSgprs: 0
; NumVgprs: 0
; ScratchSize: 0
; MemoryBound: 0
; FloatMode: 240
; IeeeMode: 1
; LDSByteSize: 0 bytes/workgroup (compile time only)
; SGPRBlocks: 0
; VGPRBlocks: 0
; NumSGPRsForWavesPerEU: 1
; NumVGPRsForWavesPerEU: 1
; Occupancy: 16
; WaveLimiterHint : 0
; COMPUTE_PGM_RSRC2:SCRATCH_EN: 0
; COMPUTE_PGM_RSRC2:USER_SGPR: 6
; COMPUTE_PGM_RSRC2:TRAP_HANDLER: 0
; COMPUTE_PGM_RSRC2:TGID_X_EN: 1
; COMPUTE_PGM_RSRC2:TGID_Y_EN: 0
; COMPUTE_PGM_RSRC2:TGID_Z_EN: 0
; COMPUTE_PGM_RSRC2:TIDIG_COMP_CNT: 0
	.section	.text._ZN7rocprim17ROCPRIM_400000_NS6detail17trampoline_kernelINS0_14default_configENS1_38merge_sort_block_merge_config_selectorIhNS0_10empty_typeEEEZZNS1_27merge_sort_block_merge_implIS3_N6thrust23THRUST_200600_302600_NS6detail15normal_iteratorINS9_10device_ptrIhEEEEPS5_m11less_div_10IhEEE10hipError_tT0_T1_T2_jT3_P12ihipStream_tbPNSt15iterator_traitsISJ_E10value_typeEPNSP_ISK_E10value_typeEPSL_NS1_7vsmem_tEENKUlT_SJ_SK_SL_E_clISE_PhSF_SF_EESI_SY_SJ_SK_SL_EUlSY_E0_NS1_11comp_targetILNS1_3genE3ELNS1_11target_archE908ELNS1_3gpuE7ELNS1_3repE0EEENS1_38merge_mergepath_config_static_selectorELNS0_4arch9wavefront6targetE0EEEvSK_,"axG",@progbits,_ZN7rocprim17ROCPRIM_400000_NS6detail17trampoline_kernelINS0_14default_configENS1_38merge_sort_block_merge_config_selectorIhNS0_10empty_typeEEEZZNS1_27merge_sort_block_merge_implIS3_N6thrust23THRUST_200600_302600_NS6detail15normal_iteratorINS9_10device_ptrIhEEEEPS5_m11less_div_10IhEEE10hipError_tT0_T1_T2_jT3_P12ihipStream_tbPNSt15iterator_traitsISJ_E10value_typeEPNSP_ISK_E10value_typeEPSL_NS1_7vsmem_tEENKUlT_SJ_SK_SL_E_clISE_PhSF_SF_EESI_SY_SJ_SK_SL_EUlSY_E0_NS1_11comp_targetILNS1_3genE3ELNS1_11target_archE908ELNS1_3gpuE7ELNS1_3repE0EEENS1_38merge_mergepath_config_static_selectorELNS0_4arch9wavefront6targetE0EEEvSK_,comdat
	.protected	_ZN7rocprim17ROCPRIM_400000_NS6detail17trampoline_kernelINS0_14default_configENS1_38merge_sort_block_merge_config_selectorIhNS0_10empty_typeEEEZZNS1_27merge_sort_block_merge_implIS3_N6thrust23THRUST_200600_302600_NS6detail15normal_iteratorINS9_10device_ptrIhEEEEPS5_m11less_div_10IhEEE10hipError_tT0_T1_T2_jT3_P12ihipStream_tbPNSt15iterator_traitsISJ_E10value_typeEPNSP_ISK_E10value_typeEPSL_NS1_7vsmem_tEENKUlT_SJ_SK_SL_E_clISE_PhSF_SF_EESI_SY_SJ_SK_SL_EUlSY_E0_NS1_11comp_targetILNS1_3genE3ELNS1_11target_archE908ELNS1_3gpuE7ELNS1_3repE0EEENS1_38merge_mergepath_config_static_selectorELNS0_4arch9wavefront6targetE0EEEvSK_ ; -- Begin function _ZN7rocprim17ROCPRIM_400000_NS6detail17trampoline_kernelINS0_14default_configENS1_38merge_sort_block_merge_config_selectorIhNS0_10empty_typeEEEZZNS1_27merge_sort_block_merge_implIS3_N6thrust23THRUST_200600_302600_NS6detail15normal_iteratorINS9_10device_ptrIhEEEEPS5_m11less_div_10IhEEE10hipError_tT0_T1_T2_jT3_P12ihipStream_tbPNSt15iterator_traitsISJ_E10value_typeEPNSP_ISK_E10value_typeEPSL_NS1_7vsmem_tEENKUlT_SJ_SK_SL_E_clISE_PhSF_SF_EESI_SY_SJ_SK_SL_EUlSY_E0_NS1_11comp_targetILNS1_3genE3ELNS1_11target_archE908ELNS1_3gpuE7ELNS1_3repE0EEENS1_38merge_mergepath_config_static_selectorELNS0_4arch9wavefront6targetE0EEEvSK_
	.globl	_ZN7rocprim17ROCPRIM_400000_NS6detail17trampoline_kernelINS0_14default_configENS1_38merge_sort_block_merge_config_selectorIhNS0_10empty_typeEEEZZNS1_27merge_sort_block_merge_implIS3_N6thrust23THRUST_200600_302600_NS6detail15normal_iteratorINS9_10device_ptrIhEEEEPS5_m11less_div_10IhEEE10hipError_tT0_T1_T2_jT3_P12ihipStream_tbPNSt15iterator_traitsISJ_E10value_typeEPNSP_ISK_E10value_typeEPSL_NS1_7vsmem_tEENKUlT_SJ_SK_SL_E_clISE_PhSF_SF_EESI_SY_SJ_SK_SL_EUlSY_E0_NS1_11comp_targetILNS1_3genE3ELNS1_11target_archE908ELNS1_3gpuE7ELNS1_3repE0EEENS1_38merge_mergepath_config_static_selectorELNS0_4arch9wavefront6targetE0EEEvSK_
	.p2align	8
	.type	_ZN7rocprim17ROCPRIM_400000_NS6detail17trampoline_kernelINS0_14default_configENS1_38merge_sort_block_merge_config_selectorIhNS0_10empty_typeEEEZZNS1_27merge_sort_block_merge_implIS3_N6thrust23THRUST_200600_302600_NS6detail15normal_iteratorINS9_10device_ptrIhEEEEPS5_m11less_div_10IhEEE10hipError_tT0_T1_T2_jT3_P12ihipStream_tbPNSt15iterator_traitsISJ_E10value_typeEPNSP_ISK_E10value_typeEPSL_NS1_7vsmem_tEENKUlT_SJ_SK_SL_E_clISE_PhSF_SF_EESI_SY_SJ_SK_SL_EUlSY_E0_NS1_11comp_targetILNS1_3genE3ELNS1_11target_archE908ELNS1_3gpuE7ELNS1_3repE0EEENS1_38merge_mergepath_config_static_selectorELNS0_4arch9wavefront6targetE0EEEvSK_,@function
_ZN7rocprim17ROCPRIM_400000_NS6detail17trampoline_kernelINS0_14default_configENS1_38merge_sort_block_merge_config_selectorIhNS0_10empty_typeEEEZZNS1_27merge_sort_block_merge_implIS3_N6thrust23THRUST_200600_302600_NS6detail15normal_iteratorINS9_10device_ptrIhEEEEPS5_m11less_div_10IhEEE10hipError_tT0_T1_T2_jT3_P12ihipStream_tbPNSt15iterator_traitsISJ_E10value_typeEPNSP_ISK_E10value_typeEPSL_NS1_7vsmem_tEENKUlT_SJ_SK_SL_E_clISE_PhSF_SF_EESI_SY_SJ_SK_SL_EUlSY_E0_NS1_11comp_targetILNS1_3genE3ELNS1_11target_archE908ELNS1_3gpuE7ELNS1_3repE0EEENS1_38merge_mergepath_config_static_selectorELNS0_4arch9wavefront6targetE0EEEvSK_: ; @_ZN7rocprim17ROCPRIM_400000_NS6detail17trampoline_kernelINS0_14default_configENS1_38merge_sort_block_merge_config_selectorIhNS0_10empty_typeEEEZZNS1_27merge_sort_block_merge_implIS3_N6thrust23THRUST_200600_302600_NS6detail15normal_iteratorINS9_10device_ptrIhEEEEPS5_m11less_div_10IhEEE10hipError_tT0_T1_T2_jT3_P12ihipStream_tbPNSt15iterator_traitsISJ_E10value_typeEPNSP_ISK_E10value_typeEPSL_NS1_7vsmem_tEENKUlT_SJ_SK_SL_E_clISE_PhSF_SF_EESI_SY_SJ_SK_SL_EUlSY_E0_NS1_11comp_targetILNS1_3genE3ELNS1_11target_archE908ELNS1_3gpuE7ELNS1_3repE0EEENS1_38merge_mergepath_config_static_selectorELNS0_4arch9wavefront6targetE0EEEvSK_
; %bb.0:
	.section	.rodata,"a",@progbits
	.p2align	6, 0x0
	.amdhsa_kernel _ZN7rocprim17ROCPRIM_400000_NS6detail17trampoline_kernelINS0_14default_configENS1_38merge_sort_block_merge_config_selectorIhNS0_10empty_typeEEEZZNS1_27merge_sort_block_merge_implIS3_N6thrust23THRUST_200600_302600_NS6detail15normal_iteratorINS9_10device_ptrIhEEEEPS5_m11less_div_10IhEEE10hipError_tT0_T1_T2_jT3_P12ihipStream_tbPNSt15iterator_traitsISJ_E10value_typeEPNSP_ISK_E10value_typeEPSL_NS1_7vsmem_tEENKUlT_SJ_SK_SL_E_clISE_PhSF_SF_EESI_SY_SJ_SK_SL_EUlSY_E0_NS1_11comp_targetILNS1_3genE3ELNS1_11target_archE908ELNS1_3gpuE7ELNS1_3repE0EEENS1_38merge_mergepath_config_static_selectorELNS0_4arch9wavefront6targetE0EEEvSK_
		.amdhsa_group_segment_fixed_size 0
		.amdhsa_private_segment_fixed_size 0
		.amdhsa_kernarg_size 72
		.amdhsa_user_sgpr_count 6
		.amdhsa_user_sgpr_private_segment_buffer 1
		.amdhsa_user_sgpr_dispatch_ptr 0
		.amdhsa_user_sgpr_queue_ptr 0
		.amdhsa_user_sgpr_kernarg_segment_ptr 1
		.amdhsa_user_sgpr_dispatch_id 0
		.amdhsa_user_sgpr_flat_scratch_init 0
		.amdhsa_user_sgpr_private_segment_size 0
		.amdhsa_wavefront_size32 1
		.amdhsa_uses_dynamic_stack 0
		.amdhsa_system_sgpr_private_segment_wavefront_offset 0
		.amdhsa_system_sgpr_workgroup_id_x 1
		.amdhsa_system_sgpr_workgroup_id_y 0
		.amdhsa_system_sgpr_workgroup_id_z 0
		.amdhsa_system_sgpr_workgroup_info 0
		.amdhsa_system_vgpr_workitem_id 0
		.amdhsa_next_free_vgpr 1
		.amdhsa_next_free_sgpr 1
		.amdhsa_reserve_vcc 0
		.amdhsa_reserve_flat_scratch 0
		.amdhsa_float_round_mode_32 0
		.amdhsa_float_round_mode_16_64 0
		.amdhsa_float_denorm_mode_32 3
		.amdhsa_float_denorm_mode_16_64 3
		.amdhsa_dx10_clamp 1
		.amdhsa_ieee_mode 1
		.amdhsa_fp16_overflow 0
		.amdhsa_workgroup_processor_mode 1
		.amdhsa_memory_ordered 1
		.amdhsa_forward_progress 1
		.amdhsa_shared_vgpr_count 0
		.amdhsa_exception_fp_ieee_invalid_op 0
		.amdhsa_exception_fp_denorm_src 0
		.amdhsa_exception_fp_ieee_div_zero 0
		.amdhsa_exception_fp_ieee_overflow 0
		.amdhsa_exception_fp_ieee_underflow 0
		.amdhsa_exception_fp_ieee_inexact 0
		.amdhsa_exception_int_div_zero 0
	.end_amdhsa_kernel
	.section	.text._ZN7rocprim17ROCPRIM_400000_NS6detail17trampoline_kernelINS0_14default_configENS1_38merge_sort_block_merge_config_selectorIhNS0_10empty_typeEEEZZNS1_27merge_sort_block_merge_implIS3_N6thrust23THRUST_200600_302600_NS6detail15normal_iteratorINS9_10device_ptrIhEEEEPS5_m11less_div_10IhEEE10hipError_tT0_T1_T2_jT3_P12ihipStream_tbPNSt15iterator_traitsISJ_E10value_typeEPNSP_ISK_E10value_typeEPSL_NS1_7vsmem_tEENKUlT_SJ_SK_SL_E_clISE_PhSF_SF_EESI_SY_SJ_SK_SL_EUlSY_E0_NS1_11comp_targetILNS1_3genE3ELNS1_11target_archE908ELNS1_3gpuE7ELNS1_3repE0EEENS1_38merge_mergepath_config_static_selectorELNS0_4arch9wavefront6targetE0EEEvSK_,"axG",@progbits,_ZN7rocprim17ROCPRIM_400000_NS6detail17trampoline_kernelINS0_14default_configENS1_38merge_sort_block_merge_config_selectorIhNS0_10empty_typeEEEZZNS1_27merge_sort_block_merge_implIS3_N6thrust23THRUST_200600_302600_NS6detail15normal_iteratorINS9_10device_ptrIhEEEEPS5_m11less_div_10IhEEE10hipError_tT0_T1_T2_jT3_P12ihipStream_tbPNSt15iterator_traitsISJ_E10value_typeEPNSP_ISK_E10value_typeEPSL_NS1_7vsmem_tEENKUlT_SJ_SK_SL_E_clISE_PhSF_SF_EESI_SY_SJ_SK_SL_EUlSY_E0_NS1_11comp_targetILNS1_3genE3ELNS1_11target_archE908ELNS1_3gpuE7ELNS1_3repE0EEENS1_38merge_mergepath_config_static_selectorELNS0_4arch9wavefront6targetE0EEEvSK_,comdat
.Lfunc_end729:
	.size	_ZN7rocprim17ROCPRIM_400000_NS6detail17trampoline_kernelINS0_14default_configENS1_38merge_sort_block_merge_config_selectorIhNS0_10empty_typeEEEZZNS1_27merge_sort_block_merge_implIS3_N6thrust23THRUST_200600_302600_NS6detail15normal_iteratorINS9_10device_ptrIhEEEEPS5_m11less_div_10IhEEE10hipError_tT0_T1_T2_jT3_P12ihipStream_tbPNSt15iterator_traitsISJ_E10value_typeEPNSP_ISK_E10value_typeEPSL_NS1_7vsmem_tEENKUlT_SJ_SK_SL_E_clISE_PhSF_SF_EESI_SY_SJ_SK_SL_EUlSY_E0_NS1_11comp_targetILNS1_3genE3ELNS1_11target_archE908ELNS1_3gpuE7ELNS1_3repE0EEENS1_38merge_mergepath_config_static_selectorELNS0_4arch9wavefront6targetE0EEEvSK_, .Lfunc_end729-_ZN7rocprim17ROCPRIM_400000_NS6detail17trampoline_kernelINS0_14default_configENS1_38merge_sort_block_merge_config_selectorIhNS0_10empty_typeEEEZZNS1_27merge_sort_block_merge_implIS3_N6thrust23THRUST_200600_302600_NS6detail15normal_iteratorINS9_10device_ptrIhEEEEPS5_m11less_div_10IhEEE10hipError_tT0_T1_T2_jT3_P12ihipStream_tbPNSt15iterator_traitsISJ_E10value_typeEPNSP_ISK_E10value_typeEPSL_NS1_7vsmem_tEENKUlT_SJ_SK_SL_E_clISE_PhSF_SF_EESI_SY_SJ_SK_SL_EUlSY_E0_NS1_11comp_targetILNS1_3genE3ELNS1_11target_archE908ELNS1_3gpuE7ELNS1_3repE0EEENS1_38merge_mergepath_config_static_selectorELNS0_4arch9wavefront6targetE0EEEvSK_
                                        ; -- End function
	.set _ZN7rocprim17ROCPRIM_400000_NS6detail17trampoline_kernelINS0_14default_configENS1_38merge_sort_block_merge_config_selectorIhNS0_10empty_typeEEEZZNS1_27merge_sort_block_merge_implIS3_N6thrust23THRUST_200600_302600_NS6detail15normal_iteratorINS9_10device_ptrIhEEEEPS5_m11less_div_10IhEEE10hipError_tT0_T1_T2_jT3_P12ihipStream_tbPNSt15iterator_traitsISJ_E10value_typeEPNSP_ISK_E10value_typeEPSL_NS1_7vsmem_tEENKUlT_SJ_SK_SL_E_clISE_PhSF_SF_EESI_SY_SJ_SK_SL_EUlSY_E0_NS1_11comp_targetILNS1_3genE3ELNS1_11target_archE908ELNS1_3gpuE7ELNS1_3repE0EEENS1_38merge_mergepath_config_static_selectorELNS0_4arch9wavefront6targetE0EEEvSK_.num_vgpr, 0
	.set _ZN7rocprim17ROCPRIM_400000_NS6detail17trampoline_kernelINS0_14default_configENS1_38merge_sort_block_merge_config_selectorIhNS0_10empty_typeEEEZZNS1_27merge_sort_block_merge_implIS3_N6thrust23THRUST_200600_302600_NS6detail15normal_iteratorINS9_10device_ptrIhEEEEPS5_m11less_div_10IhEEE10hipError_tT0_T1_T2_jT3_P12ihipStream_tbPNSt15iterator_traitsISJ_E10value_typeEPNSP_ISK_E10value_typeEPSL_NS1_7vsmem_tEENKUlT_SJ_SK_SL_E_clISE_PhSF_SF_EESI_SY_SJ_SK_SL_EUlSY_E0_NS1_11comp_targetILNS1_3genE3ELNS1_11target_archE908ELNS1_3gpuE7ELNS1_3repE0EEENS1_38merge_mergepath_config_static_selectorELNS0_4arch9wavefront6targetE0EEEvSK_.num_agpr, 0
	.set _ZN7rocprim17ROCPRIM_400000_NS6detail17trampoline_kernelINS0_14default_configENS1_38merge_sort_block_merge_config_selectorIhNS0_10empty_typeEEEZZNS1_27merge_sort_block_merge_implIS3_N6thrust23THRUST_200600_302600_NS6detail15normal_iteratorINS9_10device_ptrIhEEEEPS5_m11less_div_10IhEEE10hipError_tT0_T1_T2_jT3_P12ihipStream_tbPNSt15iterator_traitsISJ_E10value_typeEPNSP_ISK_E10value_typeEPSL_NS1_7vsmem_tEENKUlT_SJ_SK_SL_E_clISE_PhSF_SF_EESI_SY_SJ_SK_SL_EUlSY_E0_NS1_11comp_targetILNS1_3genE3ELNS1_11target_archE908ELNS1_3gpuE7ELNS1_3repE0EEENS1_38merge_mergepath_config_static_selectorELNS0_4arch9wavefront6targetE0EEEvSK_.numbered_sgpr, 0
	.set _ZN7rocprim17ROCPRIM_400000_NS6detail17trampoline_kernelINS0_14default_configENS1_38merge_sort_block_merge_config_selectorIhNS0_10empty_typeEEEZZNS1_27merge_sort_block_merge_implIS3_N6thrust23THRUST_200600_302600_NS6detail15normal_iteratorINS9_10device_ptrIhEEEEPS5_m11less_div_10IhEEE10hipError_tT0_T1_T2_jT3_P12ihipStream_tbPNSt15iterator_traitsISJ_E10value_typeEPNSP_ISK_E10value_typeEPSL_NS1_7vsmem_tEENKUlT_SJ_SK_SL_E_clISE_PhSF_SF_EESI_SY_SJ_SK_SL_EUlSY_E0_NS1_11comp_targetILNS1_3genE3ELNS1_11target_archE908ELNS1_3gpuE7ELNS1_3repE0EEENS1_38merge_mergepath_config_static_selectorELNS0_4arch9wavefront6targetE0EEEvSK_.num_named_barrier, 0
	.set _ZN7rocprim17ROCPRIM_400000_NS6detail17trampoline_kernelINS0_14default_configENS1_38merge_sort_block_merge_config_selectorIhNS0_10empty_typeEEEZZNS1_27merge_sort_block_merge_implIS3_N6thrust23THRUST_200600_302600_NS6detail15normal_iteratorINS9_10device_ptrIhEEEEPS5_m11less_div_10IhEEE10hipError_tT0_T1_T2_jT3_P12ihipStream_tbPNSt15iterator_traitsISJ_E10value_typeEPNSP_ISK_E10value_typeEPSL_NS1_7vsmem_tEENKUlT_SJ_SK_SL_E_clISE_PhSF_SF_EESI_SY_SJ_SK_SL_EUlSY_E0_NS1_11comp_targetILNS1_3genE3ELNS1_11target_archE908ELNS1_3gpuE7ELNS1_3repE0EEENS1_38merge_mergepath_config_static_selectorELNS0_4arch9wavefront6targetE0EEEvSK_.private_seg_size, 0
	.set _ZN7rocprim17ROCPRIM_400000_NS6detail17trampoline_kernelINS0_14default_configENS1_38merge_sort_block_merge_config_selectorIhNS0_10empty_typeEEEZZNS1_27merge_sort_block_merge_implIS3_N6thrust23THRUST_200600_302600_NS6detail15normal_iteratorINS9_10device_ptrIhEEEEPS5_m11less_div_10IhEEE10hipError_tT0_T1_T2_jT3_P12ihipStream_tbPNSt15iterator_traitsISJ_E10value_typeEPNSP_ISK_E10value_typeEPSL_NS1_7vsmem_tEENKUlT_SJ_SK_SL_E_clISE_PhSF_SF_EESI_SY_SJ_SK_SL_EUlSY_E0_NS1_11comp_targetILNS1_3genE3ELNS1_11target_archE908ELNS1_3gpuE7ELNS1_3repE0EEENS1_38merge_mergepath_config_static_selectorELNS0_4arch9wavefront6targetE0EEEvSK_.uses_vcc, 0
	.set _ZN7rocprim17ROCPRIM_400000_NS6detail17trampoline_kernelINS0_14default_configENS1_38merge_sort_block_merge_config_selectorIhNS0_10empty_typeEEEZZNS1_27merge_sort_block_merge_implIS3_N6thrust23THRUST_200600_302600_NS6detail15normal_iteratorINS9_10device_ptrIhEEEEPS5_m11less_div_10IhEEE10hipError_tT0_T1_T2_jT3_P12ihipStream_tbPNSt15iterator_traitsISJ_E10value_typeEPNSP_ISK_E10value_typeEPSL_NS1_7vsmem_tEENKUlT_SJ_SK_SL_E_clISE_PhSF_SF_EESI_SY_SJ_SK_SL_EUlSY_E0_NS1_11comp_targetILNS1_3genE3ELNS1_11target_archE908ELNS1_3gpuE7ELNS1_3repE0EEENS1_38merge_mergepath_config_static_selectorELNS0_4arch9wavefront6targetE0EEEvSK_.uses_flat_scratch, 0
	.set _ZN7rocprim17ROCPRIM_400000_NS6detail17trampoline_kernelINS0_14default_configENS1_38merge_sort_block_merge_config_selectorIhNS0_10empty_typeEEEZZNS1_27merge_sort_block_merge_implIS3_N6thrust23THRUST_200600_302600_NS6detail15normal_iteratorINS9_10device_ptrIhEEEEPS5_m11less_div_10IhEEE10hipError_tT0_T1_T2_jT3_P12ihipStream_tbPNSt15iterator_traitsISJ_E10value_typeEPNSP_ISK_E10value_typeEPSL_NS1_7vsmem_tEENKUlT_SJ_SK_SL_E_clISE_PhSF_SF_EESI_SY_SJ_SK_SL_EUlSY_E0_NS1_11comp_targetILNS1_3genE3ELNS1_11target_archE908ELNS1_3gpuE7ELNS1_3repE0EEENS1_38merge_mergepath_config_static_selectorELNS0_4arch9wavefront6targetE0EEEvSK_.has_dyn_sized_stack, 0
	.set _ZN7rocprim17ROCPRIM_400000_NS6detail17trampoline_kernelINS0_14default_configENS1_38merge_sort_block_merge_config_selectorIhNS0_10empty_typeEEEZZNS1_27merge_sort_block_merge_implIS3_N6thrust23THRUST_200600_302600_NS6detail15normal_iteratorINS9_10device_ptrIhEEEEPS5_m11less_div_10IhEEE10hipError_tT0_T1_T2_jT3_P12ihipStream_tbPNSt15iterator_traitsISJ_E10value_typeEPNSP_ISK_E10value_typeEPSL_NS1_7vsmem_tEENKUlT_SJ_SK_SL_E_clISE_PhSF_SF_EESI_SY_SJ_SK_SL_EUlSY_E0_NS1_11comp_targetILNS1_3genE3ELNS1_11target_archE908ELNS1_3gpuE7ELNS1_3repE0EEENS1_38merge_mergepath_config_static_selectorELNS0_4arch9wavefront6targetE0EEEvSK_.has_recursion, 0
	.set _ZN7rocprim17ROCPRIM_400000_NS6detail17trampoline_kernelINS0_14default_configENS1_38merge_sort_block_merge_config_selectorIhNS0_10empty_typeEEEZZNS1_27merge_sort_block_merge_implIS3_N6thrust23THRUST_200600_302600_NS6detail15normal_iteratorINS9_10device_ptrIhEEEEPS5_m11less_div_10IhEEE10hipError_tT0_T1_T2_jT3_P12ihipStream_tbPNSt15iterator_traitsISJ_E10value_typeEPNSP_ISK_E10value_typeEPSL_NS1_7vsmem_tEENKUlT_SJ_SK_SL_E_clISE_PhSF_SF_EESI_SY_SJ_SK_SL_EUlSY_E0_NS1_11comp_targetILNS1_3genE3ELNS1_11target_archE908ELNS1_3gpuE7ELNS1_3repE0EEENS1_38merge_mergepath_config_static_selectorELNS0_4arch9wavefront6targetE0EEEvSK_.has_indirect_call, 0
	.section	.AMDGPU.csdata,"",@progbits
; Kernel info:
; codeLenInByte = 0
; TotalNumSgprs: 0
; NumVgprs: 0
; ScratchSize: 0
; MemoryBound: 0
; FloatMode: 240
; IeeeMode: 1
; LDSByteSize: 0 bytes/workgroup (compile time only)
; SGPRBlocks: 0
; VGPRBlocks: 0
; NumSGPRsForWavesPerEU: 1
; NumVGPRsForWavesPerEU: 1
; Occupancy: 16
; WaveLimiterHint : 0
; COMPUTE_PGM_RSRC2:SCRATCH_EN: 0
; COMPUTE_PGM_RSRC2:USER_SGPR: 6
; COMPUTE_PGM_RSRC2:TRAP_HANDLER: 0
; COMPUTE_PGM_RSRC2:TGID_X_EN: 1
; COMPUTE_PGM_RSRC2:TGID_Y_EN: 0
; COMPUTE_PGM_RSRC2:TGID_Z_EN: 0
; COMPUTE_PGM_RSRC2:TIDIG_COMP_CNT: 0
	.section	.text._ZN7rocprim17ROCPRIM_400000_NS6detail17trampoline_kernelINS0_14default_configENS1_38merge_sort_block_merge_config_selectorIhNS0_10empty_typeEEEZZNS1_27merge_sort_block_merge_implIS3_N6thrust23THRUST_200600_302600_NS6detail15normal_iteratorINS9_10device_ptrIhEEEEPS5_m11less_div_10IhEEE10hipError_tT0_T1_T2_jT3_P12ihipStream_tbPNSt15iterator_traitsISJ_E10value_typeEPNSP_ISK_E10value_typeEPSL_NS1_7vsmem_tEENKUlT_SJ_SK_SL_E_clISE_PhSF_SF_EESI_SY_SJ_SK_SL_EUlSY_E0_NS1_11comp_targetILNS1_3genE2ELNS1_11target_archE906ELNS1_3gpuE6ELNS1_3repE0EEENS1_38merge_mergepath_config_static_selectorELNS0_4arch9wavefront6targetE0EEEvSK_,"axG",@progbits,_ZN7rocprim17ROCPRIM_400000_NS6detail17trampoline_kernelINS0_14default_configENS1_38merge_sort_block_merge_config_selectorIhNS0_10empty_typeEEEZZNS1_27merge_sort_block_merge_implIS3_N6thrust23THRUST_200600_302600_NS6detail15normal_iteratorINS9_10device_ptrIhEEEEPS5_m11less_div_10IhEEE10hipError_tT0_T1_T2_jT3_P12ihipStream_tbPNSt15iterator_traitsISJ_E10value_typeEPNSP_ISK_E10value_typeEPSL_NS1_7vsmem_tEENKUlT_SJ_SK_SL_E_clISE_PhSF_SF_EESI_SY_SJ_SK_SL_EUlSY_E0_NS1_11comp_targetILNS1_3genE2ELNS1_11target_archE906ELNS1_3gpuE6ELNS1_3repE0EEENS1_38merge_mergepath_config_static_selectorELNS0_4arch9wavefront6targetE0EEEvSK_,comdat
	.protected	_ZN7rocprim17ROCPRIM_400000_NS6detail17trampoline_kernelINS0_14default_configENS1_38merge_sort_block_merge_config_selectorIhNS0_10empty_typeEEEZZNS1_27merge_sort_block_merge_implIS3_N6thrust23THRUST_200600_302600_NS6detail15normal_iteratorINS9_10device_ptrIhEEEEPS5_m11less_div_10IhEEE10hipError_tT0_T1_T2_jT3_P12ihipStream_tbPNSt15iterator_traitsISJ_E10value_typeEPNSP_ISK_E10value_typeEPSL_NS1_7vsmem_tEENKUlT_SJ_SK_SL_E_clISE_PhSF_SF_EESI_SY_SJ_SK_SL_EUlSY_E0_NS1_11comp_targetILNS1_3genE2ELNS1_11target_archE906ELNS1_3gpuE6ELNS1_3repE0EEENS1_38merge_mergepath_config_static_selectorELNS0_4arch9wavefront6targetE0EEEvSK_ ; -- Begin function _ZN7rocprim17ROCPRIM_400000_NS6detail17trampoline_kernelINS0_14default_configENS1_38merge_sort_block_merge_config_selectorIhNS0_10empty_typeEEEZZNS1_27merge_sort_block_merge_implIS3_N6thrust23THRUST_200600_302600_NS6detail15normal_iteratorINS9_10device_ptrIhEEEEPS5_m11less_div_10IhEEE10hipError_tT0_T1_T2_jT3_P12ihipStream_tbPNSt15iterator_traitsISJ_E10value_typeEPNSP_ISK_E10value_typeEPSL_NS1_7vsmem_tEENKUlT_SJ_SK_SL_E_clISE_PhSF_SF_EESI_SY_SJ_SK_SL_EUlSY_E0_NS1_11comp_targetILNS1_3genE2ELNS1_11target_archE906ELNS1_3gpuE6ELNS1_3repE0EEENS1_38merge_mergepath_config_static_selectorELNS0_4arch9wavefront6targetE0EEEvSK_
	.globl	_ZN7rocprim17ROCPRIM_400000_NS6detail17trampoline_kernelINS0_14default_configENS1_38merge_sort_block_merge_config_selectorIhNS0_10empty_typeEEEZZNS1_27merge_sort_block_merge_implIS3_N6thrust23THRUST_200600_302600_NS6detail15normal_iteratorINS9_10device_ptrIhEEEEPS5_m11less_div_10IhEEE10hipError_tT0_T1_T2_jT3_P12ihipStream_tbPNSt15iterator_traitsISJ_E10value_typeEPNSP_ISK_E10value_typeEPSL_NS1_7vsmem_tEENKUlT_SJ_SK_SL_E_clISE_PhSF_SF_EESI_SY_SJ_SK_SL_EUlSY_E0_NS1_11comp_targetILNS1_3genE2ELNS1_11target_archE906ELNS1_3gpuE6ELNS1_3repE0EEENS1_38merge_mergepath_config_static_selectorELNS0_4arch9wavefront6targetE0EEEvSK_
	.p2align	8
	.type	_ZN7rocprim17ROCPRIM_400000_NS6detail17trampoline_kernelINS0_14default_configENS1_38merge_sort_block_merge_config_selectorIhNS0_10empty_typeEEEZZNS1_27merge_sort_block_merge_implIS3_N6thrust23THRUST_200600_302600_NS6detail15normal_iteratorINS9_10device_ptrIhEEEEPS5_m11less_div_10IhEEE10hipError_tT0_T1_T2_jT3_P12ihipStream_tbPNSt15iterator_traitsISJ_E10value_typeEPNSP_ISK_E10value_typeEPSL_NS1_7vsmem_tEENKUlT_SJ_SK_SL_E_clISE_PhSF_SF_EESI_SY_SJ_SK_SL_EUlSY_E0_NS1_11comp_targetILNS1_3genE2ELNS1_11target_archE906ELNS1_3gpuE6ELNS1_3repE0EEENS1_38merge_mergepath_config_static_selectorELNS0_4arch9wavefront6targetE0EEEvSK_,@function
_ZN7rocprim17ROCPRIM_400000_NS6detail17trampoline_kernelINS0_14default_configENS1_38merge_sort_block_merge_config_selectorIhNS0_10empty_typeEEEZZNS1_27merge_sort_block_merge_implIS3_N6thrust23THRUST_200600_302600_NS6detail15normal_iteratorINS9_10device_ptrIhEEEEPS5_m11less_div_10IhEEE10hipError_tT0_T1_T2_jT3_P12ihipStream_tbPNSt15iterator_traitsISJ_E10value_typeEPNSP_ISK_E10value_typeEPSL_NS1_7vsmem_tEENKUlT_SJ_SK_SL_E_clISE_PhSF_SF_EESI_SY_SJ_SK_SL_EUlSY_E0_NS1_11comp_targetILNS1_3genE2ELNS1_11target_archE906ELNS1_3gpuE6ELNS1_3repE0EEENS1_38merge_mergepath_config_static_selectorELNS0_4arch9wavefront6targetE0EEEvSK_: ; @_ZN7rocprim17ROCPRIM_400000_NS6detail17trampoline_kernelINS0_14default_configENS1_38merge_sort_block_merge_config_selectorIhNS0_10empty_typeEEEZZNS1_27merge_sort_block_merge_implIS3_N6thrust23THRUST_200600_302600_NS6detail15normal_iteratorINS9_10device_ptrIhEEEEPS5_m11less_div_10IhEEE10hipError_tT0_T1_T2_jT3_P12ihipStream_tbPNSt15iterator_traitsISJ_E10value_typeEPNSP_ISK_E10value_typeEPSL_NS1_7vsmem_tEENKUlT_SJ_SK_SL_E_clISE_PhSF_SF_EESI_SY_SJ_SK_SL_EUlSY_E0_NS1_11comp_targetILNS1_3genE2ELNS1_11target_archE906ELNS1_3gpuE6ELNS1_3repE0EEENS1_38merge_mergepath_config_static_selectorELNS0_4arch9wavefront6targetE0EEEvSK_
; %bb.0:
	.section	.rodata,"a",@progbits
	.p2align	6, 0x0
	.amdhsa_kernel _ZN7rocprim17ROCPRIM_400000_NS6detail17trampoline_kernelINS0_14default_configENS1_38merge_sort_block_merge_config_selectorIhNS0_10empty_typeEEEZZNS1_27merge_sort_block_merge_implIS3_N6thrust23THRUST_200600_302600_NS6detail15normal_iteratorINS9_10device_ptrIhEEEEPS5_m11less_div_10IhEEE10hipError_tT0_T1_T2_jT3_P12ihipStream_tbPNSt15iterator_traitsISJ_E10value_typeEPNSP_ISK_E10value_typeEPSL_NS1_7vsmem_tEENKUlT_SJ_SK_SL_E_clISE_PhSF_SF_EESI_SY_SJ_SK_SL_EUlSY_E0_NS1_11comp_targetILNS1_3genE2ELNS1_11target_archE906ELNS1_3gpuE6ELNS1_3repE0EEENS1_38merge_mergepath_config_static_selectorELNS0_4arch9wavefront6targetE0EEEvSK_
		.amdhsa_group_segment_fixed_size 0
		.amdhsa_private_segment_fixed_size 0
		.amdhsa_kernarg_size 72
		.amdhsa_user_sgpr_count 6
		.amdhsa_user_sgpr_private_segment_buffer 1
		.amdhsa_user_sgpr_dispatch_ptr 0
		.amdhsa_user_sgpr_queue_ptr 0
		.amdhsa_user_sgpr_kernarg_segment_ptr 1
		.amdhsa_user_sgpr_dispatch_id 0
		.amdhsa_user_sgpr_flat_scratch_init 0
		.amdhsa_user_sgpr_private_segment_size 0
		.amdhsa_wavefront_size32 1
		.amdhsa_uses_dynamic_stack 0
		.amdhsa_system_sgpr_private_segment_wavefront_offset 0
		.amdhsa_system_sgpr_workgroup_id_x 1
		.amdhsa_system_sgpr_workgroup_id_y 0
		.amdhsa_system_sgpr_workgroup_id_z 0
		.amdhsa_system_sgpr_workgroup_info 0
		.amdhsa_system_vgpr_workitem_id 0
		.amdhsa_next_free_vgpr 1
		.amdhsa_next_free_sgpr 1
		.amdhsa_reserve_vcc 0
		.amdhsa_reserve_flat_scratch 0
		.amdhsa_float_round_mode_32 0
		.amdhsa_float_round_mode_16_64 0
		.amdhsa_float_denorm_mode_32 3
		.amdhsa_float_denorm_mode_16_64 3
		.amdhsa_dx10_clamp 1
		.amdhsa_ieee_mode 1
		.amdhsa_fp16_overflow 0
		.amdhsa_workgroup_processor_mode 1
		.amdhsa_memory_ordered 1
		.amdhsa_forward_progress 1
		.amdhsa_shared_vgpr_count 0
		.amdhsa_exception_fp_ieee_invalid_op 0
		.amdhsa_exception_fp_denorm_src 0
		.amdhsa_exception_fp_ieee_div_zero 0
		.amdhsa_exception_fp_ieee_overflow 0
		.amdhsa_exception_fp_ieee_underflow 0
		.amdhsa_exception_fp_ieee_inexact 0
		.amdhsa_exception_int_div_zero 0
	.end_amdhsa_kernel
	.section	.text._ZN7rocprim17ROCPRIM_400000_NS6detail17trampoline_kernelINS0_14default_configENS1_38merge_sort_block_merge_config_selectorIhNS0_10empty_typeEEEZZNS1_27merge_sort_block_merge_implIS3_N6thrust23THRUST_200600_302600_NS6detail15normal_iteratorINS9_10device_ptrIhEEEEPS5_m11less_div_10IhEEE10hipError_tT0_T1_T2_jT3_P12ihipStream_tbPNSt15iterator_traitsISJ_E10value_typeEPNSP_ISK_E10value_typeEPSL_NS1_7vsmem_tEENKUlT_SJ_SK_SL_E_clISE_PhSF_SF_EESI_SY_SJ_SK_SL_EUlSY_E0_NS1_11comp_targetILNS1_3genE2ELNS1_11target_archE906ELNS1_3gpuE6ELNS1_3repE0EEENS1_38merge_mergepath_config_static_selectorELNS0_4arch9wavefront6targetE0EEEvSK_,"axG",@progbits,_ZN7rocprim17ROCPRIM_400000_NS6detail17trampoline_kernelINS0_14default_configENS1_38merge_sort_block_merge_config_selectorIhNS0_10empty_typeEEEZZNS1_27merge_sort_block_merge_implIS3_N6thrust23THRUST_200600_302600_NS6detail15normal_iteratorINS9_10device_ptrIhEEEEPS5_m11less_div_10IhEEE10hipError_tT0_T1_T2_jT3_P12ihipStream_tbPNSt15iterator_traitsISJ_E10value_typeEPNSP_ISK_E10value_typeEPSL_NS1_7vsmem_tEENKUlT_SJ_SK_SL_E_clISE_PhSF_SF_EESI_SY_SJ_SK_SL_EUlSY_E0_NS1_11comp_targetILNS1_3genE2ELNS1_11target_archE906ELNS1_3gpuE6ELNS1_3repE0EEENS1_38merge_mergepath_config_static_selectorELNS0_4arch9wavefront6targetE0EEEvSK_,comdat
.Lfunc_end730:
	.size	_ZN7rocprim17ROCPRIM_400000_NS6detail17trampoline_kernelINS0_14default_configENS1_38merge_sort_block_merge_config_selectorIhNS0_10empty_typeEEEZZNS1_27merge_sort_block_merge_implIS3_N6thrust23THRUST_200600_302600_NS6detail15normal_iteratorINS9_10device_ptrIhEEEEPS5_m11less_div_10IhEEE10hipError_tT0_T1_T2_jT3_P12ihipStream_tbPNSt15iterator_traitsISJ_E10value_typeEPNSP_ISK_E10value_typeEPSL_NS1_7vsmem_tEENKUlT_SJ_SK_SL_E_clISE_PhSF_SF_EESI_SY_SJ_SK_SL_EUlSY_E0_NS1_11comp_targetILNS1_3genE2ELNS1_11target_archE906ELNS1_3gpuE6ELNS1_3repE0EEENS1_38merge_mergepath_config_static_selectorELNS0_4arch9wavefront6targetE0EEEvSK_, .Lfunc_end730-_ZN7rocprim17ROCPRIM_400000_NS6detail17trampoline_kernelINS0_14default_configENS1_38merge_sort_block_merge_config_selectorIhNS0_10empty_typeEEEZZNS1_27merge_sort_block_merge_implIS3_N6thrust23THRUST_200600_302600_NS6detail15normal_iteratorINS9_10device_ptrIhEEEEPS5_m11less_div_10IhEEE10hipError_tT0_T1_T2_jT3_P12ihipStream_tbPNSt15iterator_traitsISJ_E10value_typeEPNSP_ISK_E10value_typeEPSL_NS1_7vsmem_tEENKUlT_SJ_SK_SL_E_clISE_PhSF_SF_EESI_SY_SJ_SK_SL_EUlSY_E0_NS1_11comp_targetILNS1_3genE2ELNS1_11target_archE906ELNS1_3gpuE6ELNS1_3repE0EEENS1_38merge_mergepath_config_static_selectorELNS0_4arch9wavefront6targetE0EEEvSK_
                                        ; -- End function
	.set _ZN7rocprim17ROCPRIM_400000_NS6detail17trampoline_kernelINS0_14default_configENS1_38merge_sort_block_merge_config_selectorIhNS0_10empty_typeEEEZZNS1_27merge_sort_block_merge_implIS3_N6thrust23THRUST_200600_302600_NS6detail15normal_iteratorINS9_10device_ptrIhEEEEPS5_m11less_div_10IhEEE10hipError_tT0_T1_T2_jT3_P12ihipStream_tbPNSt15iterator_traitsISJ_E10value_typeEPNSP_ISK_E10value_typeEPSL_NS1_7vsmem_tEENKUlT_SJ_SK_SL_E_clISE_PhSF_SF_EESI_SY_SJ_SK_SL_EUlSY_E0_NS1_11comp_targetILNS1_3genE2ELNS1_11target_archE906ELNS1_3gpuE6ELNS1_3repE0EEENS1_38merge_mergepath_config_static_selectorELNS0_4arch9wavefront6targetE0EEEvSK_.num_vgpr, 0
	.set _ZN7rocprim17ROCPRIM_400000_NS6detail17trampoline_kernelINS0_14default_configENS1_38merge_sort_block_merge_config_selectorIhNS0_10empty_typeEEEZZNS1_27merge_sort_block_merge_implIS3_N6thrust23THRUST_200600_302600_NS6detail15normal_iteratorINS9_10device_ptrIhEEEEPS5_m11less_div_10IhEEE10hipError_tT0_T1_T2_jT3_P12ihipStream_tbPNSt15iterator_traitsISJ_E10value_typeEPNSP_ISK_E10value_typeEPSL_NS1_7vsmem_tEENKUlT_SJ_SK_SL_E_clISE_PhSF_SF_EESI_SY_SJ_SK_SL_EUlSY_E0_NS1_11comp_targetILNS1_3genE2ELNS1_11target_archE906ELNS1_3gpuE6ELNS1_3repE0EEENS1_38merge_mergepath_config_static_selectorELNS0_4arch9wavefront6targetE0EEEvSK_.num_agpr, 0
	.set _ZN7rocprim17ROCPRIM_400000_NS6detail17trampoline_kernelINS0_14default_configENS1_38merge_sort_block_merge_config_selectorIhNS0_10empty_typeEEEZZNS1_27merge_sort_block_merge_implIS3_N6thrust23THRUST_200600_302600_NS6detail15normal_iteratorINS9_10device_ptrIhEEEEPS5_m11less_div_10IhEEE10hipError_tT0_T1_T2_jT3_P12ihipStream_tbPNSt15iterator_traitsISJ_E10value_typeEPNSP_ISK_E10value_typeEPSL_NS1_7vsmem_tEENKUlT_SJ_SK_SL_E_clISE_PhSF_SF_EESI_SY_SJ_SK_SL_EUlSY_E0_NS1_11comp_targetILNS1_3genE2ELNS1_11target_archE906ELNS1_3gpuE6ELNS1_3repE0EEENS1_38merge_mergepath_config_static_selectorELNS0_4arch9wavefront6targetE0EEEvSK_.numbered_sgpr, 0
	.set _ZN7rocprim17ROCPRIM_400000_NS6detail17trampoline_kernelINS0_14default_configENS1_38merge_sort_block_merge_config_selectorIhNS0_10empty_typeEEEZZNS1_27merge_sort_block_merge_implIS3_N6thrust23THRUST_200600_302600_NS6detail15normal_iteratorINS9_10device_ptrIhEEEEPS5_m11less_div_10IhEEE10hipError_tT0_T1_T2_jT3_P12ihipStream_tbPNSt15iterator_traitsISJ_E10value_typeEPNSP_ISK_E10value_typeEPSL_NS1_7vsmem_tEENKUlT_SJ_SK_SL_E_clISE_PhSF_SF_EESI_SY_SJ_SK_SL_EUlSY_E0_NS1_11comp_targetILNS1_3genE2ELNS1_11target_archE906ELNS1_3gpuE6ELNS1_3repE0EEENS1_38merge_mergepath_config_static_selectorELNS0_4arch9wavefront6targetE0EEEvSK_.num_named_barrier, 0
	.set _ZN7rocprim17ROCPRIM_400000_NS6detail17trampoline_kernelINS0_14default_configENS1_38merge_sort_block_merge_config_selectorIhNS0_10empty_typeEEEZZNS1_27merge_sort_block_merge_implIS3_N6thrust23THRUST_200600_302600_NS6detail15normal_iteratorINS9_10device_ptrIhEEEEPS5_m11less_div_10IhEEE10hipError_tT0_T1_T2_jT3_P12ihipStream_tbPNSt15iterator_traitsISJ_E10value_typeEPNSP_ISK_E10value_typeEPSL_NS1_7vsmem_tEENKUlT_SJ_SK_SL_E_clISE_PhSF_SF_EESI_SY_SJ_SK_SL_EUlSY_E0_NS1_11comp_targetILNS1_3genE2ELNS1_11target_archE906ELNS1_3gpuE6ELNS1_3repE0EEENS1_38merge_mergepath_config_static_selectorELNS0_4arch9wavefront6targetE0EEEvSK_.private_seg_size, 0
	.set _ZN7rocprim17ROCPRIM_400000_NS6detail17trampoline_kernelINS0_14default_configENS1_38merge_sort_block_merge_config_selectorIhNS0_10empty_typeEEEZZNS1_27merge_sort_block_merge_implIS3_N6thrust23THRUST_200600_302600_NS6detail15normal_iteratorINS9_10device_ptrIhEEEEPS5_m11less_div_10IhEEE10hipError_tT0_T1_T2_jT3_P12ihipStream_tbPNSt15iterator_traitsISJ_E10value_typeEPNSP_ISK_E10value_typeEPSL_NS1_7vsmem_tEENKUlT_SJ_SK_SL_E_clISE_PhSF_SF_EESI_SY_SJ_SK_SL_EUlSY_E0_NS1_11comp_targetILNS1_3genE2ELNS1_11target_archE906ELNS1_3gpuE6ELNS1_3repE0EEENS1_38merge_mergepath_config_static_selectorELNS0_4arch9wavefront6targetE0EEEvSK_.uses_vcc, 0
	.set _ZN7rocprim17ROCPRIM_400000_NS6detail17trampoline_kernelINS0_14default_configENS1_38merge_sort_block_merge_config_selectorIhNS0_10empty_typeEEEZZNS1_27merge_sort_block_merge_implIS3_N6thrust23THRUST_200600_302600_NS6detail15normal_iteratorINS9_10device_ptrIhEEEEPS5_m11less_div_10IhEEE10hipError_tT0_T1_T2_jT3_P12ihipStream_tbPNSt15iterator_traitsISJ_E10value_typeEPNSP_ISK_E10value_typeEPSL_NS1_7vsmem_tEENKUlT_SJ_SK_SL_E_clISE_PhSF_SF_EESI_SY_SJ_SK_SL_EUlSY_E0_NS1_11comp_targetILNS1_3genE2ELNS1_11target_archE906ELNS1_3gpuE6ELNS1_3repE0EEENS1_38merge_mergepath_config_static_selectorELNS0_4arch9wavefront6targetE0EEEvSK_.uses_flat_scratch, 0
	.set _ZN7rocprim17ROCPRIM_400000_NS6detail17trampoline_kernelINS0_14default_configENS1_38merge_sort_block_merge_config_selectorIhNS0_10empty_typeEEEZZNS1_27merge_sort_block_merge_implIS3_N6thrust23THRUST_200600_302600_NS6detail15normal_iteratorINS9_10device_ptrIhEEEEPS5_m11less_div_10IhEEE10hipError_tT0_T1_T2_jT3_P12ihipStream_tbPNSt15iterator_traitsISJ_E10value_typeEPNSP_ISK_E10value_typeEPSL_NS1_7vsmem_tEENKUlT_SJ_SK_SL_E_clISE_PhSF_SF_EESI_SY_SJ_SK_SL_EUlSY_E0_NS1_11comp_targetILNS1_3genE2ELNS1_11target_archE906ELNS1_3gpuE6ELNS1_3repE0EEENS1_38merge_mergepath_config_static_selectorELNS0_4arch9wavefront6targetE0EEEvSK_.has_dyn_sized_stack, 0
	.set _ZN7rocprim17ROCPRIM_400000_NS6detail17trampoline_kernelINS0_14default_configENS1_38merge_sort_block_merge_config_selectorIhNS0_10empty_typeEEEZZNS1_27merge_sort_block_merge_implIS3_N6thrust23THRUST_200600_302600_NS6detail15normal_iteratorINS9_10device_ptrIhEEEEPS5_m11less_div_10IhEEE10hipError_tT0_T1_T2_jT3_P12ihipStream_tbPNSt15iterator_traitsISJ_E10value_typeEPNSP_ISK_E10value_typeEPSL_NS1_7vsmem_tEENKUlT_SJ_SK_SL_E_clISE_PhSF_SF_EESI_SY_SJ_SK_SL_EUlSY_E0_NS1_11comp_targetILNS1_3genE2ELNS1_11target_archE906ELNS1_3gpuE6ELNS1_3repE0EEENS1_38merge_mergepath_config_static_selectorELNS0_4arch9wavefront6targetE0EEEvSK_.has_recursion, 0
	.set _ZN7rocprim17ROCPRIM_400000_NS6detail17trampoline_kernelINS0_14default_configENS1_38merge_sort_block_merge_config_selectorIhNS0_10empty_typeEEEZZNS1_27merge_sort_block_merge_implIS3_N6thrust23THRUST_200600_302600_NS6detail15normal_iteratorINS9_10device_ptrIhEEEEPS5_m11less_div_10IhEEE10hipError_tT0_T1_T2_jT3_P12ihipStream_tbPNSt15iterator_traitsISJ_E10value_typeEPNSP_ISK_E10value_typeEPSL_NS1_7vsmem_tEENKUlT_SJ_SK_SL_E_clISE_PhSF_SF_EESI_SY_SJ_SK_SL_EUlSY_E0_NS1_11comp_targetILNS1_3genE2ELNS1_11target_archE906ELNS1_3gpuE6ELNS1_3repE0EEENS1_38merge_mergepath_config_static_selectorELNS0_4arch9wavefront6targetE0EEEvSK_.has_indirect_call, 0
	.section	.AMDGPU.csdata,"",@progbits
; Kernel info:
; codeLenInByte = 0
; TotalNumSgprs: 0
; NumVgprs: 0
; ScratchSize: 0
; MemoryBound: 0
; FloatMode: 240
; IeeeMode: 1
; LDSByteSize: 0 bytes/workgroup (compile time only)
; SGPRBlocks: 0
; VGPRBlocks: 0
; NumSGPRsForWavesPerEU: 1
; NumVGPRsForWavesPerEU: 1
; Occupancy: 16
; WaveLimiterHint : 0
; COMPUTE_PGM_RSRC2:SCRATCH_EN: 0
; COMPUTE_PGM_RSRC2:USER_SGPR: 6
; COMPUTE_PGM_RSRC2:TRAP_HANDLER: 0
; COMPUTE_PGM_RSRC2:TGID_X_EN: 1
; COMPUTE_PGM_RSRC2:TGID_Y_EN: 0
; COMPUTE_PGM_RSRC2:TGID_Z_EN: 0
; COMPUTE_PGM_RSRC2:TIDIG_COMP_CNT: 0
	.section	.text._ZN7rocprim17ROCPRIM_400000_NS6detail17trampoline_kernelINS0_14default_configENS1_38merge_sort_block_merge_config_selectorIhNS0_10empty_typeEEEZZNS1_27merge_sort_block_merge_implIS3_N6thrust23THRUST_200600_302600_NS6detail15normal_iteratorINS9_10device_ptrIhEEEEPS5_m11less_div_10IhEEE10hipError_tT0_T1_T2_jT3_P12ihipStream_tbPNSt15iterator_traitsISJ_E10value_typeEPNSP_ISK_E10value_typeEPSL_NS1_7vsmem_tEENKUlT_SJ_SK_SL_E_clISE_PhSF_SF_EESI_SY_SJ_SK_SL_EUlSY_E0_NS1_11comp_targetILNS1_3genE9ELNS1_11target_archE1100ELNS1_3gpuE3ELNS1_3repE0EEENS1_38merge_mergepath_config_static_selectorELNS0_4arch9wavefront6targetE0EEEvSK_,"axG",@progbits,_ZN7rocprim17ROCPRIM_400000_NS6detail17trampoline_kernelINS0_14default_configENS1_38merge_sort_block_merge_config_selectorIhNS0_10empty_typeEEEZZNS1_27merge_sort_block_merge_implIS3_N6thrust23THRUST_200600_302600_NS6detail15normal_iteratorINS9_10device_ptrIhEEEEPS5_m11less_div_10IhEEE10hipError_tT0_T1_T2_jT3_P12ihipStream_tbPNSt15iterator_traitsISJ_E10value_typeEPNSP_ISK_E10value_typeEPSL_NS1_7vsmem_tEENKUlT_SJ_SK_SL_E_clISE_PhSF_SF_EESI_SY_SJ_SK_SL_EUlSY_E0_NS1_11comp_targetILNS1_3genE9ELNS1_11target_archE1100ELNS1_3gpuE3ELNS1_3repE0EEENS1_38merge_mergepath_config_static_selectorELNS0_4arch9wavefront6targetE0EEEvSK_,comdat
	.protected	_ZN7rocprim17ROCPRIM_400000_NS6detail17trampoline_kernelINS0_14default_configENS1_38merge_sort_block_merge_config_selectorIhNS0_10empty_typeEEEZZNS1_27merge_sort_block_merge_implIS3_N6thrust23THRUST_200600_302600_NS6detail15normal_iteratorINS9_10device_ptrIhEEEEPS5_m11less_div_10IhEEE10hipError_tT0_T1_T2_jT3_P12ihipStream_tbPNSt15iterator_traitsISJ_E10value_typeEPNSP_ISK_E10value_typeEPSL_NS1_7vsmem_tEENKUlT_SJ_SK_SL_E_clISE_PhSF_SF_EESI_SY_SJ_SK_SL_EUlSY_E0_NS1_11comp_targetILNS1_3genE9ELNS1_11target_archE1100ELNS1_3gpuE3ELNS1_3repE0EEENS1_38merge_mergepath_config_static_selectorELNS0_4arch9wavefront6targetE0EEEvSK_ ; -- Begin function _ZN7rocprim17ROCPRIM_400000_NS6detail17trampoline_kernelINS0_14default_configENS1_38merge_sort_block_merge_config_selectorIhNS0_10empty_typeEEEZZNS1_27merge_sort_block_merge_implIS3_N6thrust23THRUST_200600_302600_NS6detail15normal_iteratorINS9_10device_ptrIhEEEEPS5_m11less_div_10IhEEE10hipError_tT0_T1_T2_jT3_P12ihipStream_tbPNSt15iterator_traitsISJ_E10value_typeEPNSP_ISK_E10value_typeEPSL_NS1_7vsmem_tEENKUlT_SJ_SK_SL_E_clISE_PhSF_SF_EESI_SY_SJ_SK_SL_EUlSY_E0_NS1_11comp_targetILNS1_3genE9ELNS1_11target_archE1100ELNS1_3gpuE3ELNS1_3repE0EEENS1_38merge_mergepath_config_static_selectorELNS0_4arch9wavefront6targetE0EEEvSK_
	.globl	_ZN7rocprim17ROCPRIM_400000_NS6detail17trampoline_kernelINS0_14default_configENS1_38merge_sort_block_merge_config_selectorIhNS0_10empty_typeEEEZZNS1_27merge_sort_block_merge_implIS3_N6thrust23THRUST_200600_302600_NS6detail15normal_iteratorINS9_10device_ptrIhEEEEPS5_m11less_div_10IhEEE10hipError_tT0_T1_T2_jT3_P12ihipStream_tbPNSt15iterator_traitsISJ_E10value_typeEPNSP_ISK_E10value_typeEPSL_NS1_7vsmem_tEENKUlT_SJ_SK_SL_E_clISE_PhSF_SF_EESI_SY_SJ_SK_SL_EUlSY_E0_NS1_11comp_targetILNS1_3genE9ELNS1_11target_archE1100ELNS1_3gpuE3ELNS1_3repE0EEENS1_38merge_mergepath_config_static_selectorELNS0_4arch9wavefront6targetE0EEEvSK_
	.p2align	8
	.type	_ZN7rocprim17ROCPRIM_400000_NS6detail17trampoline_kernelINS0_14default_configENS1_38merge_sort_block_merge_config_selectorIhNS0_10empty_typeEEEZZNS1_27merge_sort_block_merge_implIS3_N6thrust23THRUST_200600_302600_NS6detail15normal_iteratorINS9_10device_ptrIhEEEEPS5_m11less_div_10IhEEE10hipError_tT0_T1_T2_jT3_P12ihipStream_tbPNSt15iterator_traitsISJ_E10value_typeEPNSP_ISK_E10value_typeEPSL_NS1_7vsmem_tEENKUlT_SJ_SK_SL_E_clISE_PhSF_SF_EESI_SY_SJ_SK_SL_EUlSY_E0_NS1_11comp_targetILNS1_3genE9ELNS1_11target_archE1100ELNS1_3gpuE3ELNS1_3repE0EEENS1_38merge_mergepath_config_static_selectorELNS0_4arch9wavefront6targetE0EEEvSK_,@function
_ZN7rocprim17ROCPRIM_400000_NS6detail17trampoline_kernelINS0_14default_configENS1_38merge_sort_block_merge_config_selectorIhNS0_10empty_typeEEEZZNS1_27merge_sort_block_merge_implIS3_N6thrust23THRUST_200600_302600_NS6detail15normal_iteratorINS9_10device_ptrIhEEEEPS5_m11less_div_10IhEEE10hipError_tT0_T1_T2_jT3_P12ihipStream_tbPNSt15iterator_traitsISJ_E10value_typeEPNSP_ISK_E10value_typeEPSL_NS1_7vsmem_tEENKUlT_SJ_SK_SL_E_clISE_PhSF_SF_EESI_SY_SJ_SK_SL_EUlSY_E0_NS1_11comp_targetILNS1_3genE9ELNS1_11target_archE1100ELNS1_3gpuE3ELNS1_3repE0EEENS1_38merge_mergepath_config_static_selectorELNS0_4arch9wavefront6targetE0EEEvSK_: ; @_ZN7rocprim17ROCPRIM_400000_NS6detail17trampoline_kernelINS0_14default_configENS1_38merge_sort_block_merge_config_selectorIhNS0_10empty_typeEEEZZNS1_27merge_sort_block_merge_implIS3_N6thrust23THRUST_200600_302600_NS6detail15normal_iteratorINS9_10device_ptrIhEEEEPS5_m11less_div_10IhEEE10hipError_tT0_T1_T2_jT3_P12ihipStream_tbPNSt15iterator_traitsISJ_E10value_typeEPNSP_ISK_E10value_typeEPSL_NS1_7vsmem_tEENKUlT_SJ_SK_SL_E_clISE_PhSF_SF_EESI_SY_SJ_SK_SL_EUlSY_E0_NS1_11comp_targetILNS1_3genE9ELNS1_11target_archE1100ELNS1_3gpuE3ELNS1_3repE0EEENS1_38merge_mergepath_config_static_selectorELNS0_4arch9wavefront6targetE0EEEvSK_
; %bb.0:
	.section	.rodata,"a",@progbits
	.p2align	6, 0x0
	.amdhsa_kernel _ZN7rocprim17ROCPRIM_400000_NS6detail17trampoline_kernelINS0_14default_configENS1_38merge_sort_block_merge_config_selectorIhNS0_10empty_typeEEEZZNS1_27merge_sort_block_merge_implIS3_N6thrust23THRUST_200600_302600_NS6detail15normal_iteratorINS9_10device_ptrIhEEEEPS5_m11less_div_10IhEEE10hipError_tT0_T1_T2_jT3_P12ihipStream_tbPNSt15iterator_traitsISJ_E10value_typeEPNSP_ISK_E10value_typeEPSL_NS1_7vsmem_tEENKUlT_SJ_SK_SL_E_clISE_PhSF_SF_EESI_SY_SJ_SK_SL_EUlSY_E0_NS1_11comp_targetILNS1_3genE9ELNS1_11target_archE1100ELNS1_3gpuE3ELNS1_3repE0EEENS1_38merge_mergepath_config_static_selectorELNS0_4arch9wavefront6targetE0EEEvSK_
		.amdhsa_group_segment_fixed_size 0
		.amdhsa_private_segment_fixed_size 0
		.amdhsa_kernarg_size 72
		.amdhsa_user_sgpr_count 6
		.amdhsa_user_sgpr_private_segment_buffer 1
		.amdhsa_user_sgpr_dispatch_ptr 0
		.amdhsa_user_sgpr_queue_ptr 0
		.amdhsa_user_sgpr_kernarg_segment_ptr 1
		.amdhsa_user_sgpr_dispatch_id 0
		.amdhsa_user_sgpr_flat_scratch_init 0
		.amdhsa_user_sgpr_private_segment_size 0
		.amdhsa_wavefront_size32 1
		.amdhsa_uses_dynamic_stack 0
		.amdhsa_system_sgpr_private_segment_wavefront_offset 0
		.amdhsa_system_sgpr_workgroup_id_x 1
		.amdhsa_system_sgpr_workgroup_id_y 0
		.amdhsa_system_sgpr_workgroup_id_z 0
		.amdhsa_system_sgpr_workgroup_info 0
		.amdhsa_system_vgpr_workitem_id 0
		.amdhsa_next_free_vgpr 1
		.amdhsa_next_free_sgpr 1
		.amdhsa_reserve_vcc 0
		.amdhsa_reserve_flat_scratch 0
		.amdhsa_float_round_mode_32 0
		.amdhsa_float_round_mode_16_64 0
		.amdhsa_float_denorm_mode_32 3
		.amdhsa_float_denorm_mode_16_64 3
		.amdhsa_dx10_clamp 1
		.amdhsa_ieee_mode 1
		.amdhsa_fp16_overflow 0
		.amdhsa_workgroup_processor_mode 1
		.amdhsa_memory_ordered 1
		.amdhsa_forward_progress 1
		.amdhsa_shared_vgpr_count 0
		.amdhsa_exception_fp_ieee_invalid_op 0
		.amdhsa_exception_fp_denorm_src 0
		.amdhsa_exception_fp_ieee_div_zero 0
		.amdhsa_exception_fp_ieee_overflow 0
		.amdhsa_exception_fp_ieee_underflow 0
		.amdhsa_exception_fp_ieee_inexact 0
		.amdhsa_exception_int_div_zero 0
	.end_amdhsa_kernel
	.section	.text._ZN7rocprim17ROCPRIM_400000_NS6detail17trampoline_kernelINS0_14default_configENS1_38merge_sort_block_merge_config_selectorIhNS0_10empty_typeEEEZZNS1_27merge_sort_block_merge_implIS3_N6thrust23THRUST_200600_302600_NS6detail15normal_iteratorINS9_10device_ptrIhEEEEPS5_m11less_div_10IhEEE10hipError_tT0_T1_T2_jT3_P12ihipStream_tbPNSt15iterator_traitsISJ_E10value_typeEPNSP_ISK_E10value_typeEPSL_NS1_7vsmem_tEENKUlT_SJ_SK_SL_E_clISE_PhSF_SF_EESI_SY_SJ_SK_SL_EUlSY_E0_NS1_11comp_targetILNS1_3genE9ELNS1_11target_archE1100ELNS1_3gpuE3ELNS1_3repE0EEENS1_38merge_mergepath_config_static_selectorELNS0_4arch9wavefront6targetE0EEEvSK_,"axG",@progbits,_ZN7rocprim17ROCPRIM_400000_NS6detail17trampoline_kernelINS0_14default_configENS1_38merge_sort_block_merge_config_selectorIhNS0_10empty_typeEEEZZNS1_27merge_sort_block_merge_implIS3_N6thrust23THRUST_200600_302600_NS6detail15normal_iteratorINS9_10device_ptrIhEEEEPS5_m11less_div_10IhEEE10hipError_tT0_T1_T2_jT3_P12ihipStream_tbPNSt15iterator_traitsISJ_E10value_typeEPNSP_ISK_E10value_typeEPSL_NS1_7vsmem_tEENKUlT_SJ_SK_SL_E_clISE_PhSF_SF_EESI_SY_SJ_SK_SL_EUlSY_E0_NS1_11comp_targetILNS1_3genE9ELNS1_11target_archE1100ELNS1_3gpuE3ELNS1_3repE0EEENS1_38merge_mergepath_config_static_selectorELNS0_4arch9wavefront6targetE0EEEvSK_,comdat
.Lfunc_end731:
	.size	_ZN7rocprim17ROCPRIM_400000_NS6detail17trampoline_kernelINS0_14default_configENS1_38merge_sort_block_merge_config_selectorIhNS0_10empty_typeEEEZZNS1_27merge_sort_block_merge_implIS3_N6thrust23THRUST_200600_302600_NS6detail15normal_iteratorINS9_10device_ptrIhEEEEPS5_m11less_div_10IhEEE10hipError_tT0_T1_T2_jT3_P12ihipStream_tbPNSt15iterator_traitsISJ_E10value_typeEPNSP_ISK_E10value_typeEPSL_NS1_7vsmem_tEENKUlT_SJ_SK_SL_E_clISE_PhSF_SF_EESI_SY_SJ_SK_SL_EUlSY_E0_NS1_11comp_targetILNS1_3genE9ELNS1_11target_archE1100ELNS1_3gpuE3ELNS1_3repE0EEENS1_38merge_mergepath_config_static_selectorELNS0_4arch9wavefront6targetE0EEEvSK_, .Lfunc_end731-_ZN7rocprim17ROCPRIM_400000_NS6detail17trampoline_kernelINS0_14default_configENS1_38merge_sort_block_merge_config_selectorIhNS0_10empty_typeEEEZZNS1_27merge_sort_block_merge_implIS3_N6thrust23THRUST_200600_302600_NS6detail15normal_iteratorINS9_10device_ptrIhEEEEPS5_m11less_div_10IhEEE10hipError_tT0_T1_T2_jT3_P12ihipStream_tbPNSt15iterator_traitsISJ_E10value_typeEPNSP_ISK_E10value_typeEPSL_NS1_7vsmem_tEENKUlT_SJ_SK_SL_E_clISE_PhSF_SF_EESI_SY_SJ_SK_SL_EUlSY_E0_NS1_11comp_targetILNS1_3genE9ELNS1_11target_archE1100ELNS1_3gpuE3ELNS1_3repE0EEENS1_38merge_mergepath_config_static_selectorELNS0_4arch9wavefront6targetE0EEEvSK_
                                        ; -- End function
	.set _ZN7rocprim17ROCPRIM_400000_NS6detail17trampoline_kernelINS0_14default_configENS1_38merge_sort_block_merge_config_selectorIhNS0_10empty_typeEEEZZNS1_27merge_sort_block_merge_implIS3_N6thrust23THRUST_200600_302600_NS6detail15normal_iteratorINS9_10device_ptrIhEEEEPS5_m11less_div_10IhEEE10hipError_tT0_T1_T2_jT3_P12ihipStream_tbPNSt15iterator_traitsISJ_E10value_typeEPNSP_ISK_E10value_typeEPSL_NS1_7vsmem_tEENKUlT_SJ_SK_SL_E_clISE_PhSF_SF_EESI_SY_SJ_SK_SL_EUlSY_E0_NS1_11comp_targetILNS1_3genE9ELNS1_11target_archE1100ELNS1_3gpuE3ELNS1_3repE0EEENS1_38merge_mergepath_config_static_selectorELNS0_4arch9wavefront6targetE0EEEvSK_.num_vgpr, 0
	.set _ZN7rocprim17ROCPRIM_400000_NS6detail17trampoline_kernelINS0_14default_configENS1_38merge_sort_block_merge_config_selectorIhNS0_10empty_typeEEEZZNS1_27merge_sort_block_merge_implIS3_N6thrust23THRUST_200600_302600_NS6detail15normal_iteratorINS9_10device_ptrIhEEEEPS5_m11less_div_10IhEEE10hipError_tT0_T1_T2_jT3_P12ihipStream_tbPNSt15iterator_traitsISJ_E10value_typeEPNSP_ISK_E10value_typeEPSL_NS1_7vsmem_tEENKUlT_SJ_SK_SL_E_clISE_PhSF_SF_EESI_SY_SJ_SK_SL_EUlSY_E0_NS1_11comp_targetILNS1_3genE9ELNS1_11target_archE1100ELNS1_3gpuE3ELNS1_3repE0EEENS1_38merge_mergepath_config_static_selectorELNS0_4arch9wavefront6targetE0EEEvSK_.num_agpr, 0
	.set _ZN7rocprim17ROCPRIM_400000_NS6detail17trampoline_kernelINS0_14default_configENS1_38merge_sort_block_merge_config_selectorIhNS0_10empty_typeEEEZZNS1_27merge_sort_block_merge_implIS3_N6thrust23THRUST_200600_302600_NS6detail15normal_iteratorINS9_10device_ptrIhEEEEPS5_m11less_div_10IhEEE10hipError_tT0_T1_T2_jT3_P12ihipStream_tbPNSt15iterator_traitsISJ_E10value_typeEPNSP_ISK_E10value_typeEPSL_NS1_7vsmem_tEENKUlT_SJ_SK_SL_E_clISE_PhSF_SF_EESI_SY_SJ_SK_SL_EUlSY_E0_NS1_11comp_targetILNS1_3genE9ELNS1_11target_archE1100ELNS1_3gpuE3ELNS1_3repE0EEENS1_38merge_mergepath_config_static_selectorELNS0_4arch9wavefront6targetE0EEEvSK_.numbered_sgpr, 0
	.set _ZN7rocprim17ROCPRIM_400000_NS6detail17trampoline_kernelINS0_14default_configENS1_38merge_sort_block_merge_config_selectorIhNS0_10empty_typeEEEZZNS1_27merge_sort_block_merge_implIS3_N6thrust23THRUST_200600_302600_NS6detail15normal_iteratorINS9_10device_ptrIhEEEEPS5_m11less_div_10IhEEE10hipError_tT0_T1_T2_jT3_P12ihipStream_tbPNSt15iterator_traitsISJ_E10value_typeEPNSP_ISK_E10value_typeEPSL_NS1_7vsmem_tEENKUlT_SJ_SK_SL_E_clISE_PhSF_SF_EESI_SY_SJ_SK_SL_EUlSY_E0_NS1_11comp_targetILNS1_3genE9ELNS1_11target_archE1100ELNS1_3gpuE3ELNS1_3repE0EEENS1_38merge_mergepath_config_static_selectorELNS0_4arch9wavefront6targetE0EEEvSK_.num_named_barrier, 0
	.set _ZN7rocprim17ROCPRIM_400000_NS6detail17trampoline_kernelINS0_14default_configENS1_38merge_sort_block_merge_config_selectorIhNS0_10empty_typeEEEZZNS1_27merge_sort_block_merge_implIS3_N6thrust23THRUST_200600_302600_NS6detail15normal_iteratorINS9_10device_ptrIhEEEEPS5_m11less_div_10IhEEE10hipError_tT0_T1_T2_jT3_P12ihipStream_tbPNSt15iterator_traitsISJ_E10value_typeEPNSP_ISK_E10value_typeEPSL_NS1_7vsmem_tEENKUlT_SJ_SK_SL_E_clISE_PhSF_SF_EESI_SY_SJ_SK_SL_EUlSY_E0_NS1_11comp_targetILNS1_3genE9ELNS1_11target_archE1100ELNS1_3gpuE3ELNS1_3repE0EEENS1_38merge_mergepath_config_static_selectorELNS0_4arch9wavefront6targetE0EEEvSK_.private_seg_size, 0
	.set _ZN7rocprim17ROCPRIM_400000_NS6detail17trampoline_kernelINS0_14default_configENS1_38merge_sort_block_merge_config_selectorIhNS0_10empty_typeEEEZZNS1_27merge_sort_block_merge_implIS3_N6thrust23THRUST_200600_302600_NS6detail15normal_iteratorINS9_10device_ptrIhEEEEPS5_m11less_div_10IhEEE10hipError_tT0_T1_T2_jT3_P12ihipStream_tbPNSt15iterator_traitsISJ_E10value_typeEPNSP_ISK_E10value_typeEPSL_NS1_7vsmem_tEENKUlT_SJ_SK_SL_E_clISE_PhSF_SF_EESI_SY_SJ_SK_SL_EUlSY_E0_NS1_11comp_targetILNS1_3genE9ELNS1_11target_archE1100ELNS1_3gpuE3ELNS1_3repE0EEENS1_38merge_mergepath_config_static_selectorELNS0_4arch9wavefront6targetE0EEEvSK_.uses_vcc, 0
	.set _ZN7rocprim17ROCPRIM_400000_NS6detail17trampoline_kernelINS0_14default_configENS1_38merge_sort_block_merge_config_selectorIhNS0_10empty_typeEEEZZNS1_27merge_sort_block_merge_implIS3_N6thrust23THRUST_200600_302600_NS6detail15normal_iteratorINS9_10device_ptrIhEEEEPS5_m11less_div_10IhEEE10hipError_tT0_T1_T2_jT3_P12ihipStream_tbPNSt15iterator_traitsISJ_E10value_typeEPNSP_ISK_E10value_typeEPSL_NS1_7vsmem_tEENKUlT_SJ_SK_SL_E_clISE_PhSF_SF_EESI_SY_SJ_SK_SL_EUlSY_E0_NS1_11comp_targetILNS1_3genE9ELNS1_11target_archE1100ELNS1_3gpuE3ELNS1_3repE0EEENS1_38merge_mergepath_config_static_selectorELNS0_4arch9wavefront6targetE0EEEvSK_.uses_flat_scratch, 0
	.set _ZN7rocprim17ROCPRIM_400000_NS6detail17trampoline_kernelINS0_14default_configENS1_38merge_sort_block_merge_config_selectorIhNS0_10empty_typeEEEZZNS1_27merge_sort_block_merge_implIS3_N6thrust23THRUST_200600_302600_NS6detail15normal_iteratorINS9_10device_ptrIhEEEEPS5_m11less_div_10IhEEE10hipError_tT0_T1_T2_jT3_P12ihipStream_tbPNSt15iterator_traitsISJ_E10value_typeEPNSP_ISK_E10value_typeEPSL_NS1_7vsmem_tEENKUlT_SJ_SK_SL_E_clISE_PhSF_SF_EESI_SY_SJ_SK_SL_EUlSY_E0_NS1_11comp_targetILNS1_3genE9ELNS1_11target_archE1100ELNS1_3gpuE3ELNS1_3repE0EEENS1_38merge_mergepath_config_static_selectorELNS0_4arch9wavefront6targetE0EEEvSK_.has_dyn_sized_stack, 0
	.set _ZN7rocprim17ROCPRIM_400000_NS6detail17trampoline_kernelINS0_14default_configENS1_38merge_sort_block_merge_config_selectorIhNS0_10empty_typeEEEZZNS1_27merge_sort_block_merge_implIS3_N6thrust23THRUST_200600_302600_NS6detail15normal_iteratorINS9_10device_ptrIhEEEEPS5_m11less_div_10IhEEE10hipError_tT0_T1_T2_jT3_P12ihipStream_tbPNSt15iterator_traitsISJ_E10value_typeEPNSP_ISK_E10value_typeEPSL_NS1_7vsmem_tEENKUlT_SJ_SK_SL_E_clISE_PhSF_SF_EESI_SY_SJ_SK_SL_EUlSY_E0_NS1_11comp_targetILNS1_3genE9ELNS1_11target_archE1100ELNS1_3gpuE3ELNS1_3repE0EEENS1_38merge_mergepath_config_static_selectorELNS0_4arch9wavefront6targetE0EEEvSK_.has_recursion, 0
	.set _ZN7rocprim17ROCPRIM_400000_NS6detail17trampoline_kernelINS0_14default_configENS1_38merge_sort_block_merge_config_selectorIhNS0_10empty_typeEEEZZNS1_27merge_sort_block_merge_implIS3_N6thrust23THRUST_200600_302600_NS6detail15normal_iteratorINS9_10device_ptrIhEEEEPS5_m11less_div_10IhEEE10hipError_tT0_T1_T2_jT3_P12ihipStream_tbPNSt15iterator_traitsISJ_E10value_typeEPNSP_ISK_E10value_typeEPSL_NS1_7vsmem_tEENKUlT_SJ_SK_SL_E_clISE_PhSF_SF_EESI_SY_SJ_SK_SL_EUlSY_E0_NS1_11comp_targetILNS1_3genE9ELNS1_11target_archE1100ELNS1_3gpuE3ELNS1_3repE0EEENS1_38merge_mergepath_config_static_selectorELNS0_4arch9wavefront6targetE0EEEvSK_.has_indirect_call, 0
	.section	.AMDGPU.csdata,"",@progbits
; Kernel info:
; codeLenInByte = 0
; TotalNumSgprs: 0
; NumVgprs: 0
; ScratchSize: 0
; MemoryBound: 0
; FloatMode: 240
; IeeeMode: 1
; LDSByteSize: 0 bytes/workgroup (compile time only)
; SGPRBlocks: 0
; VGPRBlocks: 0
; NumSGPRsForWavesPerEU: 1
; NumVGPRsForWavesPerEU: 1
; Occupancy: 16
; WaveLimiterHint : 0
; COMPUTE_PGM_RSRC2:SCRATCH_EN: 0
; COMPUTE_PGM_RSRC2:USER_SGPR: 6
; COMPUTE_PGM_RSRC2:TRAP_HANDLER: 0
; COMPUTE_PGM_RSRC2:TGID_X_EN: 1
; COMPUTE_PGM_RSRC2:TGID_Y_EN: 0
; COMPUTE_PGM_RSRC2:TGID_Z_EN: 0
; COMPUTE_PGM_RSRC2:TIDIG_COMP_CNT: 0
	.section	.text._ZN7rocprim17ROCPRIM_400000_NS6detail17trampoline_kernelINS0_14default_configENS1_38merge_sort_block_merge_config_selectorIhNS0_10empty_typeEEEZZNS1_27merge_sort_block_merge_implIS3_N6thrust23THRUST_200600_302600_NS6detail15normal_iteratorINS9_10device_ptrIhEEEEPS5_m11less_div_10IhEEE10hipError_tT0_T1_T2_jT3_P12ihipStream_tbPNSt15iterator_traitsISJ_E10value_typeEPNSP_ISK_E10value_typeEPSL_NS1_7vsmem_tEENKUlT_SJ_SK_SL_E_clISE_PhSF_SF_EESI_SY_SJ_SK_SL_EUlSY_E0_NS1_11comp_targetILNS1_3genE8ELNS1_11target_archE1030ELNS1_3gpuE2ELNS1_3repE0EEENS1_38merge_mergepath_config_static_selectorELNS0_4arch9wavefront6targetE0EEEvSK_,"axG",@progbits,_ZN7rocprim17ROCPRIM_400000_NS6detail17trampoline_kernelINS0_14default_configENS1_38merge_sort_block_merge_config_selectorIhNS0_10empty_typeEEEZZNS1_27merge_sort_block_merge_implIS3_N6thrust23THRUST_200600_302600_NS6detail15normal_iteratorINS9_10device_ptrIhEEEEPS5_m11less_div_10IhEEE10hipError_tT0_T1_T2_jT3_P12ihipStream_tbPNSt15iterator_traitsISJ_E10value_typeEPNSP_ISK_E10value_typeEPSL_NS1_7vsmem_tEENKUlT_SJ_SK_SL_E_clISE_PhSF_SF_EESI_SY_SJ_SK_SL_EUlSY_E0_NS1_11comp_targetILNS1_3genE8ELNS1_11target_archE1030ELNS1_3gpuE2ELNS1_3repE0EEENS1_38merge_mergepath_config_static_selectorELNS0_4arch9wavefront6targetE0EEEvSK_,comdat
	.protected	_ZN7rocprim17ROCPRIM_400000_NS6detail17trampoline_kernelINS0_14default_configENS1_38merge_sort_block_merge_config_selectorIhNS0_10empty_typeEEEZZNS1_27merge_sort_block_merge_implIS3_N6thrust23THRUST_200600_302600_NS6detail15normal_iteratorINS9_10device_ptrIhEEEEPS5_m11less_div_10IhEEE10hipError_tT0_T1_T2_jT3_P12ihipStream_tbPNSt15iterator_traitsISJ_E10value_typeEPNSP_ISK_E10value_typeEPSL_NS1_7vsmem_tEENKUlT_SJ_SK_SL_E_clISE_PhSF_SF_EESI_SY_SJ_SK_SL_EUlSY_E0_NS1_11comp_targetILNS1_3genE8ELNS1_11target_archE1030ELNS1_3gpuE2ELNS1_3repE0EEENS1_38merge_mergepath_config_static_selectorELNS0_4arch9wavefront6targetE0EEEvSK_ ; -- Begin function _ZN7rocprim17ROCPRIM_400000_NS6detail17trampoline_kernelINS0_14default_configENS1_38merge_sort_block_merge_config_selectorIhNS0_10empty_typeEEEZZNS1_27merge_sort_block_merge_implIS3_N6thrust23THRUST_200600_302600_NS6detail15normal_iteratorINS9_10device_ptrIhEEEEPS5_m11less_div_10IhEEE10hipError_tT0_T1_T2_jT3_P12ihipStream_tbPNSt15iterator_traitsISJ_E10value_typeEPNSP_ISK_E10value_typeEPSL_NS1_7vsmem_tEENKUlT_SJ_SK_SL_E_clISE_PhSF_SF_EESI_SY_SJ_SK_SL_EUlSY_E0_NS1_11comp_targetILNS1_3genE8ELNS1_11target_archE1030ELNS1_3gpuE2ELNS1_3repE0EEENS1_38merge_mergepath_config_static_selectorELNS0_4arch9wavefront6targetE0EEEvSK_
	.globl	_ZN7rocprim17ROCPRIM_400000_NS6detail17trampoline_kernelINS0_14default_configENS1_38merge_sort_block_merge_config_selectorIhNS0_10empty_typeEEEZZNS1_27merge_sort_block_merge_implIS3_N6thrust23THRUST_200600_302600_NS6detail15normal_iteratorINS9_10device_ptrIhEEEEPS5_m11less_div_10IhEEE10hipError_tT0_T1_T2_jT3_P12ihipStream_tbPNSt15iterator_traitsISJ_E10value_typeEPNSP_ISK_E10value_typeEPSL_NS1_7vsmem_tEENKUlT_SJ_SK_SL_E_clISE_PhSF_SF_EESI_SY_SJ_SK_SL_EUlSY_E0_NS1_11comp_targetILNS1_3genE8ELNS1_11target_archE1030ELNS1_3gpuE2ELNS1_3repE0EEENS1_38merge_mergepath_config_static_selectorELNS0_4arch9wavefront6targetE0EEEvSK_
	.p2align	8
	.type	_ZN7rocprim17ROCPRIM_400000_NS6detail17trampoline_kernelINS0_14default_configENS1_38merge_sort_block_merge_config_selectorIhNS0_10empty_typeEEEZZNS1_27merge_sort_block_merge_implIS3_N6thrust23THRUST_200600_302600_NS6detail15normal_iteratorINS9_10device_ptrIhEEEEPS5_m11less_div_10IhEEE10hipError_tT0_T1_T2_jT3_P12ihipStream_tbPNSt15iterator_traitsISJ_E10value_typeEPNSP_ISK_E10value_typeEPSL_NS1_7vsmem_tEENKUlT_SJ_SK_SL_E_clISE_PhSF_SF_EESI_SY_SJ_SK_SL_EUlSY_E0_NS1_11comp_targetILNS1_3genE8ELNS1_11target_archE1030ELNS1_3gpuE2ELNS1_3repE0EEENS1_38merge_mergepath_config_static_selectorELNS0_4arch9wavefront6targetE0EEEvSK_,@function
_ZN7rocprim17ROCPRIM_400000_NS6detail17trampoline_kernelINS0_14default_configENS1_38merge_sort_block_merge_config_selectorIhNS0_10empty_typeEEEZZNS1_27merge_sort_block_merge_implIS3_N6thrust23THRUST_200600_302600_NS6detail15normal_iteratorINS9_10device_ptrIhEEEEPS5_m11less_div_10IhEEE10hipError_tT0_T1_T2_jT3_P12ihipStream_tbPNSt15iterator_traitsISJ_E10value_typeEPNSP_ISK_E10value_typeEPSL_NS1_7vsmem_tEENKUlT_SJ_SK_SL_E_clISE_PhSF_SF_EESI_SY_SJ_SK_SL_EUlSY_E0_NS1_11comp_targetILNS1_3genE8ELNS1_11target_archE1030ELNS1_3gpuE2ELNS1_3repE0EEENS1_38merge_mergepath_config_static_selectorELNS0_4arch9wavefront6targetE0EEEvSK_: ; @_ZN7rocprim17ROCPRIM_400000_NS6detail17trampoline_kernelINS0_14default_configENS1_38merge_sort_block_merge_config_selectorIhNS0_10empty_typeEEEZZNS1_27merge_sort_block_merge_implIS3_N6thrust23THRUST_200600_302600_NS6detail15normal_iteratorINS9_10device_ptrIhEEEEPS5_m11less_div_10IhEEE10hipError_tT0_T1_T2_jT3_P12ihipStream_tbPNSt15iterator_traitsISJ_E10value_typeEPNSP_ISK_E10value_typeEPSL_NS1_7vsmem_tEENKUlT_SJ_SK_SL_E_clISE_PhSF_SF_EESI_SY_SJ_SK_SL_EUlSY_E0_NS1_11comp_targetILNS1_3genE8ELNS1_11target_archE1030ELNS1_3gpuE2ELNS1_3repE0EEENS1_38merge_mergepath_config_static_selectorELNS0_4arch9wavefront6targetE0EEEvSK_
; %bb.0:
	s_clause 0x1
	s_load_dwordx2 s[22:23], s[4:5], 0x48
	s_load_dword s0, s[4:5], 0x38
	s_add_u32 s20, s4, 0x48
	s_addc_u32 s21, s5, 0
	s_waitcnt lgkmcnt(0)
	s_mul_i32 s1, s23, s8
	s_add_i32 s1, s1, s7
	s_mul_i32 s1, s1, s22
	s_add_i32 s18, s1, s6
	s_cmp_ge_u32 s18, s0
	s_cbranch_scc1 .LBB732_81
; %bb.1:
	s_clause 0x1
	s_load_dwordx2 s[0:1], s[4:5], 0x40
	s_load_dwordx4 s[8:11], s[4:5], 0x28
	s_mov_b32 s19, 0
	s_lshl_b64 s[2:3], s[18:19], 3
	s_waitcnt lgkmcnt(0)
	s_add_u32 s0, s0, s2
	s_addc_u32 s1, s1, s3
	s_lshl_b64 s[16:17], s[18:19], 10
	s_load_dwordx4 s[12:15], s[0:1], 0x0
	s_lshr_b64 s[0:1], s[10:11], 9
	s_mov_b32 s1, s19
	s_and_b32 s0, s0, -2
	s_sub_i32 s30, 0, s0
	s_and_b32 s0, s18, s30
	s_lshl_b64 s[24:25], s[0:1], 10
	s_sub_u32 s7, s16, s24
	s_subb_u32 s23, s17, s25
	s_lshl_b64 s[26:27], s[0:1], 11
	s_load_dwordx4 s[0:3], s[4:5], 0x8
	s_add_u32 s4, s26, s10
	s_addc_u32 s26, s27, s11
	s_add_u32 s5, s4, s7
	s_addc_u32 s7, s26, s23
	s_waitcnt lgkmcnt(0)
	s_sub_u32 s23, s5, s14
	s_subb_u32 s15, s7, s15
	s_add_u32 s28, s23, 0x400
	s_addc_u32 s29, s15, 0
	v_cmp_lt_u64_e64 s15, s[8:9], s[28:29]
	s_and_b32 s15, s15, exec_lo
	s_cselect_b32 s23, s8, s28
	s_or_b32 s15, s18, s30
	s_cmp_lg_u32 s15, -1
	s_mov_b32 s15, -1
	s_cbranch_scc1 .LBB732_3
; %bb.2:
	s_sub_u32 s24, s4, s24
	s_subb_u32 s25, s26, s25
	v_cmp_lt_u64_e64 s4, s[8:9], s[24:25]
	s_and_b32 s4, s4, exec_lo
	s_cselect_b32 s14, s8, s24
	s_add_u32 s10, s24, s10
	s_addc_u32 s11, s25, s11
	v_cmp_lt_u64_e64 s4, s[8:9], s[10:11]
	s_and_b32 s4, s4, exec_lo
	s_cselect_b32 s23, s8, s10
.LBB732_3:
	s_lshr_b64 s[24:25], s[8:9], 10
	v_mov_b32_e32 v1, 0
	s_cmp_lg_u64 s[24:25], s[18:19]
	s_cselect_b32 s4, -1, 0
	s_sub_u32 s10, s5, s12
	s_subb_u32 s11, s7, s13
	global_load_dword v2, v1, s[20:21] offset:14
	v_cmp_lt_u64_e64 s5, s[8:9], s[10:11]
	s_and_b32 s5, s5, exec_lo
	s_cselect_b32 s26, s9, s11
	s_cselect_b32 s9, s8, s10
	s_sub_i32 s5, s14, s12
	s_sub_i32 s7, s23, s9
	s_add_u32 s11, s0, s12
	s_addc_u32 s12, s1, s13
	s_add_u32 s9, s0, s9
	s_addc_u32 s10, s1, s26
	s_cmp_lt_u32 s6, s22
	s_cselect_b32 s0, 12, 18
	s_add_u32 s0, s20, s0
	s_addc_u32 s1, s21, 0
	s_cmp_eq_u64 s[24:25], s[18:19]
	global_load_ushort v1, v1, s[0:1]
	s_waitcnt vmcnt(1)
	v_lshrrev_b32_e32 v3, 16, v2
	v_and_b32_e32 v2, 0xffff, v2
	v_mul_lo_u32 v2, v2, v3
	s_waitcnt vmcnt(0)
	v_mul_lo_u32 v3, v2, v1
	v_add_nc_u32_e32 v6, v3, v0
	v_add_nc_u32_e32 v4, v6, v3
	s_cbranch_scc1 .LBB732_5
; %bb.4:
	v_sub_co_u32 v5, vcc_lo, v0, s5
	v_add_co_u32 v1, s0, s11, v0
	v_add_co_ci_u32_e64 v2, null, s12, 0, s0
	v_add_co_u32 v5, s0, s9, v5
	v_add_co_ci_u32_e64 v7, null, s10, 0, s0
	;; [unrolled: 2-line block ×3, first 2 shown]
	v_sub_co_u32 v10, s0, v6, s5
	v_cndmask_b32_e32 v1, v5, v1, vcc_lo
	v_cndmask_b32_e32 v2, v7, v2, vcc_lo
	v_sub_co_u32 v12, vcc_lo, v4, s5
	v_add_co_u32 v5, s1, s9, v10
	v_add_co_ci_u32_e64 v7, null, s10, 0, s1
	v_add_co_u32 v11, s1, s11, v4
	v_add_co_ci_u32_e64 v10, null, s12, 0, s1
	v_cndmask_b32_e64 v8, v7, v8, s0
	v_cndmask_b32_e64 v7, v5, v9, s0
	v_add_nc_u32_e32 v5, v4, v3
	v_add_co_u32 v9, s0, s9, v12
	v_add_co_ci_u32_e64 v12, null, s10, 0, s0
	v_add_co_u32 v13, s0, s11, v5
	v_add_co_ci_u32_e64 v14, null, s12, 0, s0
	v_sub_co_u32 v15, s0, v5, s5
	v_add_nc_u32_e32 v5, v5, v3
	v_cndmask_b32_e32 v9, v9, v11, vcc_lo
	v_cndmask_b32_e32 v10, v12, v10, vcc_lo
	v_add_co_u32 v11, s1, s9, v15
	v_add_co_ci_u32_e64 v12, null, s10, 0, s1
	v_add_co_u32 v15, s1, s11, v5
	v_sub_co_u32 v17, vcc_lo, v5, s5
	v_add_nc_u32_e32 v5, v5, v3
	v_cndmask_b32_e64 v12, v12, v14, s0
	v_cndmask_b32_e64 v11, v11, v13, s0
	v_add_co_u32 v13, s0, s9, v17
	v_add_nc_u32_e32 v19, v5, v3
	v_add_co_ci_u32_e64 v14, null, s10, 0, s0
	v_add_co_u32 v17, s0, s11, v5
	v_add_co_ci_u32_e64 v16, null, s12, 0, s1
	v_add_co_ci_u32_e64 v18, null, s12, 0, s0
	v_sub_co_u32 v5, s0, v5, s5
	v_add_co_u32 v20, s1, s11, v19
	v_add_co_ci_u32_e64 v21, null, s12, 0, s1
	v_sub_co_u32 v22, s1, v19, s5
	v_add_co_u32 v5, s6, s9, v5
	v_add_co_ci_u32_e64 v23, null, s10, 0, s6
	v_add_co_u32 v22, s6, s9, v22
	v_add_co_ci_u32_e64 v24, null, s10, 0, s6
	v_cndmask_b32_e32 v14, v14, v16, vcc_lo
	v_cndmask_b32_e32 v13, v13, v15, vcc_lo
	v_cndmask_b32_e64 v16, v23, v18, s0
	v_cndmask_b32_e64 v15, v5, v17, s0
	;; [unrolled: 1-line block ×4, first 2 shown]
	global_load_ubyte v1, v[1:2], off
	global_load_ubyte v2, v[7:8], off
	;; [unrolled: 1-line block ×7, first 2 shown]
	s_add_i32 s0, s5, s7
	s_mov_b32 s19, -1
	s_waitcnt vmcnt(5)
	v_perm_b32 v1, v1, v2, 0xc0c0004
	s_waitcnt vmcnt(3)
	v_perm_b32 v2, v5, v7, 0xc0c0004
	v_add_nc_u32_e32 v7, v19, v3
	s_waitcnt vmcnt(1)
	v_perm_b32 v5, v8, v9, 0xc0c0004
	v_lshl_or_b32 v1, v2, 16, v1
	s_waitcnt vmcnt(0)
	v_lshl_or_b32 v2, v10, 16, v5
	v_mov_b32_e32 v5, s0
	s_cbranch_execz .LBB732_6
	s_branch .LBB732_19
.LBB732_5:
                                        ; implicit-def: $vgpr7
                                        ; implicit-def: $vgpr1_vgpr2
                                        ; implicit-def: $vgpr5
	s_andn2_b32 vcc_lo, exec_lo, s15
	s_cbranch_vccnz .LBB732_19
.LBB732_6:
	v_mov_b32_e32 v1, 0
	s_add_i32 s0, s5, s7
	s_mov_b32 s6, 0
	s_mov_b32 s1, exec_lo
	v_mov_b32_e32 v2, v1
	v_cmpx_gt_u32_e64 s0, v0
	s_cbranch_execnz .LBB732_82
; %bb.7:
	s_or_b32 exec_lo, exec_lo, s1
	s_mov_b32 s1, exec_lo
	v_cmpx_gt_u32_e64 s0, v6
	s_cbranch_execnz .LBB732_83
.LBB732_8:
	s_or_b32 exec_lo, exec_lo, s1
	s_mov_b32 s1, exec_lo
	v_cmpx_gt_u32_e64 s0, v4
	s_cbranch_execz .LBB732_10
.LBB732_9:
	v_sub_co_u32 v7, vcc_lo, v4, s5
	v_add_co_u32 v5, s6, s11, v4
	v_add_co_ci_u32_e64 v6, null, s12, 0, s6
	v_add_co_u32 v7, s6, s9, v7
	v_add_co_ci_u32_e64 v8, null, s10, 0, s6
	v_cndmask_b32_e32 v5, v7, v5, vcc_lo
	v_cndmask_b32_e32 v6, v8, v6, vcc_lo
	global_load_ubyte v5, v[5:6], off
	s_waitcnt vmcnt(0)
	v_perm_b32 v5, v5, v1, 0xc0c0304
	v_lshlrev_b32_e32 v5, 16, v5
	v_and_or_b32 v1, 0xffff, v1, v5
.LBB732_10:
	s_or_b32 exec_lo, exec_lo, s1
	v_add_nc_u32_e32 v4, v4, v3
	s_mov_b32 s1, exec_lo
	v_cmpx_gt_u32_e64 s0, v4
	s_cbranch_execz .LBB732_12
; %bb.11:
	v_sub_co_u32 v7, vcc_lo, v4, s5
	v_add_co_u32 v5, s6, s11, v4
	v_add_co_ci_u32_e64 v6, null, s12, 0, s6
	v_add_co_u32 v7, s6, s9, v7
	v_add_co_ci_u32_e64 v8, null, s10, 0, s6
	v_cndmask_b32_e32 v5, v7, v5, vcc_lo
	v_cndmask_b32_e32 v6, v8, v6, vcc_lo
	global_load_ubyte v5, v[5:6], off
	s_waitcnt vmcnt(0)
	v_perm_b32 v5, v1, v5, 0xc0c0006
	v_lshlrev_b32_e32 v5, 16, v5
	v_and_or_b32 v1, 0xffff, v1, v5
.LBB732_12:
	s_or_b32 exec_lo, exec_lo, s1
	v_add_nc_u32_e32 v4, v4, v3
	s_mov_b32 s1, exec_lo
	v_cmpx_gt_u32_e64 s0, v4
	s_cbranch_execz .LBB732_14
; %bb.13:
	v_sub_co_u32 v7, vcc_lo, v4, s5
	v_add_co_u32 v5, s6, s11, v4
	v_add_co_ci_u32_e64 v6, null, s12, 0, s6
	v_add_co_u32 v7, s6, s9, v7
	v_add_co_ci_u32_e64 v8, null, s10, 0, s6
	v_cndmask_b32_e32 v5, v7, v5, vcc_lo
	v_cndmask_b32_e32 v6, v8, v6, vcc_lo
	global_load_ubyte v5, v[5:6], off
	s_waitcnt vmcnt(0)
	v_perm_b32 v2, v5, v2, 0x3020104
.LBB732_14:
	s_or_b32 exec_lo, exec_lo, s1
	v_add_nc_u32_e32 v4, v4, v3
	s_mov_b32 s1, exec_lo
	v_cmpx_gt_u32_e64 s0, v4
	s_cbranch_execz .LBB732_16
; %bb.15:
	v_sub_co_u32 v7, vcc_lo, v4, s5
	v_add_co_u32 v5, s6, s11, v4
	v_add_co_ci_u32_e64 v6, null, s12, 0, s6
	v_add_co_u32 v7, s6, s9, v7
	v_add_co_ci_u32_e64 v8, null, s10, 0, s6
	v_cndmask_b32_e32 v5, v7, v5, vcc_lo
	v_cndmask_b32_e32 v6, v8, v6, vcc_lo
	global_load_ubyte v5, v[5:6], off
	s_waitcnt vmcnt(0)
	v_perm_b32 v2, v2, v5, 0x7060004
.LBB732_16:
	;; [unrolled: 17-line block ×3, first 2 shown]
	s_or_b32 exec_lo, exec_lo, s1
	v_add_nc_u32_e32 v7, v4, v3
	v_mov_b32_e32 v5, s0
	v_cmp_gt_u32_e64 s19, s0, v7
.LBB732_19:
	s_and_saveexec_b32 s0, s19
	s_cbranch_execz .LBB732_21
; %bb.20:
	v_sub_co_u32 v6, vcc_lo, v7, s5
	v_add_co_u32 v3, s1, s11, v7
	v_add_co_ci_u32_e64 v4, null, s12, 0, s1
	v_add_co_u32 v6, s1, s9, v6
	v_add_co_ci_u32_e64 v7, null, s10, 0, s1
	v_cndmask_b32_e32 v3, v6, v3, vcc_lo
	v_cndmask_b32_e32 v4, v7, v4, vcc_lo
	global_load_ubyte v3, v[3:4], off
	s_waitcnt vmcnt(0)
	v_perm_b32 v2, v2, v3, 0x60504
.LBB732_21:
	s_or_b32 exec_lo, exec_lo, s0
	v_lshlrev_b32_e32 v6, 3, v0
	v_lshrrev_b64 v[3:4], 24, v[1:2]
	v_lshrrev_b32_e32 v7, 8, v1
	v_lshrrev_b32_e32 v9, 16, v1
	v_lshrrev_b32_e32 v14, 8, v2
	v_min_u32_e32 v10, v5, v6
	v_lshrrev_b32_e32 v4, 16, v2
	v_lshrrev_b32_e32 v13, 24, v2
	s_mov_b32 s0, exec_lo
	ds_write_b8 v0, v1
	ds_write_b8 v0, v7 offset:128
	v_sub_nc_u32_e64 v8, v10, s7 clamp
	v_min_u32_e32 v11, s5, v10
	ds_write_b8 v0, v9 offset:256
	ds_write_b8 v0, v3 offset:384
	;; [unrolled: 1-line block ×6, first 2 shown]
	s_waitcnt lgkmcnt(0)
	s_barrier
	buffer_gl0_inv
	v_cmpx_lt_u32_e64 v8, v11
	s_cbranch_execz .LBB732_25
; %bb.22:
	v_add_nc_u32_e32 v12, s5, v10
	s_mov_b32 s1, 0
	.p2align	6
.LBB732_23:                             ; =>This Inner Loop Header: Depth=1
	v_add_nc_u32_e32 v15, v11, v8
	v_lshrrev_b32_e32 v15, 1, v15
	v_xad_u32 v16, v15, -1, v12
	v_add_nc_u32_e32 v18, 1, v15
	ds_read_u8 v17, v15
	ds_read_u8 v16, v16
	s_waitcnt lgkmcnt(1)
	v_mul_lo_u16 v17, 0xcd, v17
	s_waitcnt lgkmcnt(0)
	v_mul_lo_u16 v16, 0xcd, v16
	v_lshrrev_b16 v17, 11, v17
	v_lshrrev_b16 v16, 11, v16
	v_cmp_lt_u16_e32 vcc_lo, v16, v17
	v_cndmask_b32_e32 v11, v11, v15, vcc_lo
	v_cndmask_b32_e32 v8, v18, v8, vcc_lo
	v_cmp_ge_u32_e32 vcc_lo, v8, v11
	s_or_b32 s1, vcc_lo, s1
	s_andn2_b32 exec_lo, exec_lo, s1
	s_cbranch_execnz .LBB732_23
; %bb.24:
	s_or_b32 exec_lo, exec_lo, s1
.LBB732_25:
	s_or_b32 exec_lo, exec_lo, s0
	v_sub_nc_u32_e32 v10, v10, v8
	v_cmp_ge_u32_e32 vcc_lo, s5, v8
	v_add_nc_u32_e32 v10, s5, v10
	v_cmp_le_u32_e64 s0, v10, v5
	s_or_b32 s0, vcc_lo, s0
	s_and_saveexec_b32 s1, s0
	s_cbranch_execz .LBB732_61
; %bb.26:
	s_mov_b32 s6, exec_lo
	v_cmp_le_u32_e32 vcc_lo, s5, v8
                                        ; implicit-def: $vgpr1
	v_cmpx_gt_u32_e64 s5, v8
; %bb.27:
	ds_read_u8 v1, v8
; %bb.28:
	s_or_b32 exec_lo, exec_lo, s6
	v_cmp_ge_u32_e64 s6, v10, v5
	s_mov_b32 s7, exec_lo
                                        ; implicit-def: $vgpr4
	v_cmpx_lt_u32_e64 v10, v5
; %bb.29:
	ds_read_u8 v4, v10
; %bb.30:
	s_or_b32 exec_lo, exec_lo, s7
	s_nor_b32 s7, vcc_lo, s6
	s_and_saveexec_b32 s0, s7
	s_cbranch_execz .LBB732_32
; %bb.31:
	s_waitcnt lgkmcnt(0)
	v_and_b32_e32 v2, 0xff, v4
	v_and_b32_e32 v3, 0xff, v1
	s_andn2_b32 s6, s6, exec_lo
	v_mul_lo_u16 v2, 0xcd, v2
	v_mul_lo_u16 v3, 0xcd, v3
	v_lshrrev_b16 v2, 11, v2
	v_lshrrev_b16 v3, 11, v3
	v_cmp_ge_u16_e32 vcc_lo, v2, v3
	s_and_b32 s7, vcc_lo, exec_lo
	s_or_b32 s6, s6, s7
.LBB732_32:
	s_or_b32 exec_lo, exec_lo, s0
	v_cndmask_b32_e64 v2, v10, v8, s6
	v_cndmask_b32_e64 v3, v5, s5, s6
	s_mov_b32 s7, -1
	s_mov_b32 s0, -1
	s_mov_b32 s9, exec_lo
	v_add_nc_u32_e32 v7, 1, v2
	v_add_nc_u32_e32 v2, -1, v3
	v_cndmask_b32_e64 v3, v8, v7, s6
	v_min_u32_e32 v2, v7, v2
	ds_read_u8 v9, v2
	v_cndmask_b32_e64 v2, v7, v10, s6
	s_waitcnt lgkmcnt(0)
	v_cndmask_b32_e64 v7, v9, v4, s6
	v_cndmask_b32_e64 v8, v1, v9, s6
	v_cmpx_lt_u32_e64 v2, v5
	s_cbranch_execz .LBB732_36
; %bb.33:
	s_mov_b32 s10, 0
	s_mov_b32 s0, exec_lo
	v_cmpx_gt_u32_e64 s5, v3
	s_cbranch_execz .LBB732_35
; %bb.34:
	v_and_b32_e32 v9, 0xff, v7
	v_and_b32_e32 v10, 0xff, v8
	v_mul_lo_u16 v9, 0xcd, v9
	v_mul_lo_u16 v10, 0xcd, v10
	v_lshrrev_b16 v9, 11, v9
	v_lshrrev_b16 v10, 11, v10
	v_cmp_ge_u16_e32 vcc_lo, v9, v10
	s_and_b32 s10, vcc_lo, exec_lo
.LBB732_35:
	s_or_b32 exec_lo, exec_lo, s0
	s_orn2_b32 s0, s10, exec_lo
.LBB732_36:
	s_or_b32 exec_lo, exec_lo, s9
	v_cndmask_b32_e64 v9, v2, v3, s0
	v_cndmask_b32_e64 v10, v5, s5, s0
	s_mov_b32 s9, exec_lo
	v_add_nc_u32_e32 v9, 1, v9
	v_add_nc_u32_e32 v10, -1, v10
	v_cndmask_b32_e64 v2, v9, v2, s0
	v_min_u32_e32 v10, v9, v10
	v_cndmask_b32_e64 v3, v3, v9, s0
	ds_read_u8 v10, v10
	s_waitcnt lgkmcnt(0)
	v_cndmask_b32_e64 v9, v10, v7, s0
	v_cndmask_b32_e64 v10, v8, v10, s0
	v_cmpx_lt_u32_e64 v2, v5
	s_cbranch_execz .LBB732_40
; %bb.37:
	s_mov_b32 s10, 0
	s_mov_b32 s7, exec_lo
	v_cmpx_gt_u32_e64 s5, v3
	s_cbranch_execz .LBB732_39
; %bb.38:
	v_and_b32_e32 v11, 0xff, v9
	v_and_b32_e32 v12, 0xff, v10
	v_mul_lo_u16 v11, 0xcd, v11
	v_mul_lo_u16 v12, 0xcd, v12
	v_lshrrev_b16 v11, 11, v11
	v_lshrrev_b16 v12, 11, v12
	v_cmp_ge_u16_e32 vcc_lo, v11, v12
	s_and_b32 s10, vcc_lo, exec_lo
.LBB732_39:
	s_or_b32 exec_lo, exec_lo, s7
	s_orn2_b32 s7, s10, exec_lo
.LBB732_40:
	s_or_b32 exec_lo, exec_lo, s9
	v_cndmask_b32_e64 v11, v2, v3, s7
	v_cndmask_b32_e64 v12, v5, s5, s7
	s_mov_b32 s10, -1
	s_mov_b32 s9, -1
	s_mov_b32 s11, exec_lo
	v_add_nc_u32_e32 v11, 1, v11
	v_add_nc_u32_e32 v12, -1, v12
	v_cndmask_b32_e64 v2, v11, v2, s7
	v_min_u32_e32 v12, v11, v12
	ds_read_u8 v13, v12
	v_cndmask_b32_e64 v12, v3, v11, s7
	s_waitcnt lgkmcnt(0)
	v_cndmask_b32_e64 v3, v13, v9, s7
	v_cndmask_b32_e64 v11, v10, v13, s7
	v_cmpx_lt_u32_e64 v2, v5
	s_cbranch_execz .LBB732_44
; %bb.41:
	s_mov_b32 s12, 0
	s_mov_b32 s9, exec_lo
	v_cmpx_gt_u32_e64 s5, v12
	s_cbranch_execz .LBB732_43
; %bb.42:
	v_and_b32_e32 v13, 0xff, v3
	v_and_b32_e32 v14, 0xff, v11
	v_mul_lo_u16 v13, 0xcd, v13
	v_mul_lo_u16 v14, 0xcd, v14
	v_lshrrev_b16 v13, 11, v13
	v_lshrrev_b16 v14, 11, v14
	v_cmp_ge_u16_e32 vcc_lo, v13, v14
	s_and_b32 s12, vcc_lo, exec_lo
.LBB732_43:
	s_or_b32 exec_lo, exec_lo, s9
	s_orn2_b32 s9, s12, exec_lo
.LBB732_44:
	s_or_b32 exec_lo, exec_lo, s11
	v_cndmask_b32_e64 v13, v2, v12, s9
	v_cndmask_b32_e64 v14, v5, s5, s9
	s_mov_b32 s11, exec_lo
	v_add_nc_u32_e32 v15, 1, v13
	v_add_nc_u32_e32 v13, -1, v14
	v_cndmask_b32_e64 v14, v12, v15, s9
	v_min_u32_e32 v13, v15, v13
	ds_read_u8 v16, v13
	v_cndmask_b32_e64 v13, v15, v2, s9
	s_waitcnt lgkmcnt(0)
	v_cndmask_b32_e64 v2, v16, v3, s9
	v_cndmask_b32_e64 v12, v11, v16, s9
	v_cmpx_lt_u32_e64 v13, v5
	s_cbranch_execz .LBB732_48
; %bb.45:
	s_mov_b32 s12, 0
	s_mov_b32 s10, exec_lo
	v_cmpx_gt_u32_e64 s5, v14
	s_cbranch_execz .LBB732_47
; %bb.46:
	v_and_b32_e32 v15, 0xff, v2
	v_and_b32_e32 v16, 0xff, v12
	v_mul_lo_u16 v15, 0xcd, v15
	v_mul_lo_u16 v16, 0xcd, v16
	v_lshrrev_b16 v15, 11, v15
	v_lshrrev_b16 v16, 11, v16
	v_cmp_ge_u16_e32 vcc_lo, v15, v16
	s_and_b32 s12, vcc_lo, exec_lo
.LBB732_47:
	s_or_b32 exec_lo, exec_lo, s10
	s_orn2_b32 s10, s12, exec_lo
.LBB732_48:
	s_or_b32 exec_lo, exec_lo, s11
	v_cndmask_b32_e64 v15, v13, v14, s10
	v_cndmask_b32_e64 v16, v5, s5, s10
	s_mov_b32 s11, -1
	s_mov_b32 s12, -1
	s_mov_b32 s13, exec_lo
	v_add_nc_u32_e32 v15, 1, v15
	v_add_nc_u32_e32 v16, -1, v16
	v_cndmask_b32_e64 v13, v15, v13, s10
	v_min_u32_e32 v16, v15, v16
	ds_read_u8 v17, v16
	v_cndmask_b32_e64 v16, v14, v15, s10
	s_waitcnt lgkmcnt(0)
	v_cndmask_b32_e64 v14, v17, v2, s10
	v_cndmask_b32_e64 v15, v12, v17, s10
	v_cmpx_lt_u32_e64 v13, v5
	s_cbranch_execz .LBB732_52
; %bb.49:
	s_mov_b32 s14, 0
	s_mov_b32 s12, exec_lo
	v_cmpx_gt_u32_e64 s5, v16
	s_cbranch_execz .LBB732_51
; %bb.50:
	v_and_b32_e32 v17, 0xff, v14
	v_and_b32_e32 v18, 0xff, v15
	v_mul_lo_u16 v17, 0xcd, v17
	v_mul_lo_u16 v18, 0xcd, v18
	v_lshrrev_b16 v17, 11, v17
	v_lshrrev_b16 v18, 11, v18
	v_cmp_ge_u16_e32 vcc_lo, v17, v18
	s_and_b32 s14, vcc_lo, exec_lo
.LBB732_51:
	s_or_b32 exec_lo, exec_lo, s12
	s_orn2_b32 s12, s14, exec_lo
.LBB732_52:
	s_or_b32 exec_lo, exec_lo, s13
	v_cndmask_b32_e64 v17, v13, v16, s12
	v_cndmask_b32_e64 v18, v5, s5, s12
	s_mov_b32 s13, exec_lo
	v_add_nc_u32_e32 v17, 1, v17
	v_add_nc_u32_e32 v18, -1, v18
	v_cndmask_b32_e64 v13, v17, v13, s12
	v_min_u32_e32 v18, v17, v18
	ds_read_u8 v19, v18
	v_cndmask_b32_e64 v18, v16, v17, s12
	s_waitcnt lgkmcnt(0)
	v_cndmask_b32_e64 v16, v19, v14, s12
	v_cndmask_b32_e64 v17, v15, v19, s12
	v_cmpx_lt_u32_e64 v13, v5
	s_cbranch_execz .LBB732_56
; %bb.53:
	s_mov_b32 s14, 0
	s_mov_b32 s11, exec_lo
	v_cmpx_gt_u32_e64 s5, v18
	s_cbranch_execz .LBB732_55
; %bb.54:
	v_and_b32_e32 v19, 0xff, v16
	v_and_b32_e32 v20, 0xff, v17
	v_mul_lo_u16 v19, 0xcd, v19
	v_mul_lo_u16 v20, 0xcd, v20
	v_lshrrev_b16 v19, 11, v19
	v_lshrrev_b16 v20, 11, v20
	v_cmp_ge_u16_e32 vcc_lo, v19, v20
	s_and_b32 s14, vcc_lo, exec_lo
.LBB732_55:
	s_or_b32 exec_lo, exec_lo, s11
	s_orn2_b32 s11, s14, exec_lo
.LBB732_56:
	s_or_b32 exec_lo, exec_lo, s13
	v_cndmask_b32_e64 v19, v13, v18, s11
	v_cndmask_b32_e64 v20, v5, s5, s11
	s_mov_b32 s13, exec_lo
	v_add_nc_u32_e32 v19, 1, v19
	v_add_nc_u32_e32 v20, -1, v20
	v_cndmask_b32_e64 v21, v19, v13, s11
	v_min_u32_e32 v20, v19, v20
	ds_read_u8 v20, v20
	s_waitcnt lgkmcnt(0)
	v_cndmask_b32_e64 v13, v17, v20, s11
	v_cmpx_lt_u32_e64 v21, v5
	s_cbranch_execz .LBB732_60
; %bb.57:
	v_cndmask_b32_e64 v18, v18, v19, s11
	v_cndmask_b32_e64 v5, v20, v16, s11
	v_cmp_gt_u32_e32 vcc_lo, s5, v18
	s_and_saveexec_b32 s5, vcc_lo
	s_cbranch_execz .LBB732_59
; %bb.58:
	v_and_b32_e32 v18, 0xff, v5
	v_and_b32_e32 v19, 0xff, v13
	v_mul_lo_u16 v18, 0xcd, v18
	v_mul_lo_u16 v19, 0xcd, v19
	v_lshrrev_b16 v18, 11, v18
	v_lshrrev_b16 v19, 11, v19
	v_cmp_lt_u16_e32 vcc_lo, v18, v19
	v_cndmask_b32_e32 v5, v13, v5, vcc_lo
.LBB732_59:
	s_or_b32 exec_lo, exec_lo, s5
	v_mov_b32_e32 v13, v5
.LBB732_60:
	s_or_b32 exec_lo, exec_lo, s13
	v_cndmask_b32_e64 v14, v14, v15, s12
	v_cndmask_b32_e64 v2, v2, v12, s10
	;; [unrolled: 1-line block ×7, first 2 shown]
.LBB732_61:
	s_or_b32 exec_lo, exec_lo, s1
	v_lshrrev_b32_e32 v5, 2, v0
	v_perm_b32 v2, v2, v14, 0xc0c0004
	v_perm_b32 v4, v4, v13, 0xc0c0004
	v_perm_b32 v1, v1, v7, 0xc0c0004
	v_perm_b32 v3, v9, v3, 0xc0c0004
	v_and_b32_e32 v5, 28, v5
	s_add_u32 s0, s2, s16
	v_lshl_or_b32 v2, v4, 16, v2
	v_lshl_or_b32 v1, v3, 16, v1
	v_add_nc_u32_e32 v5, v5, v6
	s_barrier
	buffer_gl0_inv
	s_barrier
	buffer_gl0_inv
	s_addc_u32 s1, s3, s17
	ds_write2_b32 v5, v1, v2 offset1:1
	v_add_co_u32 v1, s0, s0, v0
	v_add_co_ci_u32_e64 v2, null, s1, 0, s0
	v_add_nc_u32_e32 v4, 4, v0
	v_add_nc_u32_e32 v5, 8, v0
	;; [unrolled: 1-line block ×7, first 2 shown]
	s_and_b32 vcc_lo, exec_lo, s4
	s_waitcnt lgkmcnt(0)
	s_cbranch_vccz .LBB732_63
; %bb.62:
	s_barrier
	buffer_gl0_inv
	ds_read_u8 v11, v0
	ds_read_u8 v12, v4 offset:128
	ds_read_u8 v13, v5 offset:256
	;; [unrolled: 1-line block ×7, first 2 shown]
	s_mov_b32 s0, -1
	s_waitcnt lgkmcnt(7)
	global_store_byte v[1:2], v11, off
	s_waitcnt lgkmcnt(6)
	global_store_byte v[1:2], v12, off offset:128
	s_waitcnt lgkmcnt(5)
	global_store_byte v[1:2], v13, off offset:256
	;; [unrolled: 2-line block ×6, first 2 shown]
	s_cbranch_execz .LBB732_64
	s_branch .LBB732_79
.LBB732_63:
	s_mov_b32 s0, 0
                                        ; implicit-def: $vgpr3
.LBB732_64:
	s_barrier
	s_waitcnt lgkmcnt(0)
	s_waitcnt_vscnt null, 0x0
	buffer_gl0_inv
	ds_read_u8 v13, v4 offset:128
	ds_read_u8 v12, v5 offset:256
	;; [unrolled: 1-line block ×7, first 2 shown]
	v_or_b32_e32 v7, 0x80, v0
	s_sub_i32 s0, s8, s16
	s_mov_b32 s1, exec_lo
	v_cmpx_gt_u32_e64 s0, v0
	s_cbranch_execz .LBB732_66
; %bb.65:
	ds_read_u8 v8, v0
	s_waitcnt lgkmcnt(0)
	global_store_byte v[1:2], v8, off
.LBB732_66:
	s_or_b32 exec_lo, exec_lo, s1
	v_or_b32_e32 v8, 0x100, v0
	s_mov_b32 s1, exec_lo
	v_cmpx_gt_u32_e64 s0, v7
	s_cbranch_execz .LBB732_68
; %bb.67:
	s_waitcnt lgkmcnt(6)
	global_store_byte v[1:2], v13, off offset:128
.LBB732_68:
	s_or_b32 exec_lo, exec_lo, s1
	v_or_b32_e32 v7, 0x180, v0
	s_mov_b32 s1, exec_lo
	v_cmpx_gt_u32_e64 s0, v8
	s_cbranch_execz .LBB732_70
; %bb.69:
	s_waitcnt lgkmcnt(5)
	global_store_byte v[1:2], v12, off offset:256
.LBB732_70:
	;; [unrolled: 9-line block ×4, first 2 shown]
	s_or_b32 exec_lo, exec_lo, s1
	s_waitcnt lgkmcnt(3)
	v_or_b32_e32 v6, 0x300, v0
	s_mov_b32 s1, exec_lo
	v_cmpx_gt_u32_e64 s0, v7
	s_cbranch_execz .LBB732_76
; %bb.75:
	s_waitcnt lgkmcnt(2)
	global_store_byte v[1:2], v5, off offset:640
.LBB732_76:
	s_or_b32 exec_lo, exec_lo, s1
	v_or_b32_e32 v0, 0x380, v0
	s_mov_b32 s1, exec_lo
	v_cmpx_gt_u32_e64 s0, v6
	s_cbranch_execz .LBB732_78
; %bb.77:
	s_waitcnt lgkmcnt(1)
	global_store_byte v[1:2], v4, off offset:768
.LBB732_78:
	s_or_b32 exec_lo, exec_lo, s1
	v_cmp_gt_u32_e64 s0, s0, v0
.LBB732_79:
	s_and_saveexec_b32 s1, s0
	s_cbranch_execz .LBB732_81
; %bb.80:
	s_waitcnt lgkmcnt(0)
	global_store_byte v[1:2], v3, off offset:896
.LBB732_81:
	s_endpgm
.LBB732_82:
	v_sub_co_u32 v5, vcc_lo, v0, s5
	v_add_co_u32 v1, s13, s11, v0
	v_add_co_ci_u32_e64 v2, null, s12, 0, s13
	v_add_co_u32 v5, s13, s9, v5
	v_add_co_ci_u32_e64 v7, null, s10, 0, s13
	v_cndmask_b32_e32 v1, v5, v1, vcc_lo
	v_cndmask_b32_e32 v2, v7, v2, vcc_lo
	global_load_ubyte v1, v[1:2], off
	v_mov_b32_e32 v2, s6
	s_waitcnt vmcnt(0)
	v_and_b32_e32 v1, 0xffff, v1
	s_or_b32 exec_lo, exec_lo, s1
	s_mov_b32 s1, exec_lo
	v_cmpx_gt_u32_e64 s0, v6
	s_cbranch_execz .LBB732_8
.LBB732_83:
	v_add_co_u32 v5, s6, s11, v6
	v_sub_co_u32 v6, vcc_lo, v6, s5
	v_add_co_ci_u32_e64 v7, null, s12, 0, s6
	v_add_co_u32 v8, s6, s9, v6
	v_add_co_ci_u32_e64 v6, null, s10, 0, s6
	v_cndmask_b32_e32 v5, v8, v5, vcc_lo
	v_cndmask_b32_e32 v6, v6, v7, vcc_lo
	global_load_ubyte v5, v[5:6], off
	s_waitcnt vmcnt(0)
	v_perm_b32 v1, v1, v5, 0x7060004
	s_or_b32 exec_lo, exec_lo, s1
	s_mov_b32 s1, exec_lo
	v_cmpx_gt_u32_e64 s0, v4
	s_cbranch_execnz .LBB732_9
	s_branch .LBB732_10
	.section	.rodata,"a",@progbits
	.p2align	6, 0x0
	.amdhsa_kernel _ZN7rocprim17ROCPRIM_400000_NS6detail17trampoline_kernelINS0_14default_configENS1_38merge_sort_block_merge_config_selectorIhNS0_10empty_typeEEEZZNS1_27merge_sort_block_merge_implIS3_N6thrust23THRUST_200600_302600_NS6detail15normal_iteratorINS9_10device_ptrIhEEEEPS5_m11less_div_10IhEEE10hipError_tT0_T1_T2_jT3_P12ihipStream_tbPNSt15iterator_traitsISJ_E10value_typeEPNSP_ISK_E10value_typeEPSL_NS1_7vsmem_tEENKUlT_SJ_SK_SL_E_clISE_PhSF_SF_EESI_SY_SJ_SK_SL_EUlSY_E0_NS1_11comp_targetILNS1_3genE8ELNS1_11target_archE1030ELNS1_3gpuE2ELNS1_3repE0EEENS1_38merge_mergepath_config_static_selectorELNS0_4arch9wavefront6targetE0EEEvSK_
		.amdhsa_group_segment_fixed_size 1056
		.amdhsa_private_segment_fixed_size 0
		.amdhsa_kernarg_size 328
		.amdhsa_user_sgpr_count 6
		.amdhsa_user_sgpr_private_segment_buffer 1
		.amdhsa_user_sgpr_dispatch_ptr 0
		.amdhsa_user_sgpr_queue_ptr 0
		.amdhsa_user_sgpr_kernarg_segment_ptr 1
		.amdhsa_user_sgpr_dispatch_id 0
		.amdhsa_user_sgpr_flat_scratch_init 0
		.amdhsa_user_sgpr_private_segment_size 0
		.amdhsa_wavefront_size32 1
		.amdhsa_uses_dynamic_stack 0
		.amdhsa_system_sgpr_private_segment_wavefront_offset 0
		.amdhsa_system_sgpr_workgroup_id_x 1
		.amdhsa_system_sgpr_workgroup_id_y 1
		.amdhsa_system_sgpr_workgroup_id_z 1
		.amdhsa_system_sgpr_workgroup_info 0
		.amdhsa_system_vgpr_workitem_id 0
		.amdhsa_next_free_vgpr 25
		.amdhsa_next_free_sgpr 31
		.amdhsa_reserve_vcc 1
		.amdhsa_reserve_flat_scratch 0
		.amdhsa_float_round_mode_32 0
		.amdhsa_float_round_mode_16_64 0
		.amdhsa_float_denorm_mode_32 3
		.amdhsa_float_denorm_mode_16_64 3
		.amdhsa_dx10_clamp 1
		.amdhsa_ieee_mode 1
		.amdhsa_fp16_overflow 0
		.amdhsa_workgroup_processor_mode 1
		.amdhsa_memory_ordered 1
		.amdhsa_forward_progress 1
		.amdhsa_shared_vgpr_count 0
		.amdhsa_exception_fp_ieee_invalid_op 0
		.amdhsa_exception_fp_denorm_src 0
		.amdhsa_exception_fp_ieee_div_zero 0
		.amdhsa_exception_fp_ieee_overflow 0
		.amdhsa_exception_fp_ieee_underflow 0
		.amdhsa_exception_fp_ieee_inexact 0
		.amdhsa_exception_int_div_zero 0
	.end_amdhsa_kernel
	.section	.text._ZN7rocprim17ROCPRIM_400000_NS6detail17trampoline_kernelINS0_14default_configENS1_38merge_sort_block_merge_config_selectorIhNS0_10empty_typeEEEZZNS1_27merge_sort_block_merge_implIS3_N6thrust23THRUST_200600_302600_NS6detail15normal_iteratorINS9_10device_ptrIhEEEEPS5_m11less_div_10IhEEE10hipError_tT0_T1_T2_jT3_P12ihipStream_tbPNSt15iterator_traitsISJ_E10value_typeEPNSP_ISK_E10value_typeEPSL_NS1_7vsmem_tEENKUlT_SJ_SK_SL_E_clISE_PhSF_SF_EESI_SY_SJ_SK_SL_EUlSY_E0_NS1_11comp_targetILNS1_3genE8ELNS1_11target_archE1030ELNS1_3gpuE2ELNS1_3repE0EEENS1_38merge_mergepath_config_static_selectorELNS0_4arch9wavefront6targetE0EEEvSK_,"axG",@progbits,_ZN7rocprim17ROCPRIM_400000_NS6detail17trampoline_kernelINS0_14default_configENS1_38merge_sort_block_merge_config_selectorIhNS0_10empty_typeEEEZZNS1_27merge_sort_block_merge_implIS3_N6thrust23THRUST_200600_302600_NS6detail15normal_iteratorINS9_10device_ptrIhEEEEPS5_m11less_div_10IhEEE10hipError_tT0_T1_T2_jT3_P12ihipStream_tbPNSt15iterator_traitsISJ_E10value_typeEPNSP_ISK_E10value_typeEPSL_NS1_7vsmem_tEENKUlT_SJ_SK_SL_E_clISE_PhSF_SF_EESI_SY_SJ_SK_SL_EUlSY_E0_NS1_11comp_targetILNS1_3genE8ELNS1_11target_archE1030ELNS1_3gpuE2ELNS1_3repE0EEENS1_38merge_mergepath_config_static_selectorELNS0_4arch9wavefront6targetE0EEEvSK_,comdat
.Lfunc_end732:
	.size	_ZN7rocprim17ROCPRIM_400000_NS6detail17trampoline_kernelINS0_14default_configENS1_38merge_sort_block_merge_config_selectorIhNS0_10empty_typeEEEZZNS1_27merge_sort_block_merge_implIS3_N6thrust23THRUST_200600_302600_NS6detail15normal_iteratorINS9_10device_ptrIhEEEEPS5_m11less_div_10IhEEE10hipError_tT0_T1_T2_jT3_P12ihipStream_tbPNSt15iterator_traitsISJ_E10value_typeEPNSP_ISK_E10value_typeEPSL_NS1_7vsmem_tEENKUlT_SJ_SK_SL_E_clISE_PhSF_SF_EESI_SY_SJ_SK_SL_EUlSY_E0_NS1_11comp_targetILNS1_3genE8ELNS1_11target_archE1030ELNS1_3gpuE2ELNS1_3repE0EEENS1_38merge_mergepath_config_static_selectorELNS0_4arch9wavefront6targetE0EEEvSK_, .Lfunc_end732-_ZN7rocprim17ROCPRIM_400000_NS6detail17trampoline_kernelINS0_14default_configENS1_38merge_sort_block_merge_config_selectorIhNS0_10empty_typeEEEZZNS1_27merge_sort_block_merge_implIS3_N6thrust23THRUST_200600_302600_NS6detail15normal_iteratorINS9_10device_ptrIhEEEEPS5_m11less_div_10IhEEE10hipError_tT0_T1_T2_jT3_P12ihipStream_tbPNSt15iterator_traitsISJ_E10value_typeEPNSP_ISK_E10value_typeEPSL_NS1_7vsmem_tEENKUlT_SJ_SK_SL_E_clISE_PhSF_SF_EESI_SY_SJ_SK_SL_EUlSY_E0_NS1_11comp_targetILNS1_3genE8ELNS1_11target_archE1030ELNS1_3gpuE2ELNS1_3repE0EEENS1_38merge_mergepath_config_static_selectorELNS0_4arch9wavefront6targetE0EEEvSK_
                                        ; -- End function
	.set _ZN7rocprim17ROCPRIM_400000_NS6detail17trampoline_kernelINS0_14default_configENS1_38merge_sort_block_merge_config_selectorIhNS0_10empty_typeEEEZZNS1_27merge_sort_block_merge_implIS3_N6thrust23THRUST_200600_302600_NS6detail15normal_iteratorINS9_10device_ptrIhEEEEPS5_m11less_div_10IhEEE10hipError_tT0_T1_T2_jT3_P12ihipStream_tbPNSt15iterator_traitsISJ_E10value_typeEPNSP_ISK_E10value_typeEPSL_NS1_7vsmem_tEENKUlT_SJ_SK_SL_E_clISE_PhSF_SF_EESI_SY_SJ_SK_SL_EUlSY_E0_NS1_11comp_targetILNS1_3genE8ELNS1_11target_archE1030ELNS1_3gpuE2ELNS1_3repE0EEENS1_38merge_mergepath_config_static_selectorELNS0_4arch9wavefront6targetE0EEEvSK_.num_vgpr, 25
	.set _ZN7rocprim17ROCPRIM_400000_NS6detail17trampoline_kernelINS0_14default_configENS1_38merge_sort_block_merge_config_selectorIhNS0_10empty_typeEEEZZNS1_27merge_sort_block_merge_implIS3_N6thrust23THRUST_200600_302600_NS6detail15normal_iteratorINS9_10device_ptrIhEEEEPS5_m11less_div_10IhEEE10hipError_tT0_T1_T2_jT3_P12ihipStream_tbPNSt15iterator_traitsISJ_E10value_typeEPNSP_ISK_E10value_typeEPSL_NS1_7vsmem_tEENKUlT_SJ_SK_SL_E_clISE_PhSF_SF_EESI_SY_SJ_SK_SL_EUlSY_E0_NS1_11comp_targetILNS1_3genE8ELNS1_11target_archE1030ELNS1_3gpuE2ELNS1_3repE0EEENS1_38merge_mergepath_config_static_selectorELNS0_4arch9wavefront6targetE0EEEvSK_.num_agpr, 0
	.set _ZN7rocprim17ROCPRIM_400000_NS6detail17trampoline_kernelINS0_14default_configENS1_38merge_sort_block_merge_config_selectorIhNS0_10empty_typeEEEZZNS1_27merge_sort_block_merge_implIS3_N6thrust23THRUST_200600_302600_NS6detail15normal_iteratorINS9_10device_ptrIhEEEEPS5_m11less_div_10IhEEE10hipError_tT0_T1_T2_jT3_P12ihipStream_tbPNSt15iterator_traitsISJ_E10value_typeEPNSP_ISK_E10value_typeEPSL_NS1_7vsmem_tEENKUlT_SJ_SK_SL_E_clISE_PhSF_SF_EESI_SY_SJ_SK_SL_EUlSY_E0_NS1_11comp_targetILNS1_3genE8ELNS1_11target_archE1030ELNS1_3gpuE2ELNS1_3repE0EEENS1_38merge_mergepath_config_static_selectorELNS0_4arch9wavefront6targetE0EEEvSK_.numbered_sgpr, 31
	.set _ZN7rocprim17ROCPRIM_400000_NS6detail17trampoline_kernelINS0_14default_configENS1_38merge_sort_block_merge_config_selectorIhNS0_10empty_typeEEEZZNS1_27merge_sort_block_merge_implIS3_N6thrust23THRUST_200600_302600_NS6detail15normal_iteratorINS9_10device_ptrIhEEEEPS5_m11less_div_10IhEEE10hipError_tT0_T1_T2_jT3_P12ihipStream_tbPNSt15iterator_traitsISJ_E10value_typeEPNSP_ISK_E10value_typeEPSL_NS1_7vsmem_tEENKUlT_SJ_SK_SL_E_clISE_PhSF_SF_EESI_SY_SJ_SK_SL_EUlSY_E0_NS1_11comp_targetILNS1_3genE8ELNS1_11target_archE1030ELNS1_3gpuE2ELNS1_3repE0EEENS1_38merge_mergepath_config_static_selectorELNS0_4arch9wavefront6targetE0EEEvSK_.num_named_barrier, 0
	.set _ZN7rocprim17ROCPRIM_400000_NS6detail17trampoline_kernelINS0_14default_configENS1_38merge_sort_block_merge_config_selectorIhNS0_10empty_typeEEEZZNS1_27merge_sort_block_merge_implIS3_N6thrust23THRUST_200600_302600_NS6detail15normal_iteratorINS9_10device_ptrIhEEEEPS5_m11less_div_10IhEEE10hipError_tT0_T1_T2_jT3_P12ihipStream_tbPNSt15iterator_traitsISJ_E10value_typeEPNSP_ISK_E10value_typeEPSL_NS1_7vsmem_tEENKUlT_SJ_SK_SL_E_clISE_PhSF_SF_EESI_SY_SJ_SK_SL_EUlSY_E0_NS1_11comp_targetILNS1_3genE8ELNS1_11target_archE1030ELNS1_3gpuE2ELNS1_3repE0EEENS1_38merge_mergepath_config_static_selectorELNS0_4arch9wavefront6targetE0EEEvSK_.private_seg_size, 0
	.set _ZN7rocprim17ROCPRIM_400000_NS6detail17trampoline_kernelINS0_14default_configENS1_38merge_sort_block_merge_config_selectorIhNS0_10empty_typeEEEZZNS1_27merge_sort_block_merge_implIS3_N6thrust23THRUST_200600_302600_NS6detail15normal_iteratorINS9_10device_ptrIhEEEEPS5_m11less_div_10IhEEE10hipError_tT0_T1_T2_jT3_P12ihipStream_tbPNSt15iterator_traitsISJ_E10value_typeEPNSP_ISK_E10value_typeEPSL_NS1_7vsmem_tEENKUlT_SJ_SK_SL_E_clISE_PhSF_SF_EESI_SY_SJ_SK_SL_EUlSY_E0_NS1_11comp_targetILNS1_3genE8ELNS1_11target_archE1030ELNS1_3gpuE2ELNS1_3repE0EEENS1_38merge_mergepath_config_static_selectorELNS0_4arch9wavefront6targetE0EEEvSK_.uses_vcc, 1
	.set _ZN7rocprim17ROCPRIM_400000_NS6detail17trampoline_kernelINS0_14default_configENS1_38merge_sort_block_merge_config_selectorIhNS0_10empty_typeEEEZZNS1_27merge_sort_block_merge_implIS3_N6thrust23THRUST_200600_302600_NS6detail15normal_iteratorINS9_10device_ptrIhEEEEPS5_m11less_div_10IhEEE10hipError_tT0_T1_T2_jT3_P12ihipStream_tbPNSt15iterator_traitsISJ_E10value_typeEPNSP_ISK_E10value_typeEPSL_NS1_7vsmem_tEENKUlT_SJ_SK_SL_E_clISE_PhSF_SF_EESI_SY_SJ_SK_SL_EUlSY_E0_NS1_11comp_targetILNS1_3genE8ELNS1_11target_archE1030ELNS1_3gpuE2ELNS1_3repE0EEENS1_38merge_mergepath_config_static_selectorELNS0_4arch9wavefront6targetE0EEEvSK_.uses_flat_scratch, 0
	.set _ZN7rocprim17ROCPRIM_400000_NS6detail17trampoline_kernelINS0_14default_configENS1_38merge_sort_block_merge_config_selectorIhNS0_10empty_typeEEEZZNS1_27merge_sort_block_merge_implIS3_N6thrust23THRUST_200600_302600_NS6detail15normal_iteratorINS9_10device_ptrIhEEEEPS5_m11less_div_10IhEEE10hipError_tT0_T1_T2_jT3_P12ihipStream_tbPNSt15iterator_traitsISJ_E10value_typeEPNSP_ISK_E10value_typeEPSL_NS1_7vsmem_tEENKUlT_SJ_SK_SL_E_clISE_PhSF_SF_EESI_SY_SJ_SK_SL_EUlSY_E0_NS1_11comp_targetILNS1_3genE8ELNS1_11target_archE1030ELNS1_3gpuE2ELNS1_3repE0EEENS1_38merge_mergepath_config_static_selectorELNS0_4arch9wavefront6targetE0EEEvSK_.has_dyn_sized_stack, 0
	.set _ZN7rocprim17ROCPRIM_400000_NS6detail17trampoline_kernelINS0_14default_configENS1_38merge_sort_block_merge_config_selectorIhNS0_10empty_typeEEEZZNS1_27merge_sort_block_merge_implIS3_N6thrust23THRUST_200600_302600_NS6detail15normal_iteratorINS9_10device_ptrIhEEEEPS5_m11less_div_10IhEEE10hipError_tT0_T1_T2_jT3_P12ihipStream_tbPNSt15iterator_traitsISJ_E10value_typeEPNSP_ISK_E10value_typeEPSL_NS1_7vsmem_tEENKUlT_SJ_SK_SL_E_clISE_PhSF_SF_EESI_SY_SJ_SK_SL_EUlSY_E0_NS1_11comp_targetILNS1_3genE8ELNS1_11target_archE1030ELNS1_3gpuE2ELNS1_3repE0EEENS1_38merge_mergepath_config_static_selectorELNS0_4arch9wavefront6targetE0EEEvSK_.has_recursion, 0
	.set _ZN7rocprim17ROCPRIM_400000_NS6detail17trampoline_kernelINS0_14default_configENS1_38merge_sort_block_merge_config_selectorIhNS0_10empty_typeEEEZZNS1_27merge_sort_block_merge_implIS3_N6thrust23THRUST_200600_302600_NS6detail15normal_iteratorINS9_10device_ptrIhEEEEPS5_m11less_div_10IhEEE10hipError_tT0_T1_T2_jT3_P12ihipStream_tbPNSt15iterator_traitsISJ_E10value_typeEPNSP_ISK_E10value_typeEPSL_NS1_7vsmem_tEENKUlT_SJ_SK_SL_E_clISE_PhSF_SF_EESI_SY_SJ_SK_SL_EUlSY_E0_NS1_11comp_targetILNS1_3genE8ELNS1_11target_archE1030ELNS1_3gpuE2ELNS1_3repE0EEENS1_38merge_mergepath_config_static_selectorELNS0_4arch9wavefront6targetE0EEEvSK_.has_indirect_call, 0
	.section	.AMDGPU.csdata,"",@progbits
; Kernel info:
; codeLenInByte = 4400
; TotalNumSgprs: 33
; NumVgprs: 25
; ScratchSize: 0
; MemoryBound: 0
; FloatMode: 240
; IeeeMode: 1
; LDSByteSize: 1056 bytes/workgroup (compile time only)
; SGPRBlocks: 0
; VGPRBlocks: 3
; NumSGPRsForWavesPerEU: 33
; NumVGPRsForWavesPerEU: 25
; Occupancy: 16
; WaveLimiterHint : 1
; COMPUTE_PGM_RSRC2:SCRATCH_EN: 0
; COMPUTE_PGM_RSRC2:USER_SGPR: 6
; COMPUTE_PGM_RSRC2:TRAP_HANDLER: 0
; COMPUTE_PGM_RSRC2:TGID_X_EN: 1
; COMPUTE_PGM_RSRC2:TGID_Y_EN: 1
; COMPUTE_PGM_RSRC2:TGID_Z_EN: 1
; COMPUTE_PGM_RSRC2:TIDIG_COMP_CNT: 0
	.section	.text._ZN7rocprim17ROCPRIM_400000_NS6detail17trampoline_kernelINS0_14default_configENS1_38merge_sort_block_merge_config_selectorIhNS0_10empty_typeEEEZZNS1_27merge_sort_block_merge_implIS3_N6thrust23THRUST_200600_302600_NS6detail15normal_iteratorINS9_10device_ptrIhEEEEPS5_m11less_div_10IhEEE10hipError_tT0_T1_T2_jT3_P12ihipStream_tbPNSt15iterator_traitsISJ_E10value_typeEPNSP_ISK_E10value_typeEPSL_NS1_7vsmem_tEENKUlT_SJ_SK_SL_E_clISE_PhSF_SF_EESI_SY_SJ_SK_SL_EUlSY_E1_NS1_11comp_targetILNS1_3genE0ELNS1_11target_archE4294967295ELNS1_3gpuE0ELNS1_3repE0EEENS1_36merge_oddeven_config_static_selectorELNS0_4arch9wavefront6targetE0EEEvSK_,"axG",@progbits,_ZN7rocprim17ROCPRIM_400000_NS6detail17trampoline_kernelINS0_14default_configENS1_38merge_sort_block_merge_config_selectorIhNS0_10empty_typeEEEZZNS1_27merge_sort_block_merge_implIS3_N6thrust23THRUST_200600_302600_NS6detail15normal_iteratorINS9_10device_ptrIhEEEEPS5_m11less_div_10IhEEE10hipError_tT0_T1_T2_jT3_P12ihipStream_tbPNSt15iterator_traitsISJ_E10value_typeEPNSP_ISK_E10value_typeEPSL_NS1_7vsmem_tEENKUlT_SJ_SK_SL_E_clISE_PhSF_SF_EESI_SY_SJ_SK_SL_EUlSY_E1_NS1_11comp_targetILNS1_3genE0ELNS1_11target_archE4294967295ELNS1_3gpuE0ELNS1_3repE0EEENS1_36merge_oddeven_config_static_selectorELNS0_4arch9wavefront6targetE0EEEvSK_,comdat
	.protected	_ZN7rocprim17ROCPRIM_400000_NS6detail17trampoline_kernelINS0_14default_configENS1_38merge_sort_block_merge_config_selectorIhNS0_10empty_typeEEEZZNS1_27merge_sort_block_merge_implIS3_N6thrust23THRUST_200600_302600_NS6detail15normal_iteratorINS9_10device_ptrIhEEEEPS5_m11less_div_10IhEEE10hipError_tT0_T1_T2_jT3_P12ihipStream_tbPNSt15iterator_traitsISJ_E10value_typeEPNSP_ISK_E10value_typeEPSL_NS1_7vsmem_tEENKUlT_SJ_SK_SL_E_clISE_PhSF_SF_EESI_SY_SJ_SK_SL_EUlSY_E1_NS1_11comp_targetILNS1_3genE0ELNS1_11target_archE4294967295ELNS1_3gpuE0ELNS1_3repE0EEENS1_36merge_oddeven_config_static_selectorELNS0_4arch9wavefront6targetE0EEEvSK_ ; -- Begin function _ZN7rocprim17ROCPRIM_400000_NS6detail17trampoline_kernelINS0_14default_configENS1_38merge_sort_block_merge_config_selectorIhNS0_10empty_typeEEEZZNS1_27merge_sort_block_merge_implIS3_N6thrust23THRUST_200600_302600_NS6detail15normal_iteratorINS9_10device_ptrIhEEEEPS5_m11less_div_10IhEEE10hipError_tT0_T1_T2_jT3_P12ihipStream_tbPNSt15iterator_traitsISJ_E10value_typeEPNSP_ISK_E10value_typeEPSL_NS1_7vsmem_tEENKUlT_SJ_SK_SL_E_clISE_PhSF_SF_EESI_SY_SJ_SK_SL_EUlSY_E1_NS1_11comp_targetILNS1_3genE0ELNS1_11target_archE4294967295ELNS1_3gpuE0ELNS1_3repE0EEENS1_36merge_oddeven_config_static_selectorELNS0_4arch9wavefront6targetE0EEEvSK_
	.globl	_ZN7rocprim17ROCPRIM_400000_NS6detail17trampoline_kernelINS0_14default_configENS1_38merge_sort_block_merge_config_selectorIhNS0_10empty_typeEEEZZNS1_27merge_sort_block_merge_implIS3_N6thrust23THRUST_200600_302600_NS6detail15normal_iteratorINS9_10device_ptrIhEEEEPS5_m11less_div_10IhEEE10hipError_tT0_T1_T2_jT3_P12ihipStream_tbPNSt15iterator_traitsISJ_E10value_typeEPNSP_ISK_E10value_typeEPSL_NS1_7vsmem_tEENKUlT_SJ_SK_SL_E_clISE_PhSF_SF_EESI_SY_SJ_SK_SL_EUlSY_E1_NS1_11comp_targetILNS1_3genE0ELNS1_11target_archE4294967295ELNS1_3gpuE0ELNS1_3repE0EEENS1_36merge_oddeven_config_static_selectorELNS0_4arch9wavefront6targetE0EEEvSK_
	.p2align	8
	.type	_ZN7rocprim17ROCPRIM_400000_NS6detail17trampoline_kernelINS0_14default_configENS1_38merge_sort_block_merge_config_selectorIhNS0_10empty_typeEEEZZNS1_27merge_sort_block_merge_implIS3_N6thrust23THRUST_200600_302600_NS6detail15normal_iteratorINS9_10device_ptrIhEEEEPS5_m11less_div_10IhEEE10hipError_tT0_T1_T2_jT3_P12ihipStream_tbPNSt15iterator_traitsISJ_E10value_typeEPNSP_ISK_E10value_typeEPSL_NS1_7vsmem_tEENKUlT_SJ_SK_SL_E_clISE_PhSF_SF_EESI_SY_SJ_SK_SL_EUlSY_E1_NS1_11comp_targetILNS1_3genE0ELNS1_11target_archE4294967295ELNS1_3gpuE0ELNS1_3repE0EEENS1_36merge_oddeven_config_static_selectorELNS0_4arch9wavefront6targetE0EEEvSK_,@function
_ZN7rocprim17ROCPRIM_400000_NS6detail17trampoline_kernelINS0_14default_configENS1_38merge_sort_block_merge_config_selectorIhNS0_10empty_typeEEEZZNS1_27merge_sort_block_merge_implIS3_N6thrust23THRUST_200600_302600_NS6detail15normal_iteratorINS9_10device_ptrIhEEEEPS5_m11less_div_10IhEEE10hipError_tT0_T1_T2_jT3_P12ihipStream_tbPNSt15iterator_traitsISJ_E10value_typeEPNSP_ISK_E10value_typeEPSL_NS1_7vsmem_tEENKUlT_SJ_SK_SL_E_clISE_PhSF_SF_EESI_SY_SJ_SK_SL_EUlSY_E1_NS1_11comp_targetILNS1_3genE0ELNS1_11target_archE4294967295ELNS1_3gpuE0ELNS1_3repE0EEENS1_36merge_oddeven_config_static_selectorELNS0_4arch9wavefront6targetE0EEEvSK_: ; @_ZN7rocprim17ROCPRIM_400000_NS6detail17trampoline_kernelINS0_14default_configENS1_38merge_sort_block_merge_config_selectorIhNS0_10empty_typeEEEZZNS1_27merge_sort_block_merge_implIS3_N6thrust23THRUST_200600_302600_NS6detail15normal_iteratorINS9_10device_ptrIhEEEEPS5_m11less_div_10IhEEE10hipError_tT0_T1_T2_jT3_P12ihipStream_tbPNSt15iterator_traitsISJ_E10value_typeEPNSP_ISK_E10value_typeEPSL_NS1_7vsmem_tEENKUlT_SJ_SK_SL_E_clISE_PhSF_SF_EESI_SY_SJ_SK_SL_EUlSY_E1_NS1_11comp_targetILNS1_3genE0ELNS1_11target_archE4294967295ELNS1_3gpuE0ELNS1_3repE0EEENS1_36merge_oddeven_config_static_selectorELNS0_4arch9wavefront6targetE0EEEvSK_
; %bb.0:
	.section	.rodata,"a",@progbits
	.p2align	6, 0x0
	.amdhsa_kernel _ZN7rocprim17ROCPRIM_400000_NS6detail17trampoline_kernelINS0_14default_configENS1_38merge_sort_block_merge_config_selectorIhNS0_10empty_typeEEEZZNS1_27merge_sort_block_merge_implIS3_N6thrust23THRUST_200600_302600_NS6detail15normal_iteratorINS9_10device_ptrIhEEEEPS5_m11less_div_10IhEEE10hipError_tT0_T1_T2_jT3_P12ihipStream_tbPNSt15iterator_traitsISJ_E10value_typeEPNSP_ISK_E10value_typeEPSL_NS1_7vsmem_tEENKUlT_SJ_SK_SL_E_clISE_PhSF_SF_EESI_SY_SJ_SK_SL_EUlSY_E1_NS1_11comp_targetILNS1_3genE0ELNS1_11target_archE4294967295ELNS1_3gpuE0ELNS1_3repE0EEENS1_36merge_oddeven_config_static_selectorELNS0_4arch9wavefront6targetE0EEEvSK_
		.amdhsa_group_segment_fixed_size 0
		.amdhsa_private_segment_fixed_size 0
		.amdhsa_kernarg_size 56
		.amdhsa_user_sgpr_count 6
		.amdhsa_user_sgpr_private_segment_buffer 1
		.amdhsa_user_sgpr_dispatch_ptr 0
		.amdhsa_user_sgpr_queue_ptr 0
		.amdhsa_user_sgpr_kernarg_segment_ptr 1
		.amdhsa_user_sgpr_dispatch_id 0
		.amdhsa_user_sgpr_flat_scratch_init 0
		.amdhsa_user_sgpr_private_segment_size 0
		.amdhsa_wavefront_size32 1
		.amdhsa_uses_dynamic_stack 0
		.amdhsa_system_sgpr_private_segment_wavefront_offset 0
		.amdhsa_system_sgpr_workgroup_id_x 1
		.amdhsa_system_sgpr_workgroup_id_y 0
		.amdhsa_system_sgpr_workgroup_id_z 0
		.amdhsa_system_sgpr_workgroup_info 0
		.amdhsa_system_vgpr_workitem_id 0
		.amdhsa_next_free_vgpr 1
		.amdhsa_next_free_sgpr 1
		.amdhsa_reserve_vcc 0
		.amdhsa_reserve_flat_scratch 0
		.amdhsa_float_round_mode_32 0
		.amdhsa_float_round_mode_16_64 0
		.amdhsa_float_denorm_mode_32 3
		.amdhsa_float_denorm_mode_16_64 3
		.amdhsa_dx10_clamp 1
		.amdhsa_ieee_mode 1
		.amdhsa_fp16_overflow 0
		.amdhsa_workgroup_processor_mode 1
		.amdhsa_memory_ordered 1
		.amdhsa_forward_progress 1
		.amdhsa_shared_vgpr_count 0
		.amdhsa_exception_fp_ieee_invalid_op 0
		.amdhsa_exception_fp_denorm_src 0
		.amdhsa_exception_fp_ieee_div_zero 0
		.amdhsa_exception_fp_ieee_overflow 0
		.amdhsa_exception_fp_ieee_underflow 0
		.amdhsa_exception_fp_ieee_inexact 0
		.amdhsa_exception_int_div_zero 0
	.end_amdhsa_kernel
	.section	.text._ZN7rocprim17ROCPRIM_400000_NS6detail17trampoline_kernelINS0_14default_configENS1_38merge_sort_block_merge_config_selectorIhNS0_10empty_typeEEEZZNS1_27merge_sort_block_merge_implIS3_N6thrust23THRUST_200600_302600_NS6detail15normal_iteratorINS9_10device_ptrIhEEEEPS5_m11less_div_10IhEEE10hipError_tT0_T1_T2_jT3_P12ihipStream_tbPNSt15iterator_traitsISJ_E10value_typeEPNSP_ISK_E10value_typeEPSL_NS1_7vsmem_tEENKUlT_SJ_SK_SL_E_clISE_PhSF_SF_EESI_SY_SJ_SK_SL_EUlSY_E1_NS1_11comp_targetILNS1_3genE0ELNS1_11target_archE4294967295ELNS1_3gpuE0ELNS1_3repE0EEENS1_36merge_oddeven_config_static_selectorELNS0_4arch9wavefront6targetE0EEEvSK_,"axG",@progbits,_ZN7rocprim17ROCPRIM_400000_NS6detail17trampoline_kernelINS0_14default_configENS1_38merge_sort_block_merge_config_selectorIhNS0_10empty_typeEEEZZNS1_27merge_sort_block_merge_implIS3_N6thrust23THRUST_200600_302600_NS6detail15normal_iteratorINS9_10device_ptrIhEEEEPS5_m11less_div_10IhEEE10hipError_tT0_T1_T2_jT3_P12ihipStream_tbPNSt15iterator_traitsISJ_E10value_typeEPNSP_ISK_E10value_typeEPSL_NS1_7vsmem_tEENKUlT_SJ_SK_SL_E_clISE_PhSF_SF_EESI_SY_SJ_SK_SL_EUlSY_E1_NS1_11comp_targetILNS1_3genE0ELNS1_11target_archE4294967295ELNS1_3gpuE0ELNS1_3repE0EEENS1_36merge_oddeven_config_static_selectorELNS0_4arch9wavefront6targetE0EEEvSK_,comdat
.Lfunc_end733:
	.size	_ZN7rocprim17ROCPRIM_400000_NS6detail17trampoline_kernelINS0_14default_configENS1_38merge_sort_block_merge_config_selectorIhNS0_10empty_typeEEEZZNS1_27merge_sort_block_merge_implIS3_N6thrust23THRUST_200600_302600_NS6detail15normal_iteratorINS9_10device_ptrIhEEEEPS5_m11less_div_10IhEEE10hipError_tT0_T1_T2_jT3_P12ihipStream_tbPNSt15iterator_traitsISJ_E10value_typeEPNSP_ISK_E10value_typeEPSL_NS1_7vsmem_tEENKUlT_SJ_SK_SL_E_clISE_PhSF_SF_EESI_SY_SJ_SK_SL_EUlSY_E1_NS1_11comp_targetILNS1_3genE0ELNS1_11target_archE4294967295ELNS1_3gpuE0ELNS1_3repE0EEENS1_36merge_oddeven_config_static_selectorELNS0_4arch9wavefront6targetE0EEEvSK_, .Lfunc_end733-_ZN7rocprim17ROCPRIM_400000_NS6detail17trampoline_kernelINS0_14default_configENS1_38merge_sort_block_merge_config_selectorIhNS0_10empty_typeEEEZZNS1_27merge_sort_block_merge_implIS3_N6thrust23THRUST_200600_302600_NS6detail15normal_iteratorINS9_10device_ptrIhEEEEPS5_m11less_div_10IhEEE10hipError_tT0_T1_T2_jT3_P12ihipStream_tbPNSt15iterator_traitsISJ_E10value_typeEPNSP_ISK_E10value_typeEPSL_NS1_7vsmem_tEENKUlT_SJ_SK_SL_E_clISE_PhSF_SF_EESI_SY_SJ_SK_SL_EUlSY_E1_NS1_11comp_targetILNS1_3genE0ELNS1_11target_archE4294967295ELNS1_3gpuE0ELNS1_3repE0EEENS1_36merge_oddeven_config_static_selectorELNS0_4arch9wavefront6targetE0EEEvSK_
                                        ; -- End function
	.set _ZN7rocprim17ROCPRIM_400000_NS6detail17trampoline_kernelINS0_14default_configENS1_38merge_sort_block_merge_config_selectorIhNS0_10empty_typeEEEZZNS1_27merge_sort_block_merge_implIS3_N6thrust23THRUST_200600_302600_NS6detail15normal_iteratorINS9_10device_ptrIhEEEEPS5_m11less_div_10IhEEE10hipError_tT0_T1_T2_jT3_P12ihipStream_tbPNSt15iterator_traitsISJ_E10value_typeEPNSP_ISK_E10value_typeEPSL_NS1_7vsmem_tEENKUlT_SJ_SK_SL_E_clISE_PhSF_SF_EESI_SY_SJ_SK_SL_EUlSY_E1_NS1_11comp_targetILNS1_3genE0ELNS1_11target_archE4294967295ELNS1_3gpuE0ELNS1_3repE0EEENS1_36merge_oddeven_config_static_selectorELNS0_4arch9wavefront6targetE0EEEvSK_.num_vgpr, 0
	.set _ZN7rocprim17ROCPRIM_400000_NS6detail17trampoline_kernelINS0_14default_configENS1_38merge_sort_block_merge_config_selectorIhNS0_10empty_typeEEEZZNS1_27merge_sort_block_merge_implIS3_N6thrust23THRUST_200600_302600_NS6detail15normal_iteratorINS9_10device_ptrIhEEEEPS5_m11less_div_10IhEEE10hipError_tT0_T1_T2_jT3_P12ihipStream_tbPNSt15iterator_traitsISJ_E10value_typeEPNSP_ISK_E10value_typeEPSL_NS1_7vsmem_tEENKUlT_SJ_SK_SL_E_clISE_PhSF_SF_EESI_SY_SJ_SK_SL_EUlSY_E1_NS1_11comp_targetILNS1_3genE0ELNS1_11target_archE4294967295ELNS1_3gpuE0ELNS1_3repE0EEENS1_36merge_oddeven_config_static_selectorELNS0_4arch9wavefront6targetE0EEEvSK_.num_agpr, 0
	.set _ZN7rocprim17ROCPRIM_400000_NS6detail17trampoline_kernelINS0_14default_configENS1_38merge_sort_block_merge_config_selectorIhNS0_10empty_typeEEEZZNS1_27merge_sort_block_merge_implIS3_N6thrust23THRUST_200600_302600_NS6detail15normal_iteratorINS9_10device_ptrIhEEEEPS5_m11less_div_10IhEEE10hipError_tT0_T1_T2_jT3_P12ihipStream_tbPNSt15iterator_traitsISJ_E10value_typeEPNSP_ISK_E10value_typeEPSL_NS1_7vsmem_tEENKUlT_SJ_SK_SL_E_clISE_PhSF_SF_EESI_SY_SJ_SK_SL_EUlSY_E1_NS1_11comp_targetILNS1_3genE0ELNS1_11target_archE4294967295ELNS1_3gpuE0ELNS1_3repE0EEENS1_36merge_oddeven_config_static_selectorELNS0_4arch9wavefront6targetE0EEEvSK_.numbered_sgpr, 0
	.set _ZN7rocprim17ROCPRIM_400000_NS6detail17trampoline_kernelINS0_14default_configENS1_38merge_sort_block_merge_config_selectorIhNS0_10empty_typeEEEZZNS1_27merge_sort_block_merge_implIS3_N6thrust23THRUST_200600_302600_NS6detail15normal_iteratorINS9_10device_ptrIhEEEEPS5_m11less_div_10IhEEE10hipError_tT0_T1_T2_jT3_P12ihipStream_tbPNSt15iterator_traitsISJ_E10value_typeEPNSP_ISK_E10value_typeEPSL_NS1_7vsmem_tEENKUlT_SJ_SK_SL_E_clISE_PhSF_SF_EESI_SY_SJ_SK_SL_EUlSY_E1_NS1_11comp_targetILNS1_3genE0ELNS1_11target_archE4294967295ELNS1_3gpuE0ELNS1_3repE0EEENS1_36merge_oddeven_config_static_selectorELNS0_4arch9wavefront6targetE0EEEvSK_.num_named_barrier, 0
	.set _ZN7rocprim17ROCPRIM_400000_NS6detail17trampoline_kernelINS0_14default_configENS1_38merge_sort_block_merge_config_selectorIhNS0_10empty_typeEEEZZNS1_27merge_sort_block_merge_implIS3_N6thrust23THRUST_200600_302600_NS6detail15normal_iteratorINS9_10device_ptrIhEEEEPS5_m11less_div_10IhEEE10hipError_tT0_T1_T2_jT3_P12ihipStream_tbPNSt15iterator_traitsISJ_E10value_typeEPNSP_ISK_E10value_typeEPSL_NS1_7vsmem_tEENKUlT_SJ_SK_SL_E_clISE_PhSF_SF_EESI_SY_SJ_SK_SL_EUlSY_E1_NS1_11comp_targetILNS1_3genE0ELNS1_11target_archE4294967295ELNS1_3gpuE0ELNS1_3repE0EEENS1_36merge_oddeven_config_static_selectorELNS0_4arch9wavefront6targetE0EEEvSK_.private_seg_size, 0
	.set _ZN7rocprim17ROCPRIM_400000_NS6detail17trampoline_kernelINS0_14default_configENS1_38merge_sort_block_merge_config_selectorIhNS0_10empty_typeEEEZZNS1_27merge_sort_block_merge_implIS3_N6thrust23THRUST_200600_302600_NS6detail15normal_iteratorINS9_10device_ptrIhEEEEPS5_m11less_div_10IhEEE10hipError_tT0_T1_T2_jT3_P12ihipStream_tbPNSt15iterator_traitsISJ_E10value_typeEPNSP_ISK_E10value_typeEPSL_NS1_7vsmem_tEENKUlT_SJ_SK_SL_E_clISE_PhSF_SF_EESI_SY_SJ_SK_SL_EUlSY_E1_NS1_11comp_targetILNS1_3genE0ELNS1_11target_archE4294967295ELNS1_3gpuE0ELNS1_3repE0EEENS1_36merge_oddeven_config_static_selectorELNS0_4arch9wavefront6targetE0EEEvSK_.uses_vcc, 0
	.set _ZN7rocprim17ROCPRIM_400000_NS6detail17trampoline_kernelINS0_14default_configENS1_38merge_sort_block_merge_config_selectorIhNS0_10empty_typeEEEZZNS1_27merge_sort_block_merge_implIS3_N6thrust23THRUST_200600_302600_NS6detail15normal_iteratorINS9_10device_ptrIhEEEEPS5_m11less_div_10IhEEE10hipError_tT0_T1_T2_jT3_P12ihipStream_tbPNSt15iterator_traitsISJ_E10value_typeEPNSP_ISK_E10value_typeEPSL_NS1_7vsmem_tEENKUlT_SJ_SK_SL_E_clISE_PhSF_SF_EESI_SY_SJ_SK_SL_EUlSY_E1_NS1_11comp_targetILNS1_3genE0ELNS1_11target_archE4294967295ELNS1_3gpuE0ELNS1_3repE0EEENS1_36merge_oddeven_config_static_selectorELNS0_4arch9wavefront6targetE0EEEvSK_.uses_flat_scratch, 0
	.set _ZN7rocprim17ROCPRIM_400000_NS6detail17trampoline_kernelINS0_14default_configENS1_38merge_sort_block_merge_config_selectorIhNS0_10empty_typeEEEZZNS1_27merge_sort_block_merge_implIS3_N6thrust23THRUST_200600_302600_NS6detail15normal_iteratorINS9_10device_ptrIhEEEEPS5_m11less_div_10IhEEE10hipError_tT0_T1_T2_jT3_P12ihipStream_tbPNSt15iterator_traitsISJ_E10value_typeEPNSP_ISK_E10value_typeEPSL_NS1_7vsmem_tEENKUlT_SJ_SK_SL_E_clISE_PhSF_SF_EESI_SY_SJ_SK_SL_EUlSY_E1_NS1_11comp_targetILNS1_3genE0ELNS1_11target_archE4294967295ELNS1_3gpuE0ELNS1_3repE0EEENS1_36merge_oddeven_config_static_selectorELNS0_4arch9wavefront6targetE0EEEvSK_.has_dyn_sized_stack, 0
	.set _ZN7rocprim17ROCPRIM_400000_NS6detail17trampoline_kernelINS0_14default_configENS1_38merge_sort_block_merge_config_selectorIhNS0_10empty_typeEEEZZNS1_27merge_sort_block_merge_implIS3_N6thrust23THRUST_200600_302600_NS6detail15normal_iteratorINS9_10device_ptrIhEEEEPS5_m11less_div_10IhEEE10hipError_tT0_T1_T2_jT3_P12ihipStream_tbPNSt15iterator_traitsISJ_E10value_typeEPNSP_ISK_E10value_typeEPSL_NS1_7vsmem_tEENKUlT_SJ_SK_SL_E_clISE_PhSF_SF_EESI_SY_SJ_SK_SL_EUlSY_E1_NS1_11comp_targetILNS1_3genE0ELNS1_11target_archE4294967295ELNS1_3gpuE0ELNS1_3repE0EEENS1_36merge_oddeven_config_static_selectorELNS0_4arch9wavefront6targetE0EEEvSK_.has_recursion, 0
	.set _ZN7rocprim17ROCPRIM_400000_NS6detail17trampoline_kernelINS0_14default_configENS1_38merge_sort_block_merge_config_selectorIhNS0_10empty_typeEEEZZNS1_27merge_sort_block_merge_implIS3_N6thrust23THRUST_200600_302600_NS6detail15normal_iteratorINS9_10device_ptrIhEEEEPS5_m11less_div_10IhEEE10hipError_tT0_T1_T2_jT3_P12ihipStream_tbPNSt15iterator_traitsISJ_E10value_typeEPNSP_ISK_E10value_typeEPSL_NS1_7vsmem_tEENKUlT_SJ_SK_SL_E_clISE_PhSF_SF_EESI_SY_SJ_SK_SL_EUlSY_E1_NS1_11comp_targetILNS1_3genE0ELNS1_11target_archE4294967295ELNS1_3gpuE0ELNS1_3repE0EEENS1_36merge_oddeven_config_static_selectorELNS0_4arch9wavefront6targetE0EEEvSK_.has_indirect_call, 0
	.section	.AMDGPU.csdata,"",@progbits
; Kernel info:
; codeLenInByte = 0
; TotalNumSgprs: 0
; NumVgprs: 0
; ScratchSize: 0
; MemoryBound: 0
; FloatMode: 240
; IeeeMode: 1
; LDSByteSize: 0 bytes/workgroup (compile time only)
; SGPRBlocks: 0
; VGPRBlocks: 0
; NumSGPRsForWavesPerEU: 1
; NumVGPRsForWavesPerEU: 1
; Occupancy: 16
; WaveLimiterHint : 0
; COMPUTE_PGM_RSRC2:SCRATCH_EN: 0
; COMPUTE_PGM_RSRC2:USER_SGPR: 6
; COMPUTE_PGM_RSRC2:TRAP_HANDLER: 0
; COMPUTE_PGM_RSRC2:TGID_X_EN: 1
; COMPUTE_PGM_RSRC2:TGID_Y_EN: 0
; COMPUTE_PGM_RSRC2:TGID_Z_EN: 0
; COMPUTE_PGM_RSRC2:TIDIG_COMP_CNT: 0
	.section	.text._ZN7rocprim17ROCPRIM_400000_NS6detail17trampoline_kernelINS0_14default_configENS1_38merge_sort_block_merge_config_selectorIhNS0_10empty_typeEEEZZNS1_27merge_sort_block_merge_implIS3_N6thrust23THRUST_200600_302600_NS6detail15normal_iteratorINS9_10device_ptrIhEEEEPS5_m11less_div_10IhEEE10hipError_tT0_T1_T2_jT3_P12ihipStream_tbPNSt15iterator_traitsISJ_E10value_typeEPNSP_ISK_E10value_typeEPSL_NS1_7vsmem_tEENKUlT_SJ_SK_SL_E_clISE_PhSF_SF_EESI_SY_SJ_SK_SL_EUlSY_E1_NS1_11comp_targetILNS1_3genE10ELNS1_11target_archE1201ELNS1_3gpuE5ELNS1_3repE0EEENS1_36merge_oddeven_config_static_selectorELNS0_4arch9wavefront6targetE0EEEvSK_,"axG",@progbits,_ZN7rocprim17ROCPRIM_400000_NS6detail17trampoline_kernelINS0_14default_configENS1_38merge_sort_block_merge_config_selectorIhNS0_10empty_typeEEEZZNS1_27merge_sort_block_merge_implIS3_N6thrust23THRUST_200600_302600_NS6detail15normal_iteratorINS9_10device_ptrIhEEEEPS5_m11less_div_10IhEEE10hipError_tT0_T1_T2_jT3_P12ihipStream_tbPNSt15iterator_traitsISJ_E10value_typeEPNSP_ISK_E10value_typeEPSL_NS1_7vsmem_tEENKUlT_SJ_SK_SL_E_clISE_PhSF_SF_EESI_SY_SJ_SK_SL_EUlSY_E1_NS1_11comp_targetILNS1_3genE10ELNS1_11target_archE1201ELNS1_3gpuE5ELNS1_3repE0EEENS1_36merge_oddeven_config_static_selectorELNS0_4arch9wavefront6targetE0EEEvSK_,comdat
	.protected	_ZN7rocprim17ROCPRIM_400000_NS6detail17trampoline_kernelINS0_14default_configENS1_38merge_sort_block_merge_config_selectorIhNS0_10empty_typeEEEZZNS1_27merge_sort_block_merge_implIS3_N6thrust23THRUST_200600_302600_NS6detail15normal_iteratorINS9_10device_ptrIhEEEEPS5_m11less_div_10IhEEE10hipError_tT0_T1_T2_jT3_P12ihipStream_tbPNSt15iterator_traitsISJ_E10value_typeEPNSP_ISK_E10value_typeEPSL_NS1_7vsmem_tEENKUlT_SJ_SK_SL_E_clISE_PhSF_SF_EESI_SY_SJ_SK_SL_EUlSY_E1_NS1_11comp_targetILNS1_3genE10ELNS1_11target_archE1201ELNS1_3gpuE5ELNS1_3repE0EEENS1_36merge_oddeven_config_static_selectorELNS0_4arch9wavefront6targetE0EEEvSK_ ; -- Begin function _ZN7rocprim17ROCPRIM_400000_NS6detail17trampoline_kernelINS0_14default_configENS1_38merge_sort_block_merge_config_selectorIhNS0_10empty_typeEEEZZNS1_27merge_sort_block_merge_implIS3_N6thrust23THRUST_200600_302600_NS6detail15normal_iteratorINS9_10device_ptrIhEEEEPS5_m11less_div_10IhEEE10hipError_tT0_T1_T2_jT3_P12ihipStream_tbPNSt15iterator_traitsISJ_E10value_typeEPNSP_ISK_E10value_typeEPSL_NS1_7vsmem_tEENKUlT_SJ_SK_SL_E_clISE_PhSF_SF_EESI_SY_SJ_SK_SL_EUlSY_E1_NS1_11comp_targetILNS1_3genE10ELNS1_11target_archE1201ELNS1_3gpuE5ELNS1_3repE0EEENS1_36merge_oddeven_config_static_selectorELNS0_4arch9wavefront6targetE0EEEvSK_
	.globl	_ZN7rocprim17ROCPRIM_400000_NS6detail17trampoline_kernelINS0_14default_configENS1_38merge_sort_block_merge_config_selectorIhNS0_10empty_typeEEEZZNS1_27merge_sort_block_merge_implIS3_N6thrust23THRUST_200600_302600_NS6detail15normal_iteratorINS9_10device_ptrIhEEEEPS5_m11less_div_10IhEEE10hipError_tT0_T1_T2_jT3_P12ihipStream_tbPNSt15iterator_traitsISJ_E10value_typeEPNSP_ISK_E10value_typeEPSL_NS1_7vsmem_tEENKUlT_SJ_SK_SL_E_clISE_PhSF_SF_EESI_SY_SJ_SK_SL_EUlSY_E1_NS1_11comp_targetILNS1_3genE10ELNS1_11target_archE1201ELNS1_3gpuE5ELNS1_3repE0EEENS1_36merge_oddeven_config_static_selectorELNS0_4arch9wavefront6targetE0EEEvSK_
	.p2align	8
	.type	_ZN7rocprim17ROCPRIM_400000_NS6detail17trampoline_kernelINS0_14default_configENS1_38merge_sort_block_merge_config_selectorIhNS0_10empty_typeEEEZZNS1_27merge_sort_block_merge_implIS3_N6thrust23THRUST_200600_302600_NS6detail15normal_iteratorINS9_10device_ptrIhEEEEPS5_m11less_div_10IhEEE10hipError_tT0_T1_T2_jT3_P12ihipStream_tbPNSt15iterator_traitsISJ_E10value_typeEPNSP_ISK_E10value_typeEPSL_NS1_7vsmem_tEENKUlT_SJ_SK_SL_E_clISE_PhSF_SF_EESI_SY_SJ_SK_SL_EUlSY_E1_NS1_11comp_targetILNS1_3genE10ELNS1_11target_archE1201ELNS1_3gpuE5ELNS1_3repE0EEENS1_36merge_oddeven_config_static_selectorELNS0_4arch9wavefront6targetE0EEEvSK_,@function
_ZN7rocprim17ROCPRIM_400000_NS6detail17trampoline_kernelINS0_14default_configENS1_38merge_sort_block_merge_config_selectorIhNS0_10empty_typeEEEZZNS1_27merge_sort_block_merge_implIS3_N6thrust23THRUST_200600_302600_NS6detail15normal_iteratorINS9_10device_ptrIhEEEEPS5_m11less_div_10IhEEE10hipError_tT0_T1_T2_jT3_P12ihipStream_tbPNSt15iterator_traitsISJ_E10value_typeEPNSP_ISK_E10value_typeEPSL_NS1_7vsmem_tEENKUlT_SJ_SK_SL_E_clISE_PhSF_SF_EESI_SY_SJ_SK_SL_EUlSY_E1_NS1_11comp_targetILNS1_3genE10ELNS1_11target_archE1201ELNS1_3gpuE5ELNS1_3repE0EEENS1_36merge_oddeven_config_static_selectorELNS0_4arch9wavefront6targetE0EEEvSK_: ; @_ZN7rocprim17ROCPRIM_400000_NS6detail17trampoline_kernelINS0_14default_configENS1_38merge_sort_block_merge_config_selectorIhNS0_10empty_typeEEEZZNS1_27merge_sort_block_merge_implIS3_N6thrust23THRUST_200600_302600_NS6detail15normal_iteratorINS9_10device_ptrIhEEEEPS5_m11less_div_10IhEEE10hipError_tT0_T1_T2_jT3_P12ihipStream_tbPNSt15iterator_traitsISJ_E10value_typeEPNSP_ISK_E10value_typeEPSL_NS1_7vsmem_tEENKUlT_SJ_SK_SL_E_clISE_PhSF_SF_EESI_SY_SJ_SK_SL_EUlSY_E1_NS1_11comp_targetILNS1_3genE10ELNS1_11target_archE1201ELNS1_3gpuE5ELNS1_3repE0EEENS1_36merge_oddeven_config_static_selectorELNS0_4arch9wavefront6targetE0EEEvSK_
; %bb.0:
	.section	.rodata,"a",@progbits
	.p2align	6, 0x0
	.amdhsa_kernel _ZN7rocprim17ROCPRIM_400000_NS6detail17trampoline_kernelINS0_14default_configENS1_38merge_sort_block_merge_config_selectorIhNS0_10empty_typeEEEZZNS1_27merge_sort_block_merge_implIS3_N6thrust23THRUST_200600_302600_NS6detail15normal_iteratorINS9_10device_ptrIhEEEEPS5_m11less_div_10IhEEE10hipError_tT0_T1_T2_jT3_P12ihipStream_tbPNSt15iterator_traitsISJ_E10value_typeEPNSP_ISK_E10value_typeEPSL_NS1_7vsmem_tEENKUlT_SJ_SK_SL_E_clISE_PhSF_SF_EESI_SY_SJ_SK_SL_EUlSY_E1_NS1_11comp_targetILNS1_3genE10ELNS1_11target_archE1201ELNS1_3gpuE5ELNS1_3repE0EEENS1_36merge_oddeven_config_static_selectorELNS0_4arch9wavefront6targetE0EEEvSK_
		.amdhsa_group_segment_fixed_size 0
		.amdhsa_private_segment_fixed_size 0
		.amdhsa_kernarg_size 56
		.amdhsa_user_sgpr_count 6
		.amdhsa_user_sgpr_private_segment_buffer 1
		.amdhsa_user_sgpr_dispatch_ptr 0
		.amdhsa_user_sgpr_queue_ptr 0
		.amdhsa_user_sgpr_kernarg_segment_ptr 1
		.amdhsa_user_sgpr_dispatch_id 0
		.amdhsa_user_sgpr_flat_scratch_init 0
		.amdhsa_user_sgpr_private_segment_size 0
		.amdhsa_wavefront_size32 1
		.amdhsa_uses_dynamic_stack 0
		.amdhsa_system_sgpr_private_segment_wavefront_offset 0
		.amdhsa_system_sgpr_workgroup_id_x 1
		.amdhsa_system_sgpr_workgroup_id_y 0
		.amdhsa_system_sgpr_workgroup_id_z 0
		.amdhsa_system_sgpr_workgroup_info 0
		.amdhsa_system_vgpr_workitem_id 0
		.amdhsa_next_free_vgpr 1
		.amdhsa_next_free_sgpr 1
		.amdhsa_reserve_vcc 0
		.amdhsa_reserve_flat_scratch 0
		.amdhsa_float_round_mode_32 0
		.amdhsa_float_round_mode_16_64 0
		.amdhsa_float_denorm_mode_32 3
		.amdhsa_float_denorm_mode_16_64 3
		.amdhsa_dx10_clamp 1
		.amdhsa_ieee_mode 1
		.amdhsa_fp16_overflow 0
		.amdhsa_workgroup_processor_mode 1
		.amdhsa_memory_ordered 1
		.amdhsa_forward_progress 1
		.amdhsa_shared_vgpr_count 0
		.amdhsa_exception_fp_ieee_invalid_op 0
		.amdhsa_exception_fp_denorm_src 0
		.amdhsa_exception_fp_ieee_div_zero 0
		.amdhsa_exception_fp_ieee_overflow 0
		.amdhsa_exception_fp_ieee_underflow 0
		.amdhsa_exception_fp_ieee_inexact 0
		.amdhsa_exception_int_div_zero 0
	.end_amdhsa_kernel
	.section	.text._ZN7rocprim17ROCPRIM_400000_NS6detail17trampoline_kernelINS0_14default_configENS1_38merge_sort_block_merge_config_selectorIhNS0_10empty_typeEEEZZNS1_27merge_sort_block_merge_implIS3_N6thrust23THRUST_200600_302600_NS6detail15normal_iteratorINS9_10device_ptrIhEEEEPS5_m11less_div_10IhEEE10hipError_tT0_T1_T2_jT3_P12ihipStream_tbPNSt15iterator_traitsISJ_E10value_typeEPNSP_ISK_E10value_typeEPSL_NS1_7vsmem_tEENKUlT_SJ_SK_SL_E_clISE_PhSF_SF_EESI_SY_SJ_SK_SL_EUlSY_E1_NS1_11comp_targetILNS1_3genE10ELNS1_11target_archE1201ELNS1_3gpuE5ELNS1_3repE0EEENS1_36merge_oddeven_config_static_selectorELNS0_4arch9wavefront6targetE0EEEvSK_,"axG",@progbits,_ZN7rocprim17ROCPRIM_400000_NS6detail17trampoline_kernelINS0_14default_configENS1_38merge_sort_block_merge_config_selectorIhNS0_10empty_typeEEEZZNS1_27merge_sort_block_merge_implIS3_N6thrust23THRUST_200600_302600_NS6detail15normal_iteratorINS9_10device_ptrIhEEEEPS5_m11less_div_10IhEEE10hipError_tT0_T1_T2_jT3_P12ihipStream_tbPNSt15iterator_traitsISJ_E10value_typeEPNSP_ISK_E10value_typeEPSL_NS1_7vsmem_tEENKUlT_SJ_SK_SL_E_clISE_PhSF_SF_EESI_SY_SJ_SK_SL_EUlSY_E1_NS1_11comp_targetILNS1_3genE10ELNS1_11target_archE1201ELNS1_3gpuE5ELNS1_3repE0EEENS1_36merge_oddeven_config_static_selectorELNS0_4arch9wavefront6targetE0EEEvSK_,comdat
.Lfunc_end734:
	.size	_ZN7rocprim17ROCPRIM_400000_NS6detail17trampoline_kernelINS0_14default_configENS1_38merge_sort_block_merge_config_selectorIhNS0_10empty_typeEEEZZNS1_27merge_sort_block_merge_implIS3_N6thrust23THRUST_200600_302600_NS6detail15normal_iteratorINS9_10device_ptrIhEEEEPS5_m11less_div_10IhEEE10hipError_tT0_T1_T2_jT3_P12ihipStream_tbPNSt15iterator_traitsISJ_E10value_typeEPNSP_ISK_E10value_typeEPSL_NS1_7vsmem_tEENKUlT_SJ_SK_SL_E_clISE_PhSF_SF_EESI_SY_SJ_SK_SL_EUlSY_E1_NS1_11comp_targetILNS1_3genE10ELNS1_11target_archE1201ELNS1_3gpuE5ELNS1_3repE0EEENS1_36merge_oddeven_config_static_selectorELNS0_4arch9wavefront6targetE0EEEvSK_, .Lfunc_end734-_ZN7rocprim17ROCPRIM_400000_NS6detail17trampoline_kernelINS0_14default_configENS1_38merge_sort_block_merge_config_selectorIhNS0_10empty_typeEEEZZNS1_27merge_sort_block_merge_implIS3_N6thrust23THRUST_200600_302600_NS6detail15normal_iteratorINS9_10device_ptrIhEEEEPS5_m11less_div_10IhEEE10hipError_tT0_T1_T2_jT3_P12ihipStream_tbPNSt15iterator_traitsISJ_E10value_typeEPNSP_ISK_E10value_typeEPSL_NS1_7vsmem_tEENKUlT_SJ_SK_SL_E_clISE_PhSF_SF_EESI_SY_SJ_SK_SL_EUlSY_E1_NS1_11comp_targetILNS1_3genE10ELNS1_11target_archE1201ELNS1_3gpuE5ELNS1_3repE0EEENS1_36merge_oddeven_config_static_selectorELNS0_4arch9wavefront6targetE0EEEvSK_
                                        ; -- End function
	.set _ZN7rocprim17ROCPRIM_400000_NS6detail17trampoline_kernelINS0_14default_configENS1_38merge_sort_block_merge_config_selectorIhNS0_10empty_typeEEEZZNS1_27merge_sort_block_merge_implIS3_N6thrust23THRUST_200600_302600_NS6detail15normal_iteratorINS9_10device_ptrIhEEEEPS5_m11less_div_10IhEEE10hipError_tT0_T1_T2_jT3_P12ihipStream_tbPNSt15iterator_traitsISJ_E10value_typeEPNSP_ISK_E10value_typeEPSL_NS1_7vsmem_tEENKUlT_SJ_SK_SL_E_clISE_PhSF_SF_EESI_SY_SJ_SK_SL_EUlSY_E1_NS1_11comp_targetILNS1_3genE10ELNS1_11target_archE1201ELNS1_3gpuE5ELNS1_3repE0EEENS1_36merge_oddeven_config_static_selectorELNS0_4arch9wavefront6targetE0EEEvSK_.num_vgpr, 0
	.set _ZN7rocprim17ROCPRIM_400000_NS6detail17trampoline_kernelINS0_14default_configENS1_38merge_sort_block_merge_config_selectorIhNS0_10empty_typeEEEZZNS1_27merge_sort_block_merge_implIS3_N6thrust23THRUST_200600_302600_NS6detail15normal_iteratorINS9_10device_ptrIhEEEEPS5_m11less_div_10IhEEE10hipError_tT0_T1_T2_jT3_P12ihipStream_tbPNSt15iterator_traitsISJ_E10value_typeEPNSP_ISK_E10value_typeEPSL_NS1_7vsmem_tEENKUlT_SJ_SK_SL_E_clISE_PhSF_SF_EESI_SY_SJ_SK_SL_EUlSY_E1_NS1_11comp_targetILNS1_3genE10ELNS1_11target_archE1201ELNS1_3gpuE5ELNS1_3repE0EEENS1_36merge_oddeven_config_static_selectorELNS0_4arch9wavefront6targetE0EEEvSK_.num_agpr, 0
	.set _ZN7rocprim17ROCPRIM_400000_NS6detail17trampoline_kernelINS0_14default_configENS1_38merge_sort_block_merge_config_selectorIhNS0_10empty_typeEEEZZNS1_27merge_sort_block_merge_implIS3_N6thrust23THRUST_200600_302600_NS6detail15normal_iteratorINS9_10device_ptrIhEEEEPS5_m11less_div_10IhEEE10hipError_tT0_T1_T2_jT3_P12ihipStream_tbPNSt15iterator_traitsISJ_E10value_typeEPNSP_ISK_E10value_typeEPSL_NS1_7vsmem_tEENKUlT_SJ_SK_SL_E_clISE_PhSF_SF_EESI_SY_SJ_SK_SL_EUlSY_E1_NS1_11comp_targetILNS1_3genE10ELNS1_11target_archE1201ELNS1_3gpuE5ELNS1_3repE0EEENS1_36merge_oddeven_config_static_selectorELNS0_4arch9wavefront6targetE0EEEvSK_.numbered_sgpr, 0
	.set _ZN7rocprim17ROCPRIM_400000_NS6detail17trampoline_kernelINS0_14default_configENS1_38merge_sort_block_merge_config_selectorIhNS0_10empty_typeEEEZZNS1_27merge_sort_block_merge_implIS3_N6thrust23THRUST_200600_302600_NS6detail15normal_iteratorINS9_10device_ptrIhEEEEPS5_m11less_div_10IhEEE10hipError_tT0_T1_T2_jT3_P12ihipStream_tbPNSt15iterator_traitsISJ_E10value_typeEPNSP_ISK_E10value_typeEPSL_NS1_7vsmem_tEENKUlT_SJ_SK_SL_E_clISE_PhSF_SF_EESI_SY_SJ_SK_SL_EUlSY_E1_NS1_11comp_targetILNS1_3genE10ELNS1_11target_archE1201ELNS1_3gpuE5ELNS1_3repE0EEENS1_36merge_oddeven_config_static_selectorELNS0_4arch9wavefront6targetE0EEEvSK_.num_named_barrier, 0
	.set _ZN7rocprim17ROCPRIM_400000_NS6detail17trampoline_kernelINS0_14default_configENS1_38merge_sort_block_merge_config_selectorIhNS0_10empty_typeEEEZZNS1_27merge_sort_block_merge_implIS3_N6thrust23THRUST_200600_302600_NS6detail15normal_iteratorINS9_10device_ptrIhEEEEPS5_m11less_div_10IhEEE10hipError_tT0_T1_T2_jT3_P12ihipStream_tbPNSt15iterator_traitsISJ_E10value_typeEPNSP_ISK_E10value_typeEPSL_NS1_7vsmem_tEENKUlT_SJ_SK_SL_E_clISE_PhSF_SF_EESI_SY_SJ_SK_SL_EUlSY_E1_NS1_11comp_targetILNS1_3genE10ELNS1_11target_archE1201ELNS1_3gpuE5ELNS1_3repE0EEENS1_36merge_oddeven_config_static_selectorELNS0_4arch9wavefront6targetE0EEEvSK_.private_seg_size, 0
	.set _ZN7rocprim17ROCPRIM_400000_NS6detail17trampoline_kernelINS0_14default_configENS1_38merge_sort_block_merge_config_selectorIhNS0_10empty_typeEEEZZNS1_27merge_sort_block_merge_implIS3_N6thrust23THRUST_200600_302600_NS6detail15normal_iteratorINS9_10device_ptrIhEEEEPS5_m11less_div_10IhEEE10hipError_tT0_T1_T2_jT3_P12ihipStream_tbPNSt15iterator_traitsISJ_E10value_typeEPNSP_ISK_E10value_typeEPSL_NS1_7vsmem_tEENKUlT_SJ_SK_SL_E_clISE_PhSF_SF_EESI_SY_SJ_SK_SL_EUlSY_E1_NS1_11comp_targetILNS1_3genE10ELNS1_11target_archE1201ELNS1_3gpuE5ELNS1_3repE0EEENS1_36merge_oddeven_config_static_selectorELNS0_4arch9wavefront6targetE0EEEvSK_.uses_vcc, 0
	.set _ZN7rocprim17ROCPRIM_400000_NS6detail17trampoline_kernelINS0_14default_configENS1_38merge_sort_block_merge_config_selectorIhNS0_10empty_typeEEEZZNS1_27merge_sort_block_merge_implIS3_N6thrust23THRUST_200600_302600_NS6detail15normal_iteratorINS9_10device_ptrIhEEEEPS5_m11less_div_10IhEEE10hipError_tT0_T1_T2_jT3_P12ihipStream_tbPNSt15iterator_traitsISJ_E10value_typeEPNSP_ISK_E10value_typeEPSL_NS1_7vsmem_tEENKUlT_SJ_SK_SL_E_clISE_PhSF_SF_EESI_SY_SJ_SK_SL_EUlSY_E1_NS1_11comp_targetILNS1_3genE10ELNS1_11target_archE1201ELNS1_3gpuE5ELNS1_3repE0EEENS1_36merge_oddeven_config_static_selectorELNS0_4arch9wavefront6targetE0EEEvSK_.uses_flat_scratch, 0
	.set _ZN7rocprim17ROCPRIM_400000_NS6detail17trampoline_kernelINS0_14default_configENS1_38merge_sort_block_merge_config_selectorIhNS0_10empty_typeEEEZZNS1_27merge_sort_block_merge_implIS3_N6thrust23THRUST_200600_302600_NS6detail15normal_iteratorINS9_10device_ptrIhEEEEPS5_m11less_div_10IhEEE10hipError_tT0_T1_T2_jT3_P12ihipStream_tbPNSt15iterator_traitsISJ_E10value_typeEPNSP_ISK_E10value_typeEPSL_NS1_7vsmem_tEENKUlT_SJ_SK_SL_E_clISE_PhSF_SF_EESI_SY_SJ_SK_SL_EUlSY_E1_NS1_11comp_targetILNS1_3genE10ELNS1_11target_archE1201ELNS1_3gpuE5ELNS1_3repE0EEENS1_36merge_oddeven_config_static_selectorELNS0_4arch9wavefront6targetE0EEEvSK_.has_dyn_sized_stack, 0
	.set _ZN7rocprim17ROCPRIM_400000_NS6detail17trampoline_kernelINS0_14default_configENS1_38merge_sort_block_merge_config_selectorIhNS0_10empty_typeEEEZZNS1_27merge_sort_block_merge_implIS3_N6thrust23THRUST_200600_302600_NS6detail15normal_iteratorINS9_10device_ptrIhEEEEPS5_m11less_div_10IhEEE10hipError_tT0_T1_T2_jT3_P12ihipStream_tbPNSt15iterator_traitsISJ_E10value_typeEPNSP_ISK_E10value_typeEPSL_NS1_7vsmem_tEENKUlT_SJ_SK_SL_E_clISE_PhSF_SF_EESI_SY_SJ_SK_SL_EUlSY_E1_NS1_11comp_targetILNS1_3genE10ELNS1_11target_archE1201ELNS1_3gpuE5ELNS1_3repE0EEENS1_36merge_oddeven_config_static_selectorELNS0_4arch9wavefront6targetE0EEEvSK_.has_recursion, 0
	.set _ZN7rocprim17ROCPRIM_400000_NS6detail17trampoline_kernelINS0_14default_configENS1_38merge_sort_block_merge_config_selectorIhNS0_10empty_typeEEEZZNS1_27merge_sort_block_merge_implIS3_N6thrust23THRUST_200600_302600_NS6detail15normal_iteratorINS9_10device_ptrIhEEEEPS5_m11less_div_10IhEEE10hipError_tT0_T1_T2_jT3_P12ihipStream_tbPNSt15iterator_traitsISJ_E10value_typeEPNSP_ISK_E10value_typeEPSL_NS1_7vsmem_tEENKUlT_SJ_SK_SL_E_clISE_PhSF_SF_EESI_SY_SJ_SK_SL_EUlSY_E1_NS1_11comp_targetILNS1_3genE10ELNS1_11target_archE1201ELNS1_3gpuE5ELNS1_3repE0EEENS1_36merge_oddeven_config_static_selectorELNS0_4arch9wavefront6targetE0EEEvSK_.has_indirect_call, 0
	.section	.AMDGPU.csdata,"",@progbits
; Kernel info:
; codeLenInByte = 0
; TotalNumSgprs: 0
; NumVgprs: 0
; ScratchSize: 0
; MemoryBound: 0
; FloatMode: 240
; IeeeMode: 1
; LDSByteSize: 0 bytes/workgroup (compile time only)
; SGPRBlocks: 0
; VGPRBlocks: 0
; NumSGPRsForWavesPerEU: 1
; NumVGPRsForWavesPerEU: 1
; Occupancy: 16
; WaveLimiterHint : 0
; COMPUTE_PGM_RSRC2:SCRATCH_EN: 0
; COMPUTE_PGM_RSRC2:USER_SGPR: 6
; COMPUTE_PGM_RSRC2:TRAP_HANDLER: 0
; COMPUTE_PGM_RSRC2:TGID_X_EN: 1
; COMPUTE_PGM_RSRC2:TGID_Y_EN: 0
; COMPUTE_PGM_RSRC2:TGID_Z_EN: 0
; COMPUTE_PGM_RSRC2:TIDIG_COMP_CNT: 0
	.section	.text._ZN7rocprim17ROCPRIM_400000_NS6detail17trampoline_kernelINS0_14default_configENS1_38merge_sort_block_merge_config_selectorIhNS0_10empty_typeEEEZZNS1_27merge_sort_block_merge_implIS3_N6thrust23THRUST_200600_302600_NS6detail15normal_iteratorINS9_10device_ptrIhEEEEPS5_m11less_div_10IhEEE10hipError_tT0_T1_T2_jT3_P12ihipStream_tbPNSt15iterator_traitsISJ_E10value_typeEPNSP_ISK_E10value_typeEPSL_NS1_7vsmem_tEENKUlT_SJ_SK_SL_E_clISE_PhSF_SF_EESI_SY_SJ_SK_SL_EUlSY_E1_NS1_11comp_targetILNS1_3genE5ELNS1_11target_archE942ELNS1_3gpuE9ELNS1_3repE0EEENS1_36merge_oddeven_config_static_selectorELNS0_4arch9wavefront6targetE0EEEvSK_,"axG",@progbits,_ZN7rocprim17ROCPRIM_400000_NS6detail17trampoline_kernelINS0_14default_configENS1_38merge_sort_block_merge_config_selectorIhNS0_10empty_typeEEEZZNS1_27merge_sort_block_merge_implIS3_N6thrust23THRUST_200600_302600_NS6detail15normal_iteratorINS9_10device_ptrIhEEEEPS5_m11less_div_10IhEEE10hipError_tT0_T1_T2_jT3_P12ihipStream_tbPNSt15iterator_traitsISJ_E10value_typeEPNSP_ISK_E10value_typeEPSL_NS1_7vsmem_tEENKUlT_SJ_SK_SL_E_clISE_PhSF_SF_EESI_SY_SJ_SK_SL_EUlSY_E1_NS1_11comp_targetILNS1_3genE5ELNS1_11target_archE942ELNS1_3gpuE9ELNS1_3repE0EEENS1_36merge_oddeven_config_static_selectorELNS0_4arch9wavefront6targetE0EEEvSK_,comdat
	.protected	_ZN7rocprim17ROCPRIM_400000_NS6detail17trampoline_kernelINS0_14default_configENS1_38merge_sort_block_merge_config_selectorIhNS0_10empty_typeEEEZZNS1_27merge_sort_block_merge_implIS3_N6thrust23THRUST_200600_302600_NS6detail15normal_iteratorINS9_10device_ptrIhEEEEPS5_m11less_div_10IhEEE10hipError_tT0_T1_T2_jT3_P12ihipStream_tbPNSt15iterator_traitsISJ_E10value_typeEPNSP_ISK_E10value_typeEPSL_NS1_7vsmem_tEENKUlT_SJ_SK_SL_E_clISE_PhSF_SF_EESI_SY_SJ_SK_SL_EUlSY_E1_NS1_11comp_targetILNS1_3genE5ELNS1_11target_archE942ELNS1_3gpuE9ELNS1_3repE0EEENS1_36merge_oddeven_config_static_selectorELNS0_4arch9wavefront6targetE0EEEvSK_ ; -- Begin function _ZN7rocprim17ROCPRIM_400000_NS6detail17trampoline_kernelINS0_14default_configENS1_38merge_sort_block_merge_config_selectorIhNS0_10empty_typeEEEZZNS1_27merge_sort_block_merge_implIS3_N6thrust23THRUST_200600_302600_NS6detail15normal_iteratorINS9_10device_ptrIhEEEEPS5_m11less_div_10IhEEE10hipError_tT0_T1_T2_jT3_P12ihipStream_tbPNSt15iterator_traitsISJ_E10value_typeEPNSP_ISK_E10value_typeEPSL_NS1_7vsmem_tEENKUlT_SJ_SK_SL_E_clISE_PhSF_SF_EESI_SY_SJ_SK_SL_EUlSY_E1_NS1_11comp_targetILNS1_3genE5ELNS1_11target_archE942ELNS1_3gpuE9ELNS1_3repE0EEENS1_36merge_oddeven_config_static_selectorELNS0_4arch9wavefront6targetE0EEEvSK_
	.globl	_ZN7rocprim17ROCPRIM_400000_NS6detail17trampoline_kernelINS0_14default_configENS1_38merge_sort_block_merge_config_selectorIhNS0_10empty_typeEEEZZNS1_27merge_sort_block_merge_implIS3_N6thrust23THRUST_200600_302600_NS6detail15normal_iteratorINS9_10device_ptrIhEEEEPS5_m11less_div_10IhEEE10hipError_tT0_T1_T2_jT3_P12ihipStream_tbPNSt15iterator_traitsISJ_E10value_typeEPNSP_ISK_E10value_typeEPSL_NS1_7vsmem_tEENKUlT_SJ_SK_SL_E_clISE_PhSF_SF_EESI_SY_SJ_SK_SL_EUlSY_E1_NS1_11comp_targetILNS1_3genE5ELNS1_11target_archE942ELNS1_3gpuE9ELNS1_3repE0EEENS1_36merge_oddeven_config_static_selectorELNS0_4arch9wavefront6targetE0EEEvSK_
	.p2align	8
	.type	_ZN7rocprim17ROCPRIM_400000_NS6detail17trampoline_kernelINS0_14default_configENS1_38merge_sort_block_merge_config_selectorIhNS0_10empty_typeEEEZZNS1_27merge_sort_block_merge_implIS3_N6thrust23THRUST_200600_302600_NS6detail15normal_iteratorINS9_10device_ptrIhEEEEPS5_m11less_div_10IhEEE10hipError_tT0_T1_T2_jT3_P12ihipStream_tbPNSt15iterator_traitsISJ_E10value_typeEPNSP_ISK_E10value_typeEPSL_NS1_7vsmem_tEENKUlT_SJ_SK_SL_E_clISE_PhSF_SF_EESI_SY_SJ_SK_SL_EUlSY_E1_NS1_11comp_targetILNS1_3genE5ELNS1_11target_archE942ELNS1_3gpuE9ELNS1_3repE0EEENS1_36merge_oddeven_config_static_selectorELNS0_4arch9wavefront6targetE0EEEvSK_,@function
_ZN7rocprim17ROCPRIM_400000_NS6detail17trampoline_kernelINS0_14default_configENS1_38merge_sort_block_merge_config_selectorIhNS0_10empty_typeEEEZZNS1_27merge_sort_block_merge_implIS3_N6thrust23THRUST_200600_302600_NS6detail15normal_iteratorINS9_10device_ptrIhEEEEPS5_m11less_div_10IhEEE10hipError_tT0_T1_T2_jT3_P12ihipStream_tbPNSt15iterator_traitsISJ_E10value_typeEPNSP_ISK_E10value_typeEPSL_NS1_7vsmem_tEENKUlT_SJ_SK_SL_E_clISE_PhSF_SF_EESI_SY_SJ_SK_SL_EUlSY_E1_NS1_11comp_targetILNS1_3genE5ELNS1_11target_archE942ELNS1_3gpuE9ELNS1_3repE0EEENS1_36merge_oddeven_config_static_selectorELNS0_4arch9wavefront6targetE0EEEvSK_: ; @_ZN7rocprim17ROCPRIM_400000_NS6detail17trampoline_kernelINS0_14default_configENS1_38merge_sort_block_merge_config_selectorIhNS0_10empty_typeEEEZZNS1_27merge_sort_block_merge_implIS3_N6thrust23THRUST_200600_302600_NS6detail15normal_iteratorINS9_10device_ptrIhEEEEPS5_m11less_div_10IhEEE10hipError_tT0_T1_T2_jT3_P12ihipStream_tbPNSt15iterator_traitsISJ_E10value_typeEPNSP_ISK_E10value_typeEPSL_NS1_7vsmem_tEENKUlT_SJ_SK_SL_E_clISE_PhSF_SF_EESI_SY_SJ_SK_SL_EUlSY_E1_NS1_11comp_targetILNS1_3genE5ELNS1_11target_archE942ELNS1_3gpuE9ELNS1_3repE0EEENS1_36merge_oddeven_config_static_selectorELNS0_4arch9wavefront6targetE0EEEvSK_
; %bb.0:
	.section	.rodata,"a",@progbits
	.p2align	6, 0x0
	.amdhsa_kernel _ZN7rocprim17ROCPRIM_400000_NS6detail17trampoline_kernelINS0_14default_configENS1_38merge_sort_block_merge_config_selectorIhNS0_10empty_typeEEEZZNS1_27merge_sort_block_merge_implIS3_N6thrust23THRUST_200600_302600_NS6detail15normal_iteratorINS9_10device_ptrIhEEEEPS5_m11less_div_10IhEEE10hipError_tT0_T1_T2_jT3_P12ihipStream_tbPNSt15iterator_traitsISJ_E10value_typeEPNSP_ISK_E10value_typeEPSL_NS1_7vsmem_tEENKUlT_SJ_SK_SL_E_clISE_PhSF_SF_EESI_SY_SJ_SK_SL_EUlSY_E1_NS1_11comp_targetILNS1_3genE5ELNS1_11target_archE942ELNS1_3gpuE9ELNS1_3repE0EEENS1_36merge_oddeven_config_static_selectorELNS0_4arch9wavefront6targetE0EEEvSK_
		.amdhsa_group_segment_fixed_size 0
		.amdhsa_private_segment_fixed_size 0
		.amdhsa_kernarg_size 56
		.amdhsa_user_sgpr_count 6
		.amdhsa_user_sgpr_private_segment_buffer 1
		.amdhsa_user_sgpr_dispatch_ptr 0
		.amdhsa_user_sgpr_queue_ptr 0
		.amdhsa_user_sgpr_kernarg_segment_ptr 1
		.amdhsa_user_sgpr_dispatch_id 0
		.amdhsa_user_sgpr_flat_scratch_init 0
		.amdhsa_user_sgpr_private_segment_size 0
		.amdhsa_wavefront_size32 1
		.amdhsa_uses_dynamic_stack 0
		.amdhsa_system_sgpr_private_segment_wavefront_offset 0
		.amdhsa_system_sgpr_workgroup_id_x 1
		.amdhsa_system_sgpr_workgroup_id_y 0
		.amdhsa_system_sgpr_workgroup_id_z 0
		.amdhsa_system_sgpr_workgroup_info 0
		.amdhsa_system_vgpr_workitem_id 0
		.amdhsa_next_free_vgpr 1
		.amdhsa_next_free_sgpr 1
		.amdhsa_reserve_vcc 0
		.amdhsa_reserve_flat_scratch 0
		.amdhsa_float_round_mode_32 0
		.amdhsa_float_round_mode_16_64 0
		.amdhsa_float_denorm_mode_32 3
		.amdhsa_float_denorm_mode_16_64 3
		.amdhsa_dx10_clamp 1
		.amdhsa_ieee_mode 1
		.amdhsa_fp16_overflow 0
		.amdhsa_workgroup_processor_mode 1
		.amdhsa_memory_ordered 1
		.amdhsa_forward_progress 1
		.amdhsa_shared_vgpr_count 0
		.amdhsa_exception_fp_ieee_invalid_op 0
		.amdhsa_exception_fp_denorm_src 0
		.amdhsa_exception_fp_ieee_div_zero 0
		.amdhsa_exception_fp_ieee_overflow 0
		.amdhsa_exception_fp_ieee_underflow 0
		.amdhsa_exception_fp_ieee_inexact 0
		.amdhsa_exception_int_div_zero 0
	.end_amdhsa_kernel
	.section	.text._ZN7rocprim17ROCPRIM_400000_NS6detail17trampoline_kernelINS0_14default_configENS1_38merge_sort_block_merge_config_selectorIhNS0_10empty_typeEEEZZNS1_27merge_sort_block_merge_implIS3_N6thrust23THRUST_200600_302600_NS6detail15normal_iteratorINS9_10device_ptrIhEEEEPS5_m11less_div_10IhEEE10hipError_tT0_T1_T2_jT3_P12ihipStream_tbPNSt15iterator_traitsISJ_E10value_typeEPNSP_ISK_E10value_typeEPSL_NS1_7vsmem_tEENKUlT_SJ_SK_SL_E_clISE_PhSF_SF_EESI_SY_SJ_SK_SL_EUlSY_E1_NS1_11comp_targetILNS1_3genE5ELNS1_11target_archE942ELNS1_3gpuE9ELNS1_3repE0EEENS1_36merge_oddeven_config_static_selectorELNS0_4arch9wavefront6targetE0EEEvSK_,"axG",@progbits,_ZN7rocprim17ROCPRIM_400000_NS6detail17trampoline_kernelINS0_14default_configENS1_38merge_sort_block_merge_config_selectorIhNS0_10empty_typeEEEZZNS1_27merge_sort_block_merge_implIS3_N6thrust23THRUST_200600_302600_NS6detail15normal_iteratorINS9_10device_ptrIhEEEEPS5_m11less_div_10IhEEE10hipError_tT0_T1_T2_jT3_P12ihipStream_tbPNSt15iterator_traitsISJ_E10value_typeEPNSP_ISK_E10value_typeEPSL_NS1_7vsmem_tEENKUlT_SJ_SK_SL_E_clISE_PhSF_SF_EESI_SY_SJ_SK_SL_EUlSY_E1_NS1_11comp_targetILNS1_3genE5ELNS1_11target_archE942ELNS1_3gpuE9ELNS1_3repE0EEENS1_36merge_oddeven_config_static_selectorELNS0_4arch9wavefront6targetE0EEEvSK_,comdat
.Lfunc_end735:
	.size	_ZN7rocprim17ROCPRIM_400000_NS6detail17trampoline_kernelINS0_14default_configENS1_38merge_sort_block_merge_config_selectorIhNS0_10empty_typeEEEZZNS1_27merge_sort_block_merge_implIS3_N6thrust23THRUST_200600_302600_NS6detail15normal_iteratorINS9_10device_ptrIhEEEEPS5_m11less_div_10IhEEE10hipError_tT0_T1_T2_jT3_P12ihipStream_tbPNSt15iterator_traitsISJ_E10value_typeEPNSP_ISK_E10value_typeEPSL_NS1_7vsmem_tEENKUlT_SJ_SK_SL_E_clISE_PhSF_SF_EESI_SY_SJ_SK_SL_EUlSY_E1_NS1_11comp_targetILNS1_3genE5ELNS1_11target_archE942ELNS1_3gpuE9ELNS1_3repE0EEENS1_36merge_oddeven_config_static_selectorELNS0_4arch9wavefront6targetE0EEEvSK_, .Lfunc_end735-_ZN7rocprim17ROCPRIM_400000_NS6detail17trampoline_kernelINS0_14default_configENS1_38merge_sort_block_merge_config_selectorIhNS0_10empty_typeEEEZZNS1_27merge_sort_block_merge_implIS3_N6thrust23THRUST_200600_302600_NS6detail15normal_iteratorINS9_10device_ptrIhEEEEPS5_m11less_div_10IhEEE10hipError_tT0_T1_T2_jT3_P12ihipStream_tbPNSt15iterator_traitsISJ_E10value_typeEPNSP_ISK_E10value_typeEPSL_NS1_7vsmem_tEENKUlT_SJ_SK_SL_E_clISE_PhSF_SF_EESI_SY_SJ_SK_SL_EUlSY_E1_NS1_11comp_targetILNS1_3genE5ELNS1_11target_archE942ELNS1_3gpuE9ELNS1_3repE0EEENS1_36merge_oddeven_config_static_selectorELNS0_4arch9wavefront6targetE0EEEvSK_
                                        ; -- End function
	.set _ZN7rocprim17ROCPRIM_400000_NS6detail17trampoline_kernelINS0_14default_configENS1_38merge_sort_block_merge_config_selectorIhNS0_10empty_typeEEEZZNS1_27merge_sort_block_merge_implIS3_N6thrust23THRUST_200600_302600_NS6detail15normal_iteratorINS9_10device_ptrIhEEEEPS5_m11less_div_10IhEEE10hipError_tT0_T1_T2_jT3_P12ihipStream_tbPNSt15iterator_traitsISJ_E10value_typeEPNSP_ISK_E10value_typeEPSL_NS1_7vsmem_tEENKUlT_SJ_SK_SL_E_clISE_PhSF_SF_EESI_SY_SJ_SK_SL_EUlSY_E1_NS1_11comp_targetILNS1_3genE5ELNS1_11target_archE942ELNS1_3gpuE9ELNS1_3repE0EEENS1_36merge_oddeven_config_static_selectorELNS0_4arch9wavefront6targetE0EEEvSK_.num_vgpr, 0
	.set _ZN7rocprim17ROCPRIM_400000_NS6detail17trampoline_kernelINS0_14default_configENS1_38merge_sort_block_merge_config_selectorIhNS0_10empty_typeEEEZZNS1_27merge_sort_block_merge_implIS3_N6thrust23THRUST_200600_302600_NS6detail15normal_iteratorINS9_10device_ptrIhEEEEPS5_m11less_div_10IhEEE10hipError_tT0_T1_T2_jT3_P12ihipStream_tbPNSt15iterator_traitsISJ_E10value_typeEPNSP_ISK_E10value_typeEPSL_NS1_7vsmem_tEENKUlT_SJ_SK_SL_E_clISE_PhSF_SF_EESI_SY_SJ_SK_SL_EUlSY_E1_NS1_11comp_targetILNS1_3genE5ELNS1_11target_archE942ELNS1_3gpuE9ELNS1_3repE0EEENS1_36merge_oddeven_config_static_selectorELNS0_4arch9wavefront6targetE0EEEvSK_.num_agpr, 0
	.set _ZN7rocprim17ROCPRIM_400000_NS6detail17trampoline_kernelINS0_14default_configENS1_38merge_sort_block_merge_config_selectorIhNS0_10empty_typeEEEZZNS1_27merge_sort_block_merge_implIS3_N6thrust23THRUST_200600_302600_NS6detail15normal_iteratorINS9_10device_ptrIhEEEEPS5_m11less_div_10IhEEE10hipError_tT0_T1_T2_jT3_P12ihipStream_tbPNSt15iterator_traitsISJ_E10value_typeEPNSP_ISK_E10value_typeEPSL_NS1_7vsmem_tEENKUlT_SJ_SK_SL_E_clISE_PhSF_SF_EESI_SY_SJ_SK_SL_EUlSY_E1_NS1_11comp_targetILNS1_3genE5ELNS1_11target_archE942ELNS1_3gpuE9ELNS1_3repE0EEENS1_36merge_oddeven_config_static_selectorELNS0_4arch9wavefront6targetE0EEEvSK_.numbered_sgpr, 0
	.set _ZN7rocprim17ROCPRIM_400000_NS6detail17trampoline_kernelINS0_14default_configENS1_38merge_sort_block_merge_config_selectorIhNS0_10empty_typeEEEZZNS1_27merge_sort_block_merge_implIS3_N6thrust23THRUST_200600_302600_NS6detail15normal_iteratorINS9_10device_ptrIhEEEEPS5_m11less_div_10IhEEE10hipError_tT0_T1_T2_jT3_P12ihipStream_tbPNSt15iterator_traitsISJ_E10value_typeEPNSP_ISK_E10value_typeEPSL_NS1_7vsmem_tEENKUlT_SJ_SK_SL_E_clISE_PhSF_SF_EESI_SY_SJ_SK_SL_EUlSY_E1_NS1_11comp_targetILNS1_3genE5ELNS1_11target_archE942ELNS1_3gpuE9ELNS1_3repE0EEENS1_36merge_oddeven_config_static_selectorELNS0_4arch9wavefront6targetE0EEEvSK_.num_named_barrier, 0
	.set _ZN7rocprim17ROCPRIM_400000_NS6detail17trampoline_kernelINS0_14default_configENS1_38merge_sort_block_merge_config_selectorIhNS0_10empty_typeEEEZZNS1_27merge_sort_block_merge_implIS3_N6thrust23THRUST_200600_302600_NS6detail15normal_iteratorINS9_10device_ptrIhEEEEPS5_m11less_div_10IhEEE10hipError_tT0_T1_T2_jT3_P12ihipStream_tbPNSt15iterator_traitsISJ_E10value_typeEPNSP_ISK_E10value_typeEPSL_NS1_7vsmem_tEENKUlT_SJ_SK_SL_E_clISE_PhSF_SF_EESI_SY_SJ_SK_SL_EUlSY_E1_NS1_11comp_targetILNS1_3genE5ELNS1_11target_archE942ELNS1_3gpuE9ELNS1_3repE0EEENS1_36merge_oddeven_config_static_selectorELNS0_4arch9wavefront6targetE0EEEvSK_.private_seg_size, 0
	.set _ZN7rocprim17ROCPRIM_400000_NS6detail17trampoline_kernelINS0_14default_configENS1_38merge_sort_block_merge_config_selectorIhNS0_10empty_typeEEEZZNS1_27merge_sort_block_merge_implIS3_N6thrust23THRUST_200600_302600_NS6detail15normal_iteratorINS9_10device_ptrIhEEEEPS5_m11less_div_10IhEEE10hipError_tT0_T1_T2_jT3_P12ihipStream_tbPNSt15iterator_traitsISJ_E10value_typeEPNSP_ISK_E10value_typeEPSL_NS1_7vsmem_tEENKUlT_SJ_SK_SL_E_clISE_PhSF_SF_EESI_SY_SJ_SK_SL_EUlSY_E1_NS1_11comp_targetILNS1_3genE5ELNS1_11target_archE942ELNS1_3gpuE9ELNS1_3repE0EEENS1_36merge_oddeven_config_static_selectorELNS0_4arch9wavefront6targetE0EEEvSK_.uses_vcc, 0
	.set _ZN7rocprim17ROCPRIM_400000_NS6detail17trampoline_kernelINS0_14default_configENS1_38merge_sort_block_merge_config_selectorIhNS0_10empty_typeEEEZZNS1_27merge_sort_block_merge_implIS3_N6thrust23THRUST_200600_302600_NS6detail15normal_iteratorINS9_10device_ptrIhEEEEPS5_m11less_div_10IhEEE10hipError_tT0_T1_T2_jT3_P12ihipStream_tbPNSt15iterator_traitsISJ_E10value_typeEPNSP_ISK_E10value_typeEPSL_NS1_7vsmem_tEENKUlT_SJ_SK_SL_E_clISE_PhSF_SF_EESI_SY_SJ_SK_SL_EUlSY_E1_NS1_11comp_targetILNS1_3genE5ELNS1_11target_archE942ELNS1_3gpuE9ELNS1_3repE0EEENS1_36merge_oddeven_config_static_selectorELNS0_4arch9wavefront6targetE0EEEvSK_.uses_flat_scratch, 0
	.set _ZN7rocprim17ROCPRIM_400000_NS6detail17trampoline_kernelINS0_14default_configENS1_38merge_sort_block_merge_config_selectorIhNS0_10empty_typeEEEZZNS1_27merge_sort_block_merge_implIS3_N6thrust23THRUST_200600_302600_NS6detail15normal_iteratorINS9_10device_ptrIhEEEEPS5_m11less_div_10IhEEE10hipError_tT0_T1_T2_jT3_P12ihipStream_tbPNSt15iterator_traitsISJ_E10value_typeEPNSP_ISK_E10value_typeEPSL_NS1_7vsmem_tEENKUlT_SJ_SK_SL_E_clISE_PhSF_SF_EESI_SY_SJ_SK_SL_EUlSY_E1_NS1_11comp_targetILNS1_3genE5ELNS1_11target_archE942ELNS1_3gpuE9ELNS1_3repE0EEENS1_36merge_oddeven_config_static_selectorELNS0_4arch9wavefront6targetE0EEEvSK_.has_dyn_sized_stack, 0
	.set _ZN7rocprim17ROCPRIM_400000_NS6detail17trampoline_kernelINS0_14default_configENS1_38merge_sort_block_merge_config_selectorIhNS0_10empty_typeEEEZZNS1_27merge_sort_block_merge_implIS3_N6thrust23THRUST_200600_302600_NS6detail15normal_iteratorINS9_10device_ptrIhEEEEPS5_m11less_div_10IhEEE10hipError_tT0_T1_T2_jT3_P12ihipStream_tbPNSt15iterator_traitsISJ_E10value_typeEPNSP_ISK_E10value_typeEPSL_NS1_7vsmem_tEENKUlT_SJ_SK_SL_E_clISE_PhSF_SF_EESI_SY_SJ_SK_SL_EUlSY_E1_NS1_11comp_targetILNS1_3genE5ELNS1_11target_archE942ELNS1_3gpuE9ELNS1_3repE0EEENS1_36merge_oddeven_config_static_selectorELNS0_4arch9wavefront6targetE0EEEvSK_.has_recursion, 0
	.set _ZN7rocprim17ROCPRIM_400000_NS6detail17trampoline_kernelINS0_14default_configENS1_38merge_sort_block_merge_config_selectorIhNS0_10empty_typeEEEZZNS1_27merge_sort_block_merge_implIS3_N6thrust23THRUST_200600_302600_NS6detail15normal_iteratorINS9_10device_ptrIhEEEEPS5_m11less_div_10IhEEE10hipError_tT0_T1_T2_jT3_P12ihipStream_tbPNSt15iterator_traitsISJ_E10value_typeEPNSP_ISK_E10value_typeEPSL_NS1_7vsmem_tEENKUlT_SJ_SK_SL_E_clISE_PhSF_SF_EESI_SY_SJ_SK_SL_EUlSY_E1_NS1_11comp_targetILNS1_3genE5ELNS1_11target_archE942ELNS1_3gpuE9ELNS1_3repE0EEENS1_36merge_oddeven_config_static_selectorELNS0_4arch9wavefront6targetE0EEEvSK_.has_indirect_call, 0
	.section	.AMDGPU.csdata,"",@progbits
; Kernel info:
; codeLenInByte = 0
; TotalNumSgprs: 0
; NumVgprs: 0
; ScratchSize: 0
; MemoryBound: 0
; FloatMode: 240
; IeeeMode: 1
; LDSByteSize: 0 bytes/workgroup (compile time only)
; SGPRBlocks: 0
; VGPRBlocks: 0
; NumSGPRsForWavesPerEU: 1
; NumVGPRsForWavesPerEU: 1
; Occupancy: 16
; WaveLimiterHint : 0
; COMPUTE_PGM_RSRC2:SCRATCH_EN: 0
; COMPUTE_PGM_RSRC2:USER_SGPR: 6
; COMPUTE_PGM_RSRC2:TRAP_HANDLER: 0
; COMPUTE_PGM_RSRC2:TGID_X_EN: 1
; COMPUTE_PGM_RSRC2:TGID_Y_EN: 0
; COMPUTE_PGM_RSRC2:TGID_Z_EN: 0
; COMPUTE_PGM_RSRC2:TIDIG_COMP_CNT: 0
	.section	.text._ZN7rocprim17ROCPRIM_400000_NS6detail17trampoline_kernelINS0_14default_configENS1_38merge_sort_block_merge_config_selectorIhNS0_10empty_typeEEEZZNS1_27merge_sort_block_merge_implIS3_N6thrust23THRUST_200600_302600_NS6detail15normal_iteratorINS9_10device_ptrIhEEEEPS5_m11less_div_10IhEEE10hipError_tT0_T1_T2_jT3_P12ihipStream_tbPNSt15iterator_traitsISJ_E10value_typeEPNSP_ISK_E10value_typeEPSL_NS1_7vsmem_tEENKUlT_SJ_SK_SL_E_clISE_PhSF_SF_EESI_SY_SJ_SK_SL_EUlSY_E1_NS1_11comp_targetILNS1_3genE4ELNS1_11target_archE910ELNS1_3gpuE8ELNS1_3repE0EEENS1_36merge_oddeven_config_static_selectorELNS0_4arch9wavefront6targetE0EEEvSK_,"axG",@progbits,_ZN7rocprim17ROCPRIM_400000_NS6detail17trampoline_kernelINS0_14default_configENS1_38merge_sort_block_merge_config_selectorIhNS0_10empty_typeEEEZZNS1_27merge_sort_block_merge_implIS3_N6thrust23THRUST_200600_302600_NS6detail15normal_iteratorINS9_10device_ptrIhEEEEPS5_m11less_div_10IhEEE10hipError_tT0_T1_T2_jT3_P12ihipStream_tbPNSt15iterator_traitsISJ_E10value_typeEPNSP_ISK_E10value_typeEPSL_NS1_7vsmem_tEENKUlT_SJ_SK_SL_E_clISE_PhSF_SF_EESI_SY_SJ_SK_SL_EUlSY_E1_NS1_11comp_targetILNS1_3genE4ELNS1_11target_archE910ELNS1_3gpuE8ELNS1_3repE0EEENS1_36merge_oddeven_config_static_selectorELNS0_4arch9wavefront6targetE0EEEvSK_,comdat
	.protected	_ZN7rocprim17ROCPRIM_400000_NS6detail17trampoline_kernelINS0_14default_configENS1_38merge_sort_block_merge_config_selectorIhNS0_10empty_typeEEEZZNS1_27merge_sort_block_merge_implIS3_N6thrust23THRUST_200600_302600_NS6detail15normal_iteratorINS9_10device_ptrIhEEEEPS5_m11less_div_10IhEEE10hipError_tT0_T1_T2_jT3_P12ihipStream_tbPNSt15iterator_traitsISJ_E10value_typeEPNSP_ISK_E10value_typeEPSL_NS1_7vsmem_tEENKUlT_SJ_SK_SL_E_clISE_PhSF_SF_EESI_SY_SJ_SK_SL_EUlSY_E1_NS1_11comp_targetILNS1_3genE4ELNS1_11target_archE910ELNS1_3gpuE8ELNS1_3repE0EEENS1_36merge_oddeven_config_static_selectorELNS0_4arch9wavefront6targetE0EEEvSK_ ; -- Begin function _ZN7rocprim17ROCPRIM_400000_NS6detail17trampoline_kernelINS0_14default_configENS1_38merge_sort_block_merge_config_selectorIhNS0_10empty_typeEEEZZNS1_27merge_sort_block_merge_implIS3_N6thrust23THRUST_200600_302600_NS6detail15normal_iteratorINS9_10device_ptrIhEEEEPS5_m11less_div_10IhEEE10hipError_tT0_T1_T2_jT3_P12ihipStream_tbPNSt15iterator_traitsISJ_E10value_typeEPNSP_ISK_E10value_typeEPSL_NS1_7vsmem_tEENKUlT_SJ_SK_SL_E_clISE_PhSF_SF_EESI_SY_SJ_SK_SL_EUlSY_E1_NS1_11comp_targetILNS1_3genE4ELNS1_11target_archE910ELNS1_3gpuE8ELNS1_3repE0EEENS1_36merge_oddeven_config_static_selectorELNS0_4arch9wavefront6targetE0EEEvSK_
	.globl	_ZN7rocprim17ROCPRIM_400000_NS6detail17trampoline_kernelINS0_14default_configENS1_38merge_sort_block_merge_config_selectorIhNS0_10empty_typeEEEZZNS1_27merge_sort_block_merge_implIS3_N6thrust23THRUST_200600_302600_NS6detail15normal_iteratorINS9_10device_ptrIhEEEEPS5_m11less_div_10IhEEE10hipError_tT0_T1_T2_jT3_P12ihipStream_tbPNSt15iterator_traitsISJ_E10value_typeEPNSP_ISK_E10value_typeEPSL_NS1_7vsmem_tEENKUlT_SJ_SK_SL_E_clISE_PhSF_SF_EESI_SY_SJ_SK_SL_EUlSY_E1_NS1_11comp_targetILNS1_3genE4ELNS1_11target_archE910ELNS1_3gpuE8ELNS1_3repE0EEENS1_36merge_oddeven_config_static_selectorELNS0_4arch9wavefront6targetE0EEEvSK_
	.p2align	8
	.type	_ZN7rocprim17ROCPRIM_400000_NS6detail17trampoline_kernelINS0_14default_configENS1_38merge_sort_block_merge_config_selectorIhNS0_10empty_typeEEEZZNS1_27merge_sort_block_merge_implIS3_N6thrust23THRUST_200600_302600_NS6detail15normal_iteratorINS9_10device_ptrIhEEEEPS5_m11less_div_10IhEEE10hipError_tT0_T1_T2_jT3_P12ihipStream_tbPNSt15iterator_traitsISJ_E10value_typeEPNSP_ISK_E10value_typeEPSL_NS1_7vsmem_tEENKUlT_SJ_SK_SL_E_clISE_PhSF_SF_EESI_SY_SJ_SK_SL_EUlSY_E1_NS1_11comp_targetILNS1_3genE4ELNS1_11target_archE910ELNS1_3gpuE8ELNS1_3repE0EEENS1_36merge_oddeven_config_static_selectorELNS0_4arch9wavefront6targetE0EEEvSK_,@function
_ZN7rocprim17ROCPRIM_400000_NS6detail17trampoline_kernelINS0_14default_configENS1_38merge_sort_block_merge_config_selectorIhNS0_10empty_typeEEEZZNS1_27merge_sort_block_merge_implIS3_N6thrust23THRUST_200600_302600_NS6detail15normal_iteratorINS9_10device_ptrIhEEEEPS5_m11less_div_10IhEEE10hipError_tT0_T1_T2_jT3_P12ihipStream_tbPNSt15iterator_traitsISJ_E10value_typeEPNSP_ISK_E10value_typeEPSL_NS1_7vsmem_tEENKUlT_SJ_SK_SL_E_clISE_PhSF_SF_EESI_SY_SJ_SK_SL_EUlSY_E1_NS1_11comp_targetILNS1_3genE4ELNS1_11target_archE910ELNS1_3gpuE8ELNS1_3repE0EEENS1_36merge_oddeven_config_static_selectorELNS0_4arch9wavefront6targetE0EEEvSK_: ; @_ZN7rocprim17ROCPRIM_400000_NS6detail17trampoline_kernelINS0_14default_configENS1_38merge_sort_block_merge_config_selectorIhNS0_10empty_typeEEEZZNS1_27merge_sort_block_merge_implIS3_N6thrust23THRUST_200600_302600_NS6detail15normal_iteratorINS9_10device_ptrIhEEEEPS5_m11less_div_10IhEEE10hipError_tT0_T1_T2_jT3_P12ihipStream_tbPNSt15iterator_traitsISJ_E10value_typeEPNSP_ISK_E10value_typeEPSL_NS1_7vsmem_tEENKUlT_SJ_SK_SL_E_clISE_PhSF_SF_EESI_SY_SJ_SK_SL_EUlSY_E1_NS1_11comp_targetILNS1_3genE4ELNS1_11target_archE910ELNS1_3gpuE8ELNS1_3repE0EEENS1_36merge_oddeven_config_static_selectorELNS0_4arch9wavefront6targetE0EEEvSK_
; %bb.0:
	.section	.rodata,"a",@progbits
	.p2align	6, 0x0
	.amdhsa_kernel _ZN7rocprim17ROCPRIM_400000_NS6detail17trampoline_kernelINS0_14default_configENS1_38merge_sort_block_merge_config_selectorIhNS0_10empty_typeEEEZZNS1_27merge_sort_block_merge_implIS3_N6thrust23THRUST_200600_302600_NS6detail15normal_iteratorINS9_10device_ptrIhEEEEPS5_m11less_div_10IhEEE10hipError_tT0_T1_T2_jT3_P12ihipStream_tbPNSt15iterator_traitsISJ_E10value_typeEPNSP_ISK_E10value_typeEPSL_NS1_7vsmem_tEENKUlT_SJ_SK_SL_E_clISE_PhSF_SF_EESI_SY_SJ_SK_SL_EUlSY_E1_NS1_11comp_targetILNS1_3genE4ELNS1_11target_archE910ELNS1_3gpuE8ELNS1_3repE0EEENS1_36merge_oddeven_config_static_selectorELNS0_4arch9wavefront6targetE0EEEvSK_
		.amdhsa_group_segment_fixed_size 0
		.amdhsa_private_segment_fixed_size 0
		.amdhsa_kernarg_size 56
		.amdhsa_user_sgpr_count 6
		.amdhsa_user_sgpr_private_segment_buffer 1
		.amdhsa_user_sgpr_dispatch_ptr 0
		.amdhsa_user_sgpr_queue_ptr 0
		.amdhsa_user_sgpr_kernarg_segment_ptr 1
		.amdhsa_user_sgpr_dispatch_id 0
		.amdhsa_user_sgpr_flat_scratch_init 0
		.amdhsa_user_sgpr_private_segment_size 0
		.amdhsa_wavefront_size32 1
		.amdhsa_uses_dynamic_stack 0
		.amdhsa_system_sgpr_private_segment_wavefront_offset 0
		.amdhsa_system_sgpr_workgroup_id_x 1
		.amdhsa_system_sgpr_workgroup_id_y 0
		.amdhsa_system_sgpr_workgroup_id_z 0
		.amdhsa_system_sgpr_workgroup_info 0
		.amdhsa_system_vgpr_workitem_id 0
		.amdhsa_next_free_vgpr 1
		.amdhsa_next_free_sgpr 1
		.amdhsa_reserve_vcc 0
		.amdhsa_reserve_flat_scratch 0
		.amdhsa_float_round_mode_32 0
		.amdhsa_float_round_mode_16_64 0
		.amdhsa_float_denorm_mode_32 3
		.amdhsa_float_denorm_mode_16_64 3
		.amdhsa_dx10_clamp 1
		.amdhsa_ieee_mode 1
		.amdhsa_fp16_overflow 0
		.amdhsa_workgroup_processor_mode 1
		.amdhsa_memory_ordered 1
		.amdhsa_forward_progress 1
		.amdhsa_shared_vgpr_count 0
		.amdhsa_exception_fp_ieee_invalid_op 0
		.amdhsa_exception_fp_denorm_src 0
		.amdhsa_exception_fp_ieee_div_zero 0
		.amdhsa_exception_fp_ieee_overflow 0
		.amdhsa_exception_fp_ieee_underflow 0
		.amdhsa_exception_fp_ieee_inexact 0
		.amdhsa_exception_int_div_zero 0
	.end_amdhsa_kernel
	.section	.text._ZN7rocprim17ROCPRIM_400000_NS6detail17trampoline_kernelINS0_14default_configENS1_38merge_sort_block_merge_config_selectorIhNS0_10empty_typeEEEZZNS1_27merge_sort_block_merge_implIS3_N6thrust23THRUST_200600_302600_NS6detail15normal_iteratorINS9_10device_ptrIhEEEEPS5_m11less_div_10IhEEE10hipError_tT0_T1_T2_jT3_P12ihipStream_tbPNSt15iterator_traitsISJ_E10value_typeEPNSP_ISK_E10value_typeEPSL_NS1_7vsmem_tEENKUlT_SJ_SK_SL_E_clISE_PhSF_SF_EESI_SY_SJ_SK_SL_EUlSY_E1_NS1_11comp_targetILNS1_3genE4ELNS1_11target_archE910ELNS1_3gpuE8ELNS1_3repE0EEENS1_36merge_oddeven_config_static_selectorELNS0_4arch9wavefront6targetE0EEEvSK_,"axG",@progbits,_ZN7rocprim17ROCPRIM_400000_NS6detail17trampoline_kernelINS0_14default_configENS1_38merge_sort_block_merge_config_selectorIhNS0_10empty_typeEEEZZNS1_27merge_sort_block_merge_implIS3_N6thrust23THRUST_200600_302600_NS6detail15normal_iteratorINS9_10device_ptrIhEEEEPS5_m11less_div_10IhEEE10hipError_tT0_T1_T2_jT3_P12ihipStream_tbPNSt15iterator_traitsISJ_E10value_typeEPNSP_ISK_E10value_typeEPSL_NS1_7vsmem_tEENKUlT_SJ_SK_SL_E_clISE_PhSF_SF_EESI_SY_SJ_SK_SL_EUlSY_E1_NS1_11comp_targetILNS1_3genE4ELNS1_11target_archE910ELNS1_3gpuE8ELNS1_3repE0EEENS1_36merge_oddeven_config_static_selectorELNS0_4arch9wavefront6targetE0EEEvSK_,comdat
.Lfunc_end736:
	.size	_ZN7rocprim17ROCPRIM_400000_NS6detail17trampoline_kernelINS0_14default_configENS1_38merge_sort_block_merge_config_selectorIhNS0_10empty_typeEEEZZNS1_27merge_sort_block_merge_implIS3_N6thrust23THRUST_200600_302600_NS6detail15normal_iteratorINS9_10device_ptrIhEEEEPS5_m11less_div_10IhEEE10hipError_tT0_T1_T2_jT3_P12ihipStream_tbPNSt15iterator_traitsISJ_E10value_typeEPNSP_ISK_E10value_typeEPSL_NS1_7vsmem_tEENKUlT_SJ_SK_SL_E_clISE_PhSF_SF_EESI_SY_SJ_SK_SL_EUlSY_E1_NS1_11comp_targetILNS1_3genE4ELNS1_11target_archE910ELNS1_3gpuE8ELNS1_3repE0EEENS1_36merge_oddeven_config_static_selectorELNS0_4arch9wavefront6targetE0EEEvSK_, .Lfunc_end736-_ZN7rocprim17ROCPRIM_400000_NS6detail17trampoline_kernelINS0_14default_configENS1_38merge_sort_block_merge_config_selectorIhNS0_10empty_typeEEEZZNS1_27merge_sort_block_merge_implIS3_N6thrust23THRUST_200600_302600_NS6detail15normal_iteratorINS9_10device_ptrIhEEEEPS5_m11less_div_10IhEEE10hipError_tT0_T1_T2_jT3_P12ihipStream_tbPNSt15iterator_traitsISJ_E10value_typeEPNSP_ISK_E10value_typeEPSL_NS1_7vsmem_tEENKUlT_SJ_SK_SL_E_clISE_PhSF_SF_EESI_SY_SJ_SK_SL_EUlSY_E1_NS1_11comp_targetILNS1_3genE4ELNS1_11target_archE910ELNS1_3gpuE8ELNS1_3repE0EEENS1_36merge_oddeven_config_static_selectorELNS0_4arch9wavefront6targetE0EEEvSK_
                                        ; -- End function
	.set _ZN7rocprim17ROCPRIM_400000_NS6detail17trampoline_kernelINS0_14default_configENS1_38merge_sort_block_merge_config_selectorIhNS0_10empty_typeEEEZZNS1_27merge_sort_block_merge_implIS3_N6thrust23THRUST_200600_302600_NS6detail15normal_iteratorINS9_10device_ptrIhEEEEPS5_m11less_div_10IhEEE10hipError_tT0_T1_T2_jT3_P12ihipStream_tbPNSt15iterator_traitsISJ_E10value_typeEPNSP_ISK_E10value_typeEPSL_NS1_7vsmem_tEENKUlT_SJ_SK_SL_E_clISE_PhSF_SF_EESI_SY_SJ_SK_SL_EUlSY_E1_NS1_11comp_targetILNS1_3genE4ELNS1_11target_archE910ELNS1_3gpuE8ELNS1_3repE0EEENS1_36merge_oddeven_config_static_selectorELNS0_4arch9wavefront6targetE0EEEvSK_.num_vgpr, 0
	.set _ZN7rocprim17ROCPRIM_400000_NS6detail17trampoline_kernelINS0_14default_configENS1_38merge_sort_block_merge_config_selectorIhNS0_10empty_typeEEEZZNS1_27merge_sort_block_merge_implIS3_N6thrust23THRUST_200600_302600_NS6detail15normal_iteratorINS9_10device_ptrIhEEEEPS5_m11less_div_10IhEEE10hipError_tT0_T1_T2_jT3_P12ihipStream_tbPNSt15iterator_traitsISJ_E10value_typeEPNSP_ISK_E10value_typeEPSL_NS1_7vsmem_tEENKUlT_SJ_SK_SL_E_clISE_PhSF_SF_EESI_SY_SJ_SK_SL_EUlSY_E1_NS1_11comp_targetILNS1_3genE4ELNS1_11target_archE910ELNS1_3gpuE8ELNS1_3repE0EEENS1_36merge_oddeven_config_static_selectorELNS0_4arch9wavefront6targetE0EEEvSK_.num_agpr, 0
	.set _ZN7rocprim17ROCPRIM_400000_NS6detail17trampoline_kernelINS0_14default_configENS1_38merge_sort_block_merge_config_selectorIhNS0_10empty_typeEEEZZNS1_27merge_sort_block_merge_implIS3_N6thrust23THRUST_200600_302600_NS6detail15normal_iteratorINS9_10device_ptrIhEEEEPS5_m11less_div_10IhEEE10hipError_tT0_T1_T2_jT3_P12ihipStream_tbPNSt15iterator_traitsISJ_E10value_typeEPNSP_ISK_E10value_typeEPSL_NS1_7vsmem_tEENKUlT_SJ_SK_SL_E_clISE_PhSF_SF_EESI_SY_SJ_SK_SL_EUlSY_E1_NS1_11comp_targetILNS1_3genE4ELNS1_11target_archE910ELNS1_3gpuE8ELNS1_3repE0EEENS1_36merge_oddeven_config_static_selectorELNS0_4arch9wavefront6targetE0EEEvSK_.numbered_sgpr, 0
	.set _ZN7rocprim17ROCPRIM_400000_NS6detail17trampoline_kernelINS0_14default_configENS1_38merge_sort_block_merge_config_selectorIhNS0_10empty_typeEEEZZNS1_27merge_sort_block_merge_implIS3_N6thrust23THRUST_200600_302600_NS6detail15normal_iteratorINS9_10device_ptrIhEEEEPS5_m11less_div_10IhEEE10hipError_tT0_T1_T2_jT3_P12ihipStream_tbPNSt15iterator_traitsISJ_E10value_typeEPNSP_ISK_E10value_typeEPSL_NS1_7vsmem_tEENKUlT_SJ_SK_SL_E_clISE_PhSF_SF_EESI_SY_SJ_SK_SL_EUlSY_E1_NS1_11comp_targetILNS1_3genE4ELNS1_11target_archE910ELNS1_3gpuE8ELNS1_3repE0EEENS1_36merge_oddeven_config_static_selectorELNS0_4arch9wavefront6targetE0EEEvSK_.num_named_barrier, 0
	.set _ZN7rocprim17ROCPRIM_400000_NS6detail17trampoline_kernelINS0_14default_configENS1_38merge_sort_block_merge_config_selectorIhNS0_10empty_typeEEEZZNS1_27merge_sort_block_merge_implIS3_N6thrust23THRUST_200600_302600_NS6detail15normal_iteratorINS9_10device_ptrIhEEEEPS5_m11less_div_10IhEEE10hipError_tT0_T1_T2_jT3_P12ihipStream_tbPNSt15iterator_traitsISJ_E10value_typeEPNSP_ISK_E10value_typeEPSL_NS1_7vsmem_tEENKUlT_SJ_SK_SL_E_clISE_PhSF_SF_EESI_SY_SJ_SK_SL_EUlSY_E1_NS1_11comp_targetILNS1_3genE4ELNS1_11target_archE910ELNS1_3gpuE8ELNS1_3repE0EEENS1_36merge_oddeven_config_static_selectorELNS0_4arch9wavefront6targetE0EEEvSK_.private_seg_size, 0
	.set _ZN7rocprim17ROCPRIM_400000_NS6detail17trampoline_kernelINS0_14default_configENS1_38merge_sort_block_merge_config_selectorIhNS0_10empty_typeEEEZZNS1_27merge_sort_block_merge_implIS3_N6thrust23THRUST_200600_302600_NS6detail15normal_iteratorINS9_10device_ptrIhEEEEPS5_m11less_div_10IhEEE10hipError_tT0_T1_T2_jT3_P12ihipStream_tbPNSt15iterator_traitsISJ_E10value_typeEPNSP_ISK_E10value_typeEPSL_NS1_7vsmem_tEENKUlT_SJ_SK_SL_E_clISE_PhSF_SF_EESI_SY_SJ_SK_SL_EUlSY_E1_NS1_11comp_targetILNS1_3genE4ELNS1_11target_archE910ELNS1_3gpuE8ELNS1_3repE0EEENS1_36merge_oddeven_config_static_selectorELNS0_4arch9wavefront6targetE0EEEvSK_.uses_vcc, 0
	.set _ZN7rocprim17ROCPRIM_400000_NS6detail17trampoline_kernelINS0_14default_configENS1_38merge_sort_block_merge_config_selectorIhNS0_10empty_typeEEEZZNS1_27merge_sort_block_merge_implIS3_N6thrust23THRUST_200600_302600_NS6detail15normal_iteratorINS9_10device_ptrIhEEEEPS5_m11less_div_10IhEEE10hipError_tT0_T1_T2_jT3_P12ihipStream_tbPNSt15iterator_traitsISJ_E10value_typeEPNSP_ISK_E10value_typeEPSL_NS1_7vsmem_tEENKUlT_SJ_SK_SL_E_clISE_PhSF_SF_EESI_SY_SJ_SK_SL_EUlSY_E1_NS1_11comp_targetILNS1_3genE4ELNS1_11target_archE910ELNS1_3gpuE8ELNS1_3repE0EEENS1_36merge_oddeven_config_static_selectorELNS0_4arch9wavefront6targetE0EEEvSK_.uses_flat_scratch, 0
	.set _ZN7rocprim17ROCPRIM_400000_NS6detail17trampoline_kernelINS0_14default_configENS1_38merge_sort_block_merge_config_selectorIhNS0_10empty_typeEEEZZNS1_27merge_sort_block_merge_implIS3_N6thrust23THRUST_200600_302600_NS6detail15normal_iteratorINS9_10device_ptrIhEEEEPS5_m11less_div_10IhEEE10hipError_tT0_T1_T2_jT3_P12ihipStream_tbPNSt15iterator_traitsISJ_E10value_typeEPNSP_ISK_E10value_typeEPSL_NS1_7vsmem_tEENKUlT_SJ_SK_SL_E_clISE_PhSF_SF_EESI_SY_SJ_SK_SL_EUlSY_E1_NS1_11comp_targetILNS1_3genE4ELNS1_11target_archE910ELNS1_3gpuE8ELNS1_3repE0EEENS1_36merge_oddeven_config_static_selectorELNS0_4arch9wavefront6targetE0EEEvSK_.has_dyn_sized_stack, 0
	.set _ZN7rocprim17ROCPRIM_400000_NS6detail17trampoline_kernelINS0_14default_configENS1_38merge_sort_block_merge_config_selectorIhNS0_10empty_typeEEEZZNS1_27merge_sort_block_merge_implIS3_N6thrust23THRUST_200600_302600_NS6detail15normal_iteratorINS9_10device_ptrIhEEEEPS5_m11less_div_10IhEEE10hipError_tT0_T1_T2_jT3_P12ihipStream_tbPNSt15iterator_traitsISJ_E10value_typeEPNSP_ISK_E10value_typeEPSL_NS1_7vsmem_tEENKUlT_SJ_SK_SL_E_clISE_PhSF_SF_EESI_SY_SJ_SK_SL_EUlSY_E1_NS1_11comp_targetILNS1_3genE4ELNS1_11target_archE910ELNS1_3gpuE8ELNS1_3repE0EEENS1_36merge_oddeven_config_static_selectorELNS0_4arch9wavefront6targetE0EEEvSK_.has_recursion, 0
	.set _ZN7rocprim17ROCPRIM_400000_NS6detail17trampoline_kernelINS0_14default_configENS1_38merge_sort_block_merge_config_selectorIhNS0_10empty_typeEEEZZNS1_27merge_sort_block_merge_implIS3_N6thrust23THRUST_200600_302600_NS6detail15normal_iteratorINS9_10device_ptrIhEEEEPS5_m11less_div_10IhEEE10hipError_tT0_T1_T2_jT3_P12ihipStream_tbPNSt15iterator_traitsISJ_E10value_typeEPNSP_ISK_E10value_typeEPSL_NS1_7vsmem_tEENKUlT_SJ_SK_SL_E_clISE_PhSF_SF_EESI_SY_SJ_SK_SL_EUlSY_E1_NS1_11comp_targetILNS1_3genE4ELNS1_11target_archE910ELNS1_3gpuE8ELNS1_3repE0EEENS1_36merge_oddeven_config_static_selectorELNS0_4arch9wavefront6targetE0EEEvSK_.has_indirect_call, 0
	.section	.AMDGPU.csdata,"",@progbits
; Kernel info:
; codeLenInByte = 0
; TotalNumSgprs: 0
; NumVgprs: 0
; ScratchSize: 0
; MemoryBound: 0
; FloatMode: 240
; IeeeMode: 1
; LDSByteSize: 0 bytes/workgroup (compile time only)
; SGPRBlocks: 0
; VGPRBlocks: 0
; NumSGPRsForWavesPerEU: 1
; NumVGPRsForWavesPerEU: 1
; Occupancy: 16
; WaveLimiterHint : 0
; COMPUTE_PGM_RSRC2:SCRATCH_EN: 0
; COMPUTE_PGM_RSRC2:USER_SGPR: 6
; COMPUTE_PGM_RSRC2:TRAP_HANDLER: 0
; COMPUTE_PGM_RSRC2:TGID_X_EN: 1
; COMPUTE_PGM_RSRC2:TGID_Y_EN: 0
; COMPUTE_PGM_RSRC2:TGID_Z_EN: 0
; COMPUTE_PGM_RSRC2:TIDIG_COMP_CNT: 0
	.section	.text._ZN7rocprim17ROCPRIM_400000_NS6detail17trampoline_kernelINS0_14default_configENS1_38merge_sort_block_merge_config_selectorIhNS0_10empty_typeEEEZZNS1_27merge_sort_block_merge_implIS3_N6thrust23THRUST_200600_302600_NS6detail15normal_iteratorINS9_10device_ptrIhEEEEPS5_m11less_div_10IhEEE10hipError_tT0_T1_T2_jT3_P12ihipStream_tbPNSt15iterator_traitsISJ_E10value_typeEPNSP_ISK_E10value_typeEPSL_NS1_7vsmem_tEENKUlT_SJ_SK_SL_E_clISE_PhSF_SF_EESI_SY_SJ_SK_SL_EUlSY_E1_NS1_11comp_targetILNS1_3genE3ELNS1_11target_archE908ELNS1_3gpuE7ELNS1_3repE0EEENS1_36merge_oddeven_config_static_selectorELNS0_4arch9wavefront6targetE0EEEvSK_,"axG",@progbits,_ZN7rocprim17ROCPRIM_400000_NS6detail17trampoline_kernelINS0_14default_configENS1_38merge_sort_block_merge_config_selectorIhNS0_10empty_typeEEEZZNS1_27merge_sort_block_merge_implIS3_N6thrust23THRUST_200600_302600_NS6detail15normal_iteratorINS9_10device_ptrIhEEEEPS5_m11less_div_10IhEEE10hipError_tT0_T1_T2_jT3_P12ihipStream_tbPNSt15iterator_traitsISJ_E10value_typeEPNSP_ISK_E10value_typeEPSL_NS1_7vsmem_tEENKUlT_SJ_SK_SL_E_clISE_PhSF_SF_EESI_SY_SJ_SK_SL_EUlSY_E1_NS1_11comp_targetILNS1_3genE3ELNS1_11target_archE908ELNS1_3gpuE7ELNS1_3repE0EEENS1_36merge_oddeven_config_static_selectorELNS0_4arch9wavefront6targetE0EEEvSK_,comdat
	.protected	_ZN7rocprim17ROCPRIM_400000_NS6detail17trampoline_kernelINS0_14default_configENS1_38merge_sort_block_merge_config_selectorIhNS0_10empty_typeEEEZZNS1_27merge_sort_block_merge_implIS3_N6thrust23THRUST_200600_302600_NS6detail15normal_iteratorINS9_10device_ptrIhEEEEPS5_m11less_div_10IhEEE10hipError_tT0_T1_T2_jT3_P12ihipStream_tbPNSt15iterator_traitsISJ_E10value_typeEPNSP_ISK_E10value_typeEPSL_NS1_7vsmem_tEENKUlT_SJ_SK_SL_E_clISE_PhSF_SF_EESI_SY_SJ_SK_SL_EUlSY_E1_NS1_11comp_targetILNS1_3genE3ELNS1_11target_archE908ELNS1_3gpuE7ELNS1_3repE0EEENS1_36merge_oddeven_config_static_selectorELNS0_4arch9wavefront6targetE0EEEvSK_ ; -- Begin function _ZN7rocprim17ROCPRIM_400000_NS6detail17trampoline_kernelINS0_14default_configENS1_38merge_sort_block_merge_config_selectorIhNS0_10empty_typeEEEZZNS1_27merge_sort_block_merge_implIS3_N6thrust23THRUST_200600_302600_NS6detail15normal_iteratorINS9_10device_ptrIhEEEEPS5_m11less_div_10IhEEE10hipError_tT0_T1_T2_jT3_P12ihipStream_tbPNSt15iterator_traitsISJ_E10value_typeEPNSP_ISK_E10value_typeEPSL_NS1_7vsmem_tEENKUlT_SJ_SK_SL_E_clISE_PhSF_SF_EESI_SY_SJ_SK_SL_EUlSY_E1_NS1_11comp_targetILNS1_3genE3ELNS1_11target_archE908ELNS1_3gpuE7ELNS1_3repE0EEENS1_36merge_oddeven_config_static_selectorELNS0_4arch9wavefront6targetE0EEEvSK_
	.globl	_ZN7rocprim17ROCPRIM_400000_NS6detail17trampoline_kernelINS0_14default_configENS1_38merge_sort_block_merge_config_selectorIhNS0_10empty_typeEEEZZNS1_27merge_sort_block_merge_implIS3_N6thrust23THRUST_200600_302600_NS6detail15normal_iteratorINS9_10device_ptrIhEEEEPS5_m11less_div_10IhEEE10hipError_tT0_T1_T2_jT3_P12ihipStream_tbPNSt15iterator_traitsISJ_E10value_typeEPNSP_ISK_E10value_typeEPSL_NS1_7vsmem_tEENKUlT_SJ_SK_SL_E_clISE_PhSF_SF_EESI_SY_SJ_SK_SL_EUlSY_E1_NS1_11comp_targetILNS1_3genE3ELNS1_11target_archE908ELNS1_3gpuE7ELNS1_3repE0EEENS1_36merge_oddeven_config_static_selectorELNS0_4arch9wavefront6targetE0EEEvSK_
	.p2align	8
	.type	_ZN7rocprim17ROCPRIM_400000_NS6detail17trampoline_kernelINS0_14default_configENS1_38merge_sort_block_merge_config_selectorIhNS0_10empty_typeEEEZZNS1_27merge_sort_block_merge_implIS3_N6thrust23THRUST_200600_302600_NS6detail15normal_iteratorINS9_10device_ptrIhEEEEPS5_m11less_div_10IhEEE10hipError_tT0_T1_T2_jT3_P12ihipStream_tbPNSt15iterator_traitsISJ_E10value_typeEPNSP_ISK_E10value_typeEPSL_NS1_7vsmem_tEENKUlT_SJ_SK_SL_E_clISE_PhSF_SF_EESI_SY_SJ_SK_SL_EUlSY_E1_NS1_11comp_targetILNS1_3genE3ELNS1_11target_archE908ELNS1_3gpuE7ELNS1_3repE0EEENS1_36merge_oddeven_config_static_selectorELNS0_4arch9wavefront6targetE0EEEvSK_,@function
_ZN7rocprim17ROCPRIM_400000_NS6detail17trampoline_kernelINS0_14default_configENS1_38merge_sort_block_merge_config_selectorIhNS0_10empty_typeEEEZZNS1_27merge_sort_block_merge_implIS3_N6thrust23THRUST_200600_302600_NS6detail15normal_iteratorINS9_10device_ptrIhEEEEPS5_m11less_div_10IhEEE10hipError_tT0_T1_T2_jT3_P12ihipStream_tbPNSt15iterator_traitsISJ_E10value_typeEPNSP_ISK_E10value_typeEPSL_NS1_7vsmem_tEENKUlT_SJ_SK_SL_E_clISE_PhSF_SF_EESI_SY_SJ_SK_SL_EUlSY_E1_NS1_11comp_targetILNS1_3genE3ELNS1_11target_archE908ELNS1_3gpuE7ELNS1_3repE0EEENS1_36merge_oddeven_config_static_selectorELNS0_4arch9wavefront6targetE0EEEvSK_: ; @_ZN7rocprim17ROCPRIM_400000_NS6detail17trampoline_kernelINS0_14default_configENS1_38merge_sort_block_merge_config_selectorIhNS0_10empty_typeEEEZZNS1_27merge_sort_block_merge_implIS3_N6thrust23THRUST_200600_302600_NS6detail15normal_iteratorINS9_10device_ptrIhEEEEPS5_m11less_div_10IhEEE10hipError_tT0_T1_T2_jT3_P12ihipStream_tbPNSt15iterator_traitsISJ_E10value_typeEPNSP_ISK_E10value_typeEPSL_NS1_7vsmem_tEENKUlT_SJ_SK_SL_E_clISE_PhSF_SF_EESI_SY_SJ_SK_SL_EUlSY_E1_NS1_11comp_targetILNS1_3genE3ELNS1_11target_archE908ELNS1_3gpuE7ELNS1_3repE0EEENS1_36merge_oddeven_config_static_selectorELNS0_4arch9wavefront6targetE0EEEvSK_
; %bb.0:
	.section	.rodata,"a",@progbits
	.p2align	6, 0x0
	.amdhsa_kernel _ZN7rocprim17ROCPRIM_400000_NS6detail17trampoline_kernelINS0_14default_configENS1_38merge_sort_block_merge_config_selectorIhNS0_10empty_typeEEEZZNS1_27merge_sort_block_merge_implIS3_N6thrust23THRUST_200600_302600_NS6detail15normal_iteratorINS9_10device_ptrIhEEEEPS5_m11less_div_10IhEEE10hipError_tT0_T1_T2_jT3_P12ihipStream_tbPNSt15iterator_traitsISJ_E10value_typeEPNSP_ISK_E10value_typeEPSL_NS1_7vsmem_tEENKUlT_SJ_SK_SL_E_clISE_PhSF_SF_EESI_SY_SJ_SK_SL_EUlSY_E1_NS1_11comp_targetILNS1_3genE3ELNS1_11target_archE908ELNS1_3gpuE7ELNS1_3repE0EEENS1_36merge_oddeven_config_static_selectorELNS0_4arch9wavefront6targetE0EEEvSK_
		.amdhsa_group_segment_fixed_size 0
		.amdhsa_private_segment_fixed_size 0
		.amdhsa_kernarg_size 56
		.amdhsa_user_sgpr_count 6
		.amdhsa_user_sgpr_private_segment_buffer 1
		.amdhsa_user_sgpr_dispatch_ptr 0
		.amdhsa_user_sgpr_queue_ptr 0
		.amdhsa_user_sgpr_kernarg_segment_ptr 1
		.amdhsa_user_sgpr_dispatch_id 0
		.amdhsa_user_sgpr_flat_scratch_init 0
		.amdhsa_user_sgpr_private_segment_size 0
		.amdhsa_wavefront_size32 1
		.amdhsa_uses_dynamic_stack 0
		.amdhsa_system_sgpr_private_segment_wavefront_offset 0
		.amdhsa_system_sgpr_workgroup_id_x 1
		.amdhsa_system_sgpr_workgroup_id_y 0
		.amdhsa_system_sgpr_workgroup_id_z 0
		.amdhsa_system_sgpr_workgroup_info 0
		.amdhsa_system_vgpr_workitem_id 0
		.amdhsa_next_free_vgpr 1
		.amdhsa_next_free_sgpr 1
		.amdhsa_reserve_vcc 0
		.amdhsa_reserve_flat_scratch 0
		.amdhsa_float_round_mode_32 0
		.amdhsa_float_round_mode_16_64 0
		.amdhsa_float_denorm_mode_32 3
		.amdhsa_float_denorm_mode_16_64 3
		.amdhsa_dx10_clamp 1
		.amdhsa_ieee_mode 1
		.amdhsa_fp16_overflow 0
		.amdhsa_workgroup_processor_mode 1
		.amdhsa_memory_ordered 1
		.amdhsa_forward_progress 1
		.amdhsa_shared_vgpr_count 0
		.amdhsa_exception_fp_ieee_invalid_op 0
		.amdhsa_exception_fp_denorm_src 0
		.amdhsa_exception_fp_ieee_div_zero 0
		.amdhsa_exception_fp_ieee_overflow 0
		.amdhsa_exception_fp_ieee_underflow 0
		.amdhsa_exception_fp_ieee_inexact 0
		.amdhsa_exception_int_div_zero 0
	.end_amdhsa_kernel
	.section	.text._ZN7rocprim17ROCPRIM_400000_NS6detail17trampoline_kernelINS0_14default_configENS1_38merge_sort_block_merge_config_selectorIhNS0_10empty_typeEEEZZNS1_27merge_sort_block_merge_implIS3_N6thrust23THRUST_200600_302600_NS6detail15normal_iteratorINS9_10device_ptrIhEEEEPS5_m11less_div_10IhEEE10hipError_tT0_T1_T2_jT3_P12ihipStream_tbPNSt15iterator_traitsISJ_E10value_typeEPNSP_ISK_E10value_typeEPSL_NS1_7vsmem_tEENKUlT_SJ_SK_SL_E_clISE_PhSF_SF_EESI_SY_SJ_SK_SL_EUlSY_E1_NS1_11comp_targetILNS1_3genE3ELNS1_11target_archE908ELNS1_3gpuE7ELNS1_3repE0EEENS1_36merge_oddeven_config_static_selectorELNS0_4arch9wavefront6targetE0EEEvSK_,"axG",@progbits,_ZN7rocprim17ROCPRIM_400000_NS6detail17trampoline_kernelINS0_14default_configENS1_38merge_sort_block_merge_config_selectorIhNS0_10empty_typeEEEZZNS1_27merge_sort_block_merge_implIS3_N6thrust23THRUST_200600_302600_NS6detail15normal_iteratorINS9_10device_ptrIhEEEEPS5_m11less_div_10IhEEE10hipError_tT0_T1_T2_jT3_P12ihipStream_tbPNSt15iterator_traitsISJ_E10value_typeEPNSP_ISK_E10value_typeEPSL_NS1_7vsmem_tEENKUlT_SJ_SK_SL_E_clISE_PhSF_SF_EESI_SY_SJ_SK_SL_EUlSY_E1_NS1_11comp_targetILNS1_3genE3ELNS1_11target_archE908ELNS1_3gpuE7ELNS1_3repE0EEENS1_36merge_oddeven_config_static_selectorELNS0_4arch9wavefront6targetE0EEEvSK_,comdat
.Lfunc_end737:
	.size	_ZN7rocprim17ROCPRIM_400000_NS6detail17trampoline_kernelINS0_14default_configENS1_38merge_sort_block_merge_config_selectorIhNS0_10empty_typeEEEZZNS1_27merge_sort_block_merge_implIS3_N6thrust23THRUST_200600_302600_NS6detail15normal_iteratorINS9_10device_ptrIhEEEEPS5_m11less_div_10IhEEE10hipError_tT0_T1_T2_jT3_P12ihipStream_tbPNSt15iterator_traitsISJ_E10value_typeEPNSP_ISK_E10value_typeEPSL_NS1_7vsmem_tEENKUlT_SJ_SK_SL_E_clISE_PhSF_SF_EESI_SY_SJ_SK_SL_EUlSY_E1_NS1_11comp_targetILNS1_3genE3ELNS1_11target_archE908ELNS1_3gpuE7ELNS1_3repE0EEENS1_36merge_oddeven_config_static_selectorELNS0_4arch9wavefront6targetE0EEEvSK_, .Lfunc_end737-_ZN7rocprim17ROCPRIM_400000_NS6detail17trampoline_kernelINS0_14default_configENS1_38merge_sort_block_merge_config_selectorIhNS0_10empty_typeEEEZZNS1_27merge_sort_block_merge_implIS3_N6thrust23THRUST_200600_302600_NS6detail15normal_iteratorINS9_10device_ptrIhEEEEPS5_m11less_div_10IhEEE10hipError_tT0_T1_T2_jT3_P12ihipStream_tbPNSt15iterator_traitsISJ_E10value_typeEPNSP_ISK_E10value_typeEPSL_NS1_7vsmem_tEENKUlT_SJ_SK_SL_E_clISE_PhSF_SF_EESI_SY_SJ_SK_SL_EUlSY_E1_NS1_11comp_targetILNS1_3genE3ELNS1_11target_archE908ELNS1_3gpuE7ELNS1_3repE0EEENS1_36merge_oddeven_config_static_selectorELNS0_4arch9wavefront6targetE0EEEvSK_
                                        ; -- End function
	.set _ZN7rocprim17ROCPRIM_400000_NS6detail17trampoline_kernelINS0_14default_configENS1_38merge_sort_block_merge_config_selectorIhNS0_10empty_typeEEEZZNS1_27merge_sort_block_merge_implIS3_N6thrust23THRUST_200600_302600_NS6detail15normal_iteratorINS9_10device_ptrIhEEEEPS5_m11less_div_10IhEEE10hipError_tT0_T1_T2_jT3_P12ihipStream_tbPNSt15iterator_traitsISJ_E10value_typeEPNSP_ISK_E10value_typeEPSL_NS1_7vsmem_tEENKUlT_SJ_SK_SL_E_clISE_PhSF_SF_EESI_SY_SJ_SK_SL_EUlSY_E1_NS1_11comp_targetILNS1_3genE3ELNS1_11target_archE908ELNS1_3gpuE7ELNS1_3repE0EEENS1_36merge_oddeven_config_static_selectorELNS0_4arch9wavefront6targetE0EEEvSK_.num_vgpr, 0
	.set _ZN7rocprim17ROCPRIM_400000_NS6detail17trampoline_kernelINS0_14default_configENS1_38merge_sort_block_merge_config_selectorIhNS0_10empty_typeEEEZZNS1_27merge_sort_block_merge_implIS3_N6thrust23THRUST_200600_302600_NS6detail15normal_iteratorINS9_10device_ptrIhEEEEPS5_m11less_div_10IhEEE10hipError_tT0_T1_T2_jT3_P12ihipStream_tbPNSt15iterator_traitsISJ_E10value_typeEPNSP_ISK_E10value_typeEPSL_NS1_7vsmem_tEENKUlT_SJ_SK_SL_E_clISE_PhSF_SF_EESI_SY_SJ_SK_SL_EUlSY_E1_NS1_11comp_targetILNS1_3genE3ELNS1_11target_archE908ELNS1_3gpuE7ELNS1_3repE0EEENS1_36merge_oddeven_config_static_selectorELNS0_4arch9wavefront6targetE0EEEvSK_.num_agpr, 0
	.set _ZN7rocprim17ROCPRIM_400000_NS6detail17trampoline_kernelINS0_14default_configENS1_38merge_sort_block_merge_config_selectorIhNS0_10empty_typeEEEZZNS1_27merge_sort_block_merge_implIS3_N6thrust23THRUST_200600_302600_NS6detail15normal_iteratorINS9_10device_ptrIhEEEEPS5_m11less_div_10IhEEE10hipError_tT0_T1_T2_jT3_P12ihipStream_tbPNSt15iterator_traitsISJ_E10value_typeEPNSP_ISK_E10value_typeEPSL_NS1_7vsmem_tEENKUlT_SJ_SK_SL_E_clISE_PhSF_SF_EESI_SY_SJ_SK_SL_EUlSY_E1_NS1_11comp_targetILNS1_3genE3ELNS1_11target_archE908ELNS1_3gpuE7ELNS1_3repE0EEENS1_36merge_oddeven_config_static_selectorELNS0_4arch9wavefront6targetE0EEEvSK_.numbered_sgpr, 0
	.set _ZN7rocprim17ROCPRIM_400000_NS6detail17trampoline_kernelINS0_14default_configENS1_38merge_sort_block_merge_config_selectorIhNS0_10empty_typeEEEZZNS1_27merge_sort_block_merge_implIS3_N6thrust23THRUST_200600_302600_NS6detail15normal_iteratorINS9_10device_ptrIhEEEEPS5_m11less_div_10IhEEE10hipError_tT0_T1_T2_jT3_P12ihipStream_tbPNSt15iterator_traitsISJ_E10value_typeEPNSP_ISK_E10value_typeEPSL_NS1_7vsmem_tEENKUlT_SJ_SK_SL_E_clISE_PhSF_SF_EESI_SY_SJ_SK_SL_EUlSY_E1_NS1_11comp_targetILNS1_3genE3ELNS1_11target_archE908ELNS1_3gpuE7ELNS1_3repE0EEENS1_36merge_oddeven_config_static_selectorELNS0_4arch9wavefront6targetE0EEEvSK_.num_named_barrier, 0
	.set _ZN7rocprim17ROCPRIM_400000_NS6detail17trampoline_kernelINS0_14default_configENS1_38merge_sort_block_merge_config_selectorIhNS0_10empty_typeEEEZZNS1_27merge_sort_block_merge_implIS3_N6thrust23THRUST_200600_302600_NS6detail15normal_iteratorINS9_10device_ptrIhEEEEPS5_m11less_div_10IhEEE10hipError_tT0_T1_T2_jT3_P12ihipStream_tbPNSt15iterator_traitsISJ_E10value_typeEPNSP_ISK_E10value_typeEPSL_NS1_7vsmem_tEENKUlT_SJ_SK_SL_E_clISE_PhSF_SF_EESI_SY_SJ_SK_SL_EUlSY_E1_NS1_11comp_targetILNS1_3genE3ELNS1_11target_archE908ELNS1_3gpuE7ELNS1_3repE0EEENS1_36merge_oddeven_config_static_selectorELNS0_4arch9wavefront6targetE0EEEvSK_.private_seg_size, 0
	.set _ZN7rocprim17ROCPRIM_400000_NS6detail17trampoline_kernelINS0_14default_configENS1_38merge_sort_block_merge_config_selectorIhNS0_10empty_typeEEEZZNS1_27merge_sort_block_merge_implIS3_N6thrust23THRUST_200600_302600_NS6detail15normal_iteratorINS9_10device_ptrIhEEEEPS5_m11less_div_10IhEEE10hipError_tT0_T1_T2_jT3_P12ihipStream_tbPNSt15iterator_traitsISJ_E10value_typeEPNSP_ISK_E10value_typeEPSL_NS1_7vsmem_tEENKUlT_SJ_SK_SL_E_clISE_PhSF_SF_EESI_SY_SJ_SK_SL_EUlSY_E1_NS1_11comp_targetILNS1_3genE3ELNS1_11target_archE908ELNS1_3gpuE7ELNS1_3repE0EEENS1_36merge_oddeven_config_static_selectorELNS0_4arch9wavefront6targetE0EEEvSK_.uses_vcc, 0
	.set _ZN7rocprim17ROCPRIM_400000_NS6detail17trampoline_kernelINS0_14default_configENS1_38merge_sort_block_merge_config_selectorIhNS0_10empty_typeEEEZZNS1_27merge_sort_block_merge_implIS3_N6thrust23THRUST_200600_302600_NS6detail15normal_iteratorINS9_10device_ptrIhEEEEPS5_m11less_div_10IhEEE10hipError_tT0_T1_T2_jT3_P12ihipStream_tbPNSt15iterator_traitsISJ_E10value_typeEPNSP_ISK_E10value_typeEPSL_NS1_7vsmem_tEENKUlT_SJ_SK_SL_E_clISE_PhSF_SF_EESI_SY_SJ_SK_SL_EUlSY_E1_NS1_11comp_targetILNS1_3genE3ELNS1_11target_archE908ELNS1_3gpuE7ELNS1_3repE0EEENS1_36merge_oddeven_config_static_selectorELNS0_4arch9wavefront6targetE0EEEvSK_.uses_flat_scratch, 0
	.set _ZN7rocprim17ROCPRIM_400000_NS6detail17trampoline_kernelINS0_14default_configENS1_38merge_sort_block_merge_config_selectorIhNS0_10empty_typeEEEZZNS1_27merge_sort_block_merge_implIS3_N6thrust23THRUST_200600_302600_NS6detail15normal_iteratorINS9_10device_ptrIhEEEEPS5_m11less_div_10IhEEE10hipError_tT0_T1_T2_jT3_P12ihipStream_tbPNSt15iterator_traitsISJ_E10value_typeEPNSP_ISK_E10value_typeEPSL_NS1_7vsmem_tEENKUlT_SJ_SK_SL_E_clISE_PhSF_SF_EESI_SY_SJ_SK_SL_EUlSY_E1_NS1_11comp_targetILNS1_3genE3ELNS1_11target_archE908ELNS1_3gpuE7ELNS1_3repE0EEENS1_36merge_oddeven_config_static_selectorELNS0_4arch9wavefront6targetE0EEEvSK_.has_dyn_sized_stack, 0
	.set _ZN7rocprim17ROCPRIM_400000_NS6detail17trampoline_kernelINS0_14default_configENS1_38merge_sort_block_merge_config_selectorIhNS0_10empty_typeEEEZZNS1_27merge_sort_block_merge_implIS3_N6thrust23THRUST_200600_302600_NS6detail15normal_iteratorINS9_10device_ptrIhEEEEPS5_m11less_div_10IhEEE10hipError_tT0_T1_T2_jT3_P12ihipStream_tbPNSt15iterator_traitsISJ_E10value_typeEPNSP_ISK_E10value_typeEPSL_NS1_7vsmem_tEENKUlT_SJ_SK_SL_E_clISE_PhSF_SF_EESI_SY_SJ_SK_SL_EUlSY_E1_NS1_11comp_targetILNS1_3genE3ELNS1_11target_archE908ELNS1_3gpuE7ELNS1_3repE0EEENS1_36merge_oddeven_config_static_selectorELNS0_4arch9wavefront6targetE0EEEvSK_.has_recursion, 0
	.set _ZN7rocprim17ROCPRIM_400000_NS6detail17trampoline_kernelINS0_14default_configENS1_38merge_sort_block_merge_config_selectorIhNS0_10empty_typeEEEZZNS1_27merge_sort_block_merge_implIS3_N6thrust23THRUST_200600_302600_NS6detail15normal_iteratorINS9_10device_ptrIhEEEEPS5_m11less_div_10IhEEE10hipError_tT0_T1_T2_jT3_P12ihipStream_tbPNSt15iterator_traitsISJ_E10value_typeEPNSP_ISK_E10value_typeEPSL_NS1_7vsmem_tEENKUlT_SJ_SK_SL_E_clISE_PhSF_SF_EESI_SY_SJ_SK_SL_EUlSY_E1_NS1_11comp_targetILNS1_3genE3ELNS1_11target_archE908ELNS1_3gpuE7ELNS1_3repE0EEENS1_36merge_oddeven_config_static_selectorELNS0_4arch9wavefront6targetE0EEEvSK_.has_indirect_call, 0
	.section	.AMDGPU.csdata,"",@progbits
; Kernel info:
; codeLenInByte = 0
; TotalNumSgprs: 0
; NumVgprs: 0
; ScratchSize: 0
; MemoryBound: 0
; FloatMode: 240
; IeeeMode: 1
; LDSByteSize: 0 bytes/workgroup (compile time only)
; SGPRBlocks: 0
; VGPRBlocks: 0
; NumSGPRsForWavesPerEU: 1
; NumVGPRsForWavesPerEU: 1
; Occupancy: 16
; WaveLimiterHint : 0
; COMPUTE_PGM_RSRC2:SCRATCH_EN: 0
; COMPUTE_PGM_RSRC2:USER_SGPR: 6
; COMPUTE_PGM_RSRC2:TRAP_HANDLER: 0
; COMPUTE_PGM_RSRC2:TGID_X_EN: 1
; COMPUTE_PGM_RSRC2:TGID_Y_EN: 0
; COMPUTE_PGM_RSRC2:TGID_Z_EN: 0
; COMPUTE_PGM_RSRC2:TIDIG_COMP_CNT: 0
	.section	.text._ZN7rocprim17ROCPRIM_400000_NS6detail17trampoline_kernelINS0_14default_configENS1_38merge_sort_block_merge_config_selectorIhNS0_10empty_typeEEEZZNS1_27merge_sort_block_merge_implIS3_N6thrust23THRUST_200600_302600_NS6detail15normal_iteratorINS9_10device_ptrIhEEEEPS5_m11less_div_10IhEEE10hipError_tT0_T1_T2_jT3_P12ihipStream_tbPNSt15iterator_traitsISJ_E10value_typeEPNSP_ISK_E10value_typeEPSL_NS1_7vsmem_tEENKUlT_SJ_SK_SL_E_clISE_PhSF_SF_EESI_SY_SJ_SK_SL_EUlSY_E1_NS1_11comp_targetILNS1_3genE2ELNS1_11target_archE906ELNS1_3gpuE6ELNS1_3repE0EEENS1_36merge_oddeven_config_static_selectorELNS0_4arch9wavefront6targetE0EEEvSK_,"axG",@progbits,_ZN7rocprim17ROCPRIM_400000_NS6detail17trampoline_kernelINS0_14default_configENS1_38merge_sort_block_merge_config_selectorIhNS0_10empty_typeEEEZZNS1_27merge_sort_block_merge_implIS3_N6thrust23THRUST_200600_302600_NS6detail15normal_iteratorINS9_10device_ptrIhEEEEPS5_m11less_div_10IhEEE10hipError_tT0_T1_T2_jT3_P12ihipStream_tbPNSt15iterator_traitsISJ_E10value_typeEPNSP_ISK_E10value_typeEPSL_NS1_7vsmem_tEENKUlT_SJ_SK_SL_E_clISE_PhSF_SF_EESI_SY_SJ_SK_SL_EUlSY_E1_NS1_11comp_targetILNS1_3genE2ELNS1_11target_archE906ELNS1_3gpuE6ELNS1_3repE0EEENS1_36merge_oddeven_config_static_selectorELNS0_4arch9wavefront6targetE0EEEvSK_,comdat
	.protected	_ZN7rocprim17ROCPRIM_400000_NS6detail17trampoline_kernelINS0_14default_configENS1_38merge_sort_block_merge_config_selectorIhNS0_10empty_typeEEEZZNS1_27merge_sort_block_merge_implIS3_N6thrust23THRUST_200600_302600_NS6detail15normal_iteratorINS9_10device_ptrIhEEEEPS5_m11less_div_10IhEEE10hipError_tT0_T1_T2_jT3_P12ihipStream_tbPNSt15iterator_traitsISJ_E10value_typeEPNSP_ISK_E10value_typeEPSL_NS1_7vsmem_tEENKUlT_SJ_SK_SL_E_clISE_PhSF_SF_EESI_SY_SJ_SK_SL_EUlSY_E1_NS1_11comp_targetILNS1_3genE2ELNS1_11target_archE906ELNS1_3gpuE6ELNS1_3repE0EEENS1_36merge_oddeven_config_static_selectorELNS0_4arch9wavefront6targetE0EEEvSK_ ; -- Begin function _ZN7rocprim17ROCPRIM_400000_NS6detail17trampoline_kernelINS0_14default_configENS1_38merge_sort_block_merge_config_selectorIhNS0_10empty_typeEEEZZNS1_27merge_sort_block_merge_implIS3_N6thrust23THRUST_200600_302600_NS6detail15normal_iteratorINS9_10device_ptrIhEEEEPS5_m11less_div_10IhEEE10hipError_tT0_T1_T2_jT3_P12ihipStream_tbPNSt15iterator_traitsISJ_E10value_typeEPNSP_ISK_E10value_typeEPSL_NS1_7vsmem_tEENKUlT_SJ_SK_SL_E_clISE_PhSF_SF_EESI_SY_SJ_SK_SL_EUlSY_E1_NS1_11comp_targetILNS1_3genE2ELNS1_11target_archE906ELNS1_3gpuE6ELNS1_3repE0EEENS1_36merge_oddeven_config_static_selectorELNS0_4arch9wavefront6targetE0EEEvSK_
	.globl	_ZN7rocprim17ROCPRIM_400000_NS6detail17trampoline_kernelINS0_14default_configENS1_38merge_sort_block_merge_config_selectorIhNS0_10empty_typeEEEZZNS1_27merge_sort_block_merge_implIS3_N6thrust23THRUST_200600_302600_NS6detail15normal_iteratorINS9_10device_ptrIhEEEEPS5_m11less_div_10IhEEE10hipError_tT0_T1_T2_jT3_P12ihipStream_tbPNSt15iterator_traitsISJ_E10value_typeEPNSP_ISK_E10value_typeEPSL_NS1_7vsmem_tEENKUlT_SJ_SK_SL_E_clISE_PhSF_SF_EESI_SY_SJ_SK_SL_EUlSY_E1_NS1_11comp_targetILNS1_3genE2ELNS1_11target_archE906ELNS1_3gpuE6ELNS1_3repE0EEENS1_36merge_oddeven_config_static_selectorELNS0_4arch9wavefront6targetE0EEEvSK_
	.p2align	8
	.type	_ZN7rocprim17ROCPRIM_400000_NS6detail17trampoline_kernelINS0_14default_configENS1_38merge_sort_block_merge_config_selectorIhNS0_10empty_typeEEEZZNS1_27merge_sort_block_merge_implIS3_N6thrust23THRUST_200600_302600_NS6detail15normal_iteratorINS9_10device_ptrIhEEEEPS5_m11less_div_10IhEEE10hipError_tT0_T1_T2_jT3_P12ihipStream_tbPNSt15iterator_traitsISJ_E10value_typeEPNSP_ISK_E10value_typeEPSL_NS1_7vsmem_tEENKUlT_SJ_SK_SL_E_clISE_PhSF_SF_EESI_SY_SJ_SK_SL_EUlSY_E1_NS1_11comp_targetILNS1_3genE2ELNS1_11target_archE906ELNS1_3gpuE6ELNS1_3repE0EEENS1_36merge_oddeven_config_static_selectorELNS0_4arch9wavefront6targetE0EEEvSK_,@function
_ZN7rocprim17ROCPRIM_400000_NS6detail17trampoline_kernelINS0_14default_configENS1_38merge_sort_block_merge_config_selectorIhNS0_10empty_typeEEEZZNS1_27merge_sort_block_merge_implIS3_N6thrust23THRUST_200600_302600_NS6detail15normal_iteratorINS9_10device_ptrIhEEEEPS5_m11less_div_10IhEEE10hipError_tT0_T1_T2_jT3_P12ihipStream_tbPNSt15iterator_traitsISJ_E10value_typeEPNSP_ISK_E10value_typeEPSL_NS1_7vsmem_tEENKUlT_SJ_SK_SL_E_clISE_PhSF_SF_EESI_SY_SJ_SK_SL_EUlSY_E1_NS1_11comp_targetILNS1_3genE2ELNS1_11target_archE906ELNS1_3gpuE6ELNS1_3repE0EEENS1_36merge_oddeven_config_static_selectorELNS0_4arch9wavefront6targetE0EEEvSK_: ; @_ZN7rocprim17ROCPRIM_400000_NS6detail17trampoline_kernelINS0_14default_configENS1_38merge_sort_block_merge_config_selectorIhNS0_10empty_typeEEEZZNS1_27merge_sort_block_merge_implIS3_N6thrust23THRUST_200600_302600_NS6detail15normal_iteratorINS9_10device_ptrIhEEEEPS5_m11less_div_10IhEEE10hipError_tT0_T1_T2_jT3_P12ihipStream_tbPNSt15iterator_traitsISJ_E10value_typeEPNSP_ISK_E10value_typeEPSL_NS1_7vsmem_tEENKUlT_SJ_SK_SL_E_clISE_PhSF_SF_EESI_SY_SJ_SK_SL_EUlSY_E1_NS1_11comp_targetILNS1_3genE2ELNS1_11target_archE906ELNS1_3gpuE6ELNS1_3repE0EEENS1_36merge_oddeven_config_static_selectorELNS0_4arch9wavefront6targetE0EEEvSK_
; %bb.0:
	.section	.rodata,"a",@progbits
	.p2align	6, 0x0
	.amdhsa_kernel _ZN7rocprim17ROCPRIM_400000_NS6detail17trampoline_kernelINS0_14default_configENS1_38merge_sort_block_merge_config_selectorIhNS0_10empty_typeEEEZZNS1_27merge_sort_block_merge_implIS3_N6thrust23THRUST_200600_302600_NS6detail15normal_iteratorINS9_10device_ptrIhEEEEPS5_m11less_div_10IhEEE10hipError_tT0_T1_T2_jT3_P12ihipStream_tbPNSt15iterator_traitsISJ_E10value_typeEPNSP_ISK_E10value_typeEPSL_NS1_7vsmem_tEENKUlT_SJ_SK_SL_E_clISE_PhSF_SF_EESI_SY_SJ_SK_SL_EUlSY_E1_NS1_11comp_targetILNS1_3genE2ELNS1_11target_archE906ELNS1_3gpuE6ELNS1_3repE0EEENS1_36merge_oddeven_config_static_selectorELNS0_4arch9wavefront6targetE0EEEvSK_
		.amdhsa_group_segment_fixed_size 0
		.amdhsa_private_segment_fixed_size 0
		.amdhsa_kernarg_size 56
		.amdhsa_user_sgpr_count 6
		.amdhsa_user_sgpr_private_segment_buffer 1
		.amdhsa_user_sgpr_dispatch_ptr 0
		.amdhsa_user_sgpr_queue_ptr 0
		.amdhsa_user_sgpr_kernarg_segment_ptr 1
		.amdhsa_user_sgpr_dispatch_id 0
		.amdhsa_user_sgpr_flat_scratch_init 0
		.amdhsa_user_sgpr_private_segment_size 0
		.amdhsa_wavefront_size32 1
		.amdhsa_uses_dynamic_stack 0
		.amdhsa_system_sgpr_private_segment_wavefront_offset 0
		.amdhsa_system_sgpr_workgroup_id_x 1
		.amdhsa_system_sgpr_workgroup_id_y 0
		.amdhsa_system_sgpr_workgroup_id_z 0
		.amdhsa_system_sgpr_workgroup_info 0
		.amdhsa_system_vgpr_workitem_id 0
		.amdhsa_next_free_vgpr 1
		.amdhsa_next_free_sgpr 1
		.amdhsa_reserve_vcc 0
		.amdhsa_reserve_flat_scratch 0
		.amdhsa_float_round_mode_32 0
		.amdhsa_float_round_mode_16_64 0
		.amdhsa_float_denorm_mode_32 3
		.amdhsa_float_denorm_mode_16_64 3
		.amdhsa_dx10_clamp 1
		.amdhsa_ieee_mode 1
		.amdhsa_fp16_overflow 0
		.amdhsa_workgroup_processor_mode 1
		.amdhsa_memory_ordered 1
		.amdhsa_forward_progress 1
		.amdhsa_shared_vgpr_count 0
		.amdhsa_exception_fp_ieee_invalid_op 0
		.amdhsa_exception_fp_denorm_src 0
		.amdhsa_exception_fp_ieee_div_zero 0
		.amdhsa_exception_fp_ieee_overflow 0
		.amdhsa_exception_fp_ieee_underflow 0
		.amdhsa_exception_fp_ieee_inexact 0
		.amdhsa_exception_int_div_zero 0
	.end_amdhsa_kernel
	.section	.text._ZN7rocprim17ROCPRIM_400000_NS6detail17trampoline_kernelINS0_14default_configENS1_38merge_sort_block_merge_config_selectorIhNS0_10empty_typeEEEZZNS1_27merge_sort_block_merge_implIS3_N6thrust23THRUST_200600_302600_NS6detail15normal_iteratorINS9_10device_ptrIhEEEEPS5_m11less_div_10IhEEE10hipError_tT0_T1_T2_jT3_P12ihipStream_tbPNSt15iterator_traitsISJ_E10value_typeEPNSP_ISK_E10value_typeEPSL_NS1_7vsmem_tEENKUlT_SJ_SK_SL_E_clISE_PhSF_SF_EESI_SY_SJ_SK_SL_EUlSY_E1_NS1_11comp_targetILNS1_3genE2ELNS1_11target_archE906ELNS1_3gpuE6ELNS1_3repE0EEENS1_36merge_oddeven_config_static_selectorELNS0_4arch9wavefront6targetE0EEEvSK_,"axG",@progbits,_ZN7rocprim17ROCPRIM_400000_NS6detail17trampoline_kernelINS0_14default_configENS1_38merge_sort_block_merge_config_selectorIhNS0_10empty_typeEEEZZNS1_27merge_sort_block_merge_implIS3_N6thrust23THRUST_200600_302600_NS6detail15normal_iteratorINS9_10device_ptrIhEEEEPS5_m11less_div_10IhEEE10hipError_tT0_T1_T2_jT3_P12ihipStream_tbPNSt15iterator_traitsISJ_E10value_typeEPNSP_ISK_E10value_typeEPSL_NS1_7vsmem_tEENKUlT_SJ_SK_SL_E_clISE_PhSF_SF_EESI_SY_SJ_SK_SL_EUlSY_E1_NS1_11comp_targetILNS1_3genE2ELNS1_11target_archE906ELNS1_3gpuE6ELNS1_3repE0EEENS1_36merge_oddeven_config_static_selectorELNS0_4arch9wavefront6targetE0EEEvSK_,comdat
.Lfunc_end738:
	.size	_ZN7rocprim17ROCPRIM_400000_NS6detail17trampoline_kernelINS0_14default_configENS1_38merge_sort_block_merge_config_selectorIhNS0_10empty_typeEEEZZNS1_27merge_sort_block_merge_implIS3_N6thrust23THRUST_200600_302600_NS6detail15normal_iteratorINS9_10device_ptrIhEEEEPS5_m11less_div_10IhEEE10hipError_tT0_T1_T2_jT3_P12ihipStream_tbPNSt15iterator_traitsISJ_E10value_typeEPNSP_ISK_E10value_typeEPSL_NS1_7vsmem_tEENKUlT_SJ_SK_SL_E_clISE_PhSF_SF_EESI_SY_SJ_SK_SL_EUlSY_E1_NS1_11comp_targetILNS1_3genE2ELNS1_11target_archE906ELNS1_3gpuE6ELNS1_3repE0EEENS1_36merge_oddeven_config_static_selectorELNS0_4arch9wavefront6targetE0EEEvSK_, .Lfunc_end738-_ZN7rocprim17ROCPRIM_400000_NS6detail17trampoline_kernelINS0_14default_configENS1_38merge_sort_block_merge_config_selectorIhNS0_10empty_typeEEEZZNS1_27merge_sort_block_merge_implIS3_N6thrust23THRUST_200600_302600_NS6detail15normal_iteratorINS9_10device_ptrIhEEEEPS5_m11less_div_10IhEEE10hipError_tT0_T1_T2_jT3_P12ihipStream_tbPNSt15iterator_traitsISJ_E10value_typeEPNSP_ISK_E10value_typeEPSL_NS1_7vsmem_tEENKUlT_SJ_SK_SL_E_clISE_PhSF_SF_EESI_SY_SJ_SK_SL_EUlSY_E1_NS1_11comp_targetILNS1_3genE2ELNS1_11target_archE906ELNS1_3gpuE6ELNS1_3repE0EEENS1_36merge_oddeven_config_static_selectorELNS0_4arch9wavefront6targetE0EEEvSK_
                                        ; -- End function
	.set _ZN7rocprim17ROCPRIM_400000_NS6detail17trampoline_kernelINS0_14default_configENS1_38merge_sort_block_merge_config_selectorIhNS0_10empty_typeEEEZZNS1_27merge_sort_block_merge_implIS3_N6thrust23THRUST_200600_302600_NS6detail15normal_iteratorINS9_10device_ptrIhEEEEPS5_m11less_div_10IhEEE10hipError_tT0_T1_T2_jT3_P12ihipStream_tbPNSt15iterator_traitsISJ_E10value_typeEPNSP_ISK_E10value_typeEPSL_NS1_7vsmem_tEENKUlT_SJ_SK_SL_E_clISE_PhSF_SF_EESI_SY_SJ_SK_SL_EUlSY_E1_NS1_11comp_targetILNS1_3genE2ELNS1_11target_archE906ELNS1_3gpuE6ELNS1_3repE0EEENS1_36merge_oddeven_config_static_selectorELNS0_4arch9wavefront6targetE0EEEvSK_.num_vgpr, 0
	.set _ZN7rocprim17ROCPRIM_400000_NS6detail17trampoline_kernelINS0_14default_configENS1_38merge_sort_block_merge_config_selectorIhNS0_10empty_typeEEEZZNS1_27merge_sort_block_merge_implIS3_N6thrust23THRUST_200600_302600_NS6detail15normal_iteratorINS9_10device_ptrIhEEEEPS5_m11less_div_10IhEEE10hipError_tT0_T1_T2_jT3_P12ihipStream_tbPNSt15iterator_traitsISJ_E10value_typeEPNSP_ISK_E10value_typeEPSL_NS1_7vsmem_tEENKUlT_SJ_SK_SL_E_clISE_PhSF_SF_EESI_SY_SJ_SK_SL_EUlSY_E1_NS1_11comp_targetILNS1_3genE2ELNS1_11target_archE906ELNS1_3gpuE6ELNS1_3repE0EEENS1_36merge_oddeven_config_static_selectorELNS0_4arch9wavefront6targetE0EEEvSK_.num_agpr, 0
	.set _ZN7rocprim17ROCPRIM_400000_NS6detail17trampoline_kernelINS0_14default_configENS1_38merge_sort_block_merge_config_selectorIhNS0_10empty_typeEEEZZNS1_27merge_sort_block_merge_implIS3_N6thrust23THRUST_200600_302600_NS6detail15normal_iteratorINS9_10device_ptrIhEEEEPS5_m11less_div_10IhEEE10hipError_tT0_T1_T2_jT3_P12ihipStream_tbPNSt15iterator_traitsISJ_E10value_typeEPNSP_ISK_E10value_typeEPSL_NS1_7vsmem_tEENKUlT_SJ_SK_SL_E_clISE_PhSF_SF_EESI_SY_SJ_SK_SL_EUlSY_E1_NS1_11comp_targetILNS1_3genE2ELNS1_11target_archE906ELNS1_3gpuE6ELNS1_3repE0EEENS1_36merge_oddeven_config_static_selectorELNS0_4arch9wavefront6targetE0EEEvSK_.numbered_sgpr, 0
	.set _ZN7rocprim17ROCPRIM_400000_NS6detail17trampoline_kernelINS0_14default_configENS1_38merge_sort_block_merge_config_selectorIhNS0_10empty_typeEEEZZNS1_27merge_sort_block_merge_implIS3_N6thrust23THRUST_200600_302600_NS6detail15normal_iteratorINS9_10device_ptrIhEEEEPS5_m11less_div_10IhEEE10hipError_tT0_T1_T2_jT3_P12ihipStream_tbPNSt15iterator_traitsISJ_E10value_typeEPNSP_ISK_E10value_typeEPSL_NS1_7vsmem_tEENKUlT_SJ_SK_SL_E_clISE_PhSF_SF_EESI_SY_SJ_SK_SL_EUlSY_E1_NS1_11comp_targetILNS1_3genE2ELNS1_11target_archE906ELNS1_3gpuE6ELNS1_3repE0EEENS1_36merge_oddeven_config_static_selectorELNS0_4arch9wavefront6targetE0EEEvSK_.num_named_barrier, 0
	.set _ZN7rocprim17ROCPRIM_400000_NS6detail17trampoline_kernelINS0_14default_configENS1_38merge_sort_block_merge_config_selectorIhNS0_10empty_typeEEEZZNS1_27merge_sort_block_merge_implIS3_N6thrust23THRUST_200600_302600_NS6detail15normal_iteratorINS9_10device_ptrIhEEEEPS5_m11less_div_10IhEEE10hipError_tT0_T1_T2_jT3_P12ihipStream_tbPNSt15iterator_traitsISJ_E10value_typeEPNSP_ISK_E10value_typeEPSL_NS1_7vsmem_tEENKUlT_SJ_SK_SL_E_clISE_PhSF_SF_EESI_SY_SJ_SK_SL_EUlSY_E1_NS1_11comp_targetILNS1_3genE2ELNS1_11target_archE906ELNS1_3gpuE6ELNS1_3repE0EEENS1_36merge_oddeven_config_static_selectorELNS0_4arch9wavefront6targetE0EEEvSK_.private_seg_size, 0
	.set _ZN7rocprim17ROCPRIM_400000_NS6detail17trampoline_kernelINS0_14default_configENS1_38merge_sort_block_merge_config_selectorIhNS0_10empty_typeEEEZZNS1_27merge_sort_block_merge_implIS3_N6thrust23THRUST_200600_302600_NS6detail15normal_iteratorINS9_10device_ptrIhEEEEPS5_m11less_div_10IhEEE10hipError_tT0_T1_T2_jT3_P12ihipStream_tbPNSt15iterator_traitsISJ_E10value_typeEPNSP_ISK_E10value_typeEPSL_NS1_7vsmem_tEENKUlT_SJ_SK_SL_E_clISE_PhSF_SF_EESI_SY_SJ_SK_SL_EUlSY_E1_NS1_11comp_targetILNS1_3genE2ELNS1_11target_archE906ELNS1_3gpuE6ELNS1_3repE0EEENS1_36merge_oddeven_config_static_selectorELNS0_4arch9wavefront6targetE0EEEvSK_.uses_vcc, 0
	.set _ZN7rocprim17ROCPRIM_400000_NS6detail17trampoline_kernelINS0_14default_configENS1_38merge_sort_block_merge_config_selectorIhNS0_10empty_typeEEEZZNS1_27merge_sort_block_merge_implIS3_N6thrust23THRUST_200600_302600_NS6detail15normal_iteratorINS9_10device_ptrIhEEEEPS5_m11less_div_10IhEEE10hipError_tT0_T1_T2_jT3_P12ihipStream_tbPNSt15iterator_traitsISJ_E10value_typeEPNSP_ISK_E10value_typeEPSL_NS1_7vsmem_tEENKUlT_SJ_SK_SL_E_clISE_PhSF_SF_EESI_SY_SJ_SK_SL_EUlSY_E1_NS1_11comp_targetILNS1_3genE2ELNS1_11target_archE906ELNS1_3gpuE6ELNS1_3repE0EEENS1_36merge_oddeven_config_static_selectorELNS0_4arch9wavefront6targetE0EEEvSK_.uses_flat_scratch, 0
	.set _ZN7rocprim17ROCPRIM_400000_NS6detail17trampoline_kernelINS0_14default_configENS1_38merge_sort_block_merge_config_selectorIhNS0_10empty_typeEEEZZNS1_27merge_sort_block_merge_implIS3_N6thrust23THRUST_200600_302600_NS6detail15normal_iteratorINS9_10device_ptrIhEEEEPS5_m11less_div_10IhEEE10hipError_tT0_T1_T2_jT3_P12ihipStream_tbPNSt15iterator_traitsISJ_E10value_typeEPNSP_ISK_E10value_typeEPSL_NS1_7vsmem_tEENKUlT_SJ_SK_SL_E_clISE_PhSF_SF_EESI_SY_SJ_SK_SL_EUlSY_E1_NS1_11comp_targetILNS1_3genE2ELNS1_11target_archE906ELNS1_3gpuE6ELNS1_3repE0EEENS1_36merge_oddeven_config_static_selectorELNS0_4arch9wavefront6targetE0EEEvSK_.has_dyn_sized_stack, 0
	.set _ZN7rocprim17ROCPRIM_400000_NS6detail17trampoline_kernelINS0_14default_configENS1_38merge_sort_block_merge_config_selectorIhNS0_10empty_typeEEEZZNS1_27merge_sort_block_merge_implIS3_N6thrust23THRUST_200600_302600_NS6detail15normal_iteratorINS9_10device_ptrIhEEEEPS5_m11less_div_10IhEEE10hipError_tT0_T1_T2_jT3_P12ihipStream_tbPNSt15iterator_traitsISJ_E10value_typeEPNSP_ISK_E10value_typeEPSL_NS1_7vsmem_tEENKUlT_SJ_SK_SL_E_clISE_PhSF_SF_EESI_SY_SJ_SK_SL_EUlSY_E1_NS1_11comp_targetILNS1_3genE2ELNS1_11target_archE906ELNS1_3gpuE6ELNS1_3repE0EEENS1_36merge_oddeven_config_static_selectorELNS0_4arch9wavefront6targetE0EEEvSK_.has_recursion, 0
	.set _ZN7rocprim17ROCPRIM_400000_NS6detail17trampoline_kernelINS0_14default_configENS1_38merge_sort_block_merge_config_selectorIhNS0_10empty_typeEEEZZNS1_27merge_sort_block_merge_implIS3_N6thrust23THRUST_200600_302600_NS6detail15normal_iteratorINS9_10device_ptrIhEEEEPS5_m11less_div_10IhEEE10hipError_tT0_T1_T2_jT3_P12ihipStream_tbPNSt15iterator_traitsISJ_E10value_typeEPNSP_ISK_E10value_typeEPSL_NS1_7vsmem_tEENKUlT_SJ_SK_SL_E_clISE_PhSF_SF_EESI_SY_SJ_SK_SL_EUlSY_E1_NS1_11comp_targetILNS1_3genE2ELNS1_11target_archE906ELNS1_3gpuE6ELNS1_3repE0EEENS1_36merge_oddeven_config_static_selectorELNS0_4arch9wavefront6targetE0EEEvSK_.has_indirect_call, 0
	.section	.AMDGPU.csdata,"",@progbits
; Kernel info:
; codeLenInByte = 0
; TotalNumSgprs: 0
; NumVgprs: 0
; ScratchSize: 0
; MemoryBound: 0
; FloatMode: 240
; IeeeMode: 1
; LDSByteSize: 0 bytes/workgroup (compile time only)
; SGPRBlocks: 0
; VGPRBlocks: 0
; NumSGPRsForWavesPerEU: 1
; NumVGPRsForWavesPerEU: 1
; Occupancy: 16
; WaveLimiterHint : 0
; COMPUTE_PGM_RSRC2:SCRATCH_EN: 0
; COMPUTE_PGM_RSRC2:USER_SGPR: 6
; COMPUTE_PGM_RSRC2:TRAP_HANDLER: 0
; COMPUTE_PGM_RSRC2:TGID_X_EN: 1
; COMPUTE_PGM_RSRC2:TGID_Y_EN: 0
; COMPUTE_PGM_RSRC2:TGID_Z_EN: 0
; COMPUTE_PGM_RSRC2:TIDIG_COMP_CNT: 0
	.section	.text._ZN7rocprim17ROCPRIM_400000_NS6detail17trampoline_kernelINS0_14default_configENS1_38merge_sort_block_merge_config_selectorIhNS0_10empty_typeEEEZZNS1_27merge_sort_block_merge_implIS3_N6thrust23THRUST_200600_302600_NS6detail15normal_iteratorINS9_10device_ptrIhEEEEPS5_m11less_div_10IhEEE10hipError_tT0_T1_T2_jT3_P12ihipStream_tbPNSt15iterator_traitsISJ_E10value_typeEPNSP_ISK_E10value_typeEPSL_NS1_7vsmem_tEENKUlT_SJ_SK_SL_E_clISE_PhSF_SF_EESI_SY_SJ_SK_SL_EUlSY_E1_NS1_11comp_targetILNS1_3genE9ELNS1_11target_archE1100ELNS1_3gpuE3ELNS1_3repE0EEENS1_36merge_oddeven_config_static_selectorELNS0_4arch9wavefront6targetE0EEEvSK_,"axG",@progbits,_ZN7rocprim17ROCPRIM_400000_NS6detail17trampoline_kernelINS0_14default_configENS1_38merge_sort_block_merge_config_selectorIhNS0_10empty_typeEEEZZNS1_27merge_sort_block_merge_implIS3_N6thrust23THRUST_200600_302600_NS6detail15normal_iteratorINS9_10device_ptrIhEEEEPS5_m11less_div_10IhEEE10hipError_tT0_T1_T2_jT3_P12ihipStream_tbPNSt15iterator_traitsISJ_E10value_typeEPNSP_ISK_E10value_typeEPSL_NS1_7vsmem_tEENKUlT_SJ_SK_SL_E_clISE_PhSF_SF_EESI_SY_SJ_SK_SL_EUlSY_E1_NS1_11comp_targetILNS1_3genE9ELNS1_11target_archE1100ELNS1_3gpuE3ELNS1_3repE0EEENS1_36merge_oddeven_config_static_selectorELNS0_4arch9wavefront6targetE0EEEvSK_,comdat
	.protected	_ZN7rocprim17ROCPRIM_400000_NS6detail17trampoline_kernelINS0_14default_configENS1_38merge_sort_block_merge_config_selectorIhNS0_10empty_typeEEEZZNS1_27merge_sort_block_merge_implIS3_N6thrust23THRUST_200600_302600_NS6detail15normal_iteratorINS9_10device_ptrIhEEEEPS5_m11less_div_10IhEEE10hipError_tT0_T1_T2_jT3_P12ihipStream_tbPNSt15iterator_traitsISJ_E10value_typeEPNSP_ISK_E10value_typeEPSL_NS1_7vsmem_tEENKUlT_SJ_SK_SL_E_clISE_PhSF_SF_EESI_SY_SJ_SK_SL_EUlSY_E1_NS1_11comp_targetILNS1_3genE9ELNS1_11target_archE1100ELNS1_3gpuE3ELNS1_3repE0EEENS1_36merge_oddeven_config_static_selectorELNS0_4arch9wavefront6targetE0EEEvSK_ ; -- Begin function _ZN7rocprim17ROCPRIM_400000_NS6detail17trampoline_kernelINS0_14default_configENS1_38merge_sort_block_merge_config_selectorIhNS0_10empty_typeEEEZZNS1_27merge_sort_block_merge_implIS3_N6thrust23THRUST_200600_302600_NS6detail15normal_iteratorINS9_10device_ptrIhEEEEPS5_m11less_div_10IhEEE10hipError_tT0_T1_T2_jT3_P12ihipStream_tbPNSt15iterator_traitsISJ_E10value_typeEPNSP_ISK_E10value_typeEPSL_NS1_7vsmem_tEENKUlT_SJ_SK_SL_E_clISE_PhSF_SF_EESI_SY_SJ_SK_SL_EUlSY_E1_NS1_11comp_targetILNS1_3genE9ELNS1_11target_archE1100ELNS1_3gpuE3ELNS1_3repE0EEENS1_36merge_oddeven_config_static_selectorELNS0_4arch9wavefront6targetE0EEEvSK_
	.globl	_ZN7rocprim17ROCPRIM_400000_NS6detail17trampoline_kernelINS0_14default_configENS1_38merge_sort_block_merge_config_selectorIhNS0_10empty_typeEEEZZNS1_27merge_sort_block_merge_implIS3_N6thrust23THRUST_200600_302600_NS6detail15normal_iteratorINS9_10device_ptrIhEEEEPS5_m11less_div_10IhEEE10hipError_tT0_T1_T2_jT3_P12ihipStream_tbPNSt15iterator_traitsISJ_E10value_typeEPNSP_ISK_E10value_typeEPSL_NS1_7vsmem_tEENKUlT_SJ_SK_SL_E_clISE_PhSF_SF_EESI_SY_SJ_SK_SL_EUlSY_E1_NS1_11comp_targetILNS1_3genE9ELNS1_11target_archE1100ELNS1_3gpuE3ELNS1_3repE0EEENS1_36merge_oddeven_config_static_selectorELNS0_4arch9wavefront6targetE0EEEvSK_
	.p2align	8
	.type	_ZN7rocprim17ROCPRIM_400000_NS6detail17trampoline_kernelINS0_14default_configENS1_38merge_sort_block_merge_config_selectorIhNS0_10empty_typeEEEZZNS1_27merge_sort_block_merge_implIS3_N6thrust23THRUST_200600_302600_NS6detail15normal_iteratorINS9_10device_ptrIhEEEEPS5_m11less_div_10IhEEE10hipError_tT0_T1_T2_jT3_P12ihipStream_tbPNSt15iterator_traitsISJ_E10value_typeEPNSP_ISK_E10value_typeEPSL_NS1_7vsmem_tEENKUlT_SJ_SK_SL_E_clISE_PhSF_SF_EESI_SY_SJ_SK_SL_EUlSY_E1_NS1_11comp_targetILNS1_3genE9ELNS1_11target_archE1100ELNS1_3gpuE3ELNS1_3repE0EEENS1_36merge_oddeven_config_static_selectorELNS0_4arch9wavefront6targetE0EEEvSK_,@function
_ZN7rocprim17ROCPRIM_400000_NS6detail17trampoline_kernelINS0_14default_configENS1_38merge_sort_block_merge_config_selectorIhNS0_10empty_typeEEEZZNS1_27merge_sort_block_merge_implIS3_N6thrust23THRUST_200600_302600_NS6detail15normal_iteratorINS9_10device_ptrIhEEEEPS5_m11less_div_10IhEEE10hipError_tT0_T1_T2_jT3_P12ihipStream_tbPNSt15iterator_traitsISJ_E10value_typeEPNSP_ISK_E10value_typeEPSL_NS1_7vsmem_tEENKUlT_SJ_SK_SL_E_clISE_PhSF_SF_EESI_SY_SJ_SK_SL_EUlSY_E1_NS1_11comp_targetILNS1_3genE9ELNS1_11target_archE1100ELNS1_3gpuE3ELNS1_3repE0EEENS1_36merge_oddeven_config_static_selectorELNS0_4arch9wavefront6targetE0EEEvSK_: ; @_ZN7rocprim17ROCPRIM_400000_NS6detail17trampoline_kernelINS0_14default_configENS1_38merge_sort_block_merge_config_selectorIhNS0_10empty_typeEEEZZNS1_27merge_sort_block_merge_implIS3_N6thrust23THRUST_200600_302600_NS6detail15normal_iteratorINS9_10device_ptrIhEEEEPS5_m11less_div_10IhEEE10hipError_tT0_T1_T2_jT3_P12ihipStream_tbPNSt15iterator_traitsISJ_E10value_typeEPNSP_ISK_E10value_typeEPSL_NS1_7vsmem_tEENKUlT_SJ_SK_SL_E_clISE_PhSF_SF_EESI_SY_SJ_SK_SL_EUlSY_E1_NS1_11comp_targetILNS1_3genE9ELNS1_11target_archE1100ELNS1_3gpuE3ELNS1_3repE0EEENS1_36merge_oddeven_config_static_selectorELNS0_4arch9wavefront6targetE0EEEvSK_
; %bb.0:
	.section	.rodata,"a",@progbits
	.p2align	6, 0x0
	.amdhsa_kernel _ZN7rocprim17ROCPRIM_400000_NS6detail17trampoline_kernelINS0_14default_configENS1_38merge_sort_block_merge_config_selectorIhNS0_10empty_typeEEEZZNS1_27merge_sort_block_merge_implIS3_N6thrust23THRUST_200600_302600_NS6detail15normal_iteratorINS9_10device_ptrIhEEEEPS5_m11less_div_10IhEEE10hipError_tT0_T1_T2_jT3_P12ihipStream_tbPNSt15iterator_traitsISJ_E10value_typeEPNSP_ISK_E10value_typeEPSL_NS1_7vsmem_tEENKUlT_SJ_SK_SL_E_clISE_PhSF_SF_EESI_SY_SJ_SK_SL_EUlSY_E1_NS1_11comp_targetILNS1_3genE9ELNS1_11target_archE1100ELNS1_3gpuE3ELNS1_3repE0EEENS1_36merge_oddeven_config_static_selectorELNS0_4arch9wavefront6targetE0EEEvSK_
		.amdhsa_group_segment_fixed_size 0
		.amdhsa_private_segment_fixed_size 0
		.amdhsa_kernarg_size 56
		.amdhsa_user_sgpr_count 6
		.amdhsa_user_sgpr_private_segment_buffer 1
		.amdhsa_user_sgpr_dispatch_ptr 0
		.amdhsa_user_sgpr_queue_ptr 0
		.amdhsa_user_sgpr_kernarg_segment_ptr 1
		.amdhsa_user_sgpr_dispatch_id 0
		.amdhsa_user_sgpr_flat_scratch_init 0
		.amdhsa_user_sgpr_private_segment_size 0
		.amdhsa_wavefront_size32 1
		.amdhsa_uses_dynamic_stack 0
		.amdhsa_system_sgpr_private_segment_wavefront_offset 0
		.amdhsa_system_sgpr_workgroup_id_x 1
		.amdhsa_system_sgpr_workgroup_id_y 0
		.amdhsa_system_sgpr_workgroup_id_z 0
		.amdhsa_system_sgpr_workgroup_info 0
		.amdhsa_system_vgpr_workitem_id 0
		.amdhsa_next_free_vgpr 1
		.amdhsa_next_free_sgpr 1
		.amdhsa_reserve_vcc 0
		.amdhsa_reserve_flat_scratch 0
		.amdhsa_float_round_mode_32 0
		.amdhsa_float_round_mode_16_64 0
		.amdhsa_float_denorm_mode_32 3
		.amdhsa_float_denorm_mode_16_64 3
		.amdhsa_dx10_clamp 1
		.amdhsa_ieee_mode 1
		.amdhsa_fp16_overflow 0
		.amdhsa_workgroup_processor_mode 1
		.amdhsa_memory_ordered 1
		.amdhsa_forward_progress 1
		.amdhsa_shared_vgpr_count 0
		.amdhsa_exception_fp_ieee_invalid_op 0
		.amdhsa_exception_fp_denorm_src 0
		.amdhsa_exception_fp_ieee_div_zero 0
		.amdhsa_exception_fp_ieee_overflow 0
		.amdhsa_exception_fp_ieee_underflow 0
		.amdhsa_exception_fp_ieee_inexact 0
		.amdhsa_exception_int_div_zero 0
	.end_amdhsa_kernel
	.section	.text._ZN7rocprim17ROCPRIM_400000_NS6detail17trampoline_kernelINS0_14default_configENS1_38merge_sort_block_merge_config_selectorIhNS0_10empty_typeEEEZZNS1_27merge_sort_block_merge_implIS3_N6thrust23THRUST_200600_302600_NS6detail15normal_iteratorINS9_10device_ptrIhEEEEPS5_m11less_div_10IhEEE10hipError_tT0_T1_T2_jT3_P12ihipStream_tbPNSt15iterator_traitsISJ_E10value_typeEPNSP_ISK_E10value_typeEPSL_NS1_7vsmem_tEENKUlT_SJ_SK_SL_E_clISE_PhSF_SF_EESI_SY_SJ_SK_SL_EUlSY_E1_NS1_11comp_targetILNS1_3genE9ELNS1_11target_archE1100ELNS1_3gpuE3ELNS1_3repE0EEENS1_36merge_oddeven_config_static_selectorELNS0_4arch9wavefront6targetE0EEEvSK_,"axG",@progbits,_ZN7rocprim17ROCPRIM_400000_NS6detail17trampoline_kernelINS0_14default_configENS1_38merge_sort_block_merge_config_selectorIhNS0_10empty_typeEEEZZNS1_27merge_sort_block_merge_implIS3_N6thrust23THRUST_200600_302600_NS6detail15normal_iteratorINS9_10device_ptrIhEEEEPS5_m11less_div_10IhEEE10hipError_tT0_T1_T2_jT3_P12ihipStream_tbPNSt15iterator_traitsISJ_E10value_typeEPNSP_ISK_E10value_typeEPSL_NS1_7vsmem_tEENKUlT_SJ_SK_SL_E_clISE_PhSF_SF_EESI_SY_SJ_SK_SL_EUlSY_E1_NS1_11comp_targetILNS1_3genE9ELNS1_11target_archE1100ELNS1_3gpuE3ELNS1_3repE0EEENS1_36merge_oddeven_config_static_selectorELNS0_4arch9wavefront6targetE0EEEvSK_,comdat
.Lfunc_end739:
	.size	_ZN7rocprim17ROCPRIM_400000_NS6detail17trampoline_kernelINS0_14default_configENS1_38merge_sort_block_merge_config_selectorIhNS0_10empty_typeEEEZZNS1_27merge_sort_block_merge_implIS3_N6thrust23THRUST_200600_302600_NS6detail15normal_iteratorINS9_10device_ptrIhEEEEPS5_m11less_div_10IhEEE10hipError_tT0_T1_T2_jT3_P12ihipStream_tbPNSt15iterator_traitsISJ_E10value_typeEPNSP_ISK_E10value_typeEPSL_NS1_7vsmem_tEENKUlT_SJ_SK_SL_E_clISE_PhSF_SF_EESI_SY_SJ_SK_SL_EUlSY_E1_NS1_11comp_targetILNS1_3genE9ELNS1_11target_archE1100ELNS1_3gpuE3ELNS1_3repE0EEENS1_36merge_oddeven_config_static_selectorELNS0_4arch9wavefront6targetE0EEEvSK_, .Lfunc_end739-_ZN7rocprim17ROCPRIM_400000_NS6detail17trampoline_kernelINS0_14default_configENS1_38merge_sort_block_merge_config_selectorIhNS0_10empty_typeEEEZZNS1_27merge_sort_block_merge_implIS3_N6thrust23THRUST_200600_302600_NS6detail15normal_iteratorINS9_10device_ptrIhEEEEPS5_m11less_div_10IhEEE10hipError_tT0_T1_T2_jT3_P12ihipStream_tbPNSt15iterator_traitsISJ_E10value_typeEPNSP_ISK_E10value_typeEPSL_NS1_7vsmem_tEENKUlT_SJ_SK_SL_E_clISE_PhSF_SF_EESI_SY_SJ_SK_SL_EUlSY_E1_NS1_11comp_targetILNS1_3genE9ELNS1_11target_archE1100ELNS1_3gpuE3ELNS1_3repE0EEENS1_36merge_oddeven_config_static_selectorELNS0_4arch9wavefront6targetE0EEEvSK_
                                        ; -- End function
	.set _ZN7rocprim17ROCPRIM_400000_NS6detail17trampoline_kernelINS0_14default_configENS1_38merge_sort_block_merge_config_selectorIhNS0_10empty_typeEEEZZNS1_27merge_sort_block_merge_implIS3_N6thrust23THRUST_200600_302600_NS6detail15normal_iteratorINS9_10device_ptrIhEEEEPS5_m11less_div_10IhEEE10hipError_tT0_T1_T2_jT3_P12ihipStream_tbPNSt15iterator_traitsISJ_E10value_typeEPNSP_ISK_E10value_typeEPSL_NS1_7vsmem_tEENKUlT_SJ_SK_SL_E_clISE_PhSF_SF_EESI_SY_SJ_SK_SL_EUlSY_E1_NS1_11comp_targetILNS1_3genE9ELNS1_11target_archE1100ELNS1_3gpuE3ELNS1_3repE0EEENS1_36merge_oddeven_config_static_selectorELNS0_4arch9wavefront6targetE0EEEvSK_.num_vgpr, 0
	.set _ZN7rocprim17ROCPRIM_400000_NS6detail17trampoline_kernelINS0_14default_configENS1_38merge_sort_block_merge_config_selectorIhNS0_10empty_typeEEEZZNS1_27merge_sort_block_merge_implIS3_N6thrust23THRUST_200600_302600_NS6detail15normal_iteratorINS9_10device_ptrIhEEEEPS5_m11less_div_10IhEEE10hipError_tT0_T1_T2_jT3_P12ihipStream_tbPNSt15iterator_traitsISJ_E10value_typeEPNSP_ISK_E10value_typeEPSL_NS1_7vsmem_tEENKUlT_SJ_SK_SL_E_clISE_PhSF_SF_EESI_SY_SJ_SK_SL_EUlSY_E1_NS1_11comp_targetILNS1_3genE9ELNS1_11target_archE1100ELNS1_3gpuE3ELNS1_3repE0EEENS1_36merge_oddeven_config_static_selectorELNS0_4arch9wavefront6targetE0EEEvSK_.num_agpr, 0
	.set _ZN7rocprim17ROCPRIM_400000_NS6detail17trampoline_kernelINS0_14default_configENS1_38merge_sort_block_merge_config_selectorIhNS0_10empty_typeEEEZZNS1_27merge_sort_block_merge_implIS3_N6thrust23THRUST_200600_302600_NS6detail15normal_iteratorINS9_10device_ptrIhEEEEPS5_m11less_div_10IhEEE10hipError_tT0_T1_T2_jT3_P12ihipStream_tbPNSt15iterator_traitsISJ_E10value_typeEPNSP_ISK_E10value_typeEPSL_NS1_7vsmem_tEENKUlT_SJ_SK_SL_E_clISE_PhSF_SF_EESI_SY_SJ_SK_SL_EUlSY_E1_NS1_11comp_targetILNS1_3genE9ELNS1_11target_archE1100ELNS1_3gpuE3ELNS1_3repE0EEENS1_36merge_oddeven_config_static_selectorELNS0_4arch9wavefront6targetE0EEEvSK_.numbered_sgpr, 0
	.set _ZN7rocprim17ROCPRIM_400000_NS6detail17trampoline_kernelINS0_14default_configENS1_38merge_sort_block_merge_config_selectorIhNS0_10empty_typeEEEZZNS1_27merge_sort_block_merge_implIS3_N6thrust23THRUST_200600_302600_NS6detail15normal_iteratorINS9_10device_ptrIhEEEEPS5_m11less_div_10IhEEE10hipError_tT0_T1_T2_jT3_P12ihipStream_tbPNSt15iterator_traitsISJ_E10value_typeEPNSP_ISK_E10value_typeEPSL_NS1_7vsmem_tEENKUlT_SJ_SK_SL_E_clISE_PhSF_SF_EESI_SY_SJ_SK_SL_EUlSY_E1_NS1_11comp_targetILNS1_3genE9ELNS1_11target_archE1100ELNS1_3gpuE3ELNS1_3repE0EEENS1_36merge_oddeven_config_static_selectorELNS0_4arch9wavefront6targetE0EEEvSK_.num_named_barrier, 0
	.set _ZN7rocprim17ROCPRIM_400000_NS6detail17trampoline_kernelINS0_14default_configENS1_38merge_sort_block_merge_config_selectorIhNS0_10empty_typeEEEZZNS1_27merge_sort_block_merge_implIS3_N6thrust23THRUST_200600_302600_NS6detail15normal_iteratorINS9_10device_ptrIhEEEEPS5_m11less_div_10IhEEE10hipError_tT0_T1_T2_jT3_P12ihipStream_tbPNSt15iterator_traitsISJ_E10value_typeEPNSP_ISK_E10value_typeEPSL_NS1_7vsmem_tEENKUlT_SJ_SK_SL_E_clISE_PhSF_SF_EESI_SY_SJ_SK_SL_EUlSY_E1_NS1_11comp_targetILNS1_3genE9ELNS1_11target_archE1100ELNS1_3gpuE3ELNS1_3repE0EEENS1_36merge_oddeven_config_static_selectorELNS0_4arch9wavefront6targetE0EEEvSK_.private_seg_size, 0
	.set _ZN7rocprim17ROCPRIM_400000_NS6detail17trampoline_kernelINS0_14default_configENS1_38merge_sort_block_merge_config_selectorIhNS0_10empty_typeEEEZZNS1_27merge_sort_block_merge_implIS3_N6thrust23THRUST_200600_302600_NS6detail15normal_iteratorINS9_10device_ptrIhEEEEPS5_m11less_div_10IhEEE10hipError_tT0_T1_T2_jT3_P12ihipStream_tbPNSt15iterator_traitsISJ_E10value_typeEPNSP_ISK_E10value_typeEPSL_NS1_7vsmem_tEENKUlT_SJ_SK_SL_E_clISE_PhSF_SF_EESI_SY_SJ_SK_SL_EUlSY_E1_NS1_11comp_targetILNS1_3genE9ELNS1_11target_archE1100ELNS1_3gpuE3ELNS1_3repE0EEENS1_36merge_oddeven_config_static_selectorELNS0_4arch9wavefront6targetE0EEEvSK_.uses_vcc, 0
	.set _ZN7rocprim17ROCPRIM_400000_NS6detail17trampoline_kernelINS0_14default_configENS1_38merge_sort_block_merge_config_selectorIhNS0_10empty_typeEEEZZNS1_27merge_sort_block_merge_implIS3_N6thrust23THRUST_200600_302600_NS6detail15normal_iteratorINS9_10device_ptrIhEEEEPS5_m11less_div_10IhEEE10hipError_tT0_T1_T2_jT3_P12ihipStream_tbPNSt15iterator_traitsISJ_E10value_typeEPNSP_ISK_E10value_typeEPSL_NS1_7vsmem_tEENKUlT_SJ_SK_SL_E_clISE_PhSF_SF_EESI_SY_SJ_SK_SL_EUlSY_E1_NS1_11comp_targetILNS1_3genE9ELNS1_11target_archE1100ELNS1_3gpuE3ELNS1_3repE0EEENS1_36merge_oddeven_config_static_selectorELNS0_4arch9wavefront6targetE0EEEvSK_.uses_flat_scratch, 0
	.set _ZN7rocprim17ROCPRIM_400000_NS6detail17trampoline_kernelINS0_14default_configENS1_38merge_sort_block_merge_config_selectorIhNS0_10empty_typeEEEZZNS1_27merge_sort_block_merge_implIS3_N6thrust23THRUST_200600_302600_NS6detail15normal_iteratorINS9_10device_ptrIhEEEEPS5_m11less_div_10IhEEE10hipError_tT0_T1_T2_jT3_P12ihipStream_tbPNSt15iterator_traitsISJ_E10value_typeEPNSP_ISK_E10value_typeEPSL_NS1_7vsmem_tEENKUlT_SJ_SK_SL_E_clISE_PhSF_SF_EESI_SY_SJ_SK_SL_EUlSY_E1_NS1_11comp_targetILNS1_3genE9ELNS1_11target_archE1100ELNS1_3gpuE3ELNS1_3repE0EEENS1_36merge_oddeven_config_static_selectorELNS0_4arch9wavefront6targetE0EEEvSK_.has_dyn_sized_stack, 0
	.set _ZN7rocprim17ROCPRIM_400000_NS6detail17trampoline_kernelINS0_14default_configENS1_38merge_sort_block_merge_config_selectorIhNS0_10empty_typeEEEZZNS1_27merge_sort_block_merge_implIS3_N6thrust23THRUST_200600_302600_NS6detail15normal_iteratorINS9_10device_ptrIhEEEEPS5_m11less_div_10IhEEE10hipError_tT0_T1_T2_jT3_P12ihipStream_tbPNSt15iterator_traitsISJ_E10value_typeEPNSP_ISK_E10value_typeEPSL_NS1_7vsmem_tEENKUlT_SJ_SK_SL_E_clISE_PhSF_SF_EESI_SY_SJ_SK_SL_EUlSY_E1_NS1_11comp_targetILNS1_3genE9ELNS1_11target_archE1100ELNS1_3gpuE3ELNS1_3repE0EEENS1_36merge_oddeven_config_static_selectorELNS0_4arch9wavefront6targetE0EEEvSK_.has_recursion, 0
	.set _ZN7rocprim17ROCPRIM_400000_NS6detail17trampoline_kernelINS0_14default_configENS1_38merge_sort_block_merge_config_selectorIhNS0_10empty_typeEEEZZNS1_27merge_sort_block_merge_implIS3_N6thrust23THRUST_200600_302600_NS6detail15normal_iteratorINS9_10device_ptrIhEEEEPS5_m11less_div_10IhEEE10hipError_tT0_T1_T2_jT3_P12ihipStream_tbPNSt15iterator_traitsISJ_E10value_typeEPNSP_ISK_E10value_typeEPSL_NS1_7vsmem_tEENKUlT_SJ_SK_SL_E_clISE_PhSF_SF_EESI_SY_SJ_SK_SL_EUlSY_E1_NS1_11comp_targetILNS1_3genE9ELNS1_11target_archE1100ELNS1_3gpuE3ELNS1_3repE0EEENS1_36merge_oddeven_config_static_selectorELNS0_4arch9wavefront6targetE0EEEvSK_.has_indirect_call, 0
	.section	.AMDGPU.csdata,"",@progbits
; Kernel info:
; codeLenInByte = 0
; TotalNumSgprs: 0
; NumVgprs: 0
; ScratchSize: 0
; MemoryBound: 0
; FloatMode: 240
; IeeeMode: 1
; LDSByteSize: 0 bytes/workgroup (compile time only)
; SGPRBlocks: 0
; VGPRBlocks: 0
; NumSGPRsForWavesPerEU: 1
; NumVGPRsForWavesPerEU: 1
; Occupancy: 16
; WaveLimiterHint : 0
; COMPUTE_PGM_RSRC2:SCRATCH_EN: 0
; COMPUTE_PGM_RSRC2:USER_SGPR: 6
; COMPUTE_PGM_RSRC2:TRAP_HANDLER: 0
; COMPUTE_PGM_RSRC2:TGID_X_EN: 1
; COMPUTE_PGM_RSRC2:TGID_Y_EN: 0
; COMPUTE_PGM_RSRC2:TGID_Z_EN: 0
; COMPUTE_PGM_RSRC2:TIDIG_COMP_CNT: 0
	.section	.text._ZN7rocprim17ROCPRIM_400000_NS6detail17trampoline_kernelINS0_14default_configENS1_38merge_sort_block_merge_config_selectorIhNS0_10empty_typeEEEZZNS1_27merge_sort_block_merge_implIS3_N6thrust23THRUST_200600_302600_NS6detail15normal_iteratorINS9_10device_ptrIhEEEEPS5_m11less_div_10IhEEE10hipError_tT0_T1_T2_jT3_P12ihipStream_tbPNSt15iterator_traitsISJ_E10value_typeEPNSP_ISK_E10value_typeEPSL_NS1_7vsmem_tEENKUlT_SJ_SK_SL_E_clISE_PhSF_SF_EESI_SY_SJ_SK_SL_EUlSY_E1_NS1_11comp_targetILNS1_3genE8ELNS1_11target_archE1030ELNS1_3gpuE2ELNS1_3repE0EEENS1_36merge_oddeven_config_static_selectorELNS0_4arch9wavefront6targetE0EEEvSK_,"axG",@progbits,_ZN7rocprim17ROCPRIM_400000_NS6detail17trampoline_kernelINS0_14default_configENS1_38merge_sort_block_merge_config_selectorIhNS0_10empty_typeEEEZZNS1_27merge_sort_block_merge_implIS3_N6thrust23THRUST_200600_302600_NS6detail15normal_iteratorINS9_10device_ptrIhEEEEPS5_m11less_div_10IhEEE10hipError_tT0_T1_T2_jT3_P12ihipStream_tbPNSt15iterator_traitsISJ_E10value_typeEPNSP_ISK_E10value_typeEPSL_NS1_7vsmem_tEENKUlT_SJ_SK_SL_E_clISE_PhSF_SF_EESI_SY_SJ_SK_SL_EUlSY_E1_NS1_11comp_targetILNS1_3genE8ELNS1_11target_archE1030ELNS1_3gpuE2ELNS1_3repE0EEENS1_36merge_oddeven_config_static_selectorELNS0_4arch9wavefront6targetE0EEEvSK_,comdat
	.protected	_ZN7rocprim17ROCPRIM_400000_NS6detail17trampoline_kernelINS0_14default_configENS1_38merge_sort_block_merge_config_selectorIhNS0_10empty_typeEEEZZNS1_27merge_sort_block_merge_implIS3_N6thrust23THRUST_200600_302600_NS6detail15normal_iteratorINS9_10device_ptrIhEEEEPS5_m11less_div_10IhEEE10hipError_tT0_T1_T2_jT3_P12ihipStream_tbPNSt15iterator_traitsISJ_E10value_typeEPNSP_ISK_E10value_typeEPSL_NS1_7vsmem_tEENKUlT_SJ_SK_SL_E_clISE_PhSF_SF_EESI_SY_SJ_SK_SL_EUlSY_E1_NS1_11comp_targetILNS1_3genE8ELNS1_11target_archE1030ELNS1_3gpuE2ELNS1_3repE0EEENS1_36merge_oddeven_config_static_selectorELNS0_4arch9wavefront6targetE0EEEvSK_ ; -- Begin function _ZN7rocprim17ROCPRIM_400000_NS6detail17trampoline_kernelINS0_14default_configENS1_38merge_sort_block_merge_config_selectorIhNS0_10empty_typeEEEZZNS1_27merge_sort_block_merge_implIS3_N6thrust23THRUST_200600_302600_NS6detail15normal_iteratorINS9_10device_ptrIhEEEEPS5_m11less_div_10IhEEE10hipError_tT0_T1_T2_jT3_P12ihipStream_tbPNSt15iterator_traitsISJ_E10value_typeEPNSP_ISK_E10value_typeEPSL_NS1_7vsmem_tEENKUlT_SJ_SK_SL_E_clISE_PhSF_SF_EESI_SY_SJ_SK_SL_EUlSY_E1_NS1_11comp_targetILNS1_3genE8ELNS1_11target_archE1030ELNS1_3gpuE2ELNS1_3repE0EEENS1_36merge_oddeven_config_static_selectorELNS0_4arch9wavefront6targetE0EEEvSK_
	.globl	_ZN7rocprim17ROCPRIM_400000_NS6detail17trampoline_kernelINS0_14default_configENS1_38merge_sort_block_merge_config_selectorIhNS0_10empty_typeEEEZZNS1_27merge_sort_block_merge_implIS3_N6thrust23THRUST_200600_302600_NS6detail15normal_iteratorINS9_10device_ptrIhEEEEPS5_m11less_div_10IhEEE10hipError_tT0_T1_T2_jT3_P12ihipStream_tbPNSt15iterator_traitsISJ_E10value_typeEPNSP_ISK_E10value_typeEPSL_NS1_7vsmem_tEENKUlT_SJ_SK_SL_E_clISE_PhSF_SF_EESI_SY_SJ_SK_SL_EUlSY_E1_NS1_11comp_targetILNS1_3genE8ELNS1_11target_archE1030ELNS1_3gpuE2ELNS1_3repE0EEENS1_36merge_oddeven_config_static_selectorELNS0_4arch9wavefront6targetE0EEEvSK_
	.p2align	8
	.type	_ZN7rocprim17ROCPRIM_400000_NS6detail17trampoline_kernelINS0_14default_configENS1_38merge_sort_block_merge_config_selectorIhNS0_10empty_typeEEEZZNS1_27merge_sort_block_merge_implIS3_N6thrust23THRUST_200600_302600_NS6detail15normal_iteratorINS9_10device_ptrIhEEEEPS5_m11less_div_10IhEEE10hipError_tT0_T1_T2_jT3_P12ihipStream_tbPNSt15iterator_traitsISJ_E10value_typeEPNSP_ISK_E10value_typeEPSL_NS1_7vsmem_tEENKUlT_SJ_SK_SL_E_clISE_PhSF_SF_EESI_SY_SJ_SK_SL_EUlSY_E1_NS1_11comp_targetILNS1_3genE8ELNS1_11target_archE1030ELNS1_3gpuE2ELNS1_3repE0EEENS1_36merge_oddeven_config_static_selectorELNS0_4arch9wavefront6targetE0EEEvSK_,@function
_ZN7rocprim17ROCPRIM_400000_NS6detail17trampoline_kernelINS0_14default_configENS1_38merge_sort_block_merge_config_selectorIhNS0_10empty_typeEEEZZNS1_27merge_sort_block_merge_implIS3_N6thrust23THRUST_200600_302600_NS6detail15normal_iteratorINS9_10device_ptrIhEEEEPS5_m11less_div_10IhEEE10hipError_tT0_T1_T2_jT3_P12ihipStream_tbPNSt15iterator_traitsISJ_E10value_typeEPNSP_ISK_E10value_typeEPSL_NS1_7vsmem_tEENKUlT_SJ_SK_SL_E_clISE_PhSF_SF_EESI_SY_SJ_SK_SL_EUlSY_E1_NS1_11comp_targetILNS1_3genE8ELNS1_11target_archE1030ELNS1_3gpuE2ELNS1_3repE0EEENS1_36merge_oddeven_config_static_selectorELNS0_4arch9wavefront6targetE0EEEvSK_: ; @_ZN7rocprim17ROCPRIM_400000_NS6detail17trampoline_kernelINS0_14default_configENS1_38merge_sort_block_merge_config_selectorIhNS0_10empty_typeEEEZZNS1_27merge_sort_block_merge_implIS3_N6thrust23THRUST_200600_302600_NS6detail15normal_iteratorINS9_10device_ptrIhEEEEPS5_m11less_div_10IhEEE10hipError_tT0_T1_T2_jT3_P12ihipStream_tbPNSt15iterator_traitsISJ_E10value_typeEPNSP_ISK_E10value_typeEPSL_NS1_7vsmem_tEENKUlT_SJ_SK_SL_E_clISE_PhSF_SF_EESI_SY_SJ_SK_SL_EUlSY_E1_NS1_11comp_targetILNS1_3genE8ELNS1_11target_archE1030ELNS1_3gpuE2ELNS1_3repE0EEENS1_36merge_oddeven_config_static_selectorELNS0_4arch9wavefront6targetE0EEEvSK_
; %bb.0:
	s_load_dword s7, s[4:5], 0x20
	s_waitcnt lgkmcnt(0)
	s_lshr_b32 s0, s7, 8
	s_cmp_lg_u32 s6, s0
	s_cselect_b32 s13, -1, 0
	s_cmp_eq_u32 s6, s0
	s_cselect_b32 s12, -1, 0
	s_lshl_b32 s2, s6, 8
	s_sub_i32 s0, s7, s2
	v_cmp_gt_u32_e64 s1, s0, v0
	s_or_b32 s0, s13, s1
	s_and_saveexec_b32 s3, s0
	s_cbranch_execz .LBB740_20
; %bb.1:
	s_clause 0x1
	s_load_dwordx4 s[8:11], s[4:5], 0x0
	s_load_dword s5, s[4:5], 0x28
	v_add_nc_u32_e32 v3, s2, v0
	s_waitcnt lgkmcnt(0)
	s_add_u32 s14, s8, s2
	s_addc_u32 s15, s9, 0
	s_lshr_b32 s0, s5, 8
	global_load_ubyte v1, v0, s[14:15]
	s_sub_i32 s3, 0, s0
	s_mov_b32 s2, 0
	s_and_b32 s3, s6, s3
	s_and_b32 s0, s3, s0
	s_lshl_b32 s6, s3, 8
	s_sub_i32 s3, 0, s5
	s_cmp_eq_u32 s0, 0
	s_cselect_b32 s0, -1, 0
	s_and_b32 s4, s0, exec_lo
	s_cselect_b32 s3, s5, s3
	s_add_i32 s3, s3, s6
	s_cmp_lt_u32 s3, s7
	s_cbranch_scc1 .LBB740_3
; %bb.2:
	v_cmp_gt_u32_e32 vcc_lo, s7, v3
	s_or_b32 s2, vcc_lo, s13
	s_and_b32 s2, s2, exec_lo
	s_cbranch_execz .LBB740_4
	s_branch .LBB740_18
.LBB740_3:
.LBB740_4:
	s_waitcnt vmcnt(0)
	v_and_b32_e32 v0, 0xff, v1
	s_min_u32 s4, s3, s7
	s_and_b32 vcc_lo, exec_lo, s12
	s_add_i32 s13, s6, s4
	s_min_u32 s6, s6, s4
	v_subrev_nc_u32_e32 v2, s13, v3
	v_mul_lo_u16 v3, 0xcd, v0
	s_add_i32 s5, s4, s5
	s_min_u32 s5, s5, s7
	v_add_nc_u32_e32 v0, s6, v2
	v_lshrrev_b16 v2, 11, v3
	s_cbranch_vccz .LBB740_12
; %bb.5:
                                        ; implicit-def: $vgpr3
	s_and_saveexec_b32 s6, s1
	s_cbranch_execz .LBB740_11
; %bb.6:
	v_mov_b32_e32 v3, s4
	s_cmp_ge_u32 s3, s5
	s_cbranch_scc1 .LBB740_10
; %bb.7:
	v_mov_b32_e32 v4, s5
	v_mov_b32_e32 v3, s4
	s_mov_b32 s1, 0
	.p2align	6
.LBB740_8:                              ; =>This Inner Loop Header: Depth=1
	v_add_nc_u32_e32 v5, v3, v4
	v_lshrrev_b32_e32 v5, 1, v5
	global_load_ubyte v6, v5, s[8:9]
	s_waitcnt vmcnt(0)
	v_mul_lo_u16 v6, 0xcd, v6
	v_lshrrev_b16 v6, 11, v6
	v_cmp_lt_u16_e32 vcc_lo, v6, v2
	v_cndmask_b32_e64 v7, 0, 1, vcc_lo
	v_cmp_ge_u16_e32 vcc_lo, v2, v6
	v_cndmask_b32_e64 v6, 0, 1, vcc_lo
	v_cndmask_b32_e64 v6, v6, v7, s0
	v_add_nc_u32_e32 v7, 1, v5
	v_and_b32_e32 v6, 1, v6
	v_cmp_eq_u32_e32 vcc_lo, 1, v6
	v_cndmask_b32_e32 v4, v5, v4, vcc_lo
	v_cndmask_b32_e32 v3, v3, v7, vcc_lo
	v_cmp_ge_u32_e32 vcc_lo, v3, v4
	s_or_b32 s1, vcc_lo, s1
	s_andn2_b32 exec_lo, exec_lo, s1
	s_cbranch_execnz .LBB740_8
; %bb.9:
	s_or_b32 exec_lo, exec_lo, s1
.LBB740_10:
	v_add_nc_u32_e32 v3, v3, v0
	s_or_b32 s2, s2, exec_lo
.LBB740_11:
	s_or_b32 exec_lo, exec_lo, s6
	s_branch .LBB740_18
.LBB740_12:
                                        ; implicit-def: $vgpr3
	s_cbranch_execz .LBB740_18
; %bb.13:
	v_mov_b32_e32 v3, s4
	s_cmp_ge_u32 s3, s5
	s_cbranch_scc1 .LBB740_17
; %bb.14:
	v_mov_b32_e32 v4, s5
	v_mov_b32_e32 v3, s4
	s_mov_b32 s1, 0
	.p2align	6
.LBB740_15:                             ; =>This Inner Loop Header: Depth=1
	v_add_nc_u32_e32 v5, v3, v4
	v_lshrrev_b32_e32 v5, 1, v5
	global_load_ubyte v6, v5, s[8:9]
	s_waitcnt vmcnt(0)
	v_mul_lo_u16 v6, 0xcd, v6
	v_lshrrev_b16 v6, 11, v6
	v_cmp_lt_u16_e32 vcc_lo, v6, v2
	v_cndmask_b32_e64 v7, 0, 1, vcc_lo
	v_cmp_ge_u16_e32 vcc_lo, v2, v6
	v_cndmask_b32_e64 v6, 0, 1, vcc_lo
	v_cndmask_b32_e64 v6, v6, v7, s0
	v_add_nc_u32_e32 v7, 1, v5
	v_and_b32_e32 v6, 1, v6
	v_cmp_eq_u32_e32 vcc_lo, 1, v6
	v_cndmask_b32_e32 v4, v5, v4, vcc_lo
	v_cndmask_b32_e32 v3, v3, v7, vcc_lo
	v_cmp_ge_u32_e32 vcc_lo, v3, v4
	s_or_b32 s1, vcc_lo, s1
	s_andn2_b32 exec_lo, exec_lo, s1
	s_cbranch_execnz .LBB740_15
; %bb.16:
	s_or_b32 exec_lo, exec_lo, s1
.LBB740_17:
	v_add_nc_u32_e32 v3, v3, v0
	s_mov_b32 s2, -1
.LBB740_18:
	s_and_b32 exec_lo, exec_lo, s2
	s_cbranch_execz .LBB740_20
; %bb.19:
	s_waitcnt vmcnt(0)
	global_store_byte v3, v1, s[10:11]
.LBB740_20:
	s_endpgm
	.section	.rodata,"a",@progbits
	.p2align	6, 0x0
	.amdhsa_kernel _ZN7rocprim17ROCPRIM_400000_NS6detail17trampoline_kernelINS0_14default_configENS1_38merge_sort_block_merge_config_selectorIhNS0_10empty_typeEEEZZNS1_27merge_sort_block_merge_implIS3_N6thrust23THRUST_200600_302600_NS6detail15normal_iteratorINS9_10device_ptrIhEEEEPS5_m11less_div_10IhEEE10hipError_tT0_T1_T2_jT3_P12ihipStream_tbPNSt15iterator_traitsISJ_E10value_typeEPNSP_ISK_E10value_typeEPSL_NS1_7vsmem_tEENKUlT_SJ_SK_SL_E_clISE_PhSF_SF_EESI_SY_SJ_SK_SL_EUlSY_E1_NS1_11comp_targetILNS1_3genE8ELNS1_11target_archE1030ELNS1_3gpuE2ELNS1_3repE0EEENS1_36merge_oddeven_config_static_selectorELNS0_4arch9wavefront6targetE0EEEvSK_
		.amdhsa_group_segment_fixed_size 0
		.amdhsa_private_segment_fixed_size 0
		.amdhsa_kernarg_size 56
		.amdhsa_user_sgpr_count 6
		.amdhsa_user_sgpr_private_segment_buffer 1
		.amdhsa_user_sgpr_dispatch_ptr 0
		.amdhsa_user_sgpr_queue_ptr 0
		.amdhsa_user_sgpr_kernarg_segment_ptr 1
		.amdhsa_user_sgpr_dispatch_id 0
		.amdhsa_user_sgpr_flat_scratch_init 0
		.amdhsa_user_sgpr_private_segment_size 0
		.amdhsa_wavefront_size32 1
		.amdhsa_uses_dynamic_stack 0
		.amdhsa_system_sgpr_private_segment_wavefront_offset 0
		.amdhsa_system_sgpr_workgroup_id_x 1
		.amdhsa_system_sgpr_workgroup_id_y 0
		.amdhsa_system_sgpr_workgroup_id_z 0
		.amdhsa_system_sgpr_workgroup_info 0
		.amdhsa_system_vgpr_workitem_id 0
		.amdhsa_next_free_vgpr 8
		.amdhsa_next_free_sgpr 16
		.amdhsa_reserve_vcc 1
		.amdhsa_reserve_flat_scratch 0
		.amdhsa_float_round_mode_32 0
		.amdhsa_float_round_mode_16_64 0
		.amdhsa_float_denorm_mode_32 3
		.amdhsa_float_denorm_mode_16_64 3
		.amdhsa_dx10_clamp 1
		.amdhsa_ieee_mode 1
		.amdhsa_fp16_overflow 0
		.amdhsa_workgroup_processor_mode 1
		.amdhsa_memory_ordered 1
		.amdhsa_forward_progress 1
		.amdhsa_shared_vgpr_count 0
		.amdhsa_exception_fp_ieee_invalid_op 0
		.amdhsa_exception_fp_denorm_src 0
		.amdhsa_exception_fp_ieee_div_zero 0
		.amdhsa_exception_fp_ieee_overflow 0
		.amdhsa_exception_fp_ieee_underflow 0
		.amdhsa_exception_fp_ieee_inexact 0
		.amdhsa_exception_int_div_zero 0
	.end_amdhsa_kernel
	.section	.text._ZN7rocprim17ROCPRIM_400000_NS6detail17trampoline_kernelINS0_14default_configENS1_38merge_sort_block_merge_config_selectorIhNS0_10empty_typeEEEZZNS1_27merge_sort_block_merge_implIS3_N6thrust23THRUST_200600_302600_NS6detail15normal_iteratorINS9_10device_ptrIhEEEEPS5_m11less_div_10IhEEE10hipError_tT0_T1_T2_jT3_P12ihipStream_tbPNSt15iterator_traitsISJ_E10value_typeEPNSP_ISK_E10value_typeEPSL_NS1_7vsmem_tEENKUlT_SJ_SK_SL_E_clISE_PhSF_SF_EESI_SY_SJ_SK_SL_EUlSY_E1_NS1_11comp_targetILNS1_3genE8ELNS1_11target_archE1030ELNS1_3gpuE2ELNS1_3repE0EEENS1_36merge_oddeven_config_static_selectorELNS0_4arch9wavefront6targetE0EEEvSK_,"axG",@progbits,_ZN7rocprim17ROCPRIM_400000_NS6detail17trampoline_kernelINS0_14default_configENS1_38merge_sort_block_merge_config_selectorIhNS0_10empty_typeEEEZZNS1_27merge_sort_block_merge_implIS3_N6thrust23THRUST_200600_302600_NS6detail15normal_iteratorINS9_10device_ptrIhEEEEPS5_m11less_div_10IhEEE10hipError_tT0_T1_T2_jT3_P12ihipStream_tbPNSt15iterator_traitsISJ_E10value_typeEPNSP_ISK_E10value_typeEPSL_NS1_7vsmem_tEENKUlT_SJ_SK_SL_E_clISE_PhSF_SF_EESI_SY_SJ_SK_SL_EUlSY_E1_NS1_11comp_targetILNS1_3genE8ELNS1_11target_archE1030ELNS1_3gpuE2ELNS1_3repE0EEENS1_36merge_oddeven_config_static_selectorELNS0_4arch9wavefront6targetE0EEEvSK_,comdat
.Lfunc_end740:
	.size	_ZN7rocprim17ROCPRIM_400000_NS6detail17trampoline_kernelINS0_14default_configENS1_38merge_sort_block_merge_config_selectorIhNS0_10empty_typeEEEZZNS1_27merge_sort_block_merge_implIS3_N6thrust23THRUST_200600_302600_NS6detail15normal_iteratorINS9_10device_ptrIhEEEEPS5_m11less_div_10IhEEE10hipError_tT0_T1_T2_jT3_P12ihipStream_tbPNSt15iterator_traitsISJ_E10value_typeEPNSP_ISK_E10value_typeEPSL_NS1_7vsmem_tEENKUlT_SJ_SK_SL_E_clISE_PhSF_SF_EESI_SY_SJ_SK_SL_EUlSY_E1_NS1_11comp_targetILNS1_3genE8ELNS1_11target_archE1030ELNS1_3gpuE2ELNS1_3repE0EEENS1_36merge_oddeven_config_static_selectorELNS0_4arch9wavefront6targetE0EEEvSK_, .Lfunc_end740-_ZN7rocprim17ROCPRIM_400000_NS6detail17trampoline_kernelINS0_14default_configENS1_38merge_sort_block_merge_config_selectorIhNS0_10empty_typeEEEZZNS1_27merge_sort_block_merge_implIS3_N6thrust23THRUST_200600_302600_NS6detail15normal_iteratorINS9_10device_ptrIhEEEEPS5_m11less_div_10IhEEE10hipError_tT0_T1_T2_jT3_P12ihipStream_tbPNSt15iterator_traitsISJ_E10value_typeEPNSP_ISK_E10value_typeEPSL_NS1_7vsmem_tEENKUlT_SJ_SK_SL_E_clISE_PhSF_SF_EESI_SY_SJ_SK_SL_EUlSY_E1_NS1_11comp_targetILNS1_3genE8ELNS1_11target_archE1030ELNS1_3gpuE2ELNS1_3repE0EEENS1_36merge_oddeven_config_static_selectorELNS0_4arch9wavefront6targetE0EEEvSK_
                                        ; -- End function
	.set _ZN7rocprim17ROCPRIM_400000_NS6detail17trampoline_kernelINS0_14default_configENS1_38merge_sort_block_merge_config_selectorIhNS0_10empty_typeEEEZZNS1_27merge_sort_block_merge_implIS3_N6thrust23THRUST_200600_302600_NS6detail15normal_iteratorINS9_10device_ptrIhEEEEPS5_m11less_div_10IhEEE10hipError_tT0_T1_T2_jT3_P12ihipStream_tbPNSt15iterator_traitsISJ_E10value_typeEPNSP_ISK_E10value_typeEPSL_NS1_7vsmem_tEENKUlT_SJ_SK_SL_E_clISE_PhSF_SF_EESI_SY_SJ_SK_SL_EUlSY_E1_NS1_11comp_targetILNS1_3genE8ELNS1_11target_archE1030ELNS1_3gpuE2ELNS1_3repE0EEENS1_36merge_oddeven_config_static_selectorELNS0_4arch9wavefront6targetE0EEEvSK_.num_vgpr, 8
	.set _ZN7rocprim17ROCPRIM_400000_NS6detail17trampoline_kernelINS0_14default_configENS1_38merge_sort_block_merge_config_selectorIhNS0_10empty_typeEEEZZNS1_27merge_sort_block_merge_implIS3_N6thrust23THRUST_200600_302600_NS6detail15normal_iteratorINS9_10device_ptrIhEEEEPS5_m11less_div_10IhEEE10hipError_tT0_T1_T2_jT3_P12ihipStream_tbPNSt15iterator_traitsISJ_E10value_typeEPNSP_ISK_E10value_typeEPSL_NS1_7vsmem_tEENKUlT_SJ_SK_SL_E_clISE_PhSF_SF_EESI_SY_SJ_SK_SL_EUlSY_E1_NS1_11comp_targetILNS1_3genE8ELNS1_11target_archE1030ELNS1_3gpuE2ELNS1_3repE0EEENS1_36merge_oddeven_config_static_selectorELNS0_4arch9wavefront6targetE0EEEvSK_.num_agpr, 0
	.set _ZN7rocprim17ROCPRIM_400000_NS6detail17trampoline_kernelINS0_14default_configENS1_38merge_sort_block_merge_config_selectorIhNS0_10empty_typeEEEZZNS1_27merge_sort_block_merge_implIS3_N6thrust23THRUST_200600_302600_NS6detail15normal_iteratorINS9_10device_ptrIhEEEEPS5_m11less_div_10IhEEE10hipError_tT0_T1_T2_jT3_P12ihipStream_tbPNSt15iterator_traitsISJ_E10value_typeEPNSP_ISK_E10value_typeEPSL_NS1_7vsmem_tEENKUlT_SJ_SK_SL_E_clISE_PhSF_SF_EESI_SY_SJ_SK_SL_EUlSY_E1_NS1_11comp_targetILNS1_3genE8ELNS1_11target_archE1030ELNS1_3gpuE2ELNS1_3repE0EEENS1_36merge_oddeven_config_static_selectorELNS0_4arch9wavefront6targetE0EEEvSK_.numbered_sgpr, 16
	.set _ZN7rocprim17ROCPRIM_400000_NS6detail17trampoline_kernelINS0_14default_configENS1_38merge_sort_block_merge_config_selectorIhNS0_10empty_typeEEEZZNS1_27merge_sort_block_merge_implIS3_N6thrust23THRUST_200600_302600_NS6detail15normal_iteratorINS9_10device_ptrIhEEEEPS5_m11less_div_10IhEEE10hipError_tT0_T1_T2_jT3_P12ihipStream_tbPNSt15iterator_traitsISJ_E10value_typeEPNSP_ISK_E10value_typeEPSL_NS1_7vsmem_tEENKUlT_SJ_SK_SL_E_clISE_PhSF_SF_EESI_SY_SJ_SK_SL_EUlSY_E1_NS1_11comp_targetILNS1_3genE8ELNS1_11target_archE1030ELNS1_3gpuE2ELNS1_3repE0EEENS1_36merge_oddeven_config_static_selectorELNS0_4arch9wavefront6targetE0EEEvSK_.num_named_barrier, 0
	.set _ZN7rocprim17ROCPRIM_400000_NS6detail17trampoline_kernelINS0_14default_configENS1_38merge_sort_block_merge_config_selectorIhNS0_10empty_typeEEEZZNS1_27merge_sort_block_merge_implIS3_N6thrust23THRUST_200600_302600_NS6detail15normal_iteratorINS9_10device_ptrIhEEEEPS5_m11less_div_10IhEEE10hipError_tT0_T1_T2_jT3_P12ihipStream_tbPNSt15iterator_traitsISJ_E10value_typeEPNSP_ISK_E10value_typeEPSL_NS1_7vsmem_tEENKUlT_SJ_SK_SL_E_clISE_PhSF_SF_EESI_SY_SJ_SK_SL_EUlSY_E1_NS1_11comp_targetILNS1_3genE8ELNS1_11target_archE1030ELNS1_3gpuE2ELNS1_3repE0EEENS1_36merge_oddeven_config_static_selectorELNS0_4arch9wavefront6targetE0EEEvSK_.private_seg_size, 0
	.set _ZN7rocprim17ROCPRIM_400000_NS6detail17trampoline_kernelINS0_14default_configENS1_38merge_sort_block_merge_config_selectorIhNS0_10empty_typeEEEZZNS1_27merge_sort_block_merge_implIS3_N6thrust23THRUST_200600_302600_NS6detail15normal_iteratorINS9_10device_ptrIhEEEEPS5_m11less_div_10IhEEE10hipError_tT0_T1_T2_jT3_P12ihipStream_tbPNSt15iterator_traitsISJ_E10value_typeEPNSP_ISK_E10value_typeEPSL_NS1_7vsmem_tEENKUlT_SJ_SK_SL_E_clISE_PhSF_SF_EESI_SY_SJ_SK_SL_EUlSY_E1_NS1_11comp_targetILNS1_3genE8ELNS1_11target_archE1030ELNS1_3gpuE2ELNS1_3repE0EEENS1_36merge_oddeven_config_static_selectorELNS0_4arch9wavefront6targetE0EEEvSK_.uses_vcc, 1
	.set _ZN7rocprim17ROCPRIM_400000_NS6detail17trampoline_kernelINS0_14default_configENS1_38merge_sort_block_merge_config_selectorIhNS0_10empty_typeEEEZZNS1_27merge_sort_block_merge_implIS3_N6thrust23THRUST_200600_302600_NS6detail15normal_iteratorINS9_10device_ptrIhEEEEPS5_m11less_div_10IhEEE10hipError_tT0_T1_T2_jT3_P12ihipStream_tbPNSt15iterator_traitsISJ_E10value_typeEPNSP_ISK_E10value_typeEPSL_NS1_7vsmem_tEENKUlT_SJ_SK_SL_E_clISE_PhSF_SF_EESI_SY_SJ_SK_SL_EUlSY_E1_NS1_11comp_targetILNS1_3genE8ELNS1_11target_archE1030ELNS1_3gpuE2ELNS1_3repE0EEENS1_36merge_oddeven_config_static_selectorELNS0_4arch9wavefront6targetE0EEEvSK_.uses_flat_scratch, 0
	.set _ZN7rocprim17ROCPRIM_400000_NS6detail17trampoline_kernelINS0_14default_configENS1_38merge_sort_block_merge_config_selectorIhNS0_10empty_typeEEEZZNS1_27merge_sort_block_merge_implIS3_N6thrust23THRUST_200600_302600_NS6detail15normal_iteratorINS9_10device_ptrIhEEEEPS5_m11less_div_10IhEEE10hipError_tT0_T1_T2_jT3_P12ihipStream_tbPNSt15iterator_traitsISJ_E10value_typeEPNSP_ISK_E10value_typeEPSL_NS1_7vsmem_tEENKUlT_SJ_SK_SL_E_clISE_PhSF_SF_EESI_SY_SJ_SK_SL_EUlSY_E1_NS1_11comp_targetILNS1_3genE8ELNS1_11target_archE1030ELNS1_3gpuE2ELNS1_3repE0EEENS1_36merge_oddeven_config_static_selectorELNS0_4arch9wavefront6targetE0EEEvSK_.has_dyn_sized_stack, 0
	.set _ZN7rocprim17ROCPRIM_400000_NS6detail17trampoline_kernelINS0_14default_configENS1_38merge_sort_block_merge_config_selectorIhNS0_10empty_typeEEEZZNS1_27merge_sort_block_merge_implIS3_N6thrust23THRUST_200600_302600_NS6detail15normal_iteratorINS9_10device_ptrIhEEEEPS5_m11less_div_10IhEEE10hipError_tT0_T1_T2_jT3_P12ihipStream_tbPNSt15iterator_traitsISJ_E10value_typeEPNSP_ISK_E10value_typeEPSL_NS1_7vsmem_tEENKUlT_SJ_SK_SL_E_clISE_PhSF_SF_EESI_SY_SJ_SK_SL_EUlSY_E1_NS1_11comp_targetILNS1_3genE8ELNS1_11target_archE1030ELNS1_3gpuE2ELNS1_3repE0EEENS1_36merge_oddeven_config_static_selectorELNS0_4arch9wavefront6targetE0EEEvSK_.has_recursion, 0
	.set _ZN7rocprim17ROCPRIM_400000_NS6detail17trampoline_kernelINS0_14default_configENS1_38merge_sort_block_merge_config_selectorIhNS0_10empty_typeEEEZZNS1_27merge_sort_block_merge_implIS3_N6thrust23THRUST_200600_302600_NS6detail15normal_iteratorINS9_10device_ptrIhEEEEPS5_m11less_div_10IhEEE10hipError_tT0_T1_T2_jT3_P12ihipStream_tbPNSt15iterator_traitsISJ_E10value_typeEPNSP_ISK_E10value_typeEPSL_NS1_7vsmem_tEENKUlT_SJ_SK_SL_E_clISE_PhSF_SF_EESI_SY_SJ_SK_SL_EUlSY_E1_NS1_11comp_targetILNS1_3genE8ELNS1_11target_archE1030ELNS1_3gpuE2ELNS1_3repE0EEENS1_36merge_oddeven_config_static_selectorELNS0_4arch9wavefront6targetE0EEEvSK_.has_indirect_call, 0
	.section	.AMDGPU.csdata,"",@progbits
; Kernel info:
; codeLenInByte = 656
; TotalNumSgprs: 18
; NumVgprs: 8
; ScratchSize: 0
; MemoryBound: 0
; FloatMode: 240
; IeeeMode: 1
; LDSByteSize: 0 bytes/workgroup (compile time only)
; SGPRBlocks: 0
; VGPRBlocks: 0
; NumSGPRsForWavesPerEU: 18
; NumVGPRsForWavesPerEU: 8
; Occupancy: 16
; WaveLimiterHint : 0
; COMPUTE_PGM_RSRC2:SCRATCH_EN: 0
; COMPUTE_PGM_RSRC2:USER_SGPR: 6
; COMPUTE_PGM_RSRC2:TRAP_HANDLER: 0
; COMPUTE_PGM_RSRC2:TGID_X_EN: 1
; COMPUTE_PGM_RSRC2:TGID_Y_EN: 0
; COMPUTE_PGM_RSRC2:TGID_Z_EN: 0
; COMPUTE_PGM_RSRC2:TIDIG_COMP_CNT: 0
	.section	.text._ZN7rocprim17ROCPRIM_400000_NS6detail17trampoline_kernelINS0_14default_configENS1_25transform_config_selectorIhLb0EEEZNS1_14transform_implILb0ES3_S5_PhN6thrust23THRUST_200600_302600_NS6detail15normal_iteratorINS9_10device_ptrIhEEEENS0_8identityIhEEEE10hipError_tT2_T3_mT4_P12ihipStream_tbEUlT_E_NS1_11comp_targetILNS1_3genE0ELNS1_11target_archE4294967295ELNS1_3gpuE0ELNS1_3repE0EEENS1_30default_config_static_selectorELNS0_4arch9wavefront6targetE0EEEvT1_,"axG",@progbits,_ZN7rocprim17ROCPRIM_400000_NS6detail17trampoline_kernelINS0_14default_configENS1_25transform_config_selectorIhLb0EEEZNS1_14transform_implILb0ES3_S5_PhN6thrust23THRUST_200600_302600_NS6detail15normal_iteratorINS9_10device_ptrIhEEEENS0_8identityIhEEEE10hipError_tT2_T3_mT4_P12ihipStream_tbEUlT_E_NS1_11comp_targetILNS1_3genE0ELNS1_11target_archE4294967295ELNS1_3gpuE0ELNS1_3repE0EEENS1_30default_config_static_selectorELNS0_4arch9wavefront6targetE0EEEvT1_,comdat
	.protected	_ZN7rocprim17ROCPRIM_400000_NS6detail17trampoline_kernelINS0_14default_configENS1_25transform_config_selectorIhLb0EEEZNS1_14transform_implILb0ES3_S5_PhN6thrust23THRUST_200600_302600_NS6detail15normal_iteratorINS9_10device_ptrIhEEEENS0_8identityIhEEEE10hipError_tT2_T3_mT4_P12ihipStream_tbEUlT_E_NS1_11comp_targetILNS1_3genE0ELNS1_11target_archE4294967295ELNS1_3gpuE0ELNS1_3repE0EEENS1_30default_config_static_selectorELNS0_4arch9wavefront6targetE0EEEvT1_ ; -- Begin function _ZN7rocprim17ROCPRIM_400000_NS6detail17trampoline_kernelINS0_14default_configENS1_25transform_config_selectorIhLb0EEEZNS1_14transform_implILb0ES3_S5_PhN6thrust23THRUST_200600_302600_NS6detail15normal_iteratorINS9_10device_ptrIhEEEENS0_8identityIhEEEE10hipError_tT2_T3_mT4_P12ihipStream_tbEUlT_E_NS1_11comp_targetILNS1_3genE0ELNS1_11target_archE4294967295ELNS1_3gpuE0ELNS1_3repE0EEENS1_30default_config_static_selectorELNS0_4arch9wavefront6targetE0EEEvT1_
	.globl	_ZN7rocprim17ROCPRIM_400000_NS6detail17trampoline_kernelINS0_14default_configENS1_25transform_config_selectorIhLb0EEEZNS1_14transform_implILb0ES3_S5_PhN6thrust23THRUST_200600_302600_NS6detail15normal_iteratorINS9_10device_ptrIhEEEENS0_8identityIhEEEE10hipError_tT2_T3_mT4_P12ihipStream_tbEUlT_E_NS1_11comp_targetILNS1_3genE0ELNS1_11target_archE4294967295ELNS1_3gpuE0ELNS1_3repE0EEENS1_30default_config_static_selectorELNS0_4arch9wavefront6targetE0EEEvT1_
	.p2align	8
	.type	_ZN7rocprim17ROCPRIM_400000_NS6detail17trampoline_kernelINS0_14default_configENS1_25transform_config_selectorIhLb0EEEZNS1_14transform_implILb0ES3_S5_PhN6thrust23THRUST_200600_302600_NS6detail15normal_iteratorINS9_10device_ptrIhEEEENS0_8identityIhEEEE10hipError_tT2_T3_mT4_P12ihipStream_tbEUlT_E_NS1_11comp_targetILNS1_3genE0ELNS1_11target_archE4294967295ELNS1_3gpuE0ELNS1_3repE0EEENS1_30default_config_static_selectorELNS0_4arch9wavefront6targetE0EEEvT1_,@function
_ZN7rocprim17ROCPRIM_400000_NS6detail17trampoline_kernelINS0_14default_configENS1_25transform_config_selectorIhLb0EEEZNS1_14transform_implILb0ES3_S5_PhN6thrust23THRUST_200600_302600_NS6detail15normal_iteratorINS9_10device_ptrIhEEEENS0_8identityIhEEEE10hipError_tT2_T3_mT4_P12ihipStream_tbEUlT_E_NS1_11comp_targetILNS1_3genE0ELNS1_11target_archE4294967295ELNS1_3gpuE0ELNS1_3repE0EEENS1_30default_config_static_selectorELNS0_4arch9wavefront6targetE0EEEvT1_: ; @_ZN7rocprim17ROCPRIM_400000_NS6detail17trampoline_kernelINS0_14default_configENS1_25transform_config_selectorIhLb0EEEZNS1_14transform_implILb0ES3_S5_PhN6thrust23THRUST_200600_302600_NS6detail15normal_iteratorINS9_10device_ptrIhEEEENS0_8identityIhEEEE10hipError_tT2_T3_mT4_P12ihipStream_tbEUlT_E_NS1_11comp_targetILNS1_3genE0ELNS1_11target_archE4294967295ELNS1_3gpuE0ELNS1_3repE0EEENS1_30default_config_static_selectorELNS0_4arch9wavefront6targetE0EEEvT1_
; %bb.0:
	.section	.rodata,"a",@progbits
	.p2align	6, 0x0
	.amdhsa_kernel _ZN7rocprim17ROCPRIM_400000_NS6detail17trampoline_kernelINS0_14default_configENS1_25transform_config_selectorIhLb0EEEZNS1_14transform_implILb0ES3_S5_PhN6thrust23THRUST_200600_302600_NS6detail15normal_iteratorINS9_10device_ptrIhEEEENS0_8identityIhEEEE10hipError_tT2_T3_mT4_P12ihipStream_tbEUlT_E_NS1_11comp_targetILNS1_3genE0ELNS1_11target_archE4294967295ELNS1_3gpuE0ELNS1_3repE0EEENS1_30default_config_static_selectorELNS0_4arch9wavefront6targetE0EEEvT1_
		.amdhsa_group_segment_fixed_size 0
		.amdhsa_private_segment_fixed_size 0
		.amdhsa_kernarg_size 40
		.amdhsa_user_sgpr_count 6
		.amdhsa_user_sgpr_private_segment_buffer 1
		.amdhsa_user_sgpr_dispatch_ptr 0
		.amdhsa_user_sgpr_queue_ptr 0
		.amdhsa_user_sgpr_kernarg_segment_ptr 1
		.amdhsa_user_sgpr_dispatch_id 0
		.amdhsa_user_sgpr_flat_scratch_init 0
		.amdhsa_user_sgpr_private_segment_size 0
		.amdhsa_wavefront_size32 1
		.amdhsa_uses_dynamic_stack 0
		.amdhsa_system_sgpr_private_segment_wavefront_offset 0
		.amdhsa_system_sgpr_workgroup_id_x 1
		.amdhsa_system_sgpr_workgroup_id_y 0
		.amdhsa_system_sgpr_workgroup_id_z 0
		.amdhsa_system_sgpr_workgroup_info 0
		.amdhsa_system_vgpr_workitem_id 0
		.amdhsa_next_free_vgpr 1
		.amdhsa_next_free_sgpr 1
		.amdhsa_reserve_vcc 0
		.amdhsa_reserve_flat_scratch 0
		.amdhsa_float_round_mode_32 0
		.amdhsa_float_round_mode_16_64 0
		.amdhsa_float_denorm_mode_32 3
		.amdhsa_float_denorm_mode_16_64 3
		.amdhsa_dx10_clamp 1
		.amdhsa_ieee_mode 1
		.amdhsa_fp16_overflow 0
		.amdhsa_workgroup_processor_mode 1
		.amdhsa_memory_ordered 1
		.amdhsa_forward_progress 1
		.amdhsa_shared_vgpr_count 0
		.amdhsa_exception_fp_ieee_invalid_op 0
		.amdhsa_exception_fp_denorm_src 0
		.amdhsa_exception_fp_ieee_div_zero 0
		.amdhsa_exception_fp_ieee_overflow 0
		.amdhsa_exception_fp_ieee_underflow 0
		.amdhsa_exception_fp_ieee_inexact 0
		.amdhsa_exception_int_div_zero 0
	.end_amdhsa_kernel
	.section	.text._ZN7rocprim17ROCPRIM_400000_NS6detail17trampoline_kernelINS0_14default_configENS1_25transform_config_selectorIhLb0EEEZNS1_14transform_implILb0ES3_S5_PhN6thrust23THRUST_200600_302600_NS6detail15normal_iteratorINS9_10device_ptrIhEEEENS0_8identityIhEEEE10hipError_tT2_T3_mT4_P12ihipStream_tbEUlT_E_NS1_11comp_targetILNS1_3genE0ELNS1_11target_archE4294967295ELNS1_3gpuE0ELNS1_3repE0EEENS1_30default_config_static_selectorELNS0_4arch9wavefront6targetE0EEEvT1_,"axG",@progbits,_ZN7rocprim17ROCPRIM_400000_NS6detail17trampoline_kernelINS0_14default_configENS1_25transform_config_selectorIhLb0EEEZNS1_14transform_implILb0ES3_S5_PhN6thrust23THRUST_200600_302600_NS6detail15normal_iteratorINS9_10device_ptrIhEEEENS0_8identityIhEEEE10hipError_tT2_T3_mT4_P12ihipStream_tbEUlT_E_NS1_11comp_targetILNS1_3genE0ELNS1_11target_archE4294967295ELNS1_3gpuE0ELNS1_3repE0EEENS1_30default_config_static_selectorELNS0_4arch9wavefront6targetE0EEEvT1_,comdat
.Lfunc_end741:
	.size	_ZN7rocprim17ROCPRIM_400000_NS6detail17trampoline_kernelINS0_14default_configENS1_25transform_config_selectorIhLb0EEEZNS1_14transform_implILb0ES3_S5_PhN6thrust23THRUST_200600_302600_NS6detail15normal_iteratorINS9_10device_ptrIhEEEENS0_8identityIhEEEE10hipError_tT2_T3_mT4_P12ihipStream_tbEUlT_E_NS1_11comp_targetILNS1_3genE0ELNS1_11target_archE4294967295ELNS1_3gpuE0ELNS1_3repE0EEENS1_30default_config_static_selectorELNS0_4arch9wavefront6targetE0EEEvT1_, .Lfunc_end741-_ZN7rocprim17ROCPRIM_400000_NS6detail17trampoline_kernelINS0_14default_configENS1_25transform_config_selectorIhLb0EEEZNS1_14transform_implILb0ES3_S5_PhN6thrust23THRUST_200600_302600_NS6detail15normal_iteratorINS9_10device_ptrIhEEEENS0_8identityIhEEEE10hipError_tT2_T3_mT4_P12ihipStream_tbEUlT_E_NS1_11comp_targetILNS1_3genE0ELNS1_11target_archE4294967295ELNS1_3gpuE0ELNS1_3repE0EEENS1_30default_config_static_selectorELNS0_4arch9wavefront6targetE0EEEvT1_
                                        ; -- End function
	.set _ZN7rocprim17ROCPRIM_400000_NS6detail17trampoline_kernelINS0_14default_configENS1_25transform_config_selectorIhLb0EEEZNS1_14transform_implILb0ES3_S5_PhN6thrust23THRUST_200600_302600_NS6detail15normal_iteratorINS9_10device_ptrIhEEEENS0_8identityIhEEEE10hipError_tT2_T3_mT4_P12ihipStream_tbEUlT_E_NS1_11comp_targetILNS1_3genE0ELNS1_11target_archE4294967295ELNS1_3gpuE0ELNS1_3repE0EEENS1_30default_config_static_selectorELNS0_4arch9wavefront6targetE0EEEvT1_.num_vgpr, 0
	.set _ZN7rocprim17ROCPRIM_400000_NS6detail17trampoline_kernelINS0_14default_configENS1_25transform_config_selectorIhLb0EEEZNS1_14transform_implILb0ES3_S5_PhN6thrust23THRUST_200600_302600_NS6detail15normal_iteratorINS9_10device_ptrIhEEEENS0_8identityIhEEEE10hipError_tT2_T3_mT4_P12ihipStream_tbEUlT_E_NS1_11comp_targetILNS1_3genE0ELNS1_11target_archE4294967295ELNS1_3gpuE0ELNS1_3repE0EEENS1_30default_config_static_selectorELNS0_4arch9wavefront6targetE0EEEvT1_.num_agpr, 0
	.set _ZN7rocprim17ROCPRIM_400000_NS6detail17trampoline_kernelINS0_14default_configENS1_25transform_config_selectorIhLb0EEEZNS1_14transform_implILb0ES3_S5_PhN6thrust23THRUST_200600_302600_NS6detail15normal_iteratorINS9_10device_ptrIhEEEENS0_8identityIhEEEE10hipError_tT2_T3_mT4_P12ihipStream_tbEUlT_E_NS1_11comp_targetILNS1_3genE0ELNS1_11target_archE4294967295ELNS1_3gpuE0ELNS1_3repE0EEENS1_30default_config_static_selectorELNS0_4arch9wavefront6targetE0EEEvT1_.numbered_sgpr, 0
	.set _ZN7rocprim17ROCPRIM_400000_NS6detail17trampoline_kernelINS0_14default_configENS1_25transform_config_selectorIhLb0EEEZNS1_14transform_implILb0ES3_S5_PhN6thrust23THRUST_200600_302600_NS6detail15normal_iteratorINS9_10device_ptrIhEEEENS0_8identityIhEEEE10hipError_tT2_T3_mT4_P12ihipStream_tbEUlT_E_NS1_11comp_targetILNS1_3genE0ELNS1_11target_archE4294967295ELNS1_3gpuE0ELNS1_3repE0EEENS1_30default_config_static_selectorELNS0_4arch9wavefront6targetE0EEEvT1_.num_named_barrier, 0
	.set _ZN7rocprim17ROCPRIM_400000_NS6detail17trampoline_kernelINS0_14default_configENS1_25transform_config_selectorIhLb0EEEZNS1_14transform_implILb0ES3_S5_PhN6thrust23THRUST_200600_302600_NS6detail15normal_iteratorINS9_10device_ptrIhEEEENS0_8identityIhEEEE10hipError_tT2_T3_mT4_P12ihipStream_tbEUlT_E_NS1_11comp_targetILNS1_3genE0ELNS1_11target_archE4294967295ELNS1_3gpuE0ELNS1_3repE0EEENS1_30default_config_static_selectorELNS0_4arch9wavefront6targetE0EEEvT1_.private_seg_size, 0
	.set _ZN7rocprim17ROCPRIM_400000_NS6detail17trampoline_kernelINS0_14default_configENS1_25transform_config_selectorIhLb0EEEZNS1_14transform_implILb0ES3_S5_PhN6thrust23THRUST_200600_302600_NS6detail15normal_iteratorINS9_10device_ptrIhEEEENS0_8identityIhEEEE10hipError_tT2_T3_mT4_P12ihipStream_tbEUlT_E_NS1_11comp_targetILNS1_3genE0ELNS1_11target_archE4294967295ELNS1_3gpuE0ELNS1_3repE0EEENS1_30default_config_static_selectorELNS0_4arch9wavefront6targetE0EEEvT1_.uses_vcc, 0
	.set _ZN7rocprim17ROCPRIM_400000_NS6detail17trampoline_kernelINS0_14default_configENS1_25transform_config_selectorIhLb0EEEZNS1_14transform_implILb0ES3_S5_PhN6thrust23THRUST_200600_302600_NS6detail15normal_iteratorINS9_10device_ptrIhEEEENS0_8identityIhEEEE10hipError_tT2_T3_mT4_P12ihipStream_tbEUlT_E_NS1_11comp_targetILNS1_3genE0ELNS1_11target_archE4294967295ELNS1_3gpuE0ELNS1_3repE0EEENS1_30default_config_static_selectorELNS0_4arch9wavefront6targetE0EEEvT1_.uses_flat_scratch, 0
	.set _ZN7rocprim17ROCPRIM_400000_NS6detail17trampoline_kernelINS0_14default_configENS1_25transform_config_selectorIhLb0EEEZNS1_14transform_implILb0ES3_S5_PhN6thrust23THRUST_200600_302600_NS6detail15normal_iteratorINS9_10device_ptrIhEEEENS0_8identityIhEEEE10hipError_tT2_T3_mT4_P12ihipStream_tbEUlT_E_NS1_11comp_targetILNS1_3genE0ELNS1_11target_archE4294967295ELNS1_3gpuE0ELNS1_3repE0EEENS1_30default_config_static_selectorELNS0_4arch9wavefront6targetE0EEEvT1_.has_dyn_sized_stack, 0
	.set _ZN7rocprim17ROCPRIM_400000_NS6detail17trampoline_kernelINS0_14default_configENS1_25transform_config_selectorIhLb0EEEZNS1_14transform_implILb0ES3_S5_PhN6thrust23THRUST_200600_302600_NS6detail15normal_iteratorINS9_10device_ptrIhEEEENS0_8identityIhEEEE10hipError_tT2_T3_mT4_P12ihipStream_tbEUlT_E_NS1_11comp_targetILNS1_3genE0ELNS1_11target_archE4294967295ELNS1_3gpuE0ELNS1_3repE0EEENS1_30default_config_static_selectorELNS0_4arch9wavefront6targetE0EEEvT1_.has_recursion, 0
	.set _ZN7rocprim17ROCPRIM_400000_NS6detail17trampoline_kernelINS0_14default_configENS1_25transform_config_selectorIhLb0EEEZNS1_14transform_implILb0ES3_S5_PhN6thrust23THRUST_200600_302600_NS6detail15normal_iteratorINS9_10device_ptrIhEEEENS0_8identityIhEEEE10hipError_tT2_T3_mT4_P12ihipStream_tbEUlT_E_NS1_11comp_targetILNS1_3genE0ELNS1_11target_archE4294967295ELNS1_3gpuE0ELNS1_3repE0EEENS1_30default_config_static_selectorELNS0_4arch9wavefront6targetE0EEEvT1_.has_indirect_call, 0
	.section	.AMDGPU.csdata,"",@progbits
; Kernel info:
; codeLenInByte = 0
; TotalNumSgprs: 0
; NumVgprs: 0
; ScratchSize: 0
; MemoryBound: 0
; FloatMode: 240
; IeeeMode: 1
; LDSByteSize: 0 bytes/workgroup (compile time only)
; SGPRBlocks: 0
; VGPRBlocks: 0
; NumSGPRsForWavesPerEU: 1
; NumVGPRsForWavesPerEU: 1
; Occupancy: 16
; WaveLimiterHint : 0
; COMPUTE_PGM_RSRC2:SCRATCH_EN: 0
; COMPUTE_PGM_RSRC2:USER_SGPR: 6
; COMPUTE_PGM_RSRC2:TRAP_HANDLER: 0
; COMPUTE_PGM_RSRC2:TGID_X_EN: 1
; COMPUTE_PGM_RSRC2:TGID_Y_EN: 0
; COMPUTE_PGM_RSRC2:TGID_Z_EN: 0
; COMPUTE_PGM_RSRC2:TIDIG_COMP_CNT: 0
	.section	.text._ZN7rocprim17ROCPRIM_400000_NS6detail17trampoline_kernelINS0_14default_configENS1_25transform_config_selectorIhLb0EEEZNS1_14transform_implILb0ES3_S5_PhN6thrust23THRUST_200600_302600_NS6detail15normal_iteratorINS9_10device_ptrIhEEEENS0_8identityIhEEEE10hipError_tT2_T3_mT4_P12ihipStream_tbEUlT_E_NS1_11comp_targetILNS1_3genE5ELNS1_11target_archE942ELNS1_3gpuE9ELNS1_3repE0EEENS1_30default_config_static_selectorELNS0_4arch9wavefront6targetE0EEEvT1_,"axG",@progbits,_ZN7rocprim17ROCPRIM_400000_NS6detail17trampoline_kernelINS0_14default_configENS1_25transform_config_selectorIhLb0EEEZNS1_14transform_implILb0ES3_S5_PhN6thrust23THRUST_200600_302600_NS6detail15normal_iteratorINS9_10device_ptrIhEEEENS0_8identityIhEEEE10hipError_tT2_T3_mT4_P12ihipStream_tbEUlT_E_NS1_11comp_targetILNS1_3genE5ELNS1_11target_archE942ELNS1_3gpuE9ELNS1_3repE0EEENS1_30default_config_static_selectorELNS0_4arch9wavefront6targetE0EEEvT1_,comdat
	.protected	_ZN7rocprim17ROCPRIM_400000_NS6detail17trampoline_kernelINS0_14default_configENS1_25transform_config_selectorIhLb0EEEZNS1_14transform_implILb0ES3_S5_PhN6thrust23THRUST_200600_302600_NS6detail15normal_iteratorINS9_10device_ptrIhEEEENS0_8identityIhEEEE10hipError_tT2_T3_mT4_P12ihipStream_tbEUlT_E_NS1_11comp_targetILNS1_3genE5ELNS1_11target_archE942ELNS1_3gpuE9ELNS1_3repE0EEENS1_30default_config_static_selectorELNS0_4arch9wavefront6targetE0EEEvT1_ ; -- Begin function _ZN7rocprim17ROCPRIM_400000_NS6detail17trampoline_kernelINS0_14default_configENS1_25transform_config_selectorIhLb0EEEZNS1_14transform_implILb0ES3_S5_PhN6thrust23THRUST_200600_302600_NS6detail15normal_iteratorINS9_10device_ptrIhEEEENS0_8identityIhEEEE10hipError_tT2_T3_mT4_P12ihipStream_tbEUlT_E_NS1_11comp_targetILNS1_3genE5ELNS1_11target_archE942ELNS1_3gpuE9ELNS1_3repE0EEENS1_30default_config_static_selectorELNS0_4arch9wavefront6targetE0EEEvT1_
	.globl	_ZN7rocprim17ROCPRIM_400000_NS6detail17trampoline_kernelINS0_14default_configENS1_25transform_config_selectorIhLb0EEEZNS1_14transform_implILb0ES3_S5_PhN6thrust23THRUST_200600_302600_NS6detail15normal_iteratorINS9_10device_ptrIhEEEENS0_8identityIhEEEE10hipError_tT2_T3_mT4_P12ihipStream_tbEUlT_E_NS1_11comp_targetILNS1_3genE5ELNS1_11target_archE942ELNS1_3gpuE9ELNS1_3repE0EEENS1_30default_config_static_selectorELNS0_4arch9wavefront6targetE0EEEvT1_
	.p2align	8
	.type	_ZN7rocprim17ROCPRIM_400000_NS6detail17trampoline_kernelINS0_14default_configENS1_25transform_config_selectorIhLb0EEEZNS1_14transform_implILb0ES3_S5_PhN6thrust23THRUST_200600_302600_NS6detail15normal_iteratorINS9_10device_ptrIhEEEENS0_8identityIhEEEE10hipError_tT2_T3_mT4_P12ihipStream_tbEUlT_E_NS1_11comp_targetILNS1_3genE5ELNS1_11target_archE942ELNS1_3gpuE9ELNS1_3repE0EEENS1_30default_config_static_selectorELNS0_4arch9wavefront6targetE0EEEvT1_,@function
_ZN7rocprim17ROCPRIM_400000_NS6detail17trampoline_kernelINS0_14default_configENS1_25transform_config_selectorIhLb0EEEZNS1_14transform_implILb0ES3_S5_PhN6thrust23THRUST_200600_302600_NS6detail15normal_iteratorINS9_10device_ptrIhEEEENS0_8identityIhEEEE10hipError_tT2_T3_mT4_P12ihipStream_tbEUlT_E_NS1_11comp_targetILNS1_3genE5ELNS1_11target_archE942ELNS1_3gpuE9ELNS1_3repE0EEENS1_30default_config_static_selectorELNS0_4arch9wavefront6targetE0EEEvT1_: ; @_ZN7rocprim17ROCPRIM_400000_NS6detail17trampoline_kernelINS0_14default_configENS1_25transform_config_selectorIhLb0EEEZNS1_14transform_implILb0ES3_S5_PhN6thrust23THRUST_200600_302600_NS6detail15normal_iteratorINS9_10device_ptrIhEEEENS0_8identityIhEEEE10hipError_tT2_T3_mT4_P12ihipStream_tbEUlT_E_NS1_11comp_targetILNS1_3genE5ELNS1_11target_archE942ELNS1_3gpuE9ELNS1_3repE0EEENS1_30default_config_static_selectorELNS0_4arch9wavefront6targetE0EEEvT1_
; %bb.0:
	.section	.rodata,"a",@progbits
	.p2align	6, 0x0
	.amdhsa_kernel _ZN7rocprim17ROCPRIM_400000_NS6detail17trampoline_kernelINS0_14default_configENS1_25transform_config_selectorIhLb0EEEZNS1_14transform_implILb0ES3_S5_PhN6thrust23THRUST_200600_302600_NS6detail15normal_iteratorINS9_10device_ptrIhEEEENS0_8identityIhEEEE10hipError_tT2_T3_mT4_P12ihipStream_tbEUlT_E_NS1_11comp_targetILNS1_3genE5ELNS1_11target_archE942ELNS1_3gpuE9ELNS1_3repE0EEENS1_30default_config_static_selectorELNS0_4arch9wavefront6targetE0EEEvT1_
		.amdhsa_group_segment_fixed_size 0
		.amdhsa_private_segment_fixed_size 0
		.amdhsa_kernarg_size 40
		.amdhsa_user_sgpr_count 6
		.amdhsa_user_sgpr_private_segment_buffer 1
		.amdhsa_user_sgpr_dispatch_ptr 0
		.amdhsa_user_sgpr_queue_ptr 0
		.amdhsa_user_sgpr_kernarg_segment_ptr 1
		.amdhsa_user_sgpr_dispatch_id 0
		.amdhsa_user_sgpr_flat_scratch_init 0
		.amdhsa_user_sgpr_private_segment_size 0
		.amdhsa_wavefront_size32 1
		.amdhsa_uses_dynamic_stack 0
		.amdhsa_system_sgpr_private_segment_wavefront_offset 0
		.amdhsa_system_sgpr_workgroup_id_x 1
		.amdhsa_system_sgpr_workgroup_id_y 0
		.amdhsa_system_sgpr_workgroup_id_z 0
		.amdhsa_system_sgpr_workgroup_info 0
		.amdhsa_system_vgpr_workitem_id 0
		.amdhsa_next_free_vgpr 1
		.amdhsa_next_free_sgpr 1
		.amdhsa_reserve_vcc 0
		.amdhsa_reserve_flat_scratch 0
		.amdhsa_float_round_mode_32 0
		.amdhsa_float_round_mode_16_64 0
		.amdhsa_float_denorm_mode_32 3
		.amdhsa_float_denorm_mode_16_64 3
		.amdhsa_dx10_clamp 1
		.amdhsa_ieee_mode 1
		.amdhsa_fp16_overflow 0
		.amdhsa_workgroup_processor_mode 1
		.amdhsa_memory_ordered 1
		.amdhsa_forward_progress 1
		.amdhsa_shared_vgpr_count 0
		.amdhsa_exception_fp_ieee_invalid_op 0
		.amdhsa_exception_fp_denorm_src 0
		.amdhsa_exception_fp_ieee_div_zero 0
		.amdhsa_exception_fp_ieee_overflow 0
		.amdhsa_exception_fp_ieee_underflow 0
		.amdhsa_exception_fp_ieee_inexact 0
		.amdhsa_exception_int_div_zero 0
	.end_amdhsa_kernel
	.section	.text._ZN7rocprim17ROCPRIM_400000_NS6detail17trampoline_kernelINS0_14default_configENS1_25transform_config_selectorIhLb0EEEZNS1_14transform_implILb0ES3_S5_PhN6thrust23THRUST_200600_302600_NS6detail15normal_iteratorINS9_10device_ptrIhEEEENS0_8identityIhEEEE10hipError_tT2_T3_mT4_P12ihipStream_tbEUlT_E_NS1_11comp_targetILNS1_3genE5ELNS1_11target_archE942ELNS1_3gpuE9ELNS1_3repE0EEENS1_30default_config_static_selectorELNS0_4arch9wavefront6targetE0EEEvT1_,"axG",@progbits,_ZN7rocprim17ROCPRIM_400000_NS6detail17trampoline_kernelINS0_14default_configENS1_25transform_config_selectorIhLb0EEEZNS1_14transform_implILb0ES3_S5_PhN6thrust23THRUST_200600_302600_NS6detail15normal_iteratorINS9_10device_ptrIhEEEENS0_8identityIhEEEE10hipError_tT2_T3_mT4_P12ihipStream_tbEUlT_E_NS1_11comp_targetILNS1_3genE5ELNS1_11target_archE942ELNS1_3gpuE9ELNS1_3repE0EEENS1_30default_config_static_selectorELNS0_4arch9wavefront6targetE0EEEvT1_,comdat
.Lfunc_end742:
	.size	_ZN7rocprim17ROCPRIM_400000_NS6detail17trampoline_kernelINS0_14default_configENS1_25transform_config_selectorIhLb0EEEZNS1_14transform_implILb0ES3_S5_PhN6thrust23THRUST_200600_302600_NS6detail15normal_iteratorINS9_10device_ptrIhEEEENS0_8identityIhEEEE10hipError_tT2_T3_mT4_P12ihipStream_tbEUlT_E_NS1_11comp_targetILNS1_3genE5ELNS1_11target_archE942ELNS1_3gpuE9ELNS1_3repE0EEENS1_30default_config_static_selectorELNS0_4arch9wavefront6targetE0EEEvT1_, .Lfunc_end742-_ZN7rocprim17ROCPRIM_400000_NS6detail17trampoline_kernelINS0_14default_configENS1_25transform_config_selectorIhLb0EEEZNS1_14transform_implILb0ES3_S5_PhN6thrust23THRUST_200600_302600_NS6detail15normal_iteratorINS9_10device_ptrIhEEEENS0_8identityIhEEEE10hipError_tT2_T3_mT4_P12ihipStream_tbEUlT_E_NS1_11comp_targetILNS1_3genE5ELNS1_11target_archE942ELNS1_3gpuE9ELNS1_3repE0EEENS1_30default_config_static_selectorELNS0_4arch9wavefront6targetE0EEEvT1_
                                        ; -- End function
	.set _ZN7rocprim17ROCPRIM_400000_NS6detail17trampoline_kernelINS0_14default_configENS1_25transform_config_selectorIhLb0EEEZNS1_14transform_implILb0ES3_S5_PhN6thrust23THRUST_200600_302600_NS6detail15normal_iteratorINS9_10device_ptrIhEEEENS0_8identityIhEEEE10hipError_tT2_T3_mT4_P12ihipStream_tbEUlT_E_NS1_11comp_targetILNS1_3genE5ELNS1_11target_archE942ELNS1_3gpuE9ELNS1_3repE0EEENS1_30default_config_static_selectorELNS0_4arch9wavefront6targetE0EEEvT1_.num_vgpr, 0
	.set _ZN7rocprim17ROCPRIM_400000_NS6detail17trampoline_kernelINS0_14default_configENS1_25transform_config_selectorIhLb0EEEZNS1_14transform_implILb0ES3_S5_PhN6thrust23THRUST_200600_302600_NS6detail15normal_iteratorINS9_10device_ptrIhEEEENS0_8identityIhEEEE10hipError_tT2_T3_mT4_P12ihipStream_tbEUlT_E_NS1_11comp_targetILNS1_3genE5ELNS1_11target_archE942ELNS1_3gpuE9ELNS1_3repE0EEENS1_30default_config_static_selectorELNS0_4arch9wavefront6targetE0EEEvT1_.num_agpr, 0
	.set _ZN7rocprim17ROCPRIM_400000_NS6detail17trampoline_kernelINS0_14default_configENS1_25transform_config_selectorIhLb0EEEZNS1_14transform_implILb0ES3_S5_PhN6thrust23THRUST_200600_302600_NS6detail15normal_iteratorINS9_10device_ptrIhEEEENS0_8identityIhEEEE10hipError_tT2_T3_mT4_P12ihipStream_tbEUlT_E_NS1_11comp_targetILNS1_3genE5ELNS1_11target_archE942ELNS1_3gpuE9ELNS1_3repE0EEENS1_30default_config_static_selectorELNS0_4arch9wavefront6targetE0EEEvT1_.numbered_sgpr, 0
	.set _ZN7rocprim17ROCPRIM_400000_NS6detail17trampoline_kernelINS0_14default_configENS1_25transform_config_selectorIhLb0EEEZNS1_14transform_implILb0ES3_S5_PhN6thrust23THRUST_200600_302600_NS6detail15normal_iteratorINS9_10device_ptrIhEEEENS0_8identityIhEEEE10hipError_tT2_T3_mT4_P12ihipStream_tbEUlT_E_NS1_11comp_targetILNS1_3genE5ELNS1_11target_archE942ELNS1_3gpuE9ELNS1_3repE0EEENS1_30default_config_static_selectorELNS0_4arch9wavefront6targetE0EEEvT1_.num_named_barrier, 0
	.set _ZN7rocprim17ROCPRIM_400000_NS6detail17trampoline_kernelINS0_14default_configENS1_25transform_config_selectorIhLb0EEEZNS1_14transform_implILb0ES3_S5_PhN6thrust23THRUST_200600_302600_NS6detail15normal_iteratorINS9_10device_ptrIhEEEENS0_8identityIhEEEE10hipError_tT2_T3_mT4_P12ihipStream_tbEUlT_E_NS1_11comp_targetILNS1_3genE5ELNS1_11target_archE942ELNS1_3gpuE9ELNS1_3repE0EEENS1_30default_config_static_selectorELNS0_4arch9wavefront6targetE0EEEvT1_.private_seg_size, 0
	.set _ZN7rocprim17ROCPRIM_400000_NS6detail17trampoline_kernelINS0_14default_configENS1_25transform_config_selectorIhLb0EEEZNS1_14transform_implILb0ES3_S5_PhN6thrust23THRUST_200600_302600_NS6detail15normal_iteratorINS9_10device_ptrIhEEEENS0_8identityIhEEEE10hipError_tT2_T3_mT4_P12ihipStream_tbEUlT_E_NS1_11comp_targetILNS1_3genE5ELNS1_11target_archE942ELNS1_3gpuE9ELNS1_3repE0EEENS1_30default_config_static_selectorELNS0_4arch9wavefront6targetE0EEEvT1_.uses_vcc, 0
	.set _ZN7rocprim17ROCPRIM_400000_NS6detail17trampoline_kernelINS0_14default_configENS1_25transform_config_selectorIhLb0EEEZNS1_14transform_implILb0ES3_S5_PhN6thrust23THRUST_200600_302600_NS6detail15normal_iteratorINS9_10device_ptrIhEEEENS0_8identityIhEEEE10hipError_tT2_T3_mT4_P12ihipStream_tbEUlT_E_NS1_11comp_targetILNS1_3genE5ELNS1_11target_archE942ELNS1_3gpuE9ELNS1_3repE0EEENS1_30default_config_static_selectorELNS0_4arch9wavefront6targetE0EEEvT1_.uses_flat_scratch, 0
	.set _ZN7rocprim17ROCPRIM_400000_NS6detail17trampoline_kernelINS0_14default_configENS1_25transform_config_selectorIhLb0EEEZNS1_14transform_implILb0ES3_S5_PhN6thrust23THRUST_200600_302600_NS6detail15normal_iteratorINS9_10device_ptrIhEEEENS0_8identityIhEEEE10hipError_tT2_T3_mT4_P12ihipStream_tbEUlT_E_NS1_11comp_targetILNS1_3genE5ELNS1_11target_archE942ELNS1_3gpuE9ELNS1_3repE0EEENS1_30default_config_static_selectorELNS0_4arch9wavefront6targetE0EEEvT1_.has_dyn_sized_stack, 0
	.set _ZN7rocprim17ROCPRIM_400000_NS6detail17trampoline_kernelINS0_14default_configENS1_25transform_config_selectorIhLb0EEEZNS1_14transform_implILb0ES3_S5_PhN6thrust23THRUST_200600_302600_NS6detail15normal_iteratorINS9_10device_ptrIhEEEENS0_8identityIhEEEE10hipError_tT2_T3_mT4_P12ihipStream_tbEUlT_E_NS1_11comp_targetILNS1_3genE5ELNS1_11target_archE942ELNS1_3gpuE9ELNS1_3repE0EEENS1_30default_config_static_selectorELNS0_4arch9wavefront6targetE0EEEvT1_.has_recursion, 0
	.set _ZN7rocprim17ROCPRIM_400000_NS6detail17trampoline_kernelINS0_14default_configENS1_25transform_config_selectorIhLb0EEEZNS1_14transform_implILb0ES3_S5_PhN6thrust23THRUST_200600_302600_NS6detail15normal_iteratorINS9_10device_ptrIhEEEENS0_8identityIhEEEE10hipError_tT2_T3_mT4_P12ihipStream_tbEUlT_E_NS1_11comp_targetILNS1_3genE5ELNS1_11target_archE942ELNS1_3gpuE9ELNS1_3repE0EEENS1_30default_config_static_selectorELNS0_4arch9wavefront6targetE0EEEvT1_.has_indirect_call, 0
	.section	.AMDGPU.csdata,"",@progbits
; Kernel info:
; codeLenInByte = 0
; TotalNumSgprs: 0
; NumVgprs: 0
; ScratchSize: 0
; MemoryBound: 0
; FloatMode: 240
; IeeeMode: 1
; LDSByteSize: 0 bytes/workgroup (compile time only)
; SGPRBlocks: 0
; VGPRBlocks: 0
; NumSGPRsForWavesPerEU: 1
; NumVGPRsForWavesPerEU: 1
; Occupancy: 16
; WaveLimiterHint : 0
; COMPUTE_PGM_RSRC2:SCRATCH_EN: 0
; COMPUTE_PGM_RSRC2:USER_SGPR: 6
; COMPUTE_PGM_RSRC2:TRAP_HANDLER: 0
; COMPUTE_PGM_RSRC2:TGID_X_EN: 1
; COMPUTE_PGM_RSRC2:TGID_Y_EN: 0
; COMPUTE_PGM_RSRC2:TGID_Z_EN: 0
; COMPUTE_PGM_RSRC2:TIDIG_COMP_CNT: 0
	.section	.text._ZN7rocprim17ROCPRIM_400000_NS6detail17trampoline_kernelINS0_14default_configENS1_25transform_config_selectorIhLb0EEEZNS1_14transform_implILb0ES3_S5_PhN6thrust23THRUST_200600_302600_NS6detail15normal_iteratorINS9_10device_ptrIhEEEENS0_8identityIhEEEE10hipError_tT2_T3_mT4_P12ihipStream_tbEUlT_E_NS1_11comp_targetILNS1_3genE4ELNS1_11target_archE910ELNS1_3gpuE8ELNS1_3repE0EEENS1_30default_config_static_selectorELNS0_4arch9wavefront6targetE0EEEvT1_,"axG",@progbits,_ZN7rocprim17ROCPRIM_400000_NS6detail17trampoline_kernelINS0_14default_configENS1_25transform_config_selectorIhLb0EEEZNS1_14transform_implILb0ES3_S5_PhN6thrust23THRUST_200600_302600_NS6detail15normal_iteratorINS9_10device_ptrIhEEEENS0_8identityIhEEEE10hipError_tT2_T3_mT4_P12ihipStream_tbEUlT_E_NS1_11comp_targetILNS1_3genE4ELNS1_11target_archE910ELNS1_3gpuE8ELNS1_3repE0EEENS1_30default_config_static_selectorELNS0_4arch9wavefront6targetE0EEEvT1_,comdat
	.protected	_ZN7rocprim17ROCPRIM_400000_NS6detail17trampoline_kernelINS0_14default_configENS1_25transform_config_selectorIhLb0EEEZNS1_14transform_implILb0ES3_S5_PhN6thrust23THRUST_200600_302600_NS6detail15normal_iteratorINS9_10device_ptrIhEEEENS0_8identityIhEEEE10hipError_tT2_T3_mT4_P12ihipStream_tbEUlT_E_NS1_11comp_targetILNS1_3genE4ELNS1_11target_archE910ELNS1_3gpuE8ELNS1_3repE0EEENS1_30default_config_static_selectorELNS0_4arch9wavefront6targetE0EEEvT1_ ; -- Begin function _ZN7rocprim17ROCPRIM_400000_NS6detail17trampoline_kernelINS0_14default_configENS1_25transform_config_selectorIhLb0EEEZNS1_14transform_implILb0ES3_S5_PhN6thrust23THRUST_200600_302600_NS6detail15normal_iteratorINS9_10device_ptrIhEEEENS0_8identityIhEEEE10hipError_tT2_T3_mT4_P12ihipStream_tbEUlT_E_NS1_11comp_targetILNS1_3genE4ELNS1_11target_archE910ELNS1_3gpuE8ELNS1_3repE0EEENS1_30default_config_static_selectorELNS0_4arch9wavefront6targetE0EEEvT1_
	.globl	_ZN7rocprim17ROCPRIM_400000_NS6detail17trampoline_kernelINS0_14default_configENS1_25transform_config_selectorIhLb0EEEZNS1_14transform_implILb0ES3_S5_PhN6thrust23THRUST_200600_302600_NS6detail15normal_iteratorINS9_10device_ptrIhEEEENS0_8identityIhEEEE10hipError_tT2_T3_mT4_P12ihipStream_tbEUlT_E_NS1_11comp_targetILNS1_3genE4ELNS1_11target_archE910ELNS1_3gpuE8ELNS1_3repE0EEENS1_30default_config_static_selectorELNS0_4arch9wavefront6targetE0EEEvT1_
	.p2align	8
	.type	_ZN7rocprim17ROCPRIM_400000_NS6detail17trampoline_kernelINS0_14default_configENS1_25transform_config_selectorIhLb0EEEZNS1_14transform_implILb0ES3_S5_PhN6thrust23THRUST_200600_302600_NS6detail15normal_iteratorINS9_10device_ptrIhEEEENS0_8identityIhEEEE10hipError_tT2_T3_mT4_P12ihipStream_tbEUlT_E_NS1_11comp_targetILNS1_3genE4ELNS1_11target_archE910ELNS1_3gpuE8ELNS1_3repE0EEENS1_30default_config_static_selectorELNS0_4arch9wavefront6targetE0EEEvT1_,@function
_ZN7rocprim17ROCPRIM_400000_NS6detail17trampoline_kernelINS0_14default_configENS1_25transform_config_selectorIhLb0EEEZNS1_14transform_implILb0ES3_S5_PhN6thrust23THRUST_200600_302600_NS6detail15normal_iteratorINS9_10device_ptrIhEEEENS0_8identityIhEEEE10hipError_tT2_T3_mT4_P12ihipStream_tbEUlT_E_NS1_11comp_targetILNS1_3genE4ELNS1_11target_archE910ELNS1_3gpuE8ELNS1_3repE0EEENS1_30default_config_static_selectorELNS0_4arch9wavefront6targetE0EEEvT1_: ; @_ZN7rocprim17ROCPRIM_400000_NS6detail17trampoline_kernelINS0_14default_configENS1_25transform_config_selectorIhLb0EEEZNS1_14transform_implILb0ES3_S5_PhN6thrust23THRUST_200600_302600_NS6detail15normal_iteratorINS9_10device_ptrIhEEEENS0_8identityIhEEEE10hipError_tT2_T3_mT4_P12ihipStream_tbEUlT_E_NS1_11comp_targetILNS1_3genE4ELNS1_11target_archE910ELNS1_3gpuE8ELNS1_3repE0EEENS1_30default_config_static_selectorELNS0_4arch9wavefront6targetE0EEEvT1_
; %bb.0:
	.section	.rodata,"a",@progbits
	.p2align	6, 0x0
	.amdhsa_kernel _ZN7rocprim17ROCPRIM_400000_NS6detail17trampoline_kernelINS0_14default_configENS1_25transform_config_selectorIhLb0EEEZNS1_14transform_implILb0ES3_S5_PhN6thrust23THRUST_200600_302600_NS6detail15normal_iteratorINS9_10device_ptrIhEEEENS0_8identityIhEEEE10hipError_tT2_T3_mT4_P12ihipStream_tbEUlT_E_NS1_11comp_targetILNS1_3genE4ELNS1_11target_archE910ELNS1_3gpuE8ELNS1_3repE0EEENS1_30default_config_static_selectorELNS0_4arch9wavefront6targetE0EEEvT1_
		.amdhsa_group_segment_fixed_size 0
		.amdhsa_private_segment_fixed_size 0
		.amdhsa_kernarg_size 40
		.amdhsa_user_sgpr_count 6
		.amdhsa_user_sgpr_private_segment_buffer 1
		.amdhsa_user_sgpr_dispatch_ptr 0
		.amdhsa_user_sgpr_queue_ptr 0
		.amdhsa_user_sgpr_kernarg_segment_ptr 1
		.amdhsa_user_sgpr_dispatch_id 0
		.amdhsa_user_sgpr_flat_scratch_init 0
		.amdhsa_user_sgpr_private_segment_size 0
		.amdhsa_wavefront_size32 1
		.amdhsa_uses_dynamic_stack 0
		.amdhsa_system_sgpr_private_segment_wavefront_offset 0
		.amdhsa_system_sgpr_workgroup_id_x 1
		.amdhsa_system_sgpr_workgroup_id_y 0
		.amdhsa_system_sgpr_workgroup_id_z 0
		.amdhsa_system_sgpr_workgroup_info 0
		.amdhsa_system_vgpr_workitem_id 0
		.amdhsa_next_free_vgpr 1
		.amdhsa_next_free_sgpr 1
		.amdhsa_reserve_vcc 0
		.amdhsa_reserve_flat_scratch 0
		.amdhsa_float_round_mode_32 0
		.amdhsa_float_round_mode_16_64 0
		.amdhsa_float_denorm_mode_32 3
		.amdhsa_float_denorm_mode_16_64 3
		.amdhsa_dx10_clamp 1
		.amdhsa_ieee_mode 1
		.amdhsa_fp16_overflow 0
		.amdhsa_workgroup_processor_mode 1
		.amdhsa_memory_ordered 1
		.amdhsa_forward_progress 1
		.amdhsa_shared_vgpr_count 0
		.amdhsa_exception_fp_ieee_invalid_op 0
		.amdhsa_exception_fp_denorm_src 0
		.amdhsa_exception_fp_ieee_div_zero 0
		.amdhsa_exception_fp_ieee_overflow 0
		.amdhsa_exception_fp_ieee_underflow 0
		.amdhsa_exception_fp_ieee_inexact 0
		.amdhsa_exception_int_div_zero 0
	.end_amdhsa_kernel
	.section	.text._ZN7rocprim17ROCPRIM_400000_NS6detail17trampoline_kernelINS0_14default_configENS1_25transform_config_selectorIhLb0EEEZNS1_14transform_implILb0ES3_S5_PhN6thrust23THRUST_200600_302600_NS6detail15normal_iteratorINS9_10device_ptrIhEEEENS0_8identityIhEEEE10hipError_tT2_T3_mT4_P12ihipStream_tbEUlT_E_NS1_11comp_targetILNS1_3genE4ELNS1_11target_archE910ELNS1_3gpuE8ELNS1_3repE0EEENS1_30default_config_static_selectorELNS0_4arch9wavefront6targetE0EEEvT1_,"axG",@progbits,_ZN7rocprim17ROCPRIM_400000_NS6detail17trampoline_kernelINS0_14default_configENS1_25transform_config_selectorIhLb0EEEZNS1_14transform_implILb0ES3_S5_PhN6thrust23THRUST_200600_302600_NS6detail15normal_iteratorINS9_10device_ptrIhEEEENS0_8identityIhEEEE10hipError_tT2_T3_mT4_P12ihipStream_tbEUlT_E_NS1_11comp_targetILNS1_3genE4ELNS1_11target_archE910ELNS1_3gpuE8ELNS1_3repE0EEENS1_30default_config_static_selectorELNS0_4arch9wavefront6targetE0EEEvT1_,comdat
.Lfunc_end743:
	.size	_ZN7rocprim17ROCPRIM_400000_NS6detail17trampoline_kernelINS0_14default_configENS1_25transform_config_selectorIhLb0EEEZNS1_14transform_implILb0ES3_S5_PhN6thrust23THRUST_200600_302600_NS6detail15normal_iteratorINS9_10device_ptrIhEEEENS0_8identityIhEEEE10hipError_tT2_T3_mT4_P12ihipStream_tbEUlT_E_NS1_11comp_targetILNS1_3genE4ELNS1_11target_archE910ELNS1_3gpuE8ELNS1_3repE0EEENS1_30default_config_static_selectorELNS0_4arch9wavefront6targetE0EEEvT1_, .Lfunc_end743-_ZN7rocprim17ROCPRIM_400000_NS6detail17trampoline_kernelINS0_14default_configENS1_25transform_config_selectorIhLb0EEEZNS1_14transform_implILb0ES3_S5_PhN6thrust23THRUST_200600_302600_NS6detail15normal_iteratorINS9_10device_ptrIhEEEENS0_8identityIhEEEE10hipError_tT2_T3_mT4_P12ihipStream_tbEUlT_E_NS1_11comp_targetILNS1_3genE4ELNS1_11target_archE910ELNS1_3gpuE8ELNS1_3repE0EEENS1_30default_config_static_selectorELNS0_4arch9wavefront6targetE0EEEvT1_
                                        ; -- End function
	.set _ZN7rocprim17ROCPRIM_400000_NS6detail17trampoline_kernelINS0_14default_configENS1_25transform_config_selectorIhLb0EEEZNS1_14transform_implILb0ES3_S5_PhN6thrust23THRUST_200600_302600_NS6detail15normal_iteratorINS9_10device_ptrIhEEEENS0_8identityIhEEEE10hipError_tT2_T3_mT4_P12ihipStream_tbEUlT_E_NS1_11comp_targetILNS1_3genE4ELNS1_11target_archE910ELNS1_3gpuE8ELNS1_3repE0EEENS1_30default_config_static_selectorELNS0_4arch9wavefront6targetE0EEEvT1_.num_vgpr, 0
	.set _ZN7rocprim17ROCPRIM_400000_NS6detail17trampoline_kernelINS0_14default_configENS1_25transform_config_selectorIhLb0EEEZNS1_14transform_implILb0ES3_S5_PhN6thrust23THRUST_200600_302600_NS6detail15normal_iteratorINS9_10device_ptrIhEEEENS0_8identityIhEEEE10hipError_tT2_T3_mT4_P12ihipStream_tbEUlT_E_NS1_11comp_targetILNS1_3genE4ELNS1_11target_archE910ELNS1_3gpuE8ELNS1_3repE0EEENS1_30default_config_static_selectorELNS0_4arch9wavefront6targetE0EEEvT1_.num_agpr, 0
	.set _ZN7rocprim17ROCPRIM_400000_NS6detail17trampoline_kernelINS0_14default_configENS1_25transform_config_selectorIhLb0EEEZNS1_14transform_implILb0ES3_S5_PhN6thrust23THRUST_200600_302600_NS6detail15normal_iteratorINS9_10device_ptrIhEEEENS0_8identityIhEEEE10hipError_tT2_T3_mT4_P12ihipStream_tbEUlT_E_NS1_11comp_targetILNS1_3genE4ELNS1_11target_archE910ELNS1_3gpuE8ELNS1_3repE0EEENS1_30default_config_static_selectorELNS0_4arch9wavefront6targetE0EEEvT1_.numbered_sgpr, 0
	.set _ZN7rocprim17ROCPRIM_400000_NS6detail17trampoline_kernelINS0_14default_configENS1_25transform_config_selectorIhLb0EEEZNS1_14transform_implILb0ES3_S5_PhN6thrust23THRUST_200600_302600_NS6detail15normal_iteratorINS9_10device_ptrIhEEEENS0_8identityIhEEEE10hipError_tT2_T3_mT4_P12ihipStream_tbEUlT_E_NS1_11comp_targetILNS1_3genE4ELNS1_11target_archE910ELNS1_3gpuE8ELNS1_3repE0EEENS1_30default_config_static_selectorELNS0_4arch9wavefront6targetE0EEEvT1_.num_named_barrier, 0
	.set _ZN7rocprim17ROCPRIM_400000_NS6detail17trampoline_kernelINS0_14default_configENS1_25transform_config_selectorIhLb0EEEZNS1_14transform_implILb0ES3_S5_PhN6thrust23THRUST_200600_302600_NS6detail15normal_iteratorINS9_10device_ptrIhEEEENS0_8identityIhEEEE10hipError_tT2_T3_mT4_P12ihipStream_tbEUlT_E_NS1_11comp_targetILNS1_3genE4ELNS1_11target_archE910ELNS1_3gpuE8ELNS1_3repE0EEENS1_30default_config_static_selectorELNS0_4arch9wavefront6targetE0EEEvT1_.private_seg_size, 0
	.set _ZN7rocprim17ROCPRIM_400000_NS6detail17trampoline_kernelINS0_14default_configENS1_25transform_config_selectorIhLb0EEEZNS1_14transform_implILb0ES3_S5_PhN6thrust23THRUST_200600_302600_NS6detail15normal_iteratorINS9_10device_ptrIhEEEENS0_8identityIhEEEE10hipError_tT2_T3_mT4_P12ihipStream_tbEUlT_E_NS1_11comp_targetILNS1_3genE4ELNS1_11target_archE910ELNS1_3gpuE8ELNS1_3repE0EEENS1_30default_config_static_selectorELNS0_4arch9wavefront6targetE0EEEvT1_.uses_vcc, 0
	.set _ZN7rocprim17ROCPRIM_400000_NS6detail17trampoline_kernelINS0_14default_configENS1_25transform_config_selectorIhLb0EEEZNS1_14transform_implILb0ES3_S5_PhN6thrust23THRUST_200600_302600_NS6detail15normal_iteratorINS9_10device_ptrIhEEEENS0_8identityIhEEEE10hipError_tT2_T3_mT4_P12ihipStream_tbEUlT_E_NS1_11comp_targetILNS1_3genE4ELNS1_11target_archE910ELNS1_3gpuE8ELNS1_3repE0EEENS1_30default_config_static_selectorELNS0_4arch9wavefront6targetE0EEEvT1_.uses_flat_scratch, 0
	.set _ZN7rocprim17ROCPRIM_400000_NS6detail17trampoline_kernelINS0_14default_configENS1_25transform_config_selectorIhLb0EEEZNS1_14transform_implILb0ES3_S5_PhN6thrust23THRUST_200600_302600_NS6detail15normal_iteratorINS9_10device_ptrIhEEEENS0_8identityIhEEEE10hipError_tT2_T3_mT4_P12ihipStream_tbEUlT_E_NS1_11comp_targetILNS1_3genE4ELNS1_11target_archE910ELNS1_3gpuE8ELNS1_3repE0EEENS1_30default_config_static_selectorELNS0_4arch9wavefront6targetE0EEEvT1_.has_dyn_sized_stack, 0
	.set _ZN7rocprim17ROCPRIM_400000_NS6detail17trampoline_kernelINS0_14default_configENS1_25transform_config_selectorIhLb0EEEZNS1_14transform_implILb0ES3_S5_PhN6thrust23THRUST_200600_302600_NS6detail15normal_iteratorINS9_10device_ptrIhEEEENS0_8identityIhEEEE10hipError_tT2_T3_mT4_P12ihipStream_tbEUlT_E_NS1_11comp_targetILNS1_3genE4ELNS1_11target_archE910ELNS1_3gpuE8ELNS1_3repE0EEENS1_30default_config_static_selectorELNS0_4arch9wavefront6targetE0EEEvT1_.has_recursion, 0
	.set _ZN7rocprim17ROCPRIM_400000_NS6detail17trampoline_kernelINS0_14default_configENS1_25transform_config_selectorIhLb0EEEZNS1_14transform_implILb0ES3_S5_PhN6thrust23THRUST_200600_302600_NS6detail15normal_iteratorINS9_10device_ptrIhEEEENS0_8identityIhEEEE10hipError_tT2_T3_mT4_P12ihipStream_tbEUlT_E_NS1_11comp_targetILNS1_3genE4ELNS1_11target_archE910ELNS1_3gpuE8ELNS1_3repE0EEENS1_30default_config_static_selectorELNS0_4arch9wavefront6targetE0EEEvT1_.has_indirect_call, 0
	.section	.AMDGPU.csdata,"",@progbits
; Kernel info:
; codeLenInByte = 0
; TotalNumSgprs: 0
; NumVgprs: 0
; ScratchSize: 0
; MemoryBound: 0
; FloatMode: 240
; IeeeMode: 1
; LDSByteSize: 0 bytes/workgroup (compile time only)
; SGPRBlocks: 0
; VGPRBlocks: 0
; NumSGPRsForWavesPerEU: 1
; NumVGPRsForWavesPerEU: 1
; Occupancy: 16
; WaveLimiterHint : 0
; COMPUTE_PGM_RSRC2:SCRATCH_EN: 0
; COMPUTE_PGM_RSRC2:USER_SGPR: 6
; COMPUTE_PGM_RSRC2:TRAP_HANDLER: 0
; COMPUTE_PGM_RSRC2:TGID_X_EN: 1
; COMPUTE_PGM_RSRC2:TGID_Y_EN: 0
; COMPUTE_PGM_RSRC2:TGID_Z_EN: 0
; COMPUTE_PGM_RSRC2:TIDIG_COMP_CNT: 0
	.section	.text._ZN7rocprim17ROCPRIM_400000_NS6detail17trampoline_kernelINS0_14default_configENS1_25transform_config_selectorIhLb0EEEZNS1_14transform_implILb0ES3_S5_PhN6thrust23THRUST_200600_302600_NS6detail15normal_iteratorINS9_10device_ptrIhEEEENS0_8identityIhEEEE10hipError_tT2_T3_mT4_P12ihipStream_tbEUlT_E_NS1_11comp_targetILNS1_3genE3ELNS1_11target_archE908ELNS1_3gpuE7ELNS1_3repE0EEENS1_30default_config_static_selectorELNS0_4arch9wavefront6targetE0EEEvT1_,"axG",@progbits,_ZN7rocprim17ROCPRIM_400000_NS6detail17trampoline_kernelINS0_14default_configENS1_25transform_config_selectorIhLb0EEEZNS1_14transform_implILb0ES3_S5_PhN6thrust23THRUST_200600_302600_NS6detail15normal_iteratorINS9_10device_ptrIhEEEENS0_8identityIhEEEE10hipError_tT2_T3_mT4_P12ihipStream_tbEUlT_E_NS1_11comp_targetILNS1_3genE3ELNS1_11target_archE908ELNS1_3gpuE7ELNS1_3repE0EEENS1_30default_config_static_selectorELNS0_4arch9wavefront6targetE0EEEvT1_,comdat
	.protected	_ZN7rocprim17ROCPRIM_400000_NS6detail17trampoline_kernelINS0_14default_configENS1_25transform_config_selectorIhLb0EEEZNS1_14transform_implILb0ES3_S5_PhN6thrust23THRUST_200600_302600_NS6detail15normal_iteratorINS9_10device_ptrIhEEEENS0_8identityIhEEEE10hipError_tT2_T3_mT4_P12ihipStream_tbEUlT_E_NS1_11comp_targetILNS1_3genE3ELNS1_11target_archE908ELNS1_3gpuE7ELNS1_3repE0EEENS1_30default_config_static_selectorELNS0_4arch9wavefront6targetE0EEEvT1_ ; -- Begin function _ZN7rocprim17ROCPRIM_400000_NS6detail17trampoline_kernelINS0_14default_configENS1_25transform_config_selectorIhLb0EEEZNS1_14transform_implILb0ES3_S5_PhN6thrust23THRUST_200600_302600_NS6detail15normal_iteratorINS9_10device_ptrIhEEEENS0_8identityIhEEEE10hipError_tT2_T3_mT4_P12ihipStream_tbEUlT_E_NS1_11comp_targetILNS1_3genE3ELNS1_11target_archE908ELNS1_3gpuE7ELNS1_3repE0EEENS1_30default_config_static_selectorELNS0_4arch9wavefront6targetE0EEEvT1_
	.globl	_ZN7rocprim17ROCPRIM_400000_NS6detail17trampoline_kernelINS0_14default_configENS1_25transform_config_selectorIhLb0EEEZNS1_14transform_implILb0ES3_S5_PhN6thrust23THRUST_200600_302600_NS6detail15normal_iteratorINS9_10device_ptrIhEEEENS0_8identityIhEEEE10hipError_tT2_T3_mT4_P12ihipStream_tbEUlT_E_NS1_11comp_targetILNS1_3genE3ELNS1_11target_archE908ELNS1_3gpuE7ELNS1_3repE0EEENS1_30default_config_static_selectorELNS0_4arch9wavefront6targetE0EEEvT1_
	.p2align	8
	.type	_ZN7rocprim17ROCPRIM_400000_NS6detail17trampoline_kernelINS0_14default_configENS1_25transform_config_selectorIhLb0EEEZNS1_14transform_implILb0ES3_S5_PhN6thrust23THRUST_200600_302600_NS6detail15normal_iteratorINS9_10device_ptrIhEEEENS0_8identityIhEEEE10hipError_tT2_T3_mT4_P12ihipStream_tbEUlT_E_NS1_11comp_targetILNS1_3genE3ELNS1_11target_archE908ELNS1_3gpuE7ELNS1_3repE0EEENS1_30default_config_static_selectorELNS0_4arch9wavefront6targetE0EEEvT1_,@function
_ZN7rocprim17ROCPRIM_400000_NS6detail17trampoline_kernelINS0_14default_configENS1_25transform_config_selectorIhLb0EEEZNS1_14transform_implILb0ES3_S5_PhN6thrust23THRUST_200600_302600_NS6detail15normal_iteratorINS9_10device_ptrIhEEEENS0_8identityIhEEEE10hipError_tT2_T3_mT4_P12ihipStream_tbEUlT_E_NS1_11comp_targetILNS1_3genE3ELNS1_11target_archE908ELNS1_3gpuE7ELNS1_3repE0EEENS1_30default_config_static_selectorELNS0_4arch9wavefront6targetE0EEEvT1_: ; @_ZN7rocprim17ROCPRIM_400000_NS6detail17trampoline_kernelINS0_14default_configENS1_25transform_config_selectorIhLb0EEEZNS1_14transform_implILb0ES3_S5_PhN6thrust23THRUST_200600_302600_NS6detail15normal_iteratorINS9_10device_ptrIhEEEENS0_8identityIhEEEE10hipError_tT2_T3_mT4_P12ihipStream_tbEUlT_E_NS1_11comp_targetILNS1_3genE3ELNS1_11target_archE908ELNS1_3gpuE7ELNS1_3repE0EEENS1_30default_config_static_selectorELNS0_4arch9wavefront6targetE0EEEvT1_
; %bb.0:
	.section	.rodata,"a",@progbits
	.p2align	6, 0x0
	.amdhsa_kernel _ZN7rocprim17ROCPRIM_400000_NS6detail17trampoline_kernelINS0_14default_configENS1_25transform_config_selectorIhLb0EEEZNS1_14transform_implILb0ES3_S5_PhN6thrust23THRUST_200600_302600_NS6detail15normal_iteratorINS9_10device_ptrIhEEEENS0_8identityIhEEEE10hipError_tT2_T3_mT4_P12ihipStream_tbEUlT_E_NS1_11comp_targetILNS1_3genE3ELNS1_11target_archE908ELNS1_3gpuE7ELNS1_3repE0EEENS1_30default_config_static_selectorELNS0_4arch9wavefront6targetE0EEEvT1_
		.amdhsa_group_segment_fixed_size 0
		.amdhsa_private_segment_fixed_size 0
		.amdhsa_kernarg_size 40
		.amdhsa_user_sgpr_count 6
		.amdhsa_user_sgpr_private_segment_buffer 1
		.amdhsa_user_sgpr_dispatch_ptr 0
		.amdhsa_user_sgpr_queue_ptr 0
		.amdhsa_user_sgpr_kernarg_segment_ptr 1
		.amdhsa_user_sgpr_dispatch_id 0
		.amdhsa_user_sgpr_flat_scratch_init 0
		.amdhsa_user_sgpr_private_segment_size 0
		.amdhsa_wavefront_size32 1
		.amdhsa_uses_dynamic_stack 0
		.amdhsa_system_sgpr_private_segment_wavefront_offset 0
		.amdhsa_system_sgpr_workgroup_id_x 1
		.amdhsa_system_sgpr_workgroup_id_y 0
		.amdhsa_system_sgpr_workgroup_id_z 0
		.amdhsa_system_sgpr_workgroup_info 0
		.amdhsa_system_vgpr_workitem_id 0
		.amdhsa_next_free_vgpr 1
		.amdhsa_next_free_sgpr 1
		.amdhsa_reserve_vcc 0
		.amdhsa_reserve_flat_scratch 0
		.amdhsa_float_round_mode_32 0
		.amdhsa_float_round_mode_16_64 0
		.amdhsa_float_denorm_mode_32 3
		.amdhsa_float_denorm_mode_16_64 3
		.amdhsa_dx10_clamp 1
		.amdhsa_ieee_mode 1
		.amdhsa_fp16_overflow 0
		.amdhsa_workgroup_processor_mode 1
		.amdhsa_memory_ordered 1
		.amdhsa_forward_progress 1
		.amdhsa_shared_vgpr_count 0
		.amdhsa_exception_fp_ieee_invalid_op 0
		.amdhsa_exception_fp_denorm_src 0
		.amdhsa_exception_fp_ieee_div_zero 0
		.amdhsa_exception_fp_ieee_overflow 0
		.amdhsa_exception_fp_ieee_underflow 0
		.amdhsa_exception_fp_ieee_inexact 0
		.amdhsa_exception_int_div_zero 0
	.end_amdhsa_kernel
	.section	.text._ZN7rocprim17ROCPRIM_400000_NS6detail17trampoline_kernelINS0_14default_configENS1_25transform_config_selectorIhLb0EEEZNS1_14transform_implILb0ES3_S5_PhN6thrust23THRUST_200600_302600_NS6detail15normal_iteratorINS9_10device_ptrIhEEEENS0_8identityIhEEEE10hipError_tT2_T3_mT4_P12ihipStream_tbEUlT_E_NS1_11comp_targetILNS1_3genE3ELNS1_11target_archE908ELNS1_3gpuE7ELNS1_3repE0EEENS1_30default_config_static_selectorELNS0_4arch9wavefront6targetE0EEEvT1_,"axG",@progbits,_ZN7rocprim17ROCPRIM_400000_NS6detail17trampoline_kernelINS0_14default_configENS1_25transform_config_selectorIhLb0EEEZNS1_14transform_implILb0ES3_S5_PhN6thrust23THRUST_200600_302600_NS6detail15normal_iteratorINS9_10device_ptrIhEEEENS0_8identityIhEEEE10hipError_tT2_T3_mT4_P12ihipStream_tbEUlT_E_NS1_11comp_targetILNS1_3genE3ELNS1_11target_archE908ELNS1_3gpuE7ELNS1_3repE0EEENS1_30default_config_static_selectorELNS0_4arch9wavefront6targetE0EEEvT1_,comdat
.Lfunc_end744:
	.size	_ZN7rocprim17ROCPRIM_400000_NS6detail17trampoline_kernelINS0_14default_configENS1_25transform_config_selectorIhLb0EEEZNS1_14transform_implILb0ES3_S5_PhN6thrust23THRUST_200600_302600_NS6detail15normal_iteratorINS9_10device_ptrIhEEEENS0_8identityIhEEEE10hipError_tT2_T3_mT4_P12ihipStream_tbEUlT_E_NS1_11comp_targetILNS1_3genE3ELNS1_11target_archE908ELNS1_3gpuE7ELNS1_3repE0EEENS1_30default_config_static_selectorELNS0_4arch9wavefront6targetE0EEEvT1_, .Lfunc_end744-_ZN7rocprim17ROCPRIM_400000_NS6detail17trampoline_kernelINS0_14default_configENS1_25transform_config_selectorIhLb0EEEZNS1_14transform_implILb0ES3_S5_PhN6thrust23THRUST_200600_302600_NS6detail15normal_iteratorINS9_10device_ptrIhEEEENS0_8identityIhEEEE10hipError_tT2_T3_mT4_P12ihipStream_tbEUlT_E_NS1_11comp_targetILNS1_3genE3ELNS1_11target_archE908ELNS1_3gpuE7ELNS1_3repE0EEENS1_30default_config_static_selectorELNS0_4arch9wavefront6targetE0EEEvT1_
                                        ; -- End function
	.set _ZN7rocprim17ROCPRIM_400000_NS6detail17trampoline_kernelINS0_14default_configENS1_25transform_config_selectorIhLb0EEEZNS1_14transform_implILb0ES3_S5_PhN6thrust23THRUST_200600_302600_NS6detail15normal_iteratorINS9_10device_ptrIhEEEENS0_8identityIhEEEE10hipError_tT2_T3_mT4_P12ihipStream_tbEUlT_E_NS1_11comp_targetILNS1_3genE3ELNS1_11target_archE908ELNS1_3gpuE7ELNS1_3repE0EEENS1_30default_config_static_selectorELNS0_4arch9wavefront6targetE0EEEvT1_.num_vgpr, 0
	.set _ZN7rocprim17ROCPRIM_400000_NS6detail17trampoline_kernelINS0_14default_configENS1_25transform_config_selectorIhLb0EEEZNS1_14transform_implILb0ES3_S5_PhN6thrust23THRUST_200600_302600_NS6detail15normal_iteratorINS9_10device_ptrIhEEEENS0_8identityIhEEEE10hipError_tT2_T3_mT4_P12ihipStream_tbEUlT_E_NS1_11comp_targetILNS1_3genE3ELNS1_11target_archE908ELNS1_3gpuE7ELNS1_3repE0EEENS1_30default_config_static_selectorELNS0_4arch9wavefront6targetE0EEEvT1_.num_agpr, 0
	.set _ZN7rocprim17ROCPRIM_400000_NS6detail17trampoline_kernelINS0_14default_configENS1_25transform_config_selectorIhLb0EEEZNS1_14transform_implILb0ES3_S5_PhN6thrust23THRUST_200600_302600_NS6detail15normal_iteratorINS9_10device_ptrIhEEEENS0_8identityIhEEEE10hipError_tT2_T3_mT4_P12ihipStream_tbEUlT_E_NS1_11comp_targetILNS1_3genE3ELNS1_11target_archE908ELNS1_3gpuE7ELNS1_3repE0EEENS1_30default_config_static_selectorELNS0_4arch9wavefront6targetE0EEEvT1_.numbered_sgpr, 0
	.set _ZN7rocprim17ROCPRIM_400000_NS6detail17trampoline_kernelINS0_14default_configENS1_25transform_config_selectorIhLb0EEEZNS1_14transform_implILb0ES3_S5_PhN6thrust23THRUST_200600_302600_NS6detail15normal_iteratorINS9_10device_ptrIhEEEENS0_8identityIhEEEE10hipError_tT2_T3_mT4_P12ihipStream_tbEUlT_E_NS1_11comp_targetILNS1_3genE3ELNS1_11target_archE908ELNS1_3gpuE7ELNS1_3repE0EEENS1_30default_config_static_selectorELNS0_4arch9wavefront6targetE0EEEvT1_.num_named_barrier, 0
	.set _ZN7rocprim17ROCPRIM_400000_NS6detail17trampoline_kernelINS0_14default_configENS1_25transform_config_selectorIhLb0EEEZNS1_14transform_implILb0ES3_S5_PhN6thrust23THRUST_200600_302600_NS6detail15normal_iteratorINS9_10device_ptrIhEEEENS0_8identityIhEEEE10hipError_tT2_T3_mT4_P12ihipStream_tbEUlT_E_NS1_11comp_targetILNS1_3genE3ELNS1_11target_archE908ELNS1_3gpuE7ELNS1_3repE0EEENS1_30default_config_static_selectorELNS0_4arch9wavefront6targetE0EEEvT1_.private_seg_size, 0
	.set _ZN7rocprim17ROCPRIM_400000_NS6detail17trampoline_kernelINS0_14default_configENS1_25transform_config_selectorIhLb0EEEZNS1_14transform_implILb0ES3_S5_PhN6thrust23THRUST_200600_302600_NS6detail15normal_iteratorINS9_10device_ptrIhEEEENS0_8identityIhEEEE10hipError_tT2_T3_mT4_P12ihipStream_tbEUlT_E_NS1_11comp_targetILNS1_3genE3ELNS1_11target_archE908ELNS1_3gpuE7ELNS1_3repE0EEENS1_30default_config_static_selectorELNS0_4arch9wavefront6targetE0EEEvT1_.uses_vcc, 0
	.set _ZN7rocprim17ROCPRIM_400000_NS6detail17trampoline_kernelINS0_14default_configENS1_25transform_config_selectorIhLb0EEEZNS1_14transform_implILb0ES3_S5_PhN6thrust23THRUST_200600_302600_NS6detail15normal_iteratorINS9_10device_ptrIhEEEENS0_8identityIhEEEE10hipError_tT2_T3_mT4_P12ihipStream_tbEUlT_E_NS1_11comp_targetILNS1_3genE3ELNS1_11target_archE908ELNS1_3gpuE7ELNS1_3repE0EEENS1_30default_config_static_selectorELNS0_4arch9wavefront6targetE0EEEvT1_.uses_flat_scratch, 0
	.set _ZN7rocprim17ROCPRIM_400000_NS6detail17trampoline_kernelINS0_14default_configENS1_25transform_config_selectorIhLb0EEEZNS1_14transform_implILb0ES3_S5_PhN6thrust23THRUST_200600_302600_NS6detail15normal_iteratorINS9_10device_ptrIhEEEENS0_8identityIhEEEE10hipError_tT2_T3_mT4_P12ihipStream_tbEUlT_E_NS1_11comp_targetILNS1_3genE3ELNS1_11target_archE908ELNS1_3gpuE7ELNS1_3repE0EEENS1_30default_config_static_selectorELNS0_4arch9wavefront6targetE0EEEvT1_.has_dyn_sized_stack, 0
	.set _ZN7rocprim17ROCPRIM_400000_NS6detail17trampoline_kernelINS0_14default_configENS1_25transform_config_selectorIhLb0EEEZNS1_14transform_implILb0ES3_S5_PhN6thrust23THRUST_200600_302600_NS6detail15normal_iteratorINS9_10device_ptrIhEEEENS0_8identityIhEEEE10hipError_tT2_T3_mT4_P12ihipStream_tbEUlT_E_NS1_11comp_targetILNS1_3genE3ELNS1_11target_archE908ELNS1_3gpuE7ELNS1_3repE0EEENS1_30default_config_static_selectorELNS0_4arch9wavefront6targetE0EEEvT1_.has_recursion, 0
	.set _ZN7rocprim17ROCPRIM_400000_NS6detail17trampoline_kernelINS0_14default_configENS1_25transform_config_selectorIhLb0EEEZNS1_14transform_implILb0ES3_S5_PhN6thrust23THRUST_200600_302600_NS6detail15normal_iteratorINS9_10device_ptrIhEEEENS0_8identityIhEEEE10hipError_tT2_T3_mT4_P12ihipStream_tbEUlT_E_NS1_11comp_targetILNS1_3genE3ELNS1_11target_archE908ELNS1_3gpuE7ELNS1_3repE0EEENS1_30default_config_static_selectorELNS0_4arch9wavefront6targetE0EEEvT1_.has_indirect_call, 0
	.section	.AMDGPU.csdata,"",@progbits
; Kernel info:
; codeLenInByte = 0
; TotalNumSgprs: 0
; NumVgprs: 0
; ScratchSize: 0
; MemoryBound: 0
; FloatMode: 240
; IeeeMode: 1
; LDSByteSize: 0 bytes/workgroup (compile time only)
; SGPRBlocks: 0
; VGPRBlocks: 0
; NumSGPRsForWavesPerEU: 1
; NumVGPRsForWavesPerEU: 1
; Occupancy: 16
; WaveLimiterHint : 0
; COMPUTE_PGM_RSRC2:SCRATCH_EN: 0
; COMPUTE_PGM_RSRC2:USER_SGPR: 6
; COMPUTE_PGM_RSRC2:TRAP_HANDLER: 0
; COMPUTE_PGM_RSRC2:TGID_X_EN: 1
; COMPUTE_PGM_RSRC2:TGID_Y_EN: 0
; COMPUTE_PGM_RSRC2:TGID_Z_EN: 0
; COMPUTE_PGM_RSRC2:TIDIG_COMP_CNT: 0
	.section	.text._ZN7rocprim17ROCPRIM_400000_NS6detail17trampoline_kernelINS0_14default_configENS1_25transform_config_selectorIhLb0EEEZNS1_14transform_implILb0ES3_S5_PhN6thrust23THRUST_200600_302600_NS6detail15normal_iteratorINS9_10device_ptrIhEEEENS0_8identityIhEEEE10hipError_tT2_T3_mT4_P12ihipStream_tbEUlT_E_NS1_11comp_targetILNS1_3genE2ELNS1_11target_archE906ELNS1_3gpuE6ELNS1_3repE0EEENS1_30default_config_static_selectorELNS0_4arch9wavefront6targetE0EEEvT1_,"axG",@progbits,_ZN7rocprim17ROCPRIM_400000_NS6detail17trampoline_kernelINS0_14default_configENS1_25transform_config_selectorIhLb0EEEZNS1_14transform_implILb0ES3_S5_PhN6thrust23THRUST_200600_302600_NS6detail15normal_iteratorINS9_10device_ptrIhEEEENS0_8identityIhEEEE10hipError_tT2_T3_mT4_P12ihipStream_tbEUlT_E_NS1_11comp_targetILNS1_3genE2ELNS1_11target_archE906ELNS1_3gpuE6ELNS1_3repE0EEENS1_30default_config_static_selectorELNS0_4arch9wavefront6targetE0EEEvT1_,comdat
	.protected	_ZN7rocprim17ROCPRIM_400000_NS6detail17trampoline_kernelINS0_14default_configENS1_25transform_config_selectorIhLb0EEEZNS1_14transform_implILb0ES3_S5_PhN6thrust23THRUST_200600_302600_NS6detail15normal_iteratorINS9_10device_ptrIhEEEENS0_8identityIhEEEE10hipError_tT2_T3_mT4_P12ihipStream_tbEUlT_E_NS1_11comp_targetILNS1_3genE2ELNS1_11target_archE906ELNS1_3gpuE6ELNS1_3repE0EEENS1_30default_config_static_selectorELNS0_4arch9wavefront6targetE0EEEvT1_ ; -- Begin function _ZN7rocprim17ROCPRIM_400000_NS6detail17trampoline_kernelINS0_14default_configENS1_25transform_config_selectorIhLb0EEEZNS1_14transform_implILb0ES3_S5_PhN6thrust23THRUST_200600_302600_NS6detail15normal_iteratorINS9_10device_ptrIhEEEENS0_8identityIhEEEE10hipError_tT2_T3_mT4_P12ihipStream_tbEUlT_E_NS1_11comp_targetILNS1_3genE2ELNS1_11target_archE906ELNS1_3gpuE6ELNS1_3repE0EEENS1_30default_config_static_selectorELNS0_4arch9wavefront6targetE0EEEvT1_
	.globl	_ZN7rocprim17ROCPRIM_400000_NS6detail17trampoline_kernelINS0_14default_configENS1_25transform_config_selectorIhLb0EEEZNS1_14transform_implILb0ES3_S5_PhN6thrust23THRUST_200600_302600_NS6detail15normal_iteratorINS9_10device_ptrIhEEEENS0_8identityIhEEEE10hipError_tT2_T3_mT4_P12ihipStream_tbEUlT_E_NS1_11comp_targetILNS1_3genE2ELNS1_11target_archE906ELNS1_3gpuE6ELNS1_3repE0EEENS1_30default_config_static_selectorELNS0_4arch9wavefront6targetE0EEEvT1_
	.p2align	8
	.type	_ZN7rocprim17ROCPRIM_400000_NS6detail17trampoline_kernelINS0_14default_configENS1_25transform_config_selectorIhLb0EEEZNS1_14transform_implILb0ES3_S5_PhN6thrust23THRUST_200600_302600_NS6detail15normal_iteratorINS9_10device_ptrIhEEEENS0_8identityIhEEEE10hipError_tT2_T3_mT4_P12ihipStream_tbEUlT_E_NS1_11comp_targetILNS1_3genE2ELNS1_11target_archE906ELNS1_3gpuE6ELNS1_3repE0EEENS1_30default_config_static_selectorELNS0_4arch9wavefront6targetE0EEEvT1_,@function
_ZN7rocprim17ROCPRIM_400000_NS6detail17trampoline_kernelINS0_14default_configENS1_25transform_config_selectorIhLb0EEEZNS1_14transform_implILb0ES3_S5_PhN6thrust23THRUST_200600_302600_NS6detail15normal_iteratorINS9_10device_ptrIhEEEENS0_8identityIhEEEE10hipError_tT2_T3_mT4_P12ihipStream_tbEUlT_E_NS1_11comp_targetILNS1_3genE2ELNS1_11target_archE906ELNS1_3gpuE6ELNS1_3repE0EEENS1_30default_config_static_selectorELNS0_4arch9wavefront6targetE0EEEvT1_: ; @_ZN7rocprim17ROCPRIM_400000_NS6detail17trampoline_kernelINS0_14default_configENS1_25transform_config_selectorIhLb0EEEZNS1_14transform_implILb0ES3_S5_PhN6thrust23THRUST_200600_302600_NS6detail15normal_iteratorINS9_10device_ptrIhEEEENS0_8identityIhEEEE10hipError_tT2_T3_mT4_P12ihipStream_tbEUlT_E_NS1_11comp_targetILNS1_3genE2ELNS1_11target_archE906ELNS1_3gpuE6ELNS1_3repE0EEENS1_30default_config_static_selectorELNS0_4arch9wavefront6targetE0EEEvT1_
; %bb.0:
	.section	.rodata,"a",@progbits
	.p2align	6, 0x0
	.amdhsa_kernel _ZN7rocprim17ROCPRIM_400000_NS6detail17trampoline_kernelINS0_14default_configENS1_25transform_config_selectorIhLb0EEEZNS1_14transform_implILb0ES3_S5_PhN6thrust23THRUST_200600_302600_NS6detail15normal_iteratorINS9_10device_ptrIhEEEENS0_8identityIhEEEE10hipError_tT2_T3_mT4_P12ihipStream_tbEUlT_E_NS1_11comp_targetILNS1_3genE2ELNS1_11target_archE906ELNS1_3gpuE6ELNS1_3repE0EEENS1_30default_config_static_selectorELNS0_4arch9wavefront6targetE0EEEvT1_
		.amdhsa_group_segment_fixed_size 0
		.amdhsa_private_segment_fixed_size 0
		.amdhsa_kernarg_size 40
		.amdhsa_user_sgpr_count 6
		.amdhsa_user_sgpr_private_segment_buffer 1
		.amdhsa_user_sgpr_dispatch_ptr 0
		.amdhsa_user_sgpr_queue_ptr 0
		.amdhsa_user_sgpr_kernarg_segment_ptr 1
		.amdhsa_user_sgpr_dispatch_id 0
		.amdhsa_user_sgpr_flat_scratch_init 0
		.amdhsa_user_sgpr_private_segment_size 0
		.amdhsa_wavefront_size32 1
		.amdhsa_uses_dynamic_stack 0
		.amdhsa_system_sgpr_private_segment_wavefront_offset 0
		.amdhsa_system_sgpr_workgroup_id_x 1
		.amdhsa_system_sgpr_workgroup_id_y 0
		.amdhsa_system_sgpr_workgroup_id_z 0
		.amdhsa_system_sgpr_workgroup_info 0
		.amdhsa_system_vgpr_workitem_id 0
		.amdhsa_next_free_vgpr 1
		.amdhsa_next_free_sgpr 1
		.amdhsa_reserve_vcc 0
		.amdhsa_reserve_flat_scratch 0
		.amdhsa_float_round_mode_32 0
		.amdhsa_float_round_mode_16_64 0
		.amdhsa_float_denorm_mode_32 3
		.amdhsa_float_denorm_mode_16_64 3
		.amdhsa_dx10_clamp 1
		.amdhsa_ieee_mode 1
		.amdhsa_fp16_overflow 0
		.amdhsa_workgroup_processor_mode 1
		.amdhsa_memory_ordered 1
		.amdhsa_forward_progress 1
		.amdhsa_shared_vgpr_count 0
		.amdhsa_exception_fp_ieee_invalid_op 0
		.amdhsa_exception_fp_denorm_src 0
		.amdhsa_exception_fp_ieee_div_zero 0
		.amdhsa_exception_fp_ieee_overflow 0
		.amdhsa_exception_fp_ieee_underflow 0
		.amdhsa_exception_fp_ieee_inexact 0
		.amdhsa_exception_int_div_zero 0
	.end_amdhsa_kernel
	.section	.text._ZN7rocprim17ROCPRIM_400000_NS6detail17trampoline_kernelINS0_14default_configENS1_25transform_config_selectorIhLb0EEEZNS1_14transform_implILb0ES3_S5_PhN6thrust23THRUST_200600_302600_NS6detail15normal_iteratorINS9_10device_ptrIhEEEENS0_8identityIhEEEE10hipError_tT2_T3_mT4_P12ihipStream_tbEUlT_E_NS1_11comp_targetILNS1_3genE2ELNS1_11target_archE906ELNS1_3gpuE6ELNS1_3repE0EEENS1_30default_config_static_selectorELNS0_4arch9wavefront6targetE0EEEvT1_,"axG",@progbits,_ZN7rocprim17ROCPRIM_400000_NS6detail17trampoline_kernelINS0_14default_configENS1_25transform_config_selectorIhLb0EEEZNS1_14transform_implILb0ES3_S5_PhN6thrust23THRUST_200600_302600_NS6detail15normal_iteratorINS9_10device_ptrIhEEEENS0_8identityIhEEEE10hipError_tT2_T3_mT4_P12ihipStream_tbEUlT_E_NS1_11comp_targetILNS1_3genE2ELNS1_11target_archE906ELNS1_3gpuE6ELNS1_3repE0EEENS1_30default_config_static_selectorELNS0_4arch9wavefront6targetE0EEEvT1_,comdat
.Lfunc_end745:
	.size	_ZN7rocprim17ROCPRIM_400000_NS6detail17trampoline_kernelINS0_14default_configENS1_25transform_config_selectorIhLb0EEEZNS1_14transform_implILb0ES3_S5_PhN6thrust23THRUST_200600_302600_NS6detail15normal_iteratorINS9_10device_ptrIhEEEENS0_8identityIhEEEE10hipError_tT2_T3_mT4_P12ihipStream_tbEUlT_E_NS1_11comp_targetILNS1_3genE2ELNS1_11target_archE906ELNS1_3gpuE6ELNS1_3repE0EEENS1_30default_config_static_selectorELNS0_4arch9wavefront6targetE0EEEvT1_, .Lfunc_end745-_ZN7rocprim17ROCPRIM_400000_NS6detail17trampoline_kernelINS0_14default_configENS1_25transform_config_selectorIhLb0EEEZNS1_14transform_implILb0ES3_S5_PhN6thrust23THRUST_200600_302600_NS6detail15normal_iteratorINS9_10device_ptrIhEEEENS0_8identityIhEEEE10hipError_tT2_T3_mT4_P12ihipStream_tbEUlT_E_NS1_11comp_targetILNS1_3genE2ELNS1_11target_archE906ELNS1_3gpuE6ELNS1_3repE0EEENS1_30default_config_static_selectorELNS0_4arch9wavefront6targetE0EEEvT1_
                                        ; -- End function
	.set _ZN7rocprim17ROCPRIM_400000_NS6detail17trampoline_kernelINS0_14default_configENS1_25transform_config_selectorIhLb0EEEZNS1_14transform_implILb0ES3_S5_PhN6thrust23THRUST_200600_302600_NS6detail15normal_iteratorINS9_10device_ptrIhEEEENS0_8identityIhEEEE10hipError_tT2_T3_mT4_P12ihipStream_tbEUlT_E_NS1_11comp_targetILNS1_3genE2ELNS1_11target_archE906ELNS1_3gpuE6ELNS1_3repE0EEENS1_30default_config_static_selectorELNS0_4arch9wavefront6targetE0EEEvT1_.num_vgpr, 0
	.set _ZN7rocprim17ROCPRIM_400000_NS6detail17trampoline_kernelINS0_14default_configENS1_25transform_config_selectorIhLb0EEEZNS1_14transform_implILb0ES3_S5_PhN6thrust23THRUST_200600_302600_NS6detail15normal_iteratorINS9_10device_ptrIhEEEENS0_8identityIhEEEE10hipError_tT2_T3_mT4_P12ihipStream_tbEUlT_E_NS1_11comp_targetILNS1_3genE2ELNS1_11target_archE906ELNS1_3gpuE6ELNS1_3repE0EEENS1_30default_config_static_selectorELNS0_4arch9wavefront6targetE0EEEvT1_.num_agpr, 0
	.set _ZN7rocprim17ROCPRIM_400000_NS6detail17trampoline_kernelINS0_14default_configENS1_25transform_config_selectorIhLb0EEEZNS1_14transform_implILb0ES3_S5_PhN6thrust23THRUST_200600_302600_NS6detail15normal_iteratorINS9_10device_ptrIhEEEENS0_8identityIhEEEE10hipError_tT2_T3_mT4_P12ihipStream_tbEUlT_E_NS1_11comp_targetILNS1_3genE2ELNS1_11target_archE906ELNS1_3gpuE6ELNS1_3repE0EEENS1_30default_config_static_selectorELNS0_4arch9wavefront6targetE0EEEvT1_.numbered_sgpr, 0
	.set _ZN7rocprim17ROCPRIM_400000_NS6detail17trampoline_kernelINS0_14default_configENS1_25transform_config_selectorIhLb0EEEZNS1_14transform_implILb0ES3_S5_PhN6thrust23THRUST_200600_302600_NS6detail15normal_iteratorINS9_10device_ptrIhEEEENS0_8identityIhEEEE10hipError_tT2_T3_mT4_P12ihipStream_tbEUlT_E_NS1_11comp_targetILNS1_3genE2ELNS1_11target_archE906ELNS1_3gpuE6ELNS1_3repE0EEENS1_30default_config_static_selectorELNS0_4arch9wavefront6targetE0EEEvT1_.num_named_barrier, 0
	.set _ZN7rocprim17ROCPRIM_400000_NS6detail17trampoline_kernelINS0_14default_configENS1_25transform_config_selectorIhLb0EEEZNS1_14transform_implILb0ES3_S5_PhN6thrust23THRUST_200600_302600_NS6detail15normal_iteratorINS9_10device_ptrIhEEEENS0_8identityIhEEEE10hipError_tT2_T3_mT4_P12ihipStream_tbEUlT_E_NS1_11comp_targetILNS1_3genE2ELNS1_11target_archE906ELNS1_3gpuE6ELNS1_3repE0EEENS1_30default_config_static_selectorELNS0_4arch9wavefront6targetE0EEEvT1_.private_seg_size, 0
	.set _ZN7rocprim17ROCPRIM_400000_NS6detail17trampoline_kernelINS0_14default_configENS1_25transform_config_selectorIhLb0EEEZNS1_14transform_implILb0ES3_S5_PhN6thrust23THRUST_200600_302600_NS6detail15normal_iteratorINS9_10device_ptrIhEEEENS0_8identityIhEEEE10hipError_tT2_T3_mT4_P12ihipStream_tbEUlT_E_NS1_11comp_targetILNS1_3genE2ELNS1_11target_archE906ELNS1_3gpuE6ELNS1_3repE0EEENS1_30default_config_static_selectorELNS0_4arch9wavefront6targetE0EEEvT1_.uses_vcc, 0
	.set _ZN7rocprim17ROCPRIM_400000_NS6detail17trampoline_kernelINS0_14default_configENS1_25transform_config_selectorIhLb0EEEZNS1_14transform_implILb0ES3_S5_PhN6thrust23THRUST_200600_302600_NS6detail15normal_iteratorINS9_10device_ptrIhEEEENS0_8identityIhEEEE10hipError_tT2_T3_mT4_P12ihipStream_tbEUlT_E_NS1_11comp_targetILNS1_3genE2ELNS1_11target_archE906ELNS1_3gpuE6ELNS1_3repE0EEENS1_30default_config_static_selectorELNS0_4arch9wavefront6targetE0EEEvT1_.uses_flat_scratch, 0
	.set _ZN7rocprim17ROCPRIM_400000_NS6detail17trampoline_kernelINS0_14default_configENS1_25transform_config_selectorIhLb0EEEZNS1_14transform_implILb0ES3_S5_PhN6thrust23THRUST_200600_302600_NS6detail15normal_iteratorINS9_10device_ptrIhEEEENS0_8identityIhEEEE10hipError_tT2_T3_mT4_P12ihipStream_tbEUlT_E_NS1_11comp_targetILNS1_3genE2ELNS1_11target_archE906ELNS1_3gpuE6ELNS1_3repE0EEENS1_30default_config_static_selectorELNS0_4arch9wavefront6targetE0EEEvT1_.has_dyn_sized_stack, 0
	.set _ZN7rocprim17ROCPRIM_400000_NS6detail17trampoline_kernelINS0_14default_configENS1_25transform_config_selectorIhLb0EEEZNS1_14transform_implILb0ES3_S5_PhN6thrust23THRUST_200600_302600_NS6detail15normal_iteratorINS9_10device_ptrIhEEEENS0_8identityIhEEEE10hipError_tT2_T3_mT4_P12ihipStream_tbEUlT_E_NS1_11comp_targetILNS1_3genE2ELNS1_11target_archE906ELNS1_3gpuE6ELNS1_3repE0EEENS1_30default_config_static_selectorELNS0_4arch9wavefront6targetE0EEEvT1_.has_recursion, 0
	.set _ZN7rocprim17ROCPRIM_400000_NS6detail17trampoline_kernelINS0_14default_configENS1_25transform_config_selectorIhLb0EEEZNS1_14transform_implILb0ES3_S5_PhN6thrust23THRUST_200600_302600_NS6detail15normal_iteratorINS9_10device_ptrIhEEEENS0_8identityIhEEEE10hipError_tT2_T3_mT4_P12ihipStream_tbEUlT_E_NS1_11comp_targetILNS1_3genE2ELNS1_11target_archE906ELNS1_3gpuE6ELNS1_3repE0EEENS1_30default_config_static_selectorELNS0_4arch9wavefront6targetE0EEEvT1_.has_indirect_call, 0
	.section	.AMDGPU.csdata,"",@progbits
; Kernel info:
; codeLenInByte = 0
; TotalNumSgprs: 0
; NumVgprs: 0
; ScratchSize: 0
; MemoryBound: 0
; FloatMode: 240
; IeeeMode: 1
; LDSByteSize: 0 bytes/workgroup (compile time only)
; SGPRBlocks: 0
; VGPRBlocks: 0
; NumSGPRsForWavesPerEU: 1
; NumVGPRsForWavesPerEU: 1
; Occupancy: 16
; WaveLimiterHint : 0
; COMPUTE_PGM_RSRC2:SCRATCH_EN: 0
; COMPUTE_PGM_RSRC2:USER_SGPR: 6
; COMPUTE_PGM_RSRC2:TRAP_HANDLER: 0
; COMPUTE_PGM_RSRC2:TGID_X_EN: 1
; COMPUTE_PGM_RSRC2:TGID_Y_EN: 0
; COMPUTE_PGM_RSRC2:TGID_Z_EN: 0
; COMPUTE_PGM_RSRC2:TIDIG_COMP_CNT: 0
	.section	.text._ZN7rocprim17ROCPRIM_400000_NS6detail17trampoline_kernelINS0_14default_configENS1_25transform_config_selectorIhLb0EEEZNS1_14transform_implILb0ES3_S5_PhN6thrust23THRUST_200600_302600_NS6detail15normal_iteratorINS9_10device_ptrIhEEEENS0_8identityIhEEEE10hipError_tT2_T3_mT4_P12ihipStream_tbEUlT_E_NS1_11comp_targetILNS1_3genE10ELNS1_11target_archE1201ELNS1_3gpuE5ELNS1_3repE0EEENS1_30default_config_static_selectorELNS0_4arch9wavefront6targetE0EEEvT1_,"axG",@progbits,_ZN7rocprim17ROCPRIM_400000_NS6detail17trampoline_kernelINS0_14default_configENS1_25transform_config_selectorIhLb0EEEZNS1_14transform_implILb0ES3_S5_PhN6thrust23THRUST_200600_302600_NS6detail15normal_iteratorINS9_10device_ptrIhEEEENS0_8identityIhEEEE10hipError_tT2_T3_mT4_P12ihipStream_tbEUlT_E_NS1_11comp_targetILNS1_3genE10ELNS1_11target_archE1201ELNS1_3gpuE5ELNS1_3repE0EEENS1_30default_config_static_selectorELNS0_4arch9wavefront6targetE0EEEvT1_,comdat
	.protected	_ZN7rocprim17ROCPRIM_400000_NS6detail17trampoline_kernelINS0_14default_configENS1_25transform_config_selectorIhLb0EEEZNS1_14transform_implILb0ES3_S5_PhN6thrust23THRUST_200600_302600_NS6detail15normal_iteratorINS9_10device_ptrIhEEEENS0_8identityIhEEEE10hipError_tT2_T3_mT4_P12ihipStream_tbEUlT_E_NS1_11comp_targetILNS1_3genE10ELNS1_11target_archE1201ELNS1_3gpuE5ELNS1_3repE0EEENS1_30default_config_static_selectorELNS0_4arch9wavefront6targetE0EEEvT1_ ; -- Begin function _ZN7rocprim17ROCPRIM_400000_NS6detail17trampoline_kernelINS0_14default_configENS1_25transform_config_selectorIhLb0EEEZNS1_14transform_implILb0ES3_S5_PhN6thrust23THRUST_200600_302600_NS6detail15normal_iteratorINS9_10device_ptrIhEEEENS0_8identityIhEEEE10hipError_tT2_T3_mT4_P12ihipStream_tbEUlT_E_NS1_11comp_targetILNS1_3genE10ELNS1_11target_archE1201ELNS1_3gpuE5ELNS1_3repE0EEENS1_30default_config_static_selectorELNS0_4arch9wavefront6targetE0EEEvT1_
	.globl	_ZN7rocprim17ROCPRIM_400000_NS6detail17trampoline_kernelINS0_14default_configENS1_25transform_config_selectorIhLb0EEEZNS1_14transform_implILb0ES3_S5_PhN6thrust23THRUST_200600_302600_NS6detail15normal_iteratorINS9_10device_ptrIhEEEENS0_8identityIhEEEE10hipError_tT2_T3_mT4_P12ihipStream_tbEUlT_E_NS1_11comp_targetILNS1_3genE10ELNS1_11target_archE1201ELNS1_3gpuE5ELNS1_3repE0EEENS1_30default_config_static_selectorELNS0_4arch9wavefront6targetE0EEEvT1_
	.p2align	8
	.type	_ZN7rocprim17ROCPRIM_400000_NS6detail17trampoline_kernelINS0_14default_configENS1_25transform_config_selectorIhLb0EEEZNS1_14transform_implILb0ES3_S5_PhN6thrust23THRUST_200600_302600_NS6detail15normal_iteratorINS9_10device_ptrIhEEEENS0_8identityIhEEEE10hipError_tT2_T3_mT4_P12ihipStream_tbEUlT_E_NS1_11comp_targetILNS1_3genE10ELNS1_11target_archE1201ELNS1_3gpuE5ELNS1_3repE0EEENS1_30default_config_static_selectorELNS0_4arch9wavefront6targetE0EEEvT1_,@function
_ZN7rocprim17ROCPRIM_400000_NS6detail17trampoline_kernelINS0_14default_configENS1_25transform_config_selectorIhLb0EEEZNS1_14transform_implILb0ES3_S5_PhN6thrust23THRUST_200600_302600_NS6detail15normal_iteratorINS9_10device_ptrIhEEEENS0_8identityIhEEEE10hipError_tT2_T3_mT4_P12ihipStream_tbEUlT_E_NS1_11comp_targetILNS1_3genE10ELNS1_11target_archE1201ELNS1_3gpuE5ELNS1_3repE0EEENS1_30default_config_static_selectorELNS0_4arch9wavefront6targetE0EEEvT1_: ; @_ZN7rocprim17ROCPRIM_400000_NS6detail17trampoline_kernelINS0_14default_configENS1_25transform_config_selectorIhLb0EEEZNS1_14transform_implILb0ES3_S5_PhN6thrust23THRUST_200600_302600_NS6detail15normal_iteratorINS9_10device_ptrIhEEEENS0_8identityIhEEEE10hipError_tT2_T3_mT4_P12ihipStream_tbEUlT_E_NS1_11comp_targetILNS1_3genE10ELNS1_11target_archE1201ELNS1_3gpuE5ELNS1_3repE0EEENS1_30default_config_static_selectorELNS0_4arch9wavefront6targetE0EEEvT1_
; %bb.0:
	.section	.rodata,"a",@progbits
	.p2align	6, 0x0
	.amdhsa_kernel _ZN7rocprim17ROCPRIM_400000_NS6detail17trampoline_kernelINS0_14default_configENS1_25transform_config_selectorIhLb0EEEZNS1_14transform_implILb0ES3_S5_PhN6thrust23THRUST_200600_302600_NS6detail15normal_iteratorINS9_10device_ptrIhEEEENS0_8identityIhEEEE10hipError_tT2_T3_mT4_P12ihipStream_tbEUlT_E_NS1_11comp_targetILNS1_3genE10ELNS1_11target_archE1201ELNS1_3gpuE5ELNS1_3repE0EEENS1_30default_config_static_selectorELNS0_4arch9wavefront6targetE0EEEvT1_
		.amdhsa_group_segment_fixed_size 0
		.amdhsa_private_segment_fixed_size 0
		.amdhsa_kernarg_size 40
		.amdhsa_user_sgpr_count 6
		.amdhsa_user_sgpr_private_segment_buffer 1
		.amdhsa_user_sgpr_dispatch_ptr 0
		.amdhsa_user_sgpr_queue_ptr 0
		.amdhsa_user_sgpr_kernarg_segment_ptr 1
		.amdhsa_user_sgpr_dispatch_id 0
		.amdhsa_user_sgpr_flat_scratch_init 0
		.amdhsa_user_sgpr_private_segment_size 0
		.amdhsa_wavefront_size32 1
		.amdhsa_uses_dynamic_stack 0
		.amdhsa_system_sgpr_private_segment_wavefront_offset 0
		.amdhsa_system_sgpr_workgroup_id_x 1
		.amdhsa_system_sgpr_workgroup_id_y 0
		.amdhsa_system_sgpr_workgroup_id_z 0
		.amdhsa_system_sgpr_workgroup_info 0
		.amdhsa_system_vgpr_workitem_id 0
		.amdhsa_next_free_vgpr 1
		.amdhsa_next_free_sgpr 1
		.amdhsa_reserve_vcc 0
		.amdhsa_reserve_flat_scratch 0
		.amdhsa_float_round_mode_32 0
		.amdhsa_float_round_mode_16_64 0
		.amdhsa_float_denorm_mode_32 3
		.amdhsa_float_denorm_mode_16_64 3
		.amdhsa_dx10_clamp 1
		.amdhsa_ieee_mode 1
		.amdhsa_fp16_overflow 0
		.amdhsa_workgroup_processor_mode 1
		.amdhsa_memory_ordered 1
		.amdhsa_forward_progress 1
		.amdhsa_shared_vgpr_count 0
		.amdhsa_exception_fp_ieee_invalid_op 0
		.amdhsa_exception_fp_denorm_src 0
		.amdhsa_exception_fp_ieee_div_zero 0
		.amdhsa_exception_fp_ieee_overflow 0
		.amdhsa_exception_fp_ieee_underflow 0
		.amdhsa_exception_fp_ieee_inexact 0
		.amdhsa_exception_int_div_zero 0
	.end_amdhsa_kernel
	.section	.text._ZN7rocprim17ROCPRIM_400000_NS6detail17trampoline_kernelINS0_14default_configENS1_25transform_config_selectorIhLb0EEEZNS1_14transform_implILb0ES3_S5_PhN6thrust23THRUST_200600_302600_NS6detail15normal_iteratorINS9_10device_ptrIhEEEENS0_8identityIhEEEE10hipError_tT2_T3_mT4_P12ihipStream_tbEUlT_E_NS1_11comp_targetILNS1_3genE10ELNS1_11target_archE1201ELNS1_3gpuE5ELNS1_3repE0EEENS1_30default_config_static_selectorELNS0_4arch9wavefront6targetE0EEEvT1_,"axG",@progbits,_ZN7rocprim17ROCPRIM_400000_NS6detail17trampoline_kernelINS0_14default_configENS1_25transform_config_selectorIhLb0EEEZNS1_14transform_implILb0ES3_S5_PhN6thrust23THRUST_200600_302600_NS6detail15normal_iteratorINS9_10device_ptrIhEEEENS0_8identityIhEEEE10hipError_tT2_T3_mT4_P12ihipStream_tbEUlT_E_NS1_11comp_targetILNS1_3genE10ELNS1_11target_archE1201ELNS1_3gpuE5ELNS1_3repE0EEENS1_30default_config_static_selectorELNS0_4arch9wavefront6targetE0EEEvT1_,comdat
.Lfunc_end746:
	.size	_ZN7rocprim17ROCPRIM_400000_NS6detail17trampoline_kernelINS0_14default_configENS1_25transform_config_selectorIhLb0EEEZNS1_14transform_implILb0ES3_S5_PhN6thrust23THRUST_200600_302600_NS6detail15normal_iteratorINS9_10device_ptrIhEEEENS0_8identityIhEEEE10hipError_tT2_T3_mT4_P12ihipStream_tbEUlT_E_NS1_11comp_targetILNS1_3genE10ELNS1_11target_archE1201ELNS1_3gpuE5ELNS1_3repE0EEENS1_30default_config_static_selectorELNS0_4arch9wavefront6targetE0EEEvT1_, .Lfunc_end746-_ZN7rocprim17ROCPRIM_400000_NS6detail17trampoline_kernelINS0_14default_configENS1_25transform_config_selectorIhLb0EEEZNS1_14transform_implILb0ES3_S5_PhN6thrust23THRUST_200600_302600_NS6detail15normal_iteratorINS9_10device_ptrIhEEEENS0_8identityIhEEEE10hipError_tT2_T3_mT4_P12ihipStream_tbEUlT_E_NS1_11comp_targetILNS1_3genE10ELNS1_11target_archE1201ELNS1_3gpuE5ELNS1_3repE0EEENS1_30default_config_static_selectorELNS0_4arch9wavefront6targetE0EEEvT1_
                                        ; -- End function
	.set _ZN7rocprim17ROCPRIM_400000_NS6detail17trampoline_kernelINS0_14default_configENS1_25transform_config_selectorIhLb0EEEZNS1_14transform_implILb0ES3_S5_PhN6thrust23THRUST_200600_302600_NS6detail15normal_iteratorINS9_10device_ptrIhEEEENS0_8identityIhEEEE10hipError_tT2_T3_mT4_P12ihipStream_tbEUlT_E_NS1_11comp_targetILNS1_3genE10ELNS1_11target_archE1201ELNS1_3gpuE5ELNS1_3repE0EEENS1_30default_config_static_selectorELNS0_4arch9wavefront6targetE0EEEvT1_.num_vgpr, 0
	.set _ZN7rocprim17ROCPRIM_400000_NS6detail17trampoline_kernelINS0_14default_configENS1_25transform_config_selectorIhLb0EEEZNS1_14transform_implILb0ES3_S5_PhN6thrust23THRUST_200600_302600_NS6detail15normal_iteratorINS9_10device_ptrIhEEEENS0_8identityIhEEEE10hipError_tT2_T3_mT4_P12ihipStream_tbEUlT_E_NS1_11comp_targetILNS1_3genE10ELNS1_11target_archE1201ELNS1_3gpuE5ELNS1_3repE0EEENS1_30default_config_static_selectorELNS0_4arch9wavefront6targetE0EEEvT1_.num_agpr, 0
	.set _ZN7rocprim17ROCPRIM_400000_NS6detail17trampoline_kernelINS0_14default_configENS1_25transform_config_selectorIhLb0EEEZNS1_14transform_implILb0ES3_S5_PhN6thrust23THRUST_200600_302600_NS6detail15normal_iteratorINS9_10device_ptrIhEEEENS0_8identityIhEEEE10hipError_tT2_T3_mT4_P12ihipStream_tbEUlT_E_NS1_11comp_targetILNS1_3genE10ELNS1_11target_archE1201ELNS1_3gpuE5ELNS1_3repE0EEENS1_30default_config_static_selectorELNS0_4arch9wavefront6targetE0EEEvT1_.numbered_sgpr, 0
	.set _ZN7rocprim17ROCPRIM_400000_NS6detail17trampoline_kernelINS0_14default_configENS1_25transform_config_selectorIhLb0EEEZNS1_14transform_implILb0ES3_S5_PhN6thrust23THRUST_200600_302600_NS6detail15normal_iteratorINS9_10device_ptrIhEEEENS0_8identityIhEEEE10hipError_tT2_T3_mT4_P12ihipStream_tbEUlT_E_NS1_11comp_targetILNS1_3genE10ELNS1_11target_archE1201ELNS1_3gpuE5ELNS1_3repE0EEENS1_30default_config_static_selectorELNS0_4arch9wavefront6targetE0EEEvT1_.num_named_barrier, 0
	.set _ZN7rocprim17ROCPRIM_400000_NS6detail17trampoline_kernelINS0_14default_configENS1_25transform_config_selectorIhLb0EEEZNS1_14transform_implILb0ES3_S5_PhN6thrust23THRUST_200600_302600_NS6detail15normal_iteratorINS9_10device_ptrIhEEEENS0_8identityIhEEEE10hipError_tT2_T3_mT4_P12ihipStream_tbEUlT_E_NS1_11comp_targetILNS1_3genE10ELNS1_11target_archE1201ELNS1_3gpuE5ELNS1_3repE0EEENS1_30default_config_static_selectorELNS0_4arch9wavefront6targetE0EEEvT1_.private_seg_size, 0
	.set _ZN7rocprim17ROCPRIM_400000_NS6detail17trampoline_kernelINS0_14default_configENS1_25transform_config_selectorIhLb0EEEZNS1_14transform_implILb0ES3_S5_PhN6thrust23THRUST_200600_302600_NS6detail15normal_iteratorINS9_10device_ptrIhEEEENS0_8identityIhEEEE10hipError_tT2_T3_mT4_P12ihipStream_tbEUlT_E_NS1_11comp_targetILNS1_3genE10ELNS1_11target_archE1201ELNS1_3gpuE5ELNS1_3repE0EEENS1_30default_config_static_selectorELNS0_4arch9wavefront6targetE0EEEvT1_.uses_vcc, 0
	.set _ZN7rocprim17ROCPRIM_400000_NS6detail17trampoline_kernelINS0_14default_configENS1_25transform_config_selectorIhLb0EEEZNS1_14transform_implILb0ES3_S5_PhN6thrust23THRUST_200600_302600_NS6detail15normal_iteratorINS9_10device_ptrIhEEEENS0_8identityIhEEEE10hipError_tT2_T3_mT4_P12ihipStream_tbEUlT_E_NS1_11comp_targetILNS1_3genE10ELNS1_11target_archE1201ELNS1_3gpuE5ELNS1_3repE0EEENS1_30default_config_static_selectorELNS0_4arch9wavefront6targetE0EEEvT1_.uses_flat_scratch, 0
	.set _ZN7rocprim17ROCPRIM_400000_NS6detail17trampoline_kernelINS0_14default_configENS1_25transform_config_selectorIhLb0EEEZNS1_14transform_implILb0ES3_S5_PhN6thrust23THRUST_200600_302600_NS6detail15normal_iteratorINS9_10device_ptrIhEEEENS0_8identityIhEEEE10hipError_tT2_T3_mT4_P12ihipStream_tbEUlT_E_NS1_11comp_targetILNS1_3genE10ELNS1_11target_archE1201ELNS1_3gpuE5ELNS1_3repE0EEENS1_30default_config_static_selectorELNS0_4arch9wavefront6targetE0EEEvT1_.has_dyn_sized_stack, 0
	.set _ZN7rocprim17ROCPRIM_400000_NS6detail17trampoline_kernelINS0_14default_configENS1_25transform_config_selectorIhLb0EEEZNS1_14transform_implILb0ES3_S5_PhN6thrust23THRUST_200600_302600_NS6detail15normal_iteratorINS9_10device_ptrIhEEEENS0_8identityIhEEEE10hipError_tT2_T3_mT4_P12ihipStream_tbEUlT_E_NS1_11comp_targetILNS1_3genE10ELNS1_11target_archE1201ELNS1_3gpuE5ELNS1_3repE0EEENS1_30default_config_static_selectorELNS0_4arch9wavefront6targetE0EEEvT1_.has_recursion, 0
	.set _ZN7rocprim17ROCPRIM_400000_NS6detail17trampoline_kernelINS0_14default_configENS1_25transform_config_selectorIhLb0EEEZNS1_14transform_implILb0ES3_S5_PhN6thrust23THRUST_200600_302600_NS6detail15normal_iteratorINS9_10device_ptrIhEEEENS0_8identityIhEEEE10hipError_tT2_T3_mT4_P12ihipStream_tbEUlT_E_NS1_11comp_targetILNS1_3genE10ELNS1_11target_archE1201ELNS1_3gpuE5ELNS1_3repE0EEENS1_30default_config_static_selectorELNS0_4arch9wavefront6targetE0EEEvT1_.has_indirect_call, 0
	.section	.AMDGPU.csdata,"",@progbits
; Kernel info:
; codeLenInByte = 0
; TotalNumSgprs: 0
; NumVgprs: 0
; ScratchSize: 0
; MemoryBound: 0
; FloatMode: 240
; IeeeMode: 1
; LDSByteSize: 0 bytes/workgroup (compile time only)
; SGPRBlocks: 0
; VGPRBlocks: 0
; NumSGPRsForWavesPerEU: 1
; NumVGPRsForWavesPerEU: 1
; Occupancy: 16
; WaveLimiterHint : 0
; COMPUTE_PGM_RSRC2:SCRATCH_EN: 0
; COMPUTE_PGM_RSRC2:USER_SGPR: 6
; COMPUTE_PGM_RSRC2:TRAP_HANDLER: 0
; COMPUTE_PGM_RSRC2:TGID_X_EN: 1
; COMPUTE_PGM_RSRC2:TGID_Y_EN: 0
; COMPUTE_PGM_RSRC2:TGID_Z_EN: 0
; COMPUTE_PGM_RSRC2:TIDIG_COMP_CNT: 0
	.section	.text._ZN7rocprim17ROCPRIM_400000_NS6detail17trampoline_kernelINS0_14default_configENS1_25transform_config_selectorIhLb0EEEZNS1_14transform_implILb0ES3_S5_PhN6thrust23THRUST_200600_302600_NS6detail15normal_iteratorINS9_10device_ptrIhEEEENS0_8identityIhEEEE10hipError_tT2_T3_mT4_P12ihipStream_tbEUlT_E_NS1_11comp_targetILNS1_3genE10ELNS1_11target_archE1200ELNS1_3gpuE4ELNS1_3repE0EEENS1_30default_config_static_selectorELNS0_4arch9wavefront6targetE0EEEvT1_,"axG",@progbits,_ZN7rocprim17ROCPRIM_400000_NS6detail17trampoline_kernelINS0_14default_configENS1_25transform_config_selectorIhLb0EEEZNS1_14transform_implILb0ES3_S5_PhN6thrust23THRUST_200600_302600_NS6detail15normal_iteratorINS9_10device_ptrIhEEEENS0_8identityIhEEEE10hipError_tT2_T3_mT4_P12ihipStream_tbEUlT_E_NS1_11comp_targetILNS1_3genE10ELNS1_11target_archE1200ELNS1_3gpuE4ELNS1_3repE0EEENS1_30default_config_static_selectorELNS0_4arch9wavefront6targetE0EEEvT1_,comdat
	.protected	_ZN7rocprim17ROCPRIM_400000_NS6detail17trampoline_kernelINS0_14default_configENS1_25transform_config_selectorIhLb0EEEZNS1_14transform_implILb0ES3_S5_PhN6thrust23THRUST_200600_302600_NS6detail15normal_iteratorINS9_10device_ptrIhEEEENS0_8identityIhEEEE10hipError_tT2_T3_mT4_P12ihipStream_tbEUlT_E_NS1_11comp_targetILNS1_3genE10ELNS1_11target_archE1200ELNS1_3gpuE4ELNS1_3repE0EEENS1_30default_config_static_selectorELNS0_4arch9wavefront6targetE0EEEvT1_ ; -- Begin function _ZN7rocprim17ROCPRIM_400000_NS6detail17trampoline_kernelINS0_14default_configENS1_25transform_config_selectorIhLb0EEEZNS1_14transform_implILb0ES3_S5_PhN6thrust23THRUST_200600_302600_NS6detail15normal_iteratorINS9_10device_ptrIhEEEENS0_8identityIhEEEE10hipError_tT2_T3_mT4_P12ihipStream_tbEUlT_E_NS1_11comp_targetILNS1_3genE10ELNS1_11target_archE1200ELNS1_3gpuE4ELNS1_3repE0EEENS1_30default_config_static_selectorELNS0_4arch9wavefront6targetE0EEEvT1_
	.globl	_ZN7rocprim17ROCPRIM_400000_NS6detail17trampoline_kernelINS0_14default_configENS1_25transform_config_selectorIhLb0EEEZNS1_14transform_implILb0ES3_S5_PhN6thrust23THRUST_200600_302600_NS6detail15normal_iteratorINS9_10device_ptrIhEEEENS0_8identityIhEEEE10hipError_tT2_T3_mT4_P12ihipStream_tbEUlT_E_NS1_11comp_targetILNS1_3genE10ELNS1_11target_archE1200ELNS1_3gpuE4ELNS1_3repE0EEENS1_30default_config_static_selectorELNS0_4arch9wavefront6targetE0EEEvT1_
	.p2align	8
	.type	_ZN7rocprim17ROCPRIM_400000_NS6detail17trampoline_kernelINS0_14default_configENS1_25transform_config_selectorIhLb0EEEZNS1_14transform_implILb0ES3_S5_PhN6thrust23THRUST_200600_302600_NS6detail15normal_iteratorINS9_10device_ptrIhEEEENS0_8identityIhEEEE10hipError_tT2_T3_mT4_P12ihipStream_tbEUlT_E_NS1_11comp_targetILNS1_3genE10ELNS1_11target_archE1200ELNS1_3gpuE4ELNS1_3repE0EEENS1_30default_config_static_selectorELNS0_4arch9wavefront6targetE0EEEvT1_,@function
_ZN7rocprim17ROCPRIM_400000_NS6detail17trampoline_kernelINS0_14default_configENS1_25transform_config_selectorIhLb0EEEZNS1_14transform_implILb0ES3_S5_PhN6thrust23THRUST_200600_302600_NS6detail15normal_iteratorINS9_10device_ptrIhEEEENS0_8identityIhEEEE10hipError_tT2_T3_mT4_P12ihipStream_tbEUlT_E_NS1_11comp_targetILNS1_3genE10ELNS1_11target_archE1200ELNS1_3gpuE4ELNS1_3repE0EEENS1_30default_config_static_selectorELNS0_4arch9wavefront6targetE0EEEvT1_: ; @_ZN7rocprim17ROCPRIM_400000_NS6detail17trampoline_kernelINS0_14default_configENS1_25transform_config_selectorIhLb0EEEZNS1_14transform_implILb0ES3_S5_PhN6thrust23THRUST_200600_302600_NS6detail15normal_iteratorINS9_10device_ptrIhEEEENS0_8identityIhEEEE10hipError_tT2_T3_mT4_P12ihipStream_tbEUlT_E_NS1_11comp_targetILNS1_3genE10ELNS1_11target_archE1200ELNS1_3gpuE4ELNS1_3repE0EEENS1_30default_config_static_selectorELNS0_4arch9wavefront6targetE0EEEvT1_
; %bb.0:
	.section	.rodata,"a",@progbits
	.p2align	6, 0x0
	.amdhsa_kernel _ZN7rocprim17ROCPRIM_400000_NS6detail17trampoline_kernelINS0_14default_configENS1_25transform_config_selectorIhLb0EEEZNS1_14transform_implILb0ES3_S5_PhN6thrust23THRUST_200600_302600_NS6detail15normal_iteratorINS9_10device_ptrIhEEEENS0_8identityIhEEEE10hipError_tT2_T3_mT4_P12ihipStream_tbEUlT_E_NS1_11comp_targetILNS1_3genE10ELNS1_11target_archE1200ELNS1_3gpuE4ELNS1_3repE0EEENS1_30default_config_static_selectorELNS0_4arch9wavefront6targetE0EEEvT1_
		.amdhsa_group_segment_fixed_size 0
		.amdhsa_private_segment_fixed_size 0
		.amdhsa_kernarg_size 40
		.amdhsa_user_sgpr_count 6
		.amdhsa_user_sgpr_private_segment_buffer 1
		.amdhsa_user_sgpr_dispatch_ptr 0
		.amdhsa_user_sgpr_queue_ptr 0
		.amdhsa_user_sgpr_kernarg_segment_ptr 1
		.amdhsa_user_sgpr_dispatch_id 0
		.amdhsa_user_sgpr_flat_scratch_init 0
		.amdhsa_user_sgpr_private_segment_size 0
		.amdhsa_wavefront_size32 1
		.amdhsa_uses_dynamic_stack 0
		.amdhsa_system_sgpr_private_segment_wavefront_offset 0
		.amdhsa_system_sgpr_workgroup_id_x 1
		.amdhsa_system_sgpr_workgroup_id_y 0
		.amdhsa_system_sgpr_workgroup_id_z 0
		.amdhsa_system_sgpr_workgroup_info 0
		.amdhsa_system_vgpr_workitem_id 0
		.amdhsa_next_free_vgpr 1
		.amdhsa_next_free_sgpr 1
		.amdhsa_reserve_vcc 0
		.amdhsa_reserve_flat_scratch 0
		.amdhsa_float_round_mode_32 0
		.amdhsa_float_round_mode_16_64 0
		.amdhsa_float_denorm_mode_32 3
		.amdhsa_float_denorm_mode_16_64 3
		.amdhsa_dx10_clamp 1
		.amdhsa_ieee_mode 1
		.amdhsa_fp16_overflow 0
		.amdhsa_workgroup_processor_mode 1
		.amdhsa_memory_ordered 1
		.amdhsa_forward_progress 1
		.amdhsa_shared_vgpr_count 0
		.amdhsa_exception_fp_ieee_invalid_op 0
		.amdhsa_exception_fp_denorm_src 0
		.amdhsa_exception_fp_ieee_div_zero 0
		.amdhsa_exception_fp_ieee_overflow 0
		.amdhsa_exception_fp_ieee_underflow 0
		.amdhsa_exception_fp_ieee_inexact 0
		.amdhsa_exception_int_div_zero 0
	.end_amdhsa_kernel
	.section	.text._ZN7rocprim17ROCPRIM_400000_NS6detail17trampoline_kernelINS0_14default_configENS1_25transform_config_selectorIhLb0EEEZNS1_14transform_implILb0ES3_S5_PhN6thrust23THRUST_200600_302600_NS6detail15normal_iteratorINS9_10device_ptrIhEEEENS0_8identityIhEEEE10hipError_tT2_T3_mT4_P12ihipStream_tbEUlT_E_NS1_11comp_targetILNS1_3genE10ELNS1_11target_archE1200ELNS1_3gpuE4ELNS1_3repE0EEENS1_30default_config_static_selectorELNS0_4arch9wavefront6targetE0EEEvT1_,"axG",@progbits,_ZN7rocprim17ROCPRIM_400000_NS6detail17trampoline_kernelINS0_14default_configENS1_25transform_config_selectorIhLb0EEEZNS1_14transform_implILb0ES3_S5_PhN6thrust23THRUST_200600_302600_NS6detail15normal_iteratorINS9_10device_ptrIhEEEENS0_8identityIhEEEE10hipError_tT2_T3_mT4_P12ihipStream_tbEUlT_E_NS1_11comp_targetILNS1_3genE10ELNS1_11target_archE1200ELNS1_3gpuE4ELNS1_3repE0EEENS1_30default_config_static_selectorELNS0_4arch9wavefront6targetE0EEEvT1_,comdat
.Lfunc_end747:
	.size	_ZN7rocprim17ROCPRIM_400000_NS6detail17trampoline_kernelINS0_14default_configENS1_25transform_config_selectorIhLb0EEEZNS1_14transform_implILb0ES3_S5_PhN6thrust23THRUST_200600_302600_NS6detail15normal_iteratorINS9_10device_ptrIhEEEENS0_8identityIhEEEE10hipError_tT2_T3_mT4_P12ihipStream_tbEUlT_E_NS1_11comp_targetILNS1_3genE10ELNS1_11target_archE1200ELNS1_3gpuE4ELNS1_3repE0EEENS1_30default_config_static_selectorELNS0_4arch9wavefront6targetE0EEEvT1_, .Lfunc_end747-_ZN7rocprim17ROCPRIM_400000_NS6detail17trampoline_kernelINS0_14default_configENS1_25transform_config_selectorIhLb0EEEZNS1_14transform_implILb0ES3_S5_PhN6thrust23THRUST_200600_302600_NS6detail15normal_iteratorINS9_10device_ptrIhEEEENS0_8identityIhEEEE10hipError_tT2_T3_mT4_P12ihipStream_tbEUlT_E_NS1_11comp_targetILNS1_3genE10ELNS1_11target_archE1200ELNS1_3gpuE4ELNS1_3repE0EEENS1_30default_config_static_selectorELNS0_4arch9wavefront6targetE0EEEvT1_
                                        ; -- End function
	.set _ZN7rocprim17ROCPRIM_400000_NS6detail17trampoline_kernelINS0_14default_configENS1_25transform_config_selectorIhLb0EEEZNS1_14transform_implILb0ES3_S5_PhN6thrust23THRUST_200600_302600_NS6detail15normal_iteratorINS9_10device_ptrIhEEEENS0_8identityIhEEEE10hipError_tT2_T3_mT4_P12ihipStream_tbEUlT_E_NS1_11comp_targetILNS1_3genE10ELNS1_11target_archE1200ELNS1_3gpuE4ELNS1_3repE0EEENS1_30default_config_static_selectorELNS0_4arch9wavefront6targetE0EEEvT1_.num_vgpr, 0
	.set _ZN7rocprim17ROCPRIM_400000_NS6detail17trampoline_kernelINS0_14default_configENS1_25transform_config_selectorIhLb0EEEZNS1_14transform_implILb0ES3_S5_PhN6thrust23THRUST_200600_302600_NS6detail15normal_iteratorINS9_10device_ptrIhEEEENS0_8identityIhEEEE10hipError_tT2_T3_mT4_P12ihipStream_tbEUlT_E_NS1_11comp_targetILNS1_3genE10ELNS1_11target_archE1200ELNS1_3gpuE4ELNS1_3repE0EEENS1_30default_config_static_selectorELNS0_4arch9wavefront6targetE0EEEvT1_.num_agpr, 0
	.set _ZN7rocprim17ROCPRIM_400000_NS6detail17trampoline_kernelINS0_14default_configENS1_25transform_config_selectorIhLb0EEEZNS1_14transform_implILb0ES3_S5_PhN6thrust23THRUST_200600_302600_NS6detail15normal_iteratorINS9_10device_ptrIhEEEENS0_8identityIhEEEE10hipError_tT2_T3_mT4_P12ihipStream_tbEUlT_E_NS1_11comp_targetILNS1_3genE10ELNS1_11target_archE1200ELNS1_3gpuE4ELNS1_3repE0EEENS1_30default_config_static_selectorELNS0_4arch9wavefront6targetE0EEEvT1_.numbered_sgpr, 0
	.set _ZN7rocprim17ROCPRIM_400000_NS6detail17trampoline_kernelINS0_14default_configENS1_25transform_config_selectorIhLb0EEEZNS1_14transform_implILb0ES3_S5_PhN6thrust23THRUST_200600_302600_NS6detail15normal_iteratorINS9_10device_ptrIhEEEENS0_8identityIhEEEE10hipError_tT2_T3_mT4_P12ihipStream_tbEUlT_E_NS1_11comp_targetILNS1_3genE10ELNS1_11target_archE1200ELNS1_3gpuE4ELNS1_3repE0EEENS1_30default_config_static_selectorELNS0_4arch9wavefront6targetE0EEEvT1_.num_named_barrier, 0
	.set _ZN7rocprim17ROCPRIM_400000_NS6detail17trampoline_kernelINS0_14default_configENS1_25transform_config_selectorIhLb0EEEZNS1_14transform_implILb0ES3_S5_PhN6thrust23THRUST_200600_302600_NS6detail15normal_iteratorINS9_10device_ptrIhEEEENS0_8identityIhEEEE10hipError_tT2_T3_mT4_P12ihipStream_tbEUlT_E_NS1_11comp_targetILNS1_3genE10ELNS1_11target_archE1200ELNS1_3gpuE4ELNS1_3repE0EEENS1_30default_config_static_selectorELNS0_4arch9wavefront6targetE0EEEvT1_.private_seg_size, 0
	.set _ZN7rocprim17ROCPRIM_400000_NS6detail17trampoline_kernelINS0_14default_configENS1_25transform_config_selectorIhLb0EEEZNS1_14transform_implILb0ES3_S5_PhN6thrust23THRUST_200600_302600_NS6detail15normal_iteratorINS9_10device_ptrIhEEEENS0_8identityIhEEEE10hipError_tT2_T3_mT4_P12ihipStream_tbEUlT_E_NS1_11comp_targetILNS1_3genE10ELNS1_11target_archE1200ELNS1_3gpuE4ELNS1_3repE0EEENS1_30default_config_static_selectorELNS0_4arch9wavefront6targetE0EEEvT1_.uses_vcc, 0
	.set _ZN7rocprim17ROCPRIM_400000_NS6detail17trampoline_kernelINS0_14default_configENS1_25transform_config_selectorIhLb0EEEZNS1_14transform_implILb0ES3_S5_PhN6thrust23THRUST_200600_302600_NS6detail15normal_iteratorINS9_10device_ptrIhEEEENS0_8identityIhEEEE10hipError_tT2_T3_mT4_P12ihipStream_tbEUlT_E_NS1_11comp_targetILNS1_3genE10ELNS1_11target_archE1200ELNS1_3gpuE4ELNS1_3repE0EEENS1_30default_config_static_selectorELNS0_4arch9wavefront6targetE0EEEvT1_.uses_flat_scratch, 0
	.set _ZN7rocprim17ROCPRIM_400000_NS6detail17trampoline_kernelINS0_14default_configENS1_25transform_config_selectorIhLb0EEEZNS1_14transform_implILb0ES3_S5_PhN6thrust23THRUST_200600_302600_NS6detail15normal_iteratorINS9_10device_ptrIhEEEENS0_8identityIhEEEE10hipError_tT2_T3_mT4_P12ihipStream_tbEUlT_E_NS1_11comp_targetILNS1_3genE10ELNS1_11target_archE1200ELNS1_3gpuE4ELNS1_3repE0EEENS1_30default_config_static_selectorELNS0_4arch9wavefront6targetE0EEEvT1_.has_dyn_sized_stack, 0
	.set _ZN7rocprim17ROCPRIM_400000_NS6detail17trampoline_kernelINS0_14default_configENS1_25transform_config_selectorIhLb0EEEZNS1_14transform_implILb0ES3_S5_PhN6thrust23THRUST_200600_302600_NS6detail15normal_iteratorINS9_10device_ptrIhEEEENS0_8identityIhEEEE10hipError_tT2_T3_mT4_P12ihipStream_tbEUlT_E_NS1_11comp_targetILNS1_3genE10ELNS1_11target_archE1200ELNS1_3gpuE4ELNS1_3repE0EEENS1_30default_config_static_selectorELNS0_4arch9wavefront6targetE0EEEvT1_.has_recursion, 0
	.set _ZN7rocprim17ROCPRIM_400000_NS6detail17trampoline_kernelINS0_14default_configENS1_25transform_config_selectorIhLb0EEEZNS1_14transform_implILb0ES3_S5_PhN6thrust23THRUST_200600_302600_NS6detail15normal_iteratorINS9_10device_ptrIhEEEENS0_8identityIhEEEE10hipError_tT2_T3_mT4_P12ihipStream_tbEUlT_E_NS1_11comp_targetILNS1_3genE10ELNS1_11target_archE1200ELNS1_3gpuE4ELNS1_3repE0EEENS1_30default_config_static_selectorELNS0_4arch9wavefront6targetE0EEEvT1_.has_indirect_call, 0
	.section	.AMDGPU.csdata,"",@progbits
; Kernel info:
; codeLenInByte = 0
; TotalNumSgprs: 0
; NumVgprs: 0
; ScratchSize: 0
; MemoryBound: 0
; FloatMode: 240
; IeeeMode: 1
; LDSByteSize: 0 bytes/workgroup (compile time only)
; SGPRBlocks: 0
; VGPRBlocks: 0
; NumSGPRsForWavesPerEU: 1
; NumVGPRsForWavesPerEU: 1
; Occupancy: 16
; WaveLimiterHint : 0
; COMPUTE_PGM_RSRC2:SCRATCH_EN: 0
; COMPUTE_PGM_RSRC2:USER_SGPR: 6
; COMPUTE_PGM_RSRC2:TRAP_HANDLER: 0
; COMPUTE_PGM_RSRC2:TGID_X_EN: 1
; COMPUTE_PGM_RSRC2:TGID_Y_EN: 0
; COMPUTE_PGM_RSRC2:TGID_Z_EN: 0
; COMPUTE_PGM_RSRC2:TIDIG_COMP_CNT: 0
	.section	.text._ZN7rocprim17ROCPRIM_400000_NS6detail17trampoline_kernelINS0_14default_configENS1_25transform_config_selectorIhLb0EEEZNS1_14transform_implILb0ES3_S5_PhN6thrust23THRUST_200600_302600_NS6detail15normal_iteratorINS9_10device_ptrIhEEEENS0_8identityIhEEEE10hipError_tT2_T3_mT4_P12ihipStream_tbEUlT_E_NS1_11comp_targetILNS1_3genE9ELNS1_11target_archE1100ELNS1_3gpuE3ELNS1_3repE0EEENS1_30default_config_static_selectorELNS0_4arch9wavefront6targetE0EEEvT1_,"axG",@progbits,_ZN7rocprim17ROCPRIM_400000_NS6detail17trampoline_kernelINS0_14default_configENS1_25transform_config_selectorIhLb0EEEZNS1_14transform_implILb0ES3_S5_PhN6thrust23THRUST_200600_302600_NS6detail15normal_iteratorINS9_10device_ptrIhEEEENS0_8identityIhEEEE10hipError_tT2_T3_mT4_P12ihipStream_tbEUlT_E_NS1_11comp_targetILNS1_3genE9ELNS1_11target_archE1100ELNS1_3gpuE3ELNS1_3repE0EEENS1_30default_config_static_selectorELNS0_4arch9wavefront6targetE0EEEvT1_,comdat
	.protected	_ZN7rocprim17ROCPRIM_400000_NS6detail17trampoline_kernelINS0_14default_configENS1_25transform_config_selectorIhLb0EEEZNS1_14transform_implILb0ES3_S5_PhN6thrust23THRUST_200600_302600_NS6detail15normal_iteratorINS9_10device_ptrIhEEEENS0_8identityIhEEEE10hipError_tT2_T3_mT4_P12ihipStream_tbEUlT_E_NS1_11comp_targetILNS1_3genE9ELNS1_11target_archE1100ELNS1_3gpuE3ELNS1_3repE0EEENS1_30default_config_static_selectorELNS0_4arch9wavefront6targetE0EEEvT1_ ; -- Begin function _ZN7rocprim17ROCPRIM_400000_NS6detail17trampoline_kernelINS0_14default_configENS1_25transform_config_selectorIhLb0EEEZNS1_14transform_implILb0ES3_S5_PhN6thrust23THRUST_200600_302600_NS6detail15normal_iteratorINS9_10device_ptrIhEEEENS0_8identityIhEEEE10hipError_tT2_T3_mT4_P12ihipStream_tbEUlT_E_NS1_11comp_targetILNS1_3genE9ELNS1_11target_archE1100ELNS1_3gpuE3ELNS1_3repE0EEENS1_30default_config_static_selectorELNS0_4arch9wavefront6targetE0EEEvT1_
	.globl	_ZN7rocprim17ROCPRIM_400000_NS6detail17trampoline_kernelINS0_14default_configENS1_25transform_config_selectorIhLb0EEEZNS1_14transform_implILb0ES3_S5_PhN6thrust23THRUST_200600_302600_NS6detail15normal_iteratorINS9_10device_ptrIhEEEENS0_8identityIhEEEE10hipError_tT2_T3_mT4_P12ihipStream_tbEUlT_E_NS1_11comp_targetILNS1_3genE9ELNS1_11target_archE1100ELNS1_3gpuE3ELNS1_3repE0EEENS1_30default_config_static_selectorELNS0_4arch9wavefront6targetE0EEEvT1_
	.p2align	8
	.type	_ZN7rocprim17ROCPRIM_400000_NS6detail17trampoline_kernelINS0_14default_configENS1_25transform_config_selectorIhLb0EEEZNS1_14transform_implILb0ES3_S5_PhN6thrust23THRUST_200600_302600_NS6detail15normal_iteratorINS9_10device_ptrIhEEEENS0_8identityIhEEEE10hipError_tT2_T3_mT4_P12ihipStream_tbEUlT_E_NS1_11comp_targetILNS1_3genE9ELNS1_11target_archE1100ELNS1_3gpuE3ELNS1_3repE0EEENS1_30default_config_static_selectorELNS0_4arch9wavefront6targetE0EEEvT1_,@function
_ZN7rocprim17ROCPRIM_400000_NS6detail17trampoline_kernelINS0_14default_configENS1_25transform_config_selectorIhLb0EEEZNS1_14transform_implILb0ES3_S5_PhN6thrust23THRUST_200600_302600_NS6detail15normal_iteratorINS9_10device_ptrIhEEEENS0_8identityIhEEEE10hipError_tT2_T3_mT4_P12ihipStream_tbEUlT_E_NS1_11comp_targetILNS1_3genE9ELNS1_11target_archE1100ELNS1_3gpuE3ELNS1_3repE0EEENS1_30default_config_static_selectorELNS0_4arch9wavefront6targetE0EEEvT1_: ; @_ZN7rocprim17ROCPRIM_400000_NS6detail17trampoline_kernelINS0_14default_configENS1_25transform_config_selectorIhLb0EEEZNS1_14transform_implILb0ES3_S5_PhN6thrust23THRUST_200600_302600_NS6detail15normal_iteratorINS9_10device_ptrIhEEEENS0_8identityIhEEEE10hipError_tT2_T3_mT4_P12ihipStream_tbEUlT_E_NS1_11comp_targetILNS1_3genE9ELNS1_11target_archE1100ELNS1_3gpuE3ELNS1_3repE0EEENS1_30default_config_static_selectorELNS0_4arch9wavefront6targetE0EEEvT1_
; %bb.0:
	.section	.rodata,"a",@progbits
	.p2align	6, 0x0
	.amdhsa_kernel _ZN7rocprim17ROCPRIM_400000_NS6detail17trampoline_kernelINS0_14default_configENS1_25transform_config_selectorIhLb0EEEZNS1_14transform_implILb0ES3_S5_PhN6thrust23THRUST_200600_302600_NS6detail15normal_iteratorINS9_10device_ptrIhEEEENS0_8identityIhEEEE10hipError_tT2_T3_mT4_P12ihipStream_tbEUlT_E_NS1_11comp_targetILNS1_3genE9ELNS1_11target_archE1100ELNS1_3gpuE3ELNS1_3repE0EEENS1_30default_config_static_selectorELNS0_4arch9wavefront6targetE0EEEvT1_
		.amdhsa_group_segment_fixed_size 0
		.amdhsa_private_segment_fixed_size 0
		.amdhsa_kernarg_size 40
		.amdhsa_user_sgpr_count 6
		.amdhsa_user_sgpr_private_segment_buffer 1
		.amdhsa_user_sgpr_dispatch_ptr 0
		.amdhsa_user_sgpr_queue_ptr 0
		.amdhsa_user_sgpr_kernarg_segment_ptr 1
		.amdhsa_user_sgpr_dispatch_id 0
		.amdhsa_user_sgpr_flat_scratch_init 0
		.amdhsa_user_sgpr_private_segment_size 0
		.amdhsa_wavefront_size32 1
		.amdhsa_uses_dynamic_stack 0
		.amdhsa_system_sgpr_private_segment_wavefront_offset 0
		.amdhsa_system_sgpr_workgroup_id_x 1
		.amdhsa_system_sgpr_workgroup_id_y 0
		.amdhsa_system_sgpr_workgroup_id_z 0
		.amdhsa_system_sgpr_workgroup_info 0
		.amdhsa_system_vgpr_workitem_id 0
		.amdhsa_next_free_vgpr 1
		.amdhsa_next_free_sgpr 1
		.amdhsa_reserve_vcc 0
		.amdhsa_reserve_flat_scratch 0
		.amdhsa_float_round_mode_32 0
		.amdhsa_float_round_mode_16_64 0
		.amdhsa_float_denorm_mode_32 3
		.amdhsa_float_denorm_mode_16_64 3
		.amdhsa_dx10_clamp 1
		.amdhsa_ieee_mode 1
		.amdhsa_fp16_overflow 0
		.amdhsa_workgroup_processor_mode 1
		.amdhsa_memory_ordered 1
		.amdhsa_forward_progress 1
		.amdhsa_shared_vgpr_count 0
		.amdhsa_exception_fp_ieee_invalid_op 0
		.amdhsa_exception_fp_denorm_src 0
		.amdhsa_exception_fp_ieee_div_zero 0
		.amdhsa_exception_fp_ieee_overflow 0
		.amdhsa_exception_fp_ieee_underflow 0
		.amdhsa_exception_fp_ieee_inexact 0
		.amdhsa_exception_int_div_zero 0
	.end_amdhsa_kernel
	.section	.text._ZN7rocprim17ROCPRIM_400000_NS6detail17trampoline_kernelINS0_14default_configENS1_25transform_config_selectorIhLb0EEEZNS1_14transform_implILb0ES3_S5_PhN6thrust23THRUST_200600_302600_NS6detail15normal_iteratorINS9_10device_ptrIhEEEENS0_8identityIhEEEE10hipError_tT2_T3_mT4_P12ihipStream_tbEUlT_E_NS1_11comp_targetILNS1_3genE9ELNS1_11target_archE1100ELNS1_3gpuE3ELNS1_3repE0EEENS1_30default_config_static_selectorELNS0_4arch9wavefront6targetE0EEEvT1_,"axG",@progbits,_ZN7rocprim17ROCPRIM_400000_NS6detail17trampoline_kernelINS0_14default_configENS1_25transform_config_selectorIhLb0EEEZNS1_14transform_implILb0ES3_S5_PhN6thrust23THRUST_200600_302600_NS6detail15normal_iteratorINS9_10device_ptrIhEEEENS0_8identityIhEEEE10hipError_tT2_T3_mT4_P12ihipStream_tbEUlT_E_NS1_11comp_targetILNS1_3genE9ELNS1_11target_archE1100ELNS1_3gpuE3ELNS1_3repE0EEENS1_30default_config_static_selectorELNS0_4arch9wavefront6targetE0EEEvT1_,comdat
.Lfunc_end748:
	.size	_ZN7rocprim17ROCPRIM_400000_NS6detail17trampoline_kernelINS0_14default_configENS1_25transform_config_selectorIhLb0EEEZNS1_14transform_implILb0ES3_S5_PhN6thrust23THRUST_200600_302600_NS6detail15normal_iteratorINS9_10device_ptrIhEEEENS0_8identityIhEEEE10hipError_tT2_T3_mT4_P12ihipStream_tbEUlT_E_NS1_11comp_targetILNS1_3genE9ELNS1_11target_archE1100ELNS1_3gpuE3ELNS1_3repE0EEENS1_30default_config_static_selectorELNS0_4arch9wavefront6targetE0EEEvT1_, .Lfunc_end748-_ZN7rocprim17ROCPRIM_400000_NS6detail17trampoline_kernelINS0_14default_configENS1_25transform_config_selectorIhLb0EEEZNS1_14transform_implILb0ES3_S5_PhN6thrust23THRUST_200600_302600_NS6detail15normal_iteratorINS9_10device_ptrIhEEEENS0_8identityIhEEEE10hipError_tT2_T3_mT4_P12ihipStream_tbEUlT_E_NS1_11comp_targetILNS1_3genE9ELNS1_11target_archE1100ELNS1_3gpuE3ELNS1_3repE0EEENS1_30default_config_static_selectorELNS0_4arch9wavefront6targetE0EEEvT1_
                                        ; -- End function
	.set _ZN7rocprim17ROCPRIM_400000_NS6detail17trampoline_kernelINS0_14default_configENS1_25transform_config_selectorIhLb0EEEZNS1_14transform_implILb0ES3_S5_PhN6thrust23THRUST_200600_302600_NS6detail15normal_iteratorINS9_10device_ptrIhEEEENS0_8identityIhEEEE10hipError_tT2_T3_mT4_P12ihipStream_tbEUlT_E_NS1_11comp_targetILNS1_3genE9ELNS1_11target_archE1100ELNS1_3gpuE3ELNS1_3repE0EEENS1_30default_config_static_selectorELNS0_4arch9wavefront6targetE0EEEvT1_.num_vgpr, 0
	.set _ZN7rocprim17ROCPRIM_400000_NS6detail17trampoline_kernelINS0_14default_configENS1_25transform_config_selectorIhLb0EEEZNS1_14transform_implILb0ES3_S5_PhN6thrust23THRUST_200600_302600_NS6detail15normal_iteratorINS9_10device_ptrIhEEEENS0_8identityIhEEEE10hipError_tT2_T3_mT4_P12ihipStream_tbEUlT_E_NS1_11comp_targetILNS1_3genE9ELNS1_11target_archE1100ELNS1_3gpuE3ELNS1_3repE0EEENS1_30default_config_static_selectorELNS0_4arch9wavefront6targetE0EEEvT1_.num_agpr, 0
	.set _ZN7rocprim17ROCPRIM_400000_NS6detail17trampoline_kernelINS0_14default_configENS1_25transform_config_selectorIhLb0EEEZNS1_14transform_implILb0ES3_S5_PhN6thrust23THRUST_200600_302600_NS6detail15normal_iteratorINS9_10device_ptrIhEEEENS0_8identityIhEEEE10hipError_tT2_T3_mT4_P12ihipStream_tbEUlT_E_NS1_11comp_targetILNS1_3genE9ELNS1_11target_archE1100ELNS1_3gpuE3ELNS1_3repE0EEENS1_30default_config_static_selectorELNS0_4arch9wavefront6targetE0EEEvT1_.numbered_sgpr, 0
	.set _ZN7rocprim17ROCPRIM_400000_NS6detail17trampoline_kernelINS0_14default_configENS1_25transform_config_selectorIhLb0EEEZNS1_14transform_implILb0ES3_S5_PhN6thrust23THRUST_200600_302600_NS6detail15normal_iteratorINS9_10device_ptrIhEEEENS0_8identityIhEEEE10hipError_tT2_T3_mT4_P12ihipStream_tbEUlT_E_NS1_11comp_targetILNS1_3genE9ELNS1_11target_archE1100ELNS1_3gpuE3ELNS1_3repE0EEENS1_30default_config_static_selectorELNS0_4arch9wavefront6targetE0EEEvT1_.num_named_barrier, 0
	.set _ZN7rocprim17ROCPRIM_400000_NS6detail17trampoline_kernelINS0_14default_configENS1_25transform_config_selectorIhLb0EEEZNS1_14transform_implILb0ES3_S5_PhN6thrust23THRUST_200600_302600_NS6detail15normal_iteratorINS9_10device_ptrIhEEEENS0_8identityIhEEEE10hipError_tT2_T3_mT4_P12ihipStream_tbEUlT_E_NS1_11comp_targetILNS1_3genE9ELNS1_11target_archE1100ELNS1_3gpuE3ELNS1_3repE0EEENS1_30default_config_static_selectorELNS0_4arch9wavefront6targetE0EEEvT1_.private_seg_size, 0
	.set _ZN7rocprim17ROCPRIM_400000_NS6detail17trampoline_kernelINS0_14default_configENS1_25transform_config_selectorIhLb0EEEZNS1_14transform_implILb0ES3_S5_PhN6thrust23THRUST_200600_302600_NS6detail15normal_iteratorINS9_10device_ptrIhEEEENS0_8identityIhEEEE10hipError_tT2_T3_mT4_P12ihipStream_tbEUlT_E_NS1_11comp_targetILNS1_3genE9ELNS1_11target_archE1100ELNS1_3gpuE3ELNS1_3repE0EEENS1_30default_config_static_selectorELNS0_4arch9wavefront6targetE0EEEvT1_.uses_vcc, 0
	.set _ZN7rocprim17ROCPRIM_400000_NS6detail17trampoline_kernelINS0_14default_configENS1_25transform_config_selectorIhLb0EEEZNS1_14transform_implILb0ES3_S5_PhN6thrust23THRUST_200600_302600_NS6detail15normal_iteratorINS9_10device_ptrIhEEEENS0_8identityIhEEEE10hipError_tT2_T3_mT4_P12ihipStream_tbEUlT_E_NS1_11comp_targetILNS1_3genE9ELNS1_11target_archE1100ELNS1_3gpuE3ELNS1_3repE0EEENS1_30default_config_static_selectorELNS0_4arch9wavefront6targetE0EEEvT1_.uses_flat_scratch, 0
	.set _ZN7rocprim17ROCPRIM_400000_NS6detail17trampoline_kernelINS0_14default_configENS1_25transform_config_selectorIhLb0EEEZNS1_14transform_implILb0ES3_S5_PhN6thrust23THRUST_200600_302600_NS6detail15normal_iteratorINS9_10device_ptrIhEEEENS0_8identityIhEEEE10hipError_tT2_T3_mT4_P12ihipStream_tbEUlT_E_NS1_11comp_targetILNS1_3genE9ELNS1_11target_archE1100ELNS1_3gpuE3ELNS1_3repE0EEENS1_30default_config_static_selectorELNS0_4arch9wavefront6targetE0EEEvT1_.has_dyn_sized_stack, 0
	.set _ZN7rocprim17ROCPRIM_400000_NS6detail17trampoline_kernelINS0_14default_configENS1_25transform_config_selectorIhLb0EEEZNS1_14transform_implILb0ES3_S5_PhN6thrust23THRUST_200600_302600_NS6detail15normal_iteratorINS9_10device_ptrIhEEEENS0_8identityIhEEEE10hipError_tT2_T3_mT4_P12ihipStream_tbEUlT_E_NS1_11comp_targetILNS1_3genE9ELNS1_11target_archE1100ELNS1_3gpuE3ELNS1_3repE0EEENS1_30default_config_static_selectorELNS0_4arch9wavefront6targetE0EEEvT1_.has_recursion, 0
	.set _ZN7rocprim17ROCPRIM_400000_NS6detail17trampoline_kernelINS0_14default_configENS1_25transform_config_selectorIhLb0EEEZNS1_14transform_implILb0ES3_S5_PhN6thrust23THRUST_200600_302600_NS6detail15normal_iteratorINS9_10device_ptrIhEEEENS0_8identityIhEEEE10hipError_tT2_T3_mT4_P12ihipStream_tbEUlT_E_NS1_11comp_targetILNS1_3genE9ELNS1_11target_archE1100ELNS1_3gpuE3ELNS1_3repE0EEENS1_30default_config_static_selectorELNS0_4arch9wavefront6targetE0EEEvT1_.has_indirect_call, 0
	.section	.AMDGPU.csdata,"",@progbits
; Kernel info:
; codeLenInByte = 0
; TotalNumSgprs: 0
; NumVgprs: 0
; ScratchSize: 0
; MemoryBound: 0
; FloatMode: 240
; IeeeMode: 1
; LDSByteSize: 0 bytes/workgroup (compile time only)
; SGPRBlocks: 0
; VGPRBlocks: 0
; NumSGPRsForWavesPerEU: 1
; NumVGPRsForWavesPerEU: 1
; Occupancy: 16
; WaveLimiterHint : 0
; COMPUTE_PGM_RSRC2:SCRATCH_EN: 0
; COMPUTE_PGM_RSRC2:USER_SGPR: 6
; COMPUTE_PGM_RSRC2:TRAP_HANDLER: 0
; COMPUTE_PGM_RSRC2:TGID_X_EN: 1
; COMPUTE_PGM_RSRC2:TGID_Y_EN: 0
; COMPUTE_PGM_RSRC2:TGID_Z_EN: 0
; COMPUTE_PGM_RSRC2:TIDIG_COMP_CNT: 0
	.section	.text._ZN7rocprim17ROCPRIM_400000_NS6detail17trampoline_kernelINS0_14default_configENS1_25transform_config_selectorIhLb0EEEZNS1_14transform_implILb0ES3_S5_PhN6thrust23THRUST_200600_302600_NS6detail15normal_iteratorINS9_10device_ptrIhEEEENS0_8identityIhEEEE10hipError_tT2_T3_mT4_P12ihipStream_tbEUlT_E_NS1_11comp_targetILNS1_3genE8ELNS1_11target_archE1030ELNS1_3gpuE2ELNS1_3repE0EEENS1_30default_config_static_selectorELNS0_4arch9wavefront6targetE0EEEvT1_,"axG",@progbits,_ZN7rocprim17ROCPRIM_400000_NS6detail17trampoline_kernelINS0_14default_configENS1_25transform_config_selectorIhLb0EEEZNS1_14transform_implILb0ES3_S5_PhN6thrust23THRUST_200600_302600_NS6detail15normal_iteratorINS9_10device_ptrIhEEEENS0_8identityIhEEEE10hipError_tT2_T3_mT4_P12ihipStream_tbEUlT_E_NS1_11comp_targetILNS1_3genE8ELNS1_11target_archE1030ELNS1_3gpuE2ELNS1_3repE0EEENS1_30default_config_static_selectorELNS0_4arch9wavefront6targetE0EEEvT1_,comdat
	.protected	_ZN7rocprim17ROCPRIM_400000_NS6detail17trampoline_kernelINS0_14default_configENS1_25transform_config_selectorIhLb0EEEZNS1_14transform_implILb0ES3_S5_PhN6thrust23THRUST_200600_302600_NS6detail15normal_iteratorINS9_10device_ptrIhEEEENS0_8identityIhEEEE10hipError_tT2_T3_mT4_P12ihipStream_tbEUlT_E_NS1_11comp_targetILNS1_3genE8ELNS1_11target_archE1030ELNS1_3gpuE2ELNS1_3repE0EEENS1_30default_config_static_selectorELNS0_4arch9wavefront6targetE0EEEvT1_ ; -- Begin function _ZN7rocprim17ROCPRIM_400000_NS6detail17trampoline_kernelINS0_14default_configENS1_25transform_config_selectorIhLb0EEEZNS1_14transform_implILb0ES3_S5_PhN6thrust23THRUST_200600_302600_NS6detail15normal_iteratorINS9_10device_ptrIhEEEENS0_8identityIhEEEE10hipError_tT2_T3_mT4_P12ihipStream_tbEUlT_E_NS1_11comp_targetILNS1_3genE8ELNS1_11target_archE1030ELNS1_3gpuE2ELNS1_3repE0EEENS1_30default_config_static_selectorELNS0_4arch9wavefront6targetE0EEEvT1_
	.globl	_ZN7rocprim17ROCPRIM_400000_NS6detail17trampoline_kernelINS0_14default_configENS1_25transform_config_selectorIhLb0EEEZNS1_14transform_implILb0ES3_S5_PhN6thrust23THRUST_200600_302600_NS6detail15normal_iteratorINS9_10device_ptrIhEEEENS0_8identityIhEEEE10hipError_tT2_T3_mT4_P12ihipStream_tbEUlT_E_NS1_11comp_targetILNS1_3genE8ELNS1_11target_archE1030ELNS1_3gpuE2ELNS1_3repE0EEENS1_30default_config_static_selectorELNS0_4arch9wavefront6targetE0EEEvT1_
	.p2align	8
	.type	_ZN7rocprim17ROCPRIM_400000_NS6detail17trampoline_kernelINS0_14default_configENS1_25transform_config_selectorIhLb0EEEZNS1_14transform_implILb0ES3_S5_PhN6thrust23THRUST_200600_302600_NS6detail15normal_iteratorINS9_10device_ptrIhEEEENS0_8identityIhEEEE10hipError_tT2_T3_mT4_P12ihipStream_tbEUlT_E_NS1_11comp_targetILNS1_3genE8ELNS1_11target_archE1030ELNS1_3gpuE2ELNS1_3repE0EEENS1_30default_config_static_selectorELNS0_4arch9wavefront6targetE0EEEvT1_,@function
_ZN7rocprim17ROCPRIM_400000_NS6detail17trampoline_kernelINS0_14default_configENS1_25transform_config_selectorIhLb0EEEZNS1_14transform_implILb0ES3_S5_PhN6thrust23THRUST_200600_302600_NS6detail15normal_iteratorINS9_10device_ptrIhEEEENS0_8identityIhEEEE10hipError_tT2_T3_mT4_P12ihipStream_tbEUlT_E_NS1_11comp_targetILNS1_3genE8ELNS1_11target_archE1030ELNS1_3gpuE2ELNS1_3repE0EEENS1_30default_config_static_selectorELNS0_4arch9wavefront6targetE0EEEvT1_: ; @_ZN7rocprim17ROCPRIM_400000_NS6detail17trampoline_kernelINS0_14default_configENS1_25transform_config_selectorIhLb0EEEZNS1_14transform_implILb0ES3_S5_PhN6thrust23THRUST_200600_302600_NS6detail15normal_iteratorINS9_10device_ptrIhEEEENS0_8identityIhEEEE10hipError_tT2_T3_mT4_P12ihipStream_tbEUlT_E_NS1_11comp_targetILNS1_3genE8ELNS1_11target_archE1030ELNS1_3gpuE2ELNS1_3repE0EEENS1_30default_config_static_selectorELNS0_4arch9wavefront6targetE0EEEvT1_
; %bb.0:
	s_clause 0x1
	s_load_dwordx8 s[8:15], s[4:5], 0x0
	s_load_dword s0, s[4:5], 0x28
	s_mov_b32 s4, 0
	s_waitcnt lgkmcnt(0)
	s_add_u32 s1, s8, s10
	s_addc_u32 s3, s9, s11
	s_add_u32 s5, s14, s10
	s_addc_u32 s7, s15, s11
	s_lshl_b32 s8, s6, 8
	s_add_i32 s0, s0, -1
	s_add_u32 s2, s1, s8
	s_addc_u32 s3, s3, 0
	s_cmp_lg_u32 s6, s0
	s_mov_b32 s0, -1
	s_cbranch_scc0 .LBB749_2
; %bb.1:
	s_clause 0x1
	global_load_ubyte v1, v0, s[2:3]
	global_load_ubyte v4, v0, s[2:3] offset:128
	s_add_u32 s0, s5, s8
	s_addc_u32 s1, s7, 0
	v_add_co_u32 v2, s0, s0, v0
	v_add_co_ci_u32_e64 v3, null, s1, 0, s0
	s_mov_b32 s4, -1
	s_waitcnt vmcnt(1)
	flat_store_byte v[2:3], v1
	s_cbranch_execz .LBB749_3
	s_branch .LBB749_14
.LBB749_2:
                                        ; implicit-def: $vgpr4
                                        ; implicit-def: $vgpr2_vgpr3
	s_andn2_b32 vcc_lo, exec_lo, s0
	s_cbranch_vccnz .LBB749_14
.LBB749_3:
	s_sub_i32 s1, s12, s8
	v_mov_b32_e32 v1, 0
	v_cmp_gt_u32_e32 vcc_lo, s1, v0
	s_waitcnt vmcnt(0)
	v_mov_b32_e32 v4, 0
	s_and_saveexec_b32 s0, vcc_lo
	s_cbranch_execz .LBB749_5
; %bb.4:
	global_load_ubyte v4, v0, s[2:3]
.LBB749_5:
	s_or_b32 exec_lo, exec_lo, s0
	v_or_b32_e32 v2, 0x80, v0
	v_cmp_gt_u32_e64 s0, s1, v2
	v_cmp_le_u32_e64 s1, s1, v2
	v_mov_b32_e32 v3, v1
	v_mov_b32_e32 v2, v0
	s_and_saveexec_b32 s6, s1
	s_xor_b32 s1, exec_lo, s6
; %bb.6:
	v_mov_b32_e32 v3, 0
	v_mov_b32_e32 v2, v0
; %bb.7:
	s_andn2_saveexec_b32 s1, s1
	s_cbranch_execz .LBB749_9
; %bb.8:
	v_add_co_u32 v0, s2, s2, v0
	v_add_co_ci_u32_e64 v1, null, s3, 0, s2
	global_load_ubyte v1, v[0:1], off offset:128
.LBB749_9:
	s_or_b32 exec_lo, exec_lo, s1
	s_add_u32 s1, s5, s8
	s_addc_u32 s2, s7, 0
	v_add_co_u32 v2, s1, s1, v2
	v_add_co_ci_u32_e64 v3, null, s2, v3, s1
	s_and_saveexec_b32 s1, vcc_lo
	s_cbranch_execz .LBB749_11
; %bb.10:
	s_waitcnt vmcnt(0)
	v_cndmask_b32_e32 v0, 0, v4, vcc_lo
	v_and_b32_e32 v0, 0xff, v0
	flat_store_byte v[2:3], v0
.LBB749_11:
	s_or_b32 exec_lo, exec_lo, s1
                                        ; implicit-def: $vgpr4
	s_and_saveexec_b32 s1, s0
	s_cbranch_execz .LBB749_13
; %bb.12:
	s_waitcnt vmcnt(0)
	v_lshlrev_b16 v0, 8, v1
	s_or_b32 s4, s4, exec_lo
	v_cndmask_b32_e64 v0, 0, v0, s0
	v_lshrrev_b16 v4, 8, v0
.LBB749_13:
	s_or_b32 exec_lo, exec_lo, s1
.LBB749_14:
	s_and_saveexec_b32 s0, s4
	s_cbranch_execnz .LBB749_16
; %bb.15:
	s_endpgm
.LBB749_16:
	s_waitcnt vmcnt(0)
	flat_store_byte v[2:3], v4 offset:128
	s_endpgm
	.section	.rodata,"a",@progbits
	.p2align	6, 0x0
	.amdhsa_kernel _ZN7rocprim17ROCPRIM_400000_NS6detail17trampoline_kernelINS0_14default_configENS1_25transform_config_selectorIhLb0EEEZNS1_14transform_implILb0ES3_S5_PhN6thrust23THRUST_200600_302600_NS6detail15normal_iteratorINS9_10device_ptrIhEEEENS0_8identityIhEEEE10hipError_tT2_T3_mT4_P12ihipStream_tbEUlT_E_NS1_11comp_targetILNS1_3genE8ELNS1_11target_archE1030ELNS1_3gpuE2ELNS1_3repE0EEENS1_30default_config_static_selectorELNS0_4arch9wavefront6targetE0EEEvT1_
		.amdhsa_group_segment_fixed_size 0
		.amdhsa_private_segment_fixed_size 0
		.amdhsa_kernarg_size 296
		.amdhsa_user_sgpr_count 6
		.amdhsa_user_sgpr_private_segment_buffer 1
		.amdhsa_user_sgpr_dispatch_ptr 0
		.amdhsa_user_sgpr_queue_ptr 0
		.amdhsa_user_sgpr_kernarg_segment_ptr 1
		.amdhsa_user_sgpr_dispatch_id 0
		.amdhsa_user_sgpr_flat_scratch_init 0
		.amdhsa_user_sgpr_private_segment_size 0
		.amdhsa_wavefront_size32 1
		.amdhsa_uses_dynamic_stack 0
		.amdhsa_system_sgpr_private_segment_wavefront_offset 0
		.amdhsa_system_sgpr_workgroup_id_x 1
		.amdhsa_system_sgpr_workgroup_id_y 0
		.amdhsa_system_sgpr_workgroup_id_z 0
		.amdhsa_system_sgpr_workgroup_info 0
		.amdhsa_system_vgpr_workitem_id 0
		.amdhsa_next_free_vgpr 5
		.amdhsa_next_free_sgpr 16
		.amdhsa_reserve_vcc 1
		.amdhsa_reserve_flat_scratch 0
		.amdhsa_float_round_mode_32 0
		.amdhsa_float_round_mode_16_64 0
		.amdhsa_float_denorm_mode_32 3
		.amdhsa_float_denorm_mode_16_64 3
		.amdhsa_dx10_clamp 1
		.amdhsa_ieee_mode 1
		.amdhsa_fp16_overflow 0
		.amdhsa_workgroup_processor_mode 1
		.amdhsa_memory_ordered 1
		.amdhsa_forward_progress 1
		.amdhsa_shared_vgpr_count 0
		.amdhsa_exception_fp_ieee_invalid_op 0
		.amdhsa_exception_fp_denorm_src 0
		.amdhsa_exception_fp_ieee_div_zero 0
		.amdhsa_exception_fp_ieee_overflow 0
		.amdhsa_exception_fp_ieee_underflow 0
		.amdhsa_exception_fp_ieee_inexact 0
		.amdhsa_exception_int_div_zero 0
	.end_amdhsa_kernel
	.section	.text._ZN7rocprim17ROCPRIM_400000_NS6detail17trampoline_kernelINS0_14default_configENS1_25transform_config_selectorIhLb0EEEZNS1_14transform_implILb0ES3_S5_PhN6thrust23THRUST_200600_302600_NS6detail15normal_iteratorINS9_10device_ptrIhEEEENS0_8identityIhEEEE10hipError_tT2_T3_mT4_P12ihipStream_tbEUlT_E_NS1_11comp_targetILNS1_3genE8ELNS1_11target_archE1030ELNS1_3gpuE2ELNS1_3repE0EEENS1_30default_config_static_selectorELNS0_4arch9wavefront6targetE0EEEvT1_,"axG",@progbits,_ZN7rocprim17ROCPRIM_400000_NS6detail17trampoline_kernelINS0_14default_configENS1_25transform_config_selectorIhLb0EEEZNS1_14transform_implILb0ES3_S5_PhN6thrust23THRUST_200600_302600_NS6detail15normal_iteratorINS9_10device_ptrIhEEEENS0_8identityIhEEEE10hipError_tT2_T3_mT4_P12ihipStream_tbEUlT_E_NS1_11comp_targetILNS1_3genE8ELNS1_11target_archE1030ELNS1_3gpuE2ELNS1_3repE0EEENS1_30default_config_static_selectorELNS0_4arch9wavefront6targetE0EEEvT1_,comdat
.Lfunc_end749:
	.size	_ZN7rocprim17ROCPRIM_400000_NS6detail17trampoline_kernelINS0_14default_configENS1_25transform_config_selectorIhLb0EEEZNS1_14transform_implILb0ES3_S5_PhN6thrust23THRUST_200600_302600_NS6detail15normal_iteratorINS9_10device_ptrIhEEEENS0_8identityIhEEEE10hipError_tT2_T3_mT4_P12ihipStream_tbEUlT_E_NS1_11comp_targetILNS1_3genE8ELNS1_11target_archE1030ELNS1_3gpuE2ELNS1_3repE0EEENS1_30default_config_static_selectorELNS0_4arch9wavefront6targetE0EEEvT1_, .Lfunc_end749-_ZN7rocprim17ROCPRIM_400000_NS6detail17trampoline_kernelINS0_14default_configENS1_25transform_config_selectorIhLb0EEEZNS1_14transform_implILb0ES3_S5_PhN6thrust23THRUST_200600_302600_NS6detail15normal_iteratorINS9_10device_ptrIhEEEENS0_8identityIhEEEE10hipError_tT2_T3_mT4_P12ihipStream_tbEUlT_E_NS1_11comp_targetILNS1_3genE8ELNS1_11target_archE1030ELNS1_3gpuE2ELNS1_3repE0EEENS1_30default_config_static_selectorELNS0_4arch9wavefront6targetE0EEEvT1_
                                        ; -- End function
	.set _ZN7rocprim17ROCPRIM_400000_NS6detail17trampoline_kernelINS0_14default_configENS1_25transform_config_selectorIhLb0EEEZNS1_14transform_implILb0ES3_S5_PhN6thrust23THRUST_200600_302600_NS6detail15normal_iteratorINS9_10device_ptrIhEEEENS0_8identityIhEEEE10hipError_tT2_T3_mT4_P12ihipStream_tbEUlT_E_NS1_11comp_targetILNS1_3genE8ELNS1_11target_archE1030ELNS1_3gpuE2ELNS1_3repE0EEENS1_30default_config_static_selectorELNS0_4arch9wavefront6targetE0EEEvT1_.num_vgpr, 5
	.set _ZN7rocprim17ROCPRIM_400000_NS6detail17trampoline_kernelINS0_14default_configENS1_25transform_config_selectorIhLb0EEEZNS1_14transform_implILb0ES3_S5_PhN6thrust23THRUST_200600_302600_NS6detail15normal_iteratorINS9_10device_ptrIhEEEENS0_8identityIhEEEE10hipError_tT2_T3_mT4_P12ihipStream_tbEUlT_E_NS1_11comp_targetILNS1_3genE8ELNS1_11target_archE1030ELNS1_3gpuE2ELNS1_3repE0EEENS1_30default_config_static_selectorELNS0_4arch9wavefront6targetE0EEEvT1_.num_agpr, 0
	.set _ZN7rocprim17ROCPRIM_400000_NS6detail17trampoline_kernelINS0_14default_configENS1_25transform_config_selectorIhLb0EEEZNS1_14transform_implILb0ES3_S5_PhN6thrust23THRUST_200600_302600_NS6detail15normal_iteratorINS9_10device_ptrIhEEEENS0_8identityIhEEEE10hipError_tT2_T3_mT4_P12ihipStream_tbEUlT_E_NS1_11comp_targetILNS1_3genE8ELNS1_11target_archE1030ELNS1_3gpuE2ELNS1_3repE0EEENS1_30default_config_static_selectorELNS0_4arch9wavefront6targetE0EEEvT1_.numbered_sgpr, 16
	.set _ZN7rocprim17ROCPRIM_400000_NS6detail17trampoline_kernelINS0_14default_configENS1_25transform_config_selectorIhLb0EEEZNS1_14transform_implILb0ES3_S5_PhN6thrust23THRUST_200600_302600_NS6detail15normal_iteratorINS9_10device_ptrIhEEEENS0_8identityIhEEEE10hipError_tT2_T3_mT4_P12ihipStream_tbEUlT_E_NS1_11comp_targetILNS1_3genE8ELNS1_11target_archE1030ELNS1_3gpuE2ELNS1_3repE0EEENS1_30default_config_static_selectorELNS0_4arch9wavefront6targetE0EEEvT1_.num_named_barrier, 0
	.set _ZN7rocprim17ROCPRIM_400000_NS6detail17trampoline_kernelINS0_14default_configENS1_25transform_config_selectorIhLb0EEEZNS1_14transform_implILb0ES3_S5_PhN6thrust23THRUST_200600_302600_NS6detail15normal_iteratorINS9_10device_ptrIhEEEENS0_8identityIhEEEE10hipError_tT2_T3_mT4_P12ihipStream_tbEUlT_E_NS1_11comp_targetILNS1_3genE8ELNS1_11target_archE1030ELNS1_3gpuE2ELNS1_3repE0EEENS1_30default_config_static_selectorELNS0_4arch9wavefront6targetE0EEEvT1_.private_seg_size, 0
	.set _ZN7rocprim17ROCPRIM_400000_NS6detail17trampoline_kernelINS0_14default_configENS1_25transform_config_selectorIhLb0EEEZNS1_14transform_implILb0ES3_S5_PhN6thrust23THRUST_200600_302600_NS6detail15normal_iteratorINS9_10device_ptrIhEEEENS0_8identityIhEEEE10hipError_tT2_T3_mT4_P12ihipStream_tbEUlT_E_NS1_11comp_targetILNS1_3genE8ELNS1_11target_archE1030ELNS1_3gpuE2ELNS1_3repE0EEENS1_30default_config_static_selectorELNS0_4arch9wavefront6targetE0EEEvT1_.uses_vcc, 1
	.set _ZN7rocprim17ROCPRIM_400000_NS6detail17trampoline_kernelINS0_14default_configENS1_25transform_config_selectorIhLb0EEEZNS1_14transform_implILb0ES3_S5_PhN6thrust23THRUST_200600_302600_NS6detail15normal_iteratorINS9_10device_ptrIhEEEENS0_8identityIhEEEE10hipError_tT2_T3_mT4_P12ihipStream_tbEUlT_E_NS1_11comp_targetILNS1_3genE8ELNS1_11target_archE1030ELNS1_3gpuE2ELNS1_3repE0EEENS1_30default_config_static_selectorELNS0_4arch9wavefront6targetE0EEEvT1_.uses_flat_scratch, 0
	.set _ZN7rocprim17ROCPRIM_400000_NS6detail17trampoline_kernelINS0_14default_configENS1_25transform_config_selectorIhLb0EEEZNS1_14transform_implILb0ES3_S5_PhN6thrust23THRUST_200600_302600_NS6detail15normal_iteratorINS9_10device_ptrIhEEEENS0_8identityIhEEEE10hipError_tT2_T3_mT4_P12ihipStream_tbEUlT_E_NS1_11comp_targetILNS1_3genE8ELNS1_11target_archE1030ELNS1_3gpuE2ELNS1_3repE0EEENS1_30default_config_static_selectorELNS0_4arch9wavefront6targetE0EEEvT1_.has_dyn_sized_stack, 0
	.set _ZN7rocprim17ROCPRIM_400000_NS6detail17trampoline_kernelINS0_14default_configENS1_25transform_config_selectorIhLb0EEEZNS1_14transform_implILb0ES3_S5_PhN6thrust23THRUST_200600_302600_NS6detail15normal_iteratorINS9_10device_ptrIhEEEENS0_8identityIhEEEE10hipError_tT2_T3_mT4_P12ihipStream_tbEUlT_E_NS1_11comp_targetILNS1_3genE8ELNS1_11target_archE1030ELNS1_3gpuE2ELNS1_3repE0EEENS1_30default_config_static_selectorELNS0_4arch9wavefront6targetE0EEEvT1_.has_recursion, 0
	.set _ZN7rocprim17ROCPRIM_400000_NS6detail17trampoline_kernelINS0_14default_configENS1_25transform_config_selectorIhLb0EEEZNS1_14transform_implILb0ES3_S5_PhN6thrust23THRUST_200600_302600_NS6detail15normal_iteratorINS9_10device_ptrIhEEEENS0_8identityIhEEEE10hipError_tT2_T3_mT4_P12ihipStream_tbEUlT_E_NS1_11comp_targetILNS1_3genE8ELNS1_11target_archE1030ELNS1_3gpuE2ELNS1_3repE0EEENS1_30default_config_static_selectorELNS0_4arch9wavefront6targetE0EEEvT1_.has_indirect_call, 0
	.section	.AMDGPU.csdata,"",@progbits
; Kernel info:
; codeLenInByte = 404
; TotalNumSgprs: 18
; NumVgprs: 5
; ScratchSize: 0
; MemoryBound: 0
; FloatMode: 240
; IeeeMode: 1
; LDSByteSize: 0 bytes/workgroup (compile time only)
; SGPRBlocks: 0
; VGPRBlocks: 0
; NumSGPRsForWavesPerEU: 18
; NumVGPRsForWavesPerEU: 5
; Occupancy: 16
; WaveLimiterHint : 1
; COMPUTE_PGM_RSRC2:SCRATCH_EN: 0
; COMPUTE_PGM_RSRC2:USER_SGPR: 6
; COMPUTE_PGM_RSRC2:TRAP_HANDLER: 0
; COMPUTE_PGM_RSRC2:TGID_X_EN: 1
; COMPUTE_PGM_RSRC2:TGID_Y_EN: 0
; COMPUTE_PGM_RSRC2:TGID_Z_EN: 0
; COMPUTE_PGM_RSRC2:TIDIG_COMP_CNT: 0
	.section	.text._ZN7rocprim17ROCPRIM_400000_NS6detail17trampoline_kernelINS0_14default_configENS1_37merge_sort_block_sort_config_selectorIyNS0_10empty_typeEEEZNS1_21merge_sort_block_sortIS3_N6thrust23THRUST_200600_302600_NS6detail15normal_iteratorINS9_10device_ptrIyEEEESE_PS5_SF_9comp_mod3IyEEE10hipError_tT0_T1_T2_T3_mRjT4_P12ihipStream_tbNS1_7vsmem_tEEUlT_E_NS1_11comp_targetILNS1_3genE0ELNS1_11target_archE4294967295ELNS1_3gpuE0ELNS1_3repE0EEENS1_30default_config_static_selectorELNS0_4arch9wavefront6targetE0EEEvSK_,"axG",@progbits,_ZN7rocprim17ROCPRIM_400000_NS6detail17trampoline_kernelINS0_14default_configENS1_37merge_sort_block_sort_config_selectorIyNS0_10empty_typeEEEZNS1_21merge_sort_block_sortIS3_N6thrust23THRUST_200600_302600_NS6detail15normal_iteratorINS9_10device_ptrIyEEEESE_PS5_SF_9comp_mod3IyEEE10hipError_tT0_T1_T2_T3_mRjT4_P12ihipStream_tbNS1_7vsmem_tEEUlT_E_NS1_11comp_targetILNS1_3genE0ELNS1_11target_archE4294967295ELNS1_3gpuE0ELNS1_3repE0EEENS1_30default_config_static_selectorELNS0_4arch9wavefront6targetE0EEEvSK_,comdat
	.protected	_ZN7rocprim17ROCPRIM_400000_NS6detail17trampoline_kernelINS0_14default_configENS1_37merge_sort_block_sort_config_selectorIyNS0_10empty_typeEEEZNS1_21merge_sort_block_sortIS3_N6thrust23THRUST_200600_302600_NS6detail15normal_iteratorINS9_10device_ptrIyEEEESE_PS5_SF_9comp_mod3IyEEE10hipError_tT0_T1_T2_T3_mRjT4_P12ihipStream_tbNS1_7vsmem_tEEUlT_E_NS1_11comp_targetILNS1_3genE0ELNS1_11target_archE4294967295ELNS1_3gpuE0ELNS1_3repE0EEENS1_30default_config_static_selectorELNS0_4arch9wavefront6targetE0EEEvSK_ ; -- Begin function _ZN7rocprim17ROCPRIM_400000_NS6detail17trampoline_kernelINS0_14default_configENS1_37merge_sort_block_sort_config_selectorIyNS0_10empty_typeEEEZNS1_21merge_sort_block_sortIS3_N6thrust23THRUST_200600_302600_NS6detail15normal_iteratorINS9_10device_ptrIyEEEESE_PS5_SF_9comp_mod3IyEEE10hipError_tT0_T1_T2_T3_mRjT4_P12ihipStream_tbNS1_7vsmem_tEEUlT_E_NS1_11comp_targetILNS1_3genE0ELNS1_11target_archE4294967295ELNS1_3gpuE0ELNS1_3repE0EEENS1_30default_config_static_selectorELNS0_4arch9wavefront6targetE0EEEvSK_
	.globl	_ZN7rocprim17ROCPRIM_400000_NS6detail17trampoline_kernelINS0_14default_configENS1_37merge_sort_block_sort_config_selectorIyNS0_10empty_typeEEEZNS1_21merge_sort_block_sortIS3_N6thrust23THRUST_200600_302600_NS6detail15normal_iteratorINS9_10device_ptrIyEEEESE_PS5_SF_9comp_mod3IyEEE10hipError_tT0_T1_T2_T3_mRjT4_P12ihipStream_tbNS1_7vsmem_tEEUlT_E_NS1_11comp_targetILNS1_3genE0ELNS1_11target_archE4294967295ELNS1_3gpuE0ELNS1_3repE0EEENS1_30default_config_static_selectorELNS0_4arch9wavefront6targetE0EEEvSK_
	.p2align	8
	.type	_ZN7rocprim17ROCPRIM_400000_NS6detail17trampoline_kernelINS0_14default_configENS1_37merge_sort_block_sort_config_selectorIyNS0_10empty_typeEEEZNS1_21merge_sort_block_sortIS3_N6thrust23THRUST_200600_302600_NS6detail15normal_iteratorINS9_10device_ptrIyEEEESE_PS5_SF_9comp_mod3IyEEE10hipError_tT0_T1_T2_T3_mRjT4_P12ihipStream_tbNS1_7vsmem_tEEUlT_E_NS1_11comp_targetILNS1_3genE0ELNS1_11target_archE4294967295ELNS1_3gpuE0ELNS1_3repE0EEENS1_30default_config_static_selectorELNS0_4arch9wavefront6targetE0EEEvSK_,@function
_ZN7rocprim17ROCPRIM_400000_NS6detail17trampoline_kernelINS0_14default_configENS1_37merge_sort_block_sort_config_selectorIyNS0_10empty_typeEEEZNS1_21merge_sort_block_sortIS3_N6thrust23THRUST_200600_302600_NS6detail15normal_iteratorINS9_10device_ptrIyEEEESE_PS5_SF_9comp_mod3IyEEE10hipError_tT0_T1_T2_T3_mRjT4_P12ihipStream_tbNS1_7vsmem_tEEUlT_E_NS1_11comp_targetILNS1_3genE0ELNS1_11target_archE4294967295ELNS1_3gpuE0ELNS1_3repE0EEENS1_30default_config_static_selectorELNS0_4arch9wavefront6targetE0EEEvSK_: ; @_ZN7rocprim17ROCPRIM_400000_NS6detail17trampoline_kernelINS0_14default_configENS1_37merge_sort_block_sort_config_selectorIyNS0_10empty_typeEEEZNS1_21merge_sort_block_sortIS3_N6thrust23THRUST_200600_302600_NS6detail15normal_iteratorINS9_10device_ptrIyEEEESE_PS5_SF_9comp_mod3IyEEE10hipError_tT0_T1_T2_T3_mRjT4_P12ihipStream_tbNS1_7vsmem_tEEUlT_E_NS1_11comp_targetILNS1_3genE0ELNS1_11target_archE4294967295ELNS1_3gpuE0ELNS1_3repE0EEENS1_30default_config_static_selectorELNS0_4arch9wavefront6targetE0EEEvSK_
; %bb.0:
	.section	.rodata,"a",@progbits
	.p2align	6, 0x0
	.amdhsa_kernel _ZN7rocprim17ROCPRIM_400000_NS6detail17trampoline_kernelINS0_14default_configENS1_37merge_sort_block_sort_config_selectorIyNS0_10empty_typeEEEZNS1_21merge_sort_block_sortIS3_N6thrust23THRUST_200600_302600_NS6detail15normal_iteratorINS9_10device_ptrIyEEEESE_PS5_SF_9comp_mod3IyEEE10hipError_tT0_T1_T2_T3_mRjT4_P12ihipStream_tbNS1_7vsmem_tEEUlT_E_NS1_11comp_targetILNS1_3genE0ELNS1_11target_archE4294967295ELNS1_3gpuE0ELNS1_3repE0EEENS1_30default_config_static_selectorELNS0_4arch9wavefront6targetE0EEEvSK_
		.amdhsa_group_segment_fixed_size 0
		.amdhsa_private_segment_fixed_size 0
		.amdhsa_kernarg_size 64
		.amdhsa_user_sgpr_count 6
		.amdhsa_user_sgpr_private_segment_buffer 1
		.amdhsa_user_sgpr_dispatch_ptr 0
		.amdhsa_user_sgpr_queue_ptr 0
		.amdhsa_user_sgpr_kernarg_segment_ptr 1
		.amdhsa_user_sgpr_dispatch_id 0
		.amdhsa_user_sgpr_flat_scratch_init 0
		.amdhsa_user_sgpr_private_segment_size 0
		.amdhsa_wavefront_size32 1
		.amdhsa_uses_dynamic_stack 0
		.amdhsa_system_sgpr_private_segment_wavefront_offset 0
		.amdhsa_system_sgpr_workgroup_id_x 1
		.amdhsa_system_sgpr_workgroup_id_y 0
		.amdhsa_system_sgpr_workgroup_id_z 0
		.amdhsa_system_sgpr_workgroup_info 0
		.amdhsa_system_vgpr_workitem_id 0
		.amdhsa_next_free_vgpr 1
		.amdhsa_next_free_sgpr 1
		.amdhsa_reserve_vcc 0
		.amdhsa_reserve_flat_scratch 0
		.amdhsa_float_round_mode_32 0
		.amdhsa_float_round_mode_16_64 0
		.amdhsa_float_denorm_mode_32 3
		.amdhsa_float_denorm_mode_16_64 3
		.amdhsa_dx10_clamp 1
		.amdhsa_ieee_mode 1
		.amdhsa_fp16_overflow 0
		.amdhsa_workgroup_processor_mode 1
		.amdhsa_memory_ordered 1
		.amdhsa_forward_progress 1
		.amdhsa_shared_vgpr_count 0
		.amdhsa_exception_fp_ieee_invalid_op 0
		.amdhsa_exception_fp_denorm_src 0
		.amdhsa_exception_fp_ieee_div_zero 0
		.amdhsa_exception_fp_ieee_overflow 0
		.amdhsa_exception_fp_ieee_underflow 0
		.amdhsa_exception_fp_ieee_inexact 0
		.amdhsa_exception_int_div_zero 0
	.end_amdhsa_kernel
	.section	.text._ZN7rocprim17ROCPRIM_400000_NS6detail17trampoline_kernelINS0_14default_configENS1_37merge_sort_block_sort_config_selectorIyNS0_10empty_typeEEEZNS1_21merge_sort_block_sortIS3_N6thrust23THRUST_200600_302600_NS6detail15normal_iteratorINS9_10device_ptrIyEEEESE_PS5_SF_9comp_mod3IyEEE10hipError_tT0_T1_T2_T3_mRjT4_P12ihipStream_tbNS1_7vsmem_tEEUlT_E_NS1_11comp_targetILNS1_3genE0ELNS1_11target_archE4294967295ELNS1_3gpuE0ELNS1_3repE0EEENS1_30default_config_static_selectorELNS0_4arch9wavefront6targetE0EEEvSK_,"axG",@progbits,_ZN7rocprim17ROCPRIM_400000_NS6detail17trampoline_kernelINS0_14default_configENS1_37merge_sort_block_sort_config_selectorIyNS0_10empty_typeEEEZNS1_21merge_sort_block_sortIS3_N6thrust23THRUST_200600_302600_NS6detail15normal_iteratorINS9_10device_ptrIyEEEESE_PS5_SF_9comp_mod3IyEEE10hipError_tT0_T1_T2_T3_mRjT4_P12ihipStream_tbNS1_7vsmem_tEEUlT_E_NS1_11comp_targetILNS1_3genE0ELNS1_11target_archE4294967295ELNS1_3gpuE0ELNS1_3repE0EEENS1_30default_config_static_selectorELNS0_4arch9wavefront6targetE0EEEvSK_,comdat
.Lfunc_end750:
	.size	_ZN7rocprim17ROCPRIM_400000_NS6detail17trampoline_kernelINS0_14default_configENS1_37merge_sort_block_sort_config_selectorIyNS0_10empty_typeEEEZNS1_21merge_sort_block_sortIS3_N6thrust23THRUST_200600_302600_NS6detail15normal_iteratorINS9_10device_ptrIyEEEESE_PS5_SF_9comp_mod3IyEEE10hipError_tT0_T1_T2_T3_mRjT4_P12ihipStream_tbNS1_7vsmem_tEEUlT_E_NS1_11comp_targetILNS1_3genE0ELNS1_11target_archE4294967295ELNS1_3gpuE0ELNS1_3repE0EEENS1_30default_config_static_selectorELNS0_4arch9wavefront6targetE0EEEvSK_, .Lfunc_end750-_ZN7rocprim17ROCPRIM_400000_NS6detail17trampoline_kernelINS0_14default_configENS1_37merge_sort_block_sort_config_selectorIyNS0_10empty_typeEEEZNS1_21merge_sort_block_sortIS3_N6thrust23THRUST_200600_302600_NS6detail15normal_iteratorINS9_10device_ptrIyEEEESE_PS5_SF_9comp_mod3IyEEE10hipError_tT0_T1_T2_T3_mRjT4_P12ihipStream_tbNS1_7vsmem_tEEUlT_E_NS1_11comp_targetILNS1_3genE0ELNS1_11target_archE4294967295ELNS1_3gpuE0ELNS1_3repE0EEENS1_30default_config_static_selectorELNS0_4arch9wavefront6targetE0EEEvSK_
                                        ; -- End function
	.set _ZN7rocprim17ROCPRIM_400000_NS6detail17trampoline_kernelINS0_14default_configENS1_37merge_sort_block_sort_config_selectorIyNS0_10empty_typeEEEZNS1_21merge_sort_block_sortIS3_N6thrust23THRUST_200600_302600_NS6detail15normal_iteratorINS9_10device_ptrIyEEEESE_PS5_SF_9comp_mod3IyEEE10hipError_tT0_T1_T2_T3_mRjT4_P12ihipStream_tbNS1_7vsmem_tEEUlT_E_NS1_11comp_targetILNS1_3genE0ELNS1_11target_archE4294967295ELNS1_3gpuE0ELNS1_3repE0EEENS1_30default_config_static_selectorELNS0_4arch9wavefront6targetE0EEEvSK_.num_vgpr, 0
	.set _ZN7rocprim17ROCPRIM_400000_NS6detail17trampoline_kernelINS0_14default_configENS1_37merge_sort_block_sort_config_selectorIyNS0_10empty_typeEEEZNS1_21merge_sort_block_sortIS3_N6thrust23THRUST_200600_302600_NS6detail15normal_iteratorINS9_10device_ptrIyEEEESE_PS5_SF_9comp_mod3IyEEE10hipError_tT0_T1_T2_T3_mRjT4_P12ihipStream_tbNS1_7vsmem_tEEUlT_E_NS1_11comp_targetILNS1_3genE0ELNS1_11target_archE4294967295ELNS1_3gpuE0ELNS1_3repE0EEENS1_30default_config_static_selectorELNS0_4arch9wavefront6targetE0EEEvSK_.num_agpr, 0
	.set _ZN7rocprim17ROCPRIM_400000_NS6detail17trampoline_kernelINS0_14default_configENS1_37merge_sort_block_sort_config_selectorIyNS0_10empty_typeEEEZNS1_21merge_sort_block_sortIS3_N6thrust23THRUST_200600_302600_NS6detail15normal_iteratorINS9_10device_ptrIyEEEESE_PS5_SF_9comp_mod3IyEEE10hipError_tT0_T1_T2_T3_mRjT4_P12ihipStream_tbNS1_7vsmem_tEEUlT_E_NS1_11comp_targetILNS1_3genE0ELNS1_11target_archE4294967295ELNS1_3gpuE0ELNS1_3repE0EEENS1_30default_config_static_selectorELNS0_4arch9wavefront6targetE0EEEvSK_.numbered_sgpr, 0
	.set _ZN7rocprim17ROCPRIM_400000_NS6detail17trampoline_kernelINS0_14default_configENS1_37merge_sort_block_sort_config_selectorIyNS0_10empty_typeEEEZNS1_21merge_sort_block_sortIS3_N6thrust23THRUST_200600_302600_NS6detail15normal_iteratorINS9_10device_ptrIyEEEESE_PS5_SF_9comp_mod3IyEEE10hipError_tT0_T1_T2_T3_mRjT4_P12ihipStream_tbNS1_7vsmem_tEEUlT_E_NS1_11comp_targetILNS1_3genE0ELNS1_11target_archE4294967295ELNS1_3gpuE0ELNS1_3repE0EEENS1_30default_config_static_selectorELNS0_4arch9wavefront6targetE0EEEvSK_.num_named_barrier, 0
	.set _ZN7rocprim17ROCPRIM_400000_NS6detail17trampoline_kernelINS0_14default_configENS1_37merge_sort_block_sort_config_selectorIyNS0_10empty_typeEEEZNS1_21merge_sort_block_sortIS3_N6thrust23THRUST_200600_302600_NS6detail15normal_iteratorINS9_10device_ptrIyEEEESE_PS5_SF_9comp_mod3IyEEE10hipError_tT0_T1_T2_T3_mRjT4_P12ihipStream_tbNS1_7vsmem_tEEUlT_E_NS1_11comp_targetILNS1_3genE0ELNS1_11target_archE4294967295ELNS1_3gpuE0ELNS1_3repE0EEENS1_30default_config_static_selectorELNS0_4arch9wavefront6targetE0EEEvSK_.private_seg_size, 0
	.set _ZN7rocprim17ROCPRIM_400000_NS6detail17trampoline_kernelINS0_14default_configENS1_37merge_sort_block_sort_config_selectorIyNS0_10empty_typeEEEZNS1_21merge_sort_block_sortIS3_N6thrust23THRUST_200600_302600_NS6detail15normal_iteratorINS9_10device_ptrIyEEEESE_PS5_SF_9comp_mod3IyEEE10hipError_tT0_T1_T2_T3_mRjT4_P12ihipStream_tbNS1_7vsmem_tEEUlT_E_NS1_11comp_targetILNS1_3genE0ELNS1_11target_archE4294967295ELNS1_3gpuE0ELNS1_3repE0EEENS1_30default_config_static_selectorELNS0_4arch9wavefront6targetE0EEEvSK_.uses_vcc, 0
	.set _ZN7rocprim17ROCPRIM_400000_NS6detail17trampoline_kernelINS0_14default_configENS1_37merge_sort_block_sort_config_selectorIyNS0_10empty_typeEEEZNS1_21merge_sort_block_sortIS3_N6thrust23THRUST_200600_302600_NS6detail15normal_iteratorINS9_10device_ptrIyEEEESE_PS5_SF_9comp_mod3IyEEE10hipError_tT0_T1_T2_T3_mRjT4_P12ihipStream_tbNS1_7vsmem_tEEUlT_E_NS1_11comp_targetILNS1_3genE0ELNS1_11target_archE4294967295ELNS1_3gpuE0ELNS1_3repE0EEENS1_30default_config_static_selectorELNS0_4arch9wavefront6targetE0EEEvSK_.uses_flat_scratch, 0
	.set _ZN7rocprim17ROCPRIM_400000_NS6detail17trampoline_kernelINS0_14default_configENS1_37merge_sort_block_sort_config_selectorIyNS0_10empty_typeEEEZNS1_21merge_sort_block_sortIS3_N6thrust23THRUST_200600_302600_NS6detail15normal_iteratorINS9_10device_ptrIyEEEESE_PS5_SF_9comp_mod3IyEEE10hipError_tT0_T1_T2_T3_mRjT4_P12ihipStream_tbNS1_7vsmem_tEEUlT_E_NS1_11comp_targetILNS1_3genE0ELNS1_11target_archE4294967295ELNS1_3gpuE0ELNS1_3repE0EEENS1_30default_config_static_selectorELNS0_4arch9wavefront6targetE0EEEvSK_.has_dyn_sized_stack, 0
	.set _ZN7rocprim17ROCPRIM_400000_NS6detail17trampoline_kernelINS0_14default_configENS1_37merge_sort_block_sort_config_selectorIyNS0_10empty_typeEEEZNS1_21merge_sort_block_sortIS3_N6thrust23THRUST_200600_302600_NS6detail15normal_iteratorINS9_10device_ptrIyEEEESE_PS5_SF_9comp_mod3IyEEE10hipError_tT0_T1_T2_T3_mRjT4_P12ihipStream_tbNS1_7vsmem_tEEUlT_E_NS1_11comp_targetILNS1_3genE0ELNS1_11target_archE4294967295ELNS1_3gpuE0ELNS1_3repE0EEENS1_30default_config_static_selectorELNS0_4arch9wavefront6targetE0EEEvSK_.has_recursion, 0
	.set _ZN7rocprim17ROCPRIM_400000_NS6detail17trampoline_kernelINS0_14default_configENS1_37merge_sort_block_sort_config_selectorIyNS0_10empty_typeEEEZNS1_21merge_sort_block_sortIS3_N6thrust23THRUST_200600_302600_NS6detail15normal_iteratorINS9_10device_ptrIyEEEESE_PS5_SF_9comp_mod3IyEEE10hipError_tT0_T1_T2_T3_mRjT4_P12ihipStream_tbNS1_7vsmem_tEEUlT_E_NS1_11comp_targetILNS1_3genE0ELNS1_11target_archE4294967295ELNS1_3gpuE0ELNS1_3repE0EEENS1_30default_config_static_selectorELNS0_4arch9wavefront6targetE0EEEvSK_.has_indirect_call, 0
	.section	.AMDGPU.csdata,"",@progbits
; Kernel info:
; codeLenInByte = 0
; TotalNumSgprs: 0
; NumVgprs: 0
; ScratchSize: 0
; MemoryBound: 0
; FloatMode: 240
; IeeeMode: 1
; LDSByteSize: 0 bytes/workgroup (compile time only)
; SGPRBlocks: 0
; VGPRBlocks: 0
; NumSGPRsForWavesPerEU: 1
; NumVGPRsForWavesPerEU: 1
; Occupancy: 16
; WaveLimiterHint : 0
; COMPUTE_PGM_RSRC2:SCRATCH_EN: 0
; COMPUTE_PGM_RSRC2:USER_SGPR: 6
; COMPUTE_PGM_RSRC2:TRAP_HANDLER: 0
; COMPUTE_PGM_RSRC2:TGID_X_EN: 1
; COMPUTE_PGM_RSRC2:TGID_Y_EN: 0
; COMPUTE_PGM_RSRC2:TGID_Z_EN: 0
; COMPUTE_PGM_RSRC2:TIDIG_COMP_CNT: 0
	.section	.text._ZN7rocprim17ROCPRIM_400000_NS6detail17trampoline_kernelINS0_14default_configENS1_37merge_sort_block_sort_config_selectorIyNS0_10empty_typeEEEZNS1_21merge_sort_block_sortIS3_N6thrust23THRUST_200600_302600_NS6detail15normal_iteratorINS9_10device_ptrIyEEEESE_PS5_SF_9comp_mod3IyEEE10hipError_tT0_T1_T2_T3_mRjT4_P12ihipStream_tbNS1_7vsmem_tEEUlT_E_NS1_11comp_targetILNS1_3genE5ELNS1_11target_archE942ELNS1_3gpuE9ELNS1_3repE0EEENS1_30default_config_static_selectorELNS0_4arch9wavefront6targetE0EEEvSK_,"axG",@progbits,_ZN7rocprim17ROCPRIM_400000_NS6detail17trampoline_kernelINS0_14default_configENS1_37merge_sort_block_sort_config_selectorIyNS0_10empty_typeEEEZNS1_21merge_sort_block_sortIS3_N6thrust23THRUST_200600_302600_NS6detail15normal_iteratorINS9_10device_ptrIyEEEESE_PS5_SF_9comp_mod3IyEEE10hipError_tT0_T1_T2_T3_mRjT4_P12ihipStream_tbNS1_7vsmem_tEEUlT_E_NS1_11comp_targetILNS1_3genE5ELNS1_11target_archE942ELNS1_3gpuE9ELNS1_3repE0EEENS1_30default_config_static_selectorELNS0_4arch9wavefront6targetE0EEEvSK_,comdat
	.protected	_ZN7rocprim17ROCPRIM_400000_NS6detail17trampoline_kernelINS0_14default_configENS1_37merge_sort_block_sort_config_selectorIyNS0_10empty_typeEEEZNS1_21merge_sort_block_sortIS3_N6thrust23THRUST_200600_302600_NS6detail15normal_iteratorINS9_10device_ptrIyEEEESE_PS5_SF_9comp_mod3IyEEE10hipError_tT0_T1_T2_T3_mRjT4_P12ihipStream_tbNS1_7vsmem_tEEUlT_E_NS1_11comp_targetILNS1_3genE5ELNS1_11target_archE942ELNS1_3gpuE9ELNS1_3repE0EEENS1_30default_config_static_selectorELNS0_4arch9wavefront6targetE0EEEvSK_ ; -- Begin function _ZN7rocprim17ROCPRIM_400000_NS6detail17trampoline_kernelINS0_14default_configENS1_37merge_sort_block_sort_config_selectorIyNS0_10empty_typeEEEZNS1_21merge_sort_block_sortIS3_N6thrust23THRUST_200600_302600_NS6detail15normal_iteratorINS9_10device_ptrIyEEEESE_PS5_SF_9comp_mod3IyEEE10hipError_tT0_T1_T2_T3_mRjT4_P12ihipStream_tbNS1_7vsmem_tEEUlT_E_NS1_11comp_targetILNS1_3genE5ELNS1_11target_archE942ELNS1_3gpuE9ELNS1_3repE0EEENS1_30default_config_static_selectorELNS0_4arch9wavefront6targetE0EEEvSK_
	.globl	_ZN7rocprim17ROCPRIM_400000_NS6detail17trampoline_kernelINS0_14default_configENS1_37merge_sort_block_sort_config_selectorIyNS0_10empty_typeEEEZNS1_21merge_sort_block_sortIS3_N6thrust23THRUST_200600_302600_NS6detail15normal_iteratorINS9_10device_ptrIyEEEESE_PS5_SF_9comp_mod3IyEEE10hipError_tT0_T1_T2_T3_mRjT4_P12ihipStream_tbNS1_7vsmem_tEEUlT_E_NS1_11comp_targetILNS1_3genE5ELNS1_11target_archE942ELNS1_3gpuE9ELNS1_3repE0EEENS1_30default_config_static_selectorELNS0_4arch9wavefront6targetE0EEEvSK_
	.p2align	8
	.type	_ZN7rocprim17ROCPRIM_400000_NS6detail17trampoline_kernelINS0_14default_configENS1_37merge_sort_block_sort_config_selectorIyNS0_10empty_typeEEEZNS1_21merge_sort_block_sortIS3_N6thrust23THRUST_200600_302600_NS6detail15normal_iteratorINS9_10device_ptrIyEEEESE_PS5_SF_9comp_mod3IyEEE10hipError_tT0_T1_T2_T3_mRjT4_P12ihipStream_tbNS1_7vsmem_tEEUlT_E_NS1_11comp_targetILNS1_3genE5ELNS1_11target_archE942ELNS1_3gpuE9ELNS1_3repE0EEENS1_30default_config_static_selectorELNS0_4arch9wavefront6targetE0EEEvSK_,@function
_ZN7rocprim17ROCPRIM_400000_NS6detail17trampoline_kernelINS0_14default_configENS1_37merge_sort_block_sort_config_selectorIyNS0_10empty_typeEEEZNS1_21merge_sort_block_sortIS3_N6thrust23THRUST_200600_302600_NS6detail15normal_iteratorINS9_10device_ptrIyEEEESE_PS5_SF_9comp_mod3IyEEE10hipError_tT0_T1_T2_T3_mRjT4_P12ihipStream_tbNS1_7vsmem_tEEUlT_E_NS1_11comp_targetILNS1_3genE5ELNS1_11target_archE942ELNS1_3gpuE9ELNS1_3repE0EEENS1_30default_config_static_selectorELNS0_4arch9wavefront6targetE0EEEvSK_: ; @_ZN7rocprim17ROCPRIM_400000_NS6detail17trampoline_kernelINS0_14default_configENS1_37merge_sort_block_sort_config_selectorIyNS0_10empty_typeEEEZNS1_21merge_sort_block_sortIS3_N6thrust23THRUST_200600_302600_NS6detail15normal_iteratorINS9_10device_ptrIyEEEESE_PS5_SF_9comp_mod3IyEEE10hipError_tT0_T1_T2_T3_mRjT4_P12ihipStream_tbNS1_7vsmem_tEEUlT_E_NS1_11comp_targetILNS1_3genE5ELNS1_11target_archE942ELNS1_3gpuE9ELNS1_3repE0EEENS1_30default_config_static_selectorELNS0_4arch9wavefront6targetE0EEEvSK_
; %bb.0:
	.section	.rodata,"a",@progbits
	.p2align	6, 0x0
	.amdhsa_kernel _ZN7rocprim17ROCPRIM_400000_NS6detail17trampoline_kernelINS0_14default_configENS1_37merge_sort_block_sort_config_selectorIyNS0_10empty_typeEEEZNS1_21merge_sort_block_sortIS3_N6thrust23THRUST_200600_302600_NS6detail15normal_iteratorINS9_10device_ptrIyEEEESE_PS5_SF_9comp_mod3IyEEE10hipError_tT0_T1_T2_T3_mRjT4_P12ihipStream_tbNS1_7vsmem_tEEUlT_E_NS1_11comp_targetILNS1_3genE5ELNS1_11target_archE942ELNS1_3gpuE9ELNS1_3repE0EEENS1_30default_config_static_selectorELNS0_4arch9wavefront6targetE0EEEvSK_
		.amdhsa_group_segment_fixed_size 0
		.amdhsa_private_segment_fixed_size 0
		.amdhsa_kernarg_size 64
		.amdhsa_user_sgpr_count 6
		.amdhsa_user_sgpr_private_segment_buffer 1
		.amdhsa_user_sgpr_dispatch_ptr 0
		.amdhsa_user_sgpr_queue_ptr 0
		.amdhsa_user_sgpr_kernarg_segment_ptr 1
		.amdhsa_user_sgpr_dispatch_id 0
		.amdhsa_user_sgpr_flat_scratch_init 0
		.amdhsa_user_sgpr_private_segment_size 0
		.amdhsa_wavefront_size32 1
		.amdhsa_uses_dynamic_stack 0
		.amdhsa_system_sgpr_private_segment_wavefront_offset 0
		.amdhsa_system_sgpr_workgroup_id_x 1
		.amdhsa_system_sgpr_workgroup_id_y 0
		.amdhsa_system_sgpr_workgroup_id_z 0
		.amdhsa_system_sgpr_workgroup_info 0
		.amdhsa_system_vgpr_workitem_id 0
		.amdhsa_next_free_vgpr 1
		.amdhsa_next_free_sgpr 1
		.amdhsa_reserve_vcc 0
		.amdhsa_reserve_flat_scratch 0
		.amdhsa_float_round_mode_32 0
		.amdhsa_float_round_mode_16_64 0
		.amdhsa_float_denorm_mode_32 3
		.amdhsa_float_denorm_mode_16_64 3
		.amdhsa_dx10_clamp 1
		.amdhsa_ieee_mode 1
		.amdhsa_fp16_overflow 0
		.amdhsa_workgroup_processor_mode 1
		.amdhsa_memory_ordered 1
		.amdhsa_forward_progress 1
		.amdhsa_shared_vgpr_count 0
		.amdhsa_exception_fp_ieee_invalid_op 0
		.amdhsa_exception_fp_denorm_src 0
		.amdhsa_exception_fp_ieee_div_zero 0
		.amdhsa_exception_fp_ieee_overflow 0
		.amdhsa_exception_fp_ieee_underflow 0
		.amdhsa_exception_fp_ieee_inexact 0
		.amdhsa_exception_int_div_zero 0
	.end_amdhsa_kernel
	.section	.text._ZN7rocprim17ROCPRIM_400000_NS6detail17trampoline_kernelINS0_14default_configENS1_37merge_sort_block_sort_config_selectorIyNS0_10empty_typeEEEZNS1_21merge_sort_block_sortIS3_N6thrust23THRUST_200600_302600_NS6detail15normal_iteratorINS9_10device_ptrIyEEEESE_PS5_SF_9comp_mod3IyEEE10hipError_tT0_T1_T2_T3_mRjT4_P12ihipStream_tbNS1_7vsmem_tEEUlT_E_NS1_11comp_targetILNS1_3genE5ELNS1_11target_archE942ELNS1_3gpuE9ELNS1_3repE0EEENS1_30default_config_static_selectorELNS0_4arch9wavefront6targetE0EEEvSK_,"axG",@progbits,_ZN7rocprim17ROCPRIM_400000_NS6detail17trampoline_kernelINS0_14default_configENS1_37merge_sort_block_sort_config_selectorIyNS0_10empty_typeEEEZNS1_21merge_sort_block_sortIS3_N6thrust23THRUST_200600_302600_NS6detail15normal_iteratorINS9_10device_ptrIyEEEESE_PS5_SF_9comp_mod3IyEEE10hipError_tT0_T1_T2_T3_mRjT4_P12ihipStream_tbNS1_7vsmem_tEEUlT_E_NS1_11comp_targetILNS1_3genE5ELNS1_11target_archE942ELNS1_3gpuE9ELNS1_3repE0EEENS1_30default_config_static_selectorELNS0_4arch9wavefront6targetE0EEEvSK_,comdat
.Lfunc_end751:
	.size	_ZN7rocprim17ROCPRIM_400000_NS6detail17trampoline_kernelINS0_14default_configENS1_37merge_sort_block_sort_config_selectorIyNS0_10empty_typeEEEZNS1_21merge_sort_block_sortIS3_N6thrust23THRUST_200600_302600_NS6detail15normal_iteratorINS9_10device_ptrIyEEEESE_PS5_SF_9comp_mod3IyEEE10hipError_tT0_T1_T2_T3_mRjT4_P12ihipStream_tbNS1_7vsmem_tEEUlT_E_NS1_11comp_targetILNS1_3genE5ELNS1_11target_archE942ELNS1_3gpuE9ELNS1_3repE0EEENS1_30default_config_static_selectorELNS0_4arch9wavefront6targetE0EEEvSK_, .Lfunc_end751-_ZN7rocprim17ROCPRIM_400000_NS6detail17trampoline_kernelINS0_14default_configENS1_37merge_sort_block_sort_config_selectorIyNS0_10empty_typeEEEZNS1_21merge_sort_block_sortIS3_N6thrust23THRUST_200600_302600_NS6detail15normal_iteratorINS9_10device_ptrIyEEEESE_PS5_SF_9comp_mod3IyEEE10hipError_tT0_T1_T2_T3_mRjT4_P12ihipStream_tbNS1_7vsmem_tEEUlT_E_NS1_11comp_targetILNS1_3genE5ELNS1_11target_archE942ELNS1_3gpuE9ELNS1_3repE0EEENS1_30default_config_static_selectorELNS0_4arch9wavefront6targetE0EEEvSK_
                                        ; -- End function
	.set _ZN7rocprim17ROCPRIM_400000_NS6detail17trampoline_kernelINS0_14default_configENS1_37merge_sort_block_sort_config_selectorIyNS0_10empty_typeEEEZNS1_21merge_sort_block_sortIS3_N6thrust23THRUST_200600_302600_NS6detail15normal_iteratorINS9_10device_ptrIyEEEESE_PS5_SF_9comp_mod3IyEEE10hipError_tT0_T1_T2_T3_mRjT4_P12ihipStream_tbNS1_7vsmem_tEEUlT_E_NS1_11comp_targetILNS1_3genE5ELNS1_11target_archE942ELNS1_3gpuE9ELNS1_3repE0EEENS1_30default_config_static_selectorELNS0_4arch9wavefront6targetE0EEEvSK_.num_vgpr, 0
	.set _ZN7rocprim17ROCPRIM_400000_NS6detail17trampoline_kernelINS0_14default_configENS1_37merge_sort_block_sort_config_selectorIyNS0_10empty_typeEEEZNS1_21merge_sort_block_sortIS3_N6thrust23THRUST_200600_302600_NS6detail15normal_iteratorINS9_10device_ptrIyEEEESE_PS5_SF_9comp_mod3IyEEE10hipError_tT0_T1_T2_T3_mRjT4_P12ihipStream_tbNS1_7vsmem_tEEUlT_E_NS1_11comp_targetILNS1_3genE5ELNS1_11target_archE942ELNS1_3gpuE9ELNS1_3repE0EEENS1_30default_config_static_selectorELNS0_4arch9wavefront6targetE0EEEvSK_.num_agpr, 0
	.set _ZN7rocprim17ROCPRIM_400000_NS6detail17trampoline_kernelINS0_14default_configENS1_37merge_sort_block_sort_config_selectorIyNS0_10empty_typeEEEZNS1_21merge_sort_block_sortIS3_N6thrust23THRUST_200600_302600_NS6detail15normal_iteratorINS9_10device_ptrIyEEEESE_PS5_SF_9comp_mod3IyEEE10hipError_tT0_T1_T2_T3_mRjT4_P12ihipStream_tbNS1_7vsmem_tEEUlT_E_NS1_11comp_targetILNS1_3genE5ELNS1_11target_archE942ELNS1_3gpuE9ELNS1_3repE0EEENS1_30default_config_static_selectorELNS0_4arch9wavefront6targetE0EEEvSK_.numbered_sgpr, 0
	.set _ZN7rocprim17ROCPRIM_400000_NS6detail17trampoline_kernelINS0_14default_configENS1_37merge_sort_block_sort_config_selectorIyNS0_10empty_typeEEEZNS1_21merge_sort_block_sortIS3_N6thrust23THRUST_200600_302600_NS6detail15normal_iteratorINS9_10device_ptrIyEEEESE_PS5_SF_9comp_mod3IyEEE10hipError_tT0_T1_T2_T3_mRjT4_P12ihipStream_tbNS1_7vsmem_tEEUlT_E_NS1_11comp_targetILNS1_3genE5ELNS1_11target_archE942ELNS1_3gpuE9ELNS1_3repE0EEENS1_30default_config_static_selectorELNS0_4arch9wavefront6targetE0EEEvSK_.num_named_barrier, 0
	.set _ZN7rocprim17ROCPRIM_400000_NS6detail17trampoline_kernelINS0_14default_configENS1_37merge_sort_block_sort_config_selectorIyNS0_10empty_typeEEEZNS1_21merge_sort_block_sortIS3_N6thrust23THRUST_200600_302600_NS6detail15normal_iteratorINS9_10device_ptrIyEEEESE_PS5_SF_9comp_mod3IyEEE10hipError_tT0_T1_T2_T3_mRjT4_P12ihipStream_tbNS1_7vsmem_tEEUlT_E_NS1_11comp_targetILNS1_3genE5ELNS1_11target_archE942ELNS1_3gpuE9ELNS1_3repE0EEENS1_30default_config_static_selectorELNS0_4arch9wavefront6targetE0EEEvSK_.private_seg_size, 0
	.set _ZN7rocprim17ROCPRIM_400000_NS6detail17trampoline_kernelINS0_14default_configENS1_37merge_sort_block_sort_config_selectorIyNS0_10empty_typeEEEZNS1_21merge_sort_block_sortIS3_N6thrust23THRUST_200600_302600_NS6detail15normal_iteratorINS9_10device_ptrIyEEEESE_PS5_SF_9comp_mod3IyEEE10hipError_tT0_T1_T2_T3_mRjT4_P12ihipStream_tbNS1_7vsmem_tEEUlT_E_NS1_11comp_targetILNS1_3genE5ELNS1_11target_archE942ELNS1_3gpuE9ELNS1_3repE0EEENS1_30default_config_static_selectorELNS0_4arch9wavefront6targetE0EEEvSK_.uses_vcc, 0
	.set _ZN7rocprim17ROCPRIM_400000_NS6detail17trampoline_kernelINS0_14default_configENS1_37merge_sort_block_sort_config_selectorIyNS0_10empty_typeEEEZNS1_21merge_sort_block_sortIS3_N6thrust23THRUST_200600_302600_NS6detail15normal_iteratorINS9_10device_ptrIyEEEESE_PS5_SF_9comp_mod3IyEEE10hipError_tT0_T1_T2_T3_mRjT4_P12ihipStream_tbNS1_7vsmem_tEEUlT_E_NS1_11comp_targetILNS1_3genE5ELNS1_11target_archE942ELNS1_3gpuE9ELNS1_3repE0EEENS1_30default_config_static_selectorELNS0_4arch9wavefront6targetE0EEEvSK_.uses_flat_scratch, 0
	.set _ZN7rocprim17ROCPRIM_400000_NS6detail17trampoline_kernelINS0_14default_configENS1_37merge_sort_block_sort_config_selectorIyNS0_10empty_typeEEEZNS1_21merge_sort_block_sortIS3_N6thrust23THRUST_200600_302600_NS6detail15normal_iteratorINS9_10device_ptrIyEEEESE_PS5_SF_9comp_mod3IyEEE10hipError_tT0_T1_T2_T3_mRjT4_P12ihipStream_tbNS1_7vsmem_tEEUlT_E_NS1_11comp_targetILNS1_3genE5ELNS1_11target_archE942ELNS1_3gpuE9ELNS1_3repE0EEENS1_30default_config_static_selectorELNS0_4arch9wavefront6targetE0EEEvSK_.has_dyn_sized_stack, 0
	.set _ZN7rocprim17ROCPRIM_400000_NS6detail17trampoline_kernelINS0_14default_configENS1_37merge_sort_block_sort_config_selectorIyNS0_10empty_typeEEEZNS1_21merge_sort_block_sortIS3_N6thrust23THRUST_200600_302600_NS6detail15normal_iteratorINS9_10device_ptrIyEEEESE_PS5_SF_9comp_mod3IyEEE10hipError_tT0_T1_T2_T3_mRjT4_P12ihipStream_tbNS1_7vsmem_tEEUlT_E_NS1_11comp_targetILNS1_3genE5ELNS1_11target_archE942ELNS1_3gpuE9ELNS1_3repE0EEENS1_30default_config_static_selectorELNS0_4arch9wavefront6targetE0EEEvSK_.has_recursion, 0
	.set _ZN7rocprim17ROCPRIM_400000_NS6detail17trampoline_kernelINS0_14default_configENS1_37merge_sort_block_sort_config_selectorIyNS0_10empty_typeEEEZNS1_21merge_sort_block_sortIS3_N6thrust23THRUST_200600_302600_NS6detail15normal_iteratorINS9_10device_ptrIyEEEESE_PS5_SF_9comp_mod3IyEEE10hipError_tT0_T1_T2_T3_mRjT4_P12ihipStream_tbNS1_7vsmem_tEEUlT_E_NS1_11comp_targetILNS1_3genE5ELNS1_11target_archE942ELNS1_3gpuE9ELNS1_3repE0EEENS1_30default_config_static_selectorELNS0_4arch9wavefront6targetE0EEEvSK_.has_indirect_call, 0
	.section	.AMDGPU.csdata,"",@progbits
; Kernel info:
; codeLenInByte = 0
; TotalNumSgprs: 0
; NumVgprs: 0
; ScratchSize: 0
; MemoryBound: 0
; FloatMode: 240
; IeeeMode: 1
; LDSByteSize: 0 bytes/workgroup (compile time only)
; SGPRBlocks: 0
; VGPRBlocks: 0
; NumSGPRsForWavesPerEU: 1
; NumVGPRsForWavesPerEU: 1
; Occupancy: 16
; WaveLimiterHint : 0
; COMPUTE_PGM_RSRC2:SCRATCH_EN: 0
; COMPUTE_PGM_RSRC2:USER_SGPR: 6
; COMPUTE_PGM_RSRC2:TRAP_HANDLER: 0
; COMPUTE_PGM_RSRC2:TGID_X_EN: 1
; COMPUTE_PGM_RSRC2:TGID_Y_EN: 0
; COMPUTE_PGM_RSRC2:TGID_Z_EN: 0
; COMPUTE_PGM_RSRC2:TIDIG_COMP_CNT: 0
	.section	.text._ZN7rocprim17ROCPRIM_400000_NS6detail17trampoline_kernelINS0_14default_configENS1_37merge_sort_block_sort_config_selectorIyNS0_10empty_typeEEEZNS1_21merge_sort_block_sortIS3_N6thrust23THRUST_200600_302600_NS6detail15normal_iteratorINS9_10device_ptrIyEEEESE_PS5_SF_9comp_mod3IyEEE10hipError_tT0_T1_T2_T3_mRjT4_P12ihipStream_tbNS1_7vsmem_tEEUlT_E_NS1_11comp_targetILNS1_3genE4ELNS1_11target_archE910ELNS1_3gpuE8ELNS1_3repE0EEENS1_30default_config_static_selectorELNS0_4arch9wavefront6targetE0EEEvSK_,"axG",@progbits,_ZN7rocprim17ROCPRIM_400000_NS6detail17trampoline_kernelINS0_14default_configENS1_37merge_sort_block_sort_config_selectorIyNS0_10empty_typeEEEZNS1_21merge_sort_block_sortIS3_N6thrust23THRUST_200600_302600_NS6detail15normal_iteratorINS9_10device_ptrIyEEEESE_PS5_SF_9comp_mod3IyEEE10hipError_tT0_T1_T2_T3_mRjT4_P12ihipStream_tbNS1_7vsmem_tEEUlT_E_NS1_11comp_targetILNS1_3genE4ELNS1_11target_archE910ELNS1_3gpuE8ELNS1_3repE0EEENS1_30default_config_static_selectorELNS0_4arch9wavefront6targetE0EEEvSK_,comdat
	.protected	_ZN7rocprim17ROCPRIM_400000_NS6detail17trampoline_kernelINS0_14default_configENS1_37merge_sort_block_sort_config_selectorIyNS0_10empty_typeEEEZNS1_21merge_sort_block_sortIS3_N6thrust23THRUST_200600_302600_NS6detail15normal_iteratorINS9_10device_ptrIyEEEESE_PS5_SF_9comp_mod3IyEEE10hipError_tT0_T1_T2_T3_mRjT4_P12ihipStream_tbNS1_7vsmem_tEEUlT_E_NS1_11comp_targetILNS1_3genE4ELNS1_11target_archE910ELNS1_3gpuE8ELNS1_3repE0EEENS1_30default_config_static_selectorELNS0_4arch9wavefront6targetE0EEEvSK_ ; -- Begin function _ZN7rocprim17ROCPRIM_400000_NS6detail17trampoline_kernelINS0_14default_configENS1_37merge_sort_block_sort_config_selectorIyNS0_10empty_typeEEEZNS1_21merge_sort_block_sortIS3_N6thrust23THRUST_200600_302600_NS6detail15normal_iteratorINS9_10device_ptrIyEEEESE_PS5_SF_9comp_mod3IyEEE10hipError_tT0_T1_T2_T3_mRjT4_P12ihipStream_tbNS1_7vsmem_tEEUlT_E_NS1_11comp_targetILNS1_3genE4ELNS1_11target_archE910ELNS1_3gpuE8ELNS1_3repE0EEENS1_30default_config_static_selectorELNS0_4arch9wavefront6targetE0EEEvSK_
	.globl	_ZN7rocprim17ROCPRIM_400000_NS6detail17trampoline_kernelINS0_14default_configENS1_37merge_sort_block_sort_config_selectorIyNS0_10empty_typeEEEZNS1_21merge_sort_block_sortIS3_N6thrust23THRUST_200600_302600_NS6detail15normal_iteratorINS9_10device_ptrIyEEEESE_PS5_SF_9comp_mod3IyEEE10hipError_tT0_T1_T2_T3_mRjT4_P12ihipStream_tbNS1_7vsmem_tEEUlT_E_NS1_11comp_targetILNS1_3genE4ELNS1_11target_archE910ELNS1_3gpuE8ELNS1_3repE0EEENS1_30default_config_static_selectorELNS0_4arch9wavefront6targetE0EEEvSK_
	.p2align	8
	.type	_ZN7rocprim17ROCPRIM_400000_NS6detail17trampoline_kernelINS0_14default_configENS1_37merge_sort_block_sort_config_selectorIyNS0_10empty_typeEEEZNS1_21merge_sort_block_sortIS3_N6thrust23THRUST_200600_302600_NS6detail15normal_iteratorINS9_10device_ptrIyEEEESE_PS5_SF_9comp_mod3IyEEE10hipError_tT0_T1_T2_T3_mRjT4_P12ihipStream_tbNS1_7vsmem_tEEUlT_E_NS1_11comp_targetILNS1_3genE4ELNS1_11target_archE910ELNS1_3gpuE8ELNS1_3repE0EEENS1_30default_config_static_selectorELNS0_4arch9wavefront6targetE0EEEvSK_,@function
_ZN7rocprim17ROCPRIM_400000_NS6detail17trampoline_kernelINS0_14default_configENS1_37merge_sort_block_sort_config_selectorIyNS0_10empty_typeEEEZNS1_21merge_sort_block_sortIS3_N6thrust23THRUST_200600_302600_NS6detail15normal_iteratorINS9_10device_ptrIyEEEESE_PS5_SF_9comp_mod3IyEEE10hipError_tT0_T1_T2_T3_mRjT4_P12ihipStream_tbNS1_7vsmem_tEEUlT_E_NS1_11comp_targetILNS1_3genE4ELNS1_11target_archE910ELNS1_3gpuE8ELNS1_3repE0EEENS1_30default_config_static_selectorELNS0_4arch9wavefront6targetE0EEEvSK_: ; @_ZN7rocprim17ROCPRIM_400000_NS6detail17trampoline_kernelINS0_14default_configENS1_37merge_sort_block_sort_config_selectorIyNS0_10empty_typeEEEZNS1_21merge_sort_block_sortIS3_N6thrust23THRUST_200600_302600_NS6detail15normal_iteratorINS9_10device_ptrIyEEEESE_PS5_SF_9comp_mod3IyEEE10hipError_tT0_T1_T2_T3_mRjT4_P12ihipStream_tbNS1_7vsmem_tEEUlT_E_NS1_11comp_targetILNS1_3genE4ELNS1_11target_archE910ELNS1_3gpuE8ELNS1_3repE0EEENS1_30default_config_static_selectorELNS0_4arch9wavefront6targetE0EEEvSK_
; %bb.0:
	.section	.rodata,"a",@progbits
	.p2align	6, 0x0
	.amdhsa_kernel _ZN7rocprim17ROCPRIM_400000_NS6detail17trampoline_kernelINS0_14default_configENS1_37merge_sort_block_sort_config_selectorIyNS0_10empty_typeEEEZNS1_21merge_sort_block_sortIS3_N6thrust23THRUST_200600_302600_NS6detail15normal_iteratorINS9_10device_ptrIyEEEESE_PS5_SF_9comp_mod3IyEEE10hipError_tT0_T1_T2_T3_mRjT4_P12ihipStream_tbNS1_7vsmem_tEEUlT_E_NS1_11comp_targetILNS1_3genE4ELNS1_11target_archE910ELNS1_3gpuE8ELNS1_3repE0EEENS1_30default_config_static_selectorELNS0_4arch9wavefront6targetE0EEEvSK_
		.amdhsa_group_segment_fixed_size 0
		.amdhsa_private_segment_fixed_size 0
		.amdhsa_kernarg_size 64
		.amdhsa_user_sgpr_count 6
		.amdhsa_user_sgpr_private_segment_buffer 1
		.amdhsa_user_sgpr_dispatch_ptr 0
		.amdhsa_user_sgpr_queue_ptr 0
		.amdhsa_user_sgpr_kernarg_segment_ptr 1
		.amdhsa_user_sgpr_dispatch_id 0
		.amdhsa_user_sgpr_flat_scratch_init 0
		.amdhsa_user_sgpr_private_segment_size 0
		.amdhsa_wavefront_size32 1
		.amdhsa_uses_dynamic_stack 0
		.amdhsa_system_sgpr_private_segment_wavefront_offset 0
		.amdhsa_system_sgpr_workgroup_id_x 1
		.amdhsa_system_sgpr_workgroup_id_y 0
		.amdhsa_system_sgpr_workgroup_id_z 0
		.amdhsa_system_sgpr_workgroup_info 0
		.amdhsa_system_vgpr_workitem_id 0
		.amdhsa_next_free_vgpr 1
		.amdhsa_next_free_sgpr 1
		.amdhsa_reserve_vcc 0
		.amdhsa_reserve_flat_scratch 0
		.amdhsa_float_round_mode_32 0
		.amdhsa_float_round_mode_16_64 0
		.amdhsa_float_denorm_mode_32 3
		.amdhsa_float_denorm_mode_16_64 3
		.amdhsa_dx10_clamp 1
		.amdhsa_ieee_mode 1
		.amdhsa_fp16_overflow 0
		.amdhsa_workgroup_processor_mode 1
		.amdhsa_memory_ordered 1
		.amdhsa_forward_progress 1
		.amdhsa_shared_vgpr_count 0
		.amdhsa_exception_fp_ieee_invalid_op 0
		.amdhsa_exception_fp_denorm_src 0
		.amdhsa_exception_fp_ieee_div_zero 0
		.amdhsa_exception_fp_ieee_overflow 0
		.amdhsa_exception_fp_ieee_underflow 0
		.amdhsa_exception_fp_ieee_inexact 0
		.amdhsa_exception_int_div_zero 0
	.end_amdhsa_kernel
	.section	.text._ZN7rocprim17ROCPRIM_400000_NS6detail17trampoline_kernelINS0_14default_configENS1_37merge_sort_block_sort_config_selectorIyNS0_10empty_typeEEEZNS1_21merge_sort_block_sortIS3_N6thrust23THRUST_200600_302600_NS6detail15normal_iteratorINS9_10device_ptrIyEEEESE_PS5_SF_9comp_mod3IyEEE10hipError_tT0_T1_T2_T3_mRjT4_P12ihipStream_tbNS1_7vsmem_tEEUlT_E_NS1_11comp_targetILNS1_3genE4ELNS1_11target_archE910ELNS1_3gpuE8ELNS1_3repE0EEENS1_30default_config_static_selectorELNS0_4arch9wavefront6targetE0EEEvSK_,"axG",@progbits,_ZN7rocprim17ROCPRIM_400000_NS6detail17trampoline_kernelINS0_14default_configENS1_37merge_sort_block_sort_config_selectorIyNS0_10empty_typeEEEZNS1_21merge_sort_block_sortIS3_N6thrust23THRUST_200600_302600_NS6detail15normal_iteratorINS9_10device_ptrIyEEEESE_PS5_SF_9comp_mod3IyEEE10hipError_tT0_T1_T2_T3_mRjT4_P12ihipStream_tbNS1_7vsmem_tEEUlT_E_NS1_11comp_targetILNS1_3genE4ELNS1_11target_archE910ELNS1_3gpuE8ELNS1_3repE0EEENS1_30default_config_static_selectorELNS0_4arch9wavefront6targetE0EEEvSK_,comdat
.Lfunc_end752:
	.size	_ZN7rocprim17ROCPRIM_400000_NS6detail17trampoline_kernelINS0_14default_configENS1_37merge_sort_block_sort_config_selectorIyNS0_10empty_typeEEEZNS1_21merge_sort_block_sortIS3_N6thrust23THRUST_200600_302600_NS6detail15normal_iteratorINS9_10device_ptrIyEEEESE_PS5_SF_9comp_mod3IyEEE10hipError_tT0_T1_T2_T3_mRjT4_P12ihipStream_tbNS1_7vsmem_tEEUlT_E_NS1_11comp_targetILNS1_3genE4ELNS1_11target_archE910ELNS1_3gpuE8ELNS1_3repE0EEENS1_30default_config_static_selectorELNS0_4arch9wavefront6targetE0EEEvSK_, .Lfunc_end752-_ZN7rocprim17ROCPRIM_400000_NS6detail17trampoline_kernelINS0_14default_configENS1_37merge_sort_block_sort_config_selectorIyNS0_10empty_typeEEEZNS1_21merge_sort_block_sortIS3_N6thrust23THRUST_200600_302600_NS6detail15normal_iteratorINS9_10device_ptrIyEEEESE_PS5_SF_9comp_mod3IyEEE10hipError_tT0_T1_T2_T3_mRjT4_P12ihipStream_tbNS1_7vsmem_tEEUlT_E_NS1_11comp_targetILNS1_3genE4ELNS1_11target_archE910ELNS1_3gpuE8ELNS1_3repE0EEENS1_30default_config_static_selectorELNS0_4arch9wavefront6targetE0EEEvSK_
                                        ; -- End function
	.set _ZN7rocprim17ROCPRIM_400000_NS6detail17trampoline_kernelINS0_14default_configENS1_37merge_sort_block_sort_config_selectorIyNS0_10empty_typeEEEZNS1_21merge_sort_block_sortIS3_N6thrust23THRUST_200600_302600_NS6detail15normal_iteratorINS9_10device_ptrIyEEEESE_PS5_SF_9comp_mod3IyEEE10hipError_tT0_T1_T2_T3_mRjT4_P12ihipStream_tbNS1_7vsmem_tEEUlT_E_NS1_11comp_targetILNS1_3genE4ELNS1_11target_archE910ELNS1_3gpuE8ELNS1_3repE0EEENS1_30default_config_static_selectorELNS0_4arch9wavefront6targetE0EEEvSK_.num_vgpr, 0
	.set _ZN7rocprim17ROCPRIM_400000_NS6detail17trampoline_kernelINS0_14default_configENS1_37merge_sort_block_sort_config_selectorIyNS0_10empty_typeEEEZNS1_21merge_sort_block_sortIS3_N6thrust23THRUST_200600_302600_NS6detail15normal_iteratorINS9_10device_ptrIyEEEESE_PS5_SF_9comp_mod3IyEEE10hipError_tT0_T1_T2_T3_mRjT4_P12ihipStream_tbNS1_7vsmem_tEEUlT_E_NS1_11comp_targetILNS1_3genE4ELNS1_11target_archE910ELNS1_3gpuE8ELNS1_3repE0EEENS1_30default_config_static_selectorELNS0_4arch9wavefront6targetE0EEEvSK_.num_agpr, 0
	.set _ZN7rocprim17ROCPRIM_400000_NS6detail17trampoline_kernelINS0_14default_configENS1_37merge_sort_block_sort_config_selectorIyNS0_10empty_typeEEEZNS1_21merge_sort_block_sortIS3_N6thrust23THRUST_200600_302600_NS6detail15normal_iteratorINS9_10device_ptrIyEEEESE_PS5_SF_9comp_mod3IyEEE10hipError_tT0_T1_T2_T3_mRjT4_P12ihipStream_tbNS1_7vsmem_tEEUlT_E_NS1_11comp_targetILNS1_3genE4ELNS1_11target_archE910ELNS1_3gpuE8ELNS1_3repE0EEENS1_30default_config_static_selectorELNS0_4arch9wavefront6targetE0EEEvSK_.numbered_sgpr, 0
	.set _ZN7rocprim17ROCPRIM_400000_NS6detail17trampoline_kernelINS0_14default_configENS1_37merge_sort_block_sort_config_selectorIyNS0_10empty_typeEEEZNS1_21merge_sort_block_sortIS3_N6thrust23THRUST_200600_302600_NS6detail15normal_iteratorINS9_10device_ptrIyEEEESE_PS5_SF_9comp_mod3IyEEE10hipError_tT0_T1_T2_T3_mRjT4_P12ihipStream_tbNS1_7vsmem_tEEUlT_E_NS1_11comp_targetILNS1_3genE4ELNS1_11target_archE910ELNS1_3gpuE8ELNS1_3repE0EEENS1_30default_config_static_selectorELNS0_4arch9wavefront6targetE0EEEvSK_.num_named_barrier, 0
	.set _ZN7rocprim17ROCPRIM_400000_NS6detail17trampoline_kernelINS0_14default_configENS1_37merge_sort_block_sort_config_selectorIyNS0_10empty_typeEEEZNS1_21merge_sort_block_sortIS3_N6thrust23THRUST_200600_302600_NS6detail15normal_iteratorINS9_10device_ptrIyEEEESE_PS5_SF_9comp_mod3IyEEE10hipError_tT0_T1_T2_T3_mRjT4_P12ihipStream_tbNS1_7vsmem_tEEUlT_E_NS1_11comp_targetILNS1_3genE4ELNS1_11target_archE910ELNS1_3gpuE8ELNS1_3repE0EEENS1_30default_config_static_selectorELNS0_4arch9wavefront6targetE0EEEvSK_.private_seg_size, 0
	.set _ZN7rocprim17ROCPRIM_400000_NS6detail17trampoline_kernelINS0_14default_configENS1_37merge_sort_block_sort_config_selectorIyNS0_10empty_typeEEEZNS1_21merge_sort_block_sortIS3_N6thrust23THRUST_200600_302600_NS6detail15normal_iteratorINS9_10device_ptrIyEEEESE_PS5_SF_9comp_mod3IyEEE10hipError_tT0_T1_T2_T3_mRjT4_P12ihipStream_tbNS1_7vsmem_tEEUlT_E_NS1_11comp_targetILNS1_3genE4ELNS1_11target_archE910ELNS1_3gpuE8ELNS1_3repE0EEENS1_30default_config_static_selectorELNS0_4arch9wavefront6targetE0EEEvSK_.uses_vcc, 0
	.set _ZN7rocprim17ROCPRIM_400000_NS6detail17trampoline_kernelINS0_14default_configENS1_37merge_sort_block_sort_config_selectorIyNS0_10empty_typeEEEZNS1_21merge_sort_block_sortIS3_N6thrust23THRUST_200600_302600_NS6detail15normal_iteratorINS9_10device_ptrIyEEEESE_PS5_SF_9comp_mod3IyEEE10hipError_tT0_T1_T2_T3_mRjT4_P12ihipStream_tbNS1_7vsmem_tEEUlT_E_NS1_11comp_targetILNS1_3genE4ELNS1_11target_archE910ELNS1_3gpuE8ELNS1_3repE0EEENS1_30default_config_static_selectorELNS0_4arch9wavefront6targetE0EEEvSK_.uses_flat_scratch, 0
	.set _ZN7rocprim17ROCPRIM_400000_NS6detail17trampoline_kernelINS0_14default_configENS1_37merge_sort_block_sort_config_selectorIyNS0_10empty_typeEEEZNS1_21merge_sort_block_sortIS3_N6thrust23THRUST_200600_302600_NS6detail15normal_iteratorINS9_10device_ptrIyEEEESE_PS5_SF_9comp_mod3IyEEE10hipError_tT0_T1_T2_T3_mRjT4_P12ihipStream_tbNS1_7vsmem_tEEUlT_E_NS1_11comp_targetILNS1_3genE4ELNS1_11target_archE910ELNS1_3gpuE8ELNS1_3repE0EEENS1_30default_config_static_selectorELNS0_4arch9wavefront6targetE0EEEvSK_.has_dyn_sized_stack, 0
	.set _ZN7rocprim17ROCPRIM_400000_NS6detail17trampoline_kernelINS0_14default_configENS1_37merge_sort_block_sort_config_selectorIyNS0_10empty_typeEEEZNS1_21merge_sort_block_sortIS3_N6thrust23THRUST_200600_302600_NS6detail15normal_iteratorINS9_10device_ptrIyEEEESE_PS5_SF_9comp_mod3IyEEE10hipError_tT0_T1_T2_T3_mRjT4_P12ihipStream_tbNS1_7vsmem_tEEUlT_E_NS1_11comp_targetILNS1_3genE4ELNS1_11target_archE910ELNS1_3gpuE8ELNS1_3repE0EEENS1_30default_config_static_selectorELNS0_4arch9wavefront6targetE0EEEvSK_.has_recursion, 0
	.set _ZN7rocprim17ROCPRIM_400000_NS6detail17trampoline_kernelINS0_14default_configENS1_37merge_sort_block_sort_config_selectorIyNS0_10empty_typeEEEZNS1_21merge_sort_block_sortIS3_N6thrust23THRUST_200600_302600_NS6detail15normal_iteratorINS9_10device_ptrIyEEEESE_PS5_SF_9comp_mod3IyEEE10hipError_tT0_T1_T2_T3_mRjT4_P12ihipStream_tbNS1_7vsmem_tEEUlT_E_NS1_11comp_targetILNS1_3genE4ELNS1_11target_archE910ELNS1_3gpuE8ELNS1_3repE0EEENS1_30default_config_static_selectorELNS0_4arch9wavefront6targetE0EEEvSK_.has_indirect_call, 0
	.section	.AMDGPU.csdata,"",@progbits
; Kernel info:
; codeLenInByte = 0
; TotalNumSgprs: 0
; NumVgprs: 0
; ScratchSize: 0
; MemoryBound: 0
; FloatMode: 240
; IeeeMode: 1
; LDSByteSize: 0 bytes/workgroup (compile time only)
; SGPRBlocks: 0
; VGPRBlocks: 0
; NumSGPRsForWavesPerEU: 1
; NumVGPRsForWavesPerEU: 1
; Occupancy: 16
; WaveLimiterHint : 0
; COMPUTE_PGM_RSRC2:SCRATCH_EN: 0
; COMPUTE_PGM_RSRC2:USER_SGPR: 6
; COMPUTE_PGM_RSRC2:TRAP_HANDLER: 0
; COMPUTE_PGM_RSRC2:TGID_X_EN: 1
; COMPUTE_PGM_RSRC2:TGID_Y_EN: 0
; COMPUTE_PGM_RSRC2:TGID_Z_EN: 0
; COMPUTE_PGM_RSRC2:TIDIG_COMP_CNT: 0
	.section	.text._ZN7rocprim17ROCPRIM_400000_NS6detail17trampoline_kernelINS0_14default_configENS1_37merge_sort_block_sort_config_selectorIyNS0_10empty_typeEEEZNS1_21merge_sort_block_sortIS3_N6thrust23THRUST_200600_302600_NS6detail15normal_iteratorINS9_10device_ptrIyEEEESE_PS5_SF_9comp_mod3IyEEE10hipError_tT0_T1_T2_T3_mRjT4_P12ihipStream_tbNS1_7vsmem_tEEUlT_E_NS1_11comp_targetILNS1_3genE3ELNS1_11target_archE908ELNS1_3gpuE7ELNS1_3repE0EEENS1_30default_config_static_selectorELNS0_4arch9wavefront6targetE0EEEvSK_,"axG",@progbits,_ZN7rocprim17ROCPRIM_400000_NS6detail17trampoline_kernelINS0_14default_configENS1_37merge_sort_block_sort_config_selectorIyNS0_10empty_typeEEEZNS1_21merge_sort_block_sortIS3_N6thrust23THRUST_200600_302600_NS6detail15normal_iteratorINS9_10device_ptrIyEEEESE_PS5_SF_9comp_mod3IyEEE10hipError_tT0_T1_T2_T3_mRjT4_P12ihipStream_tbNS1_7vsmem_tEEUlT_E_NS1_11comp_targetILNS1_3genE3ELNS1_11target_archE908ELNS1_3gpuE7ELNS1_3repE0EEENS1_30default_config_static_selectorELNS0_4arch9wavefront6targetE0EEEvSK_,comdat
	.protected	_ZN7rocprim17ROCPRIM_400000_NS6detail17trampoline_kernelINS0_14default_configENS1_37merge_sort_block_sort_config_selectorIyNS0_10empty_typeEEEZNS1_21merge_sort_block_sortIS3_N6thrust23THRUST_200600_302600_NS6detail15normal_iteratorINS9_10device_ptrIyEEEESE_PS5_SF_9comp_mod3IyEEE10hipError_tT0_T1_T2_T3_mRjT4_P12ihipStream_tbNS1_7vsmem_tEEUlT_E_NS1_11comp_targetILNS1_3genE3ELNS1_11target_archE908ELNS1_3gpuE7ELNS1_3repE0EEENS1_30default_config_static_selectorELNS0_4arch9wavefront6targetE0EEEvSK_ ; -- Begin function _ZN7rocprim17ROCPRIM_400000_NS6detail17trampoline_kernelINS0_14default_configENS1_37merge_sort_block_sort_config_selectorIyNS0_10empty_typeEEEZNS1_21merge_sort_block_sortIS3_N6thrust23THRUST_200600_302600_NS6detail15normal_iteratorINS9_10device_ptrIyEEEESE_PS5_SF_9comp_mod3IyEEE10hipError_tT0_T1_T2_T3_mRjT4_P12ihipStream_tbNS1_7vsmem_tEEUlT_E_NS1_11comp_targetILNS1_3genE3ELNS1_11target_archE908ELNS1_3gpuE7ELNS1_3repE0EEENS1_30default_config_static_selectorELNS0_4arch9wavefront6targetE0EEEvSK_
	.globl	_ZN7rocprim17ROCPRIM_400000_NS6detail17trampoline_kernelINS0_14default_configENS1_37merge_sort_block_sort_config_selectorIyNS0_10empty_typeEEEZNS1_21merge_sort_block_sortIS3_N6thrust23THRUST_200600_302600_NS6detail15normal_iteratorINS9_10device_ptrIyEEEESE_PS5_SF_9comp_mod3IyEEE10hipError_tT0_T1_T2_T3_mRjT4_P12ihipStream_tbNS1_7vsmem_tEEUlT_E_NS1_11comp_targetILNS1_3genE3ELNS1_11target_archE908ELNS1_3gpuE7ELNS1_3repE0EEENS1_30default_config_static_selectorELNS0_4arch9wavefront6targetE0EEEvSK_
	.p2align	8
	.type	_ZN7rocprim17ROCPRIM_400000_NS6detail17trampoline_kernelINS0_14default_configENS1_37merge_sort_block_sort_config_selectorIyNS0_10empty_typeEEEZNS1_21merge_sort_block_sortIS3_N6thrust23THRUST_200600_302600_NS6detail15normal_iteratorINS9_10device_ptrIyEEEESE_PS5_SF_9comp_mod3IyEEE10hipError_tT0_T1_T2_T3_mRjT4_P12ihipStream_tbNS1_7vsmem_tEEUlT_E_NS1_11comp_targetILNS1_3genE3ELNS1_11target_archE908ELNS1_3gpuE7ELNS1_3repE0EEENS1_30default_config_static_selectorELNS0_4arch9wavefront6targetE0EEEvSK_,@function
_ZN7rocprim17ROCPRIM_400000_NS6detail17trampoline_kernelINS0_14default_configENS1_37merge_sort_block_sort_config_selectorIyNS0_10empty_typeEEEZNS1_21merge_sort_block_sortIS3_N6thrust23THRUST_200600_302600_NS6detail15normal_iteratorINS9_10device_ptrIyEEEESE_PS5_SF_9comp_mod3IyEEE10hipError_tT0_T1_T2_T3_mRjT4_P12ihipStream_tbNS1_7vsmem_tEEUlT_E_NS1_11comp_targetILNS1_3genE3ELNS1_11target_archE908ELNS1_3gpuE7ELNS1_3repE0EEENS1_30default_config_static_selectorELNS0_4arch9wavefront6targetE0EEEvSK_: ; @_ZN7rocprim17ROCPRIM_400000_NS6detail17trampoline_kernelINS0_14default_configENS1_37merge_sort_block_sort_config_selectorIyNS0_10empty_typeEEEZNS1_21merge_sort_block_sortIS3_N6thrust23THRUST_200600_302600_NS6detail15normal_iteratorINS9_10device_ptrIyEEEESE_PS5_SF_9comp_mod3IyEEE10hipError_tT0_T1_T2_T3_mRjT4_P12ihipStream_tbNS1_7vsmem_tEEUlT_E_NS1_11comp_targetILNS1_3genE3ELNS1_11target_archE908ELNS1_3gpuE7ELNS1_3repE0EEENS1_30default_config_static_selectorELNS0_4arch9wavefront6targetE0EEEvSK_
; %bb.0:
	.section	.rodata,"a",@progbits
	.p2align	6, 0x0
	.amdhsa_kernel _ZN7rocprim17ROCPRIM_400000_NS6detail17trampoline_kernelINS0_14default_configENS1_37merge_sort_block_sort_config_selectorIyNS0_10empty_typeEEEZNS1_21merge_sort_block_sortIS3_N6thrust23THRUST_200600_302600_NS6detail15normal_iteratorINS9_10device_ptrIyEEEESE_PS5_SF_9comp_mod3IyEEE10hipError_tT0_T1_T2_T3_mRjT4_P12ihipStream_tbNS1_7vsmem_tEEUlT_E_NS1_11comp_targetILNS1_3genE3ELNS1_11target_archE908ELNS1_3gpuE7ELNS1_3repE0EEENS1_30default_config_static_selectorELNS0_4arch9wavefront6targetE0EEEvSK_
		.amdhsa_group_segment_fixed_size 0
		.amdhsa_private_segment_fixed_size 0
		.amdhsa_kernarg_size 64
		.amdhsa_user_sgpr_count 6
		.amdhsa_user_sgpr_private_segment_buffer 1
		.amdhsa_user_sgpr_dispatch_ptr 0
		.amdhsa_user_sgpr_queue_ptr 0
		.amdhsa_user_sgpr_kernarg_segment_ptr 1
		.amdhsa_user_sgpr_dispatch_id 0
		.amdhsa_user_sgpr_flat_scratch_init 0
		.amdhsa_user_sgpr_private_segment_size 0
		.amdhsa_wavefront_size32 1
		.amdhsa_uses_dynamic_stack 0
		.amdhsa_system_sgpr_private_segment_wavefront_offset 0
		.amdhsa_system_sgpr_workgroup_id_x 1
		.amdhsa_system_sgpr_workgroup_id_y 0
		.amdhsa_system_sgpr_workgroup_id_z 0
		.amdhsa_system_sgpr_workgroup_info 0
		.amdhsa_system_vgpr_workitem_id 0
		.amdhsa_next_free_vgpr 1
		.amdhsa_next_free_sgpr 1
		.amdhsa_reserve_vcc 0
		.amdhsa_reserve_flat_scratch 0
		.amdhsa_float_round_mode_32 0
		.amdhsa_float_round_mode_16_64 0
		.amdhsa_float_denorm_mode_32 3
		.amdhsa_float_denorm_mode_16_64 3
		.amdhsa_dx10_clamp 1
		.amdhsa_ieee_mode 1
		.amdhsa_fp16_overflow 0
		.amdhsa_workgroup_processor_mode 1
		.amdhsa_memory_ordered 1
		.amdhsa_forward_progress 1
		.amdhsa_shared_vgpr_count 0
		.amdhsa_exception_fp_ieee_invalid_op 0
		.amdhsa_exception_fp_denorm_src 0
		.amdhsa_exception_fp_ieee_div_zero 0
		.amdhsa_exception_fp_ieee_overflow 0
		.amdhsa_exception_fp_ieee_underflow 0
		.amdhsa_exception_fp_ieee_inexact 0
		.amdhsa_exception_int_div_zero 0
	.end_amdhsa_kernel
	.section	.text._ZN7rocprim17ROCPRIM_400000_NS6detail17trampoline_kernelINS0_14default_configENS1_37merge_sort_block_sort_config_selectorIyNS0_10empty_typeEEEZNS1_21merge_sort_block_sortIS3_N6thrust23THRUST_200600_302600_NS6detail15normal_iteratorINS9_10device_ptrIyEEEESE_PS5_SF_9comp_mod3IyEEE10hipError_tT0_T1_T2_T3_mRjT4_P12ihipStream_tbNS1_7vsmem_tEEUlT_E_NS1_11comp_targetILNS1_3genE3ELNS1_11target_archE908ELNS1_3gpuE7ELNS1_3repE0EEENS1_30default_config_static_selectorELNS0_4arch9wavefront6targetE0EEEvSK_,"axG",@progbits,_ZN7rocprim17ROCPRIM_400000_NS6detail17trampoline_kernelINS0_14default_configENS1_37merge_sort_block_sort_config_selectorIyNS0_10empty_typeEEEZNS1_21merge_sort_block_sortIS3_N6thrust23THRUST_200600_302600_NS6detail15normal_iteratorINS9_10device_ptrIyEEEESE_PS5_SF_9comp_mod3IyEEE10hipError_tT0_T1_T2_T3_mRjT4_P12ihipStream_tbNS1_7vsmem_tEEUlT_E_NS1_11comp_targetILNS1_3genE3ELNS1_11target_archE908ELNS1_3gpuE7ELNS1_3repE0EEENS1_30default_config_static_selectorELNS0_4arch9wavefront6targetE0EEEvSK_,comdat
.Lfunc_end753:
	.size	_ZN7rocprim17ROCPRIM_400000_NS6detail17trampoline_kernelINS0_14default_configENS1_37merge_sort_block_sort_config_selectorIyNS0_10empty_typeEEEZNS1_21merge_sort_block_sortIS3_N6thrust23THRUST_200600_302600_NS6detail15normal_iteratorINS9_10device_ptrIyEEEESE_PS5_SF_9comp_mod3IyEEE10hipError_tT0_T1_T2_T3_mRjT4_P12ihipStream_tbNS1_7vsmem_tEEUlT_E_NS1_11comp_targetILNS1_3genE3ELNS1_11target_archE908ELNS1_3gpuE7ELNS1_3repE0EEENS1_30default_config_static_selectorELNS0_4arch9wavefront6targetE0EEEvSK_, .Lfunc_end753-_ZN7rocprim17ROCPRIM_400000_NS6detail17trampoline_kernelINS0_14default_configENS1_37merge_sort_block_sort_config_selectorIyNS0_10empty_typeEEEZNS1_21merge_sort_block_sortIS3_N6thrust23THRUST_200600_302600_NS6detail15normal_iteratorINS9_10device_ptrIyEEEESE_PS5_SF_9comp_mod3IyEEE10hipError_tT0_T1_T2_T3_mRjT4_P12ihipStream_tbNS1_7vsmem_tEEUlT_E_NS1_11comp_targetILNS1_3genE3ELNS1_11target_archE908ELNS1_3gpuE7ELNS1_3repE0EEENS1_30default_config_static_selectorELNS0_4arch9wavefront6targetE0EEEvSK_
                                        ; -- End function
	.set _ZN7rocprim17ROCPRIM_400000_NS6detail17trampoline_kernelINS0_14default_configENS1_37merge_sort_block_sort_config_selectorIyNS0_10empty_typeEEEZNS1_21merge_sort_block_sortIS3_N6thrust23THRUST_200600_302600_NS6detail15normal_iteratorINS9_10device_ptrIyEEEESE_PS5_SF_9comp_mod3IyEEE10hipError_tT0_T1_T2_T3_mRjT4_P12ihipStream_tbNS1_7vsmem_tEEUlT_E_NS1_11comp_targetILNS1_3genE3ELNS1_11target_archE908ELNS1_3gpuE7ELNS1_3repE0EEENS1_30default_config_static_selectorELNS0_4arch9wavefront6targetE0EEEvSK_.num_vgpr, 0
	.set _ZN7rocprim17ROCPRIM_400000_NS6detail17trampoline_kernelINS0_14default_configENS1_37merge_sort_block_sort_config_selectorIyNS0_10empty_typeEEEZNS1_21merge_sort_block_sortIS3_N6thrust23THRUST_200600_302600_NS6detail15normal_iteratorINS9_10device_ptrIyEEEESE_PS5_SF_9comp_mod3IyEEE10hipError_tT0_T1_T2_T3_mRjT4_P12ihipStream_tbNS1_7vsmem_tEEUlT_E_NS1_11comp_targetILNS1_3genE3ELNS1_11target_archE908ELNS1_3gpuE7ELNS1_3repE0EEENS1_30default_config_static_selectorELNS0_4arch9wavefront6targetE0EEEvSK_.num_agpr, 0
	.set _ZN7rocprim17ROCPRIM_400000_NS6detail17trampoline_kernelINS0_14default_configENS1_37merge_sort_block_sort_config_selectorIyNS0_10empty_typeEEEZNS1_21merge_sort_block_sortIS3_N6thrust23THRUST_200600_302600_NS6detail15normal_iteratorINS9_10device_ptrIyEEEESE_PS5_SF_9comp_mod3IyEEE10hipError_tT0_T1_T2_T3_mRjT4_P12ihipStream_tbNS1_7vsmem_tEEUlT_E_NS1_11comp_targetILNS1_3genE3ELNS1_11target_archE908ELNS1_3gpuE7ELNS1_3repE0EEENS1_30default_config_static_selectorELNS0_4arch9wavefront6targetE0EEEvSK_.numbered_sgpr, 0
	.set _ZN7rocprim17ROCPRIM_400000_NS6detail17trampoline_kernelINS0_14default_configENS1_37merge_sort_block_sort_config_selectorIyNS0_10empty_typeEEEZNS1_21merge_sort_block_sortIS3_N6thrust23THRUST_200600_302600_NS6detail15normal_iteratorINS9_10device_ptrIyEEEESE_PS5_SF_9comp_mod3IyEEE10hipError_tT0_T1_T2_T3_mRjT4_P12ihipStream_tbNS1_7vsmem_tEEUlT_E_NS1_11comp_targetILNS1_3genE3ELNS1_11target_archE908ELNS1_3gpuE7ELNS1_3repE0EEENS1_30default_config_static_selectorELNS0_4arch9wavefront6targetE0EEEvSK_.num_named_barrier, 0
	.set _ZN7rocprim17ROCPRIM_400000_NS6detail17trampoline_kernelINS0_14default_configENS1_37merge_sort_block_sort_config_selectorIyNS0_10empty_typeEEEZNS1_21merge_sort_block_sortIS3_N6thrust23THRUST_200600_302600_NS6detail15normal_iteratorINS9_10device_ptrIyEEEESE_PS5_SF_9comp_mod3IyEEE10hipError_tT0_T1_T2_T3_mRjT4_P12ihipStream_tbNS1_7vsmem_tEEUlT_E_NS1_11comp_targetILNS1_3genE3ELNS1_11target_archE908ELNS1_3gpuE7ELNS1_3repE0EEENS1_30default_config_static_selectorELNS0_4arch9wavefront6targetE0EEEvSK_.private_seg_size, 0
	.set _ZN7rocprim17ROCPRIM_400000_NS6detail17trampoline_kernelINS0_14default_configENS1_37merge_sort_block_sort_config_selectorIyNS0_10empty_typeEEEZNS1_21merge_sort_block_sortIS3_N6thrust23THRUST_200600_302600_NS6detail15normal_iteratorINS9_10device_ptrIyEEEESE_PS5_SF_9comp_mod3IyEEE10hipError_tT0_T1_T2_T3_mRjT4_P12ihipStream_tbNS1_7vsmem_tEEUlT_E_NS1_11comp_targetILNS1_3genE3ELNS1_11target_archE908ELNS1_3gpuE7ELNS1_3repE0EEENS1_30default_config_static_selectorELNS0_4arch9wavefront6targetE0EEEvSK_.uses_vcc, 0
	.set _ZN7rocprim17ROCPRIM_400000_NS6detail17trampoline_kernelINS0_14default_configENS1_37merge_sort_block_sort_config_selectorIyNS0_10empty_typeEEEZNS1_21merge_sort_block_sortIS3_N6thrust23THRUST_200600_302600_NS6detail15normal_iteratorINS9_10device_ptrIyEEEESE_PS5_SF_9comp_mod3IyEEE10hipError_tT0_T1_T2_T3_mRjT4_P12ihipStream_tbNS1_7vsmem_tEEUlT_E_NS1_11comp_targetILNS1_3genE3ELNS1_11target_archE908ELNS1_3gpuE7ELNS1_3repE0EEENS1_30default_config_static_selectorELNS0_4arch9wavefront6targetE0EEEvSK_.uses_flat_scratch, 0
	.set _ZN7rocprim17ROCPRIM_400000_NS6detail17trampoline_kernelINS0_14default_configENS1_37merge_sort_block_sort_config_selectorIyNS0_10empty_typeEEEZNS1_21merge_sort_block_sortIS3_N6thrust23THRUST_200600_302600_NS6detail15normal_iteratorINS9_10device_ptrIyEEEESE_PS5_SF_9comp_mod3IyEEE10hipError_tT0_T1_T2_T3_mRjT4_P12ihipStream_tbNS1_7vsmem_tEEUlT_E_NS1_11comp_targetILNS1_3genE3ELNS1_11target_archE908ELNS1_3gpuE7ELNS1_3repE0EEENS1_30default_config_static_selectorELNS0_4arch9wavefront6targetE0EEEvSK_.has_dyn_sized_stack, 0
	.set _ZN7rocprim17ROCPRIM_400000_NS6detail17trampoline_kernelINS0_14default_configENS1_37merge_sort_block_sort_config_selectorIyNS0_10empty_typeEEEZNS1_21merge_sort_block_sortIS3_N6thrust23THRUST_200600_302600_NS6detail15normal_iteratorINS9_10device_ptrIyEEEESE_PS5_SF_9comp_mod3IyEEE10hipError_tT0_T1_T2_T3_mRjT4_P12ihipStream_tbNS1_7vsmem_tEEUlT_E_NS1_11comp_targetILNS1_3genE3ELNS1_11target_archE908ELNS1_3gpuE7ELNS1_3repE0EEENS1_30default_config_static_selectorELNS0_4arch9wavefront6targetE0EEEvSK_.has_recursion, 0
	.set _ZN7rocprim17ROCPRIM_400000_NS6detail17trampoline_kernelINS0_14default_configENS1_37merge_sort_block_sort_config_selectorIyNS0_10empty_typeEEEZNS1_21merge_sort_block_sortIS3_N6thrust23THRUST_200600_302600_NS6detail15normal_iteratorINS9_10device_ptrIyEEEESE_PS5_SF_9comp_mod3IyEEE10hipError_tT0_T1_T2_T3_mRjT4_P12ihipStream_tbNS1_7vsmem_tEEUlT_E_NS1_11comp_targetILNS1_3genE3ELNS1_11target_archE908ELNS1_3gpuE7ELNS1_3repE0EEENS1_30default_config_static_selectorELNS0_4arch9wavefront6targetE0EEEvSK_.has_indirect_call, 0
	.section	.AMDGPU.csdata,"",@progbits
; Kernel info:
; codeLenInByte = 0
; TotalNumSgprs: 0
; NumVgprs: 0
; ScratchSize: 0
; MemoryBound: 0
; FloatMode: 240
; IeeeMode: 1
; LDSByteSize: 0 bytes/workgroup (compile time only)
; SGPRBlocks: 0
; VGPRBlocks: 0
; NumSGPRsForWavesPerEU: 1
; NumVGPRsForWavesPerEU: 1
; Occupancy: 16
; WaveLimiterHint : 0
; COMPUTE_PGM_RSRC2:SCRATCH_EN: 0
; COMPUTE_PGM_RSRC2:USER_SGPR: 6
; COMPUTE_PGM_RSRC2:TRAP_HANDLER: 0
; COMPUTE_PGM_RSRC2:TGID_X_EN: 1
; COMPUTE_PGM_RSRC2:TGID_Y_EN: 0
; COMPUTE_PGM_RSRC2:TGID_Z_EN: 0
; COMPUTE_PGM_RSRC2:TIDIG_COMP_CNT: 0
	.section	.text._ZN7rocprim17ROCPRIM_400000_NS6detail17trampoline_kernelINS0_14default_configENS1_37merge_sort_block_sort_config_selectorIyNS0_10empty_typeEEEZNS1_21merge_sort_block_sortIS3_N6thrust23THRUST_200600_302600_NS6detail15normal_iteratorINS9_10device_ptrIyEEEESE_PS5_SF_9comp_mod3IyEEE10hipError_tT0_T1_T2_T3_mRjT4_P12ihipStream_tbNS1_7vsmem_tEEUlT_E_NS1_11comp_targetILNS1_3genE2ELNS1_11target_archE906ELNS1_3gpuE6ELNS1_3repE0EEENS1_30default_config_static_selectorELNS0_4arch9wavefront6targetE0EEEvSK_,"axG",@progbits,_ZN7rocprim17ROCPRIM_400000_NS6detail17trampoline_kernelINS0_14default_configENS1_37merge_sort_block_sort_config_selectorIyNS0_10empty_typeEEEZNS1_21merge_sort_block_sortIS3_N6thrust23THRUST_200600_302600_NS6detail15normal_iteratorINS9_10device_ptrIyEEEESE_PS5_SF_9comp_mod3IyEEE10hipError_tT0_T1_T2_T3_mRjT4_P12ihipStream_tbNS1_7vsmem_tEEUlT_E_NS1_11comp_targetILNS1_3genE2ELNS1_11target_archE906ELNS1_3gpuE6ELNS1_3repE0EEENS1_30default_config_static_selectorELNS0_4arch9wavefront6targetE0EEEvSK_,comdat
	.protected	_ZN7rocprim17ROCPRIM_400000_NS6detail17trampoline_kernelINS0_14default_configENS1_37merge_sort_block_sort_config_selectorIyNS0_10empty_typeEEEZNS1_21merge_sort_block_sortIS3_N6thrust23THRUST_200600_302600_NS6detail15normal_iteratorINS9_10device_ptrIyEEEESE_PS5_SF_9comp_mod3IyEEE10hipError_tT0_T1_T2_T3_mRjT4_P12ihipStream_tbNS1_7vsmem_tEEUlT_E_NS1_11comp_targetILNS1_3genE2ELNS1_11target_archE906ELNS1_3gpuE6ELNS1_3repE0EEENS1_30default_config_static_selectorELNS0_4arch9wavefront6targetE0EEEvSK_ ; -- Begin function _ZN7rocprim17ROCPRIM_400000_NS6detail17trampoline_kernelINS0_14default_configENS1_37merge_sort_block_sort_config_selectorIyNS0_10empty_typeEEEZNS1_21merge_sort_block_sortIS3_N6thrust23THRUST_200600_302600_NS6detail15normal_iteratorINS9_10device_ptrIyEEEESE_PS5_SF_9comp_mod3IyEEE10hipError_tT0_T1_T2_T3_mRjT4_P12ihipStream_tbNS1_7vsmem_tEEUlT_E_NS1_11comp_targetILNS1_3genE2ELNS1_11target_archE906ELNS1_3gpuE6ELNS1_3repE0EEENS1_30default_config_static_selectorELNS0_4arch9wavefront6targetE0EEEvSK_
	.globl	_ZN7rocprim17ROCPRIM_400000_NS6detail17trampoline_kernelINS0_14default_configENS1_37merge_sort_block_sort_config_selectorIyNS0_10empty_typeEEEZNS1_21merge_sort_block_sortIS3_N6thrust23THRUST_200600_302600_NS6detail15normal_iteratorINS9_10device_ptrIyEEEESE_PS5_SF_9comp_mod3IyEEE10hipError_tT0_T1_T2_T3_mRjT4_P12ihipStream_tbNS1_7vsmem_tEEUlT_E_NS1_11comp_targetILNS1_3genE2ELNS1_11target_archE906ELNS1_3gpuE6ELNS1_3repE0EEENS1_30default_config_static_selectorELNS0_4arch9wavefront6targetE0EEEvSK_
	.p2align	8
	.type	_ZN7rocprim17ROCPRIM_400000_NS6detail17trampoline_kernelINS0_14default_configENS1_37merge_sort_block_sort_config_selectorIyNS0_10empty_typeEEEZNS1_21merge_sort_block_sortIS3_N6thrust23THRUST_200600_302600_NS6detail15normal_iteratorINS9_10device_ptrIyEEEESE_PS5_SF_9comp_mod3IyEEE10hipError_tT0_T1_T2_T3_mRjT4_P12ihipStream_tbNS1_7vsmem_tEEUlT_E_NS1_11comp_targetILNS1_3genE2ELNS1_11target_archE906ELNS1_3gpuE6ELNS1_3repE0EEENS1_30default_config_static_selectorELNS0_4arch9wavefront6targetE0EEEvSK_,@function
_ZN7rocprim17ROCPRIM_400000_NS6detail17trampoline_kernelINS0_14default_configENS1_37merge_sort_block_sort_config_selectorIyNS0_10empty_typeEEEZNS1_21merge_sort_block_sortIS3_N6thrust23THRUST_200600_302600_NS6detail15normal_iteratorINS9_10device_ptrIyEEEESE_PS5_SF_9comp_mod3IyEEE10hipError_tT0_T1_T2_T3_mRjT4_P12ihipStream_tbNS1_7vsmem_tEEUlT_E_NS1_11comp_targetILNS1_3genE2ELNS1_11target_archE906ELNS1_3gpuE6ELNS1_3repE0EEENS1_30default_config_static_selectorELNS0_4arch9wavefront6targetE0EEEvSK_: ; @_ZN7rocprim17ROCPRIM_400000_NS6detail17trampoline_kernelINS0_14default_configENS1_37merge_sort_block_sort_config_selectorIyNS0_10empty_typeEEEZNS1_21merge_sort_block_sortIS3_N6thrust23THRUST_200600_302600_NS6detail15normal_iteratorINS9_10device_ptrIyEEEESE_PS5_SF_9comp_mod3IyEEE10hipError_tT0_T1_T2_T3_mRjT4_P12ihipStream_tbNS1_7vsmem_tEEUlT_E_NS1_11comp_targetILNS1_3genE2ELNS1_11target_archE906ELNS1_3gpuE6ELNS1_3repE0EEENS1_30default_config_static_selectorELNS0_4arch9wavefront6targetE0EEEvSK_
; %bb.0:
	.section	.rodata,"a",@progbits
	.p2align	6, 0x0
	.amdhsa_kernel _ZN7rocprim17ROCPRIM_400000_NS6detail17trampoline_kernelINS0_14default_configENS1_37merge_sort_block_sort_config_selectorIyNS0_10empty_typeEEEZNS1_21merge_sort_block_sortIS3_N6thrust23THRUST_200600_302600_NS6detail15normal_iteratorINS9_10device_ptrIyEEEESE_PS5_SF_9comp_mod3IyEEE10hipError_tT0_T1_T2_T3_mRjT4_P12ihipStream_tbNS1_7vsmem_tEEUlT_E_NS1_11comp_targetILNS1_3genE2ELNS1_11target_archE906ELNS1_3gpuE6ELNS1_3repE0EEENS1_30default_config_static_selectorELNS0_4arch9wavefront6targetE0EEEvSK_
		.amdhsa_group_segment_fixed_size 0
		.amdhsa_private_segment_fixed_size 0
		.amdhsa_kernarg_size 64
		.amdhsa_user_sgpr_count 6
		.amdhsa_user_sgpr_private_segment_buffer 1
		.amdhsa_user_sgpr_dispatch_ptr 0
		.amdhsa_user_sgpr_queue_ptr 0
		.amdhsa_user_sgpr_kernarg_segment_ptr 1
		.amdhsa_user_sgpr_dispatch_id 0
		.amdhsa_user_sgpr_flat_scratch_init 0
		.amdhsa_user_sgpr_private_segment_size 0
		.amdhsa_wavefront_size32 1
		.amdhsa_uses_dynamic_stack 0
		.amdhsa_system_sgpr_private_segment_wavefront_offset 0
		.amdhsa_system_sgpr_workgroup_id_x 1
		.amdhsa_system_sgpr_workgroup_id_y 0
		.amdhsa_system_sgpr_workgroup_id_z 0
		.amdhsa_system_sgpr_workgroup_info 0
		.amdhsa_system_vgpr_workitem_id 0
		.amdhsa_next_free_vgpr 1
		.amdhsa_next_free_sgpr 1
		.amdhsa_reserve_vcc 0
		.amdhsa_reserve_flat_scratch 0
		.amdhsa_float_round_mode_32 0
		.amdhsa_float_round_mode_16_64 0
		.amdhsa_float_denorm_mode_32 3
		.amdhsa_float_denorm_mode_16_64 3
		.amdhsa_dx10_clamp 1
		.amdhsa_ieee_mode 1
		.amdhsa_fp16_overflow 0
		.amdhsa_workgroup_processor_mode 1
		.amdhsa_memory_ordered 1
		.amdhsa_forward_progress 1
		.amdhsa_shared_vgpr_count 0
		.amdhsa_exception_fp_ieee_invalid_op 0
		.amdhsa_exception_fp_denorm_src 0
		.amdhsa_exception_fp_ieee_div_zero 0
		.amdhsa_exception_fp_ieee_overflow 0
		.amdhsa_exception_fp_ieee_underflow 0
		.amdhsa_exception_fp_ieee_inexact 0
		.amdhsa_exception_int_div_zero 0
	.end_amdhsa_kernel
	.section	.text._ZN7rocprim17ROCPRIM_400000_NS6detail17trampoline_kernelINS0_14default_configENS1_37merge_sort_block_sort_config_selectorIyNS0_10empty_typeEEEZNS1_21merge_sort_block_sortIS3_N6thrust23THRUST_200600_302600_NS6detail15normal_iteratorINS9_10device_ptrIyEEEESE_PS5_SF_9comp_mod3IyEEE10hipError_tT0_T1_T2_T3_mRjT4_P12ihipStream_tbNS1_7vsmem_tEEUlT_E_NS1_11comp_targetILNS1_3genE2ELNS1_11target_archE906ELNS1_3gpuE6ELNS1_3repE0EEENS1_30default_config_static_selectorELNS0_4arch9wavefront6targetE0EEEvSK_,"axG",@progbits,_ZN7rocprim17ROCPRIM_400000_NS6detail17trampoline_kernelINS0_14default_configENS1_37merge_sort_block_sort_config_selectorIyNS0_10empty_typeEEEZNS1_21merge_sort_block_sortIS3_N6thrust23THRUST_200600_302600_NS6detail15normal_iteratorINS9_10device_ptrIyEEEESE_PS5_SF_9comp_mod3IyEEE10hipError_tT0_T1_T2_T3_mRjT4_P12ihipStream_tbNS1_7vsmem_tEEUlT_E_NS1_11comp_targetILNS1_3genE2ELNS1_11target_archE906ELNS1_3gpuE6ELNS1_3repE0EEENS1_30default_config_static_selectorELNS0_4arch9wavefront6targetE0EEEvSK_,comdat
.Lfunc_end754:
	.size	_ZN7rocprim17ROCPRIM_400000_NS6detail17trampoline_kernelINS0_14default_configENS1_37merge_sort_block_sort_config_selectorIyNS0_10empty_typeEEEZNS1_21merge_sort_block_sortIS3_N6thrust23THRUST_200600_302600_NS6detail15normal_iteratorINS9_10device_ptrIyEEEESE_PS5_SF_9comp_mod3IyEEE10hipError_tT0_T1_T2_T3_mRjT4_P12ihipStream_tbNS1_7vsmem_tEEUlT_E_NS1_11comp_targetILNS1_3genE2ELNS1_11target_archE906ELNS1_3gpuE6ELNS1_3repE0EEENS1_30default_config_static_selectorELNS0_4arch9wavefront6targetE0EEEvSK_, .Lfunc_end754-_ZN7rocprim17ROCPRIM_400000_NS6detail17trampoline_kernelINS0_14default_configENS1_37merge_sort_block_sort_config_selectorIyNS0_10empty_typeEEEZNS1_21merge_sort_block_sortIS3_N6thrust23THRUST_200600_302600_NS6detail15normal_iteratorINS9_10device_ptrIyEEEESE_PS5_SF_9comp_mod3IyEEE10hipError_tT0_T1_T2_T3_mRjT4_P12ihipStream_tbNS1_7vsmem_tEEUlT_E_NS1_11comp_targetILNS1_3genE2ELNS1_11target_archE906ELNS1_3gpuE6ELNS1_3repE0EEENS1_30default_config_static_selectorELNS0_4arch9wavefront6targetE0EEEvSK_
                                        ; -- End function
	.set _ZN7rocprim17ROCPRIM_400000_NS6detail17trampoline_kernelINS0_14default_configENS1_37merge_sort_block_sort_config_selectorIyNS0_10empty_typeEEEZNS1_21merge_sort_block_sortIS3_N6thrust23THRUST_200600_302600_NS6detail15normal_iteratorINS9_10device_ptrIyEEEESE_PS5_SF_9comp_mod3IyEEE10hipError_tT0_T1_T2_T3_mRjT4_P12ihipStream_tbNS1_7vsmem_tEEUlT_E_NS1_11comp_targetILNS1_3genE2ELNS1_11target_archE906ELNS1_3gpuE6ELNS1_3repE0EEENS1_30default_config_static_selectorELNS0_4arch9wavefront6targetE0EEEvSK_.num_vgpr, 0
	.set _ZN7rocprim17ROCPRIM_400000_NS6detail17trampoline_kernelINS0_14default_configENS1_37merge_sort_block_sort_config_selectorIyNS0_10empty_typeEEEZNS1_21merge_sort_block_sortIS3_N6thrust23THRUST_200600_302600_NS6detail15normal_iteratorINS9_10device_ptrIyEEEESE_PS5_SF_9comp_mod3IyEEE10hipError_tT0_T1_T2_T3_mRjT4_P12ihipStream_tbNS1_7vsmem_tEEUlT_E_NS1_11comp_targetILNS1_3genE2ELNS1_11target_archE906ELNS1_3gpuE6ELNS1_3repE0EEENS1_30default_config_static_selectorELNS0_4arch9wavefront6targetE0EEEvSK_.num_agpr, 0
	.set _ZN7rocprim17ROCPRIM_400000_NS6detail17trampoline_kernelINS0_14default_configENS1_37merge_sort_block_sort_config_selectorIyNS0_10empty_typeEEEZNS1_21merge_sort_block_sortIS3_N6thrust23THRUST_200600_302600_NS6detail15normal_iteratorINS9_10device_ptrIyEEEESE_PS5_SF_9comp_mod3IyEEE10hipError_tT0_T1_T2_T3_mRjT4_P12ihipStream_tbNS1_7vsmem_tEEUlT_E_NS1_11comp_targetILNS1_3genE2ELNS1_11target_archE906ELNS1_3gpuE6ELNS1_3repE0EEENS1_30default_config_static_selectorELNS0_4arch9wavefront6targetE0EEEvSK_.numbered_sgpr, 0
	.set _ZN7rocprim17ROCPRIM_400000_NS6detail17trampoline_kernelINS0_14default_configENS1_37merge_sort_block_sort_config_selectorIyNS0_10empty_typeEEEZNS1_21merge_sort_block_sortIS3_N6thrust23THRUST_200600_302600_NS6detail15normal_iteratorINS9_10device_ptrIyEEEESE_PS5_SF_9comp_mod3IyEEE10hipError_tT0_T1_T2_T3_mRjT4_P12ihipStream_tbNS1_7vsmem_tEEUlT_E_NS1_11comp_targetILNS1_3genE2ELNS1_11target_archE906ELNS1_3gpuE6ELNS1_3repE0EEENS1_30default_config_static_selectorELNS0_4arch9wavefront6targetE0EEEvSK_.num_named_barrier, 0
	.set _ZN7rocprim17ROCPRIM_400000_NS6detail17trampoline_kernelINS0_14default_configENS1_37merge_sort_block_sort_config_selectorIyNS0_10empty_typeEEEZNS1_21merge_sort_block_sortIS3_N6thrust23THRUST_200600_302600_NS6detail15normal_iteratorINS9_10device_ptrIyEEEESE_PS5_SF_9comp_mod3IyEEE10hipError_tT0_T1_T2_T3_mRjT4_P12ihipStream_tbNS1_7vsmem_tEEUlT_E_NS1_11comp_targetILNS1_3genE2ELNS1_11target_archE906ELNS1_3gpuE6ELNS1_3repE0EEENS1_30default_config_static_selectorELNS0_4arch9wavefront6targetE0EEEvSK_.private_seg_size, 0
	.set _ZN7rocprim17ROCPRIM_400000_NS6detail17trampoline_kernelINS0_14default_configENS1_37merge_sort_block_sort_config_selectorIyNS0_10empty_typeEEEZNS1_21merge_sort_block_sortIS3_N6thrust23THRUST_200600_302600_NS6detail15normal_iteratorINS9_10device_ptrIyEEEESE_PS5_SF_9comp_mod3IyEEE10hipError_tT0_T1_T2_T3_mRjT4_P12ihipStream_tbNS1_7vsmem_tEEUlT_E_NS1_11comp_targetILNS1_3genE2ELNS1_11target_archE906ELNS1_3gpuE6ELNS1_3repE0EEENS1_30default_config_static_selectorELNS0_4arch9wavefront6targetE0EEEvSK_.uses_vcc, 0
	.set _ZN7rocprim17ROCPRIM_400000_NS6detail17trampoline_kernelINS0_14default_configENS1_37merge_sort_block_sort_config_selectorIyNS0_10empty_typeEEEZNS1_21merge_sort_block_sortIS3_N6thrust23THRUST_200600_302600_NS6detail15normal_iteratorINS9_10device_ptrIyEEEESE_PS5_SF_9comp_mod3IyEEE10hipError_tT0_T1_T2_T3_mRjT4_P12ihipStream_tbNS1_7vsmem_tEEUlT_E_NS1_11comp_targetILNS1_3genE2ELNS1_11target_archE906ELNS1_3gpuE6ELNS1_3repE0EEENS1_30default_config_static_selectorELNS0_4arch9wavefront6targetE0EEEvSK_.uses_flat_scratch, 0
	.set _ZN7rocprim17ROCPRIM_400000_NS6detail17trampoline_kernelINS0_14default_configENS1_37merge_sort_block_sort_config_selectorIyNS0_10empty_typeEEEZNS1_21merge_sort_block_sortIS3_N6thrust23THRUST_200600_302600_NS6detail15normal_iteratorINS9_10device_ptrIyEEEESE_PS5_SF_9comp_mod3IyEEE10hipError_tT0_T1_T2_T3_mRjT4_P12ihipStream_tbNS1_7vsmem_tEEUlT_E_NS1_11comp_targetILNS1_3genE2ELNS1_11target_archE906ELNS1_3gpuE6ELNS1_3repE0EEENS1_30default_config_static_selectorELNS0_4arch9wavefront6targetE0EEEvSK_.has_dyn_sized_stack, 0
	.set _ZN7rocprim17ROCPRIM_400000_NS6detail17trampoline_kernelINS0_14default_configENS1_37merge_sort_block_sort_config_selectorIyNS0_10empty_typeEEEZNS1_21merge_sort_block_sortIS3_N6thrust23THRUST_200600_302600_NS6detail15normal_iteratorINS9_10device_ptrIyEEEESE_PS5_SF_9comp_mod3IyEEE10hipError_tT0_T1_T2_T3_mRjT4_P12ihipStream_tbNS1_7vsmem_tEEUlT_E_NS1_11comp_targetILNS1_3genE2ELNS1_11target_archE906ELNS1_3gpuE6ELNS1_3repE0EEENS1_30default_config_static_selectorELNS0_4arch9wavefront6targetE0EEEvSK_.has_recursion, 0
	.set _ZN7rocprim17ROCPRIM_400000_NS6detail17trampoline_kernelINS0_14default_configENS1_37merge_sort_block_sort_config_selectorIyNS0_10empty_typeEEEZNS1_21merge_sort_block_sortIS3_N6thrust23THRUST_200600_302600_NS6detail15normal_iteratorINS9_10device_ptrIyEEEESE_PS5_SF_9comp_mod3IyEEE10hipError_tT0_T1_T2_T3_mRjT4_P12ihipStream_tbNS1_7vsmem_tEEUlT_E_NS1_11comp_targetILNS1_3genE2ELNS1_11target_archE906ELNS1_3gpuE6ELNS1_3repE0EEENS1_30default_config_static_selectorELNS0_4arch9wavefront6targetE0EEEvSK_.has_indirect_call, 0
	.section	.AMDGPU.csdata,"",@progbits
; Kernel info:
; codeLenInByte = 0
; TotalNumSgprs: 0
; NumVgprs: 0
; ScratchSize: 0
; MemoryBound: 0
; FloatMode: 240
; IeeeMode: 1
; LDSByteSize: 0 bytes/workgroup (compile time only)
; SGPRBlocks: 0
; VGPRBlocks: 0
; NumSGPRsForWavesPerEU: 1
; NumVGPRsForWavesPerEU: 1
; Occupancy: 16
; WaveLimiterHint : 0
; COMPUTE_PGM_RSRC2:SCRATCH_EN: 0
; COMPUTE_PGM_RSRC2:USER_SGPR: 6
; COMPUTE_PGM_RSRC2:TRAP_HANDLER: 0
; COMPUTE_PGM_RSRC2:TGID_X_EN: 1
; COMPUTE_PGM_RSRC2:TGID_Y_EN: 0
; COMPUTE_PGM_RSRC2:TGID_Z_EN: 0
; COMPUTE_PGM_RSRC2:TIDIG_COMP_CNT: 0
	.section	.text._ZN7rocprim17ROCPRIM_400000_NS6detail17trampoline_kernelINS0_14default_configENS1_37merge_sort_block_sort_config_selectorIyNS0_10empty_typeEEEZNS1_21merge_sort_block_sortIS3_N6thrust23THRUST_200600_302600_NS6detail15normal_iteratorINS9_10device_ptrIyEEEESE_PS5_SF_9comp_mod3IyEEE10hipError_tT0_T1_T2_T3_mRjT4_P12ihipStream_tbNS1_7vsmem_tEEUlT_E_NS1_11comp_targetILNS1_3genE10ELNS1_11target_archE1201ELNS1_3gpuE5ELNS1_3repE0EEENS1_30default_config_static_selectorELNS0_4arch9wavefront6targetE0EEEvSK_,"axG",@progbits,_ZN7rocprim17ROCPRIM_400000_NS6detail17trampoline_kernelINS0_14default_configENS1_37merge_sort_block_sort_config_selectorIyNS0_10empty_typeEEEZNS1_21merge_sort_block_sortIS3_N6thrust23THRUST_200600_302600_NS6detail15normal_iteratorINS9_10device_ptrIyEEEESE_PS5_SF_9comp_mod3IyEEE10hipError_tT0_T1_T2_T3_mRjT4_P12ihipStream_tbNS1_7vsmem_tEEUlT_E_NS1_11comp_targetILNS1_3genE10ELNS1_11target_archE1201ELNS1_3gpuE5ELNS1_3repE0EEENS1_30default_config_static_selectorELNS0_4arch9wavefront6targetE0EEEvSK_,comdat
	.protected	_ZN7rocprim17ROCPRIM_400000_NS6detail17trampoline_kernelINS0_14default_configENS1_37merge_sort_block_sort_config_selectorIyNS0_10empty_typeEEEZNS1_21merge_sort_block_sortIS3_N6thrust23THRUST_200600_302600_NS6detail15normal_iteratorINS9_10device_ptrIyEEEESE_PS5_SF_9comp_mod3IyEEE10hipError_tT0_T1_T2_T3_mRjT4_P12ihipStream_tbNS1_7vsmem_tEEUlT_E_NS1_11comp_targetILNS1_3genE10ELNS1_11target_archE1201ELNS1_3gpuE5ELNS1_3repE0EEENS1_30default_config_static_selectorELNS0_4arch9wavefront6targetE0EEEvSK_ ; -- Begin function _ZN7rocprim17ROCPRIM_400000_NS6detail17trampoline_kernelINS0_14default_configENS1_37merge_sort_block_sort_config_selectorIyNS0_10empty_typeEEEZNS1_21merge_sort_block_sortIS3_N6thrust23THRUST_200600_302600_NS6detail15normal_iteratorINS9_10device_ptrIyEEEESE_PS5_SF_9comp_mod3IyEEE10hipError_tT0_T1_T2_T3_mRjT4_P12ihipStream_tbNS1_7vsmem_tEEUlT_E_NS1_11comp_targetILNS1_3genE10ELNS1_11target_archE1201ELNS1_3gpuE5ELNS1_3repE0EEENS1_30default_config_static_selectorELNS0_4arch9wavefront6targetE0EEEvSK_
	.globl	_ZN7rocprim17ROCPRIM_400000_NS6detail17trampoline_kernelINS0_14default_configENS1_37merge_sort_block_sort_config_selectorIyNS0_10empty_typeEEEZNS1_21merge_sort_block_sortIS3_N6thrust23THRUST_200600_302600_NS6detail15normal_iteratorINS9_10device_ptrIyEEEESE_PS5_SF_9comp_mod3IyEEE10hipError_tT0_T1_T2_T3_mRjT4_P12ihipStream_tbNS1_7vsmem_tEEUlT_E_NS1_11comp_targetILNS1_3genE10ELNS1_11target_archE1201ELNS1_3gpuE5ELNS1_3repE0EEENS1_30default_config_static_selectorELNS0_4arch9wavefront6targetE0EEEvSK_
	.p2align	8
	.type	_ZN7rocprim17ROCPRIM_400000_NS6detail17trampoline_kernelINS0_14default_configENS1_37merge_sort_block_sort_config_selectorIyNS0_10empty_typeEEEZNS1_21merge_sort_block_sortIS3_N6thrust23THRUST_200600_302600_NS6detail15normal_iteratorINS9_10device_ptrIyEEEESE_PS5_SF_9comp_mod3IyEEE10hipError_tT0_T1_T2_T3_mRjT4_P12ihipStream_tbNS1_7vsmem_tEEUlT_E_NS1_11comp_targetILNS1_3genE10ELNS1_11target_archE1201ELNS1_3gpuE5ELNS1_3repE0EEENS1_30default_config_static_selectorELNS0_4arch9wavefront6targetE0EEEvSK_,@function
_ZN7rocprim17ROCPRIM_400000_NS6detail17trampoline_kernelINS0_14default_configENS1_37merge_sort_block_sort_config_selectorIyNS0_10empty_typeEEEZNS1_21merge_sort_block_sortIS3_N6thrust23THRUST_200600_302600_NS6detail15normal_iteratorINS9_10device_ptrIyEEEESE_PS5_SF_9comp_mod3IyEEE10hipError_tT0_T1_T2_T3_mRjT4_P12ihipStream_tbNS1_7vsmem_tEEUlT_E_NS1_11comp_targetILNS1_3genE10ELNS1_11target_archE1201ELNS1_3gpuE5ELNS1_3repE0EEENS1_30default_config_static_selectorELNS0_4arch9wavefront6targetE0EEEvSK_: ; @_ZN7rocprim17ROCPRIM_400000_NS6detail17trampoline_kernelINS0_14default_configENS1_37merge_sort_block_sort_config_selectorIyNS0_10empty_typeEEEZNS1_21merge_sort_block_sortIS3_N6thrust23THRUST_200600_302600_NS6detail15normal_iteratorINS9_10device_ptrIyEEEESE_PS5_SF_9comp_mod3IyEEE10hipError_tT0_T1_T2_T3_mRjT4_P12ihipStream_tbNS1_7vsmem_tEEUlT_E_NS1_11comp_targetILNS1_3genE10ELNS1_11target_archE1201ELNS1_3gpuE5ELNS1_3repE0EEENS1_30default_config_static_selectorELNS0_4arch9wavefront6targetE0EEEvSK_
; %bb.0:
	.section	.rodata,"a",@progbits
	.p2align	6, 0x0
	.amdhsa_kernel _ZN7rocprim17ROCPRIM_400000_NS6detail17trampoline_kernelINS0_14default_configENS1_37merge_sort_block_sort_config_selectorIyNS0_10empty_typeEEEZNS1_21merge_sort_block_sortIS3_N6thrust23THRUST_200600_302600_NS6detail15normal_iteratorINS9_10device_ptrIyEEEESE_PS5_SF_9comp_mod3IyEEE10hipError_tT0_T1_T2_T3_mRjT4_P12ihipStream_tbNS1_7vsmem_tEEUlT_E_NS1_11comp_targetILNS1_3genE10ELNS1_11target_archE1201ELNS1_3gpuE5ELNS1_3repE0EEENS1_30default_config_static_selectorELNS0_4arch9wavefront6targetE0EEEvSK_
		.amdhsa_group_segment_fixed_size 0
		.amdhsa_private_segment_fixed_size 0
		.amdhsa_kernarg_size 64
		.amdhsa_user_sgpr_count 6
		.amdhsa_user_sgpr_private_segment_buffer 1
		.amdhsa_user_sgpr_dispatch_ptr 0
		.amdhsa_user_sgpr_queue_ptr 0
		.amdhsa_user_sgpr_kernarg_segment_ptr 1
		.amdhsa_user_sgpr_dispatch_id 0
		.amdhsa_user_sgpr_flat_scratch_init 0
		.amdhsa_user_sgpr_private_segment_size 0
		.amdhsa_wavefront_size32 1
		.amdhsa_uses_dynamic_stack 0
		.amdhsa_system_sgpr_private_segment_wavefront_offset 0
		.amdhsa_system_sgpr_workgroup_id_x 1
		.amdhsa_system_sgpr_workgroup_id_y 0
		.amdhsa_system_sgpr_workgroup_id_z 0
		.amdhsa_system_sgpr_workgroup_info 0
		.amdhsa_system_vgpr_workitem_id 0
		.amdhsa_next_free_vgpr 1
		.amdhsa_next_free_sgpr 1
		.amdhsa_reserve_vcc 0
		.amdhsa_reserve_flat_scratch 0
		.amdhsa_float_round_mode_32 0
		.amdhsa_float_round_mode_16_64 0
		.amdhsa_float_denorm_mode_32 3
		.amdhsa_float_denorm_mode_16_64 3
		.amdhsa_dx10_clamp 1
		.amdhsa_ieee_mode 1
		.amdhsa_fp16_overflow 0
		.amdhsa_workgroup_processor_mode 1
		.amdhsa_memory_ordered 1
		.amdhsa_forward_progress 1
		.amdhsa_shared_vgpr_count 0
		.amdhsa_exception_fp_ieee_invalid_op 0
		.amdhsa_exception_fp_denorm_src 0
		.amdhsa_exception_fp_ieee_div_zero 0
		.amdhsa_exception_fp_ieee_overflow 0
		.amdhsa_exception_fp_ieee_underflow 0
		.amdhsa_exception_fp_ieee_inexact 0
		.amdhsa_exception_int_div_zero 0
	.end_amdhsa_kernel
	.section	.text._ZN7rocprim17ROCPRIM_400000_NS6detail17trampoline_kernelINS0_14default_configENS1_37merge_sort_block_sort_config_selectorIyNS0_10empty_typeEEEZNS1_21merge_sort_block_sortIS3_N6thrust23THRUST_200600_302600_NS6detail15normal_iteratorINS9_10device_ptrIyEEEESE_PS5_SF_9comp_mod3IyEEE10hipError_tT0_T1_T2_T3_mRjT4_P12ihipStream_tbNS1_7vsmem_tEEUlT_E_NS1_11comp_targetILNS1_3genE10ELNS1_11target_archE1201ELNS1_3gpuE5ELNS1_3repE0EEENS1_30default_config_static_selectorELNS0_4arch9wavefront6targetE0EEEvSK_,"axG",@progbits,_ZN7rocprim17ROCPRIM_400000_NS6detail17trampoline_kernelINS0_14default_configENS1_37merge_sort_block_sort_config_selectorIyNS0_10empty_typeEEEZNS1_21merge_sort_block_sortIS3_N6thrust23THRUST_200600_302600_NS6detail15normal_iteratorINS9_10device_ptrIyEEEESE_PS5_SF_9comp_mod3IyEEE10hipError_tT0_T1_T2_T3_mRjT4_P12ihipStream_tbNS1_7vsmem_tEEUlT_E_NS1_11comp_targetILNS1_3genE10ELNS1_11target_archE1201ELNS1_3gpuE5ELNS1_3repE0EEENS1_30default_config_static_selectorELNS0_4arch9wavefront6targetE0EEEvSK_,comdat
.Lfunc_end755:
	.size	_ZN7rocprim17ROCPRIM_400000_NS6detail17trampoline_kernelINS0_14default_configENS1_37merge_sort_block_sort_config_selectorIyNS0_10empty_typeEEEZNS1_21merge_sort_block_sortIS3_N6thrust23THRUST_200600_302600_NS6detail15normal_iteratorINS9_10device_ptrIyEEEESE_PS5_SF_9comp_mod3IyEEE10hipError_tT0_T1_T2_T3_mRjT4_P12ihipStream_tbNS1_7vsmem_tEEUlT_E_NS1_11comp_targetILNS1_3genE10ELNS1_11target_archE1201ELNS1_3gpuE5ELNS1_3repE0EEENS1_30default_config_static_selectorELNS0_4arch9wavefront6targetE0EEEvSK_, .Lfunc_end755-_ZN7rocprim17ROCPRIM_400000_NS6detail17trampoline_kernelINS0_14default_configENS1_37merge_sort_block_sort_config_selectorIyNS0_10empty_typeEEEZNS1_21merge_sort_block_sortIS3_N6thrust23THRUST_200600_302600_NS6detail15normal_iteratorINS9_10device_ptrIyEEEESE_PS5_SF_9comp_mod3IyEEE10hipError_tT0_T1_T2_T3_mRjT4_P12ihipStream_tbNS1_7vsmem_tEEUlT_E_NS1_11comp_targetILNS1_3genE10ELNS1_11target_archE1201ELNS1_3gpuE5ELNS1_3repE0EEENS1_30default_config_static_selectorELNS0_4arch9wavefront6targetE0EEEvSK_
                                        ; -- End function
	.set _ZN7rocprim17ROCPRIM_400000_NS6detail17trampoline_kernelINS0_14default_configENS1_37merge_sort_block_sort_config_selectorIyNS0_10empty_typeEEEZNS1_21merge_sort_block_sortIS3_N6thrust23THRUST_200600_302600_NS6detail15normal_iteratorINS9_10device_ptrIyEEEESE_PS5_SF_9comp_mod3IyEEE10hipError_tT0_T1_T2_T3_mRjT4_P12ihipStream_tbNS1_7vsmem_tEEUlT_E_NS1_11comp_targetILNS1_3genE10ELNS1_11target_archE1201ELNS1_3gpuE5ELNS1_3repE0EEENS1_30default_config_static_selectorELNS0_4arch9wavefront6targetE0EEEvSK_.num_vgpr, 0
	.set _ZN7rocprim17ROCPRIM_400000_NS6detail17trampoline_kernelINS0_14default_configENS1_37merge_sort_block_sort_config_selectorIyNS0_10empty_typeEEEZNS1_21merge_sort_block_sortIS3_N6thrust23THRUST_200600_302600_NS6detail15normal_iteratorINS9_10device_ptrIyEEEESE_PS5_SF_9comp_mod3IyEEE10hipError_tT0_T1_T2_T3_mRjT4_P12ihipStream_tbNS1_7vsmem_tEEUlT_E_NS1_11comp_targetILNS1_3genE10ELNS1_11target_archE1201ELNS1_3gpuE5ELNS1_3repE0EEENS1_30default_config_static_selectorELNS0_4arch9wavefront6targetE0EEEvSK_.num_agpr, 0
	.set _ZN7rocprim17ROCPRIM_400000_NS6detail17trampoline_kernelINS0_14default_configENS1_37merge_sort_block_sort_config_selectorIyNS0_10empty_typeEEEZNS1_21merge_sort_block_sortIS3_N6thrust23THRUST_200600_302600_NS6detail15normal_iteratorINS9_10device_ptrIyEEEESE_PS5_SF_9comp_mod3IyEEE10hipError_tT0_T1_T2_T3_mRjT4_P12ihipStream_tbNS1_7vsmem_tEEUlT_E_NS1_11comp_targetILNS1_3genE10ELNS1_11target_archE1201ELNS1_3gpuE5ELNS1_3repE0EEENS1_30default_config_static_selectorELNS0_4arch9wavefront6targetE0EEEvSK_.numbered_sgpr, 0
	.set _ZN7rocprim17ROCPRIM_400000_NS6detail17trampoline_kernelINS0_14default_configENS1_37merge_sort_block_sort_config_selectorIyNS0_10empty_typeEEEZNS1_21merge_sort_block_sortIS3_N6thrust23THRUST_200600_302600_NS6detail15normal_iteratorINS9_10device_ptrIyEEEESE_PS5_SF_9comp_mod3IyEEE10hipError_tT0_T1_T2_T3_mRjT4_P12ihipStream_tbNS1_7vsmem_tEEUlT_E_NS1_11comp_targetILNS1_3genE10ELNS1_11target_archE1201ELNS1_3gpuE5ELNS1_3repE0EEENS1_30default_config_static_selectorELNS0_4arch9wavefront6targetE0EEEvSK_.num_named_barrier, 0
	.set _ZN7rocprim17ROCPRIM_400000_NS6detail17trampoline_kernelINS0_14default_configENS1_37merge_sort_block_sort_config_selectorIyNS0_10empty_typeEEEZNS1_21merge_sort_block_sortIS3_N6thrust23THRUST_200600_302600_NS6detail15normal_iteratorINS9_10device_ptrIyEEEESE_PS5_SF_9comp_mod3IyEEE10hipError_tT0_T1_T2_T3_mRjT4_P12ihipStream_tbNS1_7vsmem_tEEUlT_E_NS1_11comp_targetILNS1_3genE10ELNS1_11target_archE1201ELNS1_3gpuE5ELNS1_3repE0EEENS1_30default_config_static_selectorELNS0_4arch9wavefront6targetE0EEEvSK_.private_seg_size, 0
	.set _ZN7rocprim17ROCPRIM_400000_NS6detail17trampoline_kernelINS0_14default_configENS1_37merge_sort_block_sort_config_selectorIyNS0_10empty_typeEEEZNS1_21merge_sort_block_sortIS3_N6thrust23THRUST_200600_302600_NS6detail15normal_iteratorINS9_10device_ptrIyEEEESE_PS5_SF_9comp_mod3IyEEE10hipError_tT0_T1_T2_T3_mRjT4_P12ihipStream_tbNS1_7vsmem_tEEUlT_E_NS1_11comp_targetILNS1_3genE10ELNS1_11target_archE1201ELNS1_3gpuE5ELNS1_3repE0EEENS1_30default_config_static_selectorELNS0_4arch9wavefront6targetE0EEEvSK_.uses_vcc, 0
	.set _ZN7rocprim17ROCPRIM_400000_NS6detail17trampoline_kernelINS0_14default_configENS1_37merge_sort_block_sort_config_selectorIyNS0_10empty_typeEEEZNS1_21merge_sort_block_sortIS3_N6thrust23THRUST_200600_302600_NS6detail15normal_iteratorINS9_10device_ptrIyEEEESE_PS5_SF_9comp_mod3IyEEE10hipError_tT0_T1_T2_T3_mRjT4_P12ihipStream_tbNS1_7vsmem_tEEUlT_E_NS1_11comp_targetILNS1_3genE10ELNS1_11target_archE1201ELNS1_3gpuE5ELNS1_3repE0EEENS1_30default_config_static_selectorELNS0_4arch9wavefront6targetE0EEEvSK_.uses_flat_scratch, 0
	.set _ZN7rocprim17ROCPRIM_400000_NS6detail17trampoline_kernelINS0_14default_configENS1_37merge_sort_block_sort_config_selectorIyNS0_10empty_typeEEEZNS1_21merge_sort_block_sortIS3_N6thrust23THRUST_200600_302600_NS6detail15normal_iteratorINS9_10device_ptrIyEEEESE_PS5_SF_9comp_mod3IyEEE10hipError_tT0_T1_T2_T3_mRjT4_P12ihipStream_tbNS1_7vsmem_tEEUlT_E_NS1_11comp_targetILNS1_3genE10ELNS1_11target_archE1201ELNS1_3gpuE5ELNS1_3repE0EEENS1_30default_config_static_selectorELNS0_4arch9wavefront6targetE0EEEvSK_.has_dyn_sized_stack, 0
	.set _ZN7rocprim17ROCPRIM_400000_NS6detail17trampoline_kernelINS0_14default_configENS1_37merge_sort_block_sort_config_selectorIyNS0_10empty_typeEEEZNS1_21merge_sort_block_sortIS3_N6thrust23THRUST_200600_302600_NS6detail15normal_iteratorINS9_10device_ptrIyEEEESE_PS5_SF_9comp_mod3IyEEE10hipError_tT0_T1_T2_T3_mRjT4_P12ihipStream_tbNS1_7vsmem_tEEUlT_E_NS1_11comp_targetILNS1_3genE10ELNS1_11target_archE1201ELNS1_3gpuE5ELNS1_3repE0EEENS1_30default_config_static_selectorELNS0_4arch9wavefront6targetE0EEEvSK_.has_recursion, 0
	.set _ZN7rocprim17ROCPRIM_400000_NS6detail17trampoline_kernelINS0_14default_configENS1_37merge_sort_block_sort_config_selectorIyNS0_10empty_typeEEEZNS1_21merge_sort_block_sortIS3_N6thrust23THRUST_200600_302600_NS6detail15normal_iteratorINS9_10device_ptrIyEEEESE_PS5_SF_9comp_mod3IyEEE10hipError_tT0_T1_T2_T3_mRjT4_P12ihipStream_tbNS1_7vsmem_tEEUlT_E_NS1_11comp_targetILNS1_3genE10ELNS1_11target_archE1201ELNS1_3gpuE5ELNS1_3repE0EEENS1_30default_config_static_selectorELNS0_4arch9wavefront6targetE0EEEvSK_.has_indirect_call, 0
	.section	.AMDGPU.csdata,"",@progbits
; Kernel info:
; codeLenInByte = 0
; TotalNumSgprs: 0
; NumVgprs: 0
; ScratchSize: 0
; MemoryBound: 0
; FloatMode: 240
; IeeeMode: 1
; LDSByteSize: 0 bytes/workgroup (compile time only)
; SGPRBlocks: 0
; VGPRBlocks: 0
; NumSGPRsForWavesPerEU: 1
; NumVGPRsForWavesPerEU: 1
; Occupancy: 16
; WaveLimiterHint : 0
; COMPUTE_PGM_RSRC2:SCRATCH_EN: 0
; COMPUTE_PGM_RSRC2:USER_SGPR: 6
; COMPUTE_PGM_RSRC2:TRAP_HANDLER: 0
; COMPUTE_PGM_RSRC2:TGID_X_EN: 1
; COMPUTE_PGM_RSRC2:TGID_Y_EN: 0
; COMPUTE_PGM_RSRC2:TGID_Z_EN: 0
; COMPUTE_PGM_RSRC2:TIDIG_COMP_CNT: 0
	.section	.text._ZN7rocprim17ROCPRIM_400000_NS6detail17trampoline_kernelINS0_14default_configENS1_37merge_sort_block_sort_config_selectorIyNS0_10empty_typeEEEZNS1_21merge_sort_block_sortIS3_N6thrust23THRUST_200600_302600_NS6detail15normal_iteratorINS9_10device_ptrIyEEEESE_PS5_SF_9comp_mod3IyEEE10hipError_tT0_T1_T2_T3_mRjT4_P12ihipStream_tbNS1_7vsmem_tEEUlT_E_NS1_11comp_targetILNS1_3genE10ELNS1_11target_archE1200ELNS1_3gpuE4ELNS1_3repE0EEENS1_30default_config_static_selectorELNS0_4arch9wavefront6targetE0EEEvSK_,"axG",@progbits,_ZN7rocprim17ROCPRIM_400000_NS6detail17trampoline_kernelINS0_14default_configENS1_37merge_sort_block_sort_config_selectorIyNS0_10empty_typeEEEZNS1_21merge_sort_block_sortIS3_N6thrust23THRUST_200600_302600_NS6detail15normal_iteratorINS9_10device_ptrIyEEEESE_PS5_SF_9comp_mod3IyEEE10hipError_tT0_T1_T2_T3_mRjT4_P12ihipStream_tbNS1_7vsmem_tEEUlT_E_NS1_11comp_targetILNS1_3genE10ELNS1_11target_archE1200ELNS1_3gpuE4ELNS1_3repE0EEENS1_30default_config_static_selectorELNS0_4arch9wavefront6targetE0EEEvSK_,comdat
	.protected	_ZN7rocprim17ROCPRIM_400000_NS6detail17trampoline_kernelINS0_14default_configENS1_37merge_sort_block_sort_config_selectorIyNS0_10empty_typeEEEZNS1_21merge_sort_block_sortIS3_N6thrust23THRUST_200600_302600_NS6detail15normal_iteratorINS9_10device_ptrIyEEEESE_PS5_SF_9comp_mod3IyEEE10hipError_tT0_T1_T2_T3_mRjT4_P12ihipStream_tbNS1_7vsmem_tEEUlT_E_NS1_11comp_targetILNS1_3genE10ELNS1_11target_archE1200ELNS1_3gpuE4ELNS1_3repE0EEENS1_30default_config_static_selectorELNS0_4arch9wavefront6targetE0EEEvSK_ ; -- Begin function _ZN7rocprim17ROCPRIM_400000_NS6detail17trampoline_kernelINS0_14default_configENS1_37merge_sort_block_sort_config_selectorIyNS0_10empty_typeEEEZNS1_21merge_sort_block_sortIS3_N6thrust23THRUST_200600_302600_NS6detail15normal_iteratorINS9_10device_ptrIyEEEESE_PS5_SF_9comp_mod3IyEEE10hipError_tT0_T1_T2_T3_mRjT4_P12ihipStream_tbNS1_7vsmem_tEEUlT_E_NS1_11comp_targetILNS1_3genE10ELNS1_11target_archE1200ELNS1_3gpuE4ELNS1_3repE0EEENS1_30default_config_static_selectorELNS0_4arch9wavefront6targetE0EEEvSK_
	.globl	_ZN7rocprim17ROCPRIM_400000_NS6detail17trampoline_kernelINS0_14default_configENS1_37merge_sort_block_sort_config_selectorIyNS0_10empty_typeEEEZNS1_21merge_sort_block_sortIS3_N6thrust23THRUST_200600_302600_NS6detail15normal_iteratorINS9_10device_ptrIyEEEESE_PS5_SF_9comp_mod3IyEEE10hipError_tT0_T1_T2_T3_mRjT4_P12ihipStream_tbNS1_7vsmem_tEEUlT_E_NS1_11comp_targetILNS1_3genE10ELNS1_11target_archE1200ELNS1_3gpuE4ELNS1_3repE0EEENS1_30default_config_static_selectorELNS0_4arch9wavefront6targetE0EEEvSK_
	.p2align	8
	.type	_ZN7rocprim17ROCPRIM_400000_NS6detail17trampoline_kernelINS0_14default_configENS1_37merge_sort_block_sort_config_selectorIyNS0_10empty_typeEEEZNS1_21merge_sort_block_sortIS3_N6thrust23THRUST_200600_302600_NS6detail15normal_iteratorINS9_10device_ptrIyEEEESE_PS5_SF_9comp_mod3IyEEE10hipError_tT0_T1_T2_T3_mRjT4_P12ihipStream_tbNS1_7vsmem_tEEUlT_E_NS1_11comp_targetILNS1_3genE10ELNS1_11target_archE1200ELNS1_3gpuE4ELNS1_3repE0EEENS1_30default_config_static_selectorELNS0_4arch9wavefront6targetE0EEEvSK_,@function
_ZN7rocprim17ROCPRIM_400000_NS6detail17trampoline_kernelINS0_14default_configENS1_37merge_sort_block_sort_config_selectorIyNS0_10empty_typeEEEZNS1_21merge_sort_block_sortIS3_N6thrust23THRUST_200600_302600_NS6detail15normal_iteratorINS9_10device_ptrIyEEEESE_PS5_SF_9comp_mod3IyEEE10hipError_tT0_T1_T2_T3_mRjT4_P12ihipStream_tbNS1_7vsmem_tEEUlT_E_NS1_11comp_targetILNS1_3genE10ELNS1_11target_archE1200ELNS1_3gpuE4ELNS1_3repE0EEENS1_30default_config_static_selectorELNS0_4arch9wavefront6targetE0EEEvSK_: ; @_ZN7rocprim17ROCPRIM_400000_NS6detail17trampoline_kernelINS0_14default_configENS1_37merge_sort_block_sort_config_selectorIyNS0_10empty_typeEEEZNS1_21merge_sort_block_sortIS3_N6thrust23THRUST_200600_302600_NS6detail15normal_iteratorINS9_10device_ptrIyEEEESE_PS5_SF_9comp_mod3IyEEE10hipError_tT0_T1_T2_T3_mRjT4_P12ihipStream_tbNS1_7vsmem_tEEUlT_E_NS1_11comp_targetILNS1_3genE10ELNS1_11target_archE1200ELNS1_3gpuE4ELNS1_3repE0EEENS1_30default_config_static_selectorELNS0_4arch9wavefront6targetE0EEEvSK_
; %bb.0:
	.section	.rodata,"a",@progbits
	.p2align	6, 0x0
	.amdhsa_kernel _ZN7rocprim17ROCPRIM_400000_NS6detail17trampoline_kernelINS0_14default_configENS1_37merge_sort_block_sort_config_selectorIyNS0_10empty_typeEEEZNS1_21merge_sort_block_sortIS3_N6thrust23THRUST_200600_302600_NS6detail15normal_iteratorINS9_10device_ptrIyEEEESE_PS5_SF_9comp_mod3IyEEE10hipError_tT0_T1_T2_T3_mRjT4_P12ihipStream_tbNS1_7vsmem_tEEUlT_E_NS1_11comp_targetILNS1_3genE10ELNS1_11target_archE1200ELNS1_3gpuE4ELNS1_3repE0EEENS1_30default_config_static_selectorELNS0_4arch9wavefront6targetE0EEEvSK_
		.amdhsa_group_segment_fixed_size 0
		.amdhsa_private_segment_fixed_size 0
		.amdhsa_kernarg_size 64
		.amdhsa_user_sgpr_count 6
		.amdhsa_user_sgpr_private_segment_buffer 1
		.amdhsa_user_sgpr_dispatch_ptr 0
		.amdhsa_user_sgpr_queue_ptr 0
		.amdhsa_user_sgpr_kernarg_segment_ptr 1
		.amdhsa_user_sgpr_dispatch_id 0
		.amdhsa_user_sgpr_flat_scratch_init 0
		.amdhsa_user_sgpr_private_segment_size 0
		.amdhsa_wavefront_size32 1
		.amdhsa_uses_dynamic_stack 0
		.amdhsa_system_sgpr_private_segment_wavefront_offset 0
		.amdhsa_system_sgpr_workgroup_id_x 1
		.amdhsa_system_sgpr_workgroup_id_y 0
		.amdhsa_system_sgpr_workgroup_id_z 0
		.amdhsa_system_sgpr_workgroup_info 0
		.amdhsa_system_vgpr_workitem_id 0
		.amdhsa_next_free_vgpr 1
		.amdhsa_next_free_sgpr 1
		.amdhsa_reserve_vcc 0
		.amdhsa_reserve_flat_scratch 0
		.amdhsa_float_round_mode_32 0
		.amdhsa_float_round_mode_16_64 0
		.amdhsa_float_denorm_mode_32 3
		.amdhsa_float_denorm_mode_16_64 3
		.amdhsa_dx10_clamp 1
		.amdhsa_ieee_mode 1
		.amdhsa_fp16_overflow 0
		.amdhsa_workgroup_processor_mode 1
		.amdhsa_memory_ordered 1
		.amdhsa_forward_progress 1
		.amdhsa_shared_vgpr_count 0
		.amdhsa_exception_fp_ieee_invalid_op 0
		.amdhsa_exception_fp_denorm_src 0
		.amdhsa_exception_fp_ieee_div_zero 0
		.amdhsa_exception_fp_ieee_overflow 0
		.amdhsa_exception_fp_ieee_underflow 0
		.amdhsa_exception_fp_ieee_inexact 0
		.amdhsa_exception_int_div_zero 0
	.end_amdhsa_kernel
	.section	.text._ZN7rocprim17ROCPRIM_400000_NS6detail17trampoline_kernelINS0_14default_configENS1_37merge_sort_block_sort_config_selectorIyNS0_10empty_typeEEEZNS1_21merge_sort_block_sortIS3_N6thrust23THRUST_200600_302600_NS6detail15normal_iteratorINS9_10device_ptrIyEEEESE_PS5_SF_9comp_mod3IyEEE10hipError_tT0_T1_T2_T3_mRjT4_P12ihipStream_tbNS1_7vsmem_tEEUlT_E_NS1_11comp_targetILNS1_3genE10ELNS1_11target_archE1200ELNS1_3gpuE4ELNS1_3repE0EEENS1_30default_config_static_selectorELNS0_4arch9wavefront6targetE0EEEvSK_,"axG",@progbits,_ZN7rocprim17ROCPRIM_400000_NS6detail17trampoline_kernelINS0_14default_configENS1_37merge_sort_block_sort_config_selectorIyNS0_10empty_typeEEEZNS1_21merge_sort_block_sortIS3_N6thrust23THRUST_200600_302600_NS6detail15normal_iteratorINS9_10device_ptrIyEEEESE_PS5_SF_9comp_mod3IyEEE10hipError_tT0_T1_T2_T3_mRjT4_P12ihipStream_tbNS1_7vsmem_tEEUlT_E_NS1_11comp_targetILNS1_3genE10ELNS1_11target_archE1200ELNS1_3gpuE4ELNS1_3repE0EEENS1_30default_config_static_selectorELNS0_4arch9wavefront6targetE0EEEvSK_,comdat
.Lfunc_end756:
	.size	_ZN7rocprim17ROCPRIM_400000_NS6detail17trampoline_kernelINS0_14default_configENS1_37merge_sort_block_sort_config_selectorIyNS0_10empty_typeEEEZNS1_21merge_sort_block_sortIS3_N6thrust23THRUST_200600_302600_NS6detail15normal_iteratorINS9_10device_ptrIyEEEESE_PS5_SF_9comp_mod3IyEEE10hipError_tT0_T1_T2_T3_mRjT4_P12ihipStream_tbNS1_7vsmem_tEEUlT_E_NS1_11comp_targetILNS1_3genE10ELNS1_11target_archE1200ELNS1_3gpuE4ELNS1_3repE0EEENS1_30default_config_static_selectorELNS0_4arch9wavefront6targetE0EEEvSK_, .Lfunc_end756-_ZN7rocprim17ROCPRIM_400000_NS6detail17trampoline_kernelINS0_14default_configENS1_37merge_sort_block_sort_config_selectorIyNS0_10empty_typeEEEZNS1_21merge_sort_block_sortIS3_N6thrust23THRUST_200600_302600_NS6detail15normal_iteratorINS9_10device_ptrIyEEEESE_PS5_SF_9comp_mod3IyEEE10hipError_tT0_T1_T2_T3_mRjT4_P12ihipStream_tbNS1_7vsmem_tEEUlT_E_NS1_11comp_targetILNS1_3genE10ELNS1_11target_archE1200ELNS1_3gpuE4ELNS1_3repE0EEENS1_30default_config_static_selectorELNS0_4arch9wavefront6targetE0EEEvSK_
                                        ; -- End function
	.set _ZN7rocprim17ROCPRIM_400000_NS6detail17trampoline_kernelINS0_14default_configENS1_37merge_sort_block_sort_config_selectorIyNS0_10empty_typeEEEZNS1_21merge_sort_block_sortIS3_N6thrust23THRUST_200600_302600_NS6detail15normal_iteratorINS9_10device_ptrIyEEEESE_PS5_SF_9comp_mod3IyEEE10hipError_tT0_T1_T2_T3_mRjT4_P12ihipStream_tbNS1_7vsmem_tEEUlT_E_NS1_11comp_targetILNS1_3genE10ELNS1_11target_archE1200ELNS1_3gpuE4ELNS1_3repE0EEENS1_30default_config_static_selectorELNS0_4arch9wavefront6targetE0EEEvSK_.num_vgpr, 0
	.set _ZN7rocprim17ROCPRIM_400000_NS6detail17trampoline_kernelINS0_14default_configENS1_37merge_sort_block_sort_config_selectorIyNS0_10empty_typeEEEZNS1_21merge_sort_block_sortIS3_N6thrust23THRUST_200600_302600_NS6detail15normal_iteratorINS9_10device_ptrIyEEEESE_PS5_SF_9comp_mod3IyEEE10hipError_tT0_T1_T2_T3_mRjT4_P12ihipStream_tbNS1_7vsmem_tEEUlT_E_NS1_11comp_targetILNS1_3genE10ELNS1_11target_archE1200ELNS1_3gpuE4ELNS1_3repE0EEENS1_30default_config_static_selectorELNS0_4arch9wavefront6targetE0EEEvSK_.num_agpr, 0
	.set _ZN7rocprim17ROCPRIM_400000_NS6detail17trampoline_kernelINS0_14default_configENS1_37merge_sort_block_sort_config_selectorIyNS0_10empty_typeEEEZNS1_21merge_sort_block_sortIS3_N6thrust23THRUST_200600_302600_NS6detail15normal_iteratorINS9_10device_ptrIyEEEESE_PS5_SF_9comp_mod3IyEEE10hipError_tT0_T1_T2_T3_mRjT4_P12ihipStream_tbNS1_7vsmem_tEEUlT_E_NS1_11comp_targetILNS1_3genE10ELNS1_11target_archE1200ELNS1_3gpuE4ELNS1_3repE0EEENS1_30default_config_static_selectorELNS0_4arch9wavefront6targetE0EEEvSK_.numbered_sgpr, 0
	.set _ZN7rocprim17ROCPRIM_400000_NS6detail17trampoline_kernelINS0_14default_configENS1_37merge_sort_block_sort_config_selectorIyNS0_10empty_typeEEEZNS1_21merge_sort_block_sortIS3_N6thrust23THRUST_200600_302600_NS6detail15normal_iteratorINS9_10device_ptrIyEEEESE_PS5_SF_9comp_mod3IyEEE10hipError_tT0_T1_T2_T3_mRjT4_P12ihipStream_tbNS1_7vsmem_tEEUlT_E_NS1_11comp_targetILNS1_3genE10ELNS1_11target_archE1200ELNS1_3gpuE4ELNS1_3repE0EEENS1_30default_config_static_selectorELNS0_4arch9wavefront6targetE0EEEvSK_.num_named_barrier, 0
	.set _ZN7rocprim17ROCPRIM_400000_NS6detail17trampoline_kernelINS0_14default_configENS1_37merge_sort_block_sort_config_selectorIyNS0_10empty_typeEEEZNS1_21merge_sort_block_sortIS3_N6thrust23THRUST_200600_302600_NS6detail15normal_iteratorINS9_10device_ptrIyEEEESE_PS5_SF_9comp_mod3IyEEE10hipError_tT0_T1_T2_T3_mRjT4_P12ihipStream_tbNS1_7vsmem_tEEUlT_E_NS1_11comp_targetILNS1_3genE10ELNS1_11target_archE1200ELNS1_3gpuE4ELNS1_3repE0EEENS1_30default_config_static_selectorELNS0_4arch9wavefront6targetE0EEEvSK_.private_seg_size, 0
	.set _ZN7rocprim17ROCPRIM_400000_NS6detail17trampoline_kernelINS0_14default_configENS1_37merge_sort_block_sort_config_selectorIyNS0_10empty_typeEEEZNS1_21merge_sort_block_sortIS3_N6thrust23THRUST_200600_302600_NS6detail15normal_iteratorINS9_10device_ptrIyEEEESE_PS5_SF_9comp_mod3IyEEE10hipError_tT0_T1_T2_T3_mRjT4_P12ihipStream_tbNS1_7vsmem_tEEUlT_E_NS1_11comp_targetILNS1_3genE10ELNS1_11target_archE1200ELNS1_3gpuE4ELNS1_3repE0EEENS1_30default_config_static_selectorELNS0_4arch9wavefront6targetE0EEEvSK_.uses_vcc, 0
	.set _ZN7rocprim17ROCPRIM_400000_NS6detail17trampoline_kernelINS0_14default_configENS1_37merge_sort_block_sort_config_selectorIyNS0_10empty_typeEEEZNS1_21merge_sort_block_sortIS3_N6thrust23THRUST_200600_302600_NS6detail15normal_iteratorINS9_10device_ptrIyEEEESE_PS5_SF_9comp_mod3IyEEE10hipError_tT0_T1_T2_T3_mRjT4_P12ihipStream_tbNS1_7vsmem_tEEUlT_E_NS1_11comp_targetILNS1_3genE10ELNS1_11target_archE1200ELNS1_3gpuE4ELNS1_3repE0EEENS1_30default_config_static_selectorELNS0_4arch9wavefront6targetE0EEEvSK_.uses_flat_scratch, 0
	.set _ZN7rocprim17ROCPRIM_400000_NS6detail17trampoline_kernelINS0_14default_configENS1_37merge_sort_block_sort_config_selectorIyNS0_10empty_typeEEEZNS1_21merge_sort_block_sortIS3_N6thrust23THRUST_200600_302600_NS6detail15normal_iteratorINS9_10device_ptrIyEEEESE_PS5_SF_9comp_mod3IyEEE10hipError_tT0_T1_T2_T3_mRjT4_P12ihipStream_tbNS1_7vsmem_tEEUlT_E_NS1_11comp_targetILNS1_3genE10ELNS1_11target_archE1200ELNS1_3gpuE4ELNS1_3repE0EEENS1_30default_config_static_selectorELNS0_4arch9wavefront6targetE0EEEvSK_.has_dyn_sized_stack, 0
	.set _ZN7rocprim17ROCPRIM_400000_NS6detail17trampoline_kernelINS0_14default_configENS1_37merge_sort_block_sort_config_selectorIyNS0_10empty_typeEEEZNS1_21merge_sort_block_sortIS3_N6thrust23THRUST_200600_302600_NS6detail15normal_iteratorINS9_10device_ptrIyEEEESE_PS5_SF_9comp_mod3IyEEE10hipError_tT0_T1_T2_T3_mRjT4_P12ihipStream_tbNS1_7vsmem_tEEUlT_E_NS1_11comp_targetILNS1_3genE10ELNS1_11target_archE1200ELNS1_3gpuE4ELNS1_3repE0EEENS1_30default_config_static_selectorELNS0_4arch9wavefront6targetE0EEEvSK_.has_recursion, 0
	.set _ZN7rocprim17ROCPRIM_400000_NS6detail17trampoline_kernelINS0_14default_configENS1_37merge_sort_block_sort_config_selectorIyNS0_10empty_typeEEEZNS1_21merge_sort_block_sortIS3_N6thrust23THRUST_200600_302600_NS6detail15normal_iteratorINS9_10device_ptrIyEEEESE_PS5_SF_9comp_mod3IyEEE10hipError_tT0_T1_T2_T3_mRjT4_P12ihipStream_tbNS1_7vsmem_tEEUlT_E_NS1_11comp_targetILNS1_3genE10ELNS1_11target_archE1200ELNS1_3gpuE4ELNS1_3repE0EEENS1_30default_config_static_selectorELNS0_4arch9wavefront6targetE0EEEvSK_.has_indirect_call, 0
	.section	.AMDGPU.csdata,"",@progbits
; Kernel info:
; codeLenInByte = 0
; TotalNumSgprs: 0
; NumVgprs: 0
; ScratchSize: 0
; MemoryBound: 0
; FloatMode: 240
; IeeeMode: 1
; LDSByteSize: 0 bytes/workgroup (compile time only)
; SGPRBlocks: 0
; VGPRBlocks: 0
; NumSGPRsForWavesPerEU: 1
; NumVGPRsForWavesPerEU: 1
; Occupancy: 16
; WaveLimiterHint : 0
; COMPUTE_PGM_RSRC2:SCRATCH_EN: 0
; COMPUTE_PGM_RSRC2:USER_SGPR: 6
; COMPUTE_PGM_RSRC2:TRAP_HANDLER: 0
; COMPUTE_PGM_RSRC2:TGID_X_EN: 1
; COMPUTE_PGM_RSRC2:TGID_Y_EN: 0
; COMPUTE_PGM_RSRC2:TGID_Z_EN: 0
; COMPUTE_PGM_RSRC2:TIDIG_COMP_CNT: 0
	.section	.text._ZN7rocprim17ROCPRIM_400000_NS6detail17trampoline_kernelINS0_14default_configENS1_37merge_sort_block_sort_config_selectorIyNS0_10empty_typeEEEZNS1_21merge_sort_block_sortIS3_N6thrust23THRUST_200600_302600_NS6detail15normal_iteratorINS9_10device_ptrIyEEEESE_PS5_SF_9comp_mod3IyEEE10hipError_tT0_T1_T2_T3_mRjT4_P12ihipStream_tbNS1_7vsmem_tEEUlT_E_NS1_11comp_targetILNS1_3genE9ELNS1_11target_archE1100ELNS1_3gpuE3ELNS1_3repE0EEENS1_30default_config_static_selectorELNS0_4arch9wavefront6targetE0EEEvSK_,"axG",@progbits,_ZN7rocprim17ROCPRIM_400000_NS6detail17trampoline_kernelINS0_14default_configENS1_37merge_sort_block_sort_config_selectorIyNS0_10empty_typeEEEZNS1_21merge_sort_block_sortIS3_N6thrust23THRUST_200600_302600_NS6detail15normal_iteratorINS9_10device_ptrIyEEEESE_PS5_SF_9comp_mod3IyEEE10hipError_tT0_T1_T2_T3_mRjT4_P12ihipStream_tbNS1_7vsmem_tEEUlT_E_NS1_11comp_targetILNS1_3genE9ELNS1_11target_archE1100ELNS1_3gpuE3ELNS1_3repE0EEENS1_30default_config_static_selectorELNS0_4arch9wavefront6targetE0EEEvSK_,comdat
	.protected	_ZN7rocprim17ROCPRIM_400000_NS6detail17trampoline_kernelINS0_14default_configENS1_37merge_sort_block_sort_config_selectorIyNS0_10empty_typeEEEZNS1_21merge_sort_block_sortIS3_N6thrust23THRUST_200600_302600_NS6detail15normal_iteratorINS9_10device_ptrIyEEEESE_PS5_SF_9comp_mod3IyEEE10hipError_tT0_T1_T2_T3_mRjT4_P12ihipStream_tbNS1_7vsmem_tEEUlT_E_NS1_11comp_targetILNS1_3genE9ELNS1_11target_archE1100ELNS1_3gpuE3ELNS1_3repE0EEENS1_30default_config_static_selectorELNS0_4arch9wavefront6targetE0EEEvSK_ ; -- Begin function _ZN7rocprim17ROCPRIM_400000_NS6detail17trampoline_kernelINS0_14default_configENS1_37merge_sort_block_sort_config_selectorIyNS0_10empty_typeEEEZNS1_21merge_sort_block_sortIS3_N6thrust23THRUST_200600_302600_NS6detail15normal_iteratorINS9_10device_ptrIyEEEESE_PS5_SF_9comp_mod3IyEEE10hipError_tT0_T1_T2_T3_mRjT4_P12ihipStream_tbNS1_7vsmem_tEEUlT_E_NS1_11comp_targetILNS1_3genE9ELNS1_11target_archE1100ELNS1_3gpuE3ELNS1_3repE0EEENS1_30default_config_static_selectorELNS0_4arch9wavefront6targetE0EEEvSK_
	.globl	_ZN7rocprim17ROCPRIM_400000_NS6detail17trampoline_kernelINS0_14default_configENS1_37merge_sort_block_sort_config_selectorIyNS0_10empty_typeEEEZNS1_21merge_sort_block_sortIS3_N6thrust23THRUST_200600_302600_NS6detail15normal_iteratorINS9_10device_ptrIyEEEESE_PS5_SF_9comp_mod3IyEEE10hipError_tT0_T1_T2_T3_mRjT4_P12ihipStream_tbNS1_7vsmem_tEEUlT_E_NS1_11comp_targetILNS1_3genE9ELNS1_11target_archE1100ELNS1_3gpuE3ELNS1_3repE0EEENS1_30default_config_static_selectorELNS0_4arch9wavefront6targetE0EEEvSK_
	.p2align	8
	.type	_ZN7rocprim17ROCPRIM_400000_NS6detail17trampoline_kernelINS0_14default_configENS1_37merge_sort_block_sort_config_selectorIyNS0_10empty_typeEEEZNS1_21merge_sort_block_sortIS3_N6thrust23THRUST_200600_302600_NS6detail15normal_iteratorINS9_10device_ptrIyEEEESE_PS5_SF_9comp_mod3IyEEE10hipError_tT0_T1_T2_T3_mRjT4_P12ihipStream_tbNS1_7vsmem_tEEUlT_E_NS1_11comp_targetILNS1_3genE9ELNS1_11target_archE1100ELNS1_3gpuE3ELNS1_3repE0EEENS1_30default_config_static_selectorELNS0_4arch9wavefront6targetE0EEEvSK_,@function
_ZN7rocprim17ROCPRIM_400000_NS6detail17trampoline_kernelINS0_14default_configENS1_37merge_sort_block_sort_config_selectorIyNS0_10empty_typeEEEZNS1_21merge_sort_block_sortIS3_N6thrust23THRUST_200600_302600_NS6detail15normal_iteratorINS9_10device_ptrIyEEEESE_PS5_SF_9comp_mod3IyEEE10hipError_tT0_T1_T2_T3_mRjT4_P12ihipStream_tbNS1_7vsmem_tEEUlT_E_NS1_11comp_targetILNS1_3genE9ELNS1_11target_archE1100ELNS1_3gpuE3ELNS1_3repE0EEENS1_30default_config_static_selectorELNS0_4arch9wavefront6targetE0EEEvSK_: ; @_ZN7rocprim17ROCPRIM_400000_NS6detail17trampoline_kernelINS0_14default_configENS1_37merge_sort_block_sort_config_selectorIyNS0_10empty_typeEEEZNS1_21merge_sort_block_sortIS3_N6thrust23THRUST_200600_302600_NS6detail15normal_iteratorINS9_10device_ptrIyEEEESE_PS5_SF_9comp_mod3IyEEE10hipError_tT0_T1_T2_T3_mRjT4_P12ihipStream_tbNS1_7vsmem_tEEUlT_E_NS1_11comp_targetILNS1_3genE9ELNS1_11target_archE1100ELNS1_3gpuE3ELNS1_3repE0EEENS1_30default_config_static_selectorELNS0_4arch9wavefront6targetE0EEEvSK_
; %bb.0:
	.section	.rodata,"a",@progbits
	.p2align	6, 0x0
	.amdhsa_kernel _ZN7rocprim17ROCPRIM_400000_NS6detail17trampoline_kernelINS0_14default_configENS1_37merge_sort_block_sort_config_selectorIyNS0_10empty_typeEEEZNS1_21merge_sort_block_sortIS3_N6thrust23THRUST_200600_302600_NS6detail15normal_iteratorINS9_10device_ptrIyEEEESE_PS5_SF_9comp_mod3IyEEE10hipError_tT0_T1_T2_T3_mRjT4_P12ihipStream_tbNS1_7vsmem_tEEUlT_E_NS1_11comp_targetILNS1_3genE9ELNS1_11target_archE1100ELNS1_3gpuE3ELNS1_3repE0EEENS1_30default_config_static_selectorELNS0_4arch9wavefront6targetE0EEEvSK_
		.amdhsa_group_segment_fixed_size 0
		.amdhsa_private_segment_fixed_size 0
		.amdhsa_kernarg_size 64
		.amdhsa_user_sgpr_count 6
		.amdhsa_user_sgpr_private_segment_buffer 1
		.amdhsa_user_sgpr_dispatch_ptr 0
		.amdhsa_user_sgpr_queue_ptr 0
		.amdhsa_user_sgpr_kernarg_segment_ptr 1
		.amdhsa_user_sgpr_dispatch_id 0
		.amdhsa_user_sgpr_flat_scratch_init 0
		.amdhsa_user_sgpr_private_segment_size 0
		.amdhsa_wavefront_size32 1
		.amdhsa_uses_dynamic_stack 0
		.amdhsa_system_sgpr_private_segment_wavefront_offset 0
		.amdhsa_system_sgpr_workgroup_id_x 1
		.amdhsa_system_sgpr_workgroup_id_y 0
		.amdhsa_system_sgpr_workgroup_id_z 0
		.amdhsa_system_sgpr_workgroup_info 0
		.amdhsa_system_vgpr_workitem_id 0
		.amdhsa_next_free_vgpr 1
		.amdhsa_next_free_sgpr 1
		.amdhsa_reserve_vcc 0
		.amdhsa_reserve_flat_scratch 0
		.amdhsa_float_round_mode_32 0
		.amdhsa_float_round_mode_16_64 0
		.amdhsa_float_denorm_mode_32 3
		.amdhsa_float_denorm_mode_16_64 3
		.amdhsa_dx10_clamp 1
		.amdhsa_ieee_mode 1
		.amdhsa_fp16_overflow 0
		.amdhsa_workgroup_processor_mode 1
		.amdhsa_memory_ordered 1
		.amdhsa_forward_progress 1
		.amdhsa_shared_vgpr_count 0
		.amdhsa_exception_fp_ieee_invalid_op 0
		.amdhsa_exception_fp_denorm_src 0
		.amdhsa_exception_fp_ieee_div_zero 0
		.amdhsa_exception_fp_ieee_overflow 0
		.amdhsa_exception_fp_ieee_underflow 0
		.amdhsa_exception_fp_ieee_inexact 0
		.amdhsa_exception_int_div_zero 0
	.end_amdhsa_kernel
	.section	.text._ZN7rocprim17ROCPRIM_400000_NS6detail17trampoline_kernelINS0_14default_configENS1_37merge_sort_block_sort_config_selectorIyNS0_10empty_typeEEEZNS1_21merge_sort_block_sortIS3_N6thrust23THRUST_200600_302600_NS6detail15normal_iteratorINS9_10device_ptrIyEEEESE_PS5_SF_9comp_mod3IyEEE10hipError_tT0_T1_T2_T3_mRjT4_P12ihipStream_tbNS1_7vsmem_tEEUlT_E_NS1_11comp_targetILNS1_3genE9ELNS1_11target_archE1100ELNS1_3gpuE3ELNS1_3repE0EEENS1_30default_config_static_selectorELNS0_4arch9wavefront6targetE0EEEvSK_,"axG",@progbits,_ZN7rocprim17ROCPRIM_400000_NS6detail17trampoline_kernelINS0_14default_configENS1_37merge_sort_block_sort_config_selectorIyNS0_10empty_typeEEEZNS1_21merge_sort_block_sortIS3_N6thrust23THRUST_200600_302600_NS6detail15normal_iteratorINS9_10device_ptrIyEEEESE_PS5_SF_9comp_mod3IyEEE10hipError_tT0_T1_T2_T3_mRjT4_P12ihipStream_tbNS1_7vsmem_tEEUlT_E_NS1_11comp_targetILNS1_3genE9ELNS1_11target_archE1100ELNS1_3gpuE3ELNS1_3repE0EEENS1_30default_config_static_selectorELNS0_4arch9wavefront6targetE0EEEvSK_,comdat
.Lfunc_end757:
	.size	_ZN7rocprim17ROCPRIM_400000_NS6detail17trampoline_kernelINS0_14default_configENS1_37merge_sort_block_sort_config_selectorIyNS0_10empty_typeEEEZNS1_21merge_sort_block_sortIS3_N6thrust23THRUST_200600_302600_NS6detail15normal_iteratorINS9_10device_ptrIyEEEESE_PS5_SF_9comp_mod3IyEEE10hipError_tT0_T1_T2_T3_mRjT4_P12ihipStream_tbNS1_7vsmem_tEEUlT_E_NS1_11comp_targetILNS1_3genE9ELNS1_11target_archE1100ELNS1_3gpuE3ELNS1_3repE0EEENS1_30default_config_static_selectorELNS0_4arch9wavefront6targetE0EEEvSK_, .Lfunc_end757-_ZN7rocprim17ROCPRIM_400000_NS6detail17trampoline_kernelINS0_14default_configENS1_37merge_sort_block_sort_config_selectorIyNS0_10empty_typeEEEZNS1_21merge_sort_block_sortIS3_N6thrust23THRUST_200600_302600_NS6detail15normal_iteratorINS9_10device_ptrIyEEEESE_PS5_SF_9comp_mod3IyEEE10hipError_tT0_T1_T2_T3_mRjT4_P12ihipStream_tbNS1_7vsmem_tEEUlT_E_NS1_11comp_targetILNS1_3genE9ELNS1_11target_archE1100ELNS1_3gpuE3ELNS1_3repE0EEENS1_30default_config_static_selectorELNS0_4arch9wavefront6targetE0EEEvSK_
                                        ; -- End function
	.set _ZN7rocprim17ROCPRIM_400000_NS6detail17trampoline_kernelINS0_14default_configENS1_37merge_sort_block_sort_config_selectorIyNS0_10empty_typeEEEZNS1_21merge_sort_block_sortIS3_N6thrust23THRUST_200600_302600_NS6detail15normal_iteratorINS9_10device_ptrIyEEEESE_PS5_SF_9comp_mod3IyEEE10hipError_tT0_T1_T2_T3_mRjT4_P12ihipStream_tbNS1_7vsmem_tEEUlT_E_NS1_11comp_targetILNS1_3genE9ELNS1_11target_archE1100ELNS1_3gpuE3ELNS1_3repE0EEENS1_30default_config_static_selectorELNS0_4arch9wavefront6targetE0EEEvSK_.num_vgpr, 0
	.set _ZN7rocprim17ROCPRIM_400000_NS6detail17trampoline_kernelINS0_14default_configENS1_37merge_sort_block_sort_config_selectorIyNS0_10empty_typeEEEZNS1_21merge_sort_block_sortIS3_N6thrust23THRUST_200600_302600_NS6detail15normal_iteratorINS9_10device_ptrIyEEEESE_PS5_SF_9comp_mod3IyEEE10hipError_tT0_T1_T2_T3_mRjT4_P12ihipStream_tbNS1_7vsmem_tEEUlT_E_NS1_11comp_targetILNS1_3genE9ELNS1_11target_archE1100ELNS1_3gpuE3ELNS1_3repE0EEENS1_30default_config_static_selectorELNS0_4arch9wavefront6targetE0EEEvSK_.num_agpr, 0
	.set _ZN7rocprim17ROCPRIM_400000_NS6detail17trampoline_kernelINS0_14default_configENS1_37merge_sort_block_sort_config_selectorIyNS0_10empty_typeEEEZNS1_21merge_sort_block_sortIS3_N6thrust23THRUST_200600_302600_NS6detail15normal_iteratorINS9_10device_ptrIyEEEESE_PS5_SF_9comp_mod3IyEEE10hipError_tT0_T1_T2_T3_mRjT4_P12ihipStream_tbNS1_7vsmem_tEEUlT_E_NS1_11comp_targetILNS1_3genE9ELNS1_11target_archE1100ELNS1_3gpuE3ELNS1_3repE0EEENS1_30default_config_static_selectorELNS0_4arch9wavefront6targetE0EEEvSK_.numbered_sgpr, 0
	.set _ZN7rocprim17ROCPRIM_400000_NS6detail17trampoline_kernelINS0_14default_configENS1_37merge_sort_block_sort_config_selectorIyNS0_10empty_typeEEEZNS1_21merge_sort_block_sortIS3_N6thrust23THRUST_200600_302600_NS6detail15normal_iteratorINS9_10device_ptrIyEEEESE_PS5_SF_9comp_mod3IyEEE10hipError_tT0_T1_T2_T3_mRjT4_P12ihipStream_tbNS1_7vsmem_tEEUlT_E_NS1_11comp_targetILNS1_3genE9ELNS1_11target_archE1100ELNS1_3gpuE3ELNS1_3repE0EEENS1_30default_config_static_selectorELNS0_4arch9wavefront6targetE0EEEvSK_.num_named_barrier, 0
	.set _ZN7rocprim17ROCPRIM_400000_NS6detail17trampoline_kernelINS0_14default_configENS1_37merge_sort_block_sort_config_selectorIyNS0_10empty_typeEEEZNS1_21merge_sort_block_sortIS3_N6thrust23THRUST_200600_302600_NS6detail15normal_iteratorINS9_10device_ptrIyEEEESE_PS5_SF_9comp_mod3IyEEE10hipError_tT0_T1_T2_T3_mRjT4_P12ihipStream_tbNS1_7vsmem_tEEUlT_E_NS1_11comp_targetILNS1_3genE9ELNS1_11target_archE1100ELNS1_3gpuE3ELNS1_3repE0EEENS1_30default_config_static_selectorELNS0_4arch9wavefront6targetE0EEEvSK_.private_seg_size, 0
	.set _ZN7rocprim17ROCPRIM_400000_NS6detail17trampoline_kernelINS0_14default_configENS1_37merge_sort_block_sort_config_selectorIyNS0_10empty_typeEEEZNS1_21merge_sort_block_sortIS3_N6thrust23THRUST_200600_302600_NS6detail15normal_iteratorINS9_10device_ptrIyEEEESE_PS5_SF_9comp_mod3IyEEE10hipError_tT0_T1_T2_T3_mRjT4_P12ihipStream_tbNS1_7vsmem_tEEUlT_E_NS1_11comp_targetILNS1_3genE9ELNS1_11target_archE1100ELNS1_3gpuE3ELNS1_3repE0EEENS1_30default_config_static_selectorELNS0_4arch9wavefront6targetE0EEEvSK_.uses_vcc, 0
	.set _ZN7rocprim17ROCPRIM_400000_NS6detail17trampoline_kernelINS0_14default_configENS1_37merge_sort_block_sort_config_selectorIyNS0_10empty_typeEEEZNS1_21merge_sort_block_sortIS3_N6thrust23THRUST_200600_302600_NS6detail15normal_iteratorINS9_10device_ptrIyEEEESE_PS5_SF_9comp_mod3IyEEE10hipError_tT0_T1_T2_T3_mRjT4_P12ihipStream_tbNS1_7vsmem_tEEUlT_E_NS1_11comp_targetILNS1_3genE9ELNS1_11target_archE1100ELNS1_3gpuE3ELNS1_3repE0EEENS1_30default_config_static_selectorELNS0_4arch9wavefront6targetE0EEEvSK_.uses_flat_scratch, 0
	.set _ZN7rocprim17ROCPRIM_400000_NS6detail17trampoline_kernelINS0_14default_configENS1_37merge_sort_block_sort_config_selectorIyNS0_10empty_typeEEEZNS1_21merge_sort_block_sortIS3_N6thrust23THRUST_200600_302600_NS6detail15normal_iteratorINS9_10device_ptrIyEEEESE_PS5_SF_9comp_mod3IyEEE10hipError_tT0_T1_T2_T3_mRjT4_P12ihipStream_tbNS1_7vsmem_tEEUlT_E_NS1_11comp_targetILNS1_3genE9ELNS1_11target_archE1100ELNS1_3gpuE3ELNS1_3repE0EEENS1_30default_config_static_selectorELNS0_4arch9wavefront6targetE0EEEvSK_.has_dyn_sized_stack, 0
	.set _ZN7rocprim17ROCPRIM_400000_NS6detail17trampoline_kernelINS0_14default_configENS1_37merge_sort_block_sort_config_selectorIyNS0_10empty_typeEEEZNS1_21merge_sort_block_sortIS3_N6thrust23THRUST_200600_302600_NS6detail15normal_iteratorINS9_10device_ptrIyEEEESE_PS5_SF_9comp_mod3IyEEE10hipError_tT0_T1_T2_T3_mRjT4_P12ihipStream_tbNS1_7vsmem_tEEUlT_E_NS1_11comp_targetILNS1_3genE9ELNS1_11target_archE1100ELNS1_3gpuE3ELNS1_3repE0EEENS1_30default_config_static_selectorELNS0_4arch9wavefront6targetE0EEEvSK_.has_recursion, 0
	.set _ZN7rocprim17ROCPRIM_400000_NS6detail17trampoline_kernelINS0_14default_configENS1_37merge_sort_block_sort_config_selectorIyNS0_10empty_typeEEEZNS1_21merge_sort_block_sortIS3_N6thrust23THRUST_200600_302600_NS6detail15normal_iteratorINS9_10device_ptrIyEEEESE_PS5_SF_9comp_mod3IyEEE10hipError_tT0_T1_T2_T3_mRjT4_P12ihipStream_tbNS1_7vsmem_tEEUlT_E_NS1_11comp_targetILNS1_3genE9ELNS1_11target_archE1100ELNS1_3gpuE3ELNS1_3repE0EEENS1_30default_config_static_selectorELNS0_4arch9wavefront6targetE0EEEvSK_.has_indirect_call, 0
	.section	.AMDGPU.csdata,"",@progbits
; Kernel info:
; codeLenInByte = 0
; TotalNumSgprs: 0
; NumVgprs: 0
; ScratchSize: 0
; MemoryBound: 0
; FloatMode: 240
; IeeeMode: 1
; LDSByteSize: 0 bytes/workgroup (compile time only)
; SGPRBlocks: 0
; VGPRBlocks: 0
; NumSGPRsForWavesPerEU: 1
; NumVGPRsForWavesPerEU: 1
; Occupancy: 16
; WaveLimiterHint : 0
; COMPUTE_PGM_RSRC2:SCRATCH_EN: 0
; COMPUTE_PGM_RSRC2:USER_SGPR: 6
; COMPUTE_PGM_RSRC2:TRAP_HANDLER: 0
; COMPUTE_PGM_RSRC2:TGID_X_EN: 1
; COMPUTE_PGM_RSRC2:TGID_Y_EN: 0
; COMPUTE_PGM_RSRC2:TGID_Z_EN: 0
; COMPUTE_PGM_RSRC2:TIDIG_COMP_CNT: 0
	.section	.text._ZN7rocprim17ROCPRIM_400000_NS6detail17trampoline_kernelINS0_14default_configENS1_37merge_sort_block_sort_config_selectorIyNS0_10empty_typeEEEZNS1_21merge_sort_block_sortIS3_N6thrust23THRUST_200600_302600_NS6detail15normal_iteratorINS9_10device_ptrIyEEEESE_PS5_SF_9comp_mod3IyEEE10hipError_tT0_T1_T2_T3_mRjT4_P12ihipStream_tbNS1_7vsmem_tEEUlT_E_NS1_11comp_targetILNS1_3genE8ELNS1_11target_archE1030ELNS1_3gpuE2ELNS1_3repE0EEENS1_30default_config_static_selectorELNS0_4arch9wavefront6targetE0EEEvSK_,"axG",@progbits,_ZN7rocprim17ROCPRIM_400000_NS6detail17trampoline_kernelINS0_14default_configENS1_37merge_sort_block_sort_config_selectorIyNS0_10empty_typeEEEZNS1_21merge_sort_block_sortIS3_N6thrust23THRUST_200600_302600_NS6detail15normal_iteratorINS9_10device_ptrIyEEEESE_PS5_SF_9comp_mod3IyEEE10hipError_tT0_T1_T2_T3_mRjT4_P12ihipStream_tbNS1_7vsmem_tEEUlT_E_NS1_11comp_targetILNS1_3genE8ELNS1_11target_archE1030ELNS1_3gpuE2ELNS1_3repE0EEENS1_30default_config_static_selectorELNS0_4arch9wavefront6targetE0EEEvSK_,comdat
	.protected	_ZN7rocprim17ROCPRIM_400000_NS6detail17trampoline_kernelINS0_14default_configENS1_37merge_sort_block_sort_config_selectorIyNS0_10empty_typeEEEZNS1_21merge_sort_block_sortIS3_N6thrust23THRUST_200600_302600_NS6detail15normal_iteratorINS9_10device_ptrIyEEEESE_PS5_SF_9comp_mod3IyEEE10hipError_tT0_T1_T2_T3_mRjT4_P12ihipStream_tbNS1_7vsmem_tEEUlT_E_NS1_11comp_targetILNS1_3genE8ELNS1_11target_archE1030ELNS1_3gpuE2ELNS1_3repE0EEENS1_30default_config_static_selectorELNS0_4arch9wavefront6targetE0EEEvSK_ ; -- Begin function _ZN7rocprim17ROCPRIM_400000_NS6detail17trampoline_kernelINS0_14default_configENS1_37merge_sort_block_sort_config_selectorIyNS0_10empty_typeEEEZNS1_21merge_sort_block_sortIS3_N6thrust23THRUST_200600_302600_NS6detail15normal_iteratorINS9_10device_ptrIyEEEESE_PS5_SF_9comp_mod3IyEEE10hipError_tT0_T1_T2_T3_mRjT4_P12ihipStream_tbNS1_7vsmem_tEEUlT_E_NS1_11comp_targetILNS1_3genE8ELNS1_11target_archE1030ELNS1_3gpuE2ELNS1_3repE0EEENS1_30default_config_static_selectorELNS0_4arch9wavefront6targetE0EEEvSK_
	.globl	_ZN7rocprim17ROCPRIM_400000_NS6detail17trampoline_kernelINS0_14default_configENS1_37merge_sort_block_sort_config_selectorIyNS0_10empty_typeEEEZNS1_21merge_sort_block_sortIS3_N6thrust23THRUST_200600_302600_NS6detail15normal_iteratorINS9_10device_ptrIyEEEESE_PS5_SF_9comp_mod3IyEEE10hipError_tT0_T1_T2_T3_mRjT4_P12ihipStream_tbNS1_7vsmem_tEEUlT_E_NS1_11comp_targetILNS1_3genE8ELNS1_11target_archE1030ELNS1_3gpuE2ELNS1_3repE0EEENS1_30default_config_static_selectorELNS0_4arch9wavefront6targetE0EEEvSK_
	.p2align	8
	.type	_ZN7rocprim17ROCPRIM_400000_NS6detail17trampoline_kernelINS0_14default_configENS1_37merge_sort_block_sort_config_selectorIyNS0_10empty_typeEEEZNS1_21merge_sort_block_sortIS3_N6thrust23THRUST_200600_302600_NS6detail15normal_iteratorINS9_10device_ptrIyEEEESE_PS5_SF_9comp_mod3IyEEE10hipError_tT0_T1_T2_T3_mRjT4_P12ihipStream_tbNS1_7vsmem_tEEUlT_E_NS1_11comp_targetILNS1_3genE8ELNS1_11target_archE1030ELNS1_3gpuE2ELNS1_3repE0EEENS1_30default_config_static_selectorELNS0_4arch9wavefront6targetE0EEEvSK_,@function
_ZN7rocprim17ROCPRIM_400000_NS6detail17trampoline_kernelINS0_14default_configENS1_37merge_sort_block_sort_config_selectorIyNS0_10empty_typeEEEZNS1_21merge_sort_block_sortIS3_N6thrust23THRUST_200600_302600_NS6detail15normal_iteratorINS9_10device_ptrIyEEEESE_PS5_SF_9comp_mod3IyEEE10hipError_tT0_T1_T2_T3_mRjT4_P12ihipStream_tbNS1_7vsmem_tEEUlT_E_NS1_11comp_targetILNS1_3genE8ELNS1_11target_archE1030ELNS1_3gpuE2ELNS1_3repE0EEENS1_30default_config_static_selectorELNS0_4arch9wavefront6targetE0EEEvSK_: ; @_ZN7rocprim17ROCPRIM_400000_NS6detail17trampoline_kernelINS0_14default_configENS1_37merge_sort_block_sort_config_selectorIyNS0_10empty_typeEEEZNS1_21merge_sort_block_sortIS3_N6thrust23THRUST_200600_302600_NS6detail15normal_iteratorINS9_10device_ptrIyEEEESE_PS5_SF_9comp_mod3IyEEE10hipError_tT0_T1_T2_T3_mRjT4_P12ihipStream_tbNS1_7vsmem_tEEUlT_E_NS1_11comp_targetILNS1_3genE8ELNS1_11target_archE1030ELNS1_3gpuE2ELNS1_3repE0EEENS1_30default_config_static_selectorELNS0_4arch9wavefront6targetE0EEEvSK_
; %bb.0:
	s_clause 0x1
	s_load_dwordx2 s[10:11], s[4:5], 0x40
	s_load_dword s0, s[4:5], 0x0
	s_add_u32 s2, s4, 64
	s_addc_u32 s3, s5, 0
	s_waitcnt lgkmcnt(0)
	s_mul_i32 s1, s11, s8
	s_add_i32 s1, s1, s7
	s_mul_i32 s1, s1, s10
	s_add_i32 s12, s1, s6
	s_cmp_ge_u32 s12, s0
	s_cbranch_scc1 .LBB758_368
; %bb.1:
	s_clause 0x2
	s_load_dwordx2 s[14:15], s[4:5], 0x8
	s_load_dwordx4 s[16:19], s[4:5], 0x18
	s_load_dwordx2 s[8:9], s[4:5], 0x38
	s_mov_b32 s13, 0
	v_mov_b32_e32 v3, v1
	s_lshl_b64 s[0:1], s[12:13], 13
	v_lshlrev_b32_e32 v37, 3, v0
	v_lshrrev_b32_e32 v39, 2, v0
	v_or_b32_e32 v42, 0x100, v0
	v_or_b32_e32 v41, 0x200, v0
	;; [unrolled: 1-line block ×3, first 2 shown]
	v_and_b32_e32 v38, 0xf8, v0
	s_waitcnt lgkmcnt(0)
	s_lshr_b64 s[20:21], s[14:15], 10
	s_add_u32 s4, s16, s0
	s_addc_u32 s5, s17, s1
	s_add_u32 s7, s18, s0
	s_addc_u32 s11, s19, s1
	s_cmp_lg_u64 s[20:21], s[12:13]
	s_cbranch_scc0 .LBB758_205
; %bb.2:
	v_add_co_u32 v4, s0, s4, v37
	v_add_co_ci_u32_e64 v5, null, s5, 0, s0
	v_lshrrev_b32_e32 v1, 2, v42
	v_add_co_u32 v6, vcc_lo, 0x800, v4
	v_add_co_ci_u32_e64 v7, null, 0, v5, vcc_lo
	v_add_co_u32 v8, vcc_lo, 0x1000, v4
	v_add_co_ci_u32_e64 v9, null, 0, v5, vcc_lo
	;; [unrolled: 2-line block ×3, first 2 shown]
	s_clause 0x3
	flat_load_dwordx2 v[4:5], v[4:5]
	flat_load_dwordx2 v[6:7], v[6:7]
	;; [unrolled: 1-line block ×4, first 2 shown]
	v_lshrrev_b32_e32 v12, 2, v41
	v_lshrrev_b32_e32 v13, 2, v40
	v_and_b32_e32 v14, 56, v39
	v_and_b32_e32 v1, 0x78, v1
	v_lshl_add_u32 v47, v0, 5, v38
	v_and_b32_e32 v12, 0xb8, v12
	v_and_b32_e32 v13, 0xf8, v13
	v_add_nc_u32_e32 v43, v14, v37
	v_add_nc_u32_e32 v44, v1, v37
	v_mov_b32_e32 v1, 0
	v_add_nc_u32_e32 v45, v12, v37
	v_add_nc_u32_e32 v46, v13, v37
	s_waitcnt vmcnt(3) lgkmcnt(3)
	ds_write_b64 v43, v[4:5]
	s_waitcnt vmcnt(2) lgkmcnt(3)
	ds_write_b64 v44, v[6:7] offset:2048
	s_waitcnt vmcnt(1) lgkmcnt(3)
	ds_write_b64 v45, v[8:9] offset:4096
	;; [unrolled: 2-line block ×3, first 2 shown]
	s_waitcnt lgkmcnt(0)
	s_barrier
	buffer_gl0_inv
	ds_read2_b64 v[12:15], v47 offset1:1
	ds_read2_b64 v[16:19], v47 offset0:2 offset1:3
	s_waitcnt lgkmcnt(0)
	s_barrier
	buffer_gl0_inv
	s_load_dword s0, s[2:3], 0xc
	s_waitcnt lgkmcnt(0)
	s_lshr_b32 s15, s0, 16
	s_cmp_lt_u32 s6, s10
	v_mad_u32_u24 v5, v2, s15, v3
	s_cselect_b32 s0, 12, 18
	s_mov_b32 s15, exec_lo
	s_add_u32 s0, s2, s0
	s_addc_u32 s1, s3, 0
	global_load_ushort v4, v1, s[0:1]
	s_waitcnt vmcnt(0)
	v_mul_lo_u32 v4, v5, v4
	v_add_lshl_u32 v48, v4, v0, 2
	v_mov_b32_e32 v4, v12
	v_mov_b32_e32 v5, v13
	;; [unrolled: 1-line block ×8, first 2 shown]
	v_cmpx_gt_u32_e32 0x400, v48
	s_cbranch_execz .LBB758_12
; %bb.3:
	v_mov_b32_e32 v4, v1
	v_mov_b32_e32 v5, v14
	;; [unrolled: 1-line block ×6, first 2 shown]
	v_ashrrev_i64 v[4:5], 29, v[4:5]
	v_mov_b32_e32 v24, v16
	v_ashrrev_i64 v[6:7], 29, v[6:7]
	v_mov_b32_e32 v25, v17
	;; [unrolled: 2-line block ×3, first 2 shown]
	v_add_co_u32 v4, vcc_lo, s8, v4
	v_add_co_ci_u32_e64 v5, null, s9, v5, vcc_lo
	v_add_co_u32 v6, vcc_lo, s8, v6
	v_add_co_ci_u32_e64 v7, null, s9, v7, vcc_lo
	s_clause 0x1
	global_load_dwordx2 v[4:5], v[4:5], off
	global_load_dwordx2 v[6:7], v[6:7], off
	v_add_co_u32 v8, vcc_lo, s8, v31
	v_add_co_ci_u32_e64 v9, null, s9, v32, vcc_lo
	v_mov_b32_e32 v27, v19
	global_load_dwordx2 v[33:34], v[8:9], off
	s_waitcnt vmcnt(1)
	v_cmp_lt_u64_e32 vcc_lo, v[4:5], v[6:7]
	v_cndmask_b32_e32 v23, v15, v13, vcc_lo
	v_cndmask_b32_e32 v21, v13, v15, vcc_lo
	v_mov_b32_e32 v15, v1
	v_cndmask_b32_e32 v28, v12, v14, vcc_lo
	v_cndmask_b32_e32 v22, v14, v12, vcc_lo
	v_ashrrev_i64 v[29:30], 29, v[15:16]
	v_mov_b32_e32 v20, v28
	v_mov_b32_e32 v14, v18
	;; [unrolled: 1-line block ×3, first 2 shown]
	v_add_co_u32 v4, s0, s8, v29
	v_add_co_ci_u32_e64 v5, null, s9, v30, s0
	s_mov_b32 s0, exec_lo
	global_load_dwordx2 v[35:36], v[4:5], off
	v_mov_b32_e32 v4, v20
	v_mov_b32_e32 v5, v21
	;; [unrolled: 1-line block ×8, first 2 shown]
	s_waitcnt vmcnt(0)
	v_cmpx_lt_u64_e64 v[33:34], v[35:36]
	s_cbranch_execz .LBB758_5
; %bb.4:
	v_mov_b32_e32 v20, v28
	v_mov_b32_e32 v24, v18
	;; [unrolled: 1-line block ×21, first 2 shown]
.LBB758_5:
	s_or_b32 exec_lo, exec_lo, s0
	v_mov_b32_e32 v24, 0
	v_mov_b32_e32 v25, v22
	s_mov_b32 s0, exec_lo
                                        ; implicit-def: $vgpr18_vgpr19
	v_ashrrev_i64 v[12:13], 29, v[24:25]
	v_add_co_u32 v12, vcc_lo, s8, v12
	v_add_co_ci_u32_e64 v13, null, s9, v13, vcc_lo
	global_load_dwordx2 v[12:13], v[12:13], off
	s_waitcnt vmcnt(0)
	v_cmpx_ge_u64_e64 v[35:36], v[12:13]
	s_xor_b32 s0, exec_lo, s0
	s_cbranch_execz .LBB758_7
; %bb.6:
	v_mov_b32_e32 v25, v16
                                        ; implicit-def: $vgpr29_vgpr30
	v_ashrrev_i64 v[18:19], 29, v[24:25]
	v_add_co_u32 v18, vcc_lo, s8, v18
	v_add_co_ci_u32_e64 v19, null, s9, v19, vcc_lo
	global_load_dwordx2 v[18:19], v[18:19], off
.LBB758_7:
	s_or_saveexec_b32 s0, s0
	v_mov_b32_e32 v25, v17
	v_mov_b32_e32 v24, v16
	s_xor_b32 exec_lo, exec_lo, s0
	s_cbranch_execz .LBB758_9
; %bb.8:
	v_add_co_u32 v6, vcc_lo, s8, v29
	v_add_co_ci_u32_e64 v7, null, s9, v30, vcc_lo
	s_waitcnt vmcnt(0)
	v_mov_b32_e32 v19, v13
	v_mov_b32_e32 v25, v23
	;; [unrolled: 1-line block ×3, first 2 shown]
	global_load_dwordx2 v[26:27], v[6:7], off
	v_mov_b32_e32 v9, v23
	v_mov_b32_e32 v18, v12
	;; [unrolled: 1-line block ×7, first 2 shown]
	s_waitcnt vmcnt(0)
	v_mov_b32_e32 v12, v26
	v_mov_b32_e32 v13, v27
.LBB758_9:
	s_or_b32 exec_lo, exec_lo, s0
	v_mov_b32_e32 v27, 0
	s_mov_b32 s16, exec_lo
	v_ashrrev_i64 v[16:17], 29, v[27:28]
	v_add_co_u32 v16, vcc_lo, s8, v16
	v_add_co_ci_u32_e64 v17, null, s9, v17, vcc_lo
	global_load_dwordx2 v[16:17], v[16:17], off
	s_waitcnt vmcnt(0)
	v_cmp_lt_u64_e32 vcc_lo, v[12:13], v[16:17]
	v_cndmask_b32_e32 v6, v6, v28, vcc_lo
	v_cndmask_b32_e32 v12, v28, v22, vcc_lo
	;; [unrolled: 1-line block ×3, first 2 shown]
	v_mov_b32_e32 v28, v14
	v_cndmask_b32_e32 v7, v7, v21, vcc_lo
	v_cndmask_b32_e32 v5, v5, v23, vcc_lo
	;; [unrolled: 1-line block ×4, first 2 shown]
	v_ashrrev_i64 v[29:30], 29, v[27:28]
	v_mov_b32_e32 v28, v16
	v_ashrrev_i64 v[26:27], 29, v[27:28]
	v_add_co_u32 v29, s0, s8, v29
	v_add_co_ci_u32_e64 v30, null, s9, v30, s0
	v_add_co_u32 v26, s0, s8, v26
	global_load_dwordx2 v[28:29], v[29:30], off
	v_add_co_ci_u32_e64 v27, null, s9, v27, s0
	global_load_dwordx2 v[26:27], v[26:27], off
	s_waitcnt vmcnt(1)
	v_cmp_lt_u64_e64 s0, v[28:29], v[18:19]
	v_cndmask_b32_e64 v11, v11, v25, s0
	v_cndmask_b32_e64 v19, v19, v29, s0
	;; [unrolled: 1-line block ×6, first 2 shown]
	s_waitcnt vmcnt(0)
	v_cmpx_lt_u64_e64 v[18:19], v[26:27]
; %bb.10:
	v_cndmask_b32_e32 v9, v23, v21, vcc_lo
	v_cndmask_b32_e64 v7, v25, v15, s0
	v_cndmask_b32_e64 v6, v24, v14, s0
	v_mov_b32_e32 v8, v16
; %bb.11:
	s_or_b32 exec_lo, exec_lo, s16
.LBB758_12:
	s_or_b32 exec_lo, exec_lo, s15
	v_mbcnt_lo_u32_b32 v15, -1, 0
	v_and_b32_e32 v14, 0xffffff80, v48
	v_lshlrev_b32_e32 v20, 2, v0
	s_mov_b32 s0, 0
	s_mov_b32 s1, exec_lo
	v_lshlrev_b32_e32 v23, 2, v15
	v_sub_nc_u32_e64 v22, 0x400, v14 clamp
	v_lshlrev_b32_e32 v21, 3, v14
	v_mov_b32_e32 v14, v6
	v_or_b32_e32 v16, 4, v23
	v_and_b32_e32 v17, 4, v23
	v_and_b32_e32 v18, 0x78, v23
	v_lshl_or_b32 v24, v15, 5, v21
	v_mov_b32_e32 v15, v7
	v_min_u32_e32 v19, v22, v16
	v_min_u32_e32 v26, v22, v17
	ds_write_b128 v24, v[12:15]
	ds_write_b128 v24, v[8:11] offset:16
	v_add_nc_u32_e32 v16, 4, v19
	v_sub_nc_u32_e32 v17, v19, v18
	; wave barrier
	v_min_u32_e32 v25, v22, v16
	v_min_u32_e32 v27, v26, v17
	v_lshl_or_b32 v17, v18, 3, v21
	v_sub_nc_u32_e32 v16, v25, v19
	v_sub_nc_u32_e64 v16, v26, v16 clamp
	v_cmpx_lt_u32_e64 v16, v27
	s_cbranch_execz .LBB758_16
; %bb.13:
	v_lshlrev_b32_e32 v12, 3, v19
	v_lshlrev_b32_e32 v13, 3, v26
	v_add3_u32 v14, v21, v12, v13
	v_mov_b32_e32 v12, 0
	s_inst_prefetch 0x1
	.p2align	6
.LBB758_14:                             ; =>This Inner Loop Header: Depth=1
	v_add_nc_u32_e32 v13, v27, v16
	v_lshrrev_b32_e32 v15, 1, v13
	v_not_b32_e32 v13, v15
	v_lshl_add_u32 v30, v15, 3, v17
	v_lshl_add_u32 v13, v13, 3, v14
	ds_read_b32 v13, v13
	s_waitcnt lgkmcnt(0)
	v_ashrrev_i64 v[28:29], 29, v[12:13]
	ds_read_b32 v13, v30
	v_add_co_u32 v28, vcc_lo, s8, v28
	v_add_co_ci_u32_e64 v29, null, s9, v29, vcc_lo
	s_waitcnt lgkmcnt(0)
	v_ashrrev_i64 v[30:31], 29, v[12:13]
	v_add_nc_u32_e32 v13, 1, v15
	v_add_co_u32 v30, vcc_lo, s8, v30
	v_add_co_ci_u32_e64 v31, null, s9, v31, vcc_lo
	s_clause 0x1
	global_load_dwordx2 v[28:29], v[28:29], off
	global_load_dwordx2 v[30:31], v[30:31], off
	s_waitcnt vmcnt(0)
	v_cmp_lt_u64_e32 vcc_lo, v[28:29], v[30:31]
	v_cndmask_b32_e32 v27, v27, v15, vcc_lo
	v_cndmask_b32_e32 v16, v13, v16, vcc_lo
	v_cmp_ge_u32_e32 vcc_lo, v16, v27
	s_or_b32 s0, vcc_lo, s0
	s_andn2_b32 exec_lo, exec_lo, s0
	s_cbranch_execnz .LBB758_14
; %bb.15:
	s_inst_prefetch 0x2
	s_or_b32 exec_lo, exec_lo, s0
.LBB758_16:
	s_or_b32 exec_lo, exec_lo, s1
	v_add_nc_u32_e32 v13, v19, v26
	v_add_nc_u32_e32 v12, v16, v18
	v_sub_nc_u32_e32 v13, v13, v16
	v_cmp_le_u32_e32 vcc_lo, v12, v19
	v_cmp_le_u32_e64 s0, v13, v25
	s_or_b32 s0, vcc_lo, s0
	s_and_saveexec_b32 s1, s0
	s_cbranch_execz .LBB758_36
; %bb.17:
	s_mov_b32 s15, exec_lo
	v_cmp_ge_u32_e32 vcc_lo, v12, v19
                                        ; implicit-def: $vgpr4_vgpr5
	v_cmpx_lt_u32_e64 v12, v19
; %bb.18:
	v_lshl_add_u32 v4, v16, 3, v17
	ds_read_b64 v[4:5], v4
; %bb.19:
	s_or_b32 exec_lo, exec_lo, s15
	v_cmp_ge_u32_e64 s15, v13, v25
	s_mov_b32 s16, exec_lo
                                        ; implicit-def: $vgpr6_vgpr7
	v_cmpx_lt_u32_e64 v13, v25
; %bb.20:
	v_lshl_add_u32 v6, v13, 3, v21
	ds_read_b64 v[6:7], v6
; %bb.21:
	s_or_b32 exec_lo, exec_lo, s16
	s_nor_b32 s16, vcc_lo, s15
	s_and_saveexec_b32 s0, s16
	s_cbranch_execz .LBB758_23
; %bb.22:
	v_mov_b32_e32 v8, 0
	s_waitcnt lgkmcnt(0)
	v_mov_b32_e32 v9, v6
	s_andn2_b32 s15, s15, exec_lo
	v_ashrrev_i64 v[10:11], 29, v[8:9]
	v_mov_b32_e32 v9, v4
	v_ashrrev_i64 v[8:9], 29, v[8:9]
	v_add_co_u32 v10, vcc_lo, s8, v10
	v_add_co_ci_u32_e64 v11, null, s9, v11, vcc_lo
	v_add_co_u32 v8, vcc_lo, s8, v8
	v_add_co_ci_u32_e64 v9, null, s9, v9, vcc_lo
	s_clause 0x1
	global_load_dwordx2 v[10:11], v[10:11], off
	global_load_dwordx2 v[8:9], v[8:9], off
	s_waitcnt vmcnt(0)
	v_cmp_ge_u64_e32 vcc_lo, v[10:11], v[8:9]
	s_and_b32 s16, vcc_lo, exec_lo
	s_or_b32 s15, s15, s16
.LBB758_23:
	s_or_b32 exec_lo, exec_lo, s0
	v_cndmask_b32_e64 v8, v13, v12, s15
	v_cndmask_b32_e64 v9, v25, v19, s15
	s_mov_b32 s0, -1
	s_mov_b32 s16, -1
	s_mov_b32 s17, exec_lo
	v_add_nc_u32_e32 v8, 1, v8
	v_add_nc_u32_e32 v9, -1, v9
	v_cndmask_b32_e64 v10, v8, v13, s15
	v_min_u32_e32 v9, v8, v9
	v_cndmask_b32_e64 v13, v12, v8, s15
	v_lshl_add_u32 v9, v9, 3, v21
	ds_read_b64 v[14:15], v9
	s_waitcnt lgkmcnt(0)
	v_cndmask_b32_e64 v26, v15, v7, s15
	v_cndmask_b32_e64 v9, v14, v6, s15
	;; [unrolled: 1-line block ×4, first 2 shown]
	v_cmpx_lt_u32_e64 v10, v25
	s_cbranch_execz .LBB758_27
; %bb.24:
	s_mov_b32 s18, 0
	s_mov_b32 s16, exec_lo
	v_cmpx_lt_u32_e64 v13, v19
	s_cbranch_execz .LBB758_26
; %bb.25:
	v_mov_b32_e32 v8, 0
	v_mov_b32_e32 v11, v8
	v_ashrrev_i64 v[14:15], 29, v[8:9]
	v_ashrrev_i64 v[16:17], 29, v[11:12]
	v_add_co_u32 v14, vcc_lo, s8, v14
	v_add_co_ci_u32_e64 v15, null, s9, v15, vcc_lo
	v_add_co_u32 v16, vcc_lo, s8, v16
	v_add_co_ci_u32_e64 v17, null, s9, v17, vcc_lo
	s_clause 0x1
	global_load_dwordx2 v[14:15], v[14:15], off
	global_load_dwordx2 v[16:17], v[16:17], off
	s_waitcnt vmcnt(0)
	v_cmp_ge_u64_e32 vcc_lo, v[14:15], v[16:17]
	s_and_b32 s18, vcc_lo, exec_lo
.LBB758_26:
	s_or_b32 exec_lo, exec_lo, s16
	s_orn2_b32 s16, s18, exec_lo
.LBB758_27:
	s_or_b32 exec_lo, exec_lo, s17
	v_cndmask_b32_e64 v8, v10, v13, s16
	v_cndmask_b32_e64 v11, v25, v19, s16
	s_mov_b32 s17, exec_lo
	v_add_nc_u32_e32 v8, 1, v8
	v_add_nc_u32_e32 v11, -1, v11
	v_cndmask_b32_e64 v10, v8, v10, s16
	v_min_u32_e32 v11, v8, v11
	v_cndmask_b32_e64 v29, v13, v8, s16
	v_lshl_add_u32 v11, v11, 3, v21
	ds_read_b64 v[15:16], v11
	s_waitcnt lgkmcnt(0)
	v_cndmask_b32_e64 v8, v16, v26, s16
	v_cndmask_b32_e64 v14, v15, v9, s16
	;; [unrolled: 1-line block ×4, first 2 shown]
	v_cmpx_lt_u32_e64 v10, v25
	s_cbranch_execz .LBB758_31
; %bb.28:
	s_mov_b32 s18, 0
	s_mov_b32 s0, exec_lo
	v_cmpx_lt_u32_e64 v29, v19
	s_cbranch_execz .LBB758_30
; %bb.29:
	v_mov_b32_e32 v13, 0
	v_mov_b32_e32 v15, v13
	v_ashrrev_i64 v[17:18], 29, v[13:14]
	v_ashrrev_i64 v[30:31], 29, v[15:16]
	v_add_co_u32 v17, vcc_lo, s8, v17
	v_add_co_ci_u32_e64 v18, null, s9, v18, vcc_lo
	v_add_co_u32 v30, vcc_lo, s8, v30
	v_add_co_ci_u32_e64 v31, null, s9, v31, vcc_lo
	s_clause 0x1
	global_load_dwordx2 v[17:18], v[17:18], off
	global_load_dwordx2 v[30:31], v[30:31], off
	s_waitcnt vmcnt(0)
	v_cmp_ge_u64_e32 vcc_lo, v[17:18], v[30:31]
	s_and_b32 s18, vcc_lo, exec_lo
.LBB758_30:
	s_or_b32 exec_lo, exec_lo, s0
	s_orn2_b32 s0, s18, exec_lo
.LBB758_31:
	s_or_b32 exec_lo, exec_lo, s17
	v_cndmask_b32_e64 v11, v10, v29, s0
	v_cndmask_b32_e64 v15, v25, v19, s0
	s_mov_b32 s17, exec_lo
	v_add_nc_u32_e32 v13, 1, v11
	v_add_nc_u32_e32 v11, -1, v15
	v_cndmask_b32_e64 v15, v13, v10, s0
	v_min_u32_e32 v11, v13, v11
	v_lshl_add_u32 v11, v11, 3, v21
	ds_read_b64 v[17:18], v11
	s_waitcnt lgkmcnt(0)
	v_cndmask_b32_e64 v11, v28, v18, s0
	v_cndmask_b32_e64 v10, v16, v17, s0
	v_cmpx_lt_u32_e64 v15, v25
	s_cbranch_execz .LBB758_35
; %bb.32:
	v_cndmask_b32_e64 v13, v29, v13, s0
	v_cndmask_b32_e64 v18, v18, v8, s0
	;; [unrolled: 1-line block ×3, first 2 shown]
	s_mov_b32 s18, exec_lo
	v_cmpx_lt_u32_e64 v13, v19
	s_cbranch_execz .LBB758_34
; %bb.33:
	v_mov_b32_e32 v29, 0
	v_mov_b32_e32 v30, v17
	v_ashrrev_i64 v[31:32], 29, v[29:30]
	v_mov_b32_e32 v30, v10
	v_ashrrev_i64 v[29:30], 29, v[29:30]
	v_add_co_u32 v31, vcc_lo, s8, v31
	v_add_co_ci_u32_e64 v32, null, s9, v32, vcc_lo
	v_add_co_u32 v29, vcc_lo, s8, v29
	v_add_co_ci_u32_e64 v30, null, s9, v30, vcc_lo
	s_clause 0x1
	global_load_dwordx2 v[31:32], v[31:32], off
	global_load_dwordx2 v[29:30], v[29:30], off
	s_waitcnt vmcnt(0)
	v_cmp_lt_u64_e32 vcc_lo, v[31:32], v[29:30]
	v_cndmask_b32_e32 v18, v11, v18, vcc_lo
	v_cndmask_b32_e32 v17, v10, v17, vcc_lo
.LBB758_34:
	s_or_b32 exec_lo, exec_lo, s18
	v_mov_b32_e32 v10, v17
	v_mov_b32_e32 v11, v18
.LBB758_35:
	s_or_b32 exec_lo, exec_lo, s17
	v_cndmask_b32_e64 v5, v7, v5, s15
	v_cndmask_b32_e64 v4, v6, v4, s15
	;; [unrolled: 1-line block ×6, first 2 shown]
.LBB758_36:
	s_or_b32 exec_lo, exec_lo, s1
	v_and_b32_e32 v16, 0x70, v23
	v_and_b32_e32 v13, 12, v23
	s_mov_b32 s0, exec_lo
	; wave barrier
	v_or_b32_e32 v12, 8, v16
	v_min_u32_e32 v17, v22, v13
	v_lshl_add_u32 v15, v16, 3, v21
	ds_write_b128 v24, v[4:7]
	ds_write_b128 v24, v[8:11] offset:16
	v_min_u32_e32 v25, v22, v12
	; wave barrier
	v_add_nc_u32_e32 v12, 8, v25
	v_sub_nc_u32_e32 v13, v25, v16
	v_min_u32_e32 v26, v22, v12
	v_min_u32_e32 v18, v17, v13
	v_sub_nc_u32_e32 v12, v26, v25
	v_sub_nc_u32_e64 v14, v17, v12 clamp
	v_cmpx_lt_u32_e64 v14, v18
	s_cbranch_execz .LBB758_40
; %bb.37:
	v_lshlrev_b32_e32 v12, 3, v25
	v_lshlrev_b32_e32 v13, 3, v17
	s_mov_b32 s1, 0
	v_add3_u32 v19, v21, v12, v13
	v_mov_b32_e32 v12, 0
	s_inst_prefetch 0x1
	.p2align	6
.LBB758_38:                             ; =>This Inner Loop Header: Depth=1
	v_add_nc_u32_e32 v13, v18, v14
	v_lshrrev_b32_e32 v31, 1, v13
	v_not_b32_e32 v13, v31
	v_lshl_add_u32 v29, v31, 3, v15
	v_lshl_add_u32 v13, v13, 3, v19
	ds_read_b32 v13, v13
	s_waitcnt lgkmcnt(0)
	v_ashrrev_i64 v[27:28], 29, v[12:13]
	ds_read_b32 v13, v29
	v_add_co_u32 v27, vcc_lo, s8, v27
	v_add_co_ci_u32_e64 v28, null, s9, v28, vcc_lo
	s_waitcnt lgkmcnt(0)
	v_ashrrev_i64 v[29:30], 29, v[12:13]
	v_add_nc_u32_e32 v13, 1, v31
	v_add_co_u32 v29, vcc_lo, s8, v29
	v_add_co_ci_u32_e64 v30, null, s9, v30, vcc_lo
	s_clause 0x1
	global_load_dwordx2 v[27:28], v[27:28], off
	global_load_dwordx2 v[29:30], v[29:30], off
	s_waitcnt vmcnt(0)
	v_cmp_lt_u64_e32 vcc_lo, v[27:28], v[29:30]
	v_cndmask_b32_e32 v18, v18, v31, vcc_lo
	v_cndmask_b32_e32 v14, v13, v14, vcc_lo
	v_cmp_ge_u32_e32 vcc_lo, v14, v18
	s_or_b32 s1, vcc_lo, s1
	s_andn2_b32 exec_lo, exec_lo, s1
	s_cbranch_execnz .LBB758_38
; %bb.39:
	s_inst_prefetch 0x2
	s_or_b32 exec_lo, exec_lo, s1
.LBB758_40:
	s_or_b32 exec_lo, exec_lo, s0
	v_add_nc_u32_e32 v13, v25, v17
	v_add_nc_u32_e32 v12, v14, v16
	v_sub_nc_u32_e32 v13, v13, v14
	v_cmp_le_u32_e32 vcc_lo, v12, v25
	v_cmp_le_u32_e64 s0, v13, v26
	s_or_b32 s0, vcc_lo, s0
	s_and_saveexec_b32 s1, s0
	s_cbranch_execz .LBB758_60
; %bb.41:
	s_mov_b32 s15, exec_lo
	v_cmp_ge_u32_e32 vcc_lo, v12, v25
                                        ; implicit-def: $vgpr4_vgpr5
	v_cmpx_lt_u32_e64 v12, v25
; %bb.42:
	v_lshl_add_u32 v4, v14, 3, v15
	ds_read_b64 v[4:5], v4
; %bb.43:
	s_or_b32 exec_lo, exec_lo, s15
	v_cmp_ge_u32_e64 s15, v13, v26
	s_mov_b32 s16, exec_lo
                                        ; implicit-def: $vgpr8_vgpr9
	v_cmpx_lt_u32_e64 v13, v26
; %bb.44:
	v_lshl_add_u32 v6, v13, 3, v21
	ds_read_b64 v[8:9], v6
; %bb.45:
	s_or_b32 exec_lo, exec_lo, s16
	s_nor_b32 s16, vcc_lo, s15
	s_and_saveexec_b32 s0, s16
	s_cbranch_execz .LBB758_47
; %bb.46:
	v_mov_b32_e32 v6, 0
	s_waitcnt lgkmcnt(0)
	v_mov_b32_e32 v7, v8
	s_andn2_b32 s15, s15, exec_lo
	v_ashrrev_i64 v[10:11], 29, v[6:7]
	v_mov_b32_e32 v7, v4
	v_ashrrev_i64 v[6:7], 29, v[6:7]
	v_add_co_u32 v10, vcc_lo, s8, v10
	v_add_co_ci_u32_e64 v11, null, s9, v11, vcc_lo
	v_add_co_u32 v6, vcc_lo, s8, v6
	v_add_co_ci_u32_e64 v7, null, s9, v7, vcc_lo
	s_clause 0x1
	global_load_dwordx2 v[10:11], v[10:11], off
	global_load_dwordx2 v[6:7], v[6:7], off
	s_waitcnt vmcnt(0)
	v_cmp_ge_u64_e32 vcc_lo, v[10:11], v[6:7]
	s_and_b32 s16, vcc_lo, exec_lo
	s_or_b32 s15, s15, s16
.LBB758_47:
	s_or_b32 exec_lo, exec_lo, s0
	v_cndmask_b32_e64 v6, v13, v12, s15
	v_cndmask_b32_e64 v7, v26, v25, s15
	s_mov_b32 s0, -1
	s_mov_b32 s16, -1
	s_mov_b32 s17, exec_lo
	v_add_nc_u32_e32 v6, 1, v6
	v_add_nc_u32_e32 v7, -1, v7
	v_cndmask_b32_e64 v14, v6, v13, s15
	v_min_u32_e32 v7, v6, v7
	v_cndmask_b32_e64 v15, v12, v6, s15
	v_lshl_add_u32 v7, v7, 3, v21
	ds_read_b64 v[16:17], v7
	s_waitcnt lgkmcnt(0)
	v_cndmask_b32_e64 v6, v17, v9, s15
	v_cndmask_b32_e64 v11, v16, v8, s15
	;; [unrolled: 1-line block ×4, first 2 shown]
	v_cmpx_lt_u32_e64 v14, v26
	s_cbranch_execz .LBB758_51
; %bb.48:
	s_mov_b32 s18, 0
	s_mov_b32 s16, exec_lo
	v_cmpx_lt_u32_e64 v15, v25
	s_cbranch_execz .LBB758_50
; %bb.49:
	v_mov_b32_e32 v10, 0
	v_mov_b32_e32 v12, v10
	v_ashrrev_i64 v[16:17], 29, v[10:11]
	v_ashrrev_i64 v[18:19], 29, v[12:13]
	v_add_co_u32 v16, vcc_lo, s8, v16
	v_add_co_ci_u32_e64 v17, null, s9, v17, vcc_lo
	v_add_co_u32 v18, vcc_lo, s8, v18
	v_add_co_ci_u32_e64 v19, null, s9, v19, vcc_lo
	s_clause 0x1
	global_load_dwordx2 v[16:17], v[16:17], off
	global_load_dwordx2 v[18:19], v[18:19], off
	s_waitcnt vmcnt(0)
	v_cmp_ge_u64_e32 vcc_lo, v[16:17], v[18:19]
	s_and_b32 s18, vcc_lo, exec_lo
.LBB758_50:
	s_or_b32 exec_lo, exec_lo, s16
	s_orn2_b32 s16, s18, exec_lo
.LBB758_51:
	s_or_b32 exec_lo, exec_lo, s17
	v_cndmask_b32_e64 v10, v14, v15, s16
	v_cndmask_b32_e64 v12, v26, v25, s16
	s_mov_b32 s17, exec_lo
	v_add_nc_u32_e32 v18, 1, v10
	v_add_nc_u32_e32 v10, -1, v12
	v_cndmask_b32_e64 v12, v15, v18, s16
	v_min_u32_e32 v10, v18, v10
	v_lshl_add_u32 v10, v10, 3, v21
	ds_read_b64 v[16:17], v10
	v_cndmask_b32_e64 v10, v18, v14, s16
	s_waitcnt lgkmcnt(0)
	v_cndmask_b32_e64 v27, v17, v6, s16
	v_cndmask_b32_e64 v15, v16, v11, s16
	;; [unrolled: 1-line block ×4, first 2 shown]
	v_cmpx_lt_u32_e64 v10, v26
	s_cbranch_execz .LBB758_55
; %bb.52:
	s_mov_b32 s18, 0
	s_mov_b32 s0, exec_lo
	v_cmpx_lt_u32_e64 v12, v25
	s_cbranch_execz .LBB758_54
; %bb.53:
	v_mov_b32_e32 v14, 0
	v_mov_b32_e32 v16, v14
	v_ashrrev_i64 v[18:19], 29, v[14:15]
	v_ashrrev_i64 v[29:30], 29, v[16:17]
	v_add_co_u32 v18, vcc_lo, s8, v18
	v_add_co_ci_u32_e64 v19, null, s9, v19, vcc_lo
	v_add_co_u32 v29, vcc_lo, s8, v29
	v_add_co_ci_u32_e64 v30, null, s9, v30, vcc_lo
	s_clause 0x1
	global_load_dwordx2 v[18:19], v[18:19], off
	global_load_dwordx2 v[29:30], v[29:30], off
	s_waitcnt vmcnt(0)
	v_cmp_ge_u64_e32 vcc_lo, v[18:19], v[29:30]
	s_and_b32 s18, vcc_lo, exec_lo
.LBB758_54:
	s_or_b32 exec_lo, exec_lo, s0
	s_orn2_b32 s0, s18, exec_lo
.LBB758_55:
	s_or_b32 exec_lo, exec_lo, s17
	v_cndmask_b32_e64 v14, v10, v12, s0
	v_cndmask_b32_e64 v16, v26, v25, s0
	;; [unrolled: 1-line block ×5, first 2 shown]
	v_add_nc_u32_e32 v14, 1, v14
	v_add_nc_u32_e32 v16, -1, v16
	v_cndmask_b32_e64 v4, v8, v4, s15
	v_cndmask_b32_e64 v9, v27, v28, s0
	v_cndmask_b32_e64 v8, v15, v17, s0
	v_cndmask_b32_e64 v13, v14, v10, s0
	v_min_u32_e32 v16, v14, v16
	s_mov_b32 s15, exec_lo
	v_lshl_add_u32 v16, v16, 3, v21
	ds_read_b64 v[18:19], v16
	s_waitcnt lgkmcnt(0)
	v_cndmask_b32_e64 v11, v28, v19, s0
	v_cndmask_b32_e64 v10, v17, v18, s0
	v_cmpx_lt_u32_e64 v13, v26
	s_cbranch_execz .LBB758_59
; %bb.56:
	v_cndmask_b32_e64 v14, v12, v14, s0
	v_cndmask_b32_e64 v13, v19, v27, s0
	;; [unrolled: 1-line block ×3, first 2 shown]
	s_mov_b32 s0, exec_lo
	v_cmpx_lt_u32_e64 v14, v25
	s_cbranch_execz .LBB758_58
; %bb.57:
	v_mov_b32_e32 v14, 0
	v_mov_b32_e32 v15, v12
	v_ashrrev_i64 v[16:17], 29, v[14:15]
	v_mov_b32_e32 v15, v10
	v_ashrrev_i64 v[14:15], 29, v[14:15]
	v_add_co_u32 v16, vcc_lo, s8, v16
	v_add_co_ci_u32_e64 v17, null, s9, v17, vcc_lo
	v_add_co_u32 v14, vcc_lo, s8, v14
	v_add_co_ci_u32_e64 v15, null, s9, v15, vcc_lo
	s_clause 0x1
	global_load_dwordx2 v[16:17], v[16:17], off
	global_load_dwordx2 v[14:15], v[14:15], off
	s_waitcnt vmcnt(0)
	v_cmp_lt_u64_e32 vcc_lo, v[16:17], v[14:15]
	v_cndmask_b32_e32 v13, v11, v13, vcc_lo
	v_cndmask_b32_e32 v12, v10, v12, vcc_lo
.LBB758_58:
	s_or_b32 exec_lo, exec_lo, s0
	v_mov_b32_e32 v10, v12
	v_mov_b32_e32 v11, v13
.LBB758_59:
	s_or_b32 exec_lo, exec_lo, s15
.LBB758_60:
	s_or_b32 exec_lo, exec_lo, s1
	v_and_b32_e32 v16, 0x60, v23
	v_and_b32_e32 v13, 28, v23
	s_mov_b32 s0, exec_lo
	; wave barrier
	v_or_b32_e32 v12, 16, v16
	v_min_u32_e32 v17, v22, v13
	v_lshl_add_u32 v15, v16, 3, v21
	ds_write_b128 v24, v[4:7]
	ds_write_b128 v24, v[8:11] offset:16
	v_min_u32_e32 v25, v22, v12
	; wave barrier
	v_add_nc_u32_e32 v12, 16, v25
	v_sub_nc_u32_e32 v13, v25, v16
	v_min_u32_e32 v26, v22, v12
	v_min_u32_e32 v18, v17, v13
	v_sub_nc_u32_e32 v12, v26, v25
	v_sub_nc_u32_e64 v14, v17, v12 clamp
	v_cmpx_lt_u32_e64 v14, v18
	s_cbranch_execz .LBB758_64
; %bb.61:
	v_lshlrev_b32_e32 v12, 3, v25
	v_lshlrev_b32_e32 v13, 3, v17
	s_mov_b32 s1, 0
	v_add3_u32 v19, v21, v12, v13
	v_mov_b32_e32 v12, 0
	s_inst_prefetch 0x1
	.p2align	6
.LBB758_62:                             ; =>This Inner Loop Header: Depth=1
	v_add_nc_u32_e32 v13, v18, v14
	v_lshrrev_b32_e32 v31, 1, v13
	v_not_b32_e32 v13, v31
	v_lshl_add_u32 v29, v31, 3, v15
	v_lshl_add_u32 v13, v13, 3, v19
	ds_read_b32 v13, v13
	s_waitcnt lgkmcnt(0)
	v_ashrrev_i64 v[27:28], 29, v[12:13]
	ds_read_b32 v13, v29
	v_add_co_u32 v27, vcc_lo, s8, v27
	v_add_co_ci_u32_e64 v28, null, s9, v28, vcc_lo
	s_waitcnt lgkmcnt(0)
	v_ashrrev_i64 v[29:30], 29, v[12:13]
	v_add_nc_u32_e32 v13, 1, v31
	v_add_co_u32 v29, vcc_lo, s8, v29
	v_add_co_ci_u32_e64 v30, null, s9, v30, vcc_lo
	s_clause 0x1
	global_load_dwordx2 v[27:28], v[27:28], off
	global_load_dwordx2 v[29:30], v[29:30], off
	s_waitcnt vmcnt(0)
	v_cmp_lt_u64_e32 vcc_lo, v[27:28], v[29:30]
	v_cndmask_b32_e32 v18, v18, v31, vcc_lo
	v_cndmask_b32_e32 v14, v13, v14, vcc_lo
	v_cmp_ge_u32_e32 vcc_lo, v14, v18
	s_or_b32 s1, vcc_lo, s1
	s_andn2_b32 exec_lo, exec_lo, s1
	s_cbranch_execnz .LBB758_62
; %bb.63:
	s_inst_prefetch 0x2
	s_or_b32 exec_lo, exec_lo, s1
.LBB758_64:
	s_or_b32 exec_lo, exec_lo, s0
	v_add_nc_u32_e32 v13, v25, v17
	v_add_nc_u32_e32 v12, v14, v16
	v_sub_nc_u32_e32 v13, v13, v14
	v_cmp_le_u32_e32 vcc_lo, v12, v25
	v_cmp_le_u32_e64 s0, v13, v26
	s_or_b32 s0, vcc_lo, s0
	s_and_saveexec_b32 s1, s0
	s_cbranch_execz .LBB758_84
; %bb.65:
	s_mov_b32 s15, exec_lo
	v_cmp_ge_u32_e32 vcc_lo, v12, v25
                                        ; implicit-def: $vgpr4_vgpr5
	v_cmpx_lt_u32_e64 v12, v25
; %bb.66:
	v_lshl_add_u32 v4, v14, 3, v15
	ds_read_b64 v[4:5], v4
; %bb.67:
	s_or_b32 exec_lo, exec_lo, s15
	v_cmp_ge_u32_e64 s15, v13, v26
	s_mov_b32 s16, exec_lo
                                        ; implicit-def: $vgpr8_vgpr9
	v_cmpx_lt_u32_e64 v13, v26
; %bb.68:
	v_lshl_add_u32 v6, v13, 3, v21
	ds_read_b64 v[8:9], v6
; %bb.69:
	s_or_b32 exec_lo, exec_lo, s16
	s_nor_b32 s16, vcc_lo, s15
	s_and_saveexec_b32 s0, s16
	s_cbranch_execz .LBB758_71
; %bb.70:
	v_mov_b32_e32 v6, 0
	s_waitcnt lgkmcnt(0)
	v_mov_b32_e32 v7, v8
	s_andn2_b32 s15, s15, exec_lo
	v_ashrrev_i64 v[10:11], 29, v[6:7]
	v_mov_b32_e32 v7, v4
	v_ashrrev_i64 v[6:7], 29, v[6:7]
	v_add_co_u32 v10, vcc_lo, s8, v10
	v_add_co_ci_u32_e64 v11, null, s9, v11, vcc_lo
	v_add_co_u32 v6, vcc_lo, s8, v6
	v_add_co_ci_u32_e64 v7, null, s9, v7, vcc_lo
	s_clause 0x1
	global_load_dwordx2 v[10:11], v[10:11], off
	global_load_dwordx2 v[6:7], v[6:7], off
	s_waitcnt vmcnt(0)
	v_cmp_ge_u64_e32 vcc_lo, v[10:11], v[6:7]
	s_and_b32 s16, vcc_lo, exec_lo
	s_or_b32 s15, s15, s16
.LBB758_71:
	s_or_b32 exec_lo, exec_lo, s0
	v_cndmask_b32_e64 v6, v13, v12, s15
	v_cndmask_b32_e64 v7, v26, v25, s15
	s_mov_b32 s0, -1
	s_mov_b32 s16, -1
	s_mov_b32 s17, exec_lo
	v_add_nc_u32_e32 v6, 1, v6
	v_add_nc_u32_e32 v7, -1, v7
	v_cndmask_b32_e64 v14, v6, v13, s15
	v_min_u32_e32 v7, v6, v7
	v_cndmask_b32_e64 v15, v12, v6, s15
	v_lshl_add_u32 v7, v7, 3, v21
	ds_read_b64 v[16:17], v7
	s_waitcnt lgkmcnt(0)
	v_cndmask_b32_e64 v6, v17, v9, s15
	v_cndmask_b32_e64 v11, v16, v8, s15
	;; [unrolled: 1-line block ×4, first 2 shown]
	v_cmpx_lt_u32_e64 v14, v26
	s_cbranch_execz .LBB758_75
; %bb.72:
	s_mov_b32 s18, 0
	s_mov_b32 s16, exec_lo
	v_cmpx_lt_u32_e64 v15, v25
	s_cbranch_execz .LBB758_74
; %bb.73:
	v_mov_b32_e32 v10, 0
	v_mov_b32_e32 v12, v10
	v_ashrrev_i64 v[16:17], 29, v[10:11]
	v_ashrrev_i64 v[18:19], 29, v[12:13]
	v_add_co_u32 v16, vcc_lo, s8, v16
	v_add_co_ci_u32_e64 v17, null, s9, v17, vcc_lo
	v_add_co_u32 v18, vcc_lo, s8, v18
	v_add_co_ci_u32_e64 v19, null, s9, v19, vcc_lo
	s_clause 0x1
	global_load_dwordx2 v[16:17], v[16:17], off
	global_load_dwordx2 v[18:19], v[18:19], off
	s_waitcnt vmcnt(0)
	v_cmp_ge_u64_e32 vcc_lo, v[16:17], v[18:19]
	s_and_b32 s18, vcc_lo, exec_lo
.LBB758_74:
	s_or_b32 exec_lo, exec_lo, s16
	s_orn2_b32 s16, s18, exec_lo
.LBB758_75:
	s_or_b32 exec_lo, exec_lo, s17
	v_cndmask_b32_e64 v10, v14, v15, s16
	v_cndmask_b32_e64 v12, v26, v25, s16
	s_mov_b32 s17, exec_lo
	v_add_nc_u32_e32 v18, 1, v10
	v_add_nc_u32_e32 v10, -1, v12
	v_cndmask_b32_e64 v12, v15, v18, s16
	v_min_u32_e32 v10, v18, v10
	v_lshl_add_u32 v10, v10, 3, v21
	ds_read_b64 v[16:17], v10
	v_cndmask_b32_e64 v10, v18, v14, s16
	s_waitcnt lgkmcnt(0)
	v_cndmask_b32_e64 v27, v17, v6, s16
	v_cndmask_b32_e64 v15, v16, v11, s16
	;; [unrolled: 1-line block ×4, first 2 shown]
	v_cmpx_lt_u32_e64 v10, v26
	s_cbranch_execz .LBB758_79
; %bb.76:
	s_mov_b32 s18, 0
	s_mov_b32 s0, exec_lo
	v_cmpx_lt_u32_e64 v12, v25
	s_cbranch_execz .LBB758_78
; %bb.77:
	v_mov_b32_e32 v14, 0
	v_mov_b32_e32 v16, v14
	v_ashrrev_i64 v[18:19], 29, v[14:15]
	v_ashrrev_i64 v[29:30], 29, v[16:17]
	v_add_co_u32 v18, vcc_lo, s8, v18
	v_add_co_ci_u32_e64 v19, null, s9, v19, vcc_lo
	v_add_co_u32 v29, vcc_lo, s8, v29
	v_add_co_ci_u32_e64 v30, null, s9, v30, vcc_lo
	s_clause 0x1
	global_load_dwordx2 v[18:19], v[18:19], off
	global_load_dwordx2 v[29:30], v[29:30], off
	s_waitcnt vmcnt(0)
	v_cmp_ge_u64_e32 vcc_lo, v[18:19], v[29:30]
	s_and_b32 s18, vcc_lo, exec_lo
.LBB758_78:
	s_or_b32 exec_lo, exec_lo, s0
	s_orn2_b32 s0, s18, exec_lo
.LBB758_79:
	s_or_b32 exec_lo, exec_lo, s17
	v_cndmask_b32_e64 v14, v10, v12, s0
	v_cndmask_b32_e64 v16, v26, v25, s0
	v_cndmask_b32_e64 v7, v6, v7, s16
	v_cndmask_b32_e64 v6, v11, v13, s16
	v_cndmask_b32_e64 v5, v9, v5, s15
	v_add_nc_u32_e32 v14, 1, v14
	v_add_nc_u32_e32 v16, -1, v16
	v_cndmask_b32_e64 v4, v8, v4, s15
	v_cndmask_b32_e64 v9, v27, v28, s0
	;; [unrolled: 1-line block ×4, first 2 shown]
	v_min_u32_e32 v16, v14, v16
	s_mov_b32 s15, exec_lo
	v_lshl_add_u32 v16, v16, 3, v21
	ds_read_b64 v[18:19], v16
	s_waitcnt lgkmcnt(0)
	v_cndmask_b32_e64 v11, v28, v19, s0
	v_cndmask_b32_e64 v10, v17, v18, s0
	v_cmpx_lt_u32_e64 v13, v26
	s_cbranch_execz .LBB758_83
; %bb.80:
	v_cndmask_b32_e64 v14, v12, v14, s0
	v_cndmask_b32_e64 v13, v19, v27, s0
	;; [unrolled: 1-line block ×3, first 2 shown]
	s_mov_b32 s0, exec_lo
	v_cmpx_lt_u32_e64 v14, v25
	s_cbranch_execz .LBB758_82
; %bb.81:
	v_mov_b32_e32 v14, 0
	v_mov_b32_e32 v15, v12
	v_ashrrev_i64 v[16:17], 29, v[14:15]
	v_mov_b32_e32 v15, v10
	v_ashrrev_i64 v[14:15], 29, v[14:15]
	v_add_co_u32 v16, vcc_lo, s8, v16
	v_add_co_ci_u32_e64 v17, null, s9, v17, vcc_lo
	v_add_co_u32 v14, vcc_lo, s8, v14
	v_add_co_ci_u32_e64 v15, null, s9, v15, vcc_lo
	s_clause 0x1
	global_load_dwordx2 v[16:17], v[16:17], off
	global_load_dwordx2 v[14:15], v[14:15], off
	s_waitcnt vmcnt(0)
	v_cmp_lt_u64_e32 vcc_lo, v[16:17], v[14:15]
	v_cndmask_b32_e32 v13, v11, v13, vcc_lo
	v_cndmask_b32_e32 v12, v10, v12, vcc_lo
.LBB758_82:
	s_or_b32 exec_lo, exec_lo, s0
	v_mov_b32_e32 v10, v12
	v_mov_b32_e32 v11, v13
.LBB758_83:
	s_or_b32 exec_lo, exec_lo, s15
.LBB758_84:
	s_or_b32 exec_lo, exec_lo, s1
	v_and_b32_e32 v16, 64, v23
	v_and_b32_e32 v13, 60, v23
	s_mov_b32 s0, exec_lo
	; wave barrier
	v_or_b32_e32 v12, 32, v16
	v_min_u32_e32 v17, v22, v13
	v_lshl_add_u32 v15, v16, 3, v21
	ds_write_b128 v24, v[4:7]
	ds_write_b128 v24, v[8:11] offset:16
	v_min_u32_e32 v25, v22, v12
	; wave barrier
	v_add_nc_u32_e32 v12, 32, v25
	v_sub_nc_u32_e32 v13, v25, v16
	v_min_u32_e32 v23, v22, v12
	v_min_u32_e32 v18, v17, v13
	v_sub_nc_u32_e32 v12, v23, v25
	v_sub_nc_u32_e64 v14, v17, v12 clamp
	v_cmpx_lt_u32_e64 v14, v18
	s_cbranch_execz .LBB758_88
; %bb.85:
	v_lshlrev_b32_e32 v12, 3, v25
	v_lshlrev_b32_e32 v13, 3, v17
	s_mov_b32 s1, 0
	v_add3_u32 v19, v21, v12, v13
	v_mov_b32_e32 v12, 0
	s_inst_prefetch 0x1
	.p2align	6
.LBB758_86:                             ; =>This Inner Loop Header: Depth=1
	v_add_nc_u32_e32 v13, v18, v14
	v_lshrrev_b32_e32 v22, 1, v13
	v_not_b32_e32 v13, v22
	v_lshl_add_u32 v24, v22, 3, v15
	v_lshl_add_u32 v13, v13, 3, v19
	ds_read_b32 v13, v13
	s_waitcnt lgkmcnt(0)
	v_ashrrev_i64 v[26:27], 29, v[12:13]
	ds_read_b32 v13, v24
	v_add_co_u32 v26, vcc_lo, s8, v26
	v_add_co_ci_u32_e64 v27, null, s9, v27, vcc_lo
	s_waitcnt lgkmcnt(0)
	v_ashrrev_i64 v[28:29], 29, v[12:13]
	v_add_nc_u32_e32 v13, 1, v22
	v_add_co_u32 v28, vcc_lo, s8, v28
	v_add_co_ci_u32_e64 v29, null, s9, v29, vcc_lo
	s_clause 0x1
	global_load_dwordx2 v[26:27], v[26:27], off
	global_load_dwordx2 v[28:29], v[28:29], off
	s_waitcnt vmcnt(0)
	v_cmp_lt_u64_e32 vcc_lo, v[26:27], v[28:29]
	v_cndmask_b32_e32 v18, v18, v22, vcc_lo
	v_cndmask_b32_e32 v14, v13, v14, vcc_lo
	v_cmp_ge_u32_e32 vcc_lo, v14, v18
	s_or_b32 s1, vcc_lo, s1
	s_andn2_b32 exec_lo, exec_lo, s1
	s_cbranch_execnz .LBB758_86
; %bb.87:
	s_inst_prefetch 0x2
	s_or_b32 exec_lo, exec_lo, s1
.LBB758_88:
	s_or_b32 exec_lo, exec_lo, s0
	v_add_nc_u32_e32 v13, v25, v17
	v_add_nc_u32_e32 v12, v14, v16
	v_sub_nc_u32_e32 v13, v13, v14
	v_cmp_le_u32_e32 vcc_lo, v12, v25
	v_cmp_le_u32_e64 s0, v13, v23
	s_or_b32 s0, vcc_lo, s0
	s_and_saveexec_b32 s1, s0
	s_cbranch_execz .LBB758_108
; %bb.89:
	s_mov_b32 s15, exec_lo
	v_cmp_ge_u32_e32 vcc_lo, v12, v25
                                        ; implicit-def: $vgpr4_vgpr5
	v_cmpx_lt_u32_e64 v12, v25
; %bb.90:
	v_lshl_add_u32 v4, v14, 3, v15
	ds_read_b64 v[4:5], v4
; %bb.91:
	s_or_b32 exec_lo, exec_lo, s15
	v_cmp_ge_u32_e64 s15, v13, v23
	s_mov_b32 s16, exec_lo
                                        ; implicit-def: $vgpr8_vgpr9
	v_cmpx_lt_u32_e64 v13, v23
; %bb.92:
	v_lshl_add_u32 v6, v13, 3, v21
	ds_read_b64 v[8:9], v6
; %bb.93:
	s_or_b32 exec_lo, exec_lo, s16
	s_nor_b32 s16, vcc_lo, s15
	s_and_saveexec_b32 s0, s16
	s_cbranch_execz .LBB758_95
; %bb.94:
	v_mov_b32_e32 v6, 0
	s_waitcnt lgkmcnt(0)
	v_mov_b32_e32 v7, v8
	s_andn2_b32 s15, s15, exec_lo
	v_ashrrev_i64 v[10:11], 29, v[6:7]
	v_mov_b32_e32 v7, v4
	v_ashrrev_i64 v[6:7], 29, v[6:7]
	v_add_co_u32 v10, vcc_lo, s8, v10
	v_add_co_ci_u32_e64 v11, null, s9, v11, vcc_lo
	v_add_co_u32 v6, vcc_lo, s8, v6
	v_add_co_ci_u32_e64 v7, null, s9, v7, vcc_lo
	s_clause 0x1
	global_load_dwordx2 v[10:11], v[10:11], off
	global_load_dwordx2 v[6:7], v[6:7], off
	s_waitcnt vmcnt(0)
	v_cmp_ge_u64_e32 vcc_lo, v[10:11], v[6:7]
	s_and_b32 s16, vcc_lo, exec_lo
	s_or_b32 s15, s15, s16
.LBB758_95:
	s_or_b32 exec_lo, exec_lo, s0
	v_cndmask_b32_e64 v6, v13, v12, s15
	v_cndmask_b32_e64 v7, v23, v25, s15
	s_mov_b32 s0, -1
	s_mov_b32 s16, -1
	s_mov_b32 s17, exec_lo
	v_add_nc_u32_e32 v6, 1, v6
	v_add_nc_u32_e32 v7, -1, v7
	v_cndmask_b32_e64 v14, v6, v13, s15
	v_min_u32_e32 v7, v6, v7
	v_cndmask_b32_e64 v15, v12, v6, s15
	v_lshl_add_u32 v7, v7, 3, v21
	ds_read_b64 v[16:17], v7
	s_waitcnt lgkmcnt(0)
	v_cndmask_b32_e64 v6, v17, v9, s15
	v_cndmask_b32_e64 v11, v16, v8, s15
	;; [unrolled: 1-line block ×4, first 2 shown]
	v_cmpx_lt_u32_e64 v14, v23
	s_cbranch_execz .LBB758_99
; %bb.96:
	s_mov_b32 s18, 0
	s_mov_b32 s16, exec_lo
	v_cmpx_lt_u32_e64 v15, v25
	s_cbranch_execz .LBB758_98
; %bb.97:
	v_mov_b32_e32 v10, 0
	v_mov_b32_e32 v12, v10
	v_ashrrev_i64 v[16:17], 29, v[10:11]
	v_ashrrev_i64 v[18:19], 29, v[12:13]
	v_add_co_u32 v16, vcc_lo, s8, v16
	v_add_co_ci_u32_e64 v17, null, s9, v17, vcc_lo
	v_add_co_u32 v18, vcc_lo, s8, v18
	v_add_co_ci_u32_e64 v19, null, s9, v19, vcc_lo
	s_clause 0x1
	global_load_dwordx2 v[16:17], v[16:17], off
	global_load_dwordx2 v[18:19], v[18:19], off
	s_waitcnt vmcnt(0)
	v_cmp_ge_u64_e32 vcc_lo, v[16:17], v[18:19]
	s_and_b32 s18, vcc_lo, exec_lo
.LBB758_98:
	s_or_b32 exec_lo, exec_lo, s16
	s_orn2_b32 s16, s18, exec_lo
.LBB758_99:
	s_or_b32 exec_lo, exec_lo, s17
	v_cndmask_b32_e64 v10, v14, v15, s16
	v_cndmask_b32_e64 v12, v23, v25, s16
	s_mov_b32 s17, exec_lo
	v_add_nc_u32_e32 v18, 1, v10
	v_add_nc_u32_e32 v10, -1, v12
	v_cndmask_b32_e64 v12, v15, v18, s16
	v_min_u32_e32 v10, v18, v10
	v_lshl_add_u32 v10, v10, 3, v21
	ds_read_b64 v[16:17], v10
	v_cndmask_b32_e64 v10, v18, v14, s16
	s_waitcnt lgkmcnt(0)
	v_cndmask_b32_e64 v22, v17, v6, s16
	v_cndmask_b32_e64 v15, v16, v11, s16
	;; [unrolled: 1-line block ×4, first 2 shown]
	v_cmpx_lt_u32_e64 v10, v23
	s_cbranch_execz .LBB758_103
; %bb.100:
	s_mov_b32 s18, 0
	s_mov_b32 s0, exec_lo
	v_cmpx_lt_u32_e64 v12, v25
	s_cbranch_execz .LBB758_102
; %bb.101:
	v_mov_b32_e32 v14, 0
	v_mov_b32_e32 v16, v14
	v_ashrrev_i64 v[18:19], 29, v[14:15]
	v_ashrrev_i64 v[26:27], 29, v[16:17]
	v_add_co_u32 v18, vcc_lo, s8, v18
	v_add_co_ci_u32_e64 v19, null, s9, v19, vcc_lo
	v_add_co_u32 v26, vcc_lo, s8, v26
	v_add_co_ci_u32_e64 v27, null, s9, v27, vcc_lo
	s_clause 0x1
	global_load_dwordx2 v[18:19], v[18:19], off
	global_load_dwordx2 v[26:27], v[26:27], off
	s_waitcnt vmcnt(0)
	v_cmp_ge_u64_e32 vcc_lo, v[18:19], v[26:27]
	s_and_b32 s18, vcc_lo, exec_lo
.LBB758_102:
	s_or_b32 exec_lo, exec_lo, s0
	s_orn2_b32 s0, s18, exec_lo
.LBB758_103:
	s_or_b32 exec_lo, exec_lo, s17
	v_cndmask_b32_e64 v14, v10, v12, s0
	v_cndmask_b32_e64 v16, v23, v25, s0
	;; [unrolled: 1-line block ×5, first 2 shown]
	v_add_nc_u32_e32 v14, 1, v14
	v_add_nc_u32_e32 v16, -1, v16
	v_cndmask_b32_e64 v4, v8, v4, s15
	v_cndmask_b32_e64 v9, v22, v24, s0
	;; [unrolled: 1-line block ×4, first 2 shown]
	v_min_u32_e32 v16, v14, v16
	s_mov_b32 s15, exec_lo
	v_lshl_add_u32 v16, v16, 3, v21
	ds_read_b64 v[18:19], v16
	s_waitcnt lgkmcnt(0)
	v_cndmask_b32_e64 v11, v24, v19, s0
	v_cndmask_b32_e64 v10, v17, v18, s0
	v_cmpx_lt_u32_e64 v13, v23
	s_cbranch_execz .LBB758_107
; %bb.104:
	v_cndmask_b32_e64 v14, v12, v14, s0
	v_cndmask_b32_e64 v13, v19, v22, s0
	v_cndmask_b32_e64 v12, v18, v15, s0
	s_mov_b32 s0, exec_lo
	v_cmpx_lt_u32_e64 v14, v25
	s_cbranch_execz .LBB758_106
; %bb.105:
	v_mov_b32_e32 v14, 0
	v_mov_b32_e32 v15, v12
	v_ashrrev_i64 v[16:17], 29, v[14:15]
	v_mov_b32_e32 v15, v10
	v_ashrrev_i64 v[14:15], 29, v[14:15]
	v_add_co_u32 v16, vcc_lo, s8, v16
	v_add_co_ci_u32_e64 v17, null, s9, v17, vcc_lo
	v_add_co_u32 v14, vcc_lo, s8, v14
	v_add_co_ci_u32_e64 v15, null, s9, v15, vcc_lo
	s_clause 0x1
	global_load_dwordx2 v[16:17], v[16:17], off
	global_load_dwordx2 v[14:15], v[14:15], off
	s_waitcnt vmcnt(0)
	v_cmp_lt_u64_e32 vcc_lo, v[16:17], v[14:15]
	v_cndmask_b32_e32 v13, v11, v13, vcc_lo
	v_cndmask_b32_e32 v12, v10, v12, vcc_lo
.LBB758_106:
	s_or_b32 exec_lo, exec_lo, s0
	v_mov_b32_e32 v10, v12
	v_mov_b32_e32 v11, v13
.LBB758_107:
	s_or_b32 exec_lo, exec_lo, s15
.LBB758_108:
	s_or_b32 exec_lo, exec_lo, s1
	v_and_b32_e32 v16, 0x380, v20
	v_and_b32_e32 v17, 0x7c, v20
	v_lshlrev_b32_e32 v21, 3, v20
	s_mov_b32 s0, exec_lo
	v_or_b32_e32 v22, 64, v16
	v_add_nc_u32_e32 v23, 0x80, v16
	v_lshlrev_b32_e32 v15, 3, v16
	; wave barrier
	s_waitcnt lgkmcnt(0)
	v_sub_nc_u32_e32 v13, v22, v16
	v_sub_nc_u32_e32 v12, v23, v22
	s_barrier
	buffer_gl0_inv
	ds_write_b128 v21, v[4:7]
	v_min_u32_e32 v18, v17, v13
	v_sub_nc_u32_e64 v14, v17, v12 clamp
	ds_write_b128 v21, v[8:11] offset:16
	s_waitcnt lgkmcnt(0)
	s_barrier
	buffer_gl0_inv
	v_cmpx_lt_u32_e64 v14, v18
	s_cbranch_execz .LBB758_112
; %bb.109:
	v_lshlrev_b32_e32 v12, 3, v17
	s_mov_b32 s1, 0
	v_lshl_add_u32 v19, v22, 3, v12
	v_mov_b32_e32 v12, 0
	s_inst_prefetch 0x1
	.p2align	6
.LBB758_110:                            ; =>This Inner Loop Header: Depth=1
	v_add_nc_u32_e32 v13, v18, v14
	v_lshrrev_b32_e32 v28, 1, v13
	v_not_b32_e32 v13, v28
	v_lshl_add_u32 v26, v28, 3, v15
	v_lshl_add_u32 v13, v13, 3, v19
	ds_read_b32 v13, v13
	s_waitcnt lgkmcnt(0)
	v_ashrrev_i64 v[24:25], 29, v[12:13]
	ds_read_b32 v13, v26
	v_add_co_u32 v24, vcc_lo, s8, v24
	v_add_co_ci_u32_e64 v25, null, s9, v25, vcc_lo
	s_waitcnt lgkmcnt(0)
	v_ashrrev_i64 v[26:27], 29, v[12:13]
	v_add_nc_u32_e32 v13, 1, v28
	v_add_co_u32 v26, vcc_lo, s8, v26
	v_add_co_ci_u32_e64 v27, null, s9, v27, vcc_lo
	s_clause 0x1
	global_load_dwordx2 v[24:25], v[24:25], off
	global_load_dwordx2 v[26:27], v[26:27], off
	s_waitcnt vmcnt(0)
	v_cmp_lt_u64_e32 vcc_lo, v[24:25], v[26:27]
	v_cndmask_b32_e32 v18, v18, v28, vcc_lo
	v_cndmask_b32_e32 v14, v13, v14, vcc_lo
	v_cmp_ge_u32_e32 vcc_lo, v14, v18
	s_or_b32 s1, vcc_lo, s1
	s_andn2_b32 exec_lo, exec_lo, s1
	s_cbranch_execnz .LBB758_110
; %bb.111:
	s_inst_prefetch 0x2
	s_or_b32 exec_lo, exec_lo, s1
.LBB758_112:
	s_or_b32 exec_lo, exec_lo, s0
	v_sub_nc_u32_e32 v13, v17, v14
	v_add_nc_u32_e32 v12, v14, v16
	v_add_nc_u32_e32 v13, v13, v22
	v_cmp_le_u32_e32 vcc_lo, v12, v22
	v_cmp_le_u32_e64 s0, v13, v23
	s_or_b32 s0, vcc_lo, s0
	s_and_saveexec_b32 s1, s0
	s_cbranch_execz .LBB758_132
; %bb.113:
	s_mov_b32 s15, exec_lo
	v_cmp_ge_u32_e32 vcc_lo, v12, v22
                                        ; implicit-def: $vgpr4_vgpr5
	v_cmpx_lt_u32_e64 v12, v22
; %bb.114:
	v_lshl_add_u32 v4, v14, 3, v15
	ds_read_b64 v[4:5], v4
; %bb.115:
	s_or_b32 exec_lo, exec_lo, s15
	v_cmp_ge_u32_e64 s15, v13, v23
	s_mov_b32 s16, exec_lo
                                        ; implicit-def: $vgpr8_vgpr9
	v_cmpx_lt_u32_e64 v13, v23
; %bb.116:
	v_lshlrev_b32_e32 v6, 3, v13
	ds_read_b64 v[8:9], v6
; %bb.117:
	s_or_b32 exec_lo, exec_lo, s16
	s_nor_b32 s16, vcc_lo, s15
	s_and_saveexec_b32 s0, s16
	s_cbranch_execz .LBB758_119
; %bb.118:
	v_mov_b32_e32 v6, 0
	s_waitcnt lgkmcnt(0)
	v_mov_b32_e32 v7, v8
	s_andn2_b32 s15, s15, exec_lo
	v_ashrrev_i64 v[10:11], 29, v[6:7]
	v_mov_b32_e32 v7, v4
	v_ashrrev_i64 v[6:7], 29, v[6:7]
	v_add_co_u32 v10, vcc_lo, s8, v10
	v_add_co_ci_u32_e64 v11, null, s9, v11, vcc_lo
	v_add_co_u32 v6, vcc_lo, s8, v6
	v_add_co_ci_u32_e64 v7, null, s9, v7, vcc_lo
	s_clause 0x1
	global_load_dwordx2 v[10:11], v[10:11], off
	global_load_dwordx2 v[6:7], v[6:7], off
	s_waitcnt vmcnt(0)
	v_cmp_ge_u64_e32 vcc_lo, v[10:11], v[6:7]
	s_and_b32 s16, vcc_lo, exec_lo
	s_or_b32 s15, s15, s16
.LBB758_119:
	s_or_b32 exec_lo, exec_lo, s0
	v_cndmask_b32_e64 v6, v13, v12, s15
	v_cndmask_b32_e64 v7, v23, v22, s15
	s_mov_b32 s0, -1
	s_mov_b32 s16, -1
	s_mov_b32 s17, exec_lo
	v_add_nc_u32_e32 v6, 1, v6
	v_add_nc_u32_e32 v7, -1, v7
	v_cndmask_b32_e64 v14, v6, v13, s15
	v_min_u32_e32 v7, v6, v7
	v_cndmask_b32_e64 v15, v12, v6, s15
	v_lshlrev_b32_e32 v7, 3, v7
	ds_read_b64 v[16:17], v7
	s_waitcnt lgkmcnt(0)
	v_cndmask_b32_e64 v6, v17, v9, s15
	v_cndmask_b32_e64 v11, v16, v8, s15
	;; [unrolled: 1-line block ×4, first 2 shown]
	v_cmpx_lt_u32_e64 v14, v23
	s_cbranch_execz .LBB758_123
; %bb.120:
	s_mov_b32 s18, 0
	s_mov_b32 s16, exec_lo
	v_cmpx_lt_u32_e64 v15, v22
	s_cbranch_execz .LBB758_122
; %bb.121:
	v_mov_b32_e32 v10, 0
	v_mov_b32_e32 v12, v10
	v_ashrrev_i64 v[16:17], 29, v[10:11]
	v_ashrrev_i64 v[18:19], 29, v[12:13]
	v_add_co_u32 v16, vcc_lo, s8, v16
	v_add_co_ci_u32_e64 v17, null, s9, v17, vcc_lo
	v_add_co_u32 v18, vcc_lo, s8, v18
	v_add_co_ci_u32_e64 v19, null, s9, v19, vcc_lo
	s_clause 0x1
	global_load_dwordx2 v[16:17], v[16:17], off
	global_load_dwordx2 v[18:19], v[18:19], off
	s_waitcnt vmcnt(0)
	v_cmp_ge_u64_e32 vcc_lo, v[16:17], v[18:19]
	s_and_b32 s18, vcc_lo, exec_lo
.LBB758_122:
	s_or_b32 exec_lo, exec_lo, s16
	s_orn2_b32 s16, s18, exec_lo
.LBB758_123:
	s_or_b32 exec_lo, exec_lo, s17
	v_cndmask_b32_e64 v10, v14, v15, s16
	v_cndmask_b32_e64 v12, v23, v22, s16
	s_mov_b32 s17, exec_lo
	v_add_nc_u32_e32 v18, 1, v10
	v_add_nc_u32_e32 v10, -1, v12
	v_cndmask_b32_e64 v12, v15, v18, s16
	v_min_u32_e32 v10, v18, v10
	v_lshlrev_b32_e32 v10, 3, v10
	ds_read_b64 v[16:17], v10
	v_cndmask_b32_e64 v10, v18, v14, s16
	s_waitcnt lgkmcnt(0)
	v_cndmask_b32_e64 v24, v17, v6, s16
	v_cndmask_b32_e64 v15, v16, v11, s16
	;; [unrolled: 1-line block ×4, first 2 shown]
	v_cmpx_lt_u32_e64 v10, v23
	s_cbranch_execz .LBB758_127
; %bb.124:
	s_mov_b32 s18, 0
	s_mov_b32 s0, exec_lo
	v_cmpx_lt_u32_e64 v12, v22
	s_cbranch_execz .LBB758_126
; %bb.125:
	v_mov_b32_e32 v14, 0
	v_mov_b32_e32 v16, v14
	v_ashrrev_i64 v[18:19], 29, v[14:15]
	v_ashrrev_i64 v[26:27], 29, v[16:17]
	v_add_co_u32 v18, vcc_lo, s8, v18
	v_add_co_ci_u32_e64 v19, null, s9, v19, vcc_lo
	v_add_co_u32 v26, vcc_lo, s8, v26
	v_add_co_ci_u32_e64 v27, null, s9, v27, vcc_lo
	s_clause 0x1
	global_load_dwordx2 v[18:19], v[18:19], off
	global_load_dwordx2 v[26:27], v[26:27], off
	s_waitcnt vmcnt(0)
	v_cmp_ge_u64_e32 vcc_lo, v[18:19], v[26:27]
	s_and_b32 s18, vcc_lo, exec_lo
.LBB758_126:
	s_or_b32 exec_lo, exec_lo, s0
	s_orn2_b32 s0, s18, exec_lo
.LBB758_127:
	s_or_b32 exec_lo, exec_lo, s17
	v_cndmask_b32_e64 v14, v10, v12, s0
	v_cndmask_b32_e64 v16, v23, v22, s0
	;; [unrolled: 1-line block ×5, first 2 shown]
	v_add_nc_u32_e32 v14, 1, v14
	v_add_nc_u32_e32 v16, -1, v16
	v_cndmask_b32_e64 v4, v8, v4, s15
	v_cndmask_b32_e64 v9, v24, v25, s0
	;; [unrolled: 1-line block ×4, first 2 shown]
	v_min_u32_e32 v16, v14, v16
	s_mov_b32 s15, exec_lo
	v_lshlrev_b32_e32 v16, 3, v16
	ds_read_b64 v[18:19], v16
	s_waitcnt lgkmcnt(0)
	v_cndmask_b32_e64 v11, v25, v19, s0
	v_cndmask_b32_e64 v10, v17, v18, s0
	v_cmpx_lt_u32_e64 v13, v23
	s_cbranch_execz .LBB758_131
; %bb.128:
	v_cndmask_b32_e64 v14, v12, v14, s0
	v_cndmask_b32_e64 v13, v19, v24, s0
	;; [unrolled: 1-line block ×3, first 2 shown]
	s_mov_b32 s0, exec_lo
	v_cmpx_lt_u32_e64 v14, v22
	s_cbranch_execz .LBB758_130
; %bb.129:
	v_mov_b32_e32 v14, 0
	v_mov_b32_e32 v15, v12
	v_ashrrev_i64 v[16:17], 29, v[14:15]
	v_mov_b32_e32 v15, v10
	v_ashrrev_i64 v[14:15], 29, v[14:15]
	v_add_co_u32 v16, vcc_lo, s8, v16
	v_add_co_ci_u32_e64 v17, null, s9, v17, vcc_lo
	v_add_co_u32 v14, vcc_lo, s8, v14
	v_add_co_ci_u32_e64 v15, null, s9, v15, vcc_lo
	s_clause 0x1
	global_load_dwordx2 v[16:17], v[16:17], off
	global_load_dwordx2 v[14:15], v[14:15], off
	s_waitcnt vmcnt(0)
	v_cmp_lt_u64_e32 vcc_lo, v[16:17], v[14:15]
	v_cndmask_b32_e32 v13, v11, v13, vcc_lo
	v_cndmask_b32_e32 v12, v10, v12, vcc_lo
.LBB758_130:
	s_or_b32 exec_lo, exec_lo, s0
	v_mov_b32_e32 v10, v12
	v_mov_b32_e32 v11, v13
.LBB758_131:
	s_or_b32 exec_lo, exec_lo, s15
.LBB758_132:
	s_or_b32 exec_lo, exec_lo, s1
	v_and_b32_e32 v16, 0x300, v20
	v_and_b32_e32 v17, 0xfc, v20
	s_mov_b32 s0, exec_lo
	s_barrier
	v_or_b32_e32 v22, 0x80, v16
	v_add_nc_u32_e32 v23, 0x100, v16
	v_lshlrev_b32_e32 v15, 3, v16
	buffer_gl0_inv
	ds_write_b128 v21, v[4:7]
	v_sub_nc_u32_e32 v13, v22, v16
	v_sub_nc_u32_e32 v12, v23, v22
	ds_write_b128 v21, v[8:11] offset:16
	s_waitcnt lgkmcnt(0)
	s_barrier
	v_min_u32_e32 v18, v17, v13
	v_sub_nc_u32_e64 v14, v17, v12 clamp
	buffer_gl0_inv
	v_cmpx_lt_u32_e64 v14, v18
	s_cbranch_execz .LBB758_136
; %bb.133:
	v_lshlrev_b32_e32 v12, 3, v17
	s_mov_b32 s1, 0
	v_lshl_add_u32 v19, v22, 3, v12
	v_mov_b32_e32 v12, 0
	s_inst_prefetch 0x1
	.p2align	6
.LBB758_134:                            ; =>This Inner Loop Header: Depth=1
	v_add_nc_u32_e32 v13, v18, v14
	v_lshrrev_b32_e32 v28, 1, v13
	v_not_b32_e32 v13, v28
	v_lshl_add_u32 v26, v28, 3, v15
	v_lshl_add_u32 v13, v13, 3, v19
	ds_read_b32 v13, v13
	s_waitcnt lgkmcnt(0)
	v_ashrrev_i64 v[24:25], 29, v[12:13]
	ds_read_b32 v13, v26
	v_add_co_u32 v24, vcc_lo, s8, v24
	v_add_co_ci_u32_e64 v25, null, s9, v25, vcc_lo
	s_waitcnt lgkmcnt(0)
	v_ashrrev_i64 v[26:27], 29, v[12:13]
	v_add_nc_u32_e32 v13, 1, v28
	v_add_co_u32 v26, vcc_lo, s8, v26
	v_add_co_ci_u32_e64 v27, null, s9, v27, vcc_lo
	s_clause 0x1
	global_load_dwordx2 v[24:25], v[24:25], off
	global_load_dwordx2 v[26:27], v[26:27], off
	s_waitcnt vmcnt(0)
	v_cmp_lt_u64_e32 vcc_lo, v[24:25], v[26:27]
	v_cndmask_b32_e32 v18, v18, v28, vcc_lo
	v_cndmask_b32_e32 v14, v13, v14, vcc_lo
	v_cmp_ge_u32_e32 vcc_lo, v14, v18
	s_or_b32 s1, vcc_lo, s1
	s_andn2_b32 exec_lo, exec_lo, s1
	s_cbranch_execnz .LBB758_134
; %bb.135:
	s_inst_prefetch 0x2
	s_or_b32 exec_lo, exec_lo, s1
.LBB758_136:
	s_or_b32 exec_lo, exec_lo, s0
	v_sub_nc_u32_e32 v13, v17, v14
	v_add_nc_u32_e32 v12, v14, v16
	v_add_nc_u32_e32 v13, v13, v22
	v_cmp_le_u32_e32 vcc_lo, v12, v22
	v_cmp_le_u32_e64 s0, v13, v23
	s_or_b32 s0, vcc_lo, s0
	s_and_saveexec_b32 s1, s0
	s_cbranch_execz .LBB758_156
; %bb.137:
	s_mov_b32 s15, exec_lo
	v_cmp_ge_u32_e32 vcc_lo, v12, v22
                                        ; implicit-def: $vgpr4_vgpr5
	v_cmpx_lt_u32_e64 v12, v22
; %bb.138:
	v_lshl_add_u32 v4, v14, 3, v15
	ds_read_b64 v[4:5], v4
; %bb.139:
	s_or_b32 exec_lo, exec_lo, s15
	v_cmp_ge_u32_e64 s15, v13, v23
	s_mov_b32 s16, exec_lo
                                        ; implicit-def: $vgpr8_vgpr9
	v_cmpx_lt_u32_e64 v13, v23
; %bb.140:
	v_lshlrev_b32_e32 v6, 3, v13
	ds_read_b64 v[8:9], v6
; %bb.141:
	s_or_b32 exec_lo, exec_lo, s16
	s_nor_b32 s16, vcc_lo, s15
	s_and_saveexec_b32 s0, s16
	s_cbranch_execz .LBB758_143
; %bb.142:
	v_mov_b32_e32 v6, 0
	s_waitcnt lgkmcnt(0)
	v_mov_b32_e32 v7, v8
	s_andn2_b32 s15, s15, exec_lo
	v_ashrrev_i64 v[10:11], 29, v[6:7]
	v_mov_b32_e32 v7, v4
	v_ashrrev_i64 v[6:7], 29, v[6:7]
	v_add_co_u32 v10, vcc_lo, s8, v10
	v_add_co_ci_u32_e64 v11, null, s9, v11, vcc_lo
	v_add_co_u32 v6, vcc_lo, s8, v6
	v_add_co_ci_u32_e64 v7, null, s9, v7, vcc_lo
	s_clause 0x1
	global_load_dwordx2 v[10:11], v[10:11], off
	global_load_dwordx2 v[6:7], v[6:7], off
	s_waitcnt vmcnt(0)
	v_cmp_ge_u64_e32 vcc_lo, v[10:11], v[6:7]
	s_and_b32 s16, vcc_lo, exec_lo
	s_or_b32 s15, s15, s16
.LBB758_143:
	s_or_b32 exec_lo, exec_lo, s0
	v_cndmask_b32_e64 v6, v13, v12, s15
	v_cndmask_b32_e64 v7, v23, v22, s15
	s_mov_b32 s0, -1
	s_mov_b32 s16, -1
	s_mov_b32 s17, exec_lo
	v_add_nc_u32_e32 v6, 1, v6
	v_add_nc_u32_e32 v7, -1, v7
	v_cndmask_b32_e64 v14, v6, v13, s15
	v_min_u32_e32 v7, v6, v7
	v_cndmask_b32_e64 v15, v12, v6, s15
	v_lshlrev_b32_e32 v7, 3, v7
	ds_read_b64 v[16:17], v7
	s_waitcnt lgkmcnt(0)
	v_cndmask_b32_e64 v6, v17, v9, s15
	v_cndmask_b32_e64 v11, v16, v8, s15
	;; [unrolled: 1-line block ×4, first 2 shown]
	v_cmpx_lt_u32_e64 v14, v23
	s_cbranch_execz .LBB758_147
; %bb.144:
	s_mov_b32 s18, 0
	s_mov_b32 s16, exec_lo
	v_cmpx_lt_u32_e64 v15, v22
	s_cbranch_execz .LBB758_146
; %bb.145:
	v_mov_b32_e32 v10, 0
	v_mov_b32_e32 v12, v10
	v_ashrrev_i64 v[16:17], 29, v[10:11]
	v_ashrrev_i64 v[18:19], 29, v[12:13]
	v_add_co_u32 v16, vcc_lo, s8, v16
	v_add_co_ci_u32_e64 v17, null, s9, v17, vcc_lo
	v_add_co_u32 v18, vcc_lo, s8, v18
	v_add_co_ci_u32_e64 v19, null, s9, v19, vcc_lo
	s_clause 0x1
	global_load_dwordx2 v[16:17], v[16:17], off
	global_load_dwordx2 v[18:19], v[18:19], off
	s_waitcnt vmcnt(0)
	v_cmp_ge_u64_e32 vcc_lo, v[16:17], v[18:19]
	s_and_b32 s18, vcc_lo, exec_lo
.LBB758_146:
	s_or_b32 exec_lo, exec_lo, s16
	s_orn2_b32 s16, s18, exec_lo
.LBB758_147:
	s_or_b32 exec_lo, exec_lo, s17
	v_cndmask_b32_e64 v10, v14, v15, s16
	v_cndmask_b32_e64 v12, v23, v22, s16
	s_mov_b32 s17, exec_lo
	v_add_nc_u32_e32 v18, 1, v10
	v_add_nc_u32_e32 v10, -1, v12
	v_cndmask_b32_e64 v12, v15, v18, s16
	v_min_u32_e32 v10, v18, v10
	v_lshlrev_b32_e32 v10, 3, v10
	ds_read_b64 v[16:17], v10
	v_cndmask_b32_e64 v10, v18, v14, s16
	s_waitcnt lgkmcnt(0)
	v_cndmask_b32_e64 v24, v17, v6, s16
	v_cndmask_b32_e64 v15, v16, v11, s16
	;; [unrolled: 1-line block ×4, first 2 shown]
	v_cmpx_lt_u32_e64 v10, v23
	s_cbranch_execz .LBB758_151
; %bb.148:
	s_mov_b32 s18, 0
	s_mov_b32 s0, exec_lo
	v_cmpx_lt_u32_e64 v12, v22
	s_cbranch_execz .LBB758_150
; %bb.149:
	v_mov_b32_e32 v14, 0
	v_mov_b32_e32 v16, v14
	v_ashrrev_i64 v[18:19], 29, v[14:15]
	v_ashrrev_i64 v[26:27], 29, v[16:17]
	v_add_co_u32 v18, vcc_lo, s8, v18
	v_add_co_ci_u32_e64 v19, null, s9, v19, vcc_lo
	v_add_co_u32 v26, vcc_lo, s8, v26
	v_add_co_ci_u32_e64 v27, null, s9, v27, vcc_lo
	s_clause 0x1
	global_load_dwordx2 v[18:19], v[18:19], off
	global_load_dwordx2 v[26:27], v[26:27], off
	s_waitcnt vmcnt(0)
	v_cmp_ge_u64_e32 vcc_lo, v[18:19], v[26:27]
	s_and_b32 s18, vcc_lo, exec_lo
.LBB758_150:
	s_or_b32 exec_lo, exec_lo, s0
	s_orn2_b32 s0, s18, exec_lo
.LBB758_151:
	s_or_b32 exec_lo, exec_lo, s17
	v_cndmask_b32_e64 v14, v10, v12, s0
	v_cndmask_b32_e64 v16, v23, v22, s0
	;; [unrolled: 1-line block ×5, first 2 shown]
	v_add_nc_u32_e32 v14, 1, v14
	v_add_nc_u32_e32 v16, -1, v16
	v_cndmask_b32_e64 v4, v8, v4, s15
	v_cndmask_b32_e64 v9, v24, v25, s0
	;; [unrolled: 1-line block ×4, first 2 shown]
	v_min_u32_e32 v16, v14, v16
	s_mov_b32 s15, exec_lo
	v_lshlrev_b32_e32 v16, 3, v16
	ds_read_b64 v[18:19], v16
	s_waitcnt lgkmcnt(0)
	v_cndmask_b32_e64 v11, v25, v19, s0
	v_cndmask_b32_e64 v10, v17, v18, s0
	v_cmpx_lt_u32_e64 v13, v23
	s_cbranch_execz .LBB758_155
; %bb.152:
	v_cndmask_b32_e64 v14, v12, v14, s0
	v_cndmask_b32_e64 v13, v19, v24, s0
	;; [unrolled: 1-line block ×3, first 2 shown]
	s_mov_b32 s0, exec_lo
	v_cmpx_lt_u32_e64 v14, v22
	s_cbranch_execz .LBB758_154
; %bb.153:
	v_mov_b32_e32 v14, 0
	v_mov_b32_e32 v15, v12
	v_ashrrev_i64 v[16:17], 29, v[14:15]
	v_mov_b32_e32 v15, v10
	v_ashrrev_i64 v[14:15], 29, v[14:15]
	v_add_co_u32 v16, vcc_lo, s8, v16
	v_add_co_ci_u32_e64 v17, null, s9, v17, vcc_lo
	v_add_co_u32 v14, vcc_lo, s8, v14
	v_add_co_ci_u32_e64 v15, null, s9, v15, vcc_lo
	s_clause 0x1
	global_load_dwordx2 v[16:17], v[16:17], off
	global_load_dwordx2 v[14:15], v[14:15], off
	s_waitcnt vmcnt(0)
	v_cmp_lt_u64_e32 vcc_lo, v[16:17], v[14:15]
	v_cndmask_b32_e32 v13, v11, v13, vcc_lo
	v_cndmask_b32_e32 v12, v10, v12, vcc_lo
.LBB758_154:
	s_or_b32 exec_lo, exec_lo, s0
	v_mov_b32_e32 v10, v12
	v_mov_b32_e32 v11, v13
.LBB758_155:
	s_or_b32 exec_lo, exec_lo, s15
.LBB758_156:
	s_or_b32 exec_lo, exec_lo, s1
	v_and_b32_e32 v16, 0x200, v20
	v_and_b32_e32 v17, 0x1fc, v20
	s_mov_b32 s0, exec_lo
	s_barrier
	v_or_b32_e32 v22, 0x100, v16
	v_add_nc_u32_e32 v23, 0x200, v16
	v_lshlrev_b32_e32 v15, 3, v16
	buffer_gl0_inv
	ds_write_b128 v21, v[4:7]
	v_sub_nc_u32_e32 v13, v22, v16
	v_sub_nc_u32_e32 v12, v23, v22
	ds_write_b128 v21, v[8:11] offset:16
	s_waitcnt lgkmcnt(0)
	s_barrier
	v_min_u32_e32 v18, v17, v13
	v_sub_nc_u32_e64 v14, v17, v12 clamp
	buffer_gl0_inv
	v_cmpx_lt_u32_e64 v14, v18
	s_cbranch_execz .LBB758_160
; %bb.157:
	v_lshlrev_b32_e32 v12, 3, v17
	s_mov_b32 s1, 0
	v_lshl_add_u32 v19, v22, 3, v12
	v_mov_b32_e32 v12, 0
	s_inst_prefetch 0x1
	.p2align	6
.LBB758_158:                            ; =>This Inner Loop Header: Depth=1
	v_add_nc_u32_e32 v13, v18, v14
	v_lshrrev_b32_e32 v28, 1, v13
	v_not_b32_e32 v13, v28
	v_lshl_add_u32 v26, v28, 3, v15
	v_lshl_add_u32 v13, v13, 3, v19
	ds_read_b32 v13, v13
	s_waitcnt lgkmcnt(0)
	v_ashrrev_i64 v[24:25], 29, v[12:13]
	ds_read_b32 v13, v26
	v_add_co_u32 v24, vcc_lo, s8, v24
	v_add_co_ci_u32_e64 v25, null, s9, v25, vcc_lo
	s_waitcnt lgkmcnt(0)
	v_ashrrev_i64 v[26:27], 29, v[12:13]
	v_add_nc_u32_e32 v13, 1, v28
	v_add_co_u32 v26, vcc_lo, s8, v26
	v_add_co_ci_u32_e64 v27, null, s9, v27, vcc_lo
	s_clause 0x1
	global_load_dwordx2 v[24:25], v[24:25], off
	global_load_dwordx2 v[26:27], v[26:27], off
	s_waitcnt vmcnt(0)
	v_cmp_lt_u64_e32 vcc_lo, v[24:25], v[26:27]
	v_cndmask_b32_e32 v18, v18, v28, vcc_lo
	v_cndmask_b32_e32 v14, v13, v14, vcc_lo
	v_cmp_ge_u32_e32 vcc_lo, v14, v18
	s_or_b32 s1, vcc_lo, s1
	s_andn2_b32 exec_lo, exec_lo, s1
	s_cbranch_execnz .LBB758_158
; %bb.159:
	s_inst_prefetch 0x2
	s_or_b32 exec_lo, exec_lo, s1
.LBB758_160:
	s_or_b32 exec_lo, exec_lo, s0
	v_sub_nc_u32_e32 v13, v17, v14
	v_add_nc_u32_e32 v12, v14, v16
	v_add_nc_u32_e32 v13, v13, v22
	v_cmp_le_u32_e32 vcc_lo, v12, v22
	v_cmp_le_u32_e64 s0, v13, v23
	s_or_b32 s0, vcc_lo, s0
	s_and_saveexec_b32 s1, s0
	s_cbranch_execz .LBB758_180
; %bb.161:
	s_mov_b32 s15, exec_lo
	v_cmp_ge_u32_e32 vcc_lo, v12, v22
                                        ; implicit-def: $vgpr4_vgpr5
	v_cmpx_lt_u32_e64 v12, v22
; %bb.162:
	v_lshl_add_u32 v4, v14, 3, v15
	ds_read_b64 v[4:5], v4
; %bb.163:
	s_or_b32 exec_lo, exec_lo, s15
	v_cmp_ge_u32_e64 s15, v13, v23
	s_mov_b32 s16, exec_lo
                                        ; implicit-def: $vgpr8_vgpr9
	v_cmpx_lt_u32_e64 v13, v23
; %bb.164:
	v_lshlrev_b32_e32 v6, 3, v13
	ds_read_b64 v[8:9], v6
; %bb.165:
	s_or_b32 exec_lo, exec_lo, s16
	s_nor_b32 s16, vcc_lo, s15
	s_and_saveexec_b32 s0, s16
	s_cbranch_execz .LBB758_167
; %bb.166:
	v_mov_b32_e32 v6, 0
	s_waitcnt lgkmcnt(0)
	v_mov_b32_e32 v7, v8
	s_andn2_b32 s15, s15, exec_lo
	v_ashrrev_i64 v[10:11], 29, v[6:7]
	v_mov_b32_e32 v7, v4
	v_ashrrev_i64 v[6:7], 29, v[6:7]
	v_add_co_u32 v10, vcc_lo, s8, v10
	v_add_co_ci_u32_e64 v11, null, s9, v11, vcc_lo
	v_add_co_u32 v6, vcc_lo, s8, v6
	v_add_co_ci_u32_e64 v7, null, s9, v7, vcc_lo
	s_clause 0x1
	global_load_dwordx2 v[10:11], v[10:11], off
	global_load_dwordx2 v[6:7], v[6:7], off
	s_waitcnt vmcnt(0)
	v_cmp_ge_u64_e32 vcc_lo, v[10:11], v[6:7]
	s_and_b32 s16, vcc_lo, exec_lo
	s_or_b32 s15, s15, s16
.LBB758_167:
	s_or_b32 exec_lo, exec_lo, s0
	v_cndmask_b32_e64 v6, v13, v12, s15
	v_cndmask_b32_e64 v7, v23, v22, s15
	s_mov_b32 s0, -1
	s_mov_b32 s16, -1
	s_mov_b32 s17, exec_lo
	v_add_nc_u32_e32 v6, 1, v6
	v_add_nc_u32_e32 v7, -1, v7
	v_cndmask_b32_e64 v14, v6, v13, s15
	v_min_u32_e32 v7, v6, v7
	v_cndmask_b32_e64 v15, v12, v6, s15
	v_lshlrev_b32_e32 v7, 3, v7
	ds_read_b64 v[16:17], v7
	s_waitcnt lgkmcnt(0)
	v_cndmask_b32_e64 v6, v17, v9, s15
	v_cndmask_b32_e64 v11, v16, v8, s15
	;; [unrolled: 1-line block ×4, first 2 shown]
	v_cmpx_lt_u32_e64 v14, v23
	s_cbranch_execz .LBB758_171
; %bb.168:
	s_mov_b32 s18, 0
	s_mov_b32 s16, exec_lo
	v_cmpx_lt_u32_e64 v15, v22
	s_cbranch_execz .LBB758_170
; %bb.169:
	v_mov_b32_e32 v10, 0
	v_mov_b32_e32 v12, v10
	v_ashrrev_i64 v[16:17], 29, v[10:11]
	v_ashrrev_i64 v[18:19], 29, v[12:13]
	v_add_co_u32 v16, vcc_lo, s8, v16
	v_add_co_ci_u32_e64 v17, null, s9, v17, vcc_lo
	v_add_co_u32 v18, vcc_lo, s8, v18
	v_add_co_ci_u32_e64 v19, null, s9, v19, vcc_lo
	s_clause 0x1
	global_load_dwordx2 v[16:17], v[16:17], off
	global_load_dwordx2 v[18:19], v[18:19], off
	s_waitcnt vmcnt(0)
	v_cmp_ge_u64_e32 vcc_lo, v[16:17], v[18:19]
	s_and_b32 s18, vcc_lo, exec_lo
.LBB758_170:
	s_or_b32 exec_lo, exec_lo, s16
	s_orn2_b32 s16, s18, exec_lo
.LBB758_171:
	s_or_b32 exec_lo, exec_lo, s17
	v_cndmask_b32_e64 v10, v14, v15, s16
	v_cndmask_b32_e64 v12, v23, v22, s16
	s_mov_b32 s17, exec_lo
	v_add_nc_u32_e32 v18, 1, v10
	v_add_nc_u32_e32 v10, -1, v12
	v_cndmask_b32_e64 v12, v15, v18, s16
	v_min_u32_e32 v10, v18, v10
	v_lshlrev_b32_e32 v10, 3, v10
	ds_read_b64 v[16:17], v10
	v_cndmask_b32_e64 v10, v18, v14, s16
	s_waitcnt lgkmcnt(0)
	v_cndmask_b32_e64 v24, v17, v6, s16
	v_cndmask_b32_e64 v15, v16, v11, s16
	;; [unrolled: 1-line block ×4, first 2 shown]
	v_cmpx_lt_u32_e64 v10, v23
	s_cbranch_execz .LBB758_175
; %bb.172:
	s_mov_b32 s18, 0
	s_mov_b32 s0, exec_lo
	v_cmpx_lt_u32_e64 v12, v22
	s_cbranch_execz .LBB758_174
; %bb.173:
	v_mov_b32_e32 v14, 0
	v_mov_b32_e32 v16, v14
	v_ashrrev_i64 v[18:19], 29, v[14:15]
	v_ashrrev_i64 v[26:27], 29, v[16:17]
	v_add_co_u32 v18, vcc_lo, s8, v18
	v_add_co_ci_u32_e64 v19, null, s9, v19, vcc_lo
	v_add_co_u32 v26, vcc_lo, s8, v26
	v_add_co_ci_u32_e64 v27, null, s9, v27, vcc_lo
	s_clause 0x1
	global_load_dwordx2 v[18:19], v[18:19], off
	global_load_dwordx2 v[26:27], v[26:27], off
	s_waitcnt vmcnt(0)
	v_cmp_ge_u64_e32 vcc_lo, v[18:19], v[26:27]
	s_and_b32 s18, vcc_lo, exec_lo
.LBB758_174:
	s_or_b32 exec_lo, exec_lo, s0
	s_orn2_b32 s0, s18, exec_lo
.LBB758_175:
	s_or_b32 exec_lo, exec_lo, s17
	v_cndmask_b32_e64 v14, v10, v12, s0
	v_cndmask_b32_e64 v16, v23, v22, s0
	v_cndmask_b32_e64 v7, v6, v7, s16
	v_cndmask_b32_e64 v6, v11, v13, s16
	v_cndmask_b32_e64 v5, v9, v5, s15
	v_add_nc_u32_e32 v14, 1, v14
	v_add_nc_u32_e32 v16, -1, v16
	v_cndmask_b32_e64 v4, v8, v4, s15
	v_cndmask_b32_e64 v9, v24, v25, s0
	;; [unrolled: 1-line block ×4, first 2 shown]
	v_min_u32_e32 v16, v14, v16
	s_mov_b32 s15, exec_lo
	v_lshlrev_b32_e32 v16, 3, v16
	ds_read_b64 v[18:19], v16
	s_waitcnt lgkmcnt(0)
	v_cndmask_b32_e64 v11, v25, v19, s0
	v_cndmask_b32_e64 v10, v17, v18, s0
	v_cmpx_lt_u32_e64 v13, v23
	s_cbranch_execz .LBB758_179
; %bb.176:
	v_cndmask_b32_e64 v14, v12, v14, s0
	v_cndmask_b32_e64 v13, v19, v24, s0
	;; [unrolled: 1-line block ×3, first 2 shown]
	s_mov_b32 s0, exec_lo
	v_cmpx_lt_u32_e64 v14, v22
	s_cbranch_execz .LBB758_178
; %bb.177:
	v_mov_b32_e32 v14, 0
	v_mov_b32_e32 v15, v12
	v_ashrrev_i64 v[16:17], 29, v[14:15]
	v_mov_b32_e32 v15, v10
	v_ashrrev_i64 v[14:15], 29, v[14:15]
	v_add_co_u32 v16, vcc_lo, s8, v16
	v_add_co_ci_u32_e64 v17, null, s9, v17, vcc_lo
	v_add_co_u32 v14, vcc_lo, s8, v14
	v_add_co_ci_u32_e64 v15, null, s9, v15, vcc_lo
	s_clause 0x1
	global_load_dwordx2 v[16:17], v[16:17], off
	global_load_dwordx2 v[14:15], v[14:15], off
	s_waitcnt vmcnt(0)
	v_cmp_lt_u64_e32 vcc_lo, v[16:17], v[14:15]
	v_cndmask_b32_e32 v13, v11, v13, vcc_lo
	v_cndmask_b32_e32 v12, v10, v12, vcc_lo
.LBB758_178:
	s_or_b32 exec_lo, exec_lo, s0
	v_mov_b32_e32 v10, v12
	v_mov_b32_e32 v11, v13
.LBB758_179:
	s_or_b32 exec_lo, exec_lo, s15
.LBB758_180:
	s_or_b32 exec_lo, exec_lo, s1
	v_and_b32_e32 v15, 0x3fc, v20
	s_mov_b32 s0, exec_lo
	s_barrier
	buffer_gl0_inv
	v_subrev_nc_u32_e64 v14, 0x200, v15 clamp
	v_min_u32_e32 v16, 0x200, v15
	ds_write_b128 v21, v[4:7]
	ds_write_b128 v21, v[8:11] offset:16
	s_waitcnt lgkmcnt(0)
	s_barrier
	buffer_gl0_inv
	v_cmpx_lt_u32_e64 v14, v16
	s_cbranch_execz .LBB758_184
; %bb.181:
	v_lshlrev_b32_e32 v12, 3, v15
	s_mov_b32 s1, 0
	v_lshl_add_u32 v17, 0x200, 3, v12
	v_mov_b32_e32 v12, 0
	s_inst_prefetch 0x1
	.p2align	6
.LBB758_182:                            ; =>This Inner Loop Header: Depth=1
	v_add_nc_u32_e32 v13, v16, v14
	v_lshrrev_b32_e32 v22, 1, v13
	v_not_b32_e32 v13, v22
	v_lshlrev_b32_e32 v20, 3, v22
	v_lshl_add_u32 v13, v13, 3, v17
	ds_read_b32 v13, v13
	s_waitcnt lgkmcnt(0)
	v_ashrrev_i64 v[18:19], 29, v[12:13]
	ds_read_b32 v13, v20
	v_add_co_u32 v18, vcc_lo, s8, v18
	v_add_co_ci_u32_e64 v19, null, s9, v19, vcc_lo
	s_waitcnt lgkmcnt(0)
	v_ashrrev_i64 v[20:21], 29, v[12:13]
	v_add_nc_u32_e32 v13, 1, v22
	v_add_co_u32 v20, vcc_lo, s8, v20
	v_add_co_ci_u32_e64 v21, null, s9, v21, vcc_lo
	s_clause 0x1
	global_load_dwordx2 v[18:19], v[18:19], off
	global_load_dwordx2 v[20:21], v[20:21], off
	s_waitcnt vmcnt(0)
	v_cmp_lt_u64_e32 vcc_lo, v[18:19], v[20:21]
	v_cndmask_b32_e32 v16, v16, v22, vcc_lo
	v_cndmask_b32_e32 v14, v13, v14, vcc_lo
	v_cmp_ge_u32_e32 vcc_lo, v14, v16
	s_or_b32 s1, vcc_lo, s1
	s_andn2_b32 exec_lo, exec_lo, s1
	s_cbranch_execnz .LBB758_182
; %bb.183:
	s_inst_prefetch 0x2
	s_or_b32 exec_lo, exec_lo, s1
.LBB758_184:
	s_or_b32 exec_lo, exec_lo, s0
	v_sub_nc_u32_e32 v12, v15, v14
	v_cmp_ge_u32_e32 vcc_lo, 0x200, v14
	v_add_nc_u32_e32 v12, 0x200, v12
	v_cmp_gt_u32_e64 s0, 0x401, v12
	s_or_b32 s0, vcc_lo, s0
	s_and_saveexec_b32 s1, s0
	s_cbranch_execz .LBB758_204
; %bb.185:
	s_mov_b32 s15, exec_lo
	v_cmp_le_u32_e32 vcc_lo, 0x200, v14
                                        ; implicit-def: $vgpr4_vgpr5
	v_cmpx_gt_u32_e32 0x200, v14
; %bb.186:
	v_lshlrev_b32_e32 v4, 3, v14
	ds_read_b64 v[4:5], v4
; %bb.187:
	s_or_b32 exec_lo, exec_lo, s15
	v_cmp_lt_u32_e64 s15, 0x3ff, v12
	s_mov_b32 s16, exec_lo
                                        ; implicit-def: $vgpr8_vgpr9
	v_cmpx_gt_u32_e32 0x400, v12
; %bb.188:
	v_lshlrev_b32_e32 v6, 3, v12
	ds_read_b64 v[8:9], v6
; %bb.189:
	s_or_b32 exec_lo, exec_lo, s16
	s_nor_b32 s16, vcc_lo, s15
	s_and_saveexec_b32 s0, s16
	s_cbranch_execz .LBB758_191
; %bb.190:
	v_mov_b32_e32 v6, 0
	s_waitcnt lgkmcnt(0)
	v_mov_b32_e32 v7, v8
	s_andn2_b32 s15, s15, exec_lo
	v_ashrrev_i64 v[10:11], 29, v[6:7]
	v_mov_b32_e32 v7, v4
	v_ashrrev_i64 v[6:7], 29, v[6:7]
	v_add_co_u32 v10, vcc_lo, s8, v10
	v_add_co_ci_u32_e64 v11, null, s9, v11, vcc_lo
	v_add_co_u32 v6, vcc_lo, s8, v6
	v_add_co_ci_u32_e64 v7, null, s9, v7, vcc_lo
	s_clause 0x1
	global_load_dwordx2 v[10:11], v[10:11], off
	global_load_dwordx2 v[6:7], v[6:7], off
	s_waitcnt vmcnt(0)
	v_cmp_ge_u64_e32 vcc_lo, v[10:11], v[6:7]
	s_and_b32 s16, vcc_lo, exec_lo
	s_or_b32 s15, s15, s16
.LBB758_191:
	s_or_b32 exec_lo, exec_lo, s0
	v_cndmask_b32_e64 v7, v12, v14, s15
	v_add_nc_u32_e64 v6, 0x200, -1
	s_mov_b32 s0, -1
	s_mov_b32 s16, -1
	s_mov_b32 s17, exec_lo
	v_add_nc_u32_e32 v7, 1, v7
	v_cndmask_b32_e64 v10, 0x3ff, v6, s15
	v_cndmask_b32_e64 v15, v7, v12, s15
	v_min_u32_e32 v10, v7, v10
	v_cndmask_b32_e64 v14, v14, v7, s15
	v_lshlrev_b32_e32 v10, 3, v10
	ds_read_b64 v[16:17], v10
	s_waitcnt lgkmcnt(0)
	v_cndmask_b32_e64 v7, v17, v9, s15
	v_cndmask_b32_e64 v11, v16, v8, s15
	;; [unrolled: 1-line block ×4, first 2 shown]
	v_cmpx_gt_u32_e32 0x400, v15
	s_cbranch_execz .LBB758_195
; %bb.192:
	s_mov_b32 s18, 0
	s_mov_b32 s16, exec_lo
	v_cmpx_gt_u32_e32 0x200, v14
	s_cbranch_execz .LBB758_194
; %bb.193:
	v_mov_b32_e32 v10, 0
	v_mov_b32_e32 v12, v10
	v_ashrrev_i64 v[16:17], 29, v[10:11]
	v_ashrrev_i64 v[18:19], 29, v[12:13]
	v_add_co_u32 v16, vcc_lo, s8, v16
	v_add_co_ci_u32_e64 v17, null, s9, v17, vcc_lo
	v_add_co_u32 v18, vcc_lo, s8, v18
	v_add_co_ci_u32_e64 v19, null, s9, v19, vcc_lo
	s_clause 0x1
	global_load_dwordx2 v[16:17], v[16:17], off
	global_load_dwordx2 v[18:19], v[18:19], off
	s_waitcnt vmcnt(0)
	v_cmp_ge_u64_e32 vcc_lo, v[16:17], v[18:19]
	s_and_b32 s18, vcc_lo, exec_lo
.LBB758_194:
	s_or_b32 exec_lo, exec_lo, s16
	s_orn2_b32 s16, s18, exec_lo
.LBB758_195:
	s_or_b32 exec_lo, exec_lo, s17
	v_cndmask_b32_e64 v10, v15, v14, s16
	v_cndmask_b32_e64 v12, 0x3ff, v6, s16
	s_mov_b32 s17, exec_lo
	v_add_nc_u32_e32 v18, 1, v10
	v_min_u32_e32 v10, v18, v12
	v_cndmask_b32_e64 v12, v14, v18, s16
	v_lshlrev_b32_e32 v10, 3, v10
	ds_read_b64 v[16:17], v10
	v_cndmask_b32_e64 v10, v18, v15, s16
	s_waitcnt lgkmcnt(0)
	v_cndmask_b32_e64 v21, v17, v7, s16
	v_cndmask_b32_e64 v15, v16, v11, s16
	;; [unrolled: 1-line block ×4, first 2 shown]
	v_cmpx_gt_u32_e32 0x400, v10
	s_cbranch_execz .LBB758_199
; %bb.196:
	s_mov_b32 s18, 0
	s_mov_b32 s0, exec_lo
	v_cmpx_gt_u32_e32 0x200, v12
	s_cbranch_execz .LBB758_198
; %bb.197:
	v_mov_b32_e32 v14, 0
	v_mov_b32_e32 v16, v14
	v_ashrrev_i64 v[18:19], 29, v[14:15]
	v_ashrrev_i64 v[23:24], 29, v[16:17]
	v_add_co_u32 v18, vcc_lo, s8, v18
	v_add_co_ci_u32_e64 v19, null, s9, v19, vcc_lo
	v_add_co_u32 v23, vcc_lo, s8, v23
	v_add_co_ci_u32_e64 v24, null, s9, v24, vcc_lo
	s_clause 0x1
	global_load_dwordx2 v[18:19], v[18:19], off
	global_load_dwordx2 v[23:24], v[23:24], off
	s_waitcnt vmcnt(0)
	v_cmp_ge_u64_e32 vcc_lo, v[18:19], v[23:24]
	s_and_b32 s18, vcc_lo, exec_lo
.LBB758_198:
	s_or_b32 exec_lo, exec_lo, s0
	s_orn2_b32 s0, s18, exec_lo
.LBB758_199:
	s_or_b32 exec_lo, exec_lo, s17
	v_cndmask_b32_e64 v14, v10, v12, s0
	v_cndmask_b32_e64 v6, 0x3ff, v6, s0
	;; [unrolled: 1-line block ×5, first 2 shown]
	v_add_nc_u32_e32 v14, 1, v14
	v_cndmask_b32_e64 v9, v21, v22, s0
	v_cndmask_b32_e64 v8, v15, v17, s0
	s_mov_b32 s15, exec_lo
	v_min_u32_e32 v6, v14, v6
	v_lshlrev_b32_e32 v6, 3, v6
	ds_read_b64 v[18:19], v6
	v_cndmask_b32_e64 v6, v11, v13, s16
	v_cndmask_b32_e64 v13, v14, v10, s0
	s_waitcnt lgkmcnt(0)
	v_cndmask_b32_e64 v11, v22, v19, s0
	v_cndmask_b32_e64 v10, v17, v18, s0
	v_cmpx_gt_u32_e32 0x400, v13
	s_cbranch_execz .LBB758_203
; %bb.200:
	v_cndmask_b32_e64 v14, v12, v14, s0
	v_cndmask_b32_e64 v13, v19, v21, s0
	;; [unrolled: 1-line block ×3, first 2 shown]
	s_mov_b32 s0, exec_lo
	v_cmpx_gt_u32_e32 0x200, v14
	s_cbranch_execz .LBB758_202
; %bb.201:
	v_mov_b32_e32 v14, 0
	v_mov_b32_e32 v15, v12
	v_ashrrev_i64 v[16:17], 29, v[14:15]
	v_mov_b32_e32 v15, v10
	v_ashrrev_i64 v[14:15], 29, v[14:15]
	v_add_co_u32 v16, vcc_lo, s8, v16
	v_add_co_ci_u32_e64 v17, null, s9, v17, vcc_lo
	v_add_co_u32 v14, vcc_lo, s8, v14
	v_add_co_ci_u32_e64 v15, null, s9, v15, vcc_lo
	s_clause 0x1
	global_load_dwordx2 v[16:17], v[16:17], off
	global_load_dwordx2 v[14:15], v[14:15], off
	s_waitcnt vmcnt(0)
	v_cmp_lt_u64_e32 vcc_lo, v[16:17], v[14:15]
	v_cndmask_b32_e32 v13, v11, v13, vcc_lo
	v_cndmask_b32_e32 v12, v10, v12, vcc_lo
.LBB758_202:
	s_or_b32 exec_lo, exec_lo, s0
	v_mov_b32_e32 v10, v12
	v_mov_b32_e32 v11, v13
.LBB758_203:
	s_or_b32 exec_lo, exec_lo, s15
.LBB758_204:
	s_or_b32 exec_lo, exec_lo, s1
	s_barrier
	buffer_gl0_inv
	s_barrier
	buffer_gl0_inv
	ds_write2_b64 v47, v[4:5], v[6:7] offset1:1
	ds_write2_b64 v47, v[8:9], v[10:11] offset0:2 offset1:3
	s_waitcnt lgkmcnt(0)
	s_barrier
	buffer_gl0_inv
	ds_read_b64 v[6:7], v43
	ds_read_b64 v[8:9], v44 offset:2048
	ds_read_b64 v[10:11], v45 offset:4096
	;; [unrolled: 1-line block ×3, first 2 shown]
	v_add_co_u32 v12, s0, s7, v37
	v_add_co_ci_u32_e64 v13, null, s11, 0, s0
	v_add_co_u32 v14, vcc_lo, 0x800, v12
	v_add_co_ci_u32_e64 v15, null, 0, v13, vcc_lo
	v_add_co_u32 v16, vcc_lo, 0x1000, v12
	v_add_co_ci_u32_e64 v17, null, 0, v13, vcc_lo
	s_mov_b32 s15, -1
	s_waitcnt lgkmcnt(3)
	flat_store_dwordx2 v[12:13], v[6:7]
	s_waitcnt lgkmcnt(3)
	flat_store_dwordx2 v[14:15], v[8:9]
	;; [unrolled: 2-line block ×3, first 2 shown]
	s_branch .LBB758_366
.LBB758_205:
	s_mov_b32 s15, s13
                                        ; implicit-def: $vgpr4_vgpr5
	s_cbranch_execz .LBB758_366
; %bb.206:
	s_waitcnt lgkmcnt(3)
	v_mov_b32_e32 v4, 0
	s_lshl_b64 s[0:1], s[12:13], 10
	s_sub_i32 s12, s14, s0
	v_cmp_gt_u32_e32 vcc_lo, s12, v0
	v_mov_b32_e32 v5, v4
	v_mov_b32_e32 v6, v4
	;; [unrolled: 1-line block ×7, first 2 shown]
	s_and_saveexec_b32 s0, vcc_lo
	s_cbranch_execnz .LBB758_223
; %bb.207:
	s_or_b32 exec_lo, exec_lo, s0
	v_cmp_gt_u32_e64 s0, s12, v42
	s_and_saveexec_b32 s1, s0
	s_cbranch_execnz .LBB758_224
.LBB758_208:
	s_or_b32 exec_lo, exec_lo, s1
	v_cmp_gt_u32_e64 s1, s12, v41
	s_and_saveexec_b32 s13, s1
	s_cbranch_execnz .LBB758_225
.LBB758_209:
	s_or_b32 exec_lo, exec_lo, s13
	v_cmp_gt_u32_e64 s15, s12, v40
	s_and_saveexec_b32 s13, s15
	s_cbranch_execz .LBB758_211
.LBB758_210:
	v_lshlrev_b32_e32 v1, 3, v40
	v_add_co_u32 v10, s4, s4, v1
	v_add_co_ci_u32_e64 v11, null, s5, 0, s4
	flat_load_dwordx2 v[10:11], v[10:11]
.LBB758_211:
	s_or_b32 exec_lo, exec_lo, s13
	v_lshrrev_b32_e32 v1, 2, v42
	v_lshrrev_b32_e32 v12, 2, v41
	;; [unrolled: 1-line block ×3, first 2 shown]
	v_and_b32_e32 v14, 56, v39
	v_lshl_add_u32 v23, v0, 5, v38
	v_and_b32_e32 v1, 0x78, v1
	v_and_b32_e32 v12, 0xf8, v12
	;; [unrolled: 1-line block ×3, first 2 shown]
	v_add_nc_u32_e32 v19, v14, v37
	v_add_nc_u32_e32 v20, v1, v37
	;; [unrolled: 1-line block ×4, first 2 shown]
	v_mov_b32_e32 v1, 0
	ds_write_b64 v19, v[4:5]
	s_waitcnt vmcnt(0) lgkmcnt(1)
	ds_write_b64 v20, v[6:7] offset:2048
	ds_write_b64 v21, v[8:9] offset:4096
	;; [unrolled: 1-line block ×3, first 2 shown]
	s_waitcnt lgkmcnt(0)
	s_waitcnt_vscnt null, 0x0
	s_barrier
	buffer_gl0_inv
	ds_read2_b64 v[4:7], v23 offset1:1
	ds_read2_b64 v[8:11], v23 offset0:2 offset1:3
	s_waitcnt lgkmcnt(0)
	s_barrier
	buffer_gl0_inv
	s_load_dword s4, s[2:3], 0xc
	s_waitcnt lgkmcnt(0)
	s_lshr_b32 s4, s4, 16
	s_cmp_lt_u32 s6, s10
	v_mad_u32_u24 v2, v2, s4, v3
	s_cselect_b32 s5, 12, 18
	s_add_u32 s2, s2, s5
	s_addc_u32 s3, s3, 0
	global_load_ushort v12, v1, s[2:3]
	s_waitcnt vmcnt(0)
	v_mul_lo_u32 v2, v2, v12
	v_add_lshl_u32 v3, v2, v0, 2
	v_sub_nc_u32_e64 v12, s12, v3 clamp
	v_cmp_lt_u32_e64 s3, 1, v12
	s_and_saveexec_b32 s4, s3
	s_cbranch_execz .LBB758_215
; %bb.212:
	v_mov_b32_e32 v2, v6
	s_mov_b32 s5, exec_lo
	v_ashrrev_i64 v[13:14], 29, v[1:2]
	v_mov_b32_e32 v2, v4
	v_ashrrev_i64 v[1:2], 29, v[1:2]
	v_add_co_u32 v13, s2, s8, v13
	v_add_co_ci_u32_e64 v14, null, s9, v14, s2
	v_add_co_u32 v1, s2, s8, v1
	v_add_co_ci_u32_e64 v2, null, s9, v2, s2
	s_clause 0x1
	global_load_dwordx2 v[13:14], v[13:14], off
	global_load_dwordx2 v[1:2], v[1:2], off
	s_waitcnt vmcnt(0)
	v_cmpx_lt_u64_e64 v[13:14], v[1:2]
	s_cbranch_execz .LBB758_214
; %bb.213:
	v_mov_b32_e32 v31, v11
	v_mov_b32_e32 v24, v4
	;; [unrolled: 1-line block ×20, first 2 shown]
.LBB758_214:
	s_or_b32 exec_lo, exec_lo, s5
.LBB758_215:
	s_or_b32 exec_lo, exec_lo, s4
	v_cmp_lt_u32_e64 s2, 3, v12
	s_and_saveexec_b32 s5, s2
	s_cbranch_execz .LBB758_219
; %bb.216:
	v_mov_b32_e32 v1, 0
	v_mov_b32_e32 v2, v10
	s_mov_b32 s6, exec_lo
	v_ashrrev_i64 v[13:14], 29, v[1:2]
	v_mov_b32_e32 v2, v8
	v_ashrrev_i64 v[1:2], 29, v[1:2]
	v_add_co_u32 v13, s4, s8, v13
	v_add_co_ci_u32_e64 v14, null, s9, v14, s4
	v_add_co_u32 v1, s4, s8, v1
	v_add_co_ci_u32_e64 v2, null, s9, v2, s4
	s_clause 0x1
	global_load_dwordx2 v[13:14], v[13:14], off
	global_load_dwordx2 v[1:2], v[1:2], off
	s_waitcnt vmcnt(0)
	v_cmpx_lt_u64_e64 v[13:14], v[1:2]
	s_cbranch_execz .LBB758_218
; %bb.217:
	v_mov_b32_e32 v24, v4
	v_mov_b32_e32 v25, v5
	;; [unrolled: 1-line block ×16, first 2 shown]
.LBB758_218:
	s_or_b32 exec_lo, exec_lo, s6
.LBB758_219:
	s_or_b32 exec_lo, exec_lo, s5
	v_cmp_lt_u32_e64 s4, 2, v12
	s_and_saveexec_b32 s5, s4
	s_xor_b32 s6, exec_lo, s5
	s_cbranch_execnz .LBB758_226
; %bb.220:
	s_or_b32 exec_lo, exec_lo, s6
	s_and_saveexec_b32 s5, s3
	s_cbranch_execnz .LBB758_229
.LBB758_221:
	s_or_b32 exec_lo, exec_lo, s5
	s_and_saveexec_b32 s3, s2
	s_cbranch_execnz .LBB758_232
.LBB758_222:
	s_or_b32 exec_lo, exec_lo, s3
	s_and_saveexec_b32 s3, s4
	s_cbranch_execnz .LBB758_235
	s_branch .LBB758_238
.LBB758_223:
	v_add_co_u32 v5, s1, s4, v37
	v_add_co_ci_u32_e64 v6, null, s5, 0, s1
	v_mov_b32_e32 v12, v4
	v_mov_b32_e32 v7, v4
	;; [unrolled: 1-line block ×3, first 2 shown]
	flat_load_dwordx2 v[5:6], v[5:6]
	v_mov_b32_e32 v9, v4
	v_mov_b32_e32 v10, v4
	;; [unrolled: 1-line block ×3, first 2 shown]
	s_waitcnt vmcnt(0) lgkmcnt(0)
	v_mov_b32_e32 v4, v5
	v_mov_b32_e32 v5, v6
	;; [unrolled: 1-line block ×8, first 2 shown]
	s_or_b32 exec_lo, exec_lo, s0
	v_cmp_gt_u32_e64 s0, s12, v42
	s_and_saveexec_b32 s1, s0
	s_cbranch_execz .LBB758_208
.LBB758_224:
	v_lshlrev_b32_e32 v1, 3, v42
	v_add_co_u32 v6, s13, s4, v1
	v_add_co_ci_u32_e64 v7, null, s5, 0, s13
	flat_load_dwordx2 v[6:7], v[6:7]
	s_or_b32 exec_lo, exec_lo, s1
	v_cmp_gt_u32_e64 s1, s12, v41
	s_and_saveexec_b32 s13, s1
	s_cbranch_execz .LBB758_209
.LBB758_225:
	v_lshlrev_b32_e32 v1, 3, v41
	v_add_co_u32 v8, s14, s4, v1
	v_add_co_ci_u32_e64 v9, null, s5, 0, s14
	flat_load_dwordx2 v[8:9], v[8:9]
	s_or_b32 exec_lo, exec_lo, s13
	v_cmp_gt_u32_e64 s15, s12, v40
	s_and_saveexec_b32 s13, s15
	s_cbranch_execnz .LBB758_210
	s_branch .LBB758_211
.LBB758_226:
	v_mov_b32_e32 v1, 0
	v_mov_b32_e32 v2, v8
	s_mov_b32 s10, exec_lo
	v_ashrrev_i64 v[12:13], 29, v[1:2]
	v_mov_b32_e32 v2, v6
	v_ashrrev_i64 v[1:2], 29, v[1:2]
	v_add_co_u32 v12, s5, s8, v12
	v_add_co_ci_u32_e64 v13, null, s9, v13, s5
	v_add_co_u32 v1, s5, s8, v1
	v_add_co_ci_u32_e64 v2, null, s9, v2, s5
	s_clause 0x1
	global_load_dwordx2 v[12:13], v[12:13], off
	global_load_dwordx2 v[1:2], v[1:2], off
	s_waitcnt vmcnt(0)
	v_cmpx_lt_u64_e64 v[12:13], v[1:2]
	s_cbranch_execz .LBB758_228
; %bb.227:
	v_mov_b32_e32 v24, v4
	v_mov_b32_e32 v25, v5
	;; [unrolled: 1-line block ×16, first 2 shown]
.LBB758_228:
	s_or_b32 exec_lo, exec_lo, s10
	s_or_b32 exec_lo, exec_lo, s6
	s_and_saveexec_b32 s5, s3
	s_cbranch_execz .LBB758_221
.LBB758_229:
	v_mov_b32_e32 v1, 0
	v_mov_b32_e32 v2, v6
	s_mov_b32 s6, exec_lo
	v_ashrrev_i64 v[12:13], 29, v[1:2]
	v_mov_b32_e32 v2, v4
	v_ashrrev_i64 v[1:2], 29, v[1:2]
	v_add_co_u32 v12, s3, s8, v12
	v_add_co_ci_u32_e64 v13, null, s9, v13, s3
	v_add_co_u32 v1, s3, s8, v1
	v_add_co_ci_u32_e64 v2, null, s9, v2, s3
	s_clause 0x1
	global_load_dwordx2 v[12:13], v[12:13], off
	global_load_dwordx2 v[1:2], v[1:2], off
	s_waitcnt vmcnt(0)
	v_cmpx_lt_u64_e64 v[12:13], v[1:2]
	s_cbranch_execz .LBB758_231
; %bb.230:
	v_mov_b32_e32 v24, v6
	v_mov_b32_e32 v25, v7
	;; [unrolled: 1-line block ×16, first 2 shown]
.LBB758_231:
	s_or_b32 exec_lo, exec_lo, s6
	s_or_b32 exec_lo, exec_lo, s5
	s_and_saveexec_b32 s3, s2
	s_cbranch_execz .LBB758_222
.LBB758_232:
	v_mov_b32_e32 v1, 0
	v_mov_b32_e32 v2, v10
	s_mov_b32 s5, exec_lo
	v_ashrrev_i64 v[12:13], 29, v[1:2]
	v_mov_b32_e32 v2, v8
	v_ashrrev_i64 v[1:2], 29, v[1:2]
	v_add_co_u32 v12, s2, s8, v12
	v_add_co_ci_u32_e64 v13, null, s9, v13, s2
	v_add_co_u32 v1, s2, s8, v1
	v_add_co_ci_u32_e64 v2, null, s9, v2, s2
	s_clause 0x1
	global_load_dwordx2 v[12:13], v[12:13], off
	global_load_dwordx2 v[1:2], v[1:2], off
	s_waitcnt vmcnt(0)
	v_cmpx_lt_u64_e64 v[12:13], v[1:2]
	s_cbranch_execz .LBB758_234
; %bb.233:
	v_mov_b32_e32 v24, v4
	v_mov_b32_e32 v25, v5
	;; [unrolled: 1-line block ×16, first 2 shown]
.LBB758_234:
	s_or_b32 exec_lo, exec_lo, s5
	s_or_b32 exec_lo, exec_lo, s3
	s_and_saveexec_b32 s3, s4
	s_cbranch_execz .LBB758_238
.LBB758_235:
	v_mov_b32_e32 v1, 0
	v_mov_b32_e32 v2, v8
	s_mov_b32 s4, exec_lo
	v_ashrrev_i64 v[12:13], 29, v[1:2]
	v_mov_b32_e32 v2, v6
	v_ashrrev_i64 v[1:2], 29, v[1:2]
	v_add_co_u32 v12, s2, s8, v12
	v_add_co_ci_u32_e64 v13, null, s9, v13, s2
	v_add_co_u32 v1, s2, s8, v1
	v_add_co_ci_u32_e64 v2, null, s9, v2, s2
	s_clause 0x1
	global_load_dwordx2 v[12:13], v[12:13], off
	global_load_dwordx2 v[1:2], v[1:2], off
	s_waitcnt vmcnt(0)
	v_cmpx_lt_u64_e64 v[12:13], v[1:2]
	s_cbranch_execz .LBB758_237
; %bb.236:
	v_mov_b32_e32 v24, v4
	v_mov_b32_e32 v25, v5
	;; [unrolled: 1-line block ×16, first 2 shown]
.LBB758_237:
	s_or_b32 exec_lo, exec_lo, s4
.LBB758_238:
	s_or_b32 exec_lo, exec_lo, s3
	v_mbcnt_lo_u32_b32 v1, -1, 0
	v_and_b32_e32 v2, 0xffffff80, v3
	s_mov_b32 s3, 0
	s_mov_b32 s4, exec_lo
	v_lshlrev_b32_e32 v25, 2, v1
	v_sub_nc_u32_e64 v18, s12, v2 clamp
	v_lshlrev_b32_e32 v17, 3, v2
	v_or_b32_e32 v3, 4, v25
	v_and_b32_e32 v12, 4, v25
	v_and_b32_e32 v13, 0x78, v25
	v_lshl_or_b32 v26, v1, 5, v17
	ds_write_b128 v26, v[4:7]
	ds_write_b128 v26, v[8:11] offset:16
	v_min_u32_e32 v27, v18, v3
	v_min_u32_e32 v14, v18, v12
	; wave barrier
	v_add_nc_u32_e32 v3, 4, v27
	v_sub_nc_u32_e32 v12, v27, v13
	v_min_u32_e32 v28, v18, v3
	v_min_u32_e32 v15, v14, v12
	v_lshl_or_b32 v12, v13, 3, v17
	v_sub_nc_u32_e32 v3, v28, v27
	v_sub_nc_u32_e64 v3, v14, v3 clamp
	v_cmpx_lt_u32_e64 v3, v15
	s_cbranch_execz .LBB758_242
; %bb.239:
	v_lshlrev_b32_e32 v1, 3, v27
	v_lshlrev_b32_e32 v2, 3, v14
	v_add3_u32 v16, v17, v1, v2
	v_mov_b32_e32 v1, 0
	s_inst_prefetch 0x1
	.p2align	6
.LBB758_240:                            ; =>This Inner Loop Header: Depth=1
	v_add_nc_u32_e32 v2, v15, v3
	v_lshrrev_b32_e32 v24, 1, v2
	v_not_b32_e32 v2, v24
	v_lshl_add_u32 v31, v24, 3, v12
	v_lshl_add_u32 v2, v2, 3, v16
	ds_read_b32 v2, v2
	s_waitcnt lgkmcnt(0)
	v_ashrrev_i64 v[29:30], 29, v[1:2]
	ds_read_b32 v2, v31
	v_add_co_u32 v29, s2, s8, v29
	v_add_co_ci_u32_e64 v30, null, s9, v30, s2
	s_waitcnt lgkmcnt(0)
	v_ashrrev_i64 v[31:32], 29, v[1:2]
	v_add_nc_u32_e32 v2, 1, v24
	v_add_co_u32 v31, s2, s8, v31
	v_add_co_ci_u32_e64 v32, null, s9, v32, s2
	s_clause 0x1
	global_load_dwordx2 v[29:30], v[29:30], off
	global_load_dwordx2 v[31:32], v[31:32], off
	s_waitcnt vmcnt(0)
	v_cmp_lt_u64_e64 s2, v[29:30], v[31:32]
	v_cndmask_b32_e64 v15, v15, v24, s2
	v_cndmask_b32_e64 v3, v2, v3, s2
	v_cmp_ge_u32_e64 s2, v3, v15
	s_or_b32 s3, s2, s3
	s_andn2_b32 exec_lo, exec_lo, s3
	s_cbranch_execnz .LBB758_240
; %bb.241:
	s_inst_prefetch 0x2
	s_or_b32 exec_lo, exec_lo, s3
.LBB758_242:
	s_or_b32 exec_lo, exec_lo, s4
	v_add_nc_u32_e32 v1, v27, v14
	v_add_nc_u32_e32 v13, v3, v13
	v_lshlrev_b32_e32 v24, 2, v0
	v_sub_nc_u32_e32 v14, v1, v3
	v_cmp_le_u32_e64 s2, v13, v27
	v_cmp_le_u32_e64 s3, v14, v28
	s_or_b32 s2, s2, s3
	s_and_saveexec_b32 s4, s2
	s_cbranch_execz .LBB758_262
; %bb.243:
	v_cmp_ge_u32_e64 s2, v13, v27
	s_mov_b32 s5, exec_lo
                                        ; implicit-def: $vgpr1_vgpr2
	v_cmpx_lt_u32_e64 v13, v27
; %bb.244:
	v_lshl_add_u32 v1, v3, 3, v12
	ds_read_b64 v[1:2], v1
; %bb.245:
	s_or_b32 exec_lo, exec_lo, s5
	v_cmp_ge_u32_e64 s5, v14, v28
	s_mov_b32 s6, exec_lo
                                        ; implicit-def: $vgpr3_vgpr4
	v_cmpx_lt_u32_e64 v14, v28
; %bb.246:
	v_lshl_add_u32 v3, v14, 3, v17
	ds_read_b64 v[3:4], v3
; %bb.247:
	s_or_b32 exec_lo, exec_lo, s6
	s_nor_b32 s2, s2, s5
	s_and_saveexec_b32 s3, s2
	s_cbranch_execz .LBB758_249
; %bb.248:
	v_mov_b32_e32 v5, 0
	s_waitcnt lgkmcnt(0)
	v_mov_b32_e32 v6, v3
	s_andn2_b32 s5, s5, exec_lo
	v_ashrrev_i64 v[7:8], 29, v[5:6]
	v_mov_b32_e32 v6, v1
	v_ashrrev_i64 v[5:6], 29, v[5:6]
	v_add_co_u32 v7, s2, s8, v7
	v_add_co_ci_u32_e64 v8, null, s9, v8, s2
	v_add_co_u32 v5, s2, s8, v5
	v_add_co_ci_u32_e64 v6, null, s9, v6, s2
	s_clause 0x1
	global_load_dwordx2 v[7:8], v[7:8], off
	global_load_dwordx2 v[5:6], v[5:6], off
	s_waitcnt vmcnt(0)
	v_cmp_ge_u64_e64 s2, v[7:8], v[5:6]
	s_and_b32 s2, s2, exec_lo
	s_or_b32 s5, s5, s2
.LBB758_249:
	s_or_b32 exec_lo, exec_lo, s3
	v_cndmask_b32_e64 v5, v14, v13, s5
	v_cndmask_b32_e64 v6, v28, v27, s5
	s_mov_b32 s3, -1
	s_mov_b32 s6, -1
	s_mov_b32 s10, exec_lo
	v_add_nc_u32_e32 v5, 1, v5
	v_add_nc_u32_e32 v6, -1, v6
	v_cndmask_b32_e64 v10, v5, v14, s5
	v_min_u32_e32 v6, v5, v6
	v_cndmask_b32_e64 v11, v13, v5, s5
	v_lshl_add_u32 v6, v6, 3, v17
	ds_read_b64 v[7:8], v6
	s_waitcnt lgkmcnt(0)
	v_cndmask_b32_e64 v9, v8, v4, s5
	v_cndmask_b32_e64 v6, v7, v3, s5
	;; [unrolled: 1-line block ×4, first 2 shown]
	v_cmpx_lt_u32_e64 v10, v28
	s_cbranch_execz .LBB758_253
; %bb.250:
	s_mov_b32 s13, 0
	s_mov_b32 s6, exec_lo
	v_cmpx_lt_u32_e64 v11, v27
	s_cbranch_execz .LBB758_252
; %bb.251:
	v_mov_b32_e32 v5, 0
	v_mov_b32_e32 v7, v5
	v_ashrrev_i64 v[12:13], 29, v[5:6]
	v_ashrrev_i64 v[14:15], 29, v[7:8]
	v_add_co_u32 v12, s2, s8, v12
	v_add_co_ci_u32_e64 v13, null, s9, v13, s2
	v_add_co_u32 v14, s2, s8, v14
	v_add_co_ci_u32_e64 v15, null, s9, v15, s2
	s_clause 0x1
	global_load_dwordx2 v[12:13], v[12:13], off
	global_load_dwordx2 v[14:15], v[14:15], off
	s_waitcnt vmcnt(0)
	v_cmp_ge_u64_e64 s2, v[12:13], v[14:15]
	s_and_b32 s13, s2, exec_lo
.LBB758_252:
	s_or_b32 exec_lo, exec_lo, s6
	s_orn2_b32 s6, s13, exec_lo
.LBB758_253:
	s_or_b32 exec_lo, exec_lo, s10
	v_cndmask_b32_e64 v5, v10, v11, s6
	v_cndmask_b32_e64 v7, v28, v27, s6
	s_mov_b32 s10, exec_lo
	v_add_nc_u32_e32 v5, 1, v5
	v_add_nc_u32_e32 v7, -1, v7
	v_min_u32_e32 v7, v5, v7
	v_lshl_add_u32 v7, v7, 3, v17
	ds_read_b64 v[13:14], v7
	v_cndmask_b32_e64 v7, v5, v10, s6
	v_cndmask_b32_e64 v5, v11, v5, s6
	s_waitcnt lgkmcnt(0)
	v_cndmask_b32_e64 v30, v14, v9, s6
	v_cndmask_b32_e64 v12, v13, v6, s6
	;; [unrolled: 1-line block ×4, first 2 shown]
	v_cmpx_lt_u32_e64 v7, v28
	s_cbranch_execz .LBB758_257
; %bb.254:
	s_mov_b32 s13, 0
	s_mov_b32 s3, exec_lo
	v_cmpx_lt_u32_e64 v5, v27
	s_cbranch_execz .LBB758_256
; %bb.255:
	v_mov_b32_e32 v11, 0
	v_mov_b32_e32 v13, v11
	v_ashrrev_i64 v[10:11], 29, v[11:12]
	v_ashrrev_i64 v[15:16], 29, v[13:14]
	v_add_co_u32 v10, s2, s8, v10
	v_add_co_ci_u32_e64 v11, null, s9, v11, s2
	v_add_co_u32 v15, s2, s8, v15
	v_add_co_ci_u32_e64 v16, null, s9, v16, s2
	s_clause 0x1
	global_load_dwordx2 v[10:11], v[10:11], off
	global_load_dwordx2 v[15:16], v[15:16], off
	s_waitcnt vmcnt(0)
	v_cmp_ge_u64_e64 s2, v[10:11], v[15:16]
	s_and_b32 s13, s2, exec_lo
.LBB758_256:
	s_or_b32 exec_lo, exec_lo, s3
	s_orn2_b32 s3, s13, exec_lo
.LBB758_257:
	s_or_b32 exec_lo, exec_lo, s10
	v_cndmask_b32_e64 v10, v7, v5, s3
	v_cndmask_b32_e64 v11, v28, v27, s3
	s_mov_b32 s10, exec_lo
	v_add_nc_u32_e32 v13, 1, v10
	v_add_nc_u32_e32 v10, -1, v11
	v_cndmask_b32_e64 v7, v13, v7, s3
	v_min_u32_e32 v10, v13, v10
	v_lshl_add_u32 v10, v10, 3, v17
	ds_read_b64 v[15:16], v10
	s_waitcnt lgkmcnt(0)
	v_cndmask_b32_e64 v11, v31, v16, s3
	v_cndmask_b32_e64 v10, v14, v15, s3
	v_cmpx_lt_u32_e64 v7, v28
	s_cbranch_execz .LBB758_261
; %bb.258:
	v_cndmask_b32_e64 v5, v5, v13, s3
	v_cndmask_b32_e64 v16, v16, v30, s3
	;; [unrolled: 1-line block ×3, first 2 shown]
	s_mov_b32 s13, exec_lo
	v_cmpx_lt_u32_e64 v5, v27
	s_cbranch_execz .LBB758_260
; %bb.259:
	v_mov_b32_e32 v27, 0
	v_mov_b32_e32 v28, v15
	v_ashrrev_i64 v[32:33], 29, v[27:28]
	v_mov_b32_e32 v28, v10
	v_ashrrev_i64 v[27:28], 29, v[27:28]
	v_add_co_u32 v32, s2, s8, v32
	v_add_co_ci_u32_e64 v33, null, s9, v33, s2
	v_add_co_u32 v27, s2, s8, v27
	v_add_co_ci_u32_e64 v28, null, s9, v28, s2
	s_clause 0x1
	global_load_dwordx2 v[32:33], v[32:33], off
	global_load_dwordx2 v[27:28], v[27:28], off
	s_waitcnt vmcnt(0)
	v_cmp_lt_u64_e64 s2, v[32:33], v[27:28]
	v_cndmask_b32_e64 v16, v11, v16, s2
	v_cndmask_b32_e64 v15, v10, v15, s2
.LBB758_260:
	s_or_b32 exec_lo, exec_lo, s13
	v_mov_b32_e32 v10, v15
	v_mov_b32_e32 v11, v16
.LBB758_261:
	s_or_b32 exec_lo, exec_lo, s10
	v_cndmask_b32_e64 v5, v4, v2, s5
	v_cndmask_b32_e64 v4, v3, v1, s5
	;; [unrolled: 1-line block ×6, first 2 shown]
.LBB758_262:
	s_or_b32 exec_lo, exec_lo, s4
	v_and_b32_e32 v13, 0x70, v25
	v_and_b32_e32 v2, 12, v25
	s_mov_b32 s3, exec_lo
	; wave barrier
	v_or_b32_e32 v1, 8, v13
	v_min_u32_e32 v14, v18, v2
	v_lshl_add_u32 v12, v13, 3, v17
	ds_write_b128 v26, v[4:7]
	ds_write_b128 v26, v[8:11] offset:16
	v_min_u32_e32 v27, v18, v1
	; wave barrier
	v_add_nc_u32_e32 v1, 8, v27
	v_sub_nc_u32_e32 v2, v27, v13
	v_min_u32_e32 v28, v18, v1
	v_min_u32_e32 v15, v14, v2
	v_sub_nc_u32_e32 v1, v28, v27
	v_sub_nc_u32_e64 v3, v14, v1 clamp
	v_cmpx_lt_u32_e64 v3, v15
	s_cbranch_execz .LBB758_266
; %bb.263:
	v_lshlrev_b32_e32 v1, 3, v27
	v_lshlrev_b32_e32 v2, 3, v14
	s_mov_b32 s4, 0
	v_add3_u32 v16, v17, v1, v2
	v_mov_b32_e32 v1, 0
	s_inst_prefetch 0x1
	.p2align	6
.LBB758_264:                            ; =>This Inner Loop Header: Depth=1
	v_add_nc_u32_e32 v2, v15, v3
	v_lshrrev_b32_e32 v33, 1, v2
	v_not_b32_e32 v2, v33
	v_lshl_add_u32 v31, v33, 3, v12
	v_lshl_add_u32 v2, v2, 3, v16
	ds_read_b32 v2, v2
	s_waitcnt lgkmcnt(0)
	v_ashrrev_i64 v[29:30], 29, v[1:2]
	ds_read_b32 v2, v31
	v_add_co_u32 v29, s2, s8, v29
	v_add_co_ci_u32_e64 v30, null, s9, v30, s2
	s_waitcnt lgkmcnt(0)
	v_ashrrev_i64 v[31:32], 29, v[1:2]
	v_add_nc_u32_e32 v2, 1, v33
	v_add_co_u32 v31, s2, s8, v31
	v_add_co_ci_u32_e64 v32, null, s9, v32, s2
	s_clause 0x1
	global_load_dwordx2 v[29:30], v[29:30], off
	global_load_dwordx2 v[31:32], v[31:32], off
	s_waitcnt vmcnt(0)
	v_cmp_lt_u64_e64 s2, v[29:30], v[31:32]
	v_cndmask_b32_e64 v15, v15, v33, s2
	v_cndmask_b32_e64 v3, v2, v3, s2
	v_cmp_ge_u32_e64 s2, v3, v15
	s_or_b32 s4, s2, s4
	s_andn2_b32 exec_lo, exec_lo, s4
	s_cbranch_execnz .LBB758_264
; %bb.265:
	s_inst_prefetch 0x2
	s_or_b32 exec_lo, exec_lo, s4
.LBB758_266:
	s_or_b32 exec_lo, exec_lo, s3
	v_add_nc_u32_e32 v1, v27, v14
	v_add_nc_u32_e32 v13, v3, v13
	v_sub_nc_u32_e32 v14, v1, v3
	v_cmp_le_u32_e64 s2, v13, v27
	v_cmp_le_u32_e64 s3, v14, v28
	s_or_b32 s2, s2, s3
	s_and_saveexec_b32 s4, s2
	s_cbranch_execz .LBB758_286
; %bb.267:
	v_cmp_ge_u32_e64 s2, v13, v27
	s_mov_b32 s5, exec_lo
                                        ; implicit-def: $vgpr1_vgpr2
	v_cmpx_lt_u32_e64 v13, v27
; %bb.268:
	v_lshl_add_u32 v1, v3, 3, v12
	ds_read_b64 v[1:2], v1
; %bb.269:
	s_or_b32 exec_lo, exec_lo, s5
	v_cmp_ge_u32_e64 s5, v14, v28
	s_mov_b32 s6, exec_lo
                                        ; implicit-def: $vgpr3_vgpr4
	v_cmpx_lt_u32_e64 v14, v28
; %bb.270:
	v_lshl_add_u32 v3, v14, 3, v17
	ds_read_b64 v[3:4], v3
; %bb.271:
	s_or_b32 exec_lo, exec_lo, s6
	s_nor_b32 s2, s2, s5
	s_and_saveexec_b32 s3, s2
	s_cbranch_execz .LBB758_273
; %bb.272:
	v_mov_b32_e32 v5, 0
	s_waitcnt lgkmcnt(0)
	v_mov_b32_e32 v6, v3
	s_andn2_b32 s5, s5, exec_lo
	v_ashrrev_i64 v[7:8], 29, v[5:6]
	v_mov_b32_e32 v6, v1
	v_ashrrev_i64 v[5:6], 29, v[5:6]
	v_add_co_u32 v7, s2, s8, v7
	v_add_co_ci_u32_e64 v8, null, s9, v8, s2
	v_add_co_u32 v5, s2, s8, v5
	v_add_co_ci_u32_e64 v6, null, s9, v6, s2
	s_clause 0x1
	global_load_dwordx2 v[7:8], v[7:8], off
	global_load_dwordx2 v[5:6], v[5:6], off
	s_waitcnt vmcnt(0)
	v_cmp_ge_u64_e64 s2, v[7:8], v[5:6]
	s_and_b32 s2, s2, exec_lo
	s_or_b32 s5, s5, s2
.LBB758_273:
	s_or_b32 exec_lo, exec_lo, s3
	v_cndmask_b32_e64 v5, v14, v13, s5
	v_cndmask_b32_e64 v6, v28, v27, s5
	s_mov_b32 s3, -1
	s_mov_b32 s6, -1
	s_mov_b32 s10, exec_lo
	v_add_nc_u32_e32 v5, 1, v5
	v_add_nc_u32_e32 v6, -1, v6
	v_cndmask_b32_e64 v10, v5, v14, s5
	v_min_u32_e32 v6, v5, v6
	v_cndmask_b32_e64 v11, v13, v5, s5
	v_lshl_add_u32 v6, v6, 3, v17
	ds_read_b64 v[7:8], v6
	s_waitcnt lgkmcnt(0)
	v_cndmask_b32_e64 v9, v8, v4, s5
	v_cndmask_b32_e64 v6, v7, v3, s5
	;; [unrolled: 1-line block ×4, first 2 shown]
	v_cmpx_lt_u32_e64 v10, v28
	s_cbranch_execz .LBB758_277
; %bb.274:
	s_mov_b32 s13, 0
	s_mov_b32 s6, exec_lo
	v_cmpx_lt_u32_e64 v11, v27
	s_cbranch_execz .LBB758_276
; %bb.275:
	v_mov_b32_e32 v5, 0
	v_mov_b32_e32 v7, v5
	v_ashrrev_i64 v[12:13], 29, v[5:6]
	v_ashrrev_i64 v[14:15], 29, v[7:8]
	v_add_co_u32 v12, s2, s8, v12
	v_add_co_ci_u32_e64 v13, null, s9, v13, s2
	v_add_co_u32 v14, s2, s8, v14
	v_add_co_ci_u32_e64 v15, null, s9, v15, s2
	s_clause 0x1
	global_load_dwordx2 v[12:13], v[12:13], off
	global_load_dwordx2 v[14:15], v[14:15], off
	s_waitcnt vmcnt(0)
	v_cmp_ge_u64_e64 s2, v[12:13], v[14:15]
	s_and_b32 s13, s2, exec_lo
.LBB758_276:
	s_or_b32 exec_lo, exec_lo, s6
	s_orn2_b32 s6, s13, exec_lo
.LBB758_277:
	s_or_b32 exec_lo, exec_lo, s10
	v_cndmask_b32_e64 v5, v10, v11, s6
	v_cndmask_b32_e64 v7, v28, v27, s6
	s_mov_b32 s10, exec_lo
	v_add_nc_u32_e32 v5, 1, v5
	v_add_nc_u32_e32 v7, -1, v7
	v_min_u32_e32 v7, v5, v7
	v_lshl_add_u32 v7, v7, 3, v17
	ds_read_b64 v[13:14], v7
	v_cndmask_b32_e64 v7, v5, v10, s6
	v_cndmask_b32_e64 v5, v11, v5, s6
	s_waitcnt lgkmcnt(0)
	v_cndmask_b32_e64 v30, v14, v9, s6
	v_cndmask_b32_e64 v12, v13, v6, s6
	;; [unrolled: 1-line block ×4, first 2 shown]
	v_cmpx_lt_u32_e64 v7, v28
	s_cbranch_execz .LBB758_281
; %bb.278:
	s_mov_b32 s13, 0
	s_mov_b32 s3, exec_lo
	v_cmpx_lt_u32_e64 v5, v27
	s_cbranch_execz .LBB758_280
; %bb.279:
	v_mov_b32_e32 v11, 0
	v_mov_b32_e32 v13, v11
	v_ashrrev_i64 v[10:11], 29, v[11:12]
	v_ashrrev_i64 v[15:16], 29, v[13:14]
	v_add_co_u32 v10, s2, s8, v10
	v_add_co_ci_u32_e64 v11, null, s9, v11, s2
	v_add_co_u32 v15, s2, s8, v15
	v_add_co_ci_u32_e64 v16, null, s9, v16, s2
	s_clause 0x1
	global_load_dwordx2 v[10:11], v[10:11], off
	global_load_dwordx2 v[15:16], v[15:16], off
	s_waitcnt vmcnt(0)
	v_cmp_ge_u64_e64 s2, v[10:11], v[15:16]
	s_and_b32 s13, s2, exec_lo
.LBB758_280:
	s_or_b32 exec_lo, exec_lo, s3
	s_orn2_b32 s3, s13, exec_lo
.LBB758_281:
	s_or_b32 exec_lo, exec_lo, s10
	v_cndmask_b32_e64 v10, v7, v5, s3
	v_cndmask_b32_e64 v11, v28, v27, s3
	s_mov_b32 s10, exec_lo
	v_add_nc_u32_e32 v13, 1, v10
	v_add_nc_u32_e32 v10, -1, v11
	v_cndmask_b32_e64 v7, v13, v7, s3
	v_min_u32_e32 v10, v13, v10
	v_lshl_add_u32 v10, v10, 3, v17
	ds_read_b64 v[15:16], v10
	s_waitcnt lgkmcnt(0)
	v_cndmask_b32_e64 v11, v31, v16, s3
	v_cndmask_b32_e64 v10, v14, v15, s3
	v_cmpx_lt_u32_e64 v7, v28
	s_cbranch_execz .LBB758_285
; %bb.282:
	v_cndmask_b32_e64 v5, v5, v13, s3
	v_cndmask_b32_e64 v16, v16, v30, s3
	;; [unrolled: 1-line block ×3, first 2 shown]
	s_mov_b32 s13, exec_lo
	v_cmpx_lt_u32_e64 v5, v27
	s_cbranch_execz .LBB758_284
; %bb.283:
	v_mov_b32_e32 v27, 0
	v_mov_b32_e32 v28, v15
	v_ashrrev_i64 v[32:33], 29, v[27:28]
	v_mov_b32_e32 v28, v10
	v_ashrrev_i64 v[27:28], 29, v[27:28]
	v_add_co_u32 v32, s2, s8, v32
	v_add_co_ci_u32_e64 v33, null, s9, v33, s2
	v_add_co_u32 v27, s2, s8, v27
	v_add_co_ci_u32_e64 v28, null, s9, v28, s2
	s_clause 0x1
	global_load_dwordx2 v[32:33], v[32:33], off
	global_load_dwordx2 v[27:28], v[27:28], off
	s_waitcnt vmcnt(0)
	v_cmp_lt_u64_e64 s2, v[32:33], v[27:28]
	v_cndmask_b32_e64 v16, v11, v16, s2
	v_cndmask_b32_e64 v15, v10, v15, s2
.LBB758_284:
	s_or_b32 exec_lo, exec_lo, s13
	v_mov_b32_e32 v10, v15
	v_mov_b32_e32 v11, v16
.LBB758_285:
	s_or_b32 exec_lo, exec_lo, s10
	v_cndmask_b32_e64 v5, v4, v2, s5
	v_cndmask_b32_e64 v4, v3, v1, s5
	;; [unrolled: 1-line block ×6, first 2 shown]
.LBB758_286:
	s_or_b32 exec_lo, exec_lo, s4
	v_and_b32_e32 v13, 0x60, v25
	v_and_b32_e32 v2, 28, v25
	s_mov_b32 s3, exec_lo
	; wave barrier
	v_or_b32_e32 v1, 16, v13
	v_min_u32_e32 v14, v18, v2
	v_lshl_add_u32 v12, v13, 3, v17
	ds_write_b128 v26, v[4:7]
	ds_write_b128 v26, v[8:11] offset:16
	v_min_u32_e32 v27, v18, v1
	; wave barrier
	v_add_nc_u32_e32 v1, 16, v27
	v_sub_nc_u32_e32 v2, v27, v13
	v_min_u32_e32 v28, v18, v1
	v_min_u32_e32 v15, v14, v2
	v_sub_nc_u32_e32 v1, v28, v27
	v_sub_nc_u32_e64 v3, v14, v1 clamp
	v_cmpx_lt_u32_e64 v3, v15
	s_cbranch_execz .LBB758_290
; %bb.287:
	v_lshlrev_b32_e32 v1, 3, v27
	v_lshlrev_b32_e32 v2, 3, v14
	s_mov_b32 s4, 0
	v_add3_u32 v16, v17, v1, v2
	v_mov_b32_e32 v1, 0
	s_inst_prefetch 0x1
	.p2align	6
.LBB758_288:                            ; =>This Inner Loop Header: Depth=1
	v_add_nc_u32_e32 v2, v15, v3
	v_lshrrev_b32_e32 v33, 1, v2
	v_not_b32_e32 v2, v33
	v_lshl_add_u32 v31, v33, 3, v12
	v_lshl_add_u32 v2, v2, 3, v16
	ds_read_b32 v2, v2
	s_waitcnt lgkmcnt(0)
	v_ashrrev_i64 v[29:30], 29, v[1:2]
	ds_read_b32 v2, v31
	v_add_co_u32 v29, s2, s8, v29
	v_add_co_ci_u32_e64 v30, null, s9, v30, s2
	s_waitcnt lgkmcnt(0)
	v_ashrrev_i64 v[31:32], 29, v[1:2]
	v_add_nc_u32_e32 v2, 1, v33
	v_add_co_u32 v31, s2, s8, v31
	v_add_co_ci_u32_e64 v32, null, s9, v32, s2
	s_clause 0x1
	global_load_dwordx2 v[29:30], v[29:30], off
	global_load_dwordx2 v[31:32], v[31:32], off
	s_waitcnt vmcnt(0)
	v_cmp_lt_u64_e64 s2, v[29:30], v[31:32]
	v_cndmask_b32_e64 v15, v15, v33, s2
	v_cndmask_b32_e64 v3, v2, v3, s2
	v_cmp_ge_u32_e64 s2, v3, v15
	s_or_b32 s4, s2, s4
	s_andn2_b32 exec_lo, exec_lo, s4
	s_cbranch_execnz .LBB758_288
; %bb.289:
	s_inst_prefetch 0x2
	s_or_b32 exec_lo, exec_lo, s4
.LBB758_290:
	s_or_b32 exec_lo, exec_lo, s3
	v_add_nc_u32_e32 v1, v27, v14
	v_add_nc_u32_e32 v13, v3, v13
	v_sub_nc_u32_e32 v14, v1, v3
	v_cmp_le_u32_e64 s2, v13, v27
	v_cmp_le_u32_e64 s3, v14, v28
	s_or_b32 s2, s2, s3
	s_and_saveexec_b32 s4, s2
	s_cbranch_execz .LBB758_310
; %bb.291:
	v_cmp_ge_u32_e64 s2, v13, v27
	s_mov_b32 s5, exec_lo
                                        ; implicit-def: $vgpr1_vgpr2
	v_cmpx_lt_u32_e64 v13, v27
; %bb.292:
	v_lshl_add_u32 v1, v3, 3, v12
	ds_read_b64 v[1:2], v1
; %bb.293:
	s_or_b32 exec_lo, exec_lo, s5
	v_cmp_ge_u32_e64 s5, v14, v28
	s_mov_b32 s6, exec_lo
                                        ; implicit-def: $vgpr3_vgpr4
	v_cmpx_lt_u32_e64 v14, v28
; %bb.294:
	v_lshl_add_u32 v3, v14, 3, v17
	ds_read_b64 v[3:4], v3
; %bb.295:
	s_or_b32 exec_lo, exec_lo, s6
	s_nor_b32 s2, s2, s5
	s_and_saveexec_b32 s3, s2
	s_cbranch_execz .LBB758_297
; %bb.296:
	v_mov_b32_e32 v5, 0
	s_waitcnt lgkmcnt(0)
	v_mov_b32_e32 v6, v3
	s_andn2_b32 s5, s5, exec_lo
	v_ashrrev_i64 v[7:8], 29, v[5:6]
	v_mov_b32_e32 v6, v1
	v_ashrrev_i64 v[5:6], 29, v[5:6]
	v_add_co_u32 v7, s2, s8, v7
	v_add_co_ci_u32_e64 v8, null, s9, v8, s2
	v_add_co_u32 v5, s2, s8, v5
	v_add_co_ci_u32_e64 v6, null, s9, v6, s2
	s_clause 0x1
	global_load_dwordx2 v[7:8], v[7:8], off
	global_load_dwordx2 v[5:6], v[5:6], off
	s_waitcnt vmcnt(0)
	v_cmp_ge_u64_e64 s2, v[7:8], v[5:6]
	s_and_b32 s2, s2, exec_lo
	s_or_b32 s5, s5, s2
.LBB758_297:
	s_or_b32 exec_lo, exec_lo, s3
	v_cndmask_b32_e64 v5, v14, v13, s5
	v_cndmask_b32_e64 v6, v28, v27, s5
	s_mov_b32 s3, -1
	s_mov_b32 s6, -1
	s_mov_b32 s10, exec_lo
	v_add_nc_u32_e32 v5, 1, v5
	v_add_nc_u32_e32 v6, -1, v6
	v_cndmask_b32_e64 v10, v5, v14, s5
	v_min_u32_e32 v6, v5, v6
	v_cndmask_b32_e64 v11, v13, v5, s5
	v_lshl_add_u32 v6, v6, 3, v17
	ds_read_b64 v[7:8], v6
	s_waitcnt lgkmcnt(0)
	v_cndmask_b32_e64 v9, v8, v4, s5
	v_cndmask_b32_e64 v6, v7, v3, s5
	;; [unrolled: 1-line block ×4, first 2 shown]
	v_cmpx_lt_u32_e64 v10, v28
	s_cbranch_execz .LBB758_301
; %bb.298:
	s_mov_b32 s13, 0
	s_mov_b32 s6, exec_lo
	v_cmpx_lt_u32_e64 v11, v27
	s_cbranch_execz .LBB758_300
; %bb.299:
	v_mov_b32_e32 v5, 0
	v_mov_b32_e32 v7, v5
	v_ashrrev_i64 v[12:13], 29, v[5:6]
	v_ashrrev_i64 v[14:15], 29, v[7:8]
	v_add_co_u32 v12, s2, s8, v12
	v_add_co_ci_u32_e64 v13, null, s9, v13, s2
	v_add_co_u32 v14, s2, s8, v14
	v_add_co_ci_u32_e64 v15, null, s9, v15, s2
	s_clause 0x1
	global_load_dwordx2 v[12:13], v[12:13], off
	global_load_dwordx2 v[14:15], v[14:15], off
	s_waitcnt vmcnt(0)
	v_cmp_ge_u64_e64 s2, v[12:13], v[14:15]
	s_and_b32 s13, s2, exec_lo
.LBB758_300:
	s_or_b32 exec_lo, exec_lo, s6
	s_orn2_b32 s6, s13, exec_lo
.LBB758_301:
	s_or_b32 exec_lo, exec_lo, s10
	v_cndmask_b32_e64 v5, v10, v11, s6
	v_cndmask_b32_e64 v7, v28, v27, s6
	s_mov_b32 s10, exec_lo
	v_add_nc_u32_e32 v5, 1, v5
	v_add_nc_u32_e32 v7, -1, v7
	v_min_u32_e32 v7, v5, v7
	v_lshl_add_u32 v7, v7, 3, v17
	ds_read_b64 v[13:14], v7
	v_cndmask_b32_e64 v7, v5, v10, s6
	v_cndmask_b32_e64 v5, v11, v5, s6
	s_waitcnt lgkmcnt(0)
	v_cndmask_b32_e64 v30, v14, v9, s6
	v_cndmask_b32_e64 v12, v13, v6, s6
	;; [unrolled: 1-line block ×4, first 2 shown]
	v_cmpx_lt_u32_e64 v7, v28
	s_cbranch_execz .LBB758_305
; %bb.302:
	s_mov_b32 s13, 0
	s_mov_b32 s3, exec_lo
	v_cmpx_lt_u32_e64 v5, v27
	s_cbranch_execz .LBB758_304
; %bb.303:
	v_mov_b32_e32 v11, 0
	v_mov_b32_e32 v13, v11
	v_ashrrev_i64 v[10:11], 29, v[11:12]
	v_ashrrev_i64 v[15:16], 29, v[13:14]
	v_add_co_u32 v10, s2, s8, v10
	v_add_co_ci_u32_e64 v11, null, s9, v11, s2
	v_add_co_u32 v15, s2, s8, v15
	v_add_co_ci_u32_e64 v16, null, s9, v16, s2
	s_clause 0x1
	global_load_dwordx2 v[10:11], v[10:11], off
	global_load_dwordx2 v[15:16], v[15:16], off
	s_waitcnt vmcnt(0)
	v_cmp_ge_u64_e64 s2, v[10:11], v[15:16]
	s_and_b32 s13, s2, exec_lo
.LBB758_304:
	s_or_b32 exec_lo, exec_lo, s3
	s_orn2_b32 s3, s13, exec_lo
.LBB758_305:
	s_or_b32 exec_lo, exec_lo, s10
	v_cndmask_b32_e64 v10, v7, v5, s3
	v_cndmask_b32_e64 v11, v28, v27, s3
	s_mov_b32 s10, exec_lo
	v_add_nc_u32_e32 v13, 1, v10
	v_add_nc_u32_e32 v10, -1, v11
	v_cndmask_b32_e64 v7, v13, v7, s3
	v_min_u32_e32 v10, v13, v10
	v_lshl_add_u32 v10, v10, 3, v17
	ds_read_b64 v[15:16], v10
	s_waitcnt lgkmcnt(0)
	v_cndmask_b32_e64 v11, v31, v16, s3
	v_cndmask_b32_e64 v10, v14, v15, s3
	v_cmpx_lt_u32_e64 v7, v28
	s_cbranch_execz .LBB758_309
; %bb.306:
	v_cndmask_b32_e64 v5, v5, v13, s3
	v_cndmask_b32_e64 v16, v16, v30, s3
	;; [unrolled: 1-line block ×3, first 2 shown]
	s_mov_b32 s13, exec_lo
	v_cmpx_lt_u32_e64 v5, v27
	s_cbranch_execz .LBB758_308
; %bb.307:
	v_mov_b32_e32 v27, 0
	v_mov_b32_e32 v28, v15
	v_ashrrev_i64 v[32:33], 29, v[27:28]
	v_mov_b32_e32 v28, v10
	v_ashrrev_i64 v[27:28], 29, v[27:28]
	v_add_co_u32 v32, s2, s8, v32
	v_add_co_ci_u32_e64 v33, null, s9, v33, s2
	v_add_co_u32 v27, s2, s8, v27
	v_add_co_ci_u32_e64 v28, null, s9, v28, s2
	s_clause 0x1
	global_load_dwordx2 v[32:33], v[32:33], off
	global_load_dwordx2 v[27:28], v[27:28], off
	s_waitcnt vmcnt(0)
	v_cmp_lt_u64_e64 s2, v[32:33], v[27:28]
	v_cndmask_b32_e64 v16, v11, v16, s2
	v_cndmask_b32_e64 v15, v10, v15, s2
.LBB758_308:
	s_or_b32 exec_lo, exec_lo, s13
	v_mov_b32_e32 v10, v15
	v_mov_b32_e32 v11, v16
.LBB758_309:
	s_or_b32 exec_lo, exec_lo, s10
	v_cndmask_b32_e64 v5, v4, v2, s5
	v_cndmask_b32_e64 v4, v3, v1, s5
	;; [unrolled: 1-line block ×6, first 2 shown]
.LBB758_310:
	s_or_b32 exec_lo, exec_lo, s4
	v_and_b32_e32 v13, 64, v25
	v_and_b32_e32 v2, 60, v25
	s_mov_b32 s3, exec_lo
	; wave barrier
	v_or_b32_e32 v1, 32, v13
	v_min_u32_e32 v14, v18, v2
	v_lshl_add_u32 v12, v13, 3, v17
	ds_write_b128 v26, v[4:7]
	ds_write_b128 v26, v[8:11] offset:16
	v_min_u32_e32 v27, v18, v1
	; wave barrier
	v_add_nc_u32_e32 v1, 32, v27
	v_sub_nc_u32_e32 v2, v27, v13
	v_min_u32_e32 v25, v18, v1
	v_min_u32_e32 v15, v14, v2
	v_sub_nc_u32_e32 v1, v25, v27
	v_sub_nc_u32_e64 v3, v14, v1 clamp
	v_cmpx_lt_u32_e64 v3, v15
	s_cbranch_execz .LBB758_314
; %bb.311:
	v_lshlrev_b32_e32 v1, 3, v27
	v_lshlrev_b32_e32 v2, 3, v14
	s_mov_b32 s4, 0
	v_add3_u32 v16, v17, v1, v2
	v_mov_b32_e32 v1, 0
	s_inst_prefetch 0x1
	.p2align	6
.LBB758_312:                            ; =>This Inner Loop Header: Depth=1
	v_add_nc_u32_e32 v2, v15, v3
	v_lshrrev_b32_e32 v18, 1, v2
	v_not_b32_e32 v2, v18
	v_lshl_add_u32 v26, v18, 3, v12
	v_lshl_add_u32 v2, v2, 3, v16
	ds_read_b32 v2, v2
	s_waitcnt lgkmcnt(0)
	v_ashrrev_i64 v[28:29], 29, v[1:2]
	ds_read_b32 v2, v26
	v_add_co_u32 v28, s2, s8, v28
	v_add_co_ci_u32_e64 v29, null, s9, v29, s2
	s_waitcnt lgkmcnt(0)
	v_ashrrev_i64 v[30:31], 29, v[1:2]
	v_add_nc_u32_e32 v2, 1, v18
	v_add_co_u32 v30, s2, s8, v30
	v_add_co_ci_u32_e64 v31, null, s9, v31, s2
	s_clause 0x1
	global_load_dwordx2 v[28:29], v[28:29], off
	global_load_dwordx2 v[30:31], v[30:31], off
	s_waitcnt vmcnt(0)
	v_cmp_lt_u64_e64 s2, v[28:29], v[30:31]
	v_cndmask_b32_e64 v15, v15, v18, s2
	v_cndmask_b32_e64 v3, v2, v3, s2
	v_cmp_ge_u32_e64 s2, v3, v15
	s_or_b32 s4, s2, s4
	s_andn2_b32 exec_lo, exec_lo, s4
	s_cbranch_execnz .LBB758_312
; %bb.313:
	s_inst_prefetch 0x2
	s_or_b32 exec_lo, exec_lo, s4
.LBB758_314:
	s_or_b32 exec_lo, exec_lo, s3
	v_add_nc_u32_e32 v1, v27, v14
	v_add_nc_u32_e32 v13, v3, v13
	v_sub_nc_u32_e32 v14, v1, v3
	v_cmp_le_u32_e64 s2, v13, v27
	v_cmp_le_u32_e64 s3, v14, v25
	s_or_b32 s2, s2, s3
	s_and_saveexec_b32 s4, s2
	s_cbranch_execz .LBB758_334
; %bb.315:
	v_cmp_ge_u32_e64 s2, v13, v27
	s_mov_b32 s5, exec_lo
                                        ; implicit-def: $vgpr1_vgpr2
	v_cmpx_lt_u32_e64 v13, v27
; %bb.316:
	v_lshl_add_u32 v1, v3, 3, v12
	ds_read_b64 v[1:2], v1
; %bb.317:
	s_or_b32 exec_lo, exec_lo, s5
	v_cmp_ge_u32_e64 s5, v14, v25
	s_mov_b32 s6, exec_lo
                                        ; implicit-def: $vgpr3_vgpr4
	v_cmpx_lt_u32_e64 v14, v25
; %bb.318:
	v_lshl_add_u32 v3, v14, 3, v17
	ds_read_b64 v[3:4], v3
; %bb.319:
	s_or_b32 exec_lo, exec_lo, s6
	s_nor_b32 s2, s2, s5
	s_and_saveexec_b32 s3, s2
	s_cbranch_execz .LBB758_321
; %bb.320:
	v_mov_b32_e32 v5, 0
	s_waitcnt lgkmcnt(0)
	v_mov_b32_e32 v6, v3
	s_andn2_b32 s5, s5, exec_lo
	v_ashrrev_i64 v[7:8], 29, v[5:6]
	v_mov_b32_e32 v6, v1
	v_ashrrev_i64 v[5:6], 29, v[5:6]
	v_add_co_u32 v7, s2, s8, v7
	v_add_co_ci_u32_e64 v8, null, s9, v8, s2
	v_add_co_u32 v5, s2, s8, v5
	v_add_co_ci_u32_e64 v6, null, s9, v6, s2
	s_clause 0x1
	global_load_dwordx2 v[7:8], v[7:8], off
	global_load_dwordx2 v[5:6], v[5:6], off
	s_waitcnt vmcnt(0)
	v_cmp_ge_u64_e64 s2, v[7:8], v[5:6]
	s_and_b32 s2, s2, exec_lo
	s_or_b32 s5, s5, s2
.LBB758_321:
	s_or_b32 exec_lo, exec_lo, s3
	v_cndmask_b32_e64 v5, v14, v13, s5
	v_cndmask_b32_e64 v6, v25, v27, s5
	s_mov_b32 s3, -1
	s_mov_b32 s6, -1
	s_mov_b32 s10, exec_lo
	v_add_nc_u32_e32 v5, 1, v5
	v_add_nc_u32_e32 v6, -1, v6
	v_cndmask_b32_e64 v10, v5, v14, s5
	v_min_u32_e32 v6, v5, v6
	v_cndmask_b32_e64 v11, v13, v5, s5
	v_lshl_add_u32 v6, v6, 3, v17
	ds_read_b64 v[7:8], v6
	s_waitcnt lgkmcnt(0)
	v_cndmask_b32_e64 v9, v8, v4, s5
	v_cndmask_b32_e64 v6, v7, v3, s5
	;; [unrolled: 1-line block ×4, first 2 shown]
	v_cmpx_lt_u32_e64 v10, v25
	s_cbranch_execz .LBB758_325
; %bb.322:
	s_mov_b32 s13, 0
	s_mov_b32 s6, exec_lo
	v_cmpx_lt_u32_e64 v11, v27
	s_cbranch_execz .LBB758_324
; %bb.323:
	v_mov_b32_e32 v5, 0
	v_mov_b32_e32 v7, v5
	v_ashrrev_i64 v[12:13], 29, v[5:6]
	v_ashrrev_i64 v[14:15], 29, v[7:8]
	v_add_co_u32 v12, s2, s8, v12
	v_add_co_ci_u32_e64 v13, null, s9, v13, s2
	v_add_co_u32 v14, s2, s8, v14
	v_add_co_ci_u32_e64 v15, null, s9, v15, s2
	s_clause 0x1
	global_load_dwordx2 v[12:13], v[12:13], off
	global_load_dwordx2 v[14:15], v[14:15], off
	s_waitcnt vmcnt(0)
	v_cmp_ge_u64_e64 s2, v[12:13], v[14:15]
	s_and_b32 s13, s2, exec_lo
.LBB758_324:
	s_or_b32 exec_lo, exec_lo, s6
	s_orn2_b32 s6, s13, exec_lo
.LBB758_325:
	s_or_b32 exec_lo, exec_lo, s10
	v_cndmask_b32_e64 v5, v10, v11, s6
	v_cndmask_b32_e64 v7, v25, v27, s6
	s_mov_b32 s10, exec_lo
	v_add_nc_u32_e32 v5, 1, v5
	v_add_nc_u32_e32 v7, -1, v7
	v_min_u32_e32 v7, v5, v7
	v_lshl_add_u32 v7, v7, 3, v17
	ds_read_b64 v[13:14], v7
	v_cndmask_b32_e64 v7, v5, v10, s6
	v_cndmask_b32_e64 v5, v11, v5, s6
	s_waitcnt lgkmcnt(0)
	v_cndmask_b32_e64 v26, v14, v9, s6
	v_cndmask_b32_e64 v12, v13, v6, s6
	;; [unrolled: 1-line block ×4, first 2 shown]
	v_cmpx_lt_u32_e64 v7, v25
	s_cbranch_execz .LBB758_329
; %bb.326:
	s_mov_b32 s13, 0
	s_mov_b32 s3, exec_lo
	v_cmpx_lt_u32_e64 v5, v27
	s_cbranch_execz .LBB758_328
; %bb.327:
	v_mov_b32_e32 v11, 0
	v_mov_b32_e32 v13, v11
	v_ashrrev_i64 v[10:11], 29, v[11:12]
	v_ashrrev_i64 v[15:16], 29, v[13:14]
	v_add_co_u32 v10, s2, s8, v10
	v_add_co_ci_u32_e64 v11, null, s9, v11, s2
	v_add_co_u32 v15, s2, s8, v15
	v_add_co_ci_u32_e64 v16, null, s9, v16, s2
	s_clause 0x1
	global_load_dwordx2 v[10:11], v[10:11], off
	global_load_dwordx2 v[15:16], v[15:16], off
	s_waitcnt vmcnt(0)
	v_cmp_ge_u64_e64 s2, v[10:11], v[15:16]
	s_and_b32 s13, s2, exec_lo
.LBB758_328:
	s_or_b32 exec_lo, exec_lo, s3
	s_orn2_b32 s3, s13, exec_lo
.LBB758_329:
	s_or_b32 exec_lo, exec_lo, s10
	v_cndmask_b32_e64 v10, v7, v5, s3
	v_cndmask_b32_e64 v11, v25, v27, s3
	s_mov_b32 s10, exec_lo
	v_add_nc_u32_e32 v13, 1, v10
	v_add_nc_u32_e32 v10, -1, v11
	v_cndmask_b32_e64 v7, v13, v7, s3
	v_min_u32_e32 v10, v13, v10
	v_lshl_add_u32 v10, v10, 3, v17
	ds_read_b64 v[15:16], v10
	s_waitcnt lgkmcnt(0)
	v_cndmask_b32_e64 v11, v28, v16, s3
	v_cndmask_b32_e64 v10, v14, v15, s3
	v_cmpx_lt_u32_e64 v7, v25
	s_cbranch_execz .LBB758_333
; %bb.330:
	v_cndmask_b32_e64 v5, v5, v13, s3
	v_cndmask_b32_e64 v16, v16, v26, s3
	;; [unrolled: 1-line block ×3, first 2 shown]
	s_mov_b32 s13, exec_lo
	v_cmpx_lt_u32_e64 v5, v27
	s_cbranch_execz .LBB758_332
; %bb.331:
	v_mov_b32_e32 v29, 0
	v_mov_b32_e32 v30, v15
	v_ashrrev_i64 v[31:32], 29, v[29:30]
	v_mov_b32_e32 v30, v10
	v_ashrrev_i64 v[29:30], 29, v[29:30]
	v_add_co_u32 v31, s2, s8, v31
	v_add_co_ci_u32_e64 v32, null, s9, v32, s2
	v_add_co_u32 v29, s2, s8, v29
	v_add_co_ci_u32_e64 v30, null, s9, v30, s2
	s_clause 0x1
	global_load_dwordx2 v[31:32], v[31:32], off
	global_load_dwordx2 v[29:30], v[29:30], off
	s_waitcnt vmcnt(0)
	v_cmp_lt_u64_e64 s2, v[31:32], v[29:30]
	v_cndmask_b32_e64 v16, v11, v16, s2
	v_cndmask_b32_e64 v15, v10, v15, s2
.LBB758_332:
	s_or_b32 exec_lo, exec_lo, s13
	v_mov_b32_e32 v10, v15
	v_mov_b32_e32 v11, v16
.LBB758_333:
	s_or_b32 exec_lo, exec_lo, s10
	v_cndmask_b32_e64 v5, v4, v2, s5
	v_cndmask_b32_e64 v4, v3, v1, s5
	;; [unrolled: 1-line block ×6, first 2 shown]
.LBB758_334:
	s_or_b32 exec_lo, exec_lo, s4
	s_cmpk_lt_u32 s12, 0x41
	; wave barrier
	s_waitcnt lgkmcnt(0)
	s_barrier
	buffer_gl0_inv
	s_cbranch_scc1 .LBB758_361
; %bb.335:
	v_lshlrev_b32_e32 v25, 3, v24
	v_mov_b32_e32 v1, 0
	s_mov_b32 s4, 64
	s_branch .LBB758_339
.LBB758_336:                            ;   in Loop: Header=BB758_339 Depth=1
	s_or_b32 exec_lo, exec_lo, s14
	v_mov_b32_e32 v10, v17
	v_mov_b32_e32 v11, v18
.LBB758_337:                            ;   in Loop: Header=BB758_339 Depth=1
	s_or_b32 exec_lo, exec_lo, s13
	v_cndmask_b32_e64 v5, v7, v4, s6
	v_cndmask_b32_e64 v4, v6, v3, s6
	;; [unrolled: 1-line block ×6, first 2 shown]
.LBB758_338:                            ;   in Loop: Header=BB758_339 Depth=1
	s_or_b32 exec_lo, exec_lo, s5
	s_cmp_lt_u32 s4, s12
	s_barrier
	buffer_gl0_inv
	s_cbranch_scc0 .LBB758_361
.LBB758_339:                            ; =>This Loop Header: Depth=1
                                        ;     Child Loop BB758_341 Depth 2
	s_mov_b32 s2, s4
	s_lshl_b32 s4, s4, 1
	ds_write_b128 v25, v[4:7]
	s_sub_i32 s3, 0, s4
	ds_write_b128 v25, v[8:11] offset:16
	v_and_b32_e32 v3, s3, v24
	s_mov_b32 s3, exec_lo
	s_waitcnt lgkmcnt(0)
	s_barrier
	buffer_gl0_inv
	v_add_nc_u32_e32 v2, s2, v3
	v_min_u32_e32 v26, s12, v2
	v_add_nc_u32_e32 v2, s2, v26
	s_add_i32 s2, s4, -1
	v_sub_nc_u32_e32 v13, v26, v3
	v_and_b32_e32 v12, s2, v24
	v_min_u32_e32 v17, s12, v2
	v_min_u32_e32 v14, s12, v12
	v_sub_nc_u32_e32 v2, v17, v26
	v_min_u32_e32 v15, v14, v13
	v_lshlrev_b32_e32 v13, 3, v3
	v_sub_nc_u32_e64 v12, v14, v2 clamp
	v_cmpx_lt_u32_e64 v12, v15
	s_cbranch_execz .LBB758_343
; %bb.340:                              ;   in Loop: Header=BB758_339 Depth=1
	v_lshlrev_b32_e32 v2, 3, v14
	s_mov_b32 s5, 0
	v_lshl_add_u32 v16, v26, 3, v2
	s_inst_prefetch 0x1
	.p2align	6
.LBB758_341:                            ;   Parent Loop BB758_339 Depth=1
                                        ; =>  This Inner Loop Header: Depth=2
	v_add_nc_u32_e32 v2, v15, v12
	v_lshrrev_b32_e32 v18, 1, v2
	v_not_b32_e32 v2, v18
	v_lshl_add_u32 v29, v18, 3, v13
	v_lshl_add_u32 v2, v2, 3, v16
	ds_read_b32 v2, v2
	s_waitcnt lgkmcnt(0)
	v_ashrrev_i64 v[27:28], 29, v[1:2]
	ds_read_b32 v2, v29
	v_add_co_u32 v27, s2, s8, v27
	v_add_co_ci_u32_e64 v28, null, s9, v28, s2
	s_waitcnt lgkmcnt(0)
	v_ashrrev_i64 v[29:30], 29, v[1:2]
	v_add_nc_u32_e32 v2, 1, v18
	v_add_co_u32 v29, s2, s8, v29
	v_add_co_ci_u32_e64 v30, null, s9, v30, s2
	s_clause 0x1
	global_load_dwordx2 v[27:28], v[27:28], off
	global_load_dwordx2 v[29:30], v[29:30], off
	s_waitcnt vmcnt(0)
	v_cmp_lt_u64_e64 s2, v[27:28], v[29:30]
	v_cndmask_b32_e64 v15, v15, v18, s2
	v_cndmask_b32_e64 v12, v2, v12, s2
	v_cmp_ge_u32_e64 s2, v12, v15
	s_or_b32 s5, s2, s5
	s_andn2_b32 exec_lo, exec_lo, s5
	s_cbranch_execnz .LBB758_341
; %bb.342:                              ;   in Loop: Header=BB758_339 Depth=1
	s_inst_prefetch 0x2
	s_or_b32 exec_lo, exec_lo, s5
.LBB758_343:                            ;   in Loop: Header=BB758_339 Depth=1
	s_or_b32 exec_lo, exec_lo, s3
	v_sub_nc_u32_e32 v2, v14, v12
	v_add_nc_u32_e32 v14, v12, v3
	v_add_nc_u32_e32 v15, v2, v26
	v_cmp_le_u32_e64 s2, v14, v26
	v_cmp_le_u32_e64 s3, v15, v17
	s_or_b32 s2, s2, s3
	s_and_saveexec_b32 s5, s2
	s_cbranch_execz .LBB758_338
; %bb.344:                              ;   in Loop: Header=BB758_339 Depth=1
	v_cmp_ge_u32_e64 s2, v14, v26
	s_mov_b32 s6, exec_lo
                                        ; implicit-def: $vgpr3_vgpr4
	v_cmpx_lt_u32_e64 v14, v26
; %bb.345:                              ;   in Loop: Header=BB758_339 Depth=1
	v_lshl_add_u32 v2, v12, 3, v13
	ds_read_b64 v[3:4], v2
; %bb.346:                              ;   in Loop: Header=BB758_339 Depth=1
	s_or_b32 exec_lo, exec_lo, s6
	v_cmp_ge_u32_e64 s6, v15, v17
	s_mov_b32 s10, exec_lo
                                        ; implicit-def: $vgpr6_vgpr7
	v_cmpx_lt_u32_e64 v15, v17
; %bb.347:                              ;   in Loop: Header=BB758_339 Depth=1
	v_lshlrev_b32_e32 v2, 3, v15
	ds_read_b64 v[6:7], v2
; %bb.348:                              ;   in Loop: Header=BB758_339 Depth=1
	s_or_b32 exec_lo, exec_lo, s10
	s_nor_b32 s2, s2, s6
	s_and_saveexec_b32 s3, s2
	s_cbranch_execz .LBB758_350
; %bb.349:                              ;   in Loop: Header=BB758_339 Depth=1
	s_waitcnt lgkmcnt(0)
	v_mov_b32_e32 v2, v6
	s_andn2_b32 s6, s6, exec_lo
	v_ashrrev_i64 v[8:9], 29, v[1:2]
	v_mov_b32_e32 v2, v3
	v_ashrrev_i64 v[10:11], 29, v[1:2]
	v_add_co_u32 v8, s2, s8, v8
	v_add_co_ci_u32_e64 v9, null, s9, v9, s2
	v_add_co_u32 v10, s2, s8, v10
	v_add_co_ci_u32_e64 v11, null, s9, v11, s2
	s_clause 0x1
	global_load_dwordx2 v[8:9], v[8:9], off
	global_load_dwordx2 v[10:11], v[10:11], off
	s_waitcnt vmcnt(0)
	v_cmp_ge_u64_e64 s2, v[8:9], v[10:11]
	s_and_b32 s2, s2, exec_lo
	s_or_b32 s6, s6, s2
.LBB758_350:                            ;   in Loop: Header=BB758_339 Depth=1
	s_or_b32 exec_lo, exec_lo, s3
	v_cndmask_b32_e64 v2, v15, v14, s6
	v_cndmask_b32_e64 v5, v17, v26, s6
	s_mov_b32 s3, -1
	s_mov_b32 s10, -1
	s_mov_b32 s13, exec_lo
	v_add_nc_u32_e32 v2, 1, v2
	v_add_nc_u32_e32 v5, -1, v5
	v_cndmask_b32_e64 v8, v14, v2, s6
	v_min_u32_e32 v5, v2, v5
	v_lshlrev_b32_e32 v5, 3, v5
	ds_read_b64 v[9:10], v5
	v_cndmask_b32_e64 v5, v2, v15, s6
	s_waitcnt lgkmcnt(0)
	v_cndmask_b32_e64 v27, v10, v7, s6
	v_cndmask_b32_e64 v2, v9, v6, s6
	;; [unrolled: 1-line block ×4, first 2 shown]
	v_cmpx_lt_u32_e64 v5, v17
	s_cbranch_execz .LBB758_354
; %bb.351:                              ;   in Loop: Header=BB758_339 Depth=1
	s_mov_b32 s14, 0
	s_mov_b32 s10, exec_lo
	v_cmpx_lt_u32_e64 v8, v26
	s_cbranch_execz .LBB758_353
; %bb.352:                              ;   in Loop: Header=BB758_339 Depth=1
	v_mov_b32_e32 v11, v1
	v_ashrrev_i64 v[9:10], 29, v[1:2]
	v_ashrrev_i64 v[13:14], 29, v[11:12]
	v_add_co_u32 v9, s2, s8, v9
	v_add_co_ci_u32_e64 v10, null, s9, v10, s2
	v_add_co_u32 v13, s2, s8, v13
	v_add_co_ci_u32_e64 v14, null, s9, v14, s2
	s_clause 0x1
	global_load_dwordx2 v[9:10], v[9:10], off
	global_load_dwordx2 v[13:14], v[13:14], off
	s_waitcnt vmcnt(0)
	v_cmp_ge_u64_e64 s2, v[9:10], v[13:14]
	s_and_b32 s14, s2, exec_lo
.LBB758_353:                            ;   in Loop: Header=BB758_339 Depth=1
	s_or_b32 exec_lo, exec_lo, s10
	s_orn2_b32 s10, s14, exec_lo
.LBB758_354:                            ;   in Loop: Header=BB758_339 Depth=1
	s_or_b32 exec_lo, exec_lo, s13
	v_cndmask_b32_e64 v9, v5, v8, s10
	v_cndmask_b32_e64 v10, v17, v26, s10
	s_mov_b32 s13, exec_lo
	v_add_nc_u32_e32 v9, 1, v9
	v_add_nc_u32_e32 v10, -1, v10
	v_min_u32_e32 v10, v9, v10
	v_lshlrev_b32_e32 v10, 3, v10
	ds_read_b64 v[15:16], v10
	v_cndmask_b32_e64 v10, v9, v5, s10
	v_cndmask_b32_e64 v5, v8, v9, s10
	s_waitcnt lgkmcnt(0)
	v_cndmask_b32_e64 v29, v16, v27, s10
	v_cndmask_b32_e64 v14, v15, v2, s10
	;; [unrolled: 1-line block ×4, first 2 shown]
	v_cmpx_lt_u32_e64 v10, v17
	s_cbranch_execz .LBB758_358
; %bb.355:                              ;   in Loop: Header=BB758_339 Depth=1
	s_mov_b32 s14, 0
	s_mov_b32 s3, exec_lo
	v_cmpx_lt_u32_e64 v5, v26
	s_cbranch_execz .LBB758_357
; %bb.356:                              ;   in Loop: Header=BB758_339 Depth=1
	v_mov_b32_e32 v13, v1
	v_mov_b32_e32 v15, v1
	v_ashrrev_i64 v[8:9], 29, v[13:14]
	v_ashrrev_i64 v[31:32], 29, v[15:16]
	v_add_co_u32 v8, s2, s8, v8
	v_add_co_ci_u32_e64 v9, null, s9, v9, s2
	v_add_co_u32 v31, s2, s8, v31
	v_add_co_ci_u32_e64 v32, null, s9, v32, s2
	s_clause 0x1
	global_load_dwordx2 v[8:9], v[8:9], off
	global_load_dwordx2 v[31:32], v[31:32], off
	s_waitcnt vmcnt(0)
	v_cmp_ge_u64_e64 s2, v[8:9], v[31:32]
	s_and_b32 s14, s2, exec_lo
.LBB758_357:                            ;   in Loop: Header=BB758_339 Depth=1
	s_or_b32 exec_lo, exec_lo, s3
	s_orn2_b32 s3, s14, exec_lo
.LBB758_358:                            ;   in Loop: Header=BB758_339 Depth=1
	s_or_b32 exec_lo, exec_lo, s13
	v_cndmask_b32_e64 v8, v10, v5, s3
	v_cndmask_b32_e64 v9, v17, v26, s3
	s_mov_b32 s13, exec_lo
	v_add_nc_u32_e32 v13, 1, v8
	v_add_nc_u32_e32 v8, -1, v9
	v_cndmask_b32_e64 v15, v13, v10, s3
	v_min_u32_e32 v8, v13, v8
	v_lshlrev_b32_e32 v8, 3, v8
	ds_read_b64 v[8:9], v8
	s_waitcnt lgkmcnt(0)
	v_cndmask_b32_e64 v11, v30, v9, s3
	v_cndmask_b32_e64 v10, v16, v8, s3
	v_cmpx_lt_u32_e64 v15, v17
	s_cbranch_execz .LBB758_337
; %bb.359:                              ;   in Loop: Header=BB758_339 Depth=1
	v_cndmask_b32_e64 v5, v5, v13, s3
	v_cndmask_b32_e64 v18, v9, v29, s3
	;; [unrolled: 1-line block ×3, first 2 shown]
	s_mov_b32 s14, exec_lo
	v_cmpx_lt_u32_e64 v5, v26
	s_cbranch_execz .LBB758_336
; %bb.360:                              ;   in Loop: Header=BB758_339 Depth=1
	v_mov_b32_e32 v31, v1
	v_mov_b32_e32 v32, v17
	;; [unrolled: 1-line block ×3, first 2 shown]
	v_ashrrev_i64 v[31:32], 29, v[31:32]
	v_ashrrev_i64 v[8:9], 29, v[9:10]
	v_add_co_u32 v31, s2, s8, v31
	v_add_co_ci_u32_e64 v32, null, s9, v32, s2
	v_add_co_u32 v8, s2, s8, v8
	v_add_co_ci_u32_e64 v9, null, s9, v9, s2
	s_clause 0x1
	global_load_dwordx2 v[31:32], v[31:32], off
	global_load_dwordx2 v[8:9], v[8:9], off
	s_waitcnt vmcnt(0)
	v_cmp_lt_u64_e64 s2, v[31:32], v[8:9]
	v_cndmask_b32_e64 v18, v11, v18, s2
	v_cndmask_b32_e64 v17, v10, v17, s2
	s_branch .LBB758_336
.LBB758_361:
	s_barrier
	buffer_gl0_inv
	ds_write2_b64 v23, v[4:5], v[6:7] offset1:1
	ds_write2_b64 v23, v[8:9], v[10:11] offset0:2 offset1:3
	s_waitcnt lgkmcnt(0)
	s_barrier
	buffer_gl0_inv
	ds_read_b64 v[8:9], v20 offset:2048
	ds_read_b64 v[2:3], v21 offset:4096
	;; [unrolled: 1-line block ×3, first 2 shown]
	v_add_co_u32 v6, s2, s7, v37
	v_mov_b32_e32 v1, 0
	v_add_co_ci_u32_e64 v7, null, s11, 0, s2
	s_and_saveexec_b32 s2, vcc_lo
	s_cbranch_execnz .LBB758_369
; %bb.362:
	s_or_b32 exec_lo, exec_lo, s2
	s_and_saveexec_b32 s2, s0
	s_cbranch_execnz .LBB758_370
.LBB758_363:
	s_or_b32 exec_lo, exec_lo, s2
	s_and_saveexec_b32 s0, s1
	s_cbranch_execz .LBB758_365
.LBB758_364:
	v_add_co_u32 v6, vcc_lo, 0x1000, v6
	v_add_co_ci_u32_e64 v7, null, 0, v7, vcc_lo
	s_waitcnt lgkmcnt(1)
	flat_store_dwordx2 v[6:7], v[2:3]
.LBB758_365:
	s_or_b32 exec_lo, exec_lo, s0
.LBB758_366:
	s_and_saveexec_b32 s0, s15
	s_cbranch_execz .LBB758_368
; %bb.367:
	v_lshlrev_b64 v[0:1], 3, v[0:1]
	v_add_co_u32 v0, vcc_lo, s7, v0
	v_add_co_ci_u32_e64 v1, null, s11, v1, vcc_lo
	v_add_co_u32 v0, vcc_lo, 0x1800, v0
	v_add_co_ci_u32_e64 v1, null, 0, v1, vcc_lo
	s_waitcnt lgkmcnt(0)
	flat_store_dwordx2 v[0:1], v[4:5]
.LBB758_368:
	s_endpgm
.LBB758_369:
	ds_read_b64 v[10:11], v19
	s_waitcnt lgkmcnt(0)
	flat_store_dwordx2 v[6:7], v[10:11]
	s_or_b32 exec_lo, exec_lo, s2
	s_and_saveexec_b32 s2, s0
	s_cbranch_execz .LBB758_363
.LBB758_370:
	v_add_co_u32 v10, vcc_lo, 0x800, v6
	v_add_co_ci_u32_e64 v11, null, 0, v7, vcc_lo
	s_waitcnt lgkmcnt(2)
	flat_store_dwordx2 v[10:11], v[8:9]
	s_or_b32 exec_lo, exec_lo, s2
	s_and_saveexec_b32 s0, s1
	s_cbranch_execnz .LBB758_364
	s_branch .LBB758_365
	.section	.rodata,"a",@progbits
	.p2align	6, 0x0
	.amdhsa_kernel _ZN7rocprim17ROCPRIM_400000_NS6detail17trampoline_kernelINS0_14default_configENS1_37merge_sort_block_sort_config_selectorIyNS0_10empty_typeEEEZNS1_21merge_sort_block_sortIS3_N6thrust23THRUST_200600_302600_NS6detail15normal_iteratorINS9_10device_ptrIyEEEESE_PS5_SF_9comp_mod3IyEEE10hipError_tT0_T1_T2_T3_mRjT4_P12ihipStream_tbNS1_7vsmem_tEEUlT_E_NS1_11comp_targetILNS1_3genE8ELNS1_11target_archE1030ELNS1_3gpuE2ELNS1_3repE0EEENS1_30default_config_static_selectorELNS0_4arch9wavefront6targetE0EEEvSK_
		.amdhsa_group_segment_fixed_size 8448
		.amdhsa_private_segment_fixed_size 0
		.amdhsa_kernarg_size 320
		.amdhsa_user_sgpr_count 6
		.amdhsa_user_sgpr_private_segment_buffer 1
		.amdhsa_user_sgpr_dispatch_ptr 0
		.amdhsa_user_sgpr_queue_ptr 0
		.amdhsa_user_sgpr_kernarg_segment_ptr 1
		.amdhsa_user_sgpr_dispatch_id 0
		.amdhsa_user_sgpr_flat_scratch_init 0
		.amdhsa_user_sgpr_private_segment_size 0
		.amdhsa_wavefront_size32 1
		.amdhsa_uses_dynamic_stack 0
		.amdhsa_system_sgpr_private_segment_wavefront_offset 0
		.amdhsa_system_sgpr_workgroup_id_x 1
		.amdhsa_system_sgpr_workgroup_id_y 1
		.amdhsa_system_sgpr_workgroup_id_z 1
		.amdhsa_system_sgpr_workgroup_info 0
		.amdhsa_system_vgpr_workitem_id 2
		.amdhsa_next_free_vgpr 49
		.amdhsa_next_free_sgpr 22
		.amdhsa_reserve_vcc 1
		.amdhsa_reserve_flat_scratch 1
		.amdhsa_float_round_mode_32 0
		.amdhsa_float_round_mode_16_64 0
		.amdhsa_float_denorm_mode_32 3
		.amdhsa_float_denorm_mode_16_64 3
		.amdhsa_dx10_clamp 1
		.amdhsa_ieee_mode 1
		.amdhsa_fp16_overflow 0
		.amdhsa_workgroup_processor_mode 1
		.amdhsa_memory_ordered 1
		.amdhsa_forward_progress 1
		.amdhsa_shared_vgpr_count 0
		.amdhsa_exception_fp_ieee_invalid_op 0
		.amdhsa_exception_fp_denorm_src 0
		.amdhsa_exception_fp_ieee_div_zero 0
		.amdhsa_exception_fp_ieee_overflow 0
		.amdhsa_exception_fp_ieee_underflow 0
		.amdhsa_exception_fp_ieee_inexact 0
		.amdhsa_exception_int_div_zero 0
	.end_amdhsa_kernel
	.section	.text._ZN7rocprim17ROCPRIM_400000_NS6detail17trampoline_kernelINS0_14default_configENS1_37merge_sort_block_sort_config_selectorIyNS0_10empty_typeEEEZNS1_21merge_sort_block_sortIS3_N6thrust23THRUST_200600_302600_NS6detail15normal_iteratorINS9_10device_ptrIyEEEESE_PS5_SF_9comp_mod3IyEEE10hipError_tT0_T1_T2_T3_mRjT4_P12ihipStream_tbNS1_7vsmem_tEEUlT_E_NS1_11comp_targetILNS1_3genE8ELNS1_11target_archE1030ELNS1_3gpuE2ELNS1_3repE0EEENS1_30default_config_static_selectorELNS0_4arch9wavefront6targetE0EEEvSK_,"axG",@progbits,_ZN7rocprim17ROCPRIM_400000_NS6detail17trampoline_kernelINS0_14default_configENS1_37merge_sort_block_sort_config_selectorIyNS0_10empty_typeEEEZNS1_21merge_sort_block_sortIS3_N6thrust23THRUST_200600_302600_NS6detail15normal_iteratorINS9_10device_ptrIyEEEESE_PS5_SF_9comp_mod3IyEEE10hipError_tT0_T1_T2_T3_mRjT4_P12ihipStream_tbNS1_7vsmem_tEEUlT_E_NS1_11comp_targetILNS1_3genE8ELNS1_11target_archE1030ELNS1_3gpuE2ELNS1_3repE0EEENS1_30default_config_static_selectorELNS0_4arch9wavefront6targetE0EEEvSK_,comdat
.Lfunc_end758:
	.size	_ZN7rocprim17ROCPRIM_400000_NS6detail17trampoline_kernelINS0_14default_configENS1_37merge_sort_block_sort_config_selectorIyNS0_10empty_typeEEEZNS1_21merge_sort_block_sortIS3_N6thrust23THRUST_200600_302600_NS6detail15normal_iteratorINS9_10device_ptrIyEEEESE_PS5_SF_9comp_mod3IyEEE10hipError_tT0_T1_T2_T3_mRjT4_P12ihipStream_tbNS1_7vsmem_tEEUlT_E_NS1_11comp_targetILNS1_3genE8ELNS1_11target_archE1030ELNS1_3gpuE2ELNS1_3repE0EEENS1_30default_config_static_selectorELNS0_4arch9wavefront6targetE0EEEvSK_, .Lfunc_end758-_ZN7rocprim17ROCPRIM_400000_NS6detail17trampoline_kernelINS0_14default_configENS1_37merge_sort_block_sort_config_selectorIyNS0_10empty_typeEEEZNS1_21merge_sort_block_sortIS3_N6thrust23THRUST_200600_302600_NS6detail15normal_iteratorINS9_10device_ptrIyEEEESE_PS5_SF_9comp_mod3IyEEE10hipError_tT0_T1_T2_T3_mRjT4_P12ihipStream_tbNS1_7vsmem_tEEUlT_E_NS1_11comp_targetILNS1_3genE8ELNS1_11target_archE1030ELNS1_3gpuE2ELNS1_3repE0EEENS1_30default_config_static_selectorELNS0_4arch9wavefront6targetE0EEEvSK_
                                        ; -- End function
	.set _ZN7rocprim17ROCPRIM_400000_NS6detail17trampoline_kernelINS0_14default_configENS1_37merge_sort_block_sort_config_selectorIyNS0_10empty_typeEEEZNS1_21merge_sort_block_sortIS3_N6thrust23THRUST_200600_302600_NS6detail15normal_iteratorINS9_10device_ptrIyEEEESE_PS5_SF_9comp_mod3IyEEE10hipError_tT0_T1_T2_T3_mRjT4_P12ihipStream_tbNS1_7vsmem_tEEUlT_E_NS1_11comp_targetILNS1_3genE8ELNS1_11target_archE1030ELNS1_3gpuE2ELNS1_3repE0EEENS1_30default_config_static_selectorELNS0_4arch9wavefront6targetE0EEEvSK_.num_vgpr, 49
	.set _ZN7rocprim17ROCPRIM_400000_NS6detail17trampoline_kernelINS0_14default_configENS1_37merge_sort_block_sort_config_selectorIyNS0_10empty_typeEEEZNS1_21merge_sort_block_sortIS3_N6thrust23THRUST_200600_302600_NS6detail15normal_iteratorINS9_10device_ptrIyEEEESE_PS5_SF_9comp_mod3IyEEE10hipError_tT0_T1_T2_T3_mRjT4_P12ihipStream_tbNS1_7vsmem_tEEUlT_E_NS1_11comp_targetILNS1_3genE8ELNS1_11target_archE1030ELNS1_3gpuE2ELNS1_3repE0EEENS1_30default_config_static_selectorELNS0_4arch9wavefront6targetE0EEEvSK_.num_agpr, 0
	.set _ZN7rocprim17ROCPRIM_400000_NS6detail17trampoline_kernelINS0_14default_configENS1_37merge_sort_block_sort_config_selectorIyNS0_10empty_typeEEEZNS1_21merge_sort_block_sortIS3_N6thrust23THRUST_200600_302600_NS6detail15normal_iteratorINS9_10device_ptrIyEEEESE_PS5_SF_9comp_mod3IyEEE10hipError_tT0_T1_T2_T3_mRjT4_P12ihipStream_tbNS1_7vsmem_tEEUlT_E_NS1_11comp_targetILNS1_3genE8ELNS1_11target_archE1030ELNS1_3gpuE2ELNS1_3repE0EEENS1_30default_config_static_selectorELNS0_4arch9wavefront6targetE0EEEvSK_.numbered_sgpr, 22
	.set _ZN7rocprim17ROCPRIM_400000_NS6detail17trampoline_kernelINS0_14default_configENS1_37merge_sort_block_sort_config_selectorIyNS0_10empty_typeEEEZNS1_21merge_sort_block_sortIS3_N6thrust23THRUST_200600_302600_NS6detail15normal_iteratorINS9_10device_ptrIyEEEESE_PS5_SF_9comp_mod3IyEEE10hipError_tT0_T1_T2_T3_mRjT4_P12ihipStream_tbNS1_7vsmem_tEEUlT_E_NS1_11comp_targetILNS1_3genE8ELNS1_11target_archE1030ELNS1_3gpuE2ELNS1_3repE0EEENS1_30default_config_static_selectorELNS0_4arch9wavefront6targetE0EEEvSK_.num_named_barrier, 0
	.set _ZN7rocprim17ROCPRIM_400000_NS6detail17trampoline_kernelINS0_14default_configENS1_37merge_sort_block_sort_config_selectorIyNS0_10empty_typeEEEZNS1_21merge_sort_block_sortIS3_N6thrust23THRUST_200600_302600_NS6detail15normal_iteratorINS9_10device_ptrIyEEEESE_PS5_SF_9comp_mod3IyEEE10hipError_tT0_T1_T2_T3_mRjT4_P12ihipStream_tbNS1_7vsmem_tEEUlT_E_NS1_11comp_targetILNS1_3genE8ELNS1_11target_archE1030ELNS1_3gpuE2ELNS1_3repE0EEENS1_30default_config_static_selectorELNS0_4arch9wavefront6targetE0EEEvSK_.private_seg_size, 0
	.set _ZN7rocprim17ROCPRIM_400000_NS6detail17trampoline_kernelINS0_14default_configENS1_37merge_sort_block_sort_config_selectorIyNS0_10empty_typeEEEZNS1_21merge_sort_block_sortIS3_N6thrust23THRUST_200600_302600_NS6detail15normal_iteratorINS9_10device_ptrIyEEEESE_PS5_SF_9comp_mod3IyEEE10hipError_tT0_T1_T2_T3_mRjT4_P12ihipStream_tbNS1_7vsmem_tEEUlT_E_NS1_11comp_targetILNS1_3genE8ELNS1_11target_archE1030ELNS1_3gpuE2ELNS1_3repE0EEENS1_30default_config_static_selectorELNS0_4arch9wavefront6targetE0EEEvSK_.uses_vcc, 1
	.set _ZN7rocprim17ROCPRIM_400000_NS6detail17trampoline_kernelINS0_14default_configENS1_37merge_sort_block_sort_config_selectorIyNS0_10empty_typeEEEZNS1_21merge_sort_block_sortIS3_N6thrust23THRUST_200600_302600_NS6detail15normal_iteratorINS9_10device_ptrIyEEEESE_PS5_SF_9comp_mod3IyEEE10hipError_tT0_T1_T2_T3_mRjT4_P12ihipStream_tbNS1_7vsmem_tEEUlT_E_NS1_11comp_targetILNS1_3genE8ELNS1_11target_archE1030ELNS1_3gpuE2ELNS1_3repE0EEENS1_30default_config_static_selectorELNS0_4arch9wavefront6targetE0EEEvSK_.uses_flat_scratch, 1
	.set _ZN7rocprim17ROCPRIM_400000_NS6detail17trampoline_kernelINS0_14default_configENS1_37merge_sort_block_sort_config_selectorIyNS0_10empty_typeEEEZNS1_21merge_sort_block_sortIS3_N6thrust23THRUST_200600_302600_NS6detail15normal_iteratorINS9_10device_ptrIyEEEESE_PS5_SF_9comp_mod3IyEEE10hipError_tT0_T1_T2_T3_mRjT4_P12ihipStream_tbNS1_7vsmem_tEEUlT_E_NS1_11comp_targetILNS1_3genE8ELNS1_11target_archE1030ELNS1_3gpuE2ELNS1_3repE0EEENS1_30default_config_static_selectorELNS0_4arch9wavefront6targetE0EEEvSK_.has_dyn_sized_stack, 0
	.set _ZN7rocprim17ROCPRIM_400000_NS6detail17trampoline_kernelINS0_14default_configENS1_37merge_sort_block_sort_config_selectorIyNS0_10empty_typeEEEZNS1_21merge_sort_block_sortIS3_N6thrust23THRUST_200600_302600_NS6detail15normal_iteratorINS9_10device_ptrIyEEEESE_PS5_SF_9comp_mod3IyEEE10hipError_tT0_T1_T2_T3_mRjT4_P12ihipStream_tbNS1_7vsmem_tEEUlT_E_NS1_11comp_targetILNS1_3genE8ELNS1_11target_archE1030ELNS1_3gpuE2ELNS1_3repE0EEENS1_30default_config_static_selectorELNS0_4arch9wavefront6targetE0EEEvSK_.has_recursion, 0
	.set _ZN7rocprim17ROCPRIM_400000_NS6detail17trampoline_kernelINS0_14default_configENS1_37merge_sort_block_sort_config_selectorIyNS0_10empty_typeEEEZNS1_21merge_sort_block_sortIS3_N6thrust23THRUST_200600_302600_NS6detail15normal_iteratorINS9_10device_ptrIyEEEESE_PS5_SF_9comp_mod3IyEEE10hipError_tT0_T1_T2_T3_mRjT4_P12ihipStream_tbNS1_7vsmem_tEEUlT_E_NS1_11comp_targetILNS1_3genE8ELNS1_11target_archE1030ELNS1_3gpuE2ELNS1_3repE0EEENS1_30default_config_static_selectorELNS0_4arch9wavefront6targetE0EEEvSK_.has_indirect_call, 0
	.section	.AMDGPU.csdata,"",@progbits
; Kernel info:
; codeLenInByte = 21204
; TotalNumSgprs: 24
; NumVgprs: 49
; ScratchSize: 0
; MemoryBound: 0
; FloatMode: 240
; IeeeMode: 1
; LDSByteSize: 8448 bytes/workgroup (compile time only)
; SGPRBlocks: 0
; VGPRBlocks: 6
; NumSGPRsForWavesPerEU: 24
; NumVGPRsForWavesPerEU: 49
; Occupancy: 16
; WaveLimiterHint : 1
; COMPUTE_PGM_RSRC2:SCRATCH_EN: 0
; COMPUTE_PGM_RSRC2:USER_SGPR: 6
; COMPUTE_PGM_RSRC2:TRAP_HANDLER: 0
; COMPUTE_PGM_RSRC2:TGID_X_EN: 1
; COMPUTE_PGM_RSRC2:TGID_Y_EN: 1
; COMPUTE_PGM_RSRC2:TGID_Z_EN: 1
; COMPUTE_PGM_RSRC2:TIDIG_COMP_CNT: 2
	.section	.text._ZN7rocprim17ROCPRIM_400000_NS6detail17trampoline_kernelINS0_14default_configENS1_38merge_sort_block_merge_config_selectorIyNS0_10empty_typeEEEZZNS1_27merge_sort_block_merge_implIS3_N6thrust23THRUST_200600_302600_NS6detail15normal_iteratorINS9_10device_ptrIyEEEEPS5_m9comp_mod3IyEEE10hipError_tT0_T1_T2_jT3_P12ihipStream_tbPNSt15iterator_traitsISJ_E10value_typeEPNSP_ISK_E10value_typeEPSL_NS1_7vsmem_tEENKUlT_SJ_SK_SL_E_clIPySE_SF_SF_EESI_SY_SJ_SK_SL_EUlSY_E_NS1_11comp_targetILNS1_3genE0ELNS1_11target_archE4294967295ELNS1_3gpuE0ELNS1_3repE0EEENS1_48merge_mergepath_partition_config_static_selectorELNS0_4arch9wavefront6targetE0EEEvSK_,"axG",@progbits,_ZN7rocprim17ROCPRIM_400000_NS6detail17trampoline_kernelINS0_14default_configENS1_38merge_sort_block_merge_config_selectorIyNS0_10empty_typeEEEZZNS1_27merge_sort_block_merge_implIS3_N6thrust23THRUST_200600_302600_NS6detail15normal_iteratorINS9_10device_ptrIyEEEEPS5_m9comp_mod3IyEEE10hipError_tT0_T1_T2_jT3_P12ihipStream_tbPNSt15iterator_traitsISJ_E10value_typeEPNSP_ISK_E10value_typeEPSL_NS1_7vsmem_tEENKUlT_SJ_SK_SL_E_clIPySE_SF_SF_EESI_SY_SJ_SK_SL_EUlSY_E_NS1_11comp_targetILNS1_3genE0ELNS1_11target_archE4294967295ELNS1_3gpuE0ELNS1_3repE0EEENS1_48merge_mergepath_partition_config_static_selectorELNS0_4arch9wavefront6targetE0EEEvSK_,comdat
	.protected	_ZN7rocprim17ROCPRIM_400000_NS6detail17trampoline_kernelINS0_14default_configENS1_38merge_sort_block_merge_config_selectorIyNS0_10empty_typeEEEZZNS1_27merge_sort_block_merge_implIS3_N6thrust23THRUST_200600_302600_NS6detail15normal_iteratorINS9_10device_ptrIyEEEEPS5_m9comp_mod3IyEEE10hipError_tT0_T1_T2_jT3_P12ihipStream_tbPNSt15iterator_traitsISJ_E10value_typeEPNSP_ISK_E10value_typeEPSL_NS1_7vsmem_tEENKUlT_SJ_SK_SL_E_clIPySE_SF_SF_EESI_SY_SJ_SK_SL_EUlSY_E_NS1_11comp_targetILNS1_3genE0ELNS1_11target_archE4294967295ELNS1_3gpuE0ELNS1_3repE0EEENS1_48merge_mergepath_partition_config_static_selectorELNS0_4arch9wavefront6targetE0EEEvSK_ ; -- Begin function _ZN7rocprim17ROCPRIM_400000_NS6detail17trampoline_kernelINS0_14default_configENS1_38merge_sort_block_merge_config_selectorIyNS0_10empty_typeEEEZZNS1_27merge_sort_block_merge_implIS3_N6thrust23THRUST_200600_302600_NS6detail15normal_iteratorINS9_10device_ptrIyEEEEPS5_m9comp_mod3IyEEE10hipError_tT0_T1_T2_jT3_P12ihipStream_tbPNSt15iterator_traitsISJ_E10value_typeEPNSP_ISK_E10value_typeEPSL_NS1_7vsmem_tEENKUlT_SJ_SK_SL_E_clIPySE_SF_SF_EESI_SY_SJ_SK_SL_EUlSY_E_NS1_11comp_targetILNS1_3genE0ELNS1_11target_archE4294967295ELNS1_3gpuE0ELNS1_3repE0EEENS1_48merge_mergepath_partition_config_static_selectorELNS0_4arch9wavefront6targetE0EEEvSK_
	.globl	_ZN7rocprim17ROCPRIM_400000_NS6detail17trampoline_kernelINS0_14default_configENS1_38merge_sort_block_merge_config_selectorIyNS0_10empty_typeEEEZZNS1_27merge_sort_block_merge_implIS3_N6thrust23THRUST_200600_302600_NS6detail15normal_iteratorINS9_10device_ptrIyEEEEPS5_m9comp_mod3IyEEE10hipError_tT0_T1_T2_jT3_P12ihipStream_tbPNSt15iterator_traitsISJ_E10value_typeEPNSP_ISK_E10value_typeEPSL_NS1_7vsmem_tEENKUlT_SJ_SK_SL_E_clIPySE_SF_SF_EESI_SY_SJ_SK_SL_EUlSY_E_NS1_11comp_targetILNS1_3genE0ELNS1_11target_archE4294967295ELNS1_3gpuE0ELNS1_3repE0EEENS1_48merge_mergepath_partition_config_static_selectorELNS0_4arch9wavefront6targetE0EEEvSK_
	.p2align	8
	.type	_ZN7rocprim17ROCPRIM_400000_NS6detail17trampoline_kernelINS0_14default_configENS1_38merge_sort_block_merge_config_selectorIyNS0_10empty_typeEEEZZNS1_27merge_sort_block_merge_implIS3_N6thrust23THRUST_200600_302600_NS6detail15normal_iteratorINS9_10device_ptrIyEEEEPS5_m9comp_mod3IyEEE10hipError_tT0_T1_T2_jT3_P12ihipStream_tbPNSt15iterator_traitsISJ_E10value_typeEPNSP_ISK_E10value_typeEPSL_NS1_7vsmem_tEENKUlT_SJ_SK_SL_E_clIPySE_SF_SF_EESI_SY_SJ_SK_SL_EUlSY_E_NS1_11comp_targetILNS1_3genE0ELNS1_11target_archE4294967295ELNS1_3gpuE0ELNS1_3repE0EEENS1_48merge_mergepath_partition_config_static_selectorELNS0_4arch9wavefront6targetE0EEEvSK_,@function
_ZN7rocprim17ROCPRIM_400000_NS6detail17trampoline_kernelINS0_14default_configENS1_38merge_sort_block_merge_config_selectorIyNS0_10empty_typeEEEZZNS1_27merge_sort_block_merge_implIS3_N6thrust23THRUST_200600_302600_NS6detail15normal_iteratorINS9_10device_ptrIyEEEEPS5_m9comp_mod3IyEEE10hipError_tT0_T1_T2_jT3_P12ihipStream_tbPNSt15iterator_traitsISJ_E10value_typeEPNSP_ISK_E10value_typeEPSL_NS1_7vsmem_tEENKUlT_SJ_SK_SL_E_clIPySE_SF_SF_EESI_SY_SJ_SK_SL_EUlSY_E_NS1_11comp_targetILNS1_3genE0ELNS1_11target_archE4294967295ELNS1_3gpuE0ELNS1_3repE0EEENS1_48merge_mergepath_partition_config_static_selectorELNS0_4arch9wavefront6targetE0EEEvSK_: ; @_ZN7rocprim17ROCPRIM_400000_NS6detail17trampoline_kernelINS0_14default_configENS1_38merge_sort_block_merge_config_selectorIyNS0_10empty_typeEEEZZNS1_27merge_sort_block_merge_implIS3_N6thrust23THRUST_200600_302600_NS6detail15normal_iteratorINS9_10device_ptrIyEEEEPS5_m9comp_mod3IyEEE10hipError_tT0_T1_T2_jT3_P12ihipStream_tbPNSt15iterator_traitsISJ_E10value_typeEPNSP_ISK_E10value_typeEPSL_NS1_7vsmem_tEENKUlT_SJ_SK_SL_E_clIPySE_SF_SF_EESI_SY_SJ_SK_SL_EUlSY_E_NS1_11comp_targetILNS1_3genE0ELNS1_11target_archE4294967295ELNS1_3gpuE0ELNS1_3repE0EEENS1_48merge_mergepath_partition_config_static_selectorELNS0_4arch9wavefront6targetE0EEEvSK_
; %bb.0:
	.section	.rodata,"a",@progbits
	.p2align	6, 0x0
	.amdhsa_kernel _ZN7rocprim17ROCPRIM_400000_NS6detail17trampoline_kernelINS0_14default_configENS1_38merge_sort_block_merge_config_selectorIyNS0_10empty_typeEEEZZNS1_27merge_sort_block_merge_implIS3_N6thrust23THRUST_200600_302600_NS6detail15normal_iteratorINS9_10device_ptrIyEEEEPS5_m9comp_mod3IyEEE10hipError_tT0_T1_T2_jT3_P12ihipStream_tbPNSt15iterator_traitsISJ_E10value_typeEPNSP_ISK_E10value_typeEPSL_NS1_7vsmem_tEENKUlT_SJ_SK_SL_E_clIPySE_SF_SF_EESI_SY_SJ_SK_SL_EUlSY_E_NS1_11comp_targetILNS1_3genE0ELNS1_11target_archE4294967295ELNS1_3gpuE0ELNS1_3repE0EEENS1_48merge_mergepath_partition_config_static_selectorELNS0_4arch9wavefront6targetE0EEEvSK_
		.amdhsa_group_segment_fixed_size 0
		.amdhsa_private_segment_fixed_size 0
		.amdhsa_kernarg_size 48
		.amdhsa_user_sgpr_count 6
		.amdhsa_user_sgpr_private_segment_buffer 1
		.amdhsa_user_sgpr_dispatch_ptr 0
		.amdhsa_user_sgpr_queue_ptr 0
		.amdhsa_user_sgpr_kernarg_segment_ptr 1
		.amdhsa_user_sgpr_dispatch_id 0
		.amdhsa_user_sgpr_flat_scratch_init 0
		.amdhsa_user_sgpr_private_segment_size 0
		.amdhsa_wavefront_size32 1
		.amdhsa_uses_dynamic_stack 0
		.amdhsa_system_sgpr_private_segment_wavefront_offset 0
		.amdhsa_system_sgpr_workgroup_id_x 1
		.amdhsa_system_sgpr_workgroup_id_y 0
		.amdhsa_system_sgpr_workgroup_id_z 0
		.amdhsa_system_sgpr_workgroup_info 0
		.amdhsa_system_vgpr_workitem_id 0
		.amdhsa_next_free_vgpr 1
		.amdhsa_next_free_sgpr 1
		.amdhsa_reserve_vcc 0
		.amdhsa_reserve_flat_scratch 0
		.amdhsa_float_round_mode_32 0
		.amdhsa_float_round_mode_16_64 0
		.amdhsa_float_denorm_mode_32 3
		.amdhsa_float_denorm_mode_16_64 3
		.amdhsa_dx10_clamp 1
		.amdhsa_ieee_mode 1
		.amdhsa_fp16_overflow 0
		.amdhsa_workgroup_processor_mode 1
		.amdhsa_memory_ordered 1
		.amdhsa_forward_progress 1
		.amdhsa_shared_vgpr_count 0
		.amdhsa_exception_fp_ieee_invalid_op 0
		.amdhsa_exception_fp_denorm_src 0
		.amdhsa_exception_fp_ieee_div_zero 0
		.amdhsa_exception_fp_ieee_overflow 0
		.amdhsa_exception_fp_ieee_underflow 0
		.amdhsa_exception_fp_ieee_inexact 0
		.amdhsa_exception_int_div_zero 0
	.end_amdhsa_kernel
	.section	.text._ZN7rocprim17ROCPRIM_400000_NS6detail17trampoline_kernelINS0_14default_configENS1_38merge_sort_block_merge_config_selectorIyNS0_10empty_typeEEEZZNS1_27merge_sort_block_merge_implIS3_N6thrust23THRUST_200600_302600_NS6detail15normal_iteratorINS9_10device_ptrIyEEEEPS5_m9comp_mod3IyEEE10hipError_tT0_T1_T2_jT3_P12ihipStream_tbPNSt15iterator_traitsISJ_E10value_typeEPNSP_ISK_E10value_typeEPSL_NS1_7vsmem_tEENKUlT_SJ_SK_SL_E_clIPySE_SF_SF_EESI_SY_SJ_SK_SL_EUlSY_E_NS1_11comp_targetILNS1_3genE0ELNS1_11target_archE4294967295ELNS1_3gpuE0ELNS1_3repE0EEENS1_48merge_mergepath_partition_config_static_selectorELNS0_4arch9wavefront6targetE0EEEvSK_,"axG",@progbits,_ZN7rocprim17ROCPRIM_400000_NS6detail17trampoline_kernelINS0_14default_configENS1_38merge_sort_block_merge_config_selectorIyNS0_10empty_typeEEEZZNS1_27merge_sort_block_merge_implIS3_N6thrust23THRUST_200600_302600_NS6detail15normal_iteratorINS9_10device_ptrIyEEEEPS5_m9comp_mod3IyEEE10hipError_tT0_T1_T2_jT3_P12ihipStream_tbPNSt15iterator_traitsISJ_E10value_typeEPNSP_ISK_E10value_typeEPSL_NS1_7vsmem_tEENKUlT_SJ_SK_SL_E_clIPySE_SF_SF_EESI_SY_SJ_SK_SL_EUlSY_E_NS1_11comp_targetILNS1_3genE0ELNS1_11target_archE4294967295ELNS1_3gpuE0ELNS1_3repE0EEENS1_48merge_mergepath_partition_config_static_selectorELNS0_4arch9wavefront6targetE0EEEvSK_,comdat
.Lfunc_end759:
	.size	_ZN7rocprim17ROCPRIM_400000_NS6detail17trampoline_kernelINS0_14default_configENS1_38merge_sort_block_merge_config_selectorIyNS0_10empty_typeEEEZZNS1_27merge_sort_block_merge_implIS3_N6thrust23THRUST_200600_302600_NS6detail15normal_iteratorINS9_10device_ptrIyEEEEPS5_m9comp_mod3IyEEE10hipError_tT0_T1_T2_jT3_P12ihipStream_tbPNSt15iterator_traitsISJ_E10value_typeEPNSP_ISK_E10value_typeEPSL_NS1_7vsmem_tEENKUlT_SJ_SK_SL_E_clIPySE_SF_SF_EESI_SY_SJ_SK_SL_EUlSY_E_NS1_11comp_targetILNS1_3genE0ELNS1_11target_archE4294967295ELNS1_3gpuE0ELNS1_3repE0EEENS1_48merge_mergepath_partition_config_static_selectorELNS0_4arch9wavefront6targetE0EEEvSK_, .Lfunc_end759-_ZN7rocprim17ROCPRIM_400000_NS6detail17trampoline_kernelINS0_14default_configENS1_38merge_sort_block_merge_config_selectorIyNS0_10empty_typeEEEZZNS1_27merge_sort_block_merge_implIS3_N6thrust23THRUST_200600_302600_NS6detail15normal_iteratorINS9_10device_ptrIyEEEEPS5_m9comp_mod3IyEEE10hipError_tT0_T1_T2_jT3_P12ihipStream_tbPNSt15iterator_traitsISJ_E10value_typeEPNSP_ISK_E10value_typeEPSL_NS1_7vsmem_tEENKUlT_SJ_SK_SL_E_clIPySE_SF_SF_EESI_SY_SJ_SK_SL_EUlSY_E_NS1_11comp_targetILNS1_3genE0ELNS1_11target_archE4294967295ELNS1_3gpuE0ELNS1_3repE0EEENS1_48merge_mergepath_partition_config_static_selectorELNS0_4arch9wavefront6targetE0EEEvSK_
                                        ; -- End function
	.set _ZN7rocprim17ROCPRIM_400000_NS6detail17trampoline_kernelINS0_14default_configENS1_38merge_sort_block_merge_config_selectorIyNS0_10empty_typeEEEZZNS1_27merge_sort_block_merge_implIS3_N6thrust23THRUST_200600_302600_NS6detail15normal_iteratorINS9_10device_ptrIyEEEEPS5_m9comp_mod3IyEEE10hipError_tT0_T1_T2_jT3_P12ihipStream_tbPNSt15iterator_traitsISJ_E10value_typeEPNSP_ISK_E10value_typeEPSL_NS1_7vsmem_tEENKUlT_SJ_SK_SL_E_clIPySE_SF_SF_EESI_SY_SJ_SK_SL_EUlSY_E_NS1_11comp_targetILNS1_3genE0ELNS1_11target_archE4294967295ELNS1_3gpuE0ELNS1_3repE0EEENS1_48merge_mergepath_partition_config_static_selectorELNS0_4arch9wavefront6targetE0EEEvSK_.num_vgpr, 0
	.set _ZN7rocprim17ROCPRIM_400000_NS6detail17trampoline_kernelINS0_14default_configENS1_38merge_sort_block_merge_config_selectorIyNS0_10empty_typeEEEZZNS1_27merge_sort_block_merge_implIS3_N6thrust23THRUST_200600_302600_NS6detail15normal_iteratorINS9_10device_ptrIyEEEEPS5_m9comp_mod3IyEEE10hipError_tT0_T1_T2_jT3_P12ihipStream_tbPNSt15iterator_traitsISJ_E10value_typeEPNSP_ISK_E10value_typeEPSL_NS1_7vsmem_tEENKUlT_SJ_SK_SL_E_clIPySE_SF_SF_EESI_SY_SJ_SK_SL_EUlSY_E_NS1_11comp_targetILNS1_3genE0ELNS1_11target_archE4294967295ELNS1_3gpuE0ELNS1_3repE0EEENS1_48merge_mergepath_partition_config_static_selectorELNS0_4arch9wavefront6targetE0EEEvSK_.num_agpr, 0
	.set _ZN7rocprim17ROCPRIM_400000_NS6detail17trampoline_kernelINS0_14default_configENS1_38merge_sort_block_merge_config_selectorIyNS0_10empty_typeEEEZZNS1_27merge_sort_block_merge_implIS3_N6thrust23THRUST_200600_302600_NS6detail15normal_iteratorINS9_10device_ptrIyEEEEPS5_m9comp_mod3IyEEE10hipError_tT0_T1_T2_jT3_P12ihipStream_tbPNSt15iterator_traitsISJ_E10value_typeEPNSP_ISK_E10value_typeEPSL_NS1_7vsmem_tEENKUlT_SJ_SK_SL_E_clIPySE_SF_SF_EESI_SY_SJ_SK_SL_EUlSY_E_NS1_11comp_targetILNS1_3genE0ELNS1_11target_archE4294967295ELNS1_3gpuE0ELNS1_3repE0EEENS1_48merge_mergepath_partition_config_static_selectorELNS0_4arch9wavefront6targetE0EEEvSK_.numbered_sgpr, 0
	.set _ZN7rocprim17ROCPRIM_400000_NS6detail17trampoline_kernelINS0_14default_configENS1_38merge_sort_block_merge_config_selectorIyNS0_10empty_typeEEEZZNS1_27merge_sort_block_merge_implIS3_N6thrust23THRUST_200600_302600_NS6detail15normal_iteratorINS9_10device_ptrIyEEEEPS5_m9comp_mod3IyEEE10hipError_tT0_T1_T2_jT3_P12ihipStream_tbPNSt15iterator_traitsISJ_E10value_typeEPNSP_ISK_E10value_typeEPSL_NS1_7vsmem_tEENKUlT_SJ_SK_SL_E_clIPySE_SF_SF_EESI_SY_SJ_SK_SL_EUlSY_E_NS1_11comp_targetILNS1_3genE0ELNS1_11target_archE4294967295ELNS1_3gpuE0ELNS1_3repE0EEENS1_48merge_mergepath_partition_config_static_selectorELNS0_4arch9wavefront6targetE0EEEvSK_.num_named_barrier, 0
	.set _ZN7rocprim17ROCPRIM_400000_NS6detail17trampoline_kernelINS0_14default_configENS1_38merge_sort_block_merge_config_selectorIyNS0_10empty_typeEEEZZNS1_27merge_sort_block_merge_implIS3_N6thrust23THRUST_200600_302600_NS6detail15normal_iteratorINS9_10device_ptrIyEEEEPS5_m9comp_mod3IyEEE10hipError_tT0_T1_T2_jT3_P12ihipStream_tbPNSt15iterator_traitsISJ_E10value_typeEPNSP_ISK_E10value_typeEPSL_NS1_7vsmem_tEENKUlT_SJ_SK_SL_E_clIPySE_SF_SF_EESI_SY_SJ_SK_SL_EUlSY_E_NS1_11comp_targetILNS1_3genE0ELNS1_11target_archE4294967295ELNS1_3gpuE0ELNS1_3repE0EEENS1_48merge_mergepath_partition_config_static_selectorELNS0_4arch9wavefront6targetE0EEEvSK_.private_seg_size, 0
	.set _ZN7rocprim17ROCPRIM_400000_NS6detail17trampoline_kernelINS0_14default_configENS1_38merge_sort_block_merge_config_selectorIyNS0_10empty_typeEEEZZNS1_27merge_sort_block_merge_implIS3_N6thrust23THRUST_200600_302600_NS6detail15normal_iteratorINS9_10device_ptrIyEEEEPS5_m9comp_mod3IyEEE10hipError_tT0_T1_T2_jT3_P12ihipStream_tbPNSt15iterator_traitsISJ_E10value_typeEPNSP_ISK_E10value_typeEPSL_NS1_7vsmem_tEENKUlT_SJ_SK_SL_E_clIPySE_SF_SF_EESI_SY_SJ_SK_SL_EUlSY_E_NS1_11comp_targetILNS1_3genE0ELNS1_11target_archE4294967295ELNS1_3gpuE0ELNS1_3repE0EEENS1_48merge_mergepath_partition_config_static_selectorELNS0_4arch9wavefront6targetE0EEEvSK_.uses_vcc, 0
	.set _ZN7rocprim17ROCPRIM_400000_NS6detail17trampoline_kernelINS0_14default_configENS1_38merge_sort_block_merge_config_selectorIyNS0_10empty_typeEEEZZNS1_27merge_sort_block_merge_implIS3_N6thrust23THRUST_200600_302600_NS6detail15normal_iteratorINS9_10device_ptrIyEEEEPS5_m9comp_mod3IyEEE10hipError_tT0_T1_T2_jT3_P12ihipStream_tbPNSt15iterator_traitsISJ_E10value_typeEPNSP_ISK_E10value_typeEPSL_NS1_7vsmem_tEENKUlT_SJ_SK_SL_E_clIPySE_SF_SF_EESI_SY_SJ_SK_SL_EUlSY_E_NS1_11comp_targetILNS1_3genE0ELNS1_11target_archE4294967295ELNS1_3gpuE0ELNS1_3repE0EEENS1_48merge_mergepath_partition_config_static_selectorELNS0_4arch9wavefront6targetE0EEEvSK_.uses_flat_scratch, 0
	.set _ZN7rocprim17ROCPRIM_400000_NS6detail17trampoline_kernelINS0_14default_configENS1_38merge_sort_block_merge_config_selectorIyNS0_10empty_typeEEEZZNS1_27merge_sort_block_merge_implIS3_N6thrust23THRUST_200600_302600_NS6detail15normal_iteratorINS9_10device_ptrIyEEEEPS5_m9comp_mod3IyEEE10hipError_tT0_T1_T2_jT3_P12ihipStream_tbPNSt15iterator_traitsISJ_E10value_typeEPNSP_ISK_E10value_typeEPSL_NS1_7vsmem_tEENKUlT_SJ_SK_SL_E_clIPySE_SF_SF_EESI_SY_SJ_SK_SL_EUlSY_E_NS1_11comp_targetILNS1_3genE0ELNS1_11target_archE4294967295ELNS1_3gpuE0ELNS1_3repE0EEENS1_48merge_mergepath_partition_config_static_selectorELNS0_4arch9wavefront6targetE0EEEvSK_.has_dyn_sized_stack, 0
	.set _ZN7rocprim17ROCPRIM_400000_NS6detail17trampoline_kernelINS0_14default_configENS1_38merge_sort_block_merge_config_selectorIyNS0_10empty_typeEEEZZNS1_27merge_sort_block_merge_implIS3_N6thrust23THRUST_200600_302600_NS6detail15normal_iteratorINS9_10device_ptrIyEEEEPS5_m9comp_mod3IyEEE10hipError_tT0_T1_T2_jT3_P12ihipStream_tbPNSt15iterator_traitsISJ_E10value_typeEPNSP_ISK_E10value_typeEPSL_NS1_7vsmem_tEENKUlT_SJ_SK_SL_E_clIPySE_SF_SF_EESI_SY_SJ_SK_SL_EUlSY_E_NS1_11comp_targetILNS1_3genE0ELNS1_11target_archE4294967295ELNS1_3gpuE0ELNS1_3repE0EEENS1_48merge_mergepath_partition_config_static_selectorELNS0_4arch9wavefront6targetE0EEEvSK_.has_recursion, 0
	.set _ZN7rocprim17ROCPRIM_400000_NS6detail17trampoline_kernelINS0_14default_configENS1_38merge_sort_block_merge_config_selectorIyNS0_10empty_typeEEEZZNS1_27merge_sort_block_merge_implIS3_N6thrust23THRUST_200600_302600_NS6detail15normal_iteratorINS9_10device_ptrIyEEEEPS5_m9comp_mod3IyEEE10hipError_tT0_T1_T2_jT3_P12ihipStream_tbPNSt15iterator_traitsISJ_E10value_typeEPNSP_ISK_E10value_typeEPSL_NS1_7vsmem_tEENKUlT_SJ_SK_SL_E_clIPySE_SF_SF_EESI_SY_SJ_SK_SL_EUlSY_E_NS1_11comp_targetILNS1_3genE0ELNS1_11target_archE4294967295ELNS1_3gpuE0ELNS1_3repE0EEENS1_48merge_mergepath_partition_config_static_selectorELNS0_4arch9wavefront6targetE0EEEvSK_.has_indirect_call, 0
	.section	.AMDGPU.csdata,"",@progbits
; Kernel info:
; codeLenInByte = 0
; TotalNumSgprs: 0
; NumVgprs: 0
; ScratchSize: 0
; MemoryBound: 0
; FloatMode: 240
; IeeeMode: 1
; LDSByteSize: 0 bytes/workgroup (compile time only)
; SGPRBlocks: 0
; VGPRBlocks: 0
; NumSGPRsForWavesPerEU: 1
; NumVGPRsForWavesPerEU: 1
; Occupancy: 16
; WaveLimiterHint : 0
; COMPUTE_PGM_RSRC2:SCRATCH_EN: 0
; COMPUTE_PGM_RSRC2:USER_SGPR: 6
; COMPUTE_PGM_RSRC2:TRAP_HANDLER: 0
; COMPUTE_PGM_RSRC2:TGID_X_EN: 1
; COMPUTE_PGM_RSRC2:TGID_Y_EN: 0
; COMPUTE_PGM_RSRC2:TGID_Z_EN: 0
; COMPUTE_PGM_RSRC2:TIDIG_COMP_CNT: 0
	.section	.text._ZN7rocprim17ROCPRIM_400000_NS6detail17trampoline_kernelINS0_14default_configENS1_38merge_sort_block_merge_config_selectorIyNS0_10empty_typeEEEZZNS1_27merge_sort_block_merge_implIS3_N6thrust23THRUST_200600_302600_NS6detail15normal_iteratorINS9_10device_ptrIyEEEEPS5_m9comp_mod3IyEEE10hipError_tT0_T1_T2_jT3_P12ihipStream_tbPNSt15iterator_traitsISJ_E10value_typeEPNSP_ISK_E10value_typeEPSL_NS1_7vsmem_tEENKUlT_SJ_SK_SL_E_clIPySE_SF_SF_EESI_SY_SJ_SK_SL_EUlSY_E_NS1_11comp_targetILNS1_3genE10ELNS1_11target_archE1201ELNS1_3gpuE5ELNS1_3repE0EEENS1_48merge_mergepath_partition_config_static_selectorELNS0_4arch9wavefront6targetE0EEEvSK_,"axG",@progbits,_ZN7rocprim17ROCPRIM_400000_NS6detail17trampoline_kernelINS0_14default_configENS1_38merge_sort_block_merge_config_selectorIyNS0_10empty_typeEEEZZNS1_27merge_sort_block_merge_implIS3_N6thrust23THRUST_200600_302600_NS6detail15normal_iteratorINS9_10device_ptrIyEEEEPS5_m9comp_mod3IyEEE10hipError_tT0_T1_T2_jT3_P12ihipStream_tbPNSt15iterator_traitsISJ_E10value_typeEPNSP_ISK_E10value_typeEPSL_NS1_7vsmem_tEENKUlT_SJ_SK_SL_E_clIPySE_SF_SF_EESI_SY_SJ_SK_SL_EUlSY_E_NS1_11comp_targetILNS1_3genE10ELNS1_11target_archE1201ELNS1_3gpuE5ELNS1_3repE0EEENS1_48merge_mergepath_partition_config_static_selectorELNS0_4arch9wavefront6targetE0EEEvSK_,comdat
	.protected	_ZN7rocprim17ROCPRIM_400000_NS6detail17trampoline_kernelINS0_14default_configENS1_38merge_sort_block_merge_config_selectorIyNS0_10empty_typeEEEZZNS1_27merge_sort_block_merge_implIS3_N6thrust23THRUST_200600_302600_NS6detail15normal_iteratorINS9_10device_ptrIyEEEEPS5_m9comp_mod3IyEEE10hipError_tT0_T1_T2_jT3_P12ihipStream_tbPNSt15iterator_traitsISJ_E10value_typeEPNSP_ISK_E10value_typeEPSL_NS1_7vsmem_tEENKUlT_SJ_SK_SL_E_clIPySE_SF_SF_EESI_SY_SJ_SK_SL_EUlSY_E_NS1_11comp_targetILNS1_3genE10ELNS1_11target_archE1201ELNS1_3gpuE5ELNS1_3repE0EEENS1_48merge_mergepath_partition_config_static_selectorELNS0_4arch9wavefront6targetE0EEEvSK_ ; -- Begin function _ZN7rocprim17ROCPRIM_400000_NS6detail17trampoline_kernelINS0_14default_configENS1_38merge_sort_block_merge_config_selectorIyNS0_10empty_typeEEEZZNS1_27merge_sort_block_merge_implIS3_N6thrust23THRUST_200600_302600_NS6detail15normal_iteratorINS9_10device_ptrIyEEEEPS5_m9comp_mod3IyEEE10hipError_tT0_T1_T2_jT3_P12ihipStream_tbPNSt15iterator_traitsISJ_E10value_typeEPNSP_ISK_E10value_typeEPSL_NS1_7vsmem_tEENKUlT_SJ_SK_SL_E_clIPySE_SF_SF_EESI_SY_SJ_SK_SL_EUlSY_E_NS1_11comp_targetILNS1_3genE10ELNS1_11target_archE1201ELNS1_3gpuE5ELNS1_3repE0EEENS1_48merge_mergepath_partition_config_static_selectorELNS0_4arch9wavefront6targetE0EEEvSK_
	.globl	_ZN7rocprim17ROCPRIM_400000_NS6detail17trampoline_kernelINS0_14default_configENS1_38merge_sort_block_merge_config_selectorIyNS0_10empty_typeEEEZZNS1_27merge_sort_block_merge_implIS3_N6thrust23THRUST_200600_302600_NS6detail15normal_iteratorINS9_10device_ptrIyEEEEPS5_m9comp_mod3IyEEE10hipError_tT0_T1_T2_jT3_P12ihipStream_tbPNSt15iterator_traitsISJ_E10value_typeEPNSP_ISK_E10value_typeEPSL_NS1_7vsmem_tEENKUlT_SJ_SK_SL_E_clIPySE_SF_SF_EESI_SY_SJ_SK_SL_EUlSY_E_NS1_11comp_targetILNS1_3genE10ELNS1_11target_archE1201ELNS1_3gpuE5ELNS1_3repE0EEENS1_48merge_mergepath_partition_config_static_selectorELNS0_4arch9wavefront6targetE0EEEvSK_
	.p2align	8
	.type	_ZN7rocprim17ROCPRIM_400000_NS6detail17trampoline_kernelINS0_14default_configENS1_38merge_sort_block_merge_config_selectorIyNS0_10empty_typeEEEZZNS1_27merge_sort_block_merge_implIS3_N6thrust23THRUST_200600_302600_NS6detail15normal_iteratorINS9_10device_ptrIyEEEEPS5_m9comp_mod3IyEEE10hipError_tT0_T1_T2_jT3_P12ihipStream_tbPNSt15iterator_traitsISJ_E10value_typeEPNSP_ISK_E10value_typeEPSL_NS1_7vsmem_tEENKUlT_SJ_SK_SL_E_clIPySE_SF_SF_EESI_SY_SJ_SK_SL_EUlSY_E_NS1_11comp_targetILNS1_3genE10ELNS1_11target_archE1201ELNS1_3gpuE5ELNS1_3repE0EEENS1_48merge_mergepath_partition_config_static_selectorELNS0_4arch9wavefront6targetE0EEEvSK_,@function
_ZN7rocprim17ROCPRIM_400000_NS6detail17trampoline_kernelINS0_14default_configENS1_38merge_sort_block_merge_config_selectorIyNS0_10empty_typeEEEZZNS1_27merge_sort_block_merge_implIS3_N6thrust23THRUST_200600_302600_NS6detail15normal_iteratorINS9_10device_ptrIyEEEEPS5_m9comp_mod3IyEEE10hipError_tT0_T1_T2_jT3_P12ihipStream_tbPNSt15iterator_traitsISJ_E10value_typeEPNSP_ISK_E10value_typeEPSL_NS1_7vsmem_tEENKUlT_SJ_SK_SL_E_clIPySE_SF_SF_EESI_SY_SJ_SK_SL_EUlSY_E_NS1_11comp_targetILNS1_3genE10ELNS1_11target_archE1201ELNS1_3gpuE5ELNS1_3repE0EEENS1_48merge_mergepath_partition_config_static_selectorELNS0_4arch9wavefront6targetE0EEEvSK_: ; @_ZN7rocprim17ROCPRIM_400000_NS6detail17trampoline_kernelINS0_14default_configENS1_38merge_sort_block_merge_config_selectorIyNS0_10empty_typeEEEZZNS1_27merge_sort_block_merge_implIS3_N6thrust23THRUST_200600_302600_NS6detail15normal_iteratorINS9_10device_ptrIyEEEEPS5_m9comp_mod3IyEEE10hipError_tT0_T1_T2_jT3_P12ihipStream_tbPNSt15iterator_traitsISJ_E10value_typeEPNSP_ISK_E10value_typeEPSL_NS1_7vsmem_tEENKUlT_SJ_SK_SL_E_clIPySE_SF_SF_EESI_SY_SJ_SK_SL_EUlSY_E_NS1_11comp_targetILNS1_3genE10ELNS1_11target_archE1201ELNS1_3gpuE5ELNS1_3repE0EEENS1_48merge_mergepath_partition_config_static_selectorELNS0_4arch9wavefront6targetE0EEEvSK_
; %bb.0:
	.section	.rodata,"a",@progbits
	.p2align	6, 0x0
	.amdhsa_kernel _ZN7rocprim17ROCPRIM_400000_NS6detail17trampoline_kernelINS0_14default_configENS1_38merge_sort_block_merge_config_selectorIyNS0_10empty_typeEEEZZNS1_27merge_sort_block_merge_implIS3_N6thrust23THRUST_200600_302600_NS6detail15normal_iteratorINS9_10device_ptrIyEEEEPS5_m9comp_mod3IyEEE10hipError_tT0_T1_T2_jT3_P12ihipStream_tbPNSt15iterator_traitsISJ_E10value_typeEPNSP_ISK_E10value_typeEPSL_NS1_7vsmem_tEENKUlT_SJ_SK_SL_E_clIPySE_SF_SF_EESI_SY_SJ_SK_SL_EUlSY_E_NS1_11comp_targetILNS1_3genE10ELNS1_11target_archE1201ELNS1_3gpuE5ELNS1_3repE0EEENS1_48merge_mergepath_partition_config_static_selectorELNS0_4arch9wavefront6targetE0EEEvSK_
		.amdhsa_group_segment_fixed_size 0
		.amdhsa_private_segment_fixed_size 0
		.amdhsa_kernarg_size 48
		.amdhsa_user_sgpr_count 6
		.amdhsa_user_sgpr_private_segment_buffer 1
		.amdhsa_user_sgpr_dispatch_ptr 0
		.amdhsa_user_sgpr_queue_ptr 0
		.amdhsa_user_sgpr_kernarg_segment_ptr 1
		.amdhsa_user_sgpr_dispatch_id 0
		.amdhsa_user_sgpr_flat_scratch_init 0
		.amdhsa_user_sgpr_private_segment_size 0
		.amdhsa_wavefront_size32 1
		.amdhsa_uses_dynamic_stack 0
		.amdhsa_system_sgpr_private_segment_wavefront_offset 0
		.amdhsa_system_sgpr_workgroup_id_x 1
		.amdhsa_system_sgpr_workgroup_id_y 0
		.amdhsa_system_sgpr_workgroup_id_z 0
		.amdhsa_system_sgpr_workgroup_info 0
		.amdhsa_system_vgpr_workitem_id 0
		.amdhsa_next_free_vgpr 1
		.amdhsa_next_free_sgpr 1
		.amdhsa_reserve_vcc 0
		.amdhsa_reserve_flat_scratch 0
		.amdhsa_float_round_mode_32 0
		.amdhsa_float_round_mode_16_64 0
		.amdhsa_float_denorm_mode_32 3
		.amdhsa_float_denorm_mode_16_64 3
		.amdhsa_dx10_clamp 1
		.amdhsa_ieee_mode 1
		.amdhsa_fp16_overflow 0
		.amdhsa_workgroup_processor_mode 1
		.amdhsa_memory_ordered 1
		.amdhsa_forward_progress 1
		.amdhsa_shared_vgpr_count 0
		.amdhsa_exception_fp_ieee_invalid_op 0
		.amdhsa_exception_fp_denorm_src 0
		.amdhsa_exception_fp_ieee_div_zero 0
		.amdhsa_exception_fp_ieee_overflow 0
		.amdhsa_exception_fp_ieee_underflow 0
		.amdhsa_exception_fp_ieee_inexact 0
		.amdhsa_exception_int_div_zero 0
	.end_amdhsa_kernel
	.section	.text._ZN7rocprim17ROCPRIM_400000_NS6detail17trampoline_kernelINS0_14default_configENS1_38merge_sort_block_merge_config_selectorIyNS0_10empty_typeEEEZZNS1_27merge_sort_block_merge_implIS3_N6thrust23THRUST_200600_302600_NS6detail15normal_iteratorINS9_10device_ptrIyEEEEPS5_m9comp_mod3IyEEE10hipError_tT0_T1_T2_jT3_P12ihipStream_tbPNSt15iterator_traitsISJ_E10value_typeEPNSP_ISK_E10value_typeEPSL_NS1_7vsmem_tEENKUlT_SJ_SK_SL_E_clIPySE_SF_SF_EESI_SY_SJ_SK_SL_EUlSY_E_NS1_11comp_targetILNS1_3genE10ELNS1_11target_archE1201ELNS1_3gpuE5ELNS1_3repE0EEENS1_48merge_mergepath_partition_config_static_selectorELNS0_4arch9wavefront6targetE0EEEvSK_,"axG",@progbits,_ZN7rocprim17ROCPRIM_400000_NS6detail17trampoline_kernelINS0_14default_configENS1_38merge_sort_block_merge_config_selectorIyNS0_10empty_typeEEEZZNS1_27merge_sort_block_merge_implIS3_N6thrust23THRUST_200600_302600_NS6detail15normal_iteratorINS9_10device_ptrIyEEEEPS5_m9comp_mod3IyEEE10hipError_tT0_T1_T2_jT3_P12ihipStream_tbPNSt15iterator_traitsISJ_E10value_typeEPNSP_ISK_E10value_typeEPSL_NS1_7vsmem_tEENKUlT_SJ_SK_SL_E_clIPySE_SF_SF_EESI_SY_SJ_SK_SL_EUlSY_E_NS1_11comp_targetILNS1_3genE10ELNS1_11target_archE1201ELNS1_3gpuE5ELNS1_3repE0EEENS1_48merge_mergepath_partition_config_static_selectorELNS0_4arch9wavefront6targetE0EEEvSK_,comdat
.Lfunc_end760:
	.size	_ZN7rocprim17ROCPRIM_400000_NS6detail17trampoline_kernelINS0_14default_configENS1_38merge_sort_block_merge_config_selectorIyNS0_10empty_typeEEEZZNS1_27merge_sort_block_merge_implIS3_N6thrust23THRUST_200600_302600_NS6detail15normal_iteratorINS9_10device_ptrIyEEEEPS5_m9comp_mod3IyEEE10hipError_tT0_T1_T2_jT3_P12ihipStream_tbPNSt15iterator_traitsISJ_E10value_typeEPNSP_ISK_E10value_typeEPSL_NS1_7vsmem_tEENKUlT_SJ_SK_SL_E_clIPySE_SF_SF_EESI_SY_SJ_SK_SL_EUlSY_E_NS1_11comp_targetILNS1_3genE10ELNS1_11target_archE1201ELNS1_3gpuE5ELNS1_3repE0EEENS1_48merge_mergepath_partition_config_static_selectorELNS0_4arch9wavefront6targetE0EEEvSK_, .Lfunc_end760-_ZN7rocprim17ROCPRIM_400000_NS6detail17trampoline_kernelINS0_14default_configENS1_38merge_sort_block_merge_config_selectorIyNS0_10empty_typeEEEZZNS1_27merge_sort_block_merge_implIS3_N6thrust23THRUST_200600_302600_NS6detail15normal_iteratorINS9_10device_ptrIyEEEEPS5_m9comp_mod3IyEEE10hipError_tT0_T1_T2_jT3_P12ihipStream_tbPNSt15iterator_traitsISJ_E10value_typeEPNSP_ISK_E10value_typeEPSL_NS1_7vsmem_tEENKUlT_SJ_SK_SL_E_clIPySE_SF_SF_EESI_SY_SJ_SK_SL_EUlSY_E_NS1_11comp_targetILNS1_3genE10ELNS1_11target_archE1201ELNS1_3gpuE5ELNS1_3repE0EEENS1_48merge_mergepath_partition_config_static_selectorELNS0_4arch9wavefront6targetE0EEEvSK_
                                        ; -- End function
	.set _ZN7rocprim17ROCPRIM_400000_NS6detail17trampoline_kernelINS0_14default_configENS1_38merge_sort_block_merge_config_selectorIyNS0_10empty_typeEEEZZNS1_27merge_sort_block_merge_implIS3_N6thrust23THRUST_200600_302600_NS6detail15normal_iteratorINS9_10device_ptrIyEEEEPS5_m9comp_mod3IyEEE10hipError_tT0_T1_T2_jT3_P12ihipStream_tbPNSt15iterator_traitsISJ_E10value_typeEPNSP_ISK_E10value_typeEPSL_NS1_7vsmem_tEENKUlT_SJ_SK_SL_E_clIPySE_SF_SF_EESI_SY_SJ_SK_SL_EUlSY_E_NS1_11comp_targetILNS1_3genE10ELNS1_11target_archE1201ELNS1_3gpuE5ELNS1_3repE0EEENS1_48merge_mergepath_partition_config_static_selectorELNS0_4arch9wavefront6targetE0EEEvSK_.num_vgpr, 0
	.set _ZN7rocprim17ROCPRIM_400000_NS6detail17trampoline_kernelINS0_14default_configENS1_38merge_sort_block_merge_config_selectorIyNS0_10empty_typeEEEZZNS1_27merge_sort_block_merge_implIS3_N6thrust23THRUST_200600_302600_NS6detail15normal_iteratorINS9_10device_ptrIyEEEEPS5_m9comp_mod3IyEEE10hipError_tT0_T1_T2_jT3_P12ihipStream_tbPNSt15iterator_traitsISJ_E10value_typeEPNSP_ISK_E10value_typeEPSL_NS1_7vsmem_tEENKUlT_SJ_SK_SL_E_clIPySE_SF_SF_EESI_SY_SJ_SK_SL_EUlSY_E_NS1_11comp_targetILNS1_3genE10ELNS1_11target_archE1201ELNS1_3gpuE5ELNS1_3repE0EEENS1_48merge_mergepath_partition_config_static_selectorELNS0_4arch9wavefront6targetE0EEEvSK_.num_agpr, 0
	.set _ZN7rocprim17ROCPRIM_400000_NS6detail17trampoline_kernelINS0_14default_configENS1_38merge_sort_block_merge_config_selectorIyNS0_10empty_typeEEEZZNS1_27merge_sort_block_merge_implIS3_N6thrust23THRUST_200600_302600_NS6detail15normal_iteratorINS9_10device_ptrIyEEEEPS5_m9comp_mod3IyEEE10hipError_tT0_T1_T2_jT3_P12ihipStream_tbPNSt15iterator_traitsISJ_E10value_typeEPNSP_ISK_E10value_typeEPSL_NS1_7vsmem_tEENKUlT_SJ_SK_SL_E_clIPySE_SF_SF_EESI_SY_SJ_SK_SL_EUlSY_E_NS1_11comp_targetILNS1_3genE10ELNS1_11target_archE1201ELNS1_3gpuE5ELNS1_3repE0EEENS1_48merge_mergepath_partition_config_static_selectorELNS0_4arch9wavefront6targetE0EEEvSK_.numbered_sgpr, 0
	.set _ZN7rocprim17ROCPRIM_400000_NS6detail17trampoline_kernelINS0_14default_configENS1_38merge_sort_block_merge_config_selectorIyNS0_10empty_typeEEEZZNS1_27merge_sort_block_merge_implIS3_N6thrust23THRUST_200600_302600_NS6detail15normal_iteratorINS9_10device_ptrIyEEEEPS5_m9comp_mod3IyEEE10hipError_tT0_T1_T2_jT3_P12ihipStream_tbPNSt15iterator_traitsISJ_E10value_typeEPNSP_ISK_E10value_typeEPSL_NS1_7vsmem_tEENKUlT_SJ_SK_SL_E_clIPySE_SF_SF_EESI_SY_SJ_SK_SL_EUlSY_E_NS1_11comp_targetILNS1_3genE10ELNS1_11target_archE1201ELNS1_3gpuE5ELNS1_3repE0EEENS1_48merge_mergepath_partition_config_static_selectorELNS0_4arch9wavefront6targetE0EEEvSK_.num_named_barrier, 0
	.set _ZN7rocprim17ROCPRIM_400000_NS6detail17trampoline_kernelINS0_14default_configENS1_38merge_sort_block_merge_config_selectorIyNS0_10empty_typeEEEZZNS1_27merge_sort_block_merge_implIS3_N6thrust23THRUST_200600_302600_NS6detail15normal_iteratorINS9_10device_ptrIyEEEEPS5_m9comp_mod3IyEEE10hipError_tT0_T1_T2_jT3_P12ihipStream_tbPNSt15iterator_traitsISJ_E10value_typeEPNSP_ISK_E10value_typeEPSL_NS1_7vsmem_tEENKUlT_SJ_SK_SL_E_clIPySE_SF_SF_EESI_SY_SJ_SK_SL_EUlSY_E_NS1_11comp_targetILNS1_3genE10ELNS1_11target_archE1201ELNS1_3gpuE5ELNS1_3repE0EEENS1_48merge_mergepath_partition_config_static_selectorELNS0_4arch9wavefront6targetE0EEEvSK_.private_seg_size, 0
	.set _ZN7rocprim17ROCPRIM_400000_NS6detail17trampoline_kernelINS0_14default_configENS1_38merge_sort_block_merge_config_selectorIyNS0_10empty_typeEEEZZNS1_27merge_sort_block_merge_implIS3_N6thrust23THRUST_200600_302600_NS6detail15normal_iteratorINS9_10device_ptrIyEEEEPS5_m9comp_mod3IyEEE10hipError_tT0_T1_T2_jT3_P12ihipStream_tbPNSt15iterator_traitsISJ_E10value_typeEPNSP_ISK_E10value_typeEPSL_NS1_7vsmem_tEENKUlT_SJ_SK_SL_E_clIPySE_SF_SF_EESI_SY_SJ_SK_SL_EUlSY_E_NS1_11comp_targetILNS1_3genE10ELNS1_11target_archE1201ELNS1_3gpuE5ELNS1_3repE0EEENS1_48merge_mergepath_partition_config_static_selectorELNS0_4arch9wavefront6targetE0EEEvSK_.uses_vcc, 0
	.set _ZN7rocprim17ROCPRIM_400000_NS6detail17trampoline_kernelINS0_14default_configENS1_38merge_sort_block_merge_config_selectorIyNS0_10empty_typeEEEZZNS1_27merge_sort_block_merge_implIS3_N6thrust23THRUST_200600_302600_NS6detail15normal_iteratorINS9_10device_ptrIyEEEEPS5_m9comp_mod3IyEEE10hipError_tT0_T1_T2_jT3_P12ihipStream_tbPNSt15iterator_traitsISJ_E10value_typeEPNSP_ISK_E10value_typeEPSL_NS1_7vsmem_tEENKUlT_SJ_SK_SL_E_clIPySE_SF_SF_EESI_SY_SJ_SK_SL_EUlSY_E_NS1_11comp_targetILNS1_3genE10ELNS1_11target_archE1201ELNS1_3gpuE5ELNS1_3repE0EEENS1_48merge_mergepath_partition_config_static_selectorELNS0_4arch9wavefront6targetE0EEEvSK_.uses_flat_scratch, 0
	.set _ZN7rocprim17ROCPRIM_400000_NS6detail17trampoline_kernelINS0_14default_configENS1_38merge_sort_block_merge_config_selectorIyNS0_10empty_typeEEEZZNS1_27merge_sort_block_merge_implIS3_N6thrust23THRUST_200600_302600_NS6detail15normal_iteratorINS9_10device_ptrIyEEEEPS5_m9comp_mod3IyEEE10hipError_tT0_T1_T2_jT3_P12ihipStream_tbPNSt15iterator_traitsISJ_E10value_typeEPNSP_ISK_E10value_typeEPSL_NS1_7vsmem_tEENKUlT_SJ_SK_SL_E_clIPySE_SF_SF_EESI_SY_SJ_SK_SL_EUlSY_E_NS1_11comp_targetILNS1_3genE10ELNS1_11target_archE1201ELNS1_3gpuE5ELNS1_3repE0EEENS1_48merge_mergepath_partition_config_static_selectorELNS0_4arch9wavefront6targetE0EEEvSK_.has_dyn_sized_stack, 0
	.set _ZN7rocprim17ROCPRIM_400000_NS6detail17trampoline_kernelINS0_14default_configENS1_38merge_sort_block_merge_config_selectorIyNS0_10empty_typeEEEZZNS1_27merge_sort_block_merge_implIS3_N6thrust23THRUST_200600_302600_NS6detail15normal_iteratorINS9_10device_ptrIyEEEEPS5_m9comp_mod3IyEEE10hipError_tT0_T1_T2_jT3_P12ihipStream_tbPNSt15iterator_traitsISJ_E10value_typeEPNSP_ISK_E10value_typeEPSL_NS1_7vsmem_tEENKUlT_SJ_SK_SL_E_clIPySE_SF_SF_EESI_SY_SJ_SK_SL_EUlSY_E_NS1_11comp_targetILNS1_3genE10ELNS1_11target_archE1201ELNS1_3gpuE5ELNS1_3repE0EEENS1_48merge_mergepath_partition_config_static_selectorELNS0_4arch9wavefront6targetE0EEEvSK_.has_recursion, 0
	.set _ZN7rocprim17ROCPRIM_400000_NS6detail17trampoline_kernelINS0_14default_configENS1_38merge_sort_block_merge_config_selectorIyNS0_10empty_typeEEEZZNS1_27merge_sort_block_merge_implIS3_N6thrust23THRUST_200600_302600_NS6detail15normal_iteratorINS9_10device_ptrIyEEEEPS5_m9comp_mod3IyEEE10hipError_tT0_T1_T2_jT3_P12ihipStream_tbPNSt15iterator_traitsISJ_E10value_typeEPNSP_ISK_E10value_typeEPSL_NS1_7vsmem_tEENKUlT_SJ_SK_SL_E_clIPySE_SF_SF_EESI_SY_SJ_SK_SL_EUlSY_E_NS1_11comp_targetILNS1_3genE10ELNS1_11target_archE1201ELNS1_3gpuE5ELNS1_3repE0EEENS1_48merge_mergepath_partition_config_static_selectorELNS0_4arch9wavefront6targetE0EEEvSK_.has_indirect_call, 0
	.section	.AMDGPU.csdata,"",@progbits
; Kernel info:
; codeLenInByte = 0
; TotalNumSgprs: 0
; NumVgprs: 0
; ScratchSize: 0
; MemoryBound: 0
; FloatMode: 240
; IeeeMode: 1
; LDSByteSize: 0 bytes/workgroup (compile time only)
; SGPRBlocks: 0
; VGPRBlocks: 0
; NumSGPRsForWavesPerEU: 1
; NumVGPRsForWavesPerEU: 1
; Occupancy: 16
; WaveLimiterHint : 0
; COMPUTE_PGM_RSRC2:SCRATCH_EN: 0
; COMPUTE_PGM_RSRC2:USER_SGPR: 6
; COMPUTE_PGM_RSRC2:TRAP_HANDLER: 0
; COMPUTE_PGM_RSRC2:TGID_X_EN: 1
; COMPUTE_PGM_RSRC2:TGID_Y_EN: 0
; COMPUTE_PGM_RSRC2:TGID_Z_EN: 0
; COMPUTE_PGM_RSRC2:TIDIG_COMP_CNT: 0
	.section	.text._ZN7rocprim17ROCPRIM_400000_NS6detail17trampoline_kernelINS0_14default_configENS1_38merge_sort_block_merge_config_selectorIyNS0_10empty_typeEEEZZNS1_27merge_sort_block_merge_implIS3_N6thrust23THRUST_200600_302600_NS6detail15normal_iteratorINS9_10device_ptrIyEEEEPS5_m9comp_mod3IyEEE10hipError_tT0_T1_T2_jT3_P12ihipStream_tbPNSt15iterator_traitsISJ_E10value_typeEPNSP_ISK_E10value_typeEPSL_NS1_7vsmem_tEENKUlT_SJ_SK_SL_E_clIPySE_SF_SF_EESI_SY_SJ_SK_SL_EUlSY_E_NS1_11comp_targetILNS1_3genE5ELNS1_11target_archE942ELNS1_3gpuE9ELNS1_3repE0EEENS1_48merge_mergepath_partition_config_static_selectorELNS0_4arch9wavefront6targetE0EEEvSK_,"axG",@progbits,_ZN7rocprim17ROCPRIM_400000_NS6detail17trampoline_kernelINS0_14default_configENS1_38merge_sort_block_merge_config_selectorIyNS0_10empty_typeEEEZZNS1_27merge_sort_block_merge_implIS3_N6thrust23THRUST_200600_302600_NS6detail15normal_iteratorINS9_10device_ptrIyEEEEPS5_m9comp_mod3IyEEE10hipError_tT0_T1_T2_jT3_P12ihipStream_tbPNSt15iterator_traitsISJ_E10value_typeEPNSP_ISK_E10value_typeEPSL_NS1_7vsmem_tEENKUlT_SJ_SK_SL_E_clIPySE_SF_SF_EESI_SY_SJ_SK_SL_EUlSY_E_NS1_11comp_targetILNS1_3genE5ELNS1_11target_archE942ELNS1_3gpuE9ELNS1_3repE0EEENS1_48merge_mergepath_partition_config_static_selectorELNS0_4arch9wavefront6targetE0EEEvSK_,comdat
	.protected	_ZN7rocprim17ROCPRIM_400000_NS6detail17trampoline_kernelINS0_14default_configENS1_38merge_sort_block_merge_config_selectorIyNS0_10empty_typeEEEZZNS1_27merge_sort_block_merge_implIS3_N6thrust23THRUST_200600_302600_NS6detail15normal_iteratorINS9_10device_ptrIyEEEEPS5_m9comp_mod3IyEEE10hipError_tT0_T1_T2_jT3_P12ihipStream_tbPNSt15iterator_traitsISJ_E10value_typeEPNSP_ISK_E10value_typeEPSL_NS1_7vsmem_tEENKUlT_SJ_SK_SL_E_clIPySE_SF_SF_EESI_SY_SJ_SK_SL_EUlSY_E_NS1_11comp_targetILNS1_3genE5ELNS1_11target_archE942ELNS1_3gpuE9ELNS1_3repE0EEENS1_48merge_mergepath_partition_config_static_selectorELNS0_4arch9wavefront6targetE0EEEvSK_ ; -- Begin function _ZN7rocprim17ROCPRIM_400000_NS6detail17trampoline_kernelINS0_14default_configENS1_38merge_sort_block_merge_config_selectorIyNS0_10empty_typeEEEZZNS1_27merge_sort_block_merge_implIS3_N6thrust23THRUST_200600_302600_NS6detail15normal_iteratorINS9_10device_ptrIyEEEEPS5_m9comp_mod3IyEEE10hipError_tT0_T1_T2_jT3_P12ihipStream_tbPNSt15iterator_traitsISJ_E10value_typeEPNSP_ISK_E10value_typeEPSL_NS1_7vsmem_tEENKUlT_SJ_SK_SL_E_clIPySE_SF_SF_EESI_SY_SJ_SK_SL_EUlSY_E_NS1_11comp_targetILNS1_3genE5ELNS1_11target_archE942ELNS1_3gpuE9ELNS1_3repE0EEENS1_48merge_mergepath_partition_config_static_selectorELNS0_4arch9wavefront6targetE0EEEvSK_
	.globl	_ZN7rocprim17ROCPRIM_400000_NS6detail17trampoline_kernelINS0_14default_configENS1_38merge_sort_block_merge_config_selectorIyNS0_10empty_typeEEEZZNS1_27merge_sort_block_merge_implIS3_N6thrust23THRUST_200600_302600_NS6detail15normal_iteratorINS9_10device_ptrIyEEEEPS5_m9comp_mod3IyEEE10hipError_tT0_T1_T2_jT3_P12ihipStream_tbPNSt15iterator_traitsISJ_E10value_typeEPNSP_ISK_E10value_typeEPSL_NS1_7vsmem_tEENKUlT_SJ_SK_SL_E_clIPySE_SF_SF_EESI_SY_SJ_SK_SL_EUlSY_E_NS1_11comp_targetILNS1_3genE5ELNS1_11target_archE942ELNS1_3gpuE9ELNS1_3repE0EEENS1_48merge_mergepath_partition_config_static_selectorELNS0_4arch9wavefront6targetE0EEEvSK_
	.p2align	8
	.type	_ZN7rocprim17ROCPRIM_400000_NS6detail17trampoline_kernelINS0_14default_configENS1_38merge_sort_block_merge_config_selectorIyNS0_10empty_typeEEEZZNS1_27merge_sort_block_merge_implIS3_N6thrust23THRUST_200600_302600_NS6detail15normal_iteratorINS9_10device_ptrIyEEEEPS5_m9comp_mod3IyEEE10hipError_tT0_T1_T2_jT3_P12ihipStream_tbPNSt15iterator_traitsISJ_E10value_typeEPNSP_ISK_E10value_typeEPSL_NS1_7vsmem_tEENKUlT_SJ_SK_SL_E_clIPySE_SF_SF_EESI_SY_SJ_SK_SL_EUlSY_E_NS1_11comp_targetILNS1_3genE5ELNS1_11target_archE942ELNS1_3gpuE9ELNS1_3repE0EEENS1_48merge_mergepath_partition_config_static_selectorELNS0_4arch9wavefront6targetE0EEEvSK_,@function
_ZN7rocprim17ROCPRIM_400000_NS6detail17trampoline_kernelINS0_14default_configENS1_38merge_sort_block_merge_config_selectorIyNS0_10empty_typeEEEZZNS1_27merge_sort_block_merge_implIS3_N6thrust23THRUST_200600_302600_NS6detail15normal_iteratorINS9_10device_ptrIyEEEEPS5_m9comp_mod3IyEEE10hipError_tT0_T1_T2_jT3_P12ihipStream_tbPNSt15iterator_traitsISJ_E10value_typeEPNSP_ISK_E10value_typeEPSL_NS1_7vsmem_tEENKUlT_SJ_SK_SL_E_clIPySE_SF_SF_EESI_SY_SJ_SK_SL_EUlSY_E_NS1_11comp_targetILNS1_3genE5ELNS1_11target_archE942ELNS1_3gpuE9ELNS1_3repE0EEENS1_48merge_mergepath_partition_config_static_selectorELNS0_4arch9wavefront6targetE0EEEvSK_: ; @_ZN7rocprim17ROCPRIM_400000_NS6detail17trampoline_kernelINS0_14default_configENS1_38merge_sort_block_merge_config_selectorIyNS0_10empty_typeEEEZZNS1_27merge_sort_block_merge_implIS3_N6thrust23THRUST_200600_302600_NS6detail15normal_iteratorINS9_10device_ptrIyEEEEPS5_m9comp_mod3IyEEE10hipError_tT0_T1_T2_jT3_P12ihipStream_tbPNSt15iterator_traitsISJ_E10value_typeEPNSP_ISK_E10value_typeEPSL_NS1_7vsmem_tEENKUlT_SJ_SK_SL_E_clIPySE_SF_SF_EESI_SY_SJ_SK_SL_EUlSY_E_NS1_11comp_targetILNS1_3genE5ELNS1_11target_archE942ELNS1_3gpuE9ELNS1_3repE0EEENS1_48merge_mergepath_partition_config_static_selectorELNS0_4arch9wavefront6targetE0EEEvSK_
; %bb.0:
	.section	.rodata,"a",@progbits
	.p2align	6, 0x0
	.amdhsa_kernel _ZN7rocprim17ROCPRIM_400000_NS6detail17trampoline_kernelINS0_14default_configENS1_38merge_sort_block_merge_config_selectorIyNS0_10empty_typeEEEZZNS1_27merge_sort_block_merge_implIS3_N6thrust23THRUST_200600_302600_NS6detail15normal_iteratorINS9_10device_ptrIyEEEEPS5_m9comp_mod3IyEEE10hipError_tT0_T1_T2_jT3_P12ihipStream_tbPNSt15iterator_traitsISJ_E10value_typeEPNSP_ISK_E10value_typeEPSL_NS1_7vsmem_tEENKUlT_SJ_SK_SL_E_clIPySE_SF_SF_EESI_SY_SJ_SK_SL_EUlSY_E_NS1_11comp_targetILNS1_3genE5ELNS1_11target_archE942ELNS1_3gpuE9ELNS1_3repE0EEENS1_48merge_mergepath_partition_config_static_selectorELNS0_4arch9wavefront6targetE0EEEvSK_
		.amdhsa_group_segment_fixed_size 0
		.amdhsa_private_segment_fixed_size 0
		.amdhsa_kernarg_size 48
		.amdhsa_user_sgpr_count 6
		.amdhsa_user_sgpr_private_segment_buffer 1
		.amdhsa_user_sgpr_dispatch_ptr 0
		.amdhsa_user_sgpr_queue_ptr 0
		.amdhsa_user_sgpr_kernarg_segment_ptr 1
		.amdhsa_user_sgpr_dispatch_id 0
		.amdhsa_user_sgpr_flat_scratch_init 0
		.amdhsa_user_sgpr_private_segment_size 0
		.amdhsa_wavefront_size32 1
		.amdhsa_uses_dynamic_stack 0
		.amdhsa_system_sgpr_private_segment_wavefront_offset 0
		.amdhsa_system_sgpr_workgroup_id_x 1
		.amdhsa_system_sgpr_workgroup_id_y 0
		.amdhsa_system_sgpr_workgroup_id_z 0
		.amdhsa_system_sgpr_workgroup_info 0
		.amdhsa_system_vgpr_workitem_id 0
		.amdhsa_next_free_vgpr 1
		.amdhsa_next_free_sgpr 1
		.amdhsa_reserve_vcc 0
		.amdhsa_reserve_flat_scratch 0
		.amdhsa_float_round_mode_32 0
		.amdhsa_float_round_mode_16_64 0
		.amdhsa_float_denorm_mode_32 3
		.amdhsa_float_denorm_mode_16_64 3
		.amdhsa_dx10_clamp 1
		.amdhsa_ieee_mode 1
		.amdhsa_fp16_overflow 0
		.amdhsa_workgroup_processor_mode 1
		.amdhsa_memory_ordered 1
		.amdhsa_forward_progress 1
		.amdhsa_shared_vgpr_count 0
		.amdhsa_exception_fp_ieee_invalid_op 0
		.amdhsa_exception_fp_denorm_src 0
		.amdhsa_exception_fp_ieee_div_zero 0
		.amdhsa_exception_fp_ieee_overflow 0
		.amdhsa_exception_fp_ieee_underflow 0
		.amdhsa_exception_fp_ieee_inexact 0
		.amdhsa_exception_int_div_zero 0
	.end_amdhsa_kernel
	.section	.text._ZN7rocprim17ROCPRIM_400000_NS6detail17trampoline_kernelINS0_14default_configENS1_38merge_sort_block_merge_config_selectorIyNS0_10empty_typeEEEZZNS1_27merge_sort_block_merge_implIS3_N6thrust23THRUST_200600_302600_NS6detail15normal_iteratorINS9_10device_ptrIyEEEEPS5_m9comp_mod3IyEEE10hipError_tT0_T1_T2_jT3_P12ihipStream_tbPNSt15iterator_traitsISJ_E10value_typeEPNSP_ISK_E10value_typeEPSL_NS1_7vsmem_tEENKUlT_SJ_SK_SL_E_clIPySE_SF_SF_EESI_SY_SJ_SK_SL_EUlSY_E_NS1_11comp_targetILNS1_3genE5ELNS1_11target_archE942ELNS1_3gpuE9ELNS1_3repE0EEENS1_48merge_mergepath_partition_config_static_selectorELNS0_4arch9wavefront6targetE0EEEvSK_,"axG",@progbits,_ZN7rocprim17ROCPRIM_400000_NS6detail17trampoline_kernelINS0_14default_configENS1_38merge_sort_block_merge_config_selectorIyNS0_10empty_typeEEEZZNS1_27merge_sort_block_merge_implIS3_N6thrust23THRUST_200600_302600_NS6detail15normal_iteratorINS9_10device_ptrIyEEEEPS5_m9comp_mod3IyEEE10hipError_tT0_T1_T2_jT3_P12ihipStream_tbPNSt15iterator_traitsISJ_E10value_typeEPNSP_ISK_E10value_typeEPSL_NS1_7vsmem_tEENKUlT_SJ_SK_SL_E_clIPySE_SF_SF_EESI_SY_SJ_SK_SL_EUlSY_E_NS1_11comp_targetILNS1_3genE5ELNS1_11target_archE942ELNS1_3gpuE9ELNS1_3repE0EEENS1_48merge_mergepath_partition_config_static_selectorELNS0_4arch9wavefront6targetE0EEEvSK_,comdat
.Lfunc_end761:
	.size	_ZN7rocprim17ROCPRIM_400000_NS6detail17trampoline_kernelINS0_14default_configENS1_38merge_sort_block_merge_config_selectorIyNS0_10empty_typeEEEZZNS1_27merge_sort_block_merge_implIS3_N6thrust23THRUST_200600_302600_NS6detail15normal_iteratorINS9_10device_ptrIyEEEEPS5_m9comp_mod3IyEEE10hipError_tT0_T1_T2_jT3_P12ihipStream_tbPNSt15iterator_traitsISJ_E10value_typeEPNSP_ISK_E10value_typeEPSL_NS1_7vsmem_tEENKUlT_SJ_SK_SL_E_clIPySE_SF_SF_EESI_SY_SJ_SK_SL_EUlSY_E_NS1_11comp_targetILNS1_3genE5ELNS1_11target_archE942ELNS1_3gpuE9ELNS1_3repE0EEENS1_48merge_mergepath_partition_config_static_selectorELNS0_4arch9wavefront6targetE0EEEvSK_, .Lfunc_end761-_ZN7rocprim17ROCPRIM_400000_NS6detail17trampoline_kernelINS0_14default_configENS1_38merge_sort_block_merge_config_selectorIyNS0_10empty_typeEEEZZNS1_27merge_sort_block_merge_implIS3_N6thrust23THRUST_200600_302600_NS6detail15normal_iteratorINS9_10device_ptrIyEEEEPS5_m9comp_mod3IyEEE10hipError_tT0_T1_T2_jT3_P12ihipStream_tbPNSt15iterator_traitsISJ_E10value_typeEPNSP_ISK_E10value_typeEPSL_NS1_7vsmem_tEENKUlT_SJ_SK_SL_E_clIPySE_SF_SF_EESI_SY_SJ_SK_SL_EUlSY_E_NS1_11comp_targetILNS1_3genE5ELNS1_11target_archE942ELNS1_3gpuE9ELNS1_3repE0EEENS1_48merge_mergepath_partition_config_static_selectorELNS0_4arch9wavefront6targetE0EEEvSK_
                                        ; -- End function
	.set _ZN7rocprim17ROCPRIM_400000_NS6detail17trampoline_kernelINS0_14default_configENS1_38merge_sort_block_merge_config_selectorIyNS0_10empty_typeEEEZZNS1_27merge_sort_block_merge_implIS3_N6thrust23THRUST_200600_302600_NS6detail15normal_iteratorINS9_10device_ptrIyEEEEPS5_m9comp_mod3IyEEE10hipError_tT0_T1_T2_jT3_P12ihipStream_tbPNSt15iterator_traitsISJ_E10value_typeEPNSP_ISK_E10value_typeEPSL_NS1_7vsmem_tEENKUlT_SJ_SK_SL_E_clIPySE_SF_SF_EESI_SY_SJ_SK_SL_EUlSY_E_NS1_11comp_targetILNS1_3genE5ELNS1_11target_archE942ELNS1_3gpuE9ELNS1_3repE0EEENS1_48merge_mergepath_partition_config_static_selectorELNS0_4arch9wavefront6targetE0EEEvSK_.num_vgpr, 0
	.set _ZN7rocprim17ROCPRIM_400000_NS6detail17trampoline_kernelINS0_14default_configENS1_38merge_sort_block_merge_config_selectorIyNS0_10empty_typeEEEZZNS1_27merge_sort_block_merge_implIS3_N6thrust23THRUST_200600_302600_NS6detail15normal_iteratorINS9_10device_ptrIyEEEEPS5_m9comp_mod3IyEEE10hipError_tT0_T1_T2_jT3_P12ihipStream_tbPNSt15iterator_traitsISJ_E10value_typeEPNSP_ISK_E10value_typeEPSL_NS1_7vsmem_tEENKUlT_SJ_SK_SL_E_clIPySE_SF_SF_EESI_SY_SJ_SK_SL_EUlSY_E_NS1_11comp_targetILNS1_3genE5ELNS1_11target_archE942ELNS1_3gpuE9ELNS1_3repE0EEENS1_48merge_mergepath_partition_config_static_selectorELNS0_4arch9wavefront6targetE0EEEvSK_.num_agpr, 0
	.set _ZN7rocprim17ROCPRIM_400000_NS6detail17trampoline_kernelINS0_14default_configENS1_38merge_sort_block_merge_config_selectorIyNS0_10empty_typeEEEZZNS1_27merge_sort_block_merge_implIS3_N6thrust23THRUST_200600_302600_NS6detail15normal_iteratorINS9_10device_ptrIyEEEEPS5_m9comp_mod3IyEEE10hipError_tT0_T1_T2_jT3_P12ihipStream_tbPNSt15iterator_traitsISJ_E10value_typeEPNSP_ISK_E10value_typeEPSL_NS1_7vsmem_tEENKUlT_SJ_SK_SL_E_clIPySE_SF_SF_EESI_SY_SJ_SK_SL_EUlSY_E_NS1_11comp_targetILNS1_3genE5ELNS1_11target_archE942ELNS1_3gpuE9ELNS1_3repE0EEENS1_48merge_mergepath_partition_config_static_selectorELNS0_4arch9wavefront6targetE0EEEvSK_.numbered_sgpr, 0
	.set _ZN7rocprim17ROCPRIM_400000_NS6detail17trampoline_kernelINS0_14default_configENS1_38merge_sort_block_merge_config_selectorIyNS0_10empty_typeEEEZZNS1_27merge_sort_block_merge_implIS3_N6thrust23THRUST_200600_302600_NS6detail15normal_iteratorINS9_10device_ptrIyEEEEPS5_m9comp_mod3IyEEE10hipError_tT0_T1_T2_jT3_P12ihipStream_tbPNSt15iterator_traitsISJ_E10value_typeEPNSP_ISK_E10value_typeEPSL_NS1_7vsmem_tEENKUlT_SJ_SK_SL_E_clIPySE_SF_SF_EESI_SY_SJ_SK_SL_EUlSY_E_NS1_11comp_targetILNS1_3genE5ELNS1_11target_archE942ELNS1_3gpuE9ELNS1_3repE0EEENS1_48merge_mergepath_partition_config_static_selectorELNS0_4arch9wavefront6targetE0EEEvSK_.num_named_barrier, 0
	.set _ZN7rocprim17ROCPRIM_400000_NS6detail17trampoline_kernelINS0_14default_configENS1_38merge_sort_block_merge_config_selectorIyNS0_10empty_typeEEEZZNS1_27merge_sort_block_merge_implIS3_N6thrust23THRUST_200600_302600_NS6detail15normal_iteratorINS9_10device_ptrIyEEEEPS5_m9comp_mod3IyEEE10hipError_tT0_T1_T2_jT3_P12ihipStream_tbPNSt15iterator_traitsISJ_E10value_typeEPNSP_ISK_E10value_typeEPSL_NS1_7vsmem_tEENKUlT_SJ_SK_SL_E_clIPySE_SF_SF_EESI_SY_SJ_SK_SL_EUlSY_E_NS1_11comp_targetILNS1_3genE5ELNS1_11target_archE942ELNS1_3gpuE9ELNS1_3repE0EEENS1_48merge_mergepath_partition_config_static_selectorELNS0_4arch9wavefront6targetE0EEEvSK_.private_seg_size, 0
	.set _ZN7rocprim17ROCPRIM_400000_NS6detail17trampoline_kernelINS0_14default_configENS1_38merge_sort_block_merge_config_selectorIyNS0_10empty_typeEEEZZNS1_27merge_sort_block_merge_implIS3_N6thrust23THRUST_200600_302600_NS6detail15normal_iteratorINS9_10device_ptrIyEEEEPS5_m9comp_mod3IyEEE10hipError_tT0_T1_T2_jT3_P12ihipStream_tbPNSt15iterator_traitsISJ_E10value_typeEPNSP_ISK_E10value_typeEPSL_NS1_7vsmem_tEENKUlT_SJ_SK_SL_E_clIPySE_SF_SF_EESI_SY_SJ_SK_SL_EUlSY_E_NS1_11comp_targetILNS1_3genE5ELNS1_11target_archE942ELNS1_3gpuE9ELNS1_3repE0EEENS1_48merge_mergepath_partition_config_static_selectorELNS0_4arch9wavefront6targetE0EEEvSK_.uses_vcc, 0
	.set _ZN7rocprim17ROCPRIM_400000_NS6detail17trampoline_kernelINS0_14default_configENS1_38merge_sort_block_merge_config_selectorIyNS0_10empty_typeEEEZZNS1_27merge_sort_block_merge_implIS3_N6thrust23THRUST_200600_302600_NS6detail15normal_iteratorINS9_10device_ptrIyEEEEPS5_m9comp_mod3IyEEE10hipError_tT0_T1_T2_jT3_P12ihipStream_tbPNSt15iterator_traitsISJ_E10value_typeEPNSP_ISK_E10value_typeEPSL_NS1_7vsmem_tEENKUlT_SJ_SK_SL_E_clIPySE_SF_SF_EESI_SY_SJ_SK_SL_EUlSY_E_NS1_11comp_targetILNS1_3genE5ELNS1_11target_archE942ELNS1_3gpuE9ELNS1_3repE0EEENS1_48merge_mergepath_partition_config_static_selectorELNS0_4arch9wavefront6targetE0EEEvSK_.uses_flat_scratch, 0
	.set _ZN7rocprim17ROCPRIM_400000_NS6detail17trampoline_kernelINS0_14default_configENS1_38merge_sort_block_merge_config_selectorIyNS0_10empty_typeEEEZZNS1_27merge_sort_block_merge_implIS3_N6thrust23THRUST_200600_302600_NS6detail15normal_iteratorINS9_10device_ptrIyEEEEPS5_m9comp_mod3IyEEE10hipError_tT0_T1_T2_jT3_P12ihipStream_tbPNSt15iterator_traitsISJ_E10value_typeEPNSP_ISK_E10value_typeEPSL_NS1_7vsmem_tEENKUlT_SJ_SK_SL_E_clIPySE_SF_SF_EESI_SY_SJ_SK_SL_EUlSY_E_NS1_11comp_targetILNS1_3genE5ELNS1_11target_archE942ELNS1_3gpuE9ELNS1_3repE0EEENS1_48merge_mergepath_partition_config_static_selectorELNS0_4arch9wavefront6targetE0EEEvSK_.has_dyn_sized_stack, 0
	.set _ZN7rocprim17ROCPRIM_400000_NS6detail17trampoline_kernelINS0_14default_configENS1_38merge_sort_block_merge_config_selectorIyNS0_10empty_typeEEEZZNS1_27merge_sort_block_merge_implIS3_N6thrust23THRUST_200600_302600_NS6detail15normal_iteratorINS9_10device_ptrIyEEEEPS5_m9comp_mod3IyEEE10hipError_tT0_T1_T2_jT3_P12ihipStream_tbPNSt15iterator_traitsISJ_E10value_typeEPNSP_ISK_E10value_typeEPSL_NS1_7vsmem_tEENKUlT_SJ_SK_SL_E_clIPySE_SF_SF_EESI_SY_SJ_SK_SL_EUlSY_E_NS1_11comp_targetILNS1_3genE5ELNS1_11target_archE942ELNS1_3gpuE9ELNS1_3repE0EEENS1_48merge_mergepath_partition_config_static_selectorELNS0_4arch9wavefront6targetE0EEEvSK_.has_recursion, 0
	.set _ZN7rocprim17ROCPRIM_400000_NS6detail17trampoline_kernelINS0_14default_configENS1_38merge_sort_block_merge_config_selectorIyNS0_10empty_typeEEEZZNS1_27merge_sort_block_merge_implIS3_N6thrust23THRUST_200600_302600_NS6detail15normal_iteratorINS9_10device_ptrIyEEEEPS5_m9comp_mod3IyEEE10hipError_tT0_T1_T2_jT3_P12ihipStream_tbPNSt15iterator_traitsISJ_E10value_typeEPNSP_ISK_E10value_typeEPSL_NS1_7vsmem_tEENKUlT_SJ_SK_SL_E_clIPySE_SF_SF_EESI_SY_SJ_SK_SL_EUlSY_E_NS1_11comp_targetILNS1_3genE5ELNS1_11target_archE942ELNS1_3gpuE9ELNS1_3repE0EEENS1_48merge_mergepath_partition_config_static_selectorELNS0_4arch9wavefront6targetE0EEEvSK_.has_indirect_call, 0
	.section	.AMDGPU.csdata,"",@progbits
; Kernel info:
; codeLenInByte = 0
; TotalNumSgprs: 0
; NumVgprs: 0
; ScratchSize: 0
; MemoryBound: 0
; FloatMode: 240
; IeeeMode: 1
; LDSByteSize: 0 bytes/workgroup (compile time only)
; SGPRBlocks: 0
; VGPRBlocks: 0
; NumSGPRsForWavesPerEU: 1
; NumVGPRsForWavesPerEU: 1
; Occupancy: 16
; WaveLimiterHint : 0
; COMPUTE_PGM_RSRC2:SCRATCH_EN: 0
; COMPUTE_PGM_RSRC2:USER_SGPR: 6
; COMPUTE_PGM_RSRC2:TRAP_HANDLER: 0
; COMPUTE_PGM_RSRC2:TGID_X_EN: 1
; COMPUTE_PGM_RSRC2:TGID_Y_EN: 0
; COMPUTE_PGM_RSRC2:TGID_Z_EN: 0
; COMPUTE_PGM_RSRC2:TIDIG_COMP_CNT: 0
	.section	.text._ZN7rocprim17ROCPRIM_400000_NS6detail17trampoline_kernelINS0_14default_configENS1_38merge_sort_block_merge_config_selectorIyNS0_10empty_typeEEEZZNS1_27merge_sort_block_merge_implIS3_N6thrust23THRUST_200600_302600_NS6detail15normal_iteratorINS9_10device_ptrIyEEEEPS5_m9comp_mod3IyEEE10hipError_tT0_T1_T2_jT3_P12ihipStream_tbPNSt15iterator_traitsISJ_E10value_typeEPNSP_ISK_E10value_typeEPSL_NS1_7vsmem_tEENKUlT_SJ_SK_SL_E_clIPySE_SF_SF_EESI_SY_SJ_SK_SL_EUlSY_E_NS1_11comp_targetILNS1_3genE4ELNS1_11target_archE910ELNS1_3gpuE8ELNS1_3repE0EEENS1_48merge_mergepath_partition_config_static_selectorELNS0_4arch9wavefront6targetE0EEEvSK_,"axG",@progbits,_ZN7rocprim17ROCPRIM_400000_NS6detail17trampoline_kernelINS0_14default_configENS1_38merge_sort_block_merge_config_selectorIyNS0_10empty_typeEEEZZNS1_27merge_sort_block_merge_implIS3_N6thrust23THRUST_200600_302600_NS6detail15normal_iteratorINS9_10device_ptrIyEEEEPS5_m9comp_mod3IyEEE10hipError_tT0_T1_T2_jT3_P12ihipStream_tbPNSt15iterator_traitsISJ_E10value_typeEPNSP_ISK_E10value_typeEPSL_NS1_7vsmem_tEENKUlT_SJ_SK_SL_E_clIPySE_SF_SF_EESI_SY_SJ_SK_SL_EUlSY_E_NS1_11comp_targetILNS1_3genE4ELNS1_11target_archE910ELNS1_3gpuE8ELNS1_3repE0EEENS1_48merge_mergepath_partition_config_static_selectorELNS0_4arch9wavefront6targetE0EEEvSK_,comdat
	.protected	_ZN7rocprim17ROCPRIM_400000_NS6detail17trampoline_kernelINS0_14default_configENS1_38merge_sort_block_merge_config_selectorIyNS0_10empty_typeEEEZZNS1_27merge_sort_block_merge_implIS3_N6thrust23THRUST_200600_302600_NS6detail15normal_iteratorINS9_10device_ptrIyEEEEPS5_m9comp_mod3IyEEE10hipError_tT0_T1_T2_jT3_P12ihipStream_tbPNSt15iterator_traitsISJ_E10value_typeEPNSP_ISK_E10value_typeEPSL_NS1_7vsmem_tEENKUlT_SJ_SK_SL_E_clIPySE_SF_SF_EESI_SY_SJ_SK_SL_EUlSY_E_NS1_11comp_targetILNS1_3genE4ELNS1_11target_archE910ELNS1_3gpuE8ELNS1_3repE0EEENS1_48merge_mergepath_partition_config_static_selectorELNS0_4arch9wavefront6targetE0EEEvSK_ ; -- Begin function _ZN7rocprim17ROCPRIM_400000_NS6detail17trampoline_kernelINS0_14default_configENS1_38merge_sort_block_merge_config_selectorIyNS0_10empty_typeEEEZZNS1_27merge_sort_block_merge_implIS3_N6thrust23THRUST_200600_302600_NS6detail15normal_iteratorINS9_10device_ptrIyEEEEPS5_m9comp_mod3IyEEE10hipError_tT0_T1_T2_jT3_P12ihipStream_tbPNSt15iterator_traitsISJ_E10value_typeEPNSP_ISK_E10value_typeEPSL_NS1_7vsmem_tEENKUlT_SJ_SK_SL_E_clIPySE_SF_SF_EESI_SY_SJ_SK_SL_EUlSY_E_NS1_11comp_targetILNS1_3genE4ELNS1_11target_archE910ELNS1_3gpuE8ELNS1_3repE0EEENS1_48merge_mergepath_partition_config_static_selectorELNS0_4arch9wavefront6targetE0EEEvSK_
	.globl	_ZN7rocprim17ROCPRIM_400000_NS6detail17trampoline_kernelINS0_14default_configENS1_38merge_sort_block_merge_config_selectorIyNS0_10empty_typeEEEZZNS1_27merge_sort_block_merge_implIS3_N6thrust23THRUST_200600_302600_NS6detail15normal_iteratorINS9_10device_ptrIyEEEEPS5_m9comp_mod3IyEEE10hipError_tT0_T1_T2_jT3_P12ihipStream_tbPNSt15iterator_traitsISJ_E10value_typeEPNSP_ISK_E10value_typeEPSL_NS1_7vsmem_tEENKUlT_SJ_SK_SL_E_clIPySE_SF_SF_EESI_SY_SJ_SK_SL_EUlSY_E_NS1_11comp_targetILNS1_3genE4ELNS1_11target_archE910ELNS1_3gpuE8ELNS1_3repE0EEENS1_48merge_mergepath_partition_config_static_selectorELNS0_4arch9wavefront6targetE0EEEvSK_
	.p2align	8
	.type	_ZN7rocprim17ROCPRIM_400000_NS6detail17trampoline_kernelINS0_14default_configENS1_38merge_sort_block_merge_config_selectorIyNS0_10empty_typeEEEZZNS1_27merge_sort_block_merge_implIS3_N6thrust23THRUST_200600_302600_NS6detail15normal_iteratorINS9_10device_ptrIyEEEEPS5_m9comp_mod3IyEEE10hipError_tT0_T1_T2_jT3_P12ihipStream_tbPNSt15iterator_traitsISJ_E10value_typeEPNSP_ISK_E10value_typeEPSL_NS1_7vsmem_tEENKUlT_SJ_SK_SL_E_clIPySE_SF_SF_EESI_SY_SJ_SK_SL_EUlSY_E_NS1_11comp_targetILNS1_3genE4ELNS1_11target_archE910ELNS1_3gpuE8ELNS1_3repE0EEENS1_48merge_mergepath_partition_config_static_selectorELNS0_4arch9wavefront6targetE0EEEvSK_,@function
_ZN7rocprim17ROCPRIM_400000_NS6detail17trampoline_kernelINS0_14default_configENS1_38merge_sort_block_merge_config_selectorIyNS0_10empty_typeEEEZZNS1_27merge_sort_block_merge_implIS3_N6thrust23THRUST_200600_302600_NS6detail15normal_iteratorINS9_10device_ptrIyEEEEPS5_m9comp_mod3IyEEE10hipError_tT0_T1_T2_jT3_P12ihipStream_tbPNSt15iterator_traitsISJ_E10value_typeEPNSP_ISK_E10value_typeEPSL_NS1_7vsmem_tEENKUlT_SJ_SK_SL_E_clIPySE_SF_SF_EESI_SY_SJ_SK_SL_EUlSY_E_NS1_11comp_targetILNS1_3genE4ELNS1_11target_archE910ELNS1_3gpuE8ELNS1_3repE0EEENS1_48merge_mergepath_partition_config_static_selectorELNS0_4arch9wavefront6targetE0EEEvSK_: ; @_ZN7rocprim17ROCPRIM_400000_NS6detail17trampoline_kernelINS0_14default_configENS1_38merge_sort_block_merge_config_selectorIyNS0_10empty_typeEEEZZNS1_27merge_sort_block_merge_implIS3_N6thrust23THRUST_200600_302600_NS6detail15normal_iteratorINS9_10device_ptrIyEEEEPS5_m9comp_mod3IyEEE10hipError_tT0_T1_T2_jT3_P12ihipStream_tbPNSt15iterator_traitsISJ_E10value_typeEPNSP_ISK_E10value_typeEPSL_NS1_7vsmem_tEENKUlT_SJ_SK_SL_E_clIPySE_SF_SF_EESI_SY_SJ_SK_SL_EUlSY_E_NS1_11comp_targetILNS1_3genE4ELNS1_11target_archE910ELNS1_3gpuE8ELNS1_3repE0EEENS1_48merge_mergepath_partition_config_static_selectorELNS0_4arch9wavefront6targetE0EEEvSK_
; %bb.0:
	.section	.rodata,"a",@progbits
	.p2align	6, 0x0
	.amdhsa_kernel _ZN7rocprim17ROCPRIM_400000_NS6detail17trampoline_kernelINS0_14default_configENS1_38merge_sort_block_merge_config_selectorIyNS0_10empty_typeEEEZZNS1_27merge_sort_block_merge_implIS3_N6thrust23THRUST_200600_302600_NS6detail15normal_iteratorINS9_10device_ptrIyEEEEPS5_m9comp_mod3IyEEE10hipError_tT0_T1_T2_jT3_P12ihipStream_tbPNSt15iterator_traitsISJ_E10value_typeEPNSP_ISK_E10value_typeEPSL_NS1_7vsmem_tEENKUlT_SJ_SK_SL_E_clIPySE_SF_SF_EESI_SY_SJ_SK_SL_EUlSY_E_NS1_11comp_targetILNS1_3genE4ELNS1_11target_archE910ELNS1_3gpuE8ELNS1_3repE0EEENS1_48merge_mergepath_partition_config_static_selectorELNS0_4arch9wavefront6targetE0EEEvSK_
		.amdhsa_group_segment_fixed_size 0
		.amdhsa_private_segment_fixed_size 0
		.amdhsa_kernarg_size 48
		.amdhsa_user_sgpr_count 6
		.amdhsa_user_sgpr_private_segment_buffer 1
		.amdhsa_user_sgpr_dispatch_ptr 0
		.amdhsa_user_sgpr_queue_ptr 0
		.amdhsa_user_sgpr_kernarg_segment_ptr 1
		.amdhsa_user_sgpr_dispatch_id 0
		.amdhsa_user_sgpr_flat_scratch_init 0
		.amdhsa_user_sgpr_private_segment_size 0
		.amdhsa_wavefront_size32 1
		.amdhsa_uses_dynamic_stack 0
		.amdhsa_system_sgpr_private_segment_wavefront_offset 0
		.amdhsa_system_sgpr_workgroup_id_x 1
		.amdhsa_system_sgpr_workgroup_id_y 0
		.amdhsa_system_sgpr_workgroup_id_z 0
		.amdhsa_system_sgpr_workgroup_info 0
		.amdhsa_system_vgpr_workitem_id 0
		.amdhsa_next_free_vgpr 1
		.amdhsa_next_free_sgpr 1
		.amdhsa_reserve_vcc 0
		.amdhsa_reserve_flat_scratch 0
		.amdhsa_float_round_mode_32 0
		.amdhsa_float_round_mode_16_64 0
		.amdhsa_float_denorm_mode_32 3
		.amdhsa_float_denorm_mode_16_64 3
		.amdhsa_dx10_clamp 1
		.amdhsa_ieee_mode 1
		.amdhsa_fp16_overflow 0
		.amdhsa_workgroup_processor_mode 1
		.amdhsa_memory_ordered 1
		.amdhsa_forward_progress 1
		.amdhsa_shared_vgpr_count 0
		.amdhsa_exception_fp_ieee_invalid_op 0
		.amdhsa_exception_fp_denorm_src 0
		.amdhsa_exception_fp_ieee_div_zero 0
		.amdhsa_exception_fp_ieee_overflow 0
		.amdhsa_exception_fp_ieee_underflow 0
		.amdhsa_exception_fp_ieee_inexact 0
		.amdhsa_exception_int_div_zero 0
	.end_amdhsa_kernel
	.section	.text._ZN7rocprim17ROCPRIM_400000_NS6detail17trampoline_kernelINS0_14default_configENS1_38merge_sort_block_merge_config_selectorIyNS0_10empty_typeEEEZZNS1_27merge_sort_block_merge_implIS3_N6thrust23THRUST_200600_302600_NS6detail15normal_iteratorINS9_10device_ptrIyEEEEPS5_m9comp_mod3IyEEE10hipError_tT0_T1_T2_jT3_P12ihipStream_tbPNSt15iterator_traitsISJ_E10value_typeEPNSP_ISK_E10value_typeEPSL_NS1_7vsmem_tEENKUlT_SJ_SK_SL_E_clIPySE_SF_SF_EESI_SY_SJ_SK_SL_EUlSY_E_NS1_11comp_targetILNS1_3genE4ELNS1_11target_archE910ELNS1_3gpuE8ELNS1_3repE0EEENS1_48merge_mergepath_partition_config_static_selectorELNS0_4arch9wavefront6targetE0EEEvSK_,"axG",@progbits,_ZN7rocprim17ROCPRIM_400000_NS6detail17trampoline_kernelINS0_14default_configENS1_38merge_sort_block_merge_config_selectorIyNS0_10empty_typeEEEZZNS1_27merge_sort_block_merge_implIS3_N6thrust23THRUST_200600_302600_NS6detail15normal_iteratorINS9_10device_ptrIyEEEEPS5_m9comp_mod3IyEEE10hipError_tT0_T1_T2_jT3_P12ihipStream_tbPNSt15iterator_traitsISJ_E10value_typeEPNSP_ISK_E10value_typeEPSL_NS1_7vsmem_tEENKUlT_SJ_SK_SL_E_clIPySE_SF_SF_EESI_SY_SJ_SK_SL_EUlSY_E_NS1_11comp_targetILNS1_3genE4ELNS1_11target_archE910ELNS1_3gpuE8ELNS1_3repE0EEENS1_48merge_mergepath_partition_config_static_selectorELNS0_4arch9wavefront6targetE0EEEvSK_,comdat
.Lfunc_end762:
	.size	_ZN7rocprim17ROCPRIM_400000_NS6detail17trampoline_kernelINS0_14default_configENS1_38merge_sort_block_merge_config_selectorIyNS0_10empty_typeEEEZZNS1_27merge_sort_block_merge_implIS3_N6thrust23THRUST_200600_302600_NS6detail15normal_iteratorINS9_10device_ptrIyEEEEPS5_m9comp_mod3IyEEE10hipError_tT0_T1_T2_jT3_P12ihipStream_tbPNSt15iterator_traitsISJ_E10value_typeEPNSP_ISK_E10value_typeEPSL_NS1_7vsmem_tEENKUlT_SJ_SK_SL_E_clIPySE_SF_SF_EESI_SY_SJ_SK_SL_EUlSY_E_NS1_11comp_targetILNS1_3genE4ELNS1_11target_archE910ELNS1_3gpuE8ELNS1_3repE0EEENS1_48merge_mergepath_partition_config_static_selectorELNS0_4arch9wavefront6targetE0EEEvSK_, .Lfunc_end762-_ZN7rocprim17ROCPRIM_400000_NS6detail17trampoline_kernelINS0_14default_configENS1_38merge_sort_block_merge_config_selectorIyNS0_10empty_typeEEEZZNS1_27merge_sort_block_merge_implIS3_N6thrust23THRUST_200600_302600_NS6detail15normal_iteratorINS9_10device_ptrIyEEEEPS5_m9comp_mod3IyEEE10hipError_tT0_T1_T2_jT3_P12ihipStream_tbPNSt15iterator_traitsISJ_E10value_typeEPNSP_ISK_E10value_typeEPSL_NS1_7vsmem_tEENKUlT_SJ_SK_SL_E_clIPySE_SF_SF_EESI_SY_SJ_SK_SL_EUlSY_E_NS1_11comp_targetILNS1_3genE4ELNS1_11target_archE910ELNS1_3gpuE8ELNS1_3repE0EEENS1_48merge_mergepath_partition_config_static_selectorELNS0_4arch9wavefront6targetE0EEEvSK_
                                        ; -- End function
	.set _ZN7rocprim17ROCPRIM_400000_NS6detail17trampoline_kernelINS0_14default_configENS1_38merge_sort_block_merge_config_selectorIyNS0_10empty_typeEEEZZNS1_27merge_sort_block_merge_implIS3_N6thrust23THRUST_200600_302600_NS6detail15normal_iteratorINS9_10device_ptrIyEEEEPS5_m9comp_mod3IyEEE10hipError_tT0_T1_T2_jT3_P12ihipStream_tbPNSt15iterator_traitsISJ_E10value_typeEPNSP_ISK_E10value_typeEPSL_NS1_7vsmem_tEENKUlT_SJ_SK_SL_E_clIPySE_SF_SF_EESI_SY_SJ_SK_SL_EUlSY_E_NS1_11comp_targetILNS1_3genE4ELNS1_11target_archE910ELNS1_3gpuE8ELNS1_3repE0EEENS1_48merge_mergepath_partition_config_static_selectorELNS0_4arch9wavefront6targetE0EEEvSK_.num_vgpr, 0
	.set _ZN7rocprim17ROCPRIM_400000_NS6detail17trampoline_kernelINS0_14default_configENS1_38merge_sort_block_merge_config_selectorIyNS0_10empty_typeEEEZZNS1_27merge_sort_block_merge_implIS3_N6thrust23THRUST_200600_302600_NS6detail15normal_iteratorINS9_10device_ptrIyEEEEPS5_m9comp_mod3IyEEE10hipError_tT0_T1_T2_jT3_P12ihipStream_tbPNSt15iterator_traitsISJ_E10value_typeEPNSP_ISK_E10value_typeEPSL_NS1_7vsmem_tEENKUlT_SJ_SK_SL_E_clIPySE_SF_SF_EESI_SY_SJ_SK_SL_EUlSY_E_NS1_11comp_targetILNS1_3genE4ELNS1_11target_archE910ELNS1_3gpuE8ELNS1_3repE0EEENS1_48merge_mergepath_partition_config_static_selectorELNS0_4arch9wavefront6targetE0EEEvSK_.num_agpr, 0
	.set _ZN7rocprim17ROCPRIM_400000_NS6detail17trampoline_kernelINS0_14default_configENS1_38merge_sort_block_merge_config_selectorIyNS0_10empty_typeEEEZZNS1_27merge_sort_block_merge_implIS3_N6thrust23THRUST_200600_302600_NS6detail15normal_iteratorINS9_10device_ptrIyEEEEPS5_m9comp_mod3IyEEE10hipError_tT0_T1_T2_jT3_P12ihipStream_tbPNSt15iterator_traitsISJ_E10value_typeEPNSP_ISK_E10value_typeEPSL_NS1_7vsmem_tEENKUlT_SJ_SK_SL_E_clIPySE_SF_SF_EESI_SY_SJ_SK_SL_EUlSY_E_NS1_11comp_targetILNS1_3genE4ELNS1_11target_archE910ELNS1_3gpuE8ELNS1_3repE0EEENS1_48merge_mergepath_partition_config_static_selectorELNS0_4arch9wavefront6targetE0EEEvSK_.numbered_sgpr, 0
	.set _ZN7rocprim17ROCPRIM_400000_NS6detail17trampoline_kernelINS0_14default_configENS1_38merge_sort_block_merge_config_selectorIyNS0_10empty_typeEEEZZNS1_27merge_sort_block_merge_implIS3_N6thrust23THRUST_200600_302600_NS6detail15normal_iteratorINS9_10device_ptrIyEEEEPS5_m9comp_mod3IyEEE10hipError_tT0_T1_T2_jT3_P12ihipStream_tbPNSt15iterator_traitsISJ_E10value_typeEPNSP_ISK_E10value_typeEPSL_NS1_7vsmem_tEENKUlT_SJ_SK_SL_E_clIPySE_SF_SF_EESI_SY_SJ_SK_SL_EUlSY_E_NS1_11comp_targetILNS1_3genE4ELNS1_11target_archE910ELNS1_3gpuE8ELNS1_3repE0EEENS1_48merge_mergepath_partition_config_static_selectorELNS0_4arch9wavefront6targetE0EEEvSK_.num_named_barrier, 0
	.set _ZN7rocprim17ROCPRIM_400000_NS6detail17trampoline_kernelINS0_14default_configENS1_38merge_sort_block_merge_config_selectorIyNS0_10empty_typeEEEZZNS1_27merge_sort_block_merge_implIS3_N6thrust23THRUST_200600_302600_NS6detail15normal_iteratorINS9_10device_ptrIyEEEEPS5_m9comp_mod3IyEEE10hipError_tT0_T1_T2_jT3_P12ihipStream_tbPNSt15iterator_traitsISJ_E10value_typeEPNSP_ISK_E10value_typeEPSL_NS1_7vsmem_tEENKUlT_SJ_SK_SL_E_clIPySE_SF_SF_EESI_SY_SJ_SK_SL_EUlSY_E_NS1_11comp_targetILNS1_3genE4ELNS1_11target_archE910ELNS1_3gpuE8ELNS1_3repE0EEENS1_48merge_mergepath_partition_config_static_selectorELNS0_4arch9wavefront6targetE0EEEvSK_.private_seg_size, 0
	.set _ZN7rocprim17ROCPRIM_400000_NS6detail17trampoline_kernelINS0_14default_configENS1_38merge_sort_block_merge_config_selectorIyNS0_10empty_typeEEEZZNS1_27merge_sort_block_merge_implIS3_N6thrust23THRUST_200600_302600_NS6detail15normal_iteratorINS9_10device_ptrIyEEEEPS5_m9comp_mod3IyEEE10hipError_tT0_T1_T2_jT3_P12ihipStream_tbPNSt15iterator_traitsISJ_E10value_typeEPNSP_ISK_E10value_typeEPSL_NS1_7vsmem_tEENKUlT_SJ_SK_SL_E_clIPySE_SF_SF_EESI_SY_SJ_SK_SL_EUlSY_E_NS1_11comp_targetILNS1_3genE4ELNS1_11target_archE910ELNS1_3gpuE8ELNS1_3repE0EEENS1_48merge_mergepath_partition_config_static_selectorELNS0_4arch9wavefront6targetE0EEEvSK_.uses_vcc, 0
	.set _ZN7rocprim17ROCPRIM_400000_NS6detail17trampoline_kernelINS0_14default_configENS1_38merge_sort_block_merge_config_selectorIyNS0_10empty_typeEEEZZNS1_27merge_sort_block_merge_implIS3_N6thrust23THRUST_200600_302600_NS6detail15normal_iteratorINS9_10device_ptrIyEEEEPS5_m9comp_mod3IyEEE10hipError_tT0_T1_T2_jT3_P12ihipStream_tbPNSt15iterator_traitsISJ_E10value_typeEPNSP_ISK_E10value_typeEPSL_NS1_7vsmem_tEENKUlT_SJ_SK_SL_E_clIPySE_SF_SF_EESI_SY_SJ_SK_SL_EUlSY_E_NS1_11comp_targetILNS1_3genE4ELNS1_11target_archE910ELNS1_3gpuE8ELNS1_3repE0EEENS1_48merge_mergepath_partition_config_static_selectorELNS0_4arch9wavefront6targetE0EEEvSK_.uses_flat_scratch, 0
	.set _ZN7rocprim17ROCPRIM_400000_NS6detail17trampoline_kernelINS0_14default_configENS1_38merge_sort_block_merge_config_selectorIyNS0_10empty_typeEEEZZNS1_27merge_sort_block_merge_implIS3_N6thrust23THRUST_200600_302600_NS6detail15normal_iteratorINS9_10device_ptrIyEEEEPS5_m9comp_mod3IyEEE10hipError_tT0_T1_T2_jT3_P12ihipStream_tbPNSt15iterator_traitsISJ_E10value_typeEPNSP_ISK_E10value_typeEPSL_NS1_7vsmem_tEENKUlT_SJ_SK_SL_E_clIPySE_SF_SF_EESI_SY_SJ_SK_SL_EUlSY_E_NS1_11comp_targetILNS1_3genE4ELNS1_11target_archE910ELNS1_3gpuE8ELNS1_3repE0EEENS1_48merge_mergepath_partition_config_static_selectorELNS0_4arch9wavefront6targetE0EEEvSK_.has_dyn_sized_stack, 0
	.set _ZN7rocprim17ROCPRIM_400000_NS6detail17trampoline_kernelINS0_14default_configENS1_38merge_sort_block_merge_config_selectorIyNS0_10empty_typeEEEZZNS1_27merge_sort_block_merge_implIS3_N6thrust23THRUST_200600_302600_NS6detail15normal_iteratorINS9_10device_ptrIyEEEEPS5_m9comp_mod3IyEEE10hipError_tT0_T1_T2_jT3_P12ihipStream_tbPNSt15iterator_traitsISJ_E10value_typeEPNSP_ISK_E10value_typeEPSL_NS1_7vsmem_tEENKUlT_SJ_SK_SL_E_clIPySE_SF_SF_EESI_SY_SJ_SK_SL_EUlSY_E_NS1_11comp_targetILNS1_3genE4ELNS1_11target_archE910ELNS1_3gpuE8ELNS1_3repE0EEENS1_48merge_mergepath_partition_config_static_selectorELNS0_4arch9wavefront6targetE0EEEvSK_.has_recursion, 0
	.set _ZN7rocprim17ROCPRIM_400000_NS6detail17trampoline_kernelINS0_14default_configENS1_38merge_sort_block_merge_config_selectorIyNS0_10empty_typeEEEZZNS1_27merge_sort_block_merge_implIS3_N6thrust23THRUST_200600_302600_NS6detail15normal_iteratorINS9_10device_ptrIyEEEEPS5_m9comp_mod3IyEEE10hipError_tT0_T1_T2_jT3_P12ihipStream_tbPNSt15iterator_traitsISJ_E10value_typeEPNSP_ISK_E10value_typeEPSL_NS1_7vsmem_tEENKUlT_SJ_SK_SL_E_clIPySE_SF_SF_EESI_SY_SJ_SK_SL_EUlSY_E_NS1_11comp_targetILNS1_3genE4ELNS1_11target_archE910ELNS1_3gpuE8ELNS1_3repE0EEENS1_48merge_mergepath_partition_config_static_selectorELNS0_4arch9wavefront6targetE0EEEvSK_.has_indirect_call, 0
	.section	.AMDGPU.csdata,"",@progbits
; Kernel info:
; codeLenInByte = 0
; TotalNumSgprs: 0
; NumVgprs: 0
; ScratchSize: 0
; MemoryBound: 0
; FloatMode: 240
; IeeeMode: 1
; LDSByteSize: 0 bytes/workgroup (compile time only)
; SGPRBlocks: 0
; VGPRBlocks: 0
; NumSGPRsForWavesPerEU: 1
; NumVGPRsForWavesPerEU: 1
; Occupancy: 16
; WaveLimiterHint : 0
; COMPUTE_PGM_RSRC2:SCRATCH_EN: 0
; COMPUTE_PGM_RSRC2:USER_SGPR: 6
; COMPUTE_PGM_RSRC2:TRAP_HANDLER: 0
; COMPUTE_PGM_RSRC2:TGID_X_EN: 1
; COMPUTE_PGM_RSRC2:TGID_Y_EN: 0
; COMPUTE_PGM_RSRC2:TGID_Z_EN: 0
; COMPUTE_PGM_RSRC2:TIDIG_COMP_CNT: 0
	.section	.text._ZN7rocprim17ROCPRIM_400000_NS6detail17trampoline_kernelINS0_14default_configENS1_38merge_sort_block_merge_config_selectorIyNS0_10empty_typeEEEZZNS1_27merge_sort_block_merge_implIS3_N6thrust23THRUST_200600_302600_NS6detail15normal_iteratorINS9_10device_ptrIyEEEEPS5_m9comp_mod3IyEEE10hipError_tT0_T1_T2_jT3_P12ihipStream_tbPNSt15iterator_traitsISJ_E10value_typeEPNSP_ISK_E10value_typeEPSL_NS1_7vsmem_tEENKUlT_SJ_SK_SL_E_clIPySE_SF_SF_EESI_SY_SJ_SK_SL_EUlSY_E_NS1_11comp_targetILNS1_3genE3ELNS1_11target_archE908ELNS1_3gpuE7ELNS1_3repE0EEENS1_48merge_mergepath_partition_config_static_selectorELNS0_4arch9wavefront6targetE0EEEvSK_,"axG",@progbits,_ZN7rocprim17ROCPRIM_400000_NS6detail17trampoline_kernelINS0_14default_configENS1_38merge_sort_block_merge_config_selectorIyNS0_10empty_typeEEEZZNS1_27merge_sort_block_merge_implIS3_N6thrust23THRUST_200600_302600_NS6detail15normal_iteratorINS9_10device_ptrIyEEEEPS5_m9comp_mod3IyEEE10hipError_tT0_T1_T2_jT3_P12ihipStream_tbPNSt15iterator_traitsISJ_E10value_typeEPNSP_ISK_E10value_typeEPSL_NS1_7vsmem_tEENKUlT_SJ_SK_SL_E_clIPySE_SF_SF_EESI_SY_SJ_SK_SL_EUlSY_E_NS1_11comp_targetILNS1_3genE3ELNS1_11target_archE908ELNS1_3gpuE7ELNS1_3repE0EEENS1_48merge_mergepath_partition_config_static_selectorELNS0_4arch9wavefront6targetE0EEEvSK_,comdat
	.protected	_ZN7rocprim17ROCPRIM_400000_NS6detail17trampoline_kernelINS0_14default_configENS1_38merge_sort_block_merge_config_selectorIyNS0_10empty_typeEEEZZNS1_27merge_sort_block_merge_implIS3_N6thrust23THRUST_200600_302600_NS6detail15normal_iteratorINS9_10device_ptrIyEEEEPS5_m9comp_mod3IyEEE10hipError_tT0_T1_T2_jT3_P12ihipStream_tbPNSt15iterator_traitsISJ_E10value_typeEPNSP_ISK_E10value_typeEPSL_NS1_7vsmem_tEENKUlT_SJ_SK_SL_E_clIPySE_SF_SF_EESI_SY_SJ_SK_SL_EUlSY_E_NS1_11comp_targetILNS1_3genE3ELNS1_11target_archE908ELNS1_3gpuE7ELNS1_3repE0EEENS1_48merge_mergepath_partition_config_static_selectorELNS0_4arch9wavefront6targetE0EEEvSK_ ; -- Begin function _ZN7rocprim17ROCPRIM_400000_NS6detail17trampoline_kernelINS0_14default_configENS1_38merge_sort_block_merge_config_selectorIyNS0_10empty_typeEEEZZNS1_27merge_sort_block_merge_implIS3_N6thrust23THRUST_200600_302600_NS6detail15normal_iteratorINS9_10device_ptrIyEEEEPS5_m9comp_mod3IyEEE10hipError_tT0_T1_T2_jT3_P12ihipStream_tbPNSt15iterator_traitsISJ_E10value_typeEPNSP_ISK_E10value_typeEPSL_NS1_7vsmem_tEENKUlT_SJ_SK_SL_E_clIPySE_SF_SF_EESI_SY_SJ_SK_SL_EUlSY_E_NS1_11comp_targetILNS1_3genE3ELNS1_11target_archE908ELNS1_3gpuE7ELNS1_3repE0EEENS1_48merge_mergepath_partition_config_static_selectorELNS0_4arch9wavefront6targetE0EEEvSK_
	.globl	_ZN7rocprim17ROCPRIM_400000_NS6detail17trampoline_kernelINS0_14default_configENS1_38merge_sort_block_merge_config_selectorIyNS0_10empty_typeEEEZZNS1_27merge_sort_block_merge_implIS3_N6thrust23THRUST_200600_302600_NS6detail15normal_iteratorINS9_10device_ptrIyEEEEPS5_m9comp_mod3IyEEE10hipError_tT0_T1_T2_jT3_P12ihipStream_tbPNSt15iterator_traitsISJ_E10value_typeEPNSP_ISK_E10value_typeEPSL_NS1_7vsmem_tEENKUlT_SJ_SK_SL_E_clIPySE_SF_SF_EESI_SY_SJ_SK_SL_EUlSY_E_NS1_11comp_targetILNS1_3genE3ELNS1_11target_archE908ELNS1_3gpuE7ELNS1_3repE0EEENS1_48merge_mergepath_partition_config_static_selectorELNS0_4arch9wavefront6targetE0EEEvSK_
	.p2align	8
	.type	_ZN7rocprim17ROCPRIM_400000_NS6detail17trampoline_kernelINS0_14default_configENS1_38merge_sort_block_merge_config_selectorIyNS0_10empty_typeEEEZZNS1_27merge_sort_block_merge_implIS3_N6thrust23THRUST_200600_302600_NS6detail15normal_iteratorINS9_10device_ptrIyEEEEPS5_m9comp_mod3IyEEE10hipError_tT0_T1_T2_jT3_P12ihipStream_tbPNSt15iterator_traitsISJ_E10value_typeEPNSP_ISK_E10value_typeEPSL_NS1_7vsmem_tEENKUlT_SJ_SK_SL_E_clIPySE_SF_SF_EESI_SY_SJ_SK_SL_EUlSY_E_NS1_11comp_targetILNS1_3genE3ELNS1_11target_archE908ELNS1_3gpuE7ELNS1_3repE0EEENS1_48merge_mergepath_partition_config_static_selectorELNS0_4arch9wavefront6targetE0EEEvSK_,@function
_ZN7rocprim17ROCPRIM_400000_NS6detail17trampoline_kernelINS0_14default_configENS1_38merge_sort_block_merge_config_selectorIyNS0_10empty_typeEEEZZNS1_27merge_sort_block_merge_implIS3_N6thrust23THRUST_200600_302600_NS6detail15normal_iteratorINS9_10device_ptrIyEEEEPS5_m9comp_mod3IyEEE10hipError_tT0_T1_T2_jT3_P12ihipStream_tbPNSt15iterator_traitsISJ_E10value_typeEPNSP_ISK_E10value_typeEPSL_NS1_7vsmem_tEENKUlT_SJ_SK_SL_E_clIPySE_SF_SF_EESI_SY_SJ_SK_SL_EUlSY_E_NS1_11comp_targetILNS1_3genE3ELNS1_11target_archE908ELNS1_3gpuE7ELNS1_3repE0EEENS1_48merge_mergepath_partition_config_static_selectorELNS0_4arch9wavefront6targetE0EEEvSK_: ; @_ZN7rocprim17ROCPRIM_400000_NS6detail17trampoline_kernelINS0_14default_configENS1_38merge_sort_block_merge_config_selectorIyNS0_10empty_typeEEEZZNS1_27merge_sort_block_merge_implIS3_N6thrust23THRUST_200600_302600_NS6detail15normal_iteratorINS9_10device_ptrIyEEEEPS5_m9comp_mod3IyEEE10hipError_tT0_T1_T2_jT3_P12ihipStream_tbPNSt15iterator_traitsISJ_E10value_typeEPNSP_ISK_E10value_typeEPSL_NS1_7vsmem_tEENKUlT_SJ_SK_SL_E_clIPySE_SF_SF_EESI_SY_SJ_SK_SL_EUlSY_E_NS1_11comp_targetILNS1_3genE3ELNS1_11target_archE908ELNS1_3gpuE7ELNS1_3repE0EEENS1_48merge_mergepath_partition_config_static_selectorELNS0_4arch9wavefront6targetE0EEEvSK_
; %bb.0:
	.section	.rodata,"a",@progbits
	.p2align	6, 0x0
	.amdhsa_kernel _ZN7rocprim17ROCPRIM_400000_NS6detail17trampoline_kernelINS0_14default_configENS1_38merge_sort_block_merge_config_selectorIyNS0_10empty_typeEEEZZNS1_27merge_sort_block_merge_implIS3_N6thrust23THRUST_200600_302600_NS6detail15normal_iteratorINS9_10device_ptrIyEEEEPS5_m9comp_mod3IyEEE10hipError_tT0_T1_T2_jT3_P12ihipStream_tbPNSt15iterator_traitsISJ_E10value_typeEPNSP_ISK_E10value_typeEPSL_NS1_7vsmem_tEENKUlT_SJ_SK_SL_E_clIPySE_SF_SF_EESI_SY_SJ_SK_SL_EUlSY_E_NS1_11comp_targetILNS1_3genE3ELNS1_11target_archE908ELNS1_3gpuE7ELNS1_3repE0EEENS1_48merge_mergepath_partition_config_static_selectorELNS0_4arch9wavefront6targetE0EEEvSK_
		.amdhsa_group_segment_fixed_size 0
		.amdhsa_private_segment_fixed_size 0
		.amdhsa_kernarg_size 48
		.amdhsa_user_sgpr_count 6
		.amdhsa_user_sgpr_private_segment_buffer 1
		.amdhsa_user_sgpr_dispatch_ptr 0
		.amdhsa_user_sgpr_queue_ptr 0
		.amdhsa_user_sgpr_kernarg_segment_ptr 1
		.amdhsa_user_sgpr_dispatch_id 0
		.amdhsa_user_sgpr_flat_scratch_init 0
		.amdhsa_user_sgpr_private_segment_size 0
		.amdhsa_wavefront_size32 1
		.amdhsa_uses_dynamic_stack 0
		.amdhsa_system_sgpr_private_segment_wavefront_offset 0
		.amdhsa_system_sgpr_workgroup_id_x 1
		.amdhsa_system_sgpr_workgroup_id_y 0
		.amdhsa_system_sgpr_workgroup_id_z 0
		.amdhsa_system_sgpr_workgroup_info 0
		.amdhsa_system_vgpr_workitem_id 0
		.amdhsa_next_free_vgpr 1
		.amdhsa_next_free_sgpr 1
		.amdhsa_reserve_vcc 0
		.amdhsa_reserve_flat_scratch 0
		.amdhsa_float_round_mode_32 0
		.amdhsa_float_round_mode_16_64 0
		.amdhsa_float_denorm_mode_32 3
		.amdhsa_float_denorm_mode_16_64 3
		.amdhsa_dx10_clamp 1
		.amdhsa_ieee_mode 1
		.amdhsa_fp16_overflow 0
		.amdhsa_workgroup_processor_mode 1
		.amdhsa_memory_ordered 1
		.amdhsa_forward_progress 1
		.amdhsa_shared_vgpr_count 0
		.amdhsa_exception_fp_ieee_invalid_op 0
		.amdhsa_exception_fp_denorm_src 0
		.amdhsa_exception_fp_ieee_div_zero 0
		.amdhsa_exception_fp_ieee_overflow 0
		.amdhsa_exception_fp_ieee_underflow 0
		.amdhsa_exception_fp_ieee_inexact 0
		.amdhsa_exception_int_div_zero 0
	.end_amdhsa_kernel
	.section	.text._ZN7rocprim17ROCPRIM_400000_NS6detail17trampoline_kernelINS0_14default_configENS1_38merge_sort_block_merge_config_selectorIyNS0_10empty_typeEEEZZNS1_27merge_sort_block_merge_implIS3_N6thrust23THRUST_200600_302600_NS6detail15normal_iteratorINS9_10device_ptrIyEEEEPS5_m9comp_mod3IyEEE10hipError_tT0_T1_T2_jT3_P12ihipStream_tbPNSt15iterator_traitsISJ_E10value_typeEPNSP_ISK_E10value_typeEPSL_NS1_7vsmem_tEENKUlT_SJ_SK_SL_E_clIPySE_SF_SF_EESI_SY_SJ_SK_SL_EUlSY_E_NS1_11comp_targetILNS1_3genE3ELNS1_11target_archE908ELNS1_3gpuE7ELNS1_3repE0EEENS1_48merge_mergepath_partition_config_static_selectorELNS0_4arch9wavefront6targetE0EEEvSK_,"axG",@progbits,_ZN7rocprim17ROCPRIM_400000_NS6detail17trampoline_kernelINS0_14default_configENS1_38merge_sort_block_merge_config_selectorIyNS0_10empty_typeEEEZZNS1_27merge_sort_block_merge_implIS3_N6thrust23THRUST_200600_302600_NS6detail15normal_iteratorINS9_10device_ptrIyEEEEPS5_m9comp_mod3IyEEE10hipError_tT0_T1_T2_jT3_P12ihipStream_tbPNSt15iterator_traitsISJ_E10value_typeEPNSP_ISK_E10value_typeEPSL_NS1_7vsmem_tEENKUlT_SJ_SK_SL_E_clIPySE_SF_SF_EESI_SY_SJ_SK_SL_EUlSY_E_NS1_11comp_targetILNS1_3genE3ELNS1_11target_archE908ELNS1_3gpuE7ELNS1_3repE0EEENS1_48merge_mergepath_partition_config_static_selectorELNS0_4arch9wavefront6targetE0EEEvSK_,comdat
.Lfunc_end763:
	.size	_ZN7rocprim17ROCPRIM_400000_NS6detail17trampoline_kernelINS0_14default_configENS1_38merge_sort_block_merge_config_selectorIyNS0_10empty_typeEEEZZNS1_27merge_sort_block_merge_implIS3_N6thrust23THRUST_200600_302600_NS6detail15normal_iteratorINS9_10device_ptrIyEEEEPS5_m9comp_mod3IyEEE10hipError_tT0_T1_T2_jT3_P12ihipStream_tbPNSt15iterator_traitsISJ_E10value_typeEPNSP_ISK_E10value_typeEPSL_NS1_7vsmem_tEENKUlT_SJ_SK_SL_E_clIPySE_SF_SF_EESI_SY_SJ_SK_SL_EUlSY_E_NS1_11comp_targetILNS1_3genE3ELNS1_11target_archE908ELNS1_3gpuE7ELNS1_3repE0EEENS1_48merge_mergepath_partition_config_static_selectorELNS0_4arch9wavefront6targetE0EEEvSK_, .Lfunc_end763-_ZN7rocprim17ROCPRIM_400000_NS6detail17trampoline_kernelINS0_14default_configENS1_38merge_sort_block_merge_config_selectorIyNS0_10empty_typeEEEZZNS1_27merge_sort_block_merge_implIS3_N6thrust23THRUST_200600_302600_NS6detail15normal_iteratorINS9_10device_ptrIyEEEEPS5_m9comp_mod3IyEEE10hipError_tT0_T1_T2_jT3_P12ihipStream_tbPNSt15iterator_traitsISJ_E10value_typeEPNSP_ISK_E10value_typeEPSL_NS1_7vsmem_tEENKUlT_SJ_SK_SL_E_clIPySE_SF_SF_EESI_SY_SJ_SK_SL_EUlSY_E_NS1_11comp_targetILNS1_3genE3ELNS1_11target_archE908ELNS1_3gpuE7ELNS1_3repE0EEENS1_48merge_mergepath_partition_config_static_selectorELNS0_4arch9wavefront6targetE0EEEvSK_
                                        ; -- End function
	.set _ZN7rocprim17ROCPRIM_400000_NS6detail17trampoline_kernelINS0_14default_configENS1_38merge_sort_block_merge_config_selectorIyNS0_10empty_typeEEEZZNS1_27merge_sort_block_merge_implIS3_N6thrust23THRUST_200600_302600_NS6detail15normal_iteratorINS9_10device_ptrIyEEEEPS5_m9comp_mod3IyEEE10hipError_tT0_T1_T2_jT3_P12ihipStream_tbPNSt15iterator_traitsISJ_E10value_typeEPNSP_ISK_E10value_typeEPSL_NS1_7vsmem_tEENKUlT_SJ_SK_SL_E_clIPySE_SF_SF_EESI_SY_SJ_SK_SL_EUlSY_E_NS1_11comp_targetILNS1_3genE3ELNS1_11target_archE908ELNS1_3gpuE7ELNS1_3repE0EEENS1_48merge_mergepath_partition_config_static_selectorELNS0_4arch9wavefront6targetE0EEEvSK_.num_vgpr, 0
	.set _ZN7rocprim17ROCPRIM_400000_NS6detail17trampoline_kernelINS0_14default_configENS1_38merge_sort_block_merge_config_selectorIyNS0_10empty_typeEEEZZNS1_27merge_sort_block_merge_implIS3_N6thrust23THRUST_200600_302600_NS6detail15normal_iteratorINS9_10device_ptrIyEEEEPS5_m9comp_mod3IyEEE10hipError_tT0_T1_T2_jT3_P12ihipStream_tbPNSt15iterator_traitsISJ_E10value_typeEPNSP_ISK_E10value_typeEPSL_NS1_7vsmem_tEENKUlT_SJ_SK_SL_E_clIPySE_SF_SF_EESI_SY_SJ_SK_SL_EUlSY_E_NS1_11comp_targetILNS1_3genE3ELNS1_11target_archE908ELNS1_3gpuE7ELNS1_3repE0EEENS1_48merge_mergepath_partition_config_static_selectorELNS0_4arch9wavefront6targetE0EEEvSK_.num_agpr, 0
	.set _ZN7rocprim17ROCPRIM_400000_NS6detail17trampoline_kernelINS0_14default_configENS1_38merge_sort_block_merge_config_selectorIyNS0_10empty_typeEEEZZNS1_27merge_sort_block_merge_implIS3_N6thrust23THRUST_200600_302600_NS6detail15normal_iteratorINS9_10device_ptrIyEEEEPS5_m9comp_mod3IyEEE10hipError_tT0_T1_T2_jT3_P12ihipStream_tbPNSt15iterator_traitsISJ_E10value_typeEPNSP_ISK_E10value_typeEPSL_NS1_7vsmem_tEENKUlT_SJ_SK_SL_E_clIPySE_SF_SF_EESI_SY_SJ_SK_SL_EUlSY_E_NS1_11comp_targetILNS1_3genE3ELNS1_11target_archE908ELNS1_3gpuE7ELNS1_3repE0EEENS1_48merge_mergepath_partition_config_static_selectorELNS0_4arch9wavefront6targetE0EEEvSK_.numbered_sgpr, 0
	.set _ZN7rocprim17ROCPRIM_400000_NS6detail17trampoline_kernelINS0_14default_configENS1_38merge_sort_block_merge_config_selectorIyNS0_10empty_typeEEEZZNS1_27merge_sort_block_merge_implIS3_N6thrust23THRUST_200600_302600_NS6detail15normal_iteratorINS9_10device_ptrIyEEEEPS5_m9comp_mod3IyEEE10hipError_tT0_T1_T2_jT3_P12ihipStream_tbPNSt15iterator_traitsISJ_E10value_typeEPNSP_ISK_E10value_typeEPSL_NS1_7vsmem_tEENKUlT_SJ_SK_SL_E_clIPySE_SF_SF_EESI_SY_SJ_SK_SL_EUlSY_E_NS1_11comp_targetILNS1_3genE3ELNS1_11target_archE908ELNS1_3gpuE7ELNS1_3repE0EEENS1_48merge_mergepath_partition_config_static_selectorELNS0_4arch9wavefront6targetE0EEEvSK_.num_named_barrier, 0
	.set _ZN7rocprim17ROCPRIM_400000_NS6detail17trampoline_kernelINS0_14default_configENS1_38merge_sort_block_merge_config_selectorIyNS0_10empty_typeEEEZZNS1_27merge_sort_block_merge_implIS3_N6thrust23THRUST_200600_302600_NS6detail15normal_iteratorINS9_10device_ptrIyEEEEPS5_m9comp_mod3IyEEE10hipError_tT0_T1_T2_jT3_P12ihipStream_tbPNSt15iterator_traitsISJ_E10value_typeEPNSP_ISK_E10value_typeEPSL_NS1_7vsmem_tEENKUlT_SJ_SK_SL_E_clIPySE_SF_SF_EESI_SY_SJ_SK_SL_EUlSY_E_NS1_11comp_targetILNS1_3genE3ELNS1_11target_archE908ELNS1_3gpuE7ELNS1_3repE0EEENS1_48merge_mergepath_partition_config_static_selectorELNS0_4arch9wavefront6targetE0EEEvSK_.private_seg_size, 0
	.set _ZN7rocprim17ROCPRIM_400000_NS6detail17trampoline_kernelINS0_14default_configENS1_38merge_sort_block_merge_config_selectorIyNS0_10empty_typeEEEZZNS1_27merge_sort_block_merge_implIS3_N6thrust23THRUST_200600_302600_NS6detail15normal_iteratorINS9_10device_ptrIyEEEEPS5_m9comp_mod3IyEEE10hipError_tT0_T1_T2_jT3_P12ihipStream_tbPNSt15iterator_traitsISJ_E10value_typeEPNSP_ISK_E10value_typeEPSL_NS1_7vsmem_tEENKUlT_SJ_SK_SL_E_clIPySE_SF_SF_EESI_SY_SJ_SK_SL_EUlSY_E_NS1_11comp_targetILNS1_3genE3ELNS1_11target_archE908ELNS1_3gpuE7ELNS1_3repE0EEENS1_48merge_mergepath_partition_config_static_selectorELNS0_4arch9wavefront6targetE0EEEvSK_.uses_vcc, 0
	.set _ZN7rocprim17ROCPRIM_400000_NS6detail17trampoline_kernelINS0_14default_configENS1_38merge_sort_block_merge_config_selectorIyNS0_10empty_typeEEEZZNS1_27merge_sort_block_merge_implIS3_N6thrust23THRUST_200600_302600_NS6detail15normal_iteratorINS9_10device_ptrIyEEEEPS5_m9comp_mod3IyEEE10hipError_tT0_T1_T2_jT3_P12ihipStream_tbPNSt15iterator_traitsISJ_E10value_typeEPNSP_ISK_E10value_typeEPSL_NS1_7vsmem_tEENKUlT_SJ_SK_SL_E_clIPySE_SF_SF_EESI_SY_SJ_SK_SL_EUlSY_E_NS1_11comp_targetILNS1_3genE3ELNS1_11target_archE908ELNS1_3gpuE7ELNS1_3repE0EEENS1_48merge_mergepath_partition_config_static_selectorELNS0_4arch9wavefront6targetE0EEEvSK_.uses_flat_scratch, 0
	.set _ZN7rocprim17ROCPRIM_400000_NS6detail17trampoline_kernelINS0_14default_configENS1_38merge_sort_block_merge_config_selectorIyNS0_10empty_typeEEEZZNS1_27merge_sort_block_merge_implIS3_N6thrust23THRUST_200600_302600_NS6detail15normal_iteratorINS9_10device_ptrIyEEEEPS5_m9comp_mod3IyEEE10hipError_tT0_T1_T2_jT3_P12ihipStream_tbPNSt15iterator_traitsISJ_E10value_typeEPNSP_ISK_E10value_typeEPSL_NS1_7vsmem_tEENKUlT_SJ_SK_SL_E_clIPySE_SF_SF_EESI_SY_SJ_SK_SL_EUlSY_E_NS1_11comp_targetILNS1_3genE3ELNS1_11target_archE908ELNS1_3gpuE7ELNS1_3repE0EEENS1_48merge_mergepath_partition_config_static_selectorELNS0_4arch9wavefront6targetE0EEEvSK_.has_dyn_sized_stack, 0
	.set _ZN7rocprim17ROCPRIM_400000_NS6detail17trampoline_kernelINS0_14default_configENS1_38merge_sort_block_merge_config_selectorIyNS0_10empty_typeEEEZZNS1_27merge_sort_block_merge_implIS3_N6thrust23THRUST_200600_302600_NS6detail15normal_iteratorINS9_10device_ptrIyEEEEPS5_m9comp_mod3IyEEE10hipError_tT0_T1_T2_jT3_P12ihipStream_tbPNSt15iterator_traitsISJ_E10value_typeEPNSP_ISK_E10value_typeEPSL_NS1_7vsmem_tEENKUlT_SJ_SK_SL_E_clIPySE_SF_SF_EESI_SY_SJ_SK_SL_EUlSY_E_NS1_11comp_targetILNS1_3genE3ELNS1_11target_archE908ELNS1_3gpuE7ELNS1_3repE0EEENS1_48merge_mergepath_partition_config_static_selectorELNS0_4arch9wavefront6targetE0EEEvSK_.has_recursion, 0
	.set _ZN7rocprim17ROCPRIM_400000_NS6detail17trampoline_kernelINS0_14default_configENS1_38merge_sort_block_merge_config_selectorIyNS0_10empty_typeEEEZZNS1_27merge_sort_block_merge_implIS3_N6thrust23THRUST_200600_302600_NS6detail15normal_iteratorINS9_10device_ptrIyEEEEPS5_m9comp_mod3IyEEE10hipError_tT0_T1_T2_jT3_P12ihipStream_tbPNSt15iterator_traitsISJ_E10value_typeEPNSP_ISK_E10value_typeEPSL_NS1_7vsmem_tEENKUlT_SJ_SK_SL_E_clIPySE_SF_SF_EESI_SY_SJ_SK_SL_EUlSY_E_NS1_11comp_targetILNS1_3genE3ELNS1_11target_archE908ELNS1_3gpuE7ELNS1_3repE0EEENS1_48merge_mergepath_partition_config_static_selectorELNS0_4arch9wavefront6targetE0EEEvSK_.has_indirect_call, 0
	.section	.AMDGPU.csdata,"",@progbits
; Kernel info:
; codeLenInByte = 0
; TotalNumSgprs: 0
; NumVgprs: 0
; ScratchSize: 0
; MemoryBound: 0
; FloatMode: 240
; IeeeMode: 1
; LDSByteSize: 0 bytes/workgroup (compile time only)
; SGPRBlocks: 0
; VGPRBlocks: 0
; NumSGPRsForWavesPerEU: 1
; NumVGPRsForWavesPerEU: 1
; Occupancy: 16
; WaveLimiterHint : 0
; COMPUTE_PGM_RSRC2:SCRATCH_EN: 0
; COMPUTE_PGM_RSRC2:USER_SGPR: 6
; COMPUTE_PGM_RSRC2:TRAP_HANDLER: 0
; COMPUTE_PGM_RSRC2:TGID_X_EN: 1
; COMPUTE_PGM_RSRC2:TGID_Y_EN: 0
; COMPUTE_PGM_RSRC2:TGID_Z_EN: 0
; COMPUTE_PGM_RSRC2:TIDIG_COMP_CNT: 0
	.section	.text._ZN7rocprim17ROCPRIM_400000_NS6detail17trampoline_kernelINS0_14default_configENS1_38merge_sort_block_merge_config_selectorIyNS0_10empty_typeEEEZZNS1_27merge_sort_block_merge_implIS3_N6thrust23THRUST_200600_302600_NS6detail15normal_iteratorINS9_10device_ptrIyEEEEPS5_m9comp_mod3IyEEE10hipError_tT0_T1_T2_jT3_P12ihipStream_tbPNSt15iterator_traitsISJ_E10value_typeEPNSP_ISK_E10value_typeEPSL_NS1_7vsmem_tEENKUlT_SJ_SK_SL_E_clIPySE_SF_SF_EESI_SY_SJ_SK_SL_EUlSY_E_NS1_11comp_targetILNS1_3genE2ELNS1_11target_archE906ELNS1_3gpuE6ELNS1_3repE0EEENS1_48merge_mergepath_partition_config_static_selectorELNS0_4arch9wavefront6targetE0EEEvSK_,"axG",@progbits,_ZN7rocprim17ROCPRIM_400000_NS6detail17trampoline_kernelINS0_14default_configENS1_38merge_sort_block_merge_config_selectorIyNS0_10empty_typeEEEZZNS1_27merge_sort_block_merge_implIS3_N6thrust23THRUST_200600_302600_NS6detail15normal_iteratorINS9_10device_ptrIyEEEEPS5_m9comp_mod3IyEEE10hipError_tT0_T1_T2_jT3_P12ihipStream_tbPNSt15iterator_traitsISJ_E10value_typeEPNSP_ISK_E10value_typeEPSL_NS1_7vsmem_tEENKUlT_SJ_SK_SL_E_clIPySE_SF_SF_EESI_SY_SJ_SK_SL_EUlSY_E_NS1_11comp_targetILNS1_3genE2ELNS1_11target_archE906ELNS1_3gpuE6ELNS1_3repE0EEENS1_48merge_mergepath_partition_config_static_selectorELNS0_4arch9wavefront6targetE0EEEvSK_,comdat
	.protected	_ZN7rocprim17ROCPRIM_400000_NS6detail17trampoline_kernelINS0_14default_configENS1_38merge_sort_block_merge_config_selectorIyNS0_10empty_typeEEEZZNS1_27merge_sort_block_merge_implIS3_N6thrust23THRUST_200600_302600_NS6detail15normal_iteratorINS9_10device_ptrIyEEEEPS5_m9comp_mod3IyEEE10hipError_tT0_T1_T2_jT3_P12ihipStream_tbPNSt15iterator_traitsISJ_E10value_typeEPNSP_ISK_E10value_typeEPSL_NS1_7vsmem_tEENKUlT_SJ_SK_SL_E_clIPySE_SF_SF_EESI_SY_SJ_SK_SL_EUlSY_E_NS1_11comp_targetILNS1_3genE2ELNS1_11target_archE906ELNS1_3gpuE6ELNS1_3repE0EEENS1_48merge_mergepath_partition_config_static_selectorELNS0_4arch9wavefront6targetE0EEEvSK_ ; -- Begin function _ZN7rocprim17ROCPRIM_400000_NS6detail17trampoline_kernelINS0_14default_configENS1_38merge_sort_block_merge_config_selectorIyNS0_10empty_typeEEEZZNS1_27merge_sort_block_merge_implIS3_N6thrust23THRUST_200600_302600_NS6detail15normal_iteratorINS9_10device_ptrIyEEEEPS5_m9comp_mod3IyEEE10hipError_tT0_T1_T2_jT3_P12ihipStream_tbPNSt15iterator_traitsISJ_E10value_typeEPNSP_ISK_E10value_typeEPSL_NS1_7vsmem_tEENKUlT_SJ_SK_SL_E_clIPySE_SF_SF_EESI_SY_SJ_SK_SL_EUlSY_E_NS1_11comp_targetILNS1_3genE2ELNS1_11target_archE906ELNS1_3gpuE6ELNS1_3repE0EEENS1_48merge_mergepath_partition_config_static_selectorELNS0_4arch9wavefront6targetE0EEEvSK_
	.globl	_ZN7rocprim17ROCPRIM_400000_NS6detail17trampoline_kernelINS0_14default_configENS1_38merge_sort_block_merge_config_selectorIyNS0_10empty_typeEEEZZNS1_27merge_sort_block_merge_implIS3_N6thrust23THRUST_200600_302600_NS6detail15normal_iteratorINS9_10device_ptrIyEEEEPS5_m9comp_mod3IyEEE10hipError_tT0_T1_T2_jT3_P12ihipStream_tbPNSt15iterator_traitsISJ_E10value_typeEPNSP_ISK_E10value_typeEPSL_NS1_7vsmem_tEENKUlT_SJ_SK_SL_E_clIPySE_SF_SF_EESI_SY_SJ_SK_SL_EUlSY_E_NS1_11comp_targetILNS1_3genE2ELNS1_11target_archE906ELNS1_3gpuE6ELNS1_3repE0EEENS1_48merge_mergepath_partition_config_static_selectorELNS0_4arch9wavefront6targetE0EEEvSK_
	.p2align	8
	.type	_ZN7rocprim17ROCPRIM_400000_NS6detail17trampoline_kernelINS0_14default_configENS1_38merge_sort_block_merge_config_selectorIyNS0_10empty_typeEEEZZNS1_27merge_sort_block_merge_implIS3_N6thrust23THRUST_200600_302600_NS6detail15normal_iteratorINS9_10device_ptrIyEEEEPS5_m9comp_mod3IyEEE10hipError_tT0_T1_T2_jT3_P12ihipStream_tbPNSt15iterator_traitsISJ_E10value_typeEPNSP_ISK_E10value_typeEPSL_NS1_7vsmem_tEENKUlT_SJ_SK_SL_E_clIPySE_SF_SF_EESI_SY_SJ_SK_SL_EUlSY_E_NS1_11comp_targetILNS1_3genE2ELNS1_11target_archE906ELNS1_3gpuE6ELNS1_3repE0EEENS1_48merge_mergepath_partition_config_static_selectorELNS0_4arch9wavefront6targetE0EEEvSK_,@function
_ZN7rocprim17ROCPRIM_400000_NS6detail17trampoline_kernelINS0_14default_configENS1_38merge_sort_block_merge_config_selectorIyNS0_10empty_typeEEEZZNS1_27merge_sort_block_merge_implIS3_N6thrust23THRUST_200600_302600_NS6detail15normal_iteratorINS9_10device_ptrIyEEEEPS5_m9comp_mod3IyEEE10hipError_tT0_T1_T2_jT3_P12ihipStream_tbPNSt15iterator_traitsISJ_E10value_typeEPNSP_ISK_E10value_typeEPSL_NS1_7vsmem_tEENKUlT_SJ_SK_SL_E_clIPySE_SF_SF_EESI_SY_SJ_SK_SL_EUlSY_E_NS1_11comp_targetILNS1_3genE2ELNS1_11target_archE906ELNS1_3gpuE6ELNS1_3repE0EEENS1_48merge_mergepath_partition_config_static_selectorELNS0_4arch9wavefront6targetE0EEEvSK_: ; @_ZN7rocprim17ROCPRIM_400000_NS6detail17trampoline_kernelINS0_14default_configENS1_38merge_sort_block_merge_config_selectorIyNS0_10empty_typeEEEZZNS1_27merge_sort_block_merge_implIS3_N6thrust23THRUST_200600_302600_NS6detail15normal_iteratorINS9_10device_ptrIyEEEEPS5_m9comp_mod3IyEEE10hipError_tT0_T1_T2_jT3_P12ihipStream_tbPNSt15iterator_traitsISJ_E10value_typeEPNSP_ISK_E10value_typeEPSL_NS1_7vsmem_tEENKUlT_SJ_SK_SL_E_clIPySE_SF_SF_EESI_SY_SJ_SK_SL_EUlSY_E_NS1_11comp_targetILNS1_3genE2ELNS1_11target_archE906ELNS1_3gpuE6ELNS1_3repE0EEENS1_48merge_mergepath_partition_config_static_selectorELNS0_4arch9wavefront6targetE0EEEvSK_
; %bb.0:
	.section	.rodata,"a",@progbits
	.p2align	6, 0x0
	.amdhsa_kernel _ZN7rocprim17ROCPRIM_400000_NS6detail17trampoline_kernelINS0_14default_configENS1_38merge_sort_block_merge_config_selectorIyNS0_10empty_typeEEEZZNS1_27merge_sort_block_merge_implIS3_N6thrust23THRUST_200600_302600_NS6detail15normal_iteratorINS9_10device_ptrIyEEEEPS5_m9comp_mod3IyEEE10hipError_tT0_T1_T2_jT3_P12ihipStream_tbPNSt15iterator_traitsISJ_E10value_typeEPNSP_ISK_E10value_typeEPSL_NS1_7vsmem_tEENKUlT_SJ_SK_SL_E_clIPySE_SF_SF_EESI_SY_SJ_SK_SL_EUlSY_E_NS1_11comp_targetILNS1_3genE2ELNS1_11target_archE906ELNS1_3gpuE6ELNS1_3repE0EEENS1_48merge_mergepath_partition_config_static_selectorELNS0_4arch9wavefront6targetE0EEEvSK_
		.amdhsa_group_segment_fixed_size 0
		.amdhsa_private_segment_fixed_size 0
		.amdhsa_kernarg_size 48
		.amdhsa_user_sgpr_count 6
		.amdhsa_user_sgpr_private_segment_buffer 1
		.amdhsa_user_sgpr_dispatch_ptr 0
		.amdhsa_user_sgpr_queue_ptr 0
		.amdhsa_user_sgpr_kernarg_segment_ptr 1
		.amdhsa_user_sgpr_dispatch_id 0
		.amdhsa_user_sgpr_flat_scratch_init 0
		.amdhsa_user_sgpr_private_segment_size 0
		.amdhsa_wavefront_size32 1
		.amdhsa_uses_dynamic_stack 0
		.amdhsa_system_sgpr_private_segment_wavefront_offset 0
		.amdhsa_system_sgpr_workgroup_id_x 1
		.amdhsa_system_sgpr_workgroup_id_y 0
		.amdhsa_system_sgpr_workgroup_id_z 0
		.amdhsa_system_sgpr_workgroup_info 0
		.amdhsa_system_vgpr_workitem_id 0
		.amdhsa_next_free_vgpr 1
		.amdhsa_next_free_sgpr 1
		.amdhsa_reserve_vcc 0
		.amdhsa_reserve_flat_scratch 0
		.amdhsa_float_round_mode_32 0
		.amdhsa_float_round_mode_16_64 0
		.amdhsa_float_denorm_mode_32 3
		.amdhsa_float_denorm_mode_16_64 3
		.amdhsa_dx10_clamp 1
		.amdhsa_ieee_mode 1
		.amdhsa_fp16_overflow 0
		.amdhsa_workgroup_processor_mode 1
		.amdhsa_memory_ordered 1
		.amdhsa_forward_progress 1
		.amdhsa_shared_vgpr_count 0
		.amdhsa_exception_fp_ieee_invalid_op 0
		.amdhsa_exception_fp_denorm_src 0
		.amdhsa_exception_fp_ieee_div_zero 0
		.amdhsa_exception_fp_ieee_overflow 0
		.amdhsa_exception_fp_ieee_underflow 0
		.amdhsa_exception_fp_ieee_inexact 0
		.amdhsa_exception_int_div_zero 0
	.end_amdhsa_kernel
	.section	.text._ZN7rocprim17ROCPRIM_400000_NS6detail17trampoline_kernelINS0_14default_configENS1_38merge_sort_block_merge_config_selectorIyNS0_10empty_typeEEEZZNS1_27merge_sort_block_merge_implIS3_N6thrust23THRUST_200600_302600_NS6detail15normal_iteratorINS9_10device_ptrIyEEEEPS5_m9comp_mod3IyEEE10hipError_tT0_T1_T2_jT3_P12ihipStream_tbPNSt15iterator_traitsISJ_E10value_typeEPNSP_ISK_E10value_typeEPSL_NS1_7vsmem_tEENKUlT_SJ_SK_SL_E_clIPySE_SF_SF_EESI_SY_SJ_SK_SL_EUlSY_E_NS1_11comp_targetILNS1_3genE2ELNS1_11target_archE906ELNS1_3gpuE6ELNS1_3repE0EEENS1_48merge_mergepath_partition_config_static_selectorELNS0_4arch9wavefront6targetE0EEEvSK_,"axG",@progbits,_ZN7rocprim17ROCPRIM_400000_NS6detail17trampoline_kernelINS0_14default_configENS1_38merge_sort_block_merge_config_selectorIyNS0_10empty_typeEEEZZNS1_27merge_sort_block_merge_implIS3_N6thrust23THRUST_200600_302600_NS6detail15normal_iteratorINS9_10device_ptrIyEEEEPS5_m9comp_mod3IyEEE10hipError_tT0_T1_T2_jT3_P12ihipStream_tbPNSt15iterator_traitsISJ_E10value_typeEPNSP_ISK_E10value_typeEPSL_NS1_7vsmem_tEENKUlT_SJ_SK_SL_E_clIPySE_SF_SF_EESI_SY_SJ_SK_SL_EUlSY_E_NS1_11comp_targetILNS1_3genE2ELNS1_11target_archE906ELNS1_3gpuE6ELNS1_3repE0EEENS1_48merge_mergepath_partition_config_static_selectorELNS0_4arch9wavefront6targetE0EEEvSK_,comdat
.Lfunc_end764:
	.size	_ZN7rocprim17ROCPRIM_400000_NS6detail17trampoline_kernelINS0_14default_configENS1_38merge_sort_block_merge_config_selectorIyNS0_10empty_typeEEEZZNS1_27merge_sort_block_merge_implIS3_N6thrust23THRUST_200600_302600_NS6detail15normal_iteratorINS9_10device_ptrIyEEEEPS5_m9comp_mod3IyEEE10hipError_tT0_T1_T2_jT3_P12ihipStream_tbPNSt15iterator_traitsISJ_E10value_typeEPNSP_ISK_E10value_typeEPSL_NS1_7vsmem_tEENKUlT_SJ_SK_SL_E_clIPySE_SF_SF_EESI_SY_SJ_SK_SL_EUlSY_E_NS1_11comp_targetILNS1_3genE2ELNS1_11target_archE906ELNS1_3gpuE6ELNS1_3repE0EEENS1_48merge_mergepath_partition_config_static_selectorELNS0_4arch9wavefront6targetE0EEEvSK_, .Lfunc_end764-_ZN7rocprim17ROCPRIM_400000_NS6detail17trampoline_kernelINS0_14default_configENS1_38merge_sort_block_merge_config_selectorIyNS0_10empty_typeEEEZZNS1_27merge_sort_block_merge_implIS3_N6thrust23THRUST_200600_302600_NS6detail15normal_iteratorINS9_10device_ptrIyEEEEPS5_m9comp_mod3IyEEE10hipError_tT0_T1_T2_jT3_P12ihipStream_tbPNSt15iterator_traitsISJ_E10value_typeEPNSP_ISK_E10value_typeEPSL_NS1_7vsmem_tEENKUlT_SJ_SK_SL_E_clIPySE_SF_SF_EESI_SY_SJ_SK_SL_EUlSY_E_NS1_11comp_targetILNS1_3genE2ELNS1_11target_archE906ELNS1_3gpuE6ELNS1_3repE0EEENS1_48merge_mergepath_partition_config_static_selectorELNS0_4arch9wavefront6targetE0EEEvSK_
                                        ; -- End function
	.set _ZN7rocprim17ROCPRIM_400000_NS6detail17trampoline_kernelINS0_14default_configENS1_38merge_sort_block_merge_config_selectorIyNS0_10empty_typeEEEZZNS1_27merge_sort_block_merge_implIS3_N6thrust23THRUST_200600_302600_NS6detail15normal_iteratorINS9_10device_ptrIyEEEEPS5_m9comp_mod3IyEEE10hipError_tT0_T1_T2_jT3_P12ihipStream_tbPNSt15iterator_traitsISJ_E10value_typeEPNSP_ISK_E10value_typeEPSL_NS1_7vsmem_tEENKUlT_SJ_SK_SL_E_clIPySE_SF_SF_EESI_SY_SJ_SK_SL_EUlSY_E_NS1_11comp_targetILNS1_3genE2ELNS1_11target_archE906ELNS1_3gpuE6ELNS1_3repE0EEENS1_48merge_mergepath_partition_config_static_selectorELNS0_4arch9wavefront6targetE0EEEvSK_.num_vgpr, 0
	.set _ZN7rocprim17ROCPRIM_400000_NS6detail17trampoline_kernelINS0_14default_configENS1_38merge_sort_block_merge_config_selectorIyNS0_10empty_typeEEEZZNS1_27merge_sort_block_merge_implIS3_N6thrust23THRUST_200600_302600_NS6detail15normal_iteratorINS9_10device_ptrIyEEEEPS5_m9comp_mod3IyEEE10hipError_tT0_T1_T2_jT3_P12ihipStream_tbPNSt15iterator_traitsISJ_E10value_typeEPNSP_ISK_E10value_typeEPSL_NS1_7vsmem_tEENKUlT_SJ_SK_SL_E_clIPySE_SF_SF_EESI_SY_SJ_SK_SL_EUlSY_E_NS1_11comp_targetILNS1_3genE2ELNS1_11target_archE906ELNS1_3gpuE6ELNS1_3repE0EEENS1_48merge_mergepath_partition_config_static_selectorELNS0_4arch9wavefront6targetE0EEEvSK_.num_agpr, 0
	.set _ZN7rocprim17ROCPRIM_400000_NS6detail17trampoline_kernelINS0_14default_configENS1_38merge_sort_block_merge_config_selectorIyNS0_10empty_typeEEEZZNS1_27merge_sort_block_merge_implIS3_N6thrust23THRUST_200600_302600_NS6detail15normal_iteratorINS9_10device_ptrIyEEEEPS5_m9comp_mod3IyEEE10hipError_tT0_T1_T2_jT3_P12ihipStream_tbPNSt15iterator_traitsISJ_E10value_typeEPNSP_ISK_E10value_typeEPSL_NS1_7vsmem_tEENKUlT_SJ_SK_SL_E_clIPySE_SF_SF_EESI_SY_SJ_SK_SL_EUlSY_E_NS1_11comp_targetILNS1_3genE2ELNS1_11target_archE906ELNS1_3gpuE6ELNS1_3repE0EEENS1_48merge_mergepath_partition_config_static_selectorELNS0_4arch9wavefront6targetE0EEEvSK_.numbered_sgpr, 0
	.set _ZN7rocprim17ROCPRIM_400000_NS6detail17trampoline_kernelINS0_14default_configENS1_38merge_sort_block_merge_config_selectorIyNS0_10empty_typeEEEZZNS1_27merge_sort_block_merge_implIS3_N6thrust23THRUST_200600_302600_NS6detail15normal_iteratorINS9_10device_ptrIyEEEEPS5_m9comp_mod3IyEEE10hipError_tT0_T1_T2_jT3_P12ihipStream_tbPNSt15iterator_traitsISJ_E10value_typeEPNSP_ISK_E10value_typeEPSL_NS1_7vsmem_tEENKUlT_SJ_SK_SL_E_clIPySE_SF_SF_EESI_SY_SJ_SK_SL_EUlSY_E_NS1_11comp_targetILNS1_3genE2ELNS1_11target_archE906ELNS1_3gpuE6ELNS1_3repE0EEENS1_48merge_mergepath_partition_config_static_selectorELNS0_4arch9wavefront6targetE0EEEvSK_.num_named_barrier, 0
	.set _ZN7rocprim17ROCPRIM_400000_NS6detail17trampoline_kernelINS0_14default_configENS1_38merge_sort_block_merge_config_selectorIyNS0_10empty_typeEEEZZNS1_27merge_sort_block_merge_implIS3_N6thrust23THRUST_200600_302600_NS6detail15normal_iteratorINS9_10device_ptrIyEEEEPS5_m9comp_mod3IyEEE10hipError_tT0_T1_T2_jT3_P12ihipStream_tbPNSt15iterator_traitsISJ_E10value_typeEPNSP_ISK_E10value_typeEPSL_NS1_7vsmem_tEENKUlT_SJ_SK_SL_E_clIPySE_SF_SF_EESI_SY_SJ_SK_SL_EUlSY_E_NS1_11comp_targetILNS1_3genE2ELNS1_11target_archE906ELNS1_3gpuE6ELNS1_3repE0EEENS1_48merge_mergepath_partition_config_static_selectorELNS0_4arch9wavefront6targetE0EEEvSK_.private_seg_size, 0
	.set _ZN7rocprim17ROCPRIM_400000_NS6detail17trampoline_kernelINS0_14default_configENS1_38merge_sort_block_merge_config_selectorIyNS0_10empty_typeEEEZZNS1_27merge_sort_block_merge_implIS3_N6thrust23THRUST_200600_302600_NS6detail15normal_iteratorINS9_10device_ptrIyEEEEPS5_m9comp_mod3IyEEE10hipError_tT0_T1_T2_jT3_P12ihipStream_tbPNSt15iterator_traitsISJ_E10value_typeEPNSP_ISK_E10value_typeEPSL_NS1_7vsmem_tEENKUlT_SJ_SK_SL_E_clIPySE_SF_SF_EESI_SY_SJ_SK_SL_EUlSY_E_NS1_11comp_targetILNS1_3genE2ELNS1_11target_archE906ELNS1_3gpuE6ELNS1_3repE0EEENS1_48merge_mergepath_partition_config_static_selectorELNS0_4arch9wavefront6targetE0EEEvSK_.uses_vcc, 0
	.set _ZN7rocprim17ROCPRIM_400000_NS6detail17trampoline_kernelINS0_14default_configENS1_38merge_sort_block_merge_config_selectorIyNS0_10empty_typeEEEZZNS1_27merge_sort_block_merge_implIS3_N6thrust23THRUST_200600_302600_NS6detail15normal_iteratorINS9_10device_ptrIyEEEEPS5_m9comp_mod3IyEEE10hipError_tT0_T1_T2_jT3_P12ihipStream_tbPNSt15iterator_traitsISJ_E10value_typeEPNSP_ISK_E10value_typeEPSL_NS1_7vsmem_tEENKUlT_SJ_SK_SL_E_clIPySE_SF_SF_EESI_SY_SJ_SK_SL_EUlSY_E_NS1_11comp_targetILNS1_3genE2ELNS1_11target_archE906ELNS1_3gpuE6ELNS1_3repE0EEENS1_48merge_mergepath_partition_config_static_selectorELNS0_4arch9wavefront6targetE0EEEvSK_.uses_flat_scratch, 0
	.set _ZN7rocprim17ROCPRIM_400000_NS6detail17trampoline_kernelINS0_14default_configENS1_38merge_sort_block_merge_config_selectorIyNS0_10empty_typeEEEZZNS1_27merge_sort_block_merge_implIS3_N6thrust23THRUST_200600_302600_NS6detail15normal_iteratorINS9_10device_ptrIyEEEEPS5_m9comp_mod3IyEEE10hipError_tT0_T1_T2_jT3_P12ihipStream_tbPNSt15iterator_traitsISJ_E10value_typeEPNSP_ISK_E10value_typeEPSL_NS1_7vsmem_tEENKUlT_SJ_SK_SL_E_clIPySE_SF_SF_EESI_SY_SJ_SK_SL_EUlSY_E_NS1_11comp_targetILNS1_3genE2ELNS1_11target_archE906ELNS1_3gpuE6ELNS1_3repE0EEENS1_48merge_mergepath_partition_config_static_selectorELNS0_4arch9wavefront6targetE0EEEvSK_.has_dyn_sized_stack, 0
	.set _ZN7rocprim17ROCPRIM_400000_NS6detail17trampoline_kernelINS0_14default_configENS1_38merge_sort_block_merge_config_selectorIyNS0_10empty_typeEEEZZNS1_27merge_sort_block_merge_implIS3_N6thrust23THRUST_200600_302600_NS6detail15normal_iteratorINS9_10device_ptrIyEEEEPS5_m9comp_mod3IyEEE10hipError_tT0_T1_T2_jT3_P12ihipStream_tbPNSt15iterator_traitsISJ_E10value_typeEPNSP_ISK_E10value_typeEPSL_NS1_7vsmem_tEENKUlT_SJ_SK_SL_E_clIPySE_SF_SF_EESI_SY_SJ_SK_SL_EUlSY_E_NS1_11comp_targetILNS1_3genE2ELNS1_11target_archE906ELNS1_3gpuE6ELNS1_3repE0EEENS1_48merge_mergepath_partition_config_static_selectorELNS0_4arch9wavefront6targetE0EEEvSK_.has_recursion, 0
	.set _ZN7rocprim17ROCPRIM_400000_NS6detail17trampoline_kernelINS0_14default_configENS1_38merge_sort_block_merge_config_selectorIyNS0_10empty_typeEEEZZNS1_27merge_sort_block_merge_implIS3_N6thrust23THRUST_200600_302600_NS6detail15normal_iteratorINS9_10device_ptrIyEEEEPS5_m9comp_mod3IyEEE10hipError_tT0_T1_T2_jT3_P12ihipStream_tbPNSt15iterator_traitsISJ_E10value_typeEPNSP_ISK_E10value_typeEPSL_NS1_7vsmem_tEENKUlT_SJ_SK_SL_E_clIPySE_SF_SF_EESI_SY_SJ_SK_SL_EUlSY_E_NS1_11comp_targetILNS1_3genE2ELNS1_11target_archE906ELNS1_3gpuE6ELNS1_3repE0EEENS1_48merge_mergepath_partition_config_static_selectorELNS0_4arch9wavefront6targetE0EEEvSK_.has_indirect_call, 0
	.section	.AMDGPU.csdata,"",@progbits
; Kernel info:
; codeLenInByte = 0
; TotalNumSgprs: 0
; NumVgprs: 0
; ScratchSize: 0
; MemoryBound: 0
; FloatMode: 240
; IeeeMode: 1
; LDSByteSize: 0 bytes/workgroup (compile time only)
; SGPRBlocks: 0
; VGPRBlocks: 0
; NumSGPRsForWavesPerEU: 1
; NumVGPRsForWavesPerEU: 1
; Occupancy: 16
; WaveLimiterHint : 0
; COMPUTE_PGM_RSRC2:SCRATCH_EN: 0
; COMPUTE_PGM_RSRC2:USER_SGPR: 6
; COMPUTE_PGM_RSRC2:TRAP_HANDLER: 0
; COMPUTE_PGM_RSRC2:TGID_X_EN: 1
; COMPUTE_PGM_RSRC2:TGID_Y_EN: 0
; COMPUTE_PGM_RSRC2:TGID_Z_EN: 0
; COMPUTE_PGM_RSRC2:TIDIG_COMP_CNT: 0
	.section	.text._ZN7rocprim17ROCPRIM_400000_NS6detail17trampoline_kernelINS0_14default_configENS1_38merge_sort_block_merge_config_selectorIyNS0_10empty_typeEEEZZNS1_27merge_sort_block_merge_implIS3_N6thrust23THRUST_200600_302600_NS6detail15normal_iteratorINS9_10device_ptrIyEEEEPS5_m9comp_mod3IyEEE10hipError_tT0_T1_T2_jT3_P12ihipStream_tbPNSt15iterator_traitsISJ_E10value_typeEPNSP_ISK_E10value_typeEPSL_NS1_7vsmem_tEENKUlT_SJ_SK_SL_E_clIPySE_SF_SF_EESI_SY_SJ_SK_SL_EUlSY_E_NS1_11comp_targetILNS1_3genE9ELNS1_11target_archE1100ELNS1_3gpuE3ELNS1_3repE0EEENS1_48merge_mergepath_partition_config_static_selectorELNS0_4arch9wavefront6targetE0EEEvSK_,"axG",@progbits,_ZN7rocprim17ROCPRIM_400000_NS6detail17trampoline_kernelINS0_14default_configENS1_38merge_sort_block_merge_config_selectorIyNS0_10empty_typeEEEZZNS1_27merge_sort_block_merge_implIS3_N6thrust23THRUST_200600_302600_NS6detail15normal_iteratorINS9_10device_ptrIyEEEEPS5_m9comp_mod3IyEEE10hipError_tT0_T1_T2_jT3_P12ihipStream_tbPNSt15iterator_traitsISJ_E10value_typeEPNSP_ISK_E10value_typeEPSL_NS1_7vsmem_tEENKUlT_SJ_SK_SL_E_clIPySE_SF_SF_EESI_SY_SJ_SK_SL_EUlSY_E_NS1_11comp_targetILNS1_3genE9ELNS1_11target_archE1100ELNS1_3gpuE3ELNS1_3repE0EEENS1_48merge_mergepath_partition_config_static_selectorELNS0_4arch9wavefront6targetE0EEEvSK_,comdat
	.protected	_ZN7rocprim17ROCPRIM_400000_NS6detail17trampoline_kernelINS0_14default_configENS1_38merge_sort_block_merge_config_selectorIyNS0_10empty_typeEEEZZNS1_27merge_sort_block_merge_implIS3_N6thrust23THRUST_200600_302600_NS6detail15normal_iteratorINS9_10device_ptrIyEEEEPS5_m9comp_mod3IyEEE10hipError_tT0_T1_T2_jT3_P12ihipStream_tbPNSt15iterator_traitsISJ_E10value_typeEPNSP_ISK_E10value_typeEPSL_NS1_7vsmem_tEENKUlT_SJ_SK_SL_E_clIPySE_SF_SF_EESI_SY_SJ_SK_SL_EUlSY_E_NS1_11comp_targetILNS1_3genE9ELNS1_11target_archE1100ELNS1_3gpuE3ELNS1_3repE0EEENS1_48merge_mergepath_partition_config_static_selectorELNS0_4arch9wavefront6targetE0EEEvSK_ ; -- Begin function _ZN7rocprim17ROCPRIM_400000_NS6detail17trampoline_kernelINS0_14default_configENS1_38merge_sort_block_merge_config_selectorIyNS0_10empty_typeEEEZZNS1_27merge_sort_block_merge_implIS3_N6thrust23THRUST_200600_302600_NS6detail15normal_iteratorINS9_10device_ptrIyEEEEPS5_m9comp_mod3IyEEE10hipError_tT0_T1_T2_jT3_P12ihipStream_tbPNSt15iterator_traitsISJ_E10value_typeEPNSP_ISK_E10value_typeEPSL_NS1_7vsmem_tEENKUlT_SJ_SK_SL_E_clIPySE_SF_SF_EESI_SY_SJ_SK_SL_EUlSY_E_NS1_11comp_targetILNS1_3genE9ELNS1_11target_archE1100ELNS1_3gpuE3ELNS1_3repE0EEENS1_48merge_mergepath_partition_config_static_selectorELNS0_4arch9wavefront6targetE0EEEvSK_
	.globl	_ZN7rocprim17ROCPRIM_400000_NS6detail17trampoline_kernelINS0_14default_configENS1_38merge_sort_block_merge_config_selectorIyNS0_10empty_typeEEEZZNS1_27merge_sort_block_merge_implIS3_N6thrust23THRUST_200600_302600_NS6detail15normal_iteratorINS9_10device_ptrIyEEEEPS5_m9comp_mod3IyEEE10hipError_tT0_T1_T2_jT3_P12ihipStream_tbPNSt15iterator_traitsISJ_E10value_typeEPNSP_ISK_E10value_typeEPSL_NS1_7vsmem_tEENKUlT_SJ_SK_SL_E_clIPySE_SF_SF_EESI_SY_SJ_SK_SL_EUlSY_E_NS1_11comp_targetILNS1_3genE9ELNS1_11target_archE1100ELNS1_3gpuE3ELNS1_3repE0EEENS1_48merge_mergepath_partition_config_static_selectorELNS0_4arch9wavefront6targetE0EEEvSK_
	.p2align	8
	.type	_ZN7rocprim17ROCPRIM_400000_NS6detail17trampoline_kernelINS0_14default_configENS1_38merge_sort_block_merge_config_selectorIyNS0_10empty_typeEEEZZNS1_27merge_sort_block_merge_implIS3_N6thrust23THRUST_200600_302600_NS6detail15normal_iteratorINS9_10device_ptrIyEEEEPS5_m9comp_mod3IyEEE10hipError_tT0_T1_T2_jT3_P12ihipStream_tbPNSt15iterator_traitsISJ_E10value_typeEPNSP_ISK_E10value_typeEPSL_NS1_7vsmem_tEENKUlT_SJ_SK_SL_E_clIPySE_SF_SF_EESI_SY_SJ_SK_SL_EUlSY_E_NS1_11comp_targetILNS1_3genE9ELNS1_11target_archE1100ELNS1_3gpuE3ELNS1_3repE0EEENS1_48merge_mergepath_partition_config_static_selectorELNS0_4arch9wavefront6targetE0EEEvSK_,@function
_ZN7rocprim17ROCPRIM_400000_NS6detail17trampoline_kernelINS0_14default_configENS1_38merge_sort_block_merge_config_selectorIyNS0_10empty_typeEEEZZNS1_27merge_sort_block_merge_implIS3_N6thrust23THRUST_200600_302600_NS6detail15normal_iteratorINS9_10device_ptrIyEEEEPS5_m9comp_mod3IyEEE10hipError_tT0_T1_T2_jT3_P12ihipStream_tbPNSt15iterator_traitsISJ_E10value_typeEPNSP_ISK_E10value_typeEPSL_NS1_7vsmem_tEENKUlT_SJ_SK_SL_E_clIPySE_SF_SF_EESI_SY_SJ_SK_SL_EUlSY_E_NS1_11comp_targetILNS1_3genE9ELNS1_11target_archE1100ELNS1_3gpuE3ELNS1_3repE0EEENS1_48merge_mergepath_partition_config_static_selectorELNS0_4arch9wavefront6targetE0EEEvSK_: ; @_ZN7rocprim17ROCPRIM_400000_NS6detail17trampoline_kernelINS0_14default_configENS1_38merge_sort_block_merge_config_selectorIyNS0_10empty_typeEEEZZNS1_27merge_sort_block_merge_implIS3_N6thrust23THRUST_200600_302600_NS6detail15normal_iteratorINS9_10device_ptrIyEEEEPS5_m9comp_mod3IyEEE10hipError_tT0_T1_T2_jT3_P12ihipStream_tbPNSt15iterator_traitsISJ_E10value_typeEPNSP_ISK_E10value_typeEPSL_NS1_7vsmem_tEENKUlT_SJ_SK_SL_E_clIPySE_SF_SF_EESI_SY_SJ_SK_SL_EUlSY_E_NS1_11comp_targetILNS1_3genE9ELNS1_11target_archE1100ELNS1_3gpuE3ELNS1_3repE0EEENS1_48merge_mergepath_partition_config_static_selectorELNS0_4arch9wavefront6targetE0EEEvSK_
; %bb.0:
	.section	.rodata,"a",@progbits
	.p2align	6, 0x0
	.amdhsa_kernel _ZN7rocprim17ROCPRIM_400000_NS6detail17trampoline_kernelINS0_14default_configENS1_38merge_sort_block_merge_config_selectorIyNS0_10empty_typeEEEZZNS1_27merge_sort_block_merge_implIS3_N6thrust23THRUST_200600_302600_NS6detail15normal_iteratorINS9_10device_ptrIyEEEEPS5_m9comp_mod3IyEEE10hipError_tT0_T1_T2_jT3_P12ihipStream_tbPNSt15iterator_traitsISJ_E10value_typeEPNSP_ISK_E10value_typeEPSL_NS1_7vsmem_tEENKUlT_SJ_SK_SL_E_clIPySE_SF_SF_EESI_SY_SJ_SK_SL_EUlSY_E_NS1_11comp_targetILNS1_3genE9ELNS1_11target_archE1100ELNS1_3gpuE3ELNS1_3repE0EEENS1_48merge_mergepath_partition_config_static_selectorELNS0_4arch9wavefront6targetE0EEEvSK_
		.amdhsa_group_segment_fixed_size 0
		.amdhsa_private_segment_fixed_size 0
		.amdhsa_kernarg_size 48
		.amdhsa_user_sgpr_count 6
		.amdhsa_user_sgpr_private_segment_buffer 1
		.amdhsa_user_sgpr_dispatch_ptr 0
		.amdhsa_user_sgpr_queue_ptr 0
		.amdhsa_user_sgpr_kernarg_segment_ptr 1
		.amdhsa_user_sgpr_dispatch_id 0
		.amdhsa_user_sgpr_flat_scratch_init 0
		.amdhsa_user_sgpr_private_segment_size 0
		.amdhsa_wavefront_size32 1
		.amdhsa_uses_dynamic_stack 0
		.amdhsa_system_sgpr_private_segment_wavefront_offset 0
		.amdhsa_system_sgpr_workgroup_id_x 1
		.amdhsa_system_sgpr_workgroup_id_y 0
		.amdhsa_system_sgpr_workgroup_id_z 0
		.amdhsa_system_sgpr_workgroup_info 0
		.amdhsa_system_vgpr_workitem_id 0
		.amdhsa_next_free_vgpr 1
		.amdhsa_next_free_sgpr 1
		.amdhsa_reserve_vcc 0
		.amdhsa_reserve_flat_scratch 0
		.amdhsa_float_round_mode_32 0
		.amdhsa_float_round_mode_16_64 0
		.amdhsa_float_denorm_mode_32 3
		.amdhsa_float_denorm_mode_16_64 3
		.amdhsa_dx10_clamp 1
		.amdhsa_ieee_mode 1
		.amdhsa_fp16_overflow 0
		.amdhsa_workgroup_processor_mode 1
		.amdhsa_memory_ordered 1
		.amdhsa_forward_progress 1
		.amdhsa_shared_vgpr_count 0
		.amdhsa_exception_fp_ieee_invalid_op 0
		.amdhsa_exception_fp_denorm_src 0
		.amdhsa_exception_fp_ieee_div_zero 0
		.amdhsa_exception_fp_ieee_overflow 0
		.amdhsa_exception_fp_ieee_underflow 0
		.amdhsa_exception_fp_ieee_inexact 0
		.amdhsa_exception_int_div_zero 0
	.end_amdhsa_kernel
	.section	.text._ZN7rocprim17ROCPRIM_400000_NS6detail17trampoline_kernelINS0_14default_configENS1_38merge_sort_block_merge_config_selectorIyNS0_10empty_typeEEEZZNS1_27merge_sort_block_merge_implIS3_N6thrust23THRUST_200600_302600_NS6detail15normal_iteratorINS9_10device_ptrIyEEEEPS5_m9comp_mod3IyEEE10hipError_tT0_T1_T2_jT3_P12ihipStream_tbPNSt15iterator_traitsISJ_E10value_typeEPNSP_ISK_E10value_typeEPSL_NS1_7vsmem_tEENKUlT_SJ_SK_SL_E_clIPySE_SF_SF_EESI_SY_SJ_SK_SL_EUlSY_E_NS1_11comp_targetILNS1_3genE9ELNS1_11target_archE1100ELNS1_3gpuE3ELNS1_3repE0EEENS1_48merge_mergepath_partition_config_static_selectorELNS0_4arch9wavefront6targetE0EEEvSK_,"axG",@progbits,_ZN7rocprim17ROCPRIM_400000_NS6detail17trampoline_kernelINS0_14default_configENS1_38merge_sort_block_merge_config_selectorIyNS0_10empty_typeEEEZZNS1_27merge_sort_block_merge_implIS3_N6thrust23THRUST_200600_302600_NS6detail15normal_iteratorINS9_10device_ptrIyEEEEPS5_m9comp_mod3IyEEE10hipError_tT0_T1_T2_jT3_P12ihipStream_tbPNSt15iterator_traitsISJ_E10value_typeEPNSP_ISK_E10value_typeEPSL_NS1_7vsmem_tEENKUlT_SJ_SK_SL_E_clIPySE_SF_SF_EESI_SY_SJ_SK_SL_EUlSY_E_NS1_11comp_targetILNS1_3genE9ELNS1_11target_archE1100ELNS1_3gpuE3ELNS1_3repE0EEENS1_48merge_mergepath_partition_config_static_selectorELNS0_4arch9wavefront6targetE0EEEvSK_,comdat
.Lfunc_end765:
	.size	_ZN7rocprim17ROCPRIM_400000_NS6detail17trampoline_kernelINS0_14default_configENS1_38merge_sort_block_merge_config_selectorIyNS0_10empty_typeEEEZZNS1_27merge_sort_block_merge_implIS3_N6thrust23THRUST_200600_302600_NS6detail15normal_iteratorINS9_10device_ptrIyEEEEPS5_m9comp_mod3IyEEE10hipError_tT0_T1_T2_jT3_P12ihipStream_tbPNSt15iterator_traitsISJ_E10value_typeEPNSP_ISK_E10value_typeEPSL_NS1_7vsmem_tEENKUlT_SJ_SK_SL_E_clIPySE_SF_SF_EESI_SY_SJ_SK_SL_EUlSY_E_NS1_11comp_targetILNS1_3genE9ELNS1_11target_archE1100ELNS1_3gpuE3ELNS1_3repE0EEENS1_48merge_mergepath_partition_config_static_selectorELNS0_4arch9wavefront6targetE0EEEvSK_, .Lfunc_end765-_ZN7rocprim17ROCPRIM_400000_NS6detail17trampoline_kernelINS0_14default_configENS1_38merge_sort_block_merge_config_selectorIyNS0_10empty_typeEEEZZNS1_27merge_sort_block_merge_implIS3_N6thrust23THRUST_200600_302600_NS6detail15normal_iteratorINS9_10device_ptrIyEEEEPS5_m9comp_mod3IyEEE10hipError_tT0_T1_T2_jT3_P12ihipStream_tbPNSt15iterator_traitsISJ_E10value_typeEPNSP_ISK_E10value_typeEPSL_NS1_7vsmem_tEENKUlT_SJ_SK_SL_E_clIPySE_SF_SF_EESI_SY_SJ_SK_SL_EUlSY_E_NS1_11comp_targetILNS1_3genE9ELNS1_11target_archE1100ELNS1_3gpuE3ELNS1_3repE0EEENS1_48merge_mergepath_partition_config_static_selectorELNS0_4arch9wavefront6targetE0EEEvSK_
                                        ; -- End function
	.set _ZN7rocprim17ROCPRIM_400000_NS6detail17trampoline_kernelINS0_14default_configENS1_38merge_sort_block_merge_config_selectorIyNS0_10empty_typeEEEZZNS1_27merge_sort_block_merge_implIS3_N6thrust23THRUST_200600_302600_NS6detail15normal_iteratorINS9_10device_ptrIyEEEEPS5_m9comp_mod3IyEEE10hipError_tT0_T1_T2_jT3_P12ihipStream_tbPNSt15iterator_traitsISJ_E10value_typeEPNSP_ISK_E10value_typeEPSL_NS1_7vsmem_tEENKUlT_SJ_SK_SL_E_clIPySE_SF_SF_EESI_SY_SJ_SK_SL_EUlSY_E_NS1_11comp_targetILNS1_3genE9ELNS1_11target_archE1100ELNS1_3gpuE3ELNS1_3repE0EEENS1_48merge_mergepath_partition_config_static_selectorELNS0_4arch9wavefront6targetE0EEEvSK_.num_vgpr, 0
	.set _ZN7rocprim17ROCPRIM_400000_NS6detail17trampoline_kernelINS0_14default_configENS1_38merge_sort_block_merge_config_selectorIyNS0_10empty_typeEEEZZNS1_27merge_sort_block_merge_implIS3_N6thrust23THRUST_200600_302600_NS6detail15normal_iteratorINS9_10device_ptrIyEEEEPS5_m9comp_mod3IyEEE10hipError_tT0_T1_T2_jT3_P12ihipStream_tbPNSt15iterator_traitsISJ_E10value_typeEPNSP_ISK_E10value_typeEPSL_NS1_7vsmem_tEENKUlT_SJ_SK_SL_E_clIPySE_SF_SF_EESI_SY_SJ_SK_SL_EUlSY_E_NS1_11comp_targetILNS1_3genE9ELNS1_11target_archE1100ELNS1_3gpuE3ELNS1_3repE0EEENS1_48merge_mergepath_partition_config_static_selectorELNS0_4arch9wavefront6targetE0EEEvSK_.num_agpr, 0
	.set _ZN7rocprim17ROCPRIM_400000_NS6detail17trampoline_kernelINS0_14default_configENS1_38merge_sort_block_merge_config_selectorIyNS0_10empty_typeEEEZZNS1_27merge_sort_block_merge_implIS3_N6thrust23THRUST_200600_302600_NS6detail15normal_iteratorINS9_10device_ptrIyEEEEPS5_m9comp_mod3IyEEE10hipError_tT0_T1_T2_jT3_P12ihipStream_tbPNSt15iterator_traitsISJ_E10value_typeEPNSP_ISK_E10value_typeEPSL_NS1_7vsmem_tEENKUlT_SJ_SK_SL_E_clIPySE_SF_SF_EESI_SY_SJ_SK_SL_EUlSY_E_NS1_11comp_targetILNS1_3genE9ELNS1_11target_archE1100ELNS1_3gpuE3ELNS1_3repE0EEENS1_48merge_mergepath_partition_config_static_selectorELNS0_4arch9wavefront6targetE0EEEvSK_.numbered_sgpr, 0
	.set _ZN7rocprim17ROCPRIM_400000_NS6detail17trampoline_kernelINS0_14default_configENS1_38merge_sort_block_merge_config_selectorIyNS0_10empty_typeEEEZZNS1_27merge_sort_block_merge_implIS3_N6thrust23THRUST_200600_302600_NS6detail15normal_iteratorINS9_10device_ptrIyEEEEPS5_m9comp_mod3IyEEE10hipError_tT0_T1_T2_jT3_P12ihipStream_tbPNSt15iterator_traitsISJ_E10value_typeEPNSP_ISK_E10value_typeEPSL_NS1_7vsmem_tEENKUlT_SJ_SK_SL_E_clIPySE_SF_SF_EESI_SY_SJ_SK_SL_EUlSY_E_NS1_11comp_targetILNS1_3genE9ELNS1_11target_archE1100ELNS1_3gpuE3ELNS1_3repE0EEENS1_48merge_mergepath_partition_config_static_selectorELNS0_4arch9wavefront6targetE0EEEvSK_.num_named_barrier, 0
	.set _ZN7rocprim17ROCPRIM_400000_NS6detail17trampoline_kernelINS0_14default_configENS1_38merge_sort_block_merge_config_selectorIyNS0_10empty_typeEEEZZNS1_27merge_sort_block_merge_implIS3_N6thrust23THRUST_200600_302600_NS6detail15normal_iteratorINS9_10device_ptrIyEEEEPS5_m9comp_mod3IyEEE10hipError_tT0_T1_T2_jT3_P12ihipStream_tbPNSt15iterator_traitsISJ_E10value_typeEPNSP_ISK_E10value_typeEPSL_NS1_7vsmem_tEENKUlT_SJ_SK_SL_E_clIPySE_SF_SF_EESI_SY_SJ_SK_SL_EUlSY_E_NS1_11comp_targetILNS1_3genE9ELNS1_11target_archE1100ELNS1_3gpuE3ELNS1_3repE0EEENS1_48merge_mergepath_partition_config_static_selectorELNS0_4arch9wavefront6targetE0EEEvSK_.private_seg_size, 0
	.set _ZN7rocprim17ROCPRIM_400000_NS6detail17trampoline_kernelINS0_14default_configENS1_38merge_sort_block_merge_config_selectorIyNS0_10empty_typeEEEZZNS1_27merge_sort_block_merge_implIS3_N6thrust23THRUST_200600_302600_NS6detail15normal_iteratorINS9_10device_ptrIyEEEEPS5_m9comp_mod3IyEEE10hipError_tT0_T1_T2_jT3_P12ihipStream_tbPNSt15iterator_traitsISJ_E10value_typeEPNSP_ISK_E10value_typeEPSL_NS1_7vsmem_tEENKUlT_SJ_SK_SL_E_clIPySE_SF_SF_EESI_SY_SJ_SK_SL_EUlSY_E_NS1_11comp_targetILNS1_3genE9ELNS1_11target_archE1100ELNS1_3gpuE3ELNS1_3repE0EEENS1_48merge_mergepath_partition_config_static_selectorELNS0_4arch9wavefront6targetE0EEEvSK_.uses_vcc, 0
	.set _ZN7rocprim17ROCPRIM_400000_NS6detail17trampoline_kernelINS0_14default_configENS1_38merge_sort_block_merge_config_selectorIyNS0_10empty_typeEEEZZNS1_27merge_sort_block_merge_implIS3_N6thrust23THRUST_200600_302600_NS6detail15normal_iteratorINS9_10device_ptrIyEEEEPS5_m9comp_mod3IyEEE10hipError_tT0_T1_T2_jT3_P12ihipStream_tbPNSt15iterator_traitsISJ_E10value_typeEPNSP_ISK_E10value_typeEPSL_NS1_7vsmem_tEENKUlT_SJ_SK_SL_E_clIPySE_SF_SF_EESI_SY_SJ_SK_SL_EUlSY_E_NS1_11comp_targetILNS1_3genE9ELNS1_11target_archE1100ELNS1_3gpuE3ELNS1_3repE0EEENS1_48merge_mergepath_partition_config_static_selectorELNS0_4arch9wavefront6targetE0EEEvSK_.uses_flat_scratch, 0
	.set _ZN7rocprim17ROCPRIM_400000_NS6detail17trampoline_kernelINS0_14default_configENS1_38merge_sort_block_merge_config_selectorIyNS0_10empty_typeEEEZZNS1_27merge_sort_block_merge_implIS3_N6thrust23THRUST_200600_302600_NS6detail15normal_iteratorINS9_10device_ptrIyEEEEPS5_m9comp_mod3IyEEE10hipError_tT0_T1_T2_jT3_P12ihipStream_tbPNSt15iterator_traitsISJ_E10value_typeEPNSP_ISK_E10value_typeEPSL_NS1_7vsmem_tEENKUlT_SJ_SK_SL_E_clIPySE_SF_SF_EESI_SY_SJ_SK_SL_EUlSY_E_NS1_11comp_targetILNS1_3genE9ELNS1_11target_archE1100ELNS1_3gpuE3ELNS1_3repE0EEENS1_48merge_mergepath_partition_config_static_selectorELNS0_4arch9wavefront6targetE0EEEvSK_.has_dyn_sized_stack, 0
	.set _ZN7rocprim17ROCPRIM_400000_NS6detail17trampoline_kernelINS0_14default_configENS1_38merge_sort_block_merge_config_selectorIyNS0_10empty_typeEEEZZNS1_27merge_sort_block_merge_implIS3_N6thrust23THRUST_200600_302600_NS6detail15normal_iteratorINS9_10device_ptrIyEEEEPS5_m9comp_mod3IyEEE10hipError_tT0_T1_T2_jT3_P12ihipStream_tbPNSt15iterator_traitsISJ_E10value_typeEPNSP_ISK_E10value_typeEPSL_NS1_7vsmem_tEENKUlT_SJ_SK_SL_E_clIPySE_SF_SF_EESI_SY_SJ_SK_SL_EUlSY_E_NS1_11comp_targetILNS1_3genE9ELNS1_11target_archE1100ELNS1_3gpuE3ELNS1_3repE0EEENS1_48merge_mergepath_partition_config_static_selectorELNS0_4arch9wavefront6targetE0EEEvSK_.has_recursion, 0
	.set _ZN7rocprim17ROCPRIM_400000_NS6detail17trampoline_kernelINS0_14default_configENS1_38merge_sort_block_merge_config_selectorIyNS0_10empty_typeEEEZZNS1_27merge_sort_block_merge_implIS3_N6thrust23THRUST_200600_302600_NS6detail15normal_iteratorINS9_10device_ptrIyEEEEPS5_m9comp_mod3IyEEE10hipError_tT0_T1_T2_jT3_P12ihipStream_tbPNSt15iterator_traitsISJ_E10value_typeEPNSP_ISK_E10value_typeEPSL_NS1_7vsmem_tEENKUlT_SJ_SK_SL_E_clIPySE_SF_SF_EESI_SY_SJ_SK_SL_EUlSY_E_NS1_11comp_targetILNS1_3genE9ELNS1_11target_archE1100ELNS1_3gpuE3ELNS1_3repE0EEENS1_48merge_mergepath_partition_config_static_selectorELNS0_4arch9wavefront6targetE0EEEvSK_.has_indirect_call, 0
	.section	.AMDGPU.csdata,"",@progbits
; Kernel info:
; codeLenInByte = 0
; TotalNumSgprs: 0
; NumVgprs: 0
; ScratchSize: 0
; MemoryBound: 0
; FloatMode: 240
; IeeeMode: 1
; LDSByteSize: 0 bytes/workgroup (compile time only)
; SGPRBlocks: 0
; VGPRBlocks: 0
; NumSGPRsForWavesPerEU: 1
; NumVGPRsForWavesPerEU: 1
; Occupancy: 16
; WaveLimiterHint : 0
; COMPUTE_PGM_RSRC2:SCRATCH_EN: 0
; COMPUTE_PGM_RSRC2:USER_SGPR: 6
; COMPUTE_PGM_RSRC2:TRAP_HANDLER: 0
; COMPUTE_PGM_RSRC2:TGID_X_EN: 1
; COMPUTE_PGM_RSRC2:TGID_Y_EN: 0
; COMPUTE_PGM_RSRC2:TGID_Z_EN: 0
; COMPUTE_PGM_RSRC2:TIDIG_COMP_CNT: 0
	.section	.text._ZN7rocprim17ROCPRIM_400000_NS6detail17trampoline_kernelINS0_14default_configENS1_38merge_sort_block_merge_config_selectorIyNS0_10empty_typeEEEZZNS1_27merge_sort_block_merge_implIS3_N6thrust23THRUST_200600_302600_NS6detail15normal_iteratorINS9_10device_ptrIyEEEEPS5_m9comp_mod3IyEEE10hipError_tT0_T1_T2_jT3_P12ihipStream_tbPNSt15iterator_traitsISJ_E10value_typeEPNSP_ISK_E10value_typeEPSL_NS1_7vsmem_tEENKUlT_SJ_SK_SL_E_clIPySE_SF_SF_EESI_SY_SJ_SK_SL_EUlSY_E_NS1_11comp_targetILNS1_3genE8ELNS1_11target_archE1030ELNS1_3gpuE2ELNS1_3repE0EEENS1_48merge_mergepath_partition_config_static_selectorELNS0_4arch9wavefront6targetE0EEEvSK_,"axG",@progbits,_ZN7rocprim17ROCPRIM_400000_NS6detail17trampoline_kernelINS0_14default_configENS1_38merge_sort_block_merge_config_selectorIyNS0_10empty_typeEEEZZNS1_27merge_sort_block_merge_implIS3_N6thrust23THRUST_200600_302600_NS6detail15normal_iteratorINS9_10device_ptrIyEEEEPS5_m9comp_mod3IyEEE10hipError_tT0_T1_T2_jT3_P12ihipStream_tbPNSt15iterator_traitsISJ_E10value_typeEPNSP_ISK_E10value_typeEPSL_NS1_7vsmem_tEENKUlT_SJ_SK_SL_E_clIPySE_SF_SF_EESI_SY_SJ_SK_SL_EUlSY_E_NS1_11comp_targetILNS1_3genE8ELNS1_11target_archE1030ELNS1_3gpuE2ELNS1_3repE0EEENS1_48merge_mergepath_partition_config_static_selectorELNS0_4arch9wavefront6targetE0EEEvSK_,comdat
	.protected	_ZN7rocprim17ROCPRIM_400000_NS6detail17trampoline_kernelINS0_14default_configENS1_38merge_sort_block_merge_config_selectorIyNS0_10empty_typeEEEZZNS1_27merge_sort_block_merge_implIS3_N6thrust23THRUST_200600_302600_NS6detail15normal_iteratorINS9_10device_ptrIyEEEEPS5_m9comp_mod3IyEEE10hipError_tT0_T1_T2_jT3_P12ihipStream_tbPNSt15iterator_traitsISJ_E10value_typeEPNSP_ISK_E10value_typeEPSL_NS1_7vsmem_tEENKUlT_SJ_SK_SL_E_clIPySE_SF_SF_EESI_SY_SJ_SK_SL_EUlSY_E_NS1_11comp_targetILNS1_3genE8ELNS1_11target_archE1030ELNS1_3gpuE2ELNS1_3repE0EEENS1_48merge_mergepath_partition_config_static_selectorELNS0_4arch9wavefront6targetE0EEEvSK_ ; -- Begin function _ZN7rocprim17ROCPRIM_400000_NS6detail17trampoline_kernelINS0_14default_configENS1_38merge_sort_block_merge_config_selectorIyNS0_10empty_typeEEEZZNS1_27merge_sort_block_merge_implIS3_N6thrust23THRUST_200600_302600_NS6detail15normal_iteratorINS9_10device_ptrIyEEEEPS5_m9comp_mod3IyEEE10hipError_tT0_T1_T2_jT3_P12ihipStream_tbPNSt15iterator_traitsISJ_E10value_typeEPNSP_ISK_E10value_typeEPSL_NS1_7vsmem_tEENKUlT_SJ_SK_SL_E_clIPySE_SF_SF_EESI_SY_SJ_SK_SL_EUlSY_E_NS1_11comp_targetILNS1_3genE8ELNS1_11target_archE1030ELNS1_3gpuE2ELNS1_3repE0EEENS1_48merge_mergepath_partition_config_static_selectorELNS0_4arch9wavefront6targetE0EEEvSK_
	.globl	_ZN7rocprim17ROCPRIM_400000_NS6detail17trampoline_kernelINS0_14default_configENS1_38merge_sort_block_merge_config_selectorIyNS0_10empty_typeEEEZZNS1_27merge_sort_block_merge_implIS3_N6thrust23THRUST_200600_302600_NS6detail15normal_iteratorINS9_10device_ptrIyEEEEPS5_m9comp_mod3IyEEE10hipError_tT0_T1_T2_jT3_P12ihipStream_tbPNSt15iterator_traitsISJ_E10value_typeEPNSP_ISK_E10value_typeEPSL_NS1_7vsmem_tEENKUlT_SJ_SK_SL_E_clIPySE_SF_SF_EESI_SY_SJ_SK_SL_EUlSY_E_NS1_11comp_targetILNS1_3genE8ELNS1_11target_archE1030ELNS1_3gpuE2ELNS1_3repE0EEENS1_48merge_mergepath_partition_config_static_selectorELNS0_4arch9wavefront6targetE0EEEvSK_
	.p2align	8
	.type	_ZN7rocprim17ROCPRIM_400000_NS6detail17trampoline_kernelINS0_14default_configENS1_38merge_sort_block_merge_config_selectorIyNS0_10empty_typeEEEZZNS1_27merge_sort_block_merge_implIS3_N6thrust23THRUST_200600_302600_NS6detail15normal_iteratorINS9_10device_ptrIyEEEEPS5_m9comp_mod3IyEEE10hipError_tT0_T1_T2_jT3_P12ihipStream_tbPNSt15iterator_traitsISJ_E10value_typeEPNSP_ISK_E10value_typeEPSL_NS1_7vsmem_tEENKUlT_SJ_SK_SL_E_clIPySE_SF_SF_EESI_SY_SJ_SK_SL_EUlSY_E_NS1_11comp_targetILNS1_3genE8ELNS1_11target_archE1030ELNS1_3gpuE2ELNS1_3repE0EEENS1_48merge_mergepath_partition_config_static_selectorELNS0_4arch9wavefront6targetE0EEEvSK_,@function
_ZN7rocprim17ROCPRIM_400000_NS6detail17trampoline_kernelINS0_14default_configENS1_38merge_sort_block_merge_config_selectorIyNS0_10empty_typeEEEZZNS1_27merge_sort_block_merge_implIS3_N6thrust23THRUST_200600_302600_NS6detail15normal_iteratorINS9_10device_ptrIyEEEEPS5_m9comp_mod3IyEEE10hipError_tT0_T1_T2_jT3_P12ihipStream_tbPNSt15iterator_traitsISJ_E10value_typeEPNSP_ISK_E10value_typeEPSL_NS1_7vsmem_tEENKUlT_SJ_SK_SL_E_clIPySE_SF_SF_EESI_SY_SJ_SK_SL_EUlSY_E_NS1_11comp_targetILNS1_3genE8ELNS1_11target_archE1030ELNS1_3gpuE2ELNS1_3repE0EEENS1_48merge_mergepath_partition_config_static_selectorELNS0_4arch9wavefront6targetE0EEEvSK_: ; @_ZN7rocprim17ROCPRIM_400000_NS6detail17trampoline_kernelINS0_14default_configENS1_38merge_sort_block_merge_config_selectorIyNS0_10empty_typeEEEZZNS1_27merge_sort_block_merge_implIS3_N6thrust23THRUST_200600_302600_NS6detail15normal_iteratorINS9_10device_ptrIyEEEEPS5_m9comp_mod3IyEEE10hipError_tT0_T1_T2_jT3_P12ihipStream_tbPNSt15iterator_traitsISJ_E10value_typeEPNSP_ISK_E10value_typeEPSL_NS1_7vsmem_tEENKUlT_SJ_SK_SL_E_clIPySE_SF_SF_EESI_SY_SJ_SK_SL_EUlSY_E_NS1_11comp_targetILNS1_3genE8ELNS1_11target_archE1030ELNS1_3gpuE2ELNS1_3repE0EEENS1_48merge_mergepath_partition_config_static_selectorELNS0_4arch9wavefront6targetE0EEEvSK_
; %bb.0:
	s_load_dword s0, s[4:5], 0x0
	v_lshl_or_b32 v0, s6, 7, v0
	s_waitcnt lgkmcnt(0)
	v_cmp_gt_u32_e32 vcc_lo, s0, v0
	s_and_saveexec_b32 s0, vcc_lo
	s_cbranch_execz .LBB766_6
; %bb.1:
	s_load_dwordx8 s[8:15], s[4:5], 0x8
	v_mov_b32_e32 v1, 0
	s_load_dwordx2 s[2:3], s[4:5], 0x28
	s_mov_b32 s4, 0
	v_mov_b32_e32 v3, v1
	v_mov_b32_e32 v8, v1
	s_waitcnt lgkmcnt(0)
	s_lshr_b64 s[0:1], s[8:9], 9
	s_and_b32 s0, s0, -2
	s_sub_i32 s1, 0, s0
	v_and_b32_e32 v2, s1, v0
	s_add_i32 s1, s0, -1
	v_and_b32_e32 v7, s1, v0
	s_mov_b32 s1, exec_lo
	v_lshlrev_b64 v[2:3], 10, v[2:3]
	v_add_co_u32 v4, vcc_lo, v2, s8
	v_add_co_ci_u32_e64 v5, null, s9, v3, vcc_lo
	v_cmp_lt_u64_e32 vcc_lo, s[10:11], v[4:5]
	v_cndmask_b32_e64 v9, v4, s10, vcc_lo
	v_cndmask_b32_e64 v10, v5, s11, vcc_lo
	v_add_co_u32 v5, vcc_lo, v9, s8
	v_add_co_ci_u32_e64 v6, null, s9, v10, vcc_lo
	v_cmp_lt_u64_e32 vcc_lo, s[10:11], v[2:3]
	v_cmp_lt_u64_e64 s0, s[10:11], v[5:6]
	v_cndmask_b32_e64 v4, v3, s11, vcc_lo
	v_cndmask_b32_e64 v3, v2, s10, vcc_lo
	v_cndmask_b32_e64 v13, v5, s10, s0
	v_cndmask_b32_e64 v2, v6, s11, s0
	v_lshlrev_b64 v[5:6], 10, v[7:8]
	v_sub_co_u32 v7, vcc_lo, v13, v3
	v_sub_co_ci_u32_e64 v8, null, v2, v4, vcc_lo
	v_cmp_lt_u64_e32 vcc_lo, v[7:8], v[5:6]
	v_cndmask_b32_e32 v12, v6, v8, vcc_lo
	v_cndmask_b32_e32 v11, v5, v7, vcc_lo
	v_sub_co_u32 v5, vcc_lo, v9, v13
	v_sub_co_ci_u32_e64 v2, null, v10, v2, vcc_lo
	v_add_co_u32 v5, vcc_lo, v11, v5
	v_add_co_ci_u32_e64 v6, null, v12, v2, vcc_lo
	v_sub_co_u32 v7, vcc_lo, v9, v3
	v_sub_co_ci_u32_e64 v8, null, v10, v4, vcc_lo
	v_cmp_gt_u64_e32 vcc_lo, v[5:6], v[11:12]
	v_cmp_lt_u64_e64 s0, v[11:12], v[7:8]
	v_cndmask_b32_e64 v6, v6, 0, vcc_lo
	v_cndmask_b32_e64 v5, v5, 0, vcc_lo
	v_cndmask_b32_e64 v8, v8, v12, s0
	v_cndmask_b32_e64 v7, v7, v11, s0
	v_cmpx_lt_u64_e64 v[5:6], v[7:8]
	s_cbranch_execz .LBB766_5
; %bb.2:
	v_lshlrev_b64 v[9:10], 3, v[9:10]
	v_lshlrev_b64 v[13:14], 3, v[3:4]
	;; [unrolled: 1-line block ×3, first 2 shown]
	v_add_co_u32 v2, vcc_lo, s12, v9
	v_add_co_ci_u32_e64 v15, null, s13, v10, vcc_lo
	v_add_co_u32 v9, vcc_lo, s12, v13
	v_add_co_ci_u32_e64 v10, null, s13, v14, vcc_lo
	;; [unrolled: 2-line block ×3, first 2 shown]
.LBB766_3:                              ; =>This Inner Loop Header: Depth=1
	v_add_co_u32 v13, vcc_lo, v7, v5
	v_add_co_ci_u32_e64 v14, null, v8, v6, vcc_lo
	v_lshrrev_b64 v[13:14], 1, v[13:14]
	v_lshlrev_b64 v[15:16], 3, v[13:14]
	v_xor_b32_e32 v2, -8, v15
	v_xor_b32_e32 v18, -1, v16
	v_add_co_u32 v17, vcc_lo, v11, v2
	v_add_co_ci_u32_e64 v18, null, v12, v18, vcc_lo
	v_add_co_u32 v15, vcc_lo, v9, v15
	v_add_co_ci_u32_e64 v16, null, v10, v16, vcc_lo
	global_load_dword v2, v[17:18], off
	s_waitcnt vmcnt(0)
	v_ashrrev_i64 v[17:18], 29, v[1:2]
	global_load_dword v2, v[15:16], off
	v_add_co_u32 v15, vcc_lo, s14, v17
	v_add_co_ci_u32_e64 v16, null, s15, v18, vcc_lo
	s_waitcnt vmcnt(0)
	v_ashrrev_i64 v[17:18], 29, v[1:2]
	v_add_co_u32 v17, vcc_lo, s14, v17
	v_add_co_ci_u32_e64 v18, null, s15, v18, vcc_lo
	s_clause 0x1
	global_load_dwordx2 v[15:16], v[15:16], off
	global_load_dwordx2 v[17:18], v[17:18], off
	v_add_co_u32 v2, vcc_lo, v13, 1
	s_waitcnt vmcnt(0)
	v_cmp_lt_u64_e64 s0, v[15:16], v[17:18]
	v_add_co_ci_u32_e64 v15, null, 0, v14, vcc_lo
	v_cndmask_b32_e64 v8, v8, v14, s0
	v_cndmask_b32_e64 v7, v7, v13, s0
	;; [unrolled: 1-line block ×4, first 2 shown]
	v_cmp_ge_u64_e32 vcc_lo, v[5:6], v[7:8]
	s_or_b32 s4, vcc_lo, s4
	s_andn2_b32 exec_lo, exec_lo, s4
	s_cbranch_execnz .LBB766_3
; %bb.4:
	s_or_b32 exec_lo, exec_lo, s4
.LBB766_5:
	s_or_b32 exec_lo, exec_lo, s1
	v_mov_b32_e32 v1, 0
	v_add_co_u32 v2, vcc_lo, v5, v3
	v_add_co_ci_u32_e64 v3, null, v6, v4, vcc_lo
	v_lshlrev_b64 v[0:1], 3, v[0:1]
	v_add_co_u32 v0, vcc_lo, s2, v0
	v_add_co_ci_u32_e64 v1, null, s3, v1, vcc_lo
	global_store_dwordx2 v[0:1], v[2:3], off
.LBB766_6:
	s_endpgm
	.section	.rodata,"a",@progbits
	.p2align	6, 0x0
	.amdhsa_kernel _ZN7rocprim17ROCPRIM_400000_NS6detail17trampoline_kernelINS0_14default_configENS1_38merge_sort_block_merge_config_selectorIyNS0_10empty_typeEEEZZNS1_27merge_sort_block_merge_implIS3_N6thrust23THRUST_200600_302600_NS6detail15normal_iteratorINS9_10device_ptrIyEEEEPS5_m9comp_mod3IyEEE10hipError_tT0_T1_T2_jT3_P12ihipStream_tbPNSt15iterator_traitsISJ_E10value_typeEPNSP_ISK_E10value_typeEPSL_NS1_7vsmem_tEENKUlT_SJ_SK_SL_E_clIPySE_SF_SF_EESI_SY_SJ_SK_SL_EUlSY_E_NS1_11comp_targetILNS1_3genE8ELNS1_11target_archE1030ELNS1_3gpuE2ELNS1_3repE0EEENS1_48merge_mergepath_partition_config_static_selectorELNS0_4arch9wavefront6targetE0EEEvSK_
		.amdhsa_group_segment_fixed_size 0
		.amdhsa_private_segment_fixed_size 0
		.amdhsa_kernarg_size 48
		.amdhsa_user_sgpr_count 6
		.amdhsa_user_sgpr_private_segment_buffer 1
		.amdhsa_user_sgpr_dispatch_ptr 0
		.amdhsa_user_sgpr_queue_ptr 0
		.amdhsa_user_sgpr_kernarg_segment_ptr 1
		.amdhsa_user_sgpr_dispatch_id 0
		.amdhsa_user_sgpr_flat_scratch_init 0
		.amdhsa_user_sgpr_private_segment_size 0
		.amdhsa_wavefront_size32 1
		.amdhsa_uses_dynamic_stack 0
		.amdhsa_system_sgpr_private_segment_wavefront_offset 0
		.amdhsa_system_sgpr_workgroup_id_x 1
		.amdhsa_system_sgpr_workgroup_id_y 0
		.amdhsa_system_sgpr_workgroup_id_z 0
		.amdhsa_system_sgpr_workgroup_info 0
		.amdhsa_system_vgpr_workitem_id 0
		.amdhsa_next_free_vgpr 19
		.amdhsa_next_free_sgpr 16
		.amdhsa_reserve_vcc 1
		.amdhsa_reserve_flat_scratch 0
		.amdhsa_float_round_mode_32 0
		.amdhsa_float_round_mode_16_64 0
		.amdhsa_float_denorm_mode_32 3
		.amdhsa_float_denorm_mode_16_64 3
		.amdhsa_dx10_clamp 1
		.amdhsa_ieee_mode 1
		.amdhsa_fp16_overflow 0
		.amdhsa_workgroup_processor_mode 1
		.amdhsa_memory_ordered 1
		.amdhsa_forward_progress 1
		.amdhsa_shared_vgpr_count 0
		.amdhsa_exception_fp_ieee_invalid_op 0
		.amdhsa_exception_fp_denorm_src 0
		.amdhsa_exception_fp_ieee_div_zero 0
		.amdhsa_exception_fp_ieee_overflow 0
		.amdhsa_exception_fp_ieee_underflow 0
		.amdhsa_exception_fp_ieee_inexact 0
		.amdhsa_exception_int_div_zero 0
	.end_amdhsa_kernel
	.section	.text._ZN7rocprim17ROCPRIM_400000_NS6detail17trampoline_kernelINS0_14default_configENS1_38merge_sort_block_merge_config_selectorIyNS0_10empty_typeEEEZZNS1_27merge_sort_block_merge_implIS3_N6thrust23THRUST_200600_302600_NS6detail15normal_iteratorINS9_10device_ptrIyEEEEPS5_m9comp_mod3IyEEE10hipError_tT0_T1_T2_jT3_P12ihipStream_tbPNSt15iterator_traitsISJ_E10value_typeEPNSP_ISK_E10value_typeEPSL_NS1_7vsmem_tEENKUlT_SJ_SK_SL_E_clIPySE_SF_SF_EESI_SY_SJ_SK_SL_EUlSY_E_NS1_11comp_targetILNS1_3genE8ELNS1_11target_archE1030ELNS1_3gpuE2ELNS1_3repE0EEENS1_48merge_mergepath_partition_config_static_selectorELNS0_4arch9wavefront6targetE0EEEvSK_,"axG",@progbits,_ZN7rocprim17ROCPRIM_400000_NS6detail17trampoline_kernelINS0_14default_configENS1_38merge_sort_block_merge_config_selectorIyNS0_10empty_typeEEEZZNS1_27merge_sort_block_merge_implIS3_N6thrust23THRUST_200600_302600_NS6detail15normal_iteratorINS9_10device_ptrIyEEEEPS5_m9comp_mod3IyEEE10hipError_tT0_T1_T2_jT3_P12ihipStream_tbPNSt15iterator_traitsISJ_E10value_typeEPNSP_ISK_E10value_typeEPSL_NS1_7vsmem_tEENKUlT_SJ_SK_SL_E_clIPySE_SF_SF_EESI_SY_SJ_SK_SL_EUlSY_E_NS1_11comp_targetILNS1_3genE8ELNS1_11target_archE1030ELNS1_3gpuE2ELNS1_3repE0EEENS1_48merge_mergepath_partition_config_static_selectorELNS0_4arch9wavefront6targetE0EEEvSK_,comdat
.Lfunc_end766:
	.size	_ZN7rocprim17ROCPRIM_400000_NS6detail17trampoline_kernelINS0_14default_configENS1_38merge_sort_block_merge_config_selectorIyNS0_10empty_typeEEEZZNS1_27merge_sort_block_merge_implIS3_N6thrust23THRUST_200600_302600_NS6detail15normal_iteratorINS9_10device_ptrIyEEEEPS5_m9comp_mod3IyEEE10hipError_tT0_T1_T2_jT3_P12ihipStream_tbPNSt15iterator_traitsISJ_E10value_typeEPNSP_ISK_E10value_typeEPSL_NS1_7vsmem_tEENKUlT_SJ_SK_SL_E_clIPySE_SF_SF_EESI_SY_SJ_SK_SL_EUlSY_E_NS1_11comp_targetILNS1_3genE8ELNS1_11target_archE1030ELNS1_3gpuE2ELNS1_3repE0EEENS1_48merge_mergepath_partition_config_static_selectorELNS0_4arch9wavefront6targetE0EEEvSK_, .Lfunc_end766-_ZN7rocprim17ROCPRIM_400000_NS6detail17trampoline_kernelINS0_14default_configENS1_38merge_sort_block_merge_config_selectorIyNS0_10empty_typeEEEZZNS1_27merge_sort_block_merge_implIS3_N6thrust23THRUST_200600_302600_NS6detail15normal_iteratorINS9_10device_ptrIyEEEEPS5_m9comp_mod3IyEEE10hipError_tT0_T1_T2_jT3_P12ihipStream_tbPNSt15iterator_traitsISJ_E10value_typeEPNSP_ISK_E10value_typeEPSL_NS1_7vsmem_tEENKUlT_SJ_SK_SL_E_clIPySE_SF_SF_EESI_SY_SJ_SK_SL_EUlSY_E_NS1_11comp_targetILNS1_3genE8ELNS1_11target_archE1030ELNS1_3gpuE2ELNS1_3repE0EEENS1_48merge_mergepath_partition_config_static_selectorELNS0_4arch9wavefront6targetE0EEEvSK_
                                        ; -- End function
	.set _ZN7rocprim17ROCPRIM_400000_NS6detail17trampoline_kernelINS0_14default_configENS1_38merge_sort_block_merge_config_selectorIyNS0_10empty_typeEEEZZNS1_27merge_sort_block_merge_implIS3_N6thrust23THRUST_200600_302600_NS6detail15normal_iteratorINS9_10device_ptrIyEEEEPS5_m9comp_mod3IyEEE10hipError_tT0_T1_T2_jT3_P12ihipStream_tbPNSt15iterator_traitsISJ_E10value_typeEPNSP_ISK_E10value_typeEPSL_NS1_7vsmem_tEENKUlT_SJ_SK_SL_E_clIPySE_SF_SF_EESI_SY_SJ_SK_SL_EUlSY_E_NS1_11comp_targetILNS1_3genE8ELNS1_11target_archE1030ELNS1_3gpuE2ELNS1_3repE0EEENS1_48merge_mergepath_partition_config_static_selectorELNS0_4arch9wavefront6targetE0EEEvSK_.num_vgpr, 19
	.set _ZN7rocprim17ROCPRIM_400000_NS6detail17trampoline_kernelINS0_14default_configENS1_38merge_sort_block_merge_config_selectorIyNS0_10empty_typeEEEZZNS1_27merge_sort_block_merge_implIS3_N6thrust23THRUST_200600_302600_NS6detail15normal_iteratorINS9_10device_ptrIyEEEEPS5_m9comp_mod3IyEEE10hipError_tT0_T1_T2_jT3_P12ihipStream_tbPNSt15iterator_traitsISJ_E10value_typeEPNSP_ISK_E10value_typeEPSL_NS1_7vsmem_tEENKUlT_SJ_SK_SL_E_clIPySE_SF_SF_EESI_SY_SJ_SK_SL_EUlSY_E_NS1_11comp_targetILNS1_3genE8ELNS1_11target_archE1030ELNS1_3gpuE2ELNS1_3repE0EEENS1_48merge_mergepath_partition_config_static_selectorELNS0_4arch9wavefront6targetE0EEEvSK_.num_agpr, 0
	.set _ZN7rocprim17ROCPRIM_400000_NS6detail17trampoline_kernelINS0_14default_configENS1_38merge_sort_block_merge_config_selectorIyNS0_10empty_typeEEEZZNS1_27merge_sort_block_merge_implIS3_N6thrust23THRUST_200600_302600_NS6detail15normal_iteratorINS9_10device_ptrIyEEEEPS5_m9comp_mod3IyEEE10hipError_tT0_T1_T2_jT3_P12ihipStream_tbPNSt15iterator_traitsISJ_E10value_typeEPNSP_ISK_E10value_typeEPSL_NS1_7vsmem_tEENKUlT_SJ_SK_SL_E_clIPySE_SF_SF_EESI_SY_SJ_SK_SL_EUlSY_E_NS1_11comp_targetILNS1_3genE8ELNS1_11target_archE1030ELNS1_3gpuE2ELNS1_3repE0EEENS1_48merge_mergepath_partition_config_static_selectorELNS0_4arch9wavefront6targetE0EEEvSK_.numbered_sgpr, 16
	.set _ZN7rocprim17ROCPRIM_400000_NS6detail17trampoline_kernelINS0_14default_configENS1_38merge_sort_block_merge_config_selectorIyNS0_10empty_typeEEEZZNS1_27merge_sort_block_merge_implIS3_N6thrust23THRUST_200600_302600_NS6detail15normal_iteratorINS9_10device_ptrIyEEEEPS5_m9comp_mod3IyEEE10hipError_tT0_T1_T2_jT3_P12ihipStream_tbPNSt15iterator_traitsISJ_E10value_typeEPNSP_ISK_E10value_typeEPSL_NS1_7vsmem_tEENKUlT_SJ_SK_SL_E_clIPySE_SF_SF_EESI_SY_SJ_SK_SL_EUlSY_E_NS1_11comp_targetILNS1_3genE8ELNS1_11target_archE1030ELNS1_3gpuE2ELNS1_3repE0EEENS1_48merge_mergepath_partition_config_static_selectorELNS0_4arch9wavefront6targetE0EEEvSK_.num_named_barrier, 0
	.set _ZN7rocprim17ROCPRIM_400000_NS6detail17trampoline_kernelINS0_14default_configENS1_38merge_sort_block_merge_config_selectorIyNS0_10empty_typeEEEZZNS1_27merge_sort_block_merge_implIS3_N6thrust23THRUST_200600_302600_NS6detail15normal_iteratorINS9_10device_ptrIyEEEEPS5_m9comp_mod3IyEEE10hipError_tT0_T1_T2_jT3_P12ihipStream_tbPNSt15iterator_traitsISJ_E10value_typeEPNSP_ISK_E10value_typeEPSL_NS1_7vsmem_tEENKUlT_SJ_SK_SL_E_clIPySE_SF_SF_EESI_SY_SJ_SK_SL_EUlSY_E_NS1_11comp_targetILNS1_3genE8ELNS1_11target_archE1030ELNS1_3gpuE2ELNS1_3repE0EEENS1_48merge_mergepath_partition_config_static_selectorELNS0_4arch9wavefront6targetE0EEEvSK_.private_seg_size, 0
	.set _ZN7rocprim17ROCPRIM_400000_NS6detail17trampoline_kernelINS0_14default_configENS1_38merge_sort_block_merge_config_selectorIyNS0_10empty_typeEEEZZNS1_27merge_sort_block_merge_implIS3_N6thrust23THRUST_200600_302600_NS6detail15normal_iteratorINS9_10device_ptrIyEEEEPS5_m9comp_mod3IyEEE10hipError_tT0_T1_T2_jT3_P12ihipStream_tbPNSt15iterator_traitsISJ_E10value_typeEPNSP_ISK_E10value_typeEPSL_NS1_7vsmem_tEENKUlT_SJ_SK_SL_E_clIPySE_SF_SF_EESI_SY_SJ_SK_SL_EUlSY_E_NS1_11comp_targetILNS1_3genE8ELNS1_11target_archE1030ELNS1_3gpuE2ELNS1_3repE0EEENS1_48merge_mergepath_partition_config_static_selectorELNS0_4arch9wavefront6targetE0EEEvSK_.uses_vcc, 1
	.set _ZN7rocprim17ROCPRIM_400000_NS6detail17trampoline_kernelINS0_14default_configENS1_38merge_sort_block_merge_config_selectorIyNS0_10empty_typeEEEZZNS1_27merge_sort_block_merge_implIS3_N6thrust23THRUST_200600_302600_NS6detail15normal_iteratorINS9_10device_ptrIyEEEEPS5_m9comp_mod3IyEEE10hipError_tT0_T1_T2_jT3_P12ihipStream_tbPNSt15iterator_traitsISJ_E10value_typeEPNSP_ISK_E10value_typeEPSL_NS1_7vsmem_tEENKUlT_SJ_SK_SL_E_clIPySE_SF_SF_EESI_SY_SJ_SK_SL_EUlSY_E_NS1_11comp_targetILNS1_3genE8ELNS1_11target_archE1030ELNS1_3gpuE2ELNS1_3repE0EEENS1_48merge_mergepath_partition_config_static_selectorELNS0_4arch9wavefront6targetE0EEEvSK_.uses_flat_scratch, 0
	.set _ZN7rocprim17ROCPRIM_400000_NS6detail17trampoline_kernelINS0_14default_configENS1_38merge_sort_block_merge_config_selectorIyNS0_10empty_typeEEEZZNS1_27merge_sort_block_merge_implIS3_N6thrust23THRUST_200600_302600_NS6detail15normal_iteratorINS9_10device_ptrIyEEEEPS5_m9comp_mod3IyEEE10hipError_tT0_T1_T2_jT3_P12ihipStream_tbPNSt15iterator_traitsISJ_E10value_typeEPNSP_ISK_E10value_typeEPSL_NS1_7vsmem_tEENKUlT_SJ_SK_SL_E_clIPySE_SF_SF_EESI_SY_SJ_SK_SL_EUlSY_E_NS1_11comp_targetILNS1_3genE8ELNS1_11target_archE1030ELNS1_3gpuE2ELNS1_3repE0EEENS1_48merge_mergepath_partition_config_static_selectorELNS0_4arch9wavefront6targetE0EEEvSK_.has_dyn_sized_stack, 0
	.set _ZN7rocprim17ROCPRIM_400000_NS6detail17trampoline_kernelINS0_14default_configENS1_38merge_sort_block_merge_config_selectorIyNS0_10empty_typeEEEZZNS1_27merge_sort_block_merge_implIS3_N6thrust23THRUST_200600_302600_NS6detail15normal_iteratorINS9_10device_ptrIyEEEEPS5_m9comp_mod3IyEEE10hipError_tT0_T1_T2_jT3_P12ihipStream_tbPNSt15iterator_traitsISJ_E10value_typeEPNSP_ISK_E10value_typeEPSL_NS1_7vsmem_tEENKUlT_SJ_SK_SL_E_clIPySE_SF_SF_EESI_SY_SJ_SK_SL_EUlSY_E_NS1_11comp_targetILNS1_3genE8ELNS1_11target_archE1030ELNS1_3gpuE2ELNS1_3repE0EEENS1_48merge_mergepath_partition_config_static_selectorELNS0_4arch9wavefront6targetE0EEEvSK_.has_recursion, 0
	.set _ZN7rocprim17ROCPRIM_400000_NS6detail17trampoline_kernelINS0_14default_configENS1_38merge_sort_block_merge_config_selectorIyNS0_10empty_typeEEEZZNS1_27merge_sort_block_merge_implIS3_N6thrust23THRUST_200600_302600_NS6detail15normal_iteratorINS9_10device_ptrIyEEEEPS5_m9comp_mod3IyEEE10hipError_tT0_T1_T2_jT3_P12ihipStream_tbPNSt15iterator_traitsISJ_E10value_typeEPNSP_ISK_E10value_typeEPSL_NS1_7vsmem_tEENKUlT_SJ_SK_SL_E_clIPySE_SF_SF_EESI_SY_SJ_SK_SL_EUlSY_E_NS1_11comp_targetILNS1_3genE8ELNS1_11target_archE1030ELNS1_3gpuE2ELNS1_3repE0EEENS1_48merge_mergepath_partition_config_static_selectorELNS0_4arch9wavefront6targetE0EEEvSK_.has_indirect_call, 0
	.section	.AMDGPU.csdata,"",@progbits
; Kernel info:
; codeLenInByte = 716
; TotalNumSgprs: 18
; NumVgprs: 19
; ScratchSize: 0
; MemoryBound: 0
; FloatMode: 240
; IeeeMode: 1
; LDSByteSize: 0 bytes/workgroup (compile time only)
; SGPRBlocks: 0
; VGPRBlocks: 2
; NumSGPRsForWavesPerEU: 18
; NumVGPRsForWavesPerEU: 19
; Occupancy: 16
; WaveLimiterHint : 1
; COMPUTE_PGM_RSRC2:SCRATCH_EN: 0
; COMPUTE_PGM_RSRC2:USER_SGPR: 6
; COMPUTE_PGM_RSRC2:TRAP_HANDLER: 0
; COMPUTE_PGM_RSRC2:TGID_X_EN: 1
; COMPUTE_PGM_RSRC2:TGID_Y_EN: 0
; COMPUTE_PGM_RSRC2:TGID_Z_EN: 0
; COMPUTE_PGM_RSRC2:TIDIG_COMP_CNT: 0
	.section	.text._ZN7rocprim17ROCPRIM_400000_NS6detail17trampoline_kernelINS0_14default_configENS1_38merge_sort_block_merge_config_selectorIyNS0_10empty_typeEEEZZNS1_27merge_sort_block_merge_implIS3_N6thrust23THRUST_200600_302600_NS6detail15normal_iteratorINS9_10device_ptrIyEEEEPS5_m9comp_mod3IyEEE10hipError_tT0_T1_T2_jT3_P12ihipStream_tbPNSt15iterator_traitsISJ_E10value_typeEPNSP_ISK_E10value_typeEPSL_NS1_7vsmem_tEENKUlT_SJ_SK_SL_E_clIPySE_SF_SF_EESI_SY_SJ_SK_SL_EUlSY_E0_NS1_11comp_targetILNS1_3genE0ELNS1_11target_archE4294967295ELNS1_3gpuE0ELNS1_3repE0EEENS1_38merge_mergepath_config_static_selectorELNS0_4arch9wavefront6targetE0EEEvSK_,"axG",@progbits,_ZN7rocprim17ROCPRIM_400000_NS6detail17trampoline_kernelINS0_14default_configENS1_38merge_sort_block_merge_config_selectorIyNS0_10empty_typeEEEZZNS1_27merge_sort_block_merge_implIS3_N6thrust23THRUST_200600_302600_NS6detail15normal_iteratorINS9_10device_ptrIyEEEEPS5_m9comp_mod3IyEEE10hipError_tT0_T1_T2_jT3_P12ihipStream_tbPNSt15iterator_traitsISJ_E10value_typeEPNSP_ISK_E10value_typeEPSL_NS1_7vsmem_tEENKUlT_SJ_SK_SL_E_clIPySE_SF_SF_EESI_SY_SJ_SK_SL_EUlSY_E0_NS1_11comp_targetILNS1_3genE0ELNS1_11target_archE4294967295ELNS1_3gpuE0ELNS1_3repE0EEENS1_38merge_mergepath_config_static_selectorELNS0_4arch9wavefront6targetE0EEEvSK_,comdat
	.protected	_ZN7rocprim17ROCPRIM_400000_NS6detail17trampoline_kernelINS0_14default_configENS1_38merge_sort_block_merge_config_selectorIyNS0_10empty_typeEEEZZNS1_27merge_sort_block_merge_implIS3_N6thrust23THRUST_200600_302600_NS6detail15normal_iteratorINS9_10device_ptrIyEEEEPS5_m9comp_mod3IyEEE10hipError_tT0_T1_T2_jT3_P12ihipStream_tbPNSt15iterator_traitsISJ_E10value_typeEPNSP_ISK_E10value_typeEPSL_NS1_7vsmem_tEENKUlT_SJ_SK_SL_E_clIPySE_SF_SF_EESI_SY_SJ_SK_SL_EUlSY_E0_NS1_11comp_targetILNS1_3genE0ELNS1_11target_archE4294967295ELNS1_3gpuE0ELNS1_3repE0EEENS1_38merge_mergepath_config_static_selectorELNS0_4arch9wavefront6targetE0EEEvSK_ ; -- Begin function _ZN7rocprim17ROCPRIM_400000_NS6detail17trampoline_kernelINS0_14default_configENS1_38merge_sort_block_merge_config_selectorIyNS0_10empty_typeEEEZZNS1_27merge_sort_block_merge_implIS3_N6thrust23THRUST_200600_302600_NS6detail15normal_iteratorINS9_10device_ptrIyEEEEPS5_m9comp_mod3IyEEE10hipError_tT0_T1_T2_jT3_P12ihipStream_tbPNSt15iterator_traitsISJ_E10value_typeEPNSP_ISK_E10value_typeEPSL_NS1_7vsmem_tEENKUlT_SJ_SK_SL_E_clIPySE_SF_SF_EESI_SY_SJ_SK_SL_EUlSY_E0_NS1_11comp_targetILNS1_3genE0ELNS1_11target_archE4294967295ELNS1_3gpuE0ELNS1_3repE0EEENS1_38merge_mergepath_config_static_selectorELNS0_4arch9wavefront6targetE0EEEvSK_
	.globl	_ZN7rocprim17ROCPRIM_400000_NS6detail17trampoline_kernelINS0_14default_configENS1_38merge_sort_block_merge_config_selectorIyNS0_10empty_typeEEEZZNS1_27merge_sort_block_merge_implIS3_N6thrust23THRUST_200600_302600_NS6detail15normal_iteratorINS9_10device_ptrIyEEEEPS5_m9comp_mod3IyEEE10hipError_tT0_T1_T2_jT3_P12ihipStream_tbPNSt15iterator_traitsISJ_E10value_typeEPNSP_ISK_E10value_typeEPSL_NS1_7vsmem_tEENKUlT_SJ_SK_SL_E_clIPySE_SF_SF_EESI_SY_SJ_SK_SL_EUlSY_E0_NS1_11comp_targetILNS1_3genE0ELNS1_11target_archE4294967295ELNS1_3gpuE0ELNS1_3repE0EEENS1_38merge_mergepath_config_static_selectorELNS0_4arch9wavefront6targetE0EEEvSK_
	.p2align	8
	.type	_ZN7rocprim17ROCPRIM_400000_NS6detail17trampoline_kernelINS0_14default_configENS1_38merge_sort_block_merge_config_selectorIyNS0_10empty_typeEEEZZNS1_27merge_sort_block_merge_implIS3_N6thrust23THRUST_200600_302600_NS6detail15normal_iteratorINS9_10device_ptrIyEEEEPS5_m9comp_mod3IyEEE10hipError_tT0_T1_T2_jT3_P12ihipStream_tbPNSt15iterator_traitsISJ_E10value_typeEPNSP_ISK_E10value_typeEPSL_NS1_7vsmem_tEENKUlT_SJ_SK_SL_E_clIPySE_SF_SF_EESI_SY_SJ_SK_SL_EUlSY_E0_NS1_11comp_targetILNS1_3genE0ELNS1_11target_archE4294967295ELNS1_3gpuE0ELNS1_3repE0EEENS1_38merge_mergepath_config_static_selectorELNS0_4arch9wavefront6targetE0EEEvSK_,@function
_ZN7rocprim17ROCPRIM_400000_NS6detail17trampoline_kernelINS0_14default_configENS1_38merge_sort_block_merge_config_selectorIyNS0_10empty_typeEEEZZNS1_27merge_sort_block_merge_implIS3_N6thrust23THRUST_200600_302600_NS6detail15normal_iteratorINS9_10device_ptrIyEEEEPS5_m9comp_mod3IyEEE10hipError_tT0_T1_T2_jT3_P12ihipStream_tbPNSt15iterator_traitsISJ_E10value_typeEPNSP_ISK_E10value_typeEPSL_NS1_7vsmem_tEENKUlT_SJ_SK_SL_E_clIPySE_SF_SF_EESI_SY_SJ_SK_SL_EUlSY_E0_NS1_11comp_targetILNS1_3genE0ELNS1_11target_archE4294967295ELNS1_3gpuE0ELNS1_3repE0EEENS1_38merge_mergepath_config_static_selectorELNS0_4arch9wavefront6targetE0EEEvSK_: ; @_ZN7rocprim17ROCPRIM_400000_NS6detail17trampoline_kernelINS0_14default_configENS1_38merge_sort_block_merge_config_selectorIyNS0_10empty_typeEEEZZNS1_27merge_sort_block_merge_implIS3_N6thrust23THRUST_200600_302600_NS6detail15normal_iteratorINS9_10device_ptrIyEEEEPS5_m9comp_mod3IyEEE10hipError_tT0_T1_T2_jT3_P12ihipStream_tbPNSt15iterator_traitsISJ_E10value_typeEPNSP_ISK_E10value_typeEPSL_NS1_7vsmem_tEENKUlT_SJ_SK_SL_E_clIPySE_SF_SF_EESI_SY_SJ_SK_SL_EUlSY_E0_NS1_11comp_targetILNS1_3genE0ELNS1_11target_archE4294967295ELNS1_3gpuE0ELNS1_3repE0EEENS1_38merge_mergepath_config_static_selectorELNS0_4arch9wavefront6targetE0EEEvSK_
; %bb.0:
	.section	.rodata,"a",@progbits
	.p2align	6, 0x0
	.amdhsa_kernel _ZN7rocprim17ROCPRIM_400000_NS6detail17trampoline_kernelINS0_14default_configENS1_38merge_sort_block_merge_config_selectorIyNS0_10empty_typeEEEZZNS1_27merge_sort_block_merge_implIS3_N6thrust23THRUST_200600_302600_NS6detail15normal_iteratorINS9_10device_ptrIyEEEEPS5_m9comp_mod3IyEEE10hipError_tT0_T1_T2_jT3_P12ihipStream_tbPNSt15iterator_traitsISJ_E10value_typeEPNSP_ISK_E10value_typeEPSL_NS1_7vsmem_tEENKUlT_SJ_SK_SL_E_clIPySE_SF_SF_EESI_SY_SJ_SK_SL_EUlSY_E0_NS1_11comp_targetILNS1_3genE0ELNS1_11target_archE4294967295ELNS1_3gpuE0ELNS1_3repE0EEENS1_38merge_mergepath_config_static_selectorELNS0_4arch9wavefront6targetE0EEEvSK_
		.amdhsa_group_segment_fixed_size 0
		.amdhsa_private_segment_fixed_size 0
		.amdhsa_kernarg_size 80
		.amdhsa_user_sgpr_count 6
		.amdhsa_user_sgpr_private_segment_buffer 1
		.amdhsa_user_sgpr_dispatch_ptr 0
		.amdhsa_user_sgpr_queue_ptr 0
		.amdhsa_user_sgpr_kernarg_segment_ptr 1
		.amdhsa_user_sgpr_dispatch_id 0
		.amdhsa_user_sgpr_flat_scratch_init 0
		.amdhsa_user_sgpr_private_segment_size 0
		.amdhsa_wavefront_size32 1
		.amdhsa_uses_dynamic_stack 0
		.amdhsa_system_sgpr_private_segment_wavefront_offset 0
		.amdhsa_system_sgpr_workgroup_id_x 1
		.amdhsa_system_sgpr_workgroup_id_y 0
		.amdhsa_system_sgpr_workgroup_id_z 0
		.amdhsa_system_sgpr_workgroup_info 0
		.amdhsa_system_vgpr_workitem_id 0
		.amdhsa_next_free_vgpr 1
		.amdhsa_next_free_sgpr 1
		.amdhsa_reserve_vcc 0
		.amdhsa_reserve_flat_scratch 0
		.amdhsa_float_round_mode_32 0
		.amdhsa_float_round_mode_16_64 0
		.amdhsa_float_denorm_mode_32 3
		.amdhsa_float_denorm_mode_16_64 3
		.amdhsa_dx10_clamp 1
		.amdhsa_ieee_mode 1
		.amdhsa_fp16_overflow 0
		.amdhsa_workgroup_processor_mode 1
		.amdhsa_memory_ordered 1
		.amdhsa_forward_progress 1
		.amdhsa_shared_vgpr_count 0
		.amdhsa_exception_fp_ieee_invalid_op 0
		.amdhsa_exception_fp_denorm_src 0
		.amdhsa_exception_fp_ieee_div_zero 0
		.amdhsa_exception_fp_ieee_overflow 0
		.amdhsa_exception_fp_ieee_underflow 0
		.amdhsa_exception_fp_ieee_inexact 0
		.amdhsa_exception_int_div_zero 0
	.end_amdhsa_kernel
	.section	.text._ZN7rocprim17ROCPRIM_400000_NS6detail17trampoline_kernelINS0_14default_configENS1_38merge_sort_block_merge_config_selectorIyNS0_10empty_typeEEEZZNS1_27merge_sort_block_merge_implIS3_N6thrust23THRUST_200600_302600_NS6detail15normal_iteratorINS9_10device_ptrIyEEEEPS5_m9comp_mod3IyEEE10hipError_tT0_T1_T2_jT3_P12ihipStream_tbPNSt15iterator_traitsISJ_E10value_typeEPNSP_ISK_E10value_typeEPSL_NS1_7vsmem_tEENKUlT_SJ_SK_SL_E_clIPySE_SF_SF_EESI_SY_SJ_SK_SL_EUlSY_E0_NS1_11comp_targetILNS1_3genE0ELNS1_11target_archE4294967295ELNS1_3gpuE0ELNS1_3repE0EEENS1_38merge_mergepath_config_static_selectorELNS0_4arch9wavefront6targetE0EEEvSK_,"axG",@progbits,_ZN7rocprim17ROCPRIM_400000_NS6detail17trampoline_kernelINS0_14default_configENS1_38merge_sort_block_merge_config_selectorIyNS0_10empty_typeEEEZZNS1_27merge_sort_block_merge_implIS3_N6thrust23THRUST_200600_302600_NS6detail15normal_iteratorINS9_10device_ptrIyEEEEPS5_m9comp_mod3IyEEE10hipError_tT0_T1_T2_jT3_P12ihipStream_tbPNSt15iterator_traitsISJ_E10value_typeEPNSP_ISK_E10value_typeEPSL_NS1_7vsmem_tEENKUlT_SJ_SK_SL_E_clIPySE_SF_SF_EESI_SY_SJ_SK_SL_EUlSY_E0_NS1_11comp_targetILNS1_3genE0ELNS1_11target_archE4294967295ELNS1_3gpuE0ELNS1_3repE0EEENS1_38merge_mergepath_config_static_selectorELNS0_4arch9wavefront6targetE0EEEvSK_,comdat
.Lfunc_end767:
	.size	_ZN7rocprim17ROCPRIM_400000_NS6detail17trampoline_kernelINS0_14default_configENS1_38merge_sort_block_merge_config_selectorIyNS0_10empty_typeEEEZZNS1_27merge_sort_block_merge_implIS3_N6thrust23THRUST_200600_302600_NS6detail15normal_iteratorINS9_10device_ptrIyEEEEPS5_m9comp_mod3IyEEE10hipError_tT0_T1_T2_jT3_P12ihipStream_tbPNSt15iterator_traitsISJ_E10value_typeEPNSP_ISK_E10value_typeEPSL_NS1_7vsmem_tEENKUlT_SJ_SK_SL_E_clIPySE_SF_SF_EESI_SY_SJ_SK_SL_EUlSY_E0_NS1_11comp_targetILNS1_3genE0ELNS1_11target_archE4294967295ELNS1_3gpuE0ELNS1_3repE0EEENS1_38merge_mergepath_config_static_selectorELNS0_4arch9wavefront6targetE0EEEvSK_, .Lfunc_end767-_ZN7rocprim17ROCPRIM_400000_NS6detail17trampoline_kernelINS0_14default_configENS1_38merge_sort_block_merge_config_selectorIyNS0_10empty_typeEEEZZNS1_27merge_sort_block_merge_implIS3_N6thrust23THRUST_200600_302600_NS6detail15normal_iteratorINS9_10device_ptrIyEEEEPS5_m9comp_mod3IyEEE10hipError_tT0_T1_T2_jT3_P12ihipStream_tbPNSt15iterator_traitsISJ_E10value_typeEPNSP_ISK_E10value_typeEPSL_NS1_7vsmem_tEENKUlT_SJ_SK_SL_E_clIPySE_SF_SF_EESI_SY_SJ_SK_SL_EUlSY_E0_NS1_11comp_targetILNS1_3genE0ELNS1_11target_archE4294967295ELNS1_3gpuE0ELNS1_3repE0EEENS1_38merge_mergepath_config_static_selectorELNS0_4arch9wavefront6targetE0EEEvSK_
                                        ; -- End function
	.set _ZN7rocprim17ROCPRIM_400000_NS6detail17trampoline_kernelINS0_14default_configENS1_38merge_sort_block_merge_config_selectorIyNS0_10empty_typeEEEZZNS1_27merge_sort_block_merge_implIS3_N6thrust23THRUST_200600_302600_NS6detail15normal_iteratorINS9_10device_ptrIyEEEEPS5_m9comp_mod3IyEEE10hipError_tT0_T1_T2_jT3_P12ihipStream_tbPNSt15iterator_traitsISJ_E10value_typeEPNSP_ISK_E10value_typeEPSL_NS1_7vsmem_tEENKUlT_SJ_SK_SL_E_clIPySE_SF_SF_EESI_SY_SJ_SK_SL_EUlSY_E0_NS1_11comp_targetILNS1_3genE0ELNS1_11target_archE4294967295ELNS1_3gpuE0ELNS1_3repE0EEENS1_38merge_mergepath_config_static_selectorELNS0_4arch9wavefront6targetE0EEEvSK_.num_vgpr, 0
	.set _ZN7rocprim17ROCPRIM_400000_NS6detail17trampoline_kernelINS0_14default_configENS1_38merge_sort_block_merge_config_selectorIyNS0_10empty_typeEEEZZNS1_27merge_sort_block_merge_implIS3_N6thrust23THRUST_200600_302600_NS6detail15normal_iteratorINS9_10device_ptrIyEEEEPS5_m9comp_mod3IyEEE10hipError_tT0_T1_T2_jT3_P12ihipStream_tbPNSt15iterator_traitsISJ_E10value_typeEPNSP_ISK_E10value_typeEPSL_NS1_7vsmem_tEENKUlT_SJ_SK_SL_E_clIPySE_SF_SF_EESI_SY_SJ_SK_SL_EUlSY_E0_NS1_11comp_targetILNS1_3genE0ELNS1_11target_archE4294967295ELNS1_3gpuE0ELNS1_3repE0EEENS1_38merge_mergepath_config_static_selectorELNS0_4arch9wavefront6targetE0EEEvSK_.num_agpr, 0
	.set _ZN7rocprim17ROCPRIM_400000_NS6detail17trampoline_kernelINS0_14default_configENS1_38merge_sort_block_merge_config_selectorIyNS0_10empty_typeEEEZZNS1_27merge_sort_block_merge_implIS3_N6thrust23THRUST_200600_302600_NS6detail15normal_iteratorINS9_10device_ptrIyEEEEPS5_m9comp_mod3IyEEE10hipError_tT0_T1_T2_jT3_P12ihipStream_tbPNSt15iterator_traitsISJ_E10value_typeEPNSP_ISK_E10value_typeEPSL_NS1_7vsmem_tEENKUlT_SJ_SK_SL_E_clIPySE_SF_SF_EESI_SY_SJ_SK_SL_EUlSY_E0_NS1_11comp_targetILNS1_3genE0ELNS1_11target_archE4294967295ELNS1_3gpuE0ELNS1_3repE0EEENS1_38merge_mergepath_config_static_selectorELNS0_4arch9wavefront6targetE0EEEvSK_.numbered_sgpr, 0
	.set _ZN7rocprim17ROCPRIM_400000_NS6detail17trampoline_kernelINS0_14default_configENS1_38merge_sort_block_merge_config_selectorIyNS0_10empty_typeEEEZZNS1_27merge_sort_block_merge_implIS3_N6thrust23THRUST_200600_302600_NS6detail15normal_iteratorINS9_10device_ptrIyEEEEPS5_m9comp_mod3IyEEE10hipError_tT0_T1_T2_jT3_P12ihipStream_tbPNSt15iterator_traitsISJ_E10value_typeEPNSP_ISK_E10value_typeEPSL_NS1_7vsmem_tEENKUlT_SJ_SK_SL_E_clIPySE_SF_SF_EESI_SY_SJ_SK_SL_EUlSY_E0_NS1_11comp_targetILNS1_3genE0ELNS1_11target_archE4294967295ELNS1_3gpuE0ELNS1_3repE0EEENS1_38merge_mergepath_config_static_selectorELNS0_4arch9wavefront6targetE0EEEvSK_.num_named_barrier, 0
	.set _ZN7rocprim17ROCPRIM_400000_NS6detail17trampoline_kernelINS0_14default_configENS1_38merge_sort_block_merge_config_selectorIyNS0_10empty_typeEEEZZNS1_27merge_sort_block_merge_implIS3_N6thrust23THRUST_200600_302600_NS6detail15normal_iteratorINS9_10device_ptrIyEEEEPS5_m9comp_mod3IyEEE10hipError_tT0_T1_T2_jT3_P12ihipStream_tbPNSt15iterator_traitsISJ_E10value_typeEPNSP_ISK_E10value_typeEPSL_NS1_7vsmem_tEENKUlT_SJ_SK_SL_E_clIPySE_SF_SF_EESI_SY_SJ_SK_SL_EUlSY_E0_NS1_11comp_targetILNS1_3genE0ELNS1_11target_archE4294967295ELNS1_3gpuE0ELNS1_3repE0EEENS1_38merge_mergepath_config_static_selectorELNS0_4arch9wavefront6targetE0EEEvSK_.private_seg_size, 0
	.set _ZN7rocprim17ROCPRIM_400000_NS6detail17trampoline_kernelINS0_14default_configENS1_38merge_sort_block_merge_config_selectorIyNS0_10empty_typeEEEZZNS1_27merge_sort_block_merge_implIS3_N6thrust23THRUST_200600_302600_NS6detail15normal_iteratorINS9_10device_ptrIyEEEEPS5_m9comp_mod3IyEEE10hipError_tT0_T1_T2_jT3_P12ihipStream_tbPNSt15iterator_traitsISJ_E10value_typeEPNSP_ISK_E10value_typeEPSL_NS1_7vsmem_tEENKUlT_SJ_SK_SL_E_clIPySE_SF_SF_EESI_SY_SJ_SK_SL_EUlSY_E0_NS1_11comp_targetILNS1_3genE0ELNS1_11target_archE4294967295ELNS1_3gpuE0ELNS1_3repE0EEENS1_38merge_mergepath_config_static_selectorELNS0_4arch9wavefront6targetE0EEEvSK_.uses_vcc, 0
	.set _ZN7rocprim17ROCPRIM_400000_NS6detail17trampoline_kernelINS0_14default_configENS1_38merge_sort_block_merge_config_selectorIyNS0_10empty_typeEEEZZNS1_27merge_sort_block_merge_implIS3_N6thrust23THRUST_200600_302600_NS6detail15normal_iteratorINS9_10device_ptrIyEEEEPS5_m9comp_mod3IyEEE10hipError_tT0_T1_T2_jT3_P12ihipStream_tbPNSt15iterator_traitsISJ_E10value_typeEPNSP_ISK_E10value_typeEPSL_NS1_7vsmem_tEENKUlT_SJ_SK_SL_E_clIPySE_SF_SF_EESI_SY_SJ_SK_SL_EUlSY_E0_NS1_11comp_targetILNS1_3genE0ELNS1_11target_archE4294967295ELNS1_3gpuE0ELNS1_3repE0EEENS1_38merge_mergepath_config_static_selectorELNS0_4arch9wavefront6targetE0EEEvSK_.uses_flat_scratch, 0
	.set _ZN7rocprim17ROCPRIM_400000_NS6detail17trampoline_kernelINS0_14default_configENS1_38merge_sort_block_merge_config_selectorIyNS0_10empty_typeEEEZZNS1_27merge_sort_block_merge_implIS3_N6thrust23THRUST_200600_302600_NS6detail15normal_iteratorINS9_10device_ptrIyEEEEPS5_m9comp_mod3IyEEE10hipError_tT0_T1_T2_jT3_P12ihipStream_tbPNSt15iterator_traitsISJ_E10value_typeEPNSP_ISK_E10value_typeEPSL_NS1_7vsmem_tEENKUlT_SJ_SK_SL_E_clIPySE_SF_SF_EESI_SY_SJ_SK_SL_EUlSY_E0_NS1_11comp_targetILNS1_3genE0ELNS1_11target_archE4294967295ELNS1_3gpuE0ELNS1_3repE0EEENS1_38merge_mergepath_config_static_selectorELNS0_4arch9wavefront6targetE0EEEvSK_.has_dyn_sized_stack, 0
	.set _ZN7rocprim17ROCPRIM_400000_NS6detail17trampoline_kernelINS0_14default_configENS1_38merge_sort_block_merge_config_selectorIyNS0_10empty_typeEEEZZNS1_27merge_sort_block_merge_implIS3_N6thrust23THRUST_200600_302600_NS6detail15normal_iteratorINS9_10device_ptrIyEEEEPS5_m9comp_mod3IyEEE10hipError_tT0_T1_T2_jT3_P12ihipStream_tbPNSt15iterator_traitsISJ_E10value_typeEPNSP_ISK_E10value_typeEPSL_NS1_7vsmem_tEENKUlT_SJ_SK_SL_E_clIPySE_SF_SF_EESI_SY_SJ_SK_SL_EUlSY_E0_NS1_11comp_targetILNS1_3genE0ELNS1_11target_archE4294967295ELNS1_3gpuE0ELNS1_3repE0EEENS1_38merge_mergepath_config_static_selectorELNS0_4arch9wavefront6targetE0EEEvSK_.has_recursion, 0
	.set _ZN7rocprim17ROCPRIM_400000_NS6detail17trampoline_kernelINS0_14default_configENS1_38merge_sort_block_merge_config_selectorIyNS0_10empty_typeEEEZZNS1_27merge_sort_block_merge_implIS3_N6thrust23THRUST_200600_302600_NS6detail15normal_iteratorINS9_10device_ptrIyEEEEPS5_m9comp_mod3IyEEE10hipError_tT0_T1_T2_jT3_P12ihipStream_tbPNSt15iterator_traitsISJ_E10value_typeEPNSP_ISK_E10value_typeEPSL_NS1_7vsmem_tEENKUlT_SJ_SK_SL_E_clIPySE_SF_SF_EESI_SY_SJ_SK_SL_EUlSY_E0_NS1_11comp_targetILNS1_3genE0ELNS1_11target_archE4294967295ELNS1_3gpuE0ELNS1_3repE0EEENS1_38merge_mergepath_config_static_selectorELNS0_4arch9wavefront6targetE0EEEvSK_.has_indirect_call, 0
	.section	.AMDGPU.csdata,"",@progbits
; Kernel info:
; codeLenInByte = 0
; TotalNumSgprs: 0
; NumVgprs: 0
; ScratchSize: 0
; MemoryBound: 0
; FloatMode: 240
; IeeeMode: 1
; LDSByteSize: 0 bytes/workgroup (compile time only)
; SGPRBlocks: 0
; VGPRBlocks: 0
; NumSGPRsForWavesPerEU: 1
; NumVGPRsForWavesPerEU: 1
; Occupancy: 16
; WaveLimiterHint : 0
; COMPUTE_PGM_RSRC2:SCRATCH_EN: 0
; COMPUTE_PGM_RSRC2:USER_SGPR: 6
; COMPUTE_PGM_RSRC2:TRAP_HANDLER: 0
; COMPUTE_PGM_RSRC2:TGID_X_EN: 1
; COMPUTE_PGM_RSRC2:TGID_Y_EN: 0
; COMPUTE_PGM_RSRC2:TGID_Z_EN: 0
; COMPUTE_PGM_RSRC2:TIDIG_COMP_CNT: 0
	.section	.text._ZN7rocprim17ROCPRIM_400000_NS6detail17trampoline_kernelINS0_14default_configENS1_38merge_sort_block_merge_config_selectorIyNS0_10empty_typeEEEZZNS1_27merge_sort_block_merge_implIS3_N6thrust23THRUST_200600_302600_NS6detail15normal_iteratorINS9_10device_ptrIyEEEEPS5_m9comp_mod3IyEEE10hipError_tT0_T1_T2_jT3_P12ihipStream_tbPNSt15iterator_traitsISJ_E10value_typeEPNSP_ISK_E10value_typeEPSL_NS1_7vsmem_tEENKUlT_SJ_SK_SL_E_clIPySE_SF_SF_EESI_SY_SJ_SK_SL_EUlSY_E0_NS1_11comp_targetILNS1_3genE10ELNS1_11target_archE1201ELNS1_3gpuE5ELNS1_3repE0EEENS1_38merge_mergepath_config_static_selectorELNS0_4arch9wavefront6targetE0EEEvSK_,"axG",@progbits,_ZN7rocprim17ROCPRIM_400000_NS6detail17trampoline_kernelINS0_14default_configENS1_38merge_sort_block_merge_config_selectorIyNS0_10empty_typeEEEZZNS1_27merge_sort_block_merge_implIS3_N6thrust23THRUST_200600_302600_NS6detail15normal_iteratorINS9_10device_ptrIyEEEEPS5_m9comp_mod3IyEEE10hipError_tT0_T1_T2_jT3_P12ihipStream_tbPNSt15iterator_traitsISJ_E10value_typeEPNSP_ISK_E10value_typeEPSL_NS1_7vsmem_tEENKUlT_SJ_SK_SL_E_clIPySE_SF_SF_EESI_SY_SJ_SK_SL_EUlSY_E0_NS1_11comp_targetILNS1_3genE10ELNS1_11target_archE1201ELNS1_3gpuE5ELNS1_3repE0EEENS1_38merge_mergepath_config_static_selectorELNS0_4arch9wavefront6targetE0EEEvSK_,comdat
	.protected	_ZN7rocprim17ROCPRIM_400000_NS6detail17trampoline_kernelINS0_14default_configENS1_38merge_sort_block_merge_config_selectorIyNS0_10empty_typeEEEZZNS1_27merge_sort_block_merge_implIS3_N6thrust23THRUST_200600_302600_NS6detail15normal_iteratorINS9_10device_ptrIyEEEEPS5_m9comp_mod3IyEEE10hipError_tT0_T1_T2_jT3_P12ihipStream_tbPNSt15iterator_traitsISJ_E10value_typeEPNSP_ISK_E10value_typeEPSL_NS1_7vsmem_tEENKUlT_SJ_SK_SL_E_clIPySE_SF_SF_EESI_SY_SJ_SK_SL_EUlSY_E0_NS1_11comp_targetILNS1_3genE10ELNS1_11target_archE1201ELNS1_3gpuE5ELNS1_3repE0EEENS1_38merge_mergepath_config_static_selectorELNS0_4arch9wavefront6targetE0EEEvSK_ ; -- Begin function _ZN7rocprim17ROCPRIM_400000_NS6detail17trampoline_kernelINS0_14default_configENS1_38merge_sort_block_merge_config_selectorIyNS0_10empty_typeEEEZZNS1_27merge_sort_block_merge_implIS3_N6thrust23THRUST_200600_302600_NS6detail15normal_iteratorINS9_10device_ptrIyEEEEPS5_m9comp_mod3IyEEE10hipError_tT0_T1_T2_jT3_P12ihipStream_tbPNSt15iterator_traitsISJ_E10value_typeEPNSP_ISK_E10value_typeEPSL_NS1_7vsmem_tEENKUlT_SJ_SK_SL_E_clIPySE_SF_SF_EESI_SY_SJ_SK_SL_EUlSY_E0_NS1_11comp_targetILNS1_3genE10ELNS1_11target_archE1201ELNS1_3gpuE5ELNS1_3repE0EEENS1_38merge_mergepath_config_static_selectorELNS0_4arch9wavefront6targetE0EEEvSK_
	.globl	_ZN7rocprim17ROCPRIM_400000_NS6detail17trampoline_kernelINS0_14default_configENS1_38merge_sort_block_merge_config_selectorIyNS0_10empty_typeEEEZZNS1_27merge_sort_block_merge_implIS3_N6thrust23THRUST_200600_302600_NS6detail15normal_iteratorINS9_10device_ptrIyEEEEPS5_m9comp_mod3IyEEE10hipError_tT0_T1_T2_jT3_P12ihipStream_tbPNSt15iterator_traitsISJ_E10value_typeEPNSP_ISK_E10value_typeEPSL_NS1_7vsmem_tEENKUlT_SJ_SK_SL_E_clIPySE_SF_SF_EESI_SY_SJ_SK_SL_EUlSY_E0_NS1_11comp_targetILNS1_3genE10ELNS1_11target_archE1201ELNS1_3gpuE5ELNS1_3repE0EEENS1_38merge_mergepath_config_static_selectorELNS0_4arch9wavefront6targetE0EEEvSK_
	.p2align	8
	.type	_ZN7rocprim17ROCPRIM_400000_NS6detail17trampoline_kernelINS0_14default_configENS1_38merge_sort_block_merge_config_selectorIyNS0_10empty_typeEEEZZNS1_27merge_sort_block_merge_implIS3_N6thrust23THRUST_200600_302600_NS6detail15normal_iteratorINS9_10device_ptrIyEEEEPS5_m9comp_mod3IyEEE10hipError_tT0_T1_T2_jT3_P12ihipStream_tbPNSt15iterator_traitsISJ_E10value_typeEPNSP_ISK_E10value_typeEPSL_NS1_7vsmem_tEENKUlT_SJ_SK_SL_E_clIPySE_SF_SF_EESI_SY_SJ_SK_SL_EUlSY_E0_NS1_11comp_targetILNS1_3genE10ELNS1_11target_archE1201ELNS1_3gpuE5ELNS1_3repE0EEENS1_38merge_mergepath_config_static_selectorELNS0_4arch9wavefront6targetE0EEEvSK_,@function
_ZN7rocprim17ROCPRIM_400000_NS6detail17trampoline_kernelINS0_14default_configENS1_38merge_sort_block_merge_config_selectorIyNS0_10empty_typeEEEZZNS1_27merge_sort_block_merge_implIS3_N6thrust23THRUST_200600_302600_NS6detail15normal_iteratorINS9_10device_ptrIyEEEEPS5_m9comp_mod3IyEEE10hipError_tT0_T1_T2_jT3_P12ihipStream_tbPNSt15iterator_traitsISJ_E10value_typeEPNSP_ISK_E10value_typeEPSL_NS1_7vsmem_tEENKUlT_SJ_SK_SL_E_clIPySE_SF_SF_EESI_SY_SJ_SK_SL_EUlSY_E0_NS1_11comp_targetILNS1_3genE10ELNS1_11target_archE1201ELNS1_3gpuE5ELNS1_3repE0EEENS1_38merge_mergepath_config_static_selectorELNS0_4arch9wavefront6targetE0EEEvSK_: ; @_ZN7rocprim17ROCPRIM_400000_NS6detail17trampoline_kernelINS0_14default_configENS1_38merge_sort_block_merge_config_selectorIyNS0_10empty_typeEEEZZNS1_27merge_sort_block_merge_implIS3_N6thrust23THRUST_200600_302600_NS6detail15normal_iteratorINS9_10device_ptrIyEEEEPS5_m9comp_mod3IyEEE10hipError_tT0_T1_T2_jT3_P12ihipStream_tbPNSt15iterator_traitsISJ_E10value_typeEPNSP_ISK_E10value_typeEPSL_NS1_7vsmem_tEENKUlT_SJ_SK_SL_E_clIPySE_SF_SF_EESI_SY_SJ_SK_SL_EUlSY_E0_NS1_11comp_targetILNS1_3genE10ELNS1_11target_archE1201ELNS1_3gpuE5ELNS1_3repE0EEENS1_38merge_mergepath_config_static_selectorELNS0_4arch9wavefront6targetE0EEEvSK_
; %bb.0:
	.section	.rodata,"a",@progbits
	.p2align	6, 0x0
	.amdhsa_kernel _ZN7rocprim17ROCPRIM_400000_NS6detail17trampoline_kernelINS0_14default_configENS1_38merge_sort_block_merge_config_selectorIyNS0_10empty_typeEEEZZNS1_27merge_sort_block_merge_implIS3_N6thrust23THRUST_200600_302600_NS6detail15normal_iteratorINS9_10device_ptrIyEEEEPS5_m9comp_mod3IyEEE10hipError_tT0_T1_T2_jT3_P12ihipStream_tbPNSt15iterator_traitsISJ_E10value_typeEPNSP_ISK_E10value_typeEPSL_NS1_7vsmem_tEENKUlT_SJ_SK_SL_E_clIPySE_SF_SF_EESI_SY_SJ_SK_SL_EUlSY_E0_NS1_11comp_targetILNS1_3genE10ELNS1_11target_archE1201ELNS1_3gpuE5ELNS1_3repE0EEENS1_38merge_mergepath_config_static_selectorELNS0_4arch9wavefront6targetE0EEEvSK_
		.amdhsa_group_segment_fixed_size 0
		.amdhsa_private_segment_fixed_size 0
		.amdhsa_kernarg_size 80
		.amdhsa_user_sgpr_count 6
		.amdhsa_user_sgpr_private_segment_buffer 1
		.amdhsa_user_sgpr_dispatch_ptr 0
		.amdhsa_user_sgpr_queue_ptr 0
		.amdhsa_user_sgpr_kernarg_segment_ptr 1
		.amdhsa_user_sgpr_dispatch_id 0
		.amdhsa_user_sgpr_flat_scratch_init 0
		.amdhsa_user_sgpr_private_segment_size 0
		.amdhsa_wavefront_size32 1
		.amdhsa_uses_dynamic_stack 0
		.amdhsa_system_sgpr_private_segment_wavefront_offset 0
		.amdhsa_system_sgpr_workgroup_id_x 1
		.amdhsa_system_sgpr_workgroup_id_y 0
		.amdhsa_system_sgpr_workgroup_id_z 0
		.amdhsa_system_sgpr_workgroup_info 0
		.amdhsa_system_vgpr_workitem_id 0
		.amdhsa_next_free_vgpr 1
		.amdhsa_next_free_sgpr 1
		.amdhsa_reserve_vcc 0
		.amdhsa_reserve_flat_scratch 0
		.amdhsa_float_round_mode_32 0
		.amdhsa_float_round_mode_16_64 0
		.amdhsa_float_denorm_mode_32 3
		.amdhsa_float_denorm_mode_16_64 3
		.amdhsa_dx10_clamp 1
		.amdhsa_ieee_mode 1
		.amdhsa_fp16_overflow 0
		.amdhsa_workgroup_processor_mode 1
		.amdhsa_memory_ordered 1
		.amdhsa_forward_progress 1
		.amdhsa_shared_vgpr_count 0
		.amdhsa_exception_fp_ieee_invalid_op 0
		.amdhsa_exception_fp_denorm_src 0
		.amdhsa_exception_fp_ieee_div_zero 0
		.amdhsa_exception_fp_ieee_overflow 0
		.amdhsa_exception_fp_ieee_underflow 0
		.amdhsa_exception_fp_ieee_inexact 0
		.amdhsa_exception_int_div_zero 0
	.end_amdhsa_kernel
	.section	.text._ZN7rocprim17ROCPRIM_400000_NS6detail17trampoline_kernelINS0_14default_configENS1_38merge_sort_block_merge_config_selectorIyNS0_10empty_typeEEEZZNS1_27merge_sort_block_merge_implIS3_N6thrust23THRUST_200600_302600_NS6detail15normal_iteratorINS9_10device_ptrIyEEEEPS5_m9comp_mod3IyEEE10hipError_tT0_T1_T2_jT3_P12ihipStream_tbPNSt15iterator_traitsISJ_E10value_typeEPNSP_ISK_E10value_typeEPSL_NS1_7vsmem_tEENKUlT_SJ_SK_SL_E_clIPySE_SF_SF_EESI_SY_SJ_SK_SL_EUlSY_E0_NS1_11comp_targetILNS1_3genE10ELNS1_11target_archE1201ELNS1_3gpuE5ELNS1_3repE0EEENS1_38merge_mergepath_config_static_selectorELNS0_4arch9wavefront6targetE0EEEvSK_,"axG",@progbits,_ZN7rocprim17ROCPRIM_400000_NS6detail17trampoline_kernelINS0_14default_configENS1_38merge_sort_block_merge_config_selectorIyNS0_10empty_typeEEEZZNS1_27merge_sort_block_merge_implIS3_N6thrust23THRUST_200600_302600_NS6detail15normal_iteratorINS9_10device_ptrIyEEEEPS5_m9comp_mod3IyEEE10hipError_tT0_T1_T2_jT3_P12ihipStream_tbPNSt15iterator_traitsISJ_E10value_typeEPNSP_ISK_E10value_typeEPSL_NS1_7vsmem_tEENKUlT_SJ_SK_SL_E_clIPySE_SF_SF_EESI_SY_SJ_SK_SL_EUlSY_E0_NS1_11comp_targetILNS1_3genE10ELNS1_11target_archE1201ELNS1_3gpuE5ELNS1_3repE0EEENS1_38merge_mergepath_config_static_selectorELNS0_4arch9wavefront6targetE0EEEvSK_,comdat
.Lfunc_end768:
	.size	_ZN7rocprim17ROCPRIM_400000_NS6detail17trampoline_kernelINS0_14default_configENS1_38merge_sort_block_merge_config_selectorIyNS0_10empty_typeEEEZZNS1_27merge_sort_block_merge_implIS3_N6thrust23THRUST_200600_302600_NS6detail15normal_iteratorINS9_10device_ptrIyEEEEPS5_m9comp_mod3IyEEE10hipError_tT0_T1_T2_jT3_P12ihipStream_tbPNSt15iterator_traitsISJ_E10value_typeEPNSP_ISK_E10value_typeEPSL_NS1_7vsmem_tEENKUlT_SJ_SK_SL_E_clIPySE_SF_SF_EESI_SY_SJ_SK_SL_EUlSY_E0_NS1_11comp_targetILNS1_3genE10ELNS1_11target_archE1201ELNS1_3gpuE5ELNS1_3repE0EEENS1_38merge_mergepath_config_static_selectorELNS0_4arch9wavefront6targetE0EEEvSK_, .Lfunc_end768-_ZN7rocprim17ROCPRIM_400000_NS6detail17trampoline_kernelINS0_14default_configENS1_38merge_sort_block_merge_config_selectorIyNS0_10empty_typeEEEZZNS1_27merge_sort_block_merge_implIS3_N6thrust23THRUST_200600_302600_NS6detail15normal_iteratorINS9_10device_ptrIyEEEEPS5_m9comp_mod3IyEEE10hipError_tT0_T1_T2_jT3_P12ihipStream_tbPNSt15iterator_traitsISJ_E10value_typeEPNSP_ISK_E10value_typeEPSL_NS1_7vsmem_tEENKUlT_SJ_SK_SL_E_clIPySE_SF_SF_EESI_SY_SJ_SK_SL_EUlSY_E0_NS1_11comp_targetILNS1_3genE10ELNS1_11target_archE1201ELNS1_3gpuE5ELNS1_3repE0EEENS1_38merge_mergepath_config_static_selectorELNS0_4arch9wavefront6targetE0EEEvSK_
                                        ; -- End function
	.set _ZN7rocprim17ROCPRIM_400000_NS6detail17trampoline_kernelINS0_14default_configENS1_38merge_sort_block_merge_config_selectorIyNS0_10empty_typeEEEZZNS1_27merge_sort_block_merge_implIS3_N6thrust23THRUST_200600_302600_NS6detail15normal_iteratorINS9_10device_ptrIyEEEEPS5_m9comp_mod3IyEEE10hipError_tT0_T1_T2_jT3_P12ihipStream_tbPNSt15iterator_traitsISJ_E10value_typeEPNSP_ISK_E10value_typeEPSL_NS1_7vsmem_tEENKUlT_SJ_SK_SL_E_clIPySE_SF_SF_EESI_SY_SJ_SK_SL_EUlSY_E0_NS1_11comp_targetILNS1_3genE10ELNS1_11target_archE1201ELNS1_3gpuE5ELNS1_3repE0EEENS1_38merge_mergepath_config_static_selectorELNS0_4arch9wavefront6targetE0EEEvSK_.num_vgpr, 0
	.set _ZN7rocprim17ROCPRIM_400000_NS6detail17trampoline_kernelINS0_14default_configENS1_38merge_sort_block_merge_config_selectorIyNS0_10empty_typeEEEZZNS1_27merge_sort_block_merge_implIS3_N6thrust23THRUST_200600_302600_NS6detail15normal_iteratorINS9_10device_ptrIyEEEEPS5_m9comp_mod3IyEEE10hipError_tT0_T1_T2_jT3_P12ihipStream_tbPNSt15iterator_traitsISJ_E10value_typeEPNSP_ISK_E10value_typeEPSL_NS1_7vsmem_tEENKUlT_SJ_SK_SL_E_clIPySE_SF_SF_EESI_SY_SJ_SK_SL_EUlSY_E0_NS1_11comp_targetILNS1_3genE10ELNS1_11target_archE1201ELNS1_3gpuE5ELNS1_3repE0EEENS1_38merge_mergepath_config_static_selectorELNS0_4arch9wavefront6targetE0EEEvSK_.num_agpr, 0
	.set _ZN7rocprim17ROCPRIM_400000_NS6detail17trampoline_kernelINS0_14default_configENS1_38merge_sort_block_merge_config_selectorIyNS0_10empty_typeEEEZZNS1_27merge_sort_block_merge_implIS3_N6thrust23THRUST_200600_302600_NS6detail15normal_iteratorINS9_10device_ptrIyEEEEPS5_m9comp_mod3IyEEE10hipError_tT0_T1_T2_jT3_P12ihipStream_tbPNSt15iterator_traitsISJ_E10value_typeEPNSP_ISK_E10value_typeEPSL_NS1_7vsmem_tEENKUlT_SJ_SK_SL_E_clIPySE_SF_SF_EESI_SY_SJ_SK_SL_EUlSY_E0_NS1_11comp_targetILNS1_3genE10ELNS1_11target_archE1201ELNS1_3gpuE5ELNS1_3repE0EEENS1_38merge_mergepath_config_static_selectorELNS0_4arch9wavefront6targetE0EEEvSK_.numbered_sgpr, 0
	.set _ZN7rocprim17ROCPRIM_400000_NS6detail17trampoline_kernelINS0_14default_configENS1_38merge_sort_block_merge_config_selectorIyNS0_10empty_typeEEEZZNS1_27merge_sort_block_merge_implIS3_N6thrust23THRUST_200600_302600_NS6detail15normal_iteratorINS9_10device_ptrIyEEEEPS5_m9comp_mod3IyEEE10hipError_tT0_T1_T2_jT3_P12ihipStream_tbPNSt15iterator_traitsISJ_E10value_typeEPNSP_ISK_E10value_typeEPSL_NS1_7vsmem_tEENKUlT_SJ_SK_SL_E_clIPySE_SF_SF_EESI_SY_SJ_SK_SL_EUlSY_E0_NS1_11comp_targetILNS1_3genE10ELNS1_11target_archE1201ELNS1_3gpuE5ELNS1_3repE0EEENS1_38merge_mergepath_config_static_selectorELNS0_4arch9wavefront6targetE0EEEvSK_.num_named_barrier, 0
	.set _ZN7rocprim17ROCPRIM_400000_NS6detail17trampoline_kernelINS0_14default_configENS1_38merge_sort_block_merge_config_selectorIyNS0_10empty_typeEEEZZNS1_27merge_sort_block_merge_implIS3_N6thrust23THRUST_200600_302600_NS6detail15normal_iteratorINS9_10device_ptrIyEEEEPS5_m9comp_mod3IyEEE10hipError_tT0_T1_T2_jT3_P12ihipStream_tbPNSt15iterator_traitsISJ_E10value_typeEPNSP_ISK_E10value_typeEPSL_NS1_7vsmem_tEENKUlT_SJ_SK_SL_E_clIPySE_SF_SF_EESI_SY_SJ_SK_SL_EUlSY_E0_NS1_11comp_targetILNS1_3genE10ELNS1_11target_archE1201ELNS1_3gpuE5ELNS1_3repE0EEENS1_38merge_mergepath_config_static_selectorELNS0_4arch9wavefront6targetE0EEEvSK_.private_seg_size, 0
	.set _ZN7rocprim17ROCPRIM_400000_NS6detail17trampoline_kernelINS0_14default_configENS1_38merge_sort_block_merge_config_selectorIyNS0_10empty_typeEEEZZNS1_27merge_sort_block_merge_implIS3_N6thrust23THRUST_200600_302600_NS6detail15normal_iteratorINS9_10device_ptrIyEEEEPS5_m9comp_mod3IyEEE10hipError_tT0_T1_T2_jT3_P12ihipStream_tbPNSt15iterator_traitsISJ_E10value_typeEPNSP_ISK_E10value_typeEPSL_NS1_7vsmem_tEENKUlT_SJ_SK_SL_E_clIPySE_SF_SF_EESI_SY_SJ_SK_SL_EUlSY_E0_NS1_11comp_targetILNS1_3genE10ELNS1_11target_archE1201ELNS1_3gpuE5ELNS1_3repE0EEENS1_38merge_mergepath_config_static_selectorELNS0_4arch9wavefront6targetE0EEEvSK_.uses_vcc, 0
	.set _ZN7rocprim17ROCPRIM_400000_NS6detail17trampoline_kernelINS0_14default_configENS1_38merge_sort_block_merge_config_selectorIyNS0_10empty_typeEEEZZNS1_27merge_sort_block_merge_implIS3_N6thrust23THRUST_200600_302600_NS6detail15normal_iteratorINS9_10device_ptrIyEEEEPS5_m9comp_mod3IyEEE10hipError_tT0_T1_T2_jT3_P12ihipStream_tbPNSt15iterator_traitsISJ_E10value_typeEPNSP_ISK_E10value_typeEPSL_NS1_7vsmem_tEENKUlT_SJ_SK_SL_E_clIPySE_SF_SF_EESI_SY_SJ_SK_SL_EUlSY_E0_NS1_11comp_targetILNS1_3genE10ELNS1_11target_archE1201ELNS1_3gpuE5ELNS1_3repE0EEENS1_38merge_mergepath_config_static_selectorELNS0_4arch9wavefront6targetE0EEEvSK_.uses_flat_scratch, 0
	.set _ZN7rocprim17ROCPRIM_400000_NS6detail17trampoline_kernelINS0_14default_configENS1_38merge_sort_block_merge_config_selectorIyNS0_10empty_typeEEEZZNS1_27merge_sort_block_merge_implIS3_N6thrust23THRUST_200600_302600_NS6detail15normal_iteratorINS9_10device_ptrIyEEEEPS5_m9comp_mod3IyEEE10hipError_tT0_T1_T2_jT3_P12ihipStream_tbPNSt15iterator_traitsISJ_E10value_typeEPNSP_ISK_E10value_typeEPSL_NS1_7vsmem_tEENKUlT_SJ_SK_SL_E_clIPySE_SF_SF_EESI_SY_SJ_SK_SL_EUlSY_E0_NS1_11comp_targetILNS1_3genE10ELNS1_11target_archE1201ELNS1_3gpuE5ELNS1_3repE0EEENS1_38merge_mergepath_config_static_selectorELNS0_4arch9wavefront6targetE0EEEvSK_.has_dyn_sized_stack, 0
	.set _ZN7rocprim17ROCPRIM_400000_NS6detail17trampoline_kernelINS0_14default_configENS1_38merge_sort_block_merge_config_selectorIyNS0_10empty_typeEEEZZNS1_27merge_sort_block_merge_implIS3_N6thrust23THRUST_200600_302600_NS6detail15normal_iteratorINS9_10device_ptrIyEEEEPS5_m9comp_mod3IyEEE10hipError_tT0_T1_T2_jT3_P12ihipStream_tbPNSt15iterator_traitsISJ_E10value_typeEPNSP_ISK_E10value_typeEPSL_NS1_7vsmem_tEENKUlT_SJ_SK_SL_E_clIPySE_SF_SF_EESI_SY_SJ_SK_SL_EUlSY_E0_NS1_11comp_targetILNS1_3genE10ELNS1_11target_archE1201ELNS1_3gpuE5ELNS1_3repE0EEENS1_38merge_mergepath_config_static_selectorELNS0_4arch9wavefront6targetE0EEEvSK_.has_recursion, 0
	.set _ZN7rocprim17ROCPRIM_400000_NS6detail17trampoline_kernelINS0_14default_configENS1_38merge_sort_block_merge_config_selectorIyNS0_10empty_typeEEEZZNS1_27merge_sort_block_merge_implIS3_N6thrust23THRUST_200600_302600_NS6detail15normal_iteratorINS9_10device_ptrIyEEEEPS5_m9comp_mod3IyEEE10hipError_tT0_T1_T2_jT3_P12ihipStream_tbPNSt15iterator_traitsISJ_E10value_typeEPNSP_ISK_E10value_typeEPSL_NS1_7vsmem_tEENKUlT_SJ_SK_SL_E_clIPySE_SF_SF_EESI_SY_SJ_SK_SL_EUlSY_E0_NS1_11comp_targetILNS1_3genE10ELNS1_11target_archE1201ELNS1_3gpuE5ELNS1_3repE0EEENS1_38merge_mergepath_config_static_selectorELNS0_4arch9wavefront6targetE0EEEvSK_.has_indirect_call, 0
	.section	.AMDGPU.csdata,"",@progbits
; Kernel info:
; codeLenInByte = 0
; TotalNumSgprs: 0
; NumVgprs: 0
; ScratchSize: 0
; MemoryBound: 0
; FloatMode: 240
; IeeeMode: 1
; LDSByteSize: 0 bytes/workgroup (compile time only)
; SGPRBlocks: 0
; VGPRBlocks: 0
; NumSGPRsForWavesPerEU: 1
; NumVGPRsForWavesPerEU: 1
; Occupancy: 16
; WaveLimiterHint : 0
; COMPUTE_PGM_RSRC2:SCRATCH_EN: 0
; COMPUTE_PGM_RSRC2:USER_SGPR: 6
; COMPUTE_PGM_RSRC2:TRAP_HANDLER: 0
; COMPUTE_PGM_RSRC2:TGID_X_EN: 1
; COMPUTE_PGM_RSRC2:TGID_Y_EN: 0
; COMPUTE_PGM_RSRC2:TGID_Z_EN: 0
; COMPUTE_PGM_RSRC2:TIDIG_COMP_CNT: 0
	.section	.text._ZN7rocprim17ROCPRIM_400000_NS6detail17trampoline_kernelINS0_14default_configENS1_38merge_sort_block_merge_config_selectorIyNS0_10empty_typeEEEZZNS1_27merge_sort_block_merge_implIS3_N6thrust23THRUST_200600_302600_NS6detail15normal_iteratorINS9_10device_ptrIyEEEEPS5_m9comp_mod3IyEEE10hipError_tT0_T1_T2_jT3_P12ihipStream_tbPNSt15iterator_traitsISJ_E10value_typeEPNSP_ISK_E10value_typeEPSL_NS1_7vsmem_tEENKUlT_SJ_SK_SL_E_clIPySE_SF_SF_EESI_SY_SJ_SK_SL_EUlSY_E0_NS1_11comp_targetILNS1_3genE5ELNS1_11target_archE942ELNS1_3gpuE9ELNS1_3repE0EEENS1_38merge_mergepath_config_static_selectorELNS0_4arch9wavefront6targetE0EEEvSK_,"axG",@progbits,_ZN7rocprim17ROCPRIM_400000_NS6detail17trampoline_kernelINS0_14default_configENS1_38merge_sort_block_merge_config_selectorIyNS0_10empty_typeEEEZZNS1_27merge_sort_block_merge_implIS3_N6thrust23THRUST_200600_302600_NS6detail15normal_iteratorINS9_10device_ptrIyEEEEPS5_m9comp_mod3IyEEE10hipError_tT0_T1_T2_jT3_P12ihipStream_tbPNSt15iterator_traitsISJ_E10value_typeEPNSP_ISK_E10value_typeEPSL_NS1_7vsmem_tEENKUlT_SJ_SK_SL_E_clIPySE_SF_SF_EESI_SY_SJ_SK_SL_EUlSY_E0_NS1_11comp_targetILNS1_3genE5ELNS1_11target_archE942ELNS1_3gpuE9ELNS1_3repE0EEENS1_38merge_mergepath_config_static_selectorELNS0_4arch9wavefront6targetE0EEEvSK_,comdat
	.protected	_ZN7rocprim17ROCPRIM_400000_NS6detail17trampoline_kernelINS0_14default_configENS1_38merge_sort_block_merge_config_selectorIyNS0_10empty_typeEEEZZNS1_27merge_sort_block_merge_implIS3_N6thrust23THRUST_200600_302600_NS6detail15normal_iteratorINS9_10device_ptrIyEEEEPS5_m9comp_mod3IyEEE10hipError_tT0_T1_T2_jT3_P12ihipStream_tbPNSt15iterator_traitsISJ_E10value_typeEPNSP_ISK_E10value_typeEPSL_NS1_7vsmem_tEENKUlT_SJ_SK_SL_E_clIPySE_SF_SF_EESI_SY_SJ_SK_SL_EUlSY_E0_NS1_11comp_targetILNS1_3genE5ELNS1_11target_archE942ELNS1_3gpuE9ELNS1_3repE0EEENS1_38merge_mergepath_config_static_selectorELNS0_4arch9wavefront6targetE0EEEvSK_ ; -- Begin function _ZN7rocprim17ROCPRIM_400000_NS6detail17trampoline_kernelINS0_14default_configENS1_38merge_sort_block_merge_config_selectorIyNS0_10empty_typeEEEZZNS1_27merge_sort_block_merge_implIS3_N6thrust23THRUST_200600_302600_NS6detail15normal_iteratorINS9_10device_ptrIyEEEEPS5_m9comp_mod3IyEEE10hipError_tT0_T1_T2_jT3_P12ihipStream_tbPNSt15iterator_traitsISJ_E10value_typeEPNSP_ISK_E10value_typeEPSL_NS1_7vsmem_tEENKUlT_SJ_SK_SL_E_clIPySE_SF_SF_EESI_SY_SJ_SK_SL_EUlSY_E0_NS1_11comp_targetILNS1_3genE5ELNS1_11target_archE942ELNS1_3gpuE9ELNS1_3repE0EEENS1_38merge_mergepath_config_static_selectorELNS0_4arch9wavefront6targetE0EEEvSK_
	.globl	_ZN7rocprim17ROCPRIM_400000_NS6detail17trampoline_kernelINS0_14default_configENS1_38merge_sort_block_merge_config_selectorIyNS0_10empty_typeEEEZZNS1_27merge_sort_block_merge_implIS3_N6thrust23THRUST_200600_302600_NS6detail15normal_iteratorINS9_10device_ptrIyEEEEPS5_m9comp_mod3IyEEE10hipError_tT0_T1_T2_jT3_P12ihipStream_tbPNSt15iterator_traitsISJ_E10value_typeEPNSP_ISK_E10value_typeEPSL_NS1_7vsmem_tEENKUlT_SJ_SK_SL_E_clIPySE_SF_SF_EESI_SY_SJ_SK_SL_EUlSY_E0_NS1_11comp_targetILNS1_3genE5ELNS1_11target_archE942ELNS1_3gpuE9ELNS1_3repE0EEENS1_38merge_mergepath_config_static_selectorELNS0_4arch9wavefront6targetE0EEEvSK_
	.p2align	8
	.type	_ZN7rocprim17ROCPRIM_400000_NS6detail17trampoline_kernelINS0_14default_configENS1_38merge_sort_block_merge_config_selectorIyNS0_10empty_typeEEEZZNS1_27merge_sort_block_merge_implIS3_N6thrust23THRUST_200600_302600_NS6detail15normal_iteratorINS9_10device_ptrIyEEEEPS5_m9comp_mod3IyEEE10hipError_tT0_T1_T2_jT3_P12ihipStream_tbPNSt15iterator_traitsISJ_E10value_typeEPNSP_ISK_E10value_typeEPSL_NS1_7vsmem_tEENKUlT_SJ_SK_SL_E_clIPySE_SF_SF_EESI_SY_SJ_SK_SL_EUlSY_E0_NS1_11comp_targetILNS1_3genE5ELNS1_11target_archE942ELNS1_3gpuE9ELNS1_3repE0EEENS1_38merge_mergepath_config_static_selectorELNS0_4arch9wavefront6targetE0EEEvSK_,@function
_ZN7rocprim17ROCPRIM_400000_NS6detail17trampoline_kernelINS0_14default_configENS1_38merge_sort_block_merge_config_selectorIyNS0_10empty_typeEEEZZNS1_27merge_sort_block_merge_implIS3_N6thrust23THRUST_200600_302600_NS6detail15normal_iteratorINS9_10device_ptrIyEEEEPS5_m9comp_mod3IyEEE10hipError_tT0_T1_T2_jT3_P12ihipStream_tbPNSt15iterator_traitsISJ_E10value_typeEPNSP_ISK_E10value_typeEPSL_NS1_7vsmem_tEENKUlT_SJ_SK_SL_E_clIPySE_SF_SF_EESI_SY_SJ_SK_SL_EUlSY_E0_NS1_11comp_targetILNS1_3genE5ELNS1_11target_archE942ELNS1_3gpuE9ELNS1_3repE0EEENS1_38merge_mergepath_config_static_selectorELNS0_4arch9wavefront6targetE0EEEvSK_: ; @_ZN7rocprim17ROCPRIM_400000_NS6detail17trampoline_kernelINS0_14default_configENS1_38merge_sort_block_merge_config_selectorIyNS0_10empty_typeEEEZZNS1_27merge_sort_block_merge_implIS3_N6thrust23THRUST_200600_302600_NS6detail15normal_iteratorINS9_10device_ptrIyEEEEPS5_m9comp_mod3IyEEE10hipError_tT0_T1_T2_jT3_P12ihipStream_tbPNSt15iterator_traitsISJ_E10value_typeEPNSP_ISK_E10value_typeEPSL_NS1_7vsmem_tEENKUlT_SJ_SK_SL_E_clIPySE_SF_SF_EESI_SY_SJ_SK_SL_EUlSY_E0_NS1_11comp_targetILNS1_3genE5ELNS1_11target_archE942ELNS1_3gpuE9ELNS1_3repE0EEENS1_38merge_mergepath_config_static_selectorELNS0_4arch9wavefront6targetE0EEEvSK_
; %bb.0:
	.section	.rodata,"a",@progbits
	.p2align	6, 0x0
	.amdhsa_kernel _ZN7rocprim17ROCPRIM_400000_NS6detail17trampoline_kernelINS0_14default_configENS1_38merge_sort_block_merge_config_selectorIyNS0_10empty_typeEEEZZNS1_27merge_sort_block_merge_implIS3_N6thrust23THRUST_200600_302600_NS6detail15normal_iteratorINS9_10device_ptrIyEEEEPS5_m9comp_mod3IyEEE10hipError_tT0_T1_T2_jT3_P12ihipStream_tbPNSt15iterator_traitsISJ_E10value_typeEPNSP_ISK_E10value_typeEPSL_NS1_7vsmem_tEENKUlT_SJ_SK_SL_E_clIPySE_SF_SF_EESI_SY_SJ_SK_SL_EUlSY_E0_NS1_11comp_targetILNS1_3genE5ELNS1_11target_archE942ELNS1_3gpuE9ELNS1_3repE0EEENS1_38merge_mergepath_config_static_selectorELNS0_4arch9wavefront6targetE0EEEvSK_
		.amdhsa_group_segment_fixed_size 0
		.amdhsa_private_segment_fixed_size 0
		.amdhsa_kernarg_size 80
		.amdhsa_user_sgpr_count 6
		.amdhsa_user_sgpr_private_segment_buffer 1
		.amdhsa_user_sgpr_dispatch_ptr 0
		.amdhsa_user_sgpr_queue_ptr 0
		.amdhsa_user_sgpr_kernarg_segment_ptr 1
		.amdhsa_user_sgpr_dispatch_id 0
		.amdhsa_user_sgpr_flat_scratch_init 0
		.amdhsa_user_sgpr_private_segment_size 0
		.amdhsa_wavefront_size32 1
		.amdhsa_uses_dynamic_stack 0
		.amdhsa_system_sgpr_private_segment_wavefront_offset 0
		.amdhsa_system_sgpr_workgroup_id_x 1
		.amdhsa_system_sgpr_workgroup_id_y 0
		.amdhsa_system_sgpr_workgroup_id_z 0
		.amdhsa_system_sgpr_workgroup_info 0
		.amdhsa_system_vgpr_workitem_id 0
		.amdhsa_next_free_vgpr 1
		.amdhsa_next_free_sgpr 1
		.amdhsa_reserve_vcc 0
		.amdhsa_reserve_flat_scratch 0
		.amdhsa_float_round_mode_32 0
		.amdhsa_float_round_mode_16_64 0
		.amdhsa_float_denorm_mode_32 3
		.amdhsa_float_denorm_mode_16_64 3
		.amdhsa_dx10_clamp 1
		.amdhsa_ieee_mode 1
		.amdhsa_fp16_overflow 0
		.amdhsa_workgroup_processor_mode 1
		.amdhsa_memory_ordered 1
		.amdhsa_forward_progress 1
		.amdhsa_shared_vgpr_count 0
		.amdhsa_exception_fp_ieee_invalid_op 0
		.amdhsa_exception_fp_denorm_src 0
		.amdhsa_exception_fp_ieee_div_zero 0
		.amdhsa_exception_fp_ieee_overflow 0
		.amdhsa_exception_fp_ieee_underflow 0
		.amdhsa_exception_fp_ieee_inexact 0
		.amdhsa_exception_int_div_zero 0
	.end_amdhsa_kernel
	.section	.text._ZN7rocprim17ROCPRIM_400000_NS6detail17trampoline_kernelINS0_14default_configENS1_38merge_sort_block_merge_config_selectorIyNS0_10empty_typeEEEZZNS1_27merge_sort_block_merge_implIS3_N6thrust23THRUST_200600_302600_NS6detail15normal_iteratorINS9_10device_ptrIyEEEEPS5_m9comp_mod3IyEEE10hipError_tT0_T1_T2_jT3_P12ihipStream_tbPNSt15iterator_traitsISJ_E10value_typeEPNSP_ISK_E10value_typeEPSL_NS1_7vsmem_tEENKUlT_SJ_SK_SL_E_clIPySE_SF_SF_EESI_SY_SJ_SK_SL_EUlSY_E0_NS1_11comp_targetILNS1_3genE5ELNS1_11target_archE942ELNS1_3gpuE9ELNS1_3repE0EEENS1_38merge_mergepath_config_static_selectorELNS0_4arch9wavefront6targetE0EEEvSK_,"axG",@progbits,_ZN7rocprim17ROCPRIM_400000_NS6detail17trampoline_kernelINS0_14default_configENS1_38merge_sort_block_merge_config_selectorIyNS0_10empty_typeEEEZZNS1_27merge_sort_block_merge_implIS3_N6thrust23THRUST_200600_302600_NS6detail15normal_iteratorINS9_10device_ptrIyEEEEPS5_m9comp_mod3IyEEE10hipError_tT0_T1_T2_jT3_P12ihipStream_tbPNSt15iterator_traitsISJ_E10value_typeEPNSP_ISK_E10value_typeEPSL_NS1_7vsmem_tEENKUlT_SJ_SK_SL_E_clIPySE_SF_SF_EESI_SY_SJ_SK_SL_EUlSY_E0_NS1_11comp_targetILNS1_3genE5ELNS1_11target_archE942ELNS1_3gpuE9ELNS1_3repE0EEENS1_38merge_mergepath_config_static_selectorELNS0_4arch9wavefront6targetE0EEEvSK_,comdat
.Lfunc_end769:
	.size	_ZN7rocprim17ROCPRIM_400000_NS6detail17trampoline_kernelINS0_14default_configENS1_38merge_sort_block_merge_config_selectorIyNS0_10empty_typeEEEZZNS1_27merge_sort_block_merge_implIS3_N6thrust23THRUST_200600_302600_NS6detail15normal_iteratorINS9_10device_ptrIyEEEEPS5_m9comp_mod3IyEEE10hipError_tT0_T1_T2_jT3_P12ihipStream_tbPNSt15iterator_traitsISJ_E10value_typeEPNSP_ISK_E10value_typeEPSL_NS1_7vsmem_tEENKUlT_SJ_SK_SL_E_clIPySE_SF_SF_EESI_SY_SJ_SK_SL_EUlSY_E0_NS1_11comp_targetILNS1_3genE5ELNS1_11target_archE942ELNS1_3gpuE9ELNS1_3repE0EEENS1_38merge_mergepath_config_static_selectorELNS0_4arch9wavefront6targetE0EEEvSK_, .Lfunc_end769-_ZN7rocprim17ROCPRIM_400000_NS6detail17trampoline_kernelINS0_14default_configENS1_38merge_sort_block_merge_config_selectorIyNS0_10empty_typeEEEZZNS1_27merge_sort_block_merge_implIS3_N6thrust23THRUST_200600_302600_NS6detail15normal_iteratorINS9_10device_ptrIyEEEEPS5_m9comp_mod3IyEEE10hipError_tT0_T1_T2_jT3_P12ihipStream_tbPNSt15iterator_traitsISJ_E10value_typeEPNSP_ISK_E10value_typeEPSL_NS1_7vsmem_tEENKUlT_SJ_SK_SL_E_clIPySE_SF_SF_EESI_SY_SJ_SK_SL_EUlSY_E0_NS1_11comp_targetILNS1_3genE5ELNS1_11target_archE942ELNS1_3gpuE9ELNS1_3repE0EEENS1_38merge_mergepath_config_static_selectorELNS0_4arch9wavefront6targetE0EEEvSK_
                                        ; -- End function
	.set _ZN7rocprim17ROCPRIM_400000_NS6detail17trampoline_kernelINS0_14default_configENS1_38merge_sort_block_merge_config_selectorIyNS0_10empty_typeEEEZZNS1_27merge_sort_block_merge_implIS3_N6thrust23THRUST_200600_302600_NS6detail15normal_iteratorINS9_10device_ptrIyEEEEPS5_m9comp_mod3IyEEE10hipError_tT0_T1_T2_jT3_P12ihipStream_tbPNSt15iterator_traitsISJ_E10value_typeEPNSP_ISK_E10value_typeEPSL_NS1_7vsmem_tEENKUlT_SJ_SK_SL_E_clIPySE_SF_SF_EESI_SY_SJ_SK_SL_EUlSY_E0_NS1_11comp_targetILNS1_3genE5ELNS1_11target_archE942ELNS1_3gpuE9ELNS1_3repE0EEENS1_38merge_mergepath_config_static_selectorELNS0_4arch9wavefront6targetE0EEEvSK_.num_vgpr, 0
	.set _ZN7rocprim17ROCPRIM_400000_NS6detail17trampoline_kernelINS0_14default_configENS1_38merge_sort_block_merge_config_selectorIyNS0_10empty_typeEEEZZNS1_27merge_sort_block_merge_implIS3_N6thrust23THRUST_200600_302600_NS6detail15normal_iteratorINS9_10device_ptrIyEEEEPS5_m9comp_mod3IyEEE10hipError_tT0_T1_T2_jT3_P12ihipStream_tbPNSt15iterator_traitsISJ_E10value_typeEPNSP_ISK_E10value_typeEPSL_NS1_7vsmem_tEENKUlT_SJ_SK_SL_E_clIPySE_SF_SF_EESI_SY_SJ_SK_SL_EUlSY_E0_NS1_11comp_targetILNS1_3genE5ELNS1_11target_archE942ELNS1_3gpuE9ELNS1_3repE0EEENS1_38merge_mergepath_config_static_selectorELNS0_4arch9wavefront6targetE0EEEvSK_.num_agpr, 0
	.set _ZN7rocprim17ROCPRIM_400000_NS6detail17trampoline_kernelINS0_14default_configENS1_38merge_sort_block_merge_config_selectorIyNS0_10empty_typeEEEZZNS1_27merge_sort_block_merge_implIS3_N6thrust23THRUST_200600_302600_NS6detail15normal_iteratorINS9_10device_ptrIyEEEEPS5_m9comp_mod3IyEEE10hipError_tT0_T1_T2_jT3_P12ihipStream_tbPNSt15iterator_traitsISJ_E10value_typeEPNSP_ISK_E10value_typeEPSL_NS1_7vsmem_tEENKUlT_SJ_SK_SL_E_clIPySE_SF_SF_EESI_SY_SJ_SK_SL_EUlSY_E0_NS1_11comp_targetILNS1_3genE5ELNS1_11target_archE942ELNS1_3gpuE9ELNS1_3repE0EEENS1_38merge_mergepath_config_static_selectorELNS0_4arch9wavefront6targetE0EEEvSK_.numbered_sgpr, 0
	.set _ZN7rocprim17ROCPRIM_400000_NS6detail17trampoline_kernelINS0_14default_configENS1_38merge_sort_block_merge_config_selectorIyNS0_10empty_typeEEEZZNS1_27merge_sort_block_merge_implIS3_N6thrust23THRUST_200600_302600_NS6detail15normal_iteratorINS9_10device_ptrIyEEEEPS5_m9comp_mod3IyEEE10hipError_tT0_T1_T2_jT3_P12ihipStream_tbPNSt15iterator_traitsISJ_E10value_typeEPNSP_ISK_E10value_typeEPSL_NS1_7vsmem_tEENKUlT_SJ_SK_SL_E_clIPySE_SF_SF_EESI_SY_SJ_SK_SL_EUlSY_E0_NS1_11comp_targetILNS1_3genE5ELNS1_11target_archE942ELNS1_3gpuE9ELNS1_3repE0EEENS1_38merge_mergepath_config_static_selectorELNS0_4arch9wavefront6targetE0EEEvSK_.num_named_barrier, 0
	.set _ZN7rocprim17ROCPRIM_400000_NS6detail17trampoline_kernelINS0_14default_configENS1_38merge_sort_block_merge_config_selectorIyNS0_10empty_typeEEEZZNS1_27merge_sort_block_merge_implIS3_N6thrust23THRUST_200600_302600_NS6detail15normal_iteratorINS9_10device_ptrIyEEEEPS5_m9comp_mod3IyEEE10hipError_tT0_T1_T2_jT3_P12ihipStream_tbPNSt15iterator_traitsISJ_E10value_typeEPNSP_ISK_E10value_typeEPSL_NS1_7vsmem_tEENKUlT_SJ_SK_SL_E_clIPySE_SF_SF_EESI_SY_SJ_SK_SL_EUlSY_E0_NS1_11comp_targetILNS1_3genE5ELNS1_11target_archE942ELNS1_3gpuE9ELNS1_3repE0EEENS1_38merge_mergepath_config_static_selectorELNS0_4arch9wavefront6targetE0EEEvSK_.private_seg_size, 0
	.set _ZN7rocprim17ROCPRIM_400000_NS6detail17trampoline_kernelINS0_14default_configENS1_38merge_sort_block_merge_config_selectorIyNS0_10empty_typeEEEZZNS1_27merge_sort_block_merge_implIS3_N6thrust23THRUST_200600_302600_NS6detail15normal_iteratorINS9_10device_ptrIyEEEEPS5_m9comp_mod3IyEEE10hipError_tT0_T1_T2_jT3_P12ihipStream_tbPNSt15iterator_traitsISJ_E10value_typeEPNSP_ISK_E10value_typeEPSL_NS1_7vsmem_tEENKUlT_SJ_SK_SL_E_clIPySE_SF_SF_EESI_SY_SJ_SK_SL_EUlSY_E0_NS1_11comp_targetILNS1_3genE5ELNS1_11target_archE942ELNS1_3gpuE9ELNS1_3repE0EEENS1_38merge_mergepath_config_static_selectorELNS0_4arch9wavefront6targetE0EEEvSK_.uses_vcc, 0
	.set _ZN7rocprim17ROCPRIM_400000_NS6detail17trampoline_kernelINS0_14default_configENS1_38merge_sort_block_merge_config_selectorIyNS0_10empty_typeEEEZZNS1_27merge_sort_block_merge_implIS3_N6thrust23THRUST_200600_302600_NS6detail15normal_iteratorINS9_10device_ptrIyEEEEPS5_m9comp_mod3IyEEE10hipError_tT0_T1_T2_jT3_P12ihipStream_tbPNSt15iterator_traitsISJ_E10value_typeEPNSP_ISK_E10value_typeEPSL_NS1_7vsmem_tEENKUlT_SJ_SK_SL_E_clIPySE_SF_SF_EESI_SY_SJ_SK_SL_EUlSY_E0_NS1_11comp_targetILNS1_3genE5ELNS1_11target_archE942ELNS1_3gpuE9ELNS1_3repE0EEENS1_38merge_mergepath_config_static_selectorELNS0_4arch9wavefront6targetE0EEEvSK_.uses_flat_scratch, 0
	.set _ZN7rocprim17ROCPRIM_400000_NS6detail17trampoline_kernelINS0_14default_configENS1_38merge_sort_block_merge_config_selectorIyNS0_10empty_typeEEEZZNS1_27merge_sort_block_merge_implIS3_N6thrust23THRUST_200600_302600_NS6detail15normal_iteratorINS9_10device_ptrIyEEEEPS5_m9comp_mod3IyEEE10hipError_tT0_T1_T2_jT3_P12ihipStream_tbPNSt15iterator_traitsISJ_E10value_typeEPNSP_ISK_E10value_typeEPSL_NS1_7vsmem_tEENKUlT_SJ_SK_SL_E_clIPySE_SF_SF_EESI_SY_SJ_SK_SL_EUlSY_E0_NS1_11comp_targetILNS1_3genE5ELNS1_11target_archE942ELNS1_3gpuE9ELNS1_3repE0EEENS1_38merge_mergepath_config_static_selectorELNS0_4arch9wavefront6targetE0EEEvSK_.has_dyn_sized_stack, 0
	.set _ZN7rocprim17ROCPRIM_400000_NS6detail17trampoline_kernelINS0_14default_configENS1_38merge_sort_block_merge_config_selectorIyNS0_10empty_typeEEEZZNS1_27merge_sort_block_merge_implIS3_N6thrust23THRUST_200600_302600_NS6detail15normal_iteratorINS9_10device_ptrIyEEEEPS5_m9comp_mod3IyEEE10hipError_tT0_T1_T2_jT3_P12ihipStream_tbPNSt15iterator_traitsISJ_E10value_typeEPNSP_ISK_E10value_typeEPSL_NS1_7vsmem_tEENKUlT_SJ_SK_SL_E_clIPySE_SF_SF_EESI_SY_SJ_SK_SL_EUlSY_E0_NS1_11comp_targetILNS1_3genE5ELNS1_11target_archE942ELNS1_3gpuE9ELNS1_3repE0EEENS1_38merge_mergepath_config_static_selectorELNS0_4arch9wavefront6targetE0EEEvSK_.has_recursion, 0
	.set _ZN7rocprim17ROCPRIM_400000_NS6detail17trampoline_kernelINS0_14default_configENS1_38merge_sort_block_merge_config_selectorIyNS0_10empty_typeEEEZZNS1_27merge_sort_block_merge_implIS3_N6thrust23THRUST_200600_302600_NS6detail15normal_iteratorINS9_10device_ptrIyEEEEPS5_m9comp_mod3IyEEE10hipError_tT0_T1_T2_jT3_P12ihipStream_tbPNSt15iterator_traitsISJ_E10value_typeEPNSP_ISK_E10value_typeEPSL_NS1_7vsmem_tEENKUlT_SJ_SK_SL_E_clIPySE_SF_SF_EESI_SY_SJ_SK_SL_EUlSY_E0_NS1_11comp_targetILNS1_3genE5ELNS1_11target_archE942ELNS1_3gpuE9ELNS1_3repE0EEENS1_38merge_mergepath_config_static_selectorELNS0_4arch9wavefront6targetE0EEEvSK_.has_indirect_call, 0
	.section	.AMDGPU.csdata,"",@progbits
; Kernel info:
; codeLenInByte = 0
; TotalNumSgprs: 0
; NumVgprs: 0
; ScratchSize: 0
; MemoryBound: 0
; FloatMode: 240
; IeeeMode: 1
; LDSByteSize: 0 bytes/workgroup (compile time only)
; SGPRBlocks: 0
; VGPRBlocks: 0
; NumSGPRsForWavesPerEU: 1
; NumVGPRsForWavesPerEU: 1
; Occupancy: 16
; WaveLimiterHint : 0
; COMPUTE_PGM_RSRC2:SCRATCH_EN: 0
; COMPUTE_PGM_RSRC2:USER_SGPR: 6
; COMPUTE_PGM_RSRC2:TRAP_HANDLER: 0
; COMPUTE_PGM_RSRC2:TGID_X_EN: 1
; COMPUTE_PGM_RSRC2:TGID_Y_EN: 0
; COMPUTE_PGM_RSRC2:TGID_Z_EN: 0
; COMPUTE_PGM_RSRC2:TIDIG_COMP_CNT: 0
	.section	.text._ZN7rocprim17ROCPRIM_400000_NS6detail17trampoline_kernelINS0_14default_configENS1_38merge_sort_block_merge_config_selectorIyNS0_10empty_typeEEEZZNS1_27merge_sort_block_merge_implIS3_N6thrust23THRUST_200600_302600_NS6detail15normal_iteratorINS9_10device_ptrIyEEEEPS5_m9comp_mod3IyEEE10hipError_tT0_T1_T2_jT3_P12ihipStream_tbPNSt15iterator_traitsISJ_E10value_typeEPNSP_ISK_E10value_typeEPSL_NS1_7vsmem_tEENKUlT_SJ_SK_SL_E_clIPySE_SF_SF_EESI_SY_SJ_SK_SL_EUlSY_E0_NS1_11comp_targetILNS1_3genE4ELNS1_11target_archE910ELNS1_3gpuE8ELNS1_3repE0EEENS1_38merge_mergepath_config_static_selectorELNS0_4arch9wavefront6targetE0EEEvSK_,"axG",@progbits,_ZN7rocprim17ROCPRIM_400000_NS6detail17trampoline_kernelINS0_14default_configENS1_38merge_sort_block_merge_config_selectorIyNS0_10empty_typeEEEZZNS1_27merge_sort_block_merge_implIS3_N6thrust23THRUST_200600_302600_NS6detail15normal_iteratorINS9_10device_ptrIyEEEEPS5_m9comp_mod3IyEEE10hipError_tT0_T1_T2_jT3_P12ihipStream_tbPNSt15iterator_traitsISJ_E10value_typeEPNSP_ISK_E10value_typeEPSL_NS1_7vsmem_tEENKUlT_SJ_SK_SL_E_clIPySE_SF_SF_EESI_SY_SJ_SK_SL_EUlSY_E0_NS1_11comp_targetILNS1_3genE4ELNS1_11target_archE910ELNS1_3gpuE8ELNS1_3repE0EEENS1_38merge_mergepath_config_static_selectorELNS0_4arch9wavefront6targetE0EEEvSK_,comdat
	.protected	_ZN7rocprim17ROCPRIM_400000_NS6detail17trampoline_kernelINS0_14default_configENS1_38merge_sort_block_merge_config_selectorIyNS0_10empty_typeEEEZZNS1_27merge_sort_block_merge_implIS3_N6thrust23THRUST_200600_302600_NS6detail15normal_iteratorINS9_10device_ptrIyEEEEPS5_m9comp_mod3IyEEE10hipError_tT0_T1_T2_jT3_P12ihipStream_tbPNSt15iterator_traitsISJ_E10value_typeEPNSP_ISK_E10value_typeEPSL_NS1_7vsmem_tEENKUlT_SJ_SK_SL_E_clIPySE_SF_SF_EESI_SY_SJ_SK_SL_EUlSY_E0_NS1_11comp_targetILNS1_3genE4ELNS1_11target_archE910ELNS1_3gpuE8ELNS1_3repE0EEENS1_38merge_mergepath_config_static_selectorELNS0_4arch9wavefront6targetE0EEEvSK_ ; -- Begin function _ZN7rocprim17ROCPRIM_400000_NS6detail17trampoline_kernelINS0_14default_configENS1_38merge_sort_block_merge_config_selectorIyNS0_10empty_typeEEEZZNS1_27merge_sort_block_merge_implIS3_N6thrust23THRUST_200600_302600_NS6detail15normal_iteratorINS9_10device_ptrIyEEEEPS5_m9comp_mod3IyEEE10hipError_tT0_T1_T2_jT3_P12ihipStream_tbPNSt15iterator_traitsISJ_E10value_typeEPNSP_ISK_E10value_typeEPSL_NS1_7vsmem_tEENKUlT_SJ_SK_SL_E_clIPySE_SF_SF_EESI_SY_SJ_SK_SL_EUlSY_E0_NS1_11comp_targetILNS1_3genE4ELNS1_11target_archE910ELNS1_3gpuE8ELNS1_3repE0EEENS1_38merge_mergepath_config_static_selectorELNS0_4arch9wavefront6targetE0EEEvSK_
	.globl	_ZN7rocprim17ROCPRIM_400000_NS6detail17trampoline_kernelINS0_14default_configENS1_38merge_sort_block_merge_config_selectorIyNS0_10empty_typeEEEZZNS1_27merge_sort_block_merge_implIS3_N6thrust23THRUST_200600_302600_NS6detail15normal_iteratorINS9_10device_ptrIyEEEEPS5_m9comp_mod3IyEEE10hipError_tT0_T1_T2_jT3_P12ihipStream_tbPNSt15iterator_traitsISJ_E10value_typeEPNSP_ISK_E10value_typeEPSL_NS1_7vsmem_tEENKUlT_SJ_SK_SL_E_clIPySE_SF_SF_EESI_SY_SJ_SK_SL_EUlSY_E0_NS1_11comp_targetILNS1_3genE4ELNS1_11target_archE910ELNS1_3gpuE8ELNS1_3repE0EEENS1_38merge_mergepath_config_static_selectorELNS0_4arch9wavefront6targetE0EEEvSK_
	.p2align	8
	.type	_ZN7rocprim17ROCPRIM_400000_NS6detail17trampoline_kernelINS0_14default_configENS1_38merge_sort_block_merge_config_selectorIyNS0_10empty_typeEEEZZNS1_27merge_sort_block_merge_implIS3_N6thrust23THRUST_200600_302600_NS6detail15normal_iteratorINS9_10device_ptrIyEEEEPS5_m9comp_mod3IyEEE10hipError_tT0_T1_T2_jT3_P12ihipStream_tbPNSt15iterator_traitsISJ_E10value_typeEPNSP_ISK_E10value_typeEPSL_NS1_7vsmem_tEENKUlT_SJ_SK_SL_E_clIPySE_SF_SF_EESI_SY_SJ_SK_SL_EUlSY_E0_NS1_11comp_targetILNS1_3genE4ELNS1_11target_archE910ELNS1_3gpuE8ELNS1_3repE0EEENS1_38merge_mergepath_config_static_selectorELNS0_4arch9wavefront6targetE0EEEvSK_,@function
_ZN7rocprim17ROCPRIM_400000_NS6detail17trampoline_kernelINS0_14default_configENS1_38merge_sort_block_merge_config_selectorIyNS0_10empty_typeEEEZZNS1_27merge_sort_block_merge_implIS3_N6thrust23THRUST_200600_302600_NS6detail15normal_iteratorINS9_10device_ptrIyEEEEPS5_m9comp_mod3IyEEE10hipError_tT0_T1_T2_jT3_P12ihipStream_tbPNSt15iterator_traitsISJ_E10value_typeEPNSP_ISK_E10value_typeEPSL_NS1_7vsmem_tEENKUlT_SJ_SK_SL_E_clIPySE_SF_SF_EESI_SY_SJ_SK_SL_EUlSY_E0_NS1_11comp_targetILNS1_3genE4ELNS1_11target_archE910ELNS1_3gpuE8ELNS1_3repE0EEENS1_38merge_mergepath_config_static_selectorELNS0_4arch9wavefront6targetE0EEEvSK_: ; @_ZN7rocprim17ROCPRIM_400000_NS6detail17trampoline_kernelINS0_14default_configENS1_38merge_sort_block_merge_config_selectorIyNS0_10empty_typeEEEZZNS1_27merge_sort_block_merge_implIS3_N6thrust23THRUST_200600_302600_NS6detail15normal_iteratorINS9_10device_ptrIyEEEEPS5_m9comp_mod3IyEEE10hipError_tT0_T1_T2_jT3_P12ihipStream_tbPNSt15iterator_traitsISJ_E10value_typeEPNSP_ISK_E10value_typeEPSL_NS1_7vsmem_tEENKUlT_SJ_SK_SL_E_clIPySE_SF_SF_EESI_SY_SJ_SK_SL_EUlSY_E0_NS1_11comp_targetILNS1_3genE4ELNS1_11target_archE910ELNS1_3gpuE8ELNS1_3repE0EEENS1_38merge_mergepath_config_static_selectorELNS0_4arch9wavefront6targetE0EEEvSK_
; %bb.0:
	.section	.rodata,"a",@progbits
	.p2align	6, 0x0
	.amdhsa_kernel _ZN7rocprim17ROCPRIM_400000_NS6detail17trampoline_kernelINS0_14default_configENS1_38merge_sort_block_merge_config_selectorIyNS0_10empty_typeEEEZZNS1_27merge_sort_block_merge_implIS3_N6thrust23THRUST_200600_302600_NS6detail15normal_iteratorINS9_10device_ptrIyEEEEPS5_m9comp_mod3IyEEE10hipError_tT0_T1_T2_jT3_P12ihipStream_tbPNSt15iterator_traitsISJ_E10value_typeEPNSP_ISK_E10value_typeEPSL_NS1_7vsmem_tEENKUlT_SJ_SK_SL_E_clIPySE_SF_SF_EESI_SY_SJ_SK_SL_EUlSY_E0_NS1_11comp_targetILNS1_3genE4ELNS1_11target_archE910ELNS1_3gpuE8ELNS1_3repE0EEENS1_38merge_mergepath_config_static_selectorELNS0_4arch9wavefront6targetE0EEEvSK_
		.amdhsa_group_segment_fixed_size 0
		.amdhsa_private_segment_fixed_size 0
		.amdhsa_kernarg_size 80
		.amdhsa_user_sgpr_count 6
		.amdhsa_user_sgpr_private_segment_buffer 1
		.amdhsa_user_sgpr_dispatch_ptr 0
		.amdhsa_user_sgpr_queue_ptr 0
		.amdhsa_user_sgpr_kernarg_segment_ptr 1
		.amdhsa_user_sgpr_dispatch_id 0
		.amdhsa_user_sgpr_flat_scratch_init 0
		.amdhsa_user_sgpr_private_segment_size 0
		.amdhsa_wavefront_size32 1
		.amdhsa_uses_dynamic_stack 0
		.amdhsa_system_sgpr_private_segment_wavefront_offset 0
		.amdhsa_system_sgpr_workgroup_id_x 1
		.amdhsa_system_sgpr_workgroup_id_y 0
		.amdhsa_system_sgpr_workgroup_id_z 0
		.amdhsa_system_sgpr_workgroup_info 0
		.amdhsa_system_vgpr_workitem_id 0
		.amdhsa_next_free_vgpr 1
		.amdhsa_next_free_sgpr 1
		.amdhsa_reserve_vcc 0
		.amdhsa_reserve_flat_scratch 0
		.amdhsa_float_round_mode_32 0
		.amdhsa_float_round_mode_16_64 0
		.amdhsa_float_denorm_mode_32 3
		.amdhsa_float_denorm_mode_16_64 3
		.amdhsa_dx10_clamp 1
		.amdhsa_ieee_mode 1
		.amdhsa_fp16_overflow 0
		.amdhsa_workgroup_processor_mode 1
		.amdhsa_memory_ordered 1
		.amdhsa_forward_progress 1
		.amdhsa_shared_vgpr_count 0
		.amdhsa_exception_fp_ieee_invalid_op 0
		.amdhsa_exception_fp_denorm_src 0
		.amdhsa_exception_fp_ieee_div_zero 0
		.amdhsa_exception_fp_ieee_overflow 0
		.amdhsa_exception_fp_ieee_underflow 0
		.amdhsa_exception_fp_ieee_inexact 0
		.amdhsa_exception_int_div_zero 0
	.end_amdhsa_kernel
	.section	.text._ZN7rocprim17ROCPRIM_400000_NS6detail17trampoline_kernelINS0_14default_configENS1_38merge_sort_block_merge_config_selectorIyNS0_10empty_typeEEEZZNS1_27merge_sort_block_merge_implIS3_N6thrust23THRUST_200600_302600_NS6detail15normal_iteratorINS9_10device_ptrIyEEEEPS5_m9comp_mod3IyEEE10hipError_tT0_T1_T2_jT3_P12ihipStream_tbPNSt15iterator_traitsISJ_E10value_typeEPNSP_ISK_E10value_typeEPSL_NS1_7vsmem_tEENKUlT_SJ_SK_SL_E_clIPySE_SF_SF_EESI_SY_SJ_SK_SL_EUlSY_E0_NS1_11comp_targetILNS1_3genE4ELNS1_11target_archE910ELNS1_3gpuE8ELNS1_3repE0EEENS1_38merge_mergepath_config_static_selectorELNS0_4arch9wavefront6targetE0EEEvSK_,"axG",@progbits,_ZN7rocprim17ROCPRIM_400000_NS6detail17trampoline_kernelINS0_14default_configENS1_38merge_sort_block_merge_config_selectorIyNS0_10empty_typeEEEZZNS1_27merge_sort_block_merge_implIS3_N6thrust23THRUST_200600_302600_NS6detail15normal_iteratorINS9_10device_ptrIyEEEEPS5_m9comp_mod3IyEEE10hipError_tT0_T1_T2_jT3_P12ihipStream_tbPNSt15iterator_traitsISJ_E10value_typeEPNSP_ISK_E10value_typeEPSL_NS1_7vsmem_tEENKUlT_SJ_SK_SL_E_clIPySE_SF_SF_EESI_SY_SJ_SK_SL_EUlSY_E0_NS1_11comp_targetILNS1_3genE4ELNS1_11target_archE910ELNS1_3gpuE8ELNS1_3repE0EEENS1_38merge_mergepath_config_static_selectorELNS0_4arch9wavefront6targetE0EEEvSK_,comdat
.Lfunc_end770:
	.size	_ZN7rocprim17ROCPRIM_400000_NS6detail17trampoline_kernelINS0_14default_configENS1_38merge_sort_block_merge_config_selectorIyNS0_10empty_typeEEEZZNS1_27merge_sort_block_merge_implIS3_N6thrust23THRUST_200600_302600_NS6detail15normal_iteratorINS9_10device_ptrIyEEEEPS5_m9comp_mod3IyEEE10hipError_tT0_T1_T2_jT3_P12ihipStream_tbPNSt15iterator_traitsISJ_E10value_typeEPNSP_ISK_E10value_typeEPSL_NS1_7vsmem_tEENKUlT_SJ_SK_SL_E_clIPySE_SF_SF_EESI_SY_SJ_SK_SL_EUlSY_E0_NS1_11comp_targetILNS1_3genE4ELNS1_11target_archE910ELNS1_3gpuE8ELNS1_3repE0EEENS1_38merge_mergepath_config_static_selectorELNS0_4arch9wavefront6targetE0EEEvSK_, .Lfunc_end770-_ZN7rocprim17ROCPRIM_400000_NS6detail17trampoline_kernelINS0_14default_configENS1_38merge_sort_block_merge_config_selectorIyNS0_10empty_typeEEEZZNS1_27merge_sort_block_merge_implIS3_N6thrust23THRUST_200600_302600_NS6detail15normal_iteratorINS9_10device_ptrIyEEEEPS5_m9comp_mod3IyEEE10hipError_tT0_T1_T2_jT3_P12ihipStream_tbPNSt15iterator_traitsISJ_E10value_typeEPNSP_ISK_E10value_typeEPSL_NS1_7vsmem_tEENKUlT_SJ_SK_SL_E_clIPySE_SF_SF_EESI_SY_SJ_SK_SL_EUlSY_E0_NS1_11comp_targetILNS1_3genE4ELNS1_11target_archE910ELNS1_3gpuE8ELNS1_3repE0EEENS1_38merge_mergepath_config_static_selectorELNS0_4arch9wavefront6targetE0EEEvSK_
                                        ; -- End function
	.set _ZN7rocprim17ROCPRIM_400000_NS6detail17trampoline_kernelINS0_14default_configENS1_38merge_sort_block_merge_config_selectorIyNS0_10empty_typeEEEZZNS1_27merge_sort_block_merge_implIS3_N6thrust23THRUST_200600_302600_NS6detail15normal_iteratorINS9_10device_ptrIyEEEEPS5_m9comp_mod3IyEEE10hipError_tT0_T1_T2_jT3_P12ihipStream_tbPNSt15iterator_traitsISJ_E10value_typeEPNSP_ISK_E10value_typeEPSL_NS1_7vsmem_tEENKUlT_SJ_SK_SL_E_clIPySE_SF_SF_EESI_SY_SJ_SK_SL_EUlSY_E0_NS1_11comp_targetILNS1_3genE4ELNS1_11target_archE910ELNS1_3gpuE8ELNS1_3repE0EEENS1_38merge_mergepath_config_static_selectorELNS0_4arch9wavefront6targetE0EEEvSK_.num_vgpr, 0
	.set _ZN7rocprim17ROCPRIM_400000_NS6detail17trampoline_kernelINS0_14default_configENS1_38merge_sort_block_merge_config_selectorIyNS0_10empty_typeEEEZZNS1_27merge_sort_block_merge_implIS3_N6thrust23THRUST_200600_302600_NS6detail15normal_iteratorINS9_10device_ptrIyEEEEPS5_m9comp_mod3IyEEE10hipError_tT0_T1_T2_jT3_P12ihipStream_tbPNSt15iterator_traitsISJ_E10value_typeEPNSP_ISK_E10value_typeEPSL_NS1_7vsmem_tEENKUlT_SJ_SK_SL_E_clIPySE_SF_SF_EESI_SY_SJ_SK_SL_EUlSY_E0_NS1_11comp_targetILNS1_3genE4ELNS1_11target_archE910ELNS1_3gpuE8ELNS1_3repE0EEENS1_38merge_mergepath_config_static_selectorELNS0_4arch9wavefront6targetE0EEEvSK_.num_agpr, 0
	.set _ZN7rocprim17ROCPRIM_400000_NS6detail17trampoline_kernelINS0_14default_configENS1_38merge_sort_block_merge_config_selectorIyNS0_10empty_typeEEEZZNS1_27merge_sort_block_merge_implIS3_N6thrust23THRUST_200600_302600_NS6detail15normal_iteratorINS9_10device_ptrIyEEEEPS5_m9comp_mod3IyEEE10hipError_tT0_T1_T2_jT3_P12ihipStream_tbPNSt15iterator_traitsISJ_E10value_typeEPNSP_ISK_E10value_typeEPSL_NS1_7vsmem_tEENKUlT_SJ_SK_SL_E_clIPySE_SF_SF_EESI_SY_SJ_SK_SL_EUlSY_E0_NS1_11comp_targetILNS1_3genE4ELNS1_11target_archE910ELNS1_3gpuE8ELNS1_3repE0EEENS1_38merge_mergepath_config_static_selectorELNS0_4arch9wavefront6targetE0EEEvSK_.numbered_sgpr, 0
	.set _ZN7rocprim17ROCPRIM_400000_NS6detail17trampoline_kernelINS0_14default_configENS1_38merge_sort_block_merge_config_selectorIyNS0_10empty_typeEEEZZNS1_27merge_sort_block_merge_implIS3_N6thrust23THRUST_200600_302600_NS6detail15normal_iteratorINS9_10device_ptrIyEEEEPS5_m9comp_mod3IyEEE10hipError_tT0_T1_T2_jT3_P12ihipStream_tbPNSt15iterator_traitsISJ_E10value_typeEPNSP_ISK_E10value_typeEPSL_NS1_7vsmem_tEENKUlT_SJ_SK_SL_E_clIPySE_SF_SF_EESI_SY_SJ_SK_SL_EUlSY_E0_NS1_11comp_targetILNS1_3genE4ELNS1_11target_archE910ELNS1_3gpuE8ELNS1_3repE0EEENS1_38merge_mergepath_config_static_selectorELNS0_4arch9wavefront6targetE0EEEvSK_.num_named_barrier, 0
	.set _ZN7rocprim17ROCPRIM_400000_NS6detail17trampoline_kernelINS0_14default_configENS1_38merge_sort_block_merge_config_selectorIyNS0_10empty_typeEEEZZNS1_27merge_sort_block_merge_implIS3_N6thrust23THRUST_200600_302600_NS6detail15normal_iteratorINS9_10device_ptrIyEEEEPS5_m9comp_mod3IyEEE10hipError_tT0_T1_T2_jT3_P12ihipStream_tbPNSt15iterator_traitsISJ_E10value_typeEPNSP_ISK_E10value_typeEPSL_NS1_7vsmem_tEENKUlT_SJ_SK_SL_E_clIPySE_SF_SF_EESI_SY_SJ_SK_SL_EUlSY_E0_NS1_11comp_targetILNS1_3genE4ELNS1_11target_archE910ELNS1_3gpuE8ELNS1_3repE0EEENS1_38merge_mergepath_config_static_selectorELNS0_4arch9wavefront6targetE0EEEvSK_.private_seg_size, 0
	.set _ZN7rocprim17ROCPRIM_400000_NS6detail17trampoline_kernelINS0_14default_configENS1_38merge_sort_block_merge_config_selectorIyNS0_10empty_typeEEEZZNS1_27merge_sort_block_merge_implIS3_N6thrust23THRUST_200600_302600_NS6detail15normal_iteratorINS9_10device_ptrIyEEEEPS5_m9comp_mod3IyEEE10hipError_tT0_T1_T2_jT3_P12ihipStream_tbPNSt15iterator_traitsISJ_E10value_typeEPNSP_ISK_E10value_typeEPSL_NS1_7vsmem_tEENKUlT_SJ_SK_SL_E_clIPySE_SF_SF_EESI_SY_SJ_SK_SL_EUlSY_E0_NS1_11comp_targetILNS1_3genE4ELNS1_11target_archE910ELNS1_3gpuE8ELNS1_3repE0EEENS1_38merge_mergepath_config_static_selectorELNS0_4arch9wavefront6targetE0EEEvSK_.uses_vcc, 0
	.set _ZN7rocprim17ROCPRIM_400000_NS6detail17trampoline_kernelINS0_14default_configENS1_38merge_sort_block_merge_config_selectorIyNS0_10empty_typeEEEZZNS1_27merge_sort_block_merge_implIS3_N6thrust23THRUST_200600_302600_NS6detail15normal_iteratorINS9_10device_ptrIyEEEEPS5_m9comp_mod3IyEEE10hipError_tT0_T1_T2_jT3_P12ihipStream_tbPNSt15iterator_traitsISJ_E10value_typeEPNSP_ISK_E10value_typeEPSL_NS1_7vsmem_tEENKUlT_SJ_SK_SL_E_clIPySE_SF_SF_EESI_SY_SJ_SK_SL_EUlSY_E0_NS1_11comp_targetILNS1_3genE4ELNS1_11target_archE910ELNS1_3gpuE8ELNS1_3repE0EEENS1_38merge_mergepath_config_static_selectorELNS0_4arch9wavefront6targetE0EEEvSK_.uses_flat_scratch, 0
	.set _ZN7rocprim17ROCPRIM_400000_NS6detail17trampoline_kernelINS0_14default_configENS1_38merge_sort_block_merge_config_selectorIyNS0_10empty_typeEEEZZNS1_27merge_sort_block_merge_implIS3_N6thrust23THRUST_200600_302600_NS6detail15normal_iteratorINS9_10device_ptrIyEEEEPS5_m9comp_mod3IyEEE10hipError_tT0_T1_T2_jT3_P12ihipStream_tbPNSt15iterator_traitsISJ_E10value_typeEPNSP_ISK_E10value_typeEPSL_NS1_7vsmem_tEENKUlT_SJ_SK_SL_E_clIPySE_SF_SF_EESI_SY_SJ_SK_SL_EUlSY_E0_NS1_11comp_targetILNS1_3genE4ELNS1_11target_archE910ELNS1_3gpuE8ELNS1_3repE0EEENS1_38merge_mergepath_config_static_selectorELNS0_4arch9wavefront6targetE0EEEvSK_.has_dyn_sized_stack, 0
	.set _ZN7rocprim17ROCPRIM_400000_NS6detail17trampoline_kernelINS0_14default_configENS1_38merge_sort_block_merge_config_selectorIyNS0_10empty_typeEEEZZNS1_27merge_sort_block_merge_implIS3_N6thrust23THRUST_200600_302600_NS6detail15normal_iteratorINS9_10device_ptrIyEEEEPS5_m9comp_mod3IyEEE10hipError_tT0_T1_T2_jT3_P12ihipStream_tbPNSt15iterator_traitsISJ_E10value_typeEPNSP_ISK_E10value_typeEPSL_NS1_7vsmem_tEENKUlT_SJ_SK_SL_E_clIPySE_SF_SF_EESI_SY_SJ_SK_SL_EUlSY_E0_NS1_11comp_targetILNS1_3genE4ELNS1_11target_archE910ELNS1_3gpuE8ELNS1_3repE0EEENS1_38merge_mergepath_config_static_selectorELNS0_4arch9wavefront6targetE0EEEvSK_.has_recursion, 0
	.set _ZN7rocprim17ROCPRIM_400000_NS6detail17trampoline_kernelINS0_14default_configENS1_38merge_sort_block_merge_config_selectorIyNS0_10empty_typeEEEZZNS1_27merge_sort_block_merge_implIS3_N6thrust23THRUST_200600_302600_NS6detail15normal_iteratorINS9_10device_ptrIyEEEEPS5_m9comp_mod3IyEEE10hipError_tT0_T1_T2_jT3_P12ihipStream_tbPNSt15iterator_traitsISJ_E10value_typeEPNSP_ISK_E10value_typeEPSL_NS1_7vsmem_tEENKUlT_SJ_SK_SL_E_clIPySE_SF_SF_EESI_SY_SJ_SK_SL_EUlSY_E0_NS1_11comp_targetILNS1_3genE4ELNS1_11target_archE910ELNS1_3gpuE8ELNS1_3repE0EEENS1_38merge_mergepath_config_static_selectorELNS0_4arch9wavefront6targetE0EEEvSK_.has_indirect_call, 0
	.section	.AMDGPU.csdata,"",@progbits
; Kernel info:
; codeLenInByte = 0
; TotalNumSgprs: 0
; NumVgprs: 0
; ScratchSize: 0
; MemoryBound: 0
; FloatMode: 240
; IeeeMode: 1
; LDSByteSize: 0 bytes/workgroup (compile time only)
; SGPRBlocks: 0
; VGPRBlocks: 0
; NumSGPRsForWavesPerEU: 1
; NumVGPRsForWavesPerEU: 1
; Occupancy: 16
; WaveLimiterHint : 0
; COMPUTE_PGM_RSRC2:SCRATCH_EN: 0
; COMPUTE_PGM_RSRC2:USER_SGPR: 6
; COMPUTE_PGM_RSRC2:TRAP_HANDLER: 0
; COMPUTE_PGM_RSRC2:TGID_X_EN: 1
; COMPUTE_PGM_RSRC2:TGID_Y_EN: 0
; COMPUTE_PGM_RSRC2:TGID_Z_EN: 0
; COMPUTE_PGM_RSRC2:TIDIG_COMP_CNT: 0
	.section	.text._ZN7rocprim17ROCPRIM_400000_NS6detail17trampoline_kernelINS0_14default_configENS1_38merge_sort_block_merge_config_selectorIyNS0_10empty_typeEEEZZNS1_27merge_sort_block_merge_implIS3_N6thrust23THRUST_200600_302600_NS6detail15normal_iteratorINS9_10device_ptrIyEEEEPS5_m9comp_mod3IyEEE10hipError_tT0_T1_T2_jT3_P12ihipStream_tbPNSt15iterator_traitsISJ_E10value_typeEPNSP_ISK_E10value_typeEPSL_NS1_7vsmem_tEENKUlT_SJ_SK_SL_E_clIPySE_SF_SF_EESI_SY_SJ_SK_SL_EUlSY_E0_NS1_11comp_targetILNS1_3genE3ELNS1_11target_archE908ELNS1_3gpuE7ELNS1_3repE0EEENS1_38merge_mergepath_config_static_selectorELNS0_4arch9wavefront6targetE0EEEvSK_,"axG",@progbits,_ZN7rocprim17ROCPRIM_400000_NS6detail17trampoline_kernelINS0_14default_configENS1_38merge_sort_block_merge_config_selectorIyNS0_10empty_typeEEEZZNS1_27merge_sort_block_merge_implIS3_N6thrust23THRUST_200600_302600_NS6detail15normal_iteratorINS9_10device_ptrIyEEEEPS5_m9comp_mod3IyEEE10hipError_tT0_T1_T2_jT3_P12ihipStream_tbPNSt15iterator_traitsISJ_E10value_typeEPNSP_ISK_E10value_typeEPSL_NS1_7vsmem_tEENKUlT_SJ_SK_SL_E_clIPySE_SF_SF_EESI_SY_SJ_SK_SL_EUlSY_E0_NS1_11comp_targetILNS1_3genE3ELNS1_11target_archE908ELNS1_3gpuE7ELNS1_3repE0EEENS1_38merge_mergepath_config_static_selectorELNS0_4arch9wavefront6targetE0EEEvSK_,comdat
	.protected	_ZN7rocprim17ROCPRIM_400000_NS6detail17trampoline_kernelINS0_14default_configENS1_38merge_sort_block_merge_config_selectorIyNS0_10empty_typeEEEZZNS1_27merge_sort_block_merge_implIS3_N6thrust23THRUST_200600_302600_NS6detail15normal_iteratorINS9_10device_ptrIyEEEEPS5_m9comp_mod3IyEEE10hipError_tT0_T1_T2_jT3_P12ihipStream_tbPNSt15iterator_traitsISJ_E10value_typeEPNSP_ISK_E10value_typeEPSL_NS1_7vsmem_tEENKUlT_SJ_SK_SL_E_clIPySE_SF_SF_EESI_SY_SJ_SK_SL_EUlSY_E0_NS1_11comp_targetILNS1_3genE3ELNS1_11target_archE908ELNS1_3gpuE7ELNS1_3repE0EEENS1_38merge_mergepath_config_static_selectorELNS0_4arch9wavefront6targetE0EEEvSK_ ; -- Begin function _ZN7rocprim17ROCPRIM_400000_NS6detail17trampoline_kernelINS0_14default_configENS1_38merge_sort_block_merge_config_selectorIyNS0_10empty_typeEEEZZNS1_27merge_sort_block_merge_implIS3_N6thrust23THRUST_200600_302600_NS6detail15normal_iteratorINS9_10device_ptrIyEEEEPS5_m9comp_mod3IyEEE10hipError_tT0_T1_T2_jT3_P12ihipStream_tbPNSt15iterator_traitsISJ_E10value_typeEPNSP_ISK_E10value_typeEPSL_NS1_7vsmem_tEENKUlT_SJ_SK_SL_E_clIPySE_SF_SF_EESI_SY_SJ_SK_SL_EUlSY_E0_NS1_11comp_targetILNS1_3genE3ELNS1_11target_archE908ELNS1_3gpuE7ELNS1_3repE0EEENS1_38merge_mergepath_config_static_selectorELNS0_4arch9wavefront6targetE0EEEvSK_
	.globl	_ZN7rocprim17ROCPRIM_400000_NS6detail17trampoline_kernelINS0_14default_configENS1_38merge_sort_block_merge_config_selectorIyNS0_10empty_typeEEEZZNS1_27merge_sort_block_merge_implIS3_N6thrust23THRUST_200600_302600_NS6detail15normal_iteratorINS9_10device_ptrIyEEEEPS5_m9comp_mod3IyEEE10hipError_tT0_T1_T2_jT3_P12ihipStream_tbPNSt15iterator_traitsISJ_E10value_typeEPNSP_ISK_E10value_typeEPSL_NS1_7vsmem_tEENKUlT_SJ_SK_SL_E_clIPySE_SF_SF_EESI_SY_SJ_SK_SL_EUlSY_E0_NS1_11comp_targetILNS1_3genE3ELNS1_11target_archE908ELNS1_3gpuE7ELNS1_3repE0EEENS1_38merge_mergepath_config_static_selectorELNS0_4arch9wavefront6targetE0EEEvSK_
	.p2align	8
	.type	_ZN7rocprim17ROCPRIM_400000_NS6detail17trampoline_kernelINS0_14default_configENS1_38merge_sort_block_merge_config_selectorIyNS0_10empty_typeEEEZZNS1_27merge_sort_block_merge_implIS3_N6thrust23THRUST_200600_302600_NS6detail15normal_iteratorINS9_10device_ptrIyEEEEPS5_m9comp_mod3IyEEE10hipError_tT0_T1_T2_jT3_P12ihipStream_tbPNSt15iterator_traitsISJ_E10value_typeEPNSP_ISK_E10value_typeEPSL_NS1_7vsmem_tEENKUlT_SJ_SK_SL_E_clIPySE_SF_SF_EESI_SY_SJ_SK_SL_EUlSY_E0_NS1_11comp_targetILNS1_3genE3ELNS1_11target_archE908ELNS1_3gpuE7ELNS1_3repE0EEENS1_38merge_mergepath_config_static_selectorELNS0_4arch9wavefront6targetE0EEEvSK_,@function
_ZN7rocprim17ROCPRIM_400000_NS6detail17trampoline_kernelINS0_14default_configENS1_38merge_sort_block_merge_config_selectorIyNS0_10empty_typeEEEZZNS1_27merge_sort_block_merge_implIS3_N6thrust23THRUST_200600_302600_NS6detail15normal_iteratorINS9_10device_ptrIyEEEEPS5_m9comp_mod3IyEEE10hipError_tT0_T1_T2_jT3_P12ihipStream_tbPNSt15iterator_traitsISJ_E10value_typeEPNSP_ISK_E10value_typeEPSL_NS1_7vsmem_tEENKUlT_SJ_SK_SL_E_clIPySE_SF_SF_EESI_SY_SJ_SK_SL_EUlSY_E0_NS1_11comp_targetILNS1_3genE3ELNS1_11target_archE908ELNS1_3gpuE7ELNS1_3repE0EEENS1_38merge_mergepath_config_static_selectorELNS0_4arch9wavefront6targetE0EEEvSK_: ; @_ZN7rocprim17ROCPRIM_400000_NS6detail17trampoline_kernelINS0_14default_configENS1_38merge_sort_block_merge_config_selectorIyNS0_10empty_typeEEEZZNS1_27merge_sort_block_merge_implIS3_N6thrust23THRUST_200600_302600_NS6detail15normal_iteratorINS9_10device_ptrIyEEEEPS5_m9comp_mod3IyEEE10hipError_tT0_T1_T2_jT3_P12ihipStream_tbPNSt15iterator_traitsISJ_E10value_typeEPNSP_ISK_E10value_typeEPSL_NS1_7vsmem_tEENKUlT_SJ_SK_SL_E_clIPySE_SF_SF_EESI_SY_SJ_SK_SL_EUlSY_E0_NS1_11comp_targetILNS1_3genE3ELNS1_11target_archE908ELNS1_3gpuE7ELNS1_3repE0EEENS1_38merge_mergepath_config_static_selectorELNS0_4arch9wavefront6targetE0EEEvSK_
; %bb.0:
	.section	.rodata,"a",@progbits
	.p2align	6, 0x0
	.amdhsa_kernel _ZN7rocprim17ROCPRIM_400000_NS6detail17trampoline_kernelINS0_14default_configENS1_38merge_sort_block_merge_config_selectorIyNS0_10empty_typeEEEZZNS1_27merge_sort_block_merge_implIS3_N6thrust23THRUST_200600_302600_NS6detail15normal_iteratorINS9_10device_ptrIyEEEEPS5_m9comp_mod3IyEEE10hipError_tT0_T1_T2_jT3_P12ihipStream_tbPNSt15iterator_traitsISJ_E10value_typeEPNSP_ISK_E10value_typeEPSL_NS1_7vsmem_tEENKUlT_SJ_SK_SL_E_clIPySE_SF_SF_EESI_SY_SJ_SK_SL_EUlSY_E0_NS1_11comp_targetILNS1_3genE3ELNS1_11target_archE908ELNS1_3gpuE7ELNS1_3repE0EEENS1_38merge_mergepath_config_static_selectorELNS0_4arch9wavefront6targetE0EEEvSK_
		.amdhsa_group_segment_fixed_size 0
		.amdhsa_private_segment_fixed_size 0
		.amdhsa_kernarg_size 80
		.amdhsa_user_sgpr_count 6
		.amdhsa_user_sgpr_private_segment_buffer 1
		.amdhsa_user_sgpr_dispatch_ptr 0
		.amdhsa_user_sgpr_queue_ptr 0
		.amdhsa_user_sgpr_kernarg_segment_ptr 1
		.amdhsa_user_sgpr_dispatch_id 0
		.amdhsa_user_sgpr_flat_scratch_init 0
		.amdhsa_user_sgpr_private_segment_size 0
		.amdhsa_wavefront_size32 1
		.amdhsa_uses_dynamic_stack 0
		.amdhsa_system_sgpr_private_segment_wavefront_offset 0
		.amdhsa_system_sgpr_workgroup_id_x 1
		.amdhsa_system_sgpr_workgroup_id_y 0
		.amdhsa_system_sgpr_workgroup_id_z 0
		.amdhsa_system_sgpr_workgroup_info 0
		.amdhsa_system_vgpr_workitem_id 0
		.amdhsa_next_free_vgpr 1
		.amdhsa_next_free_sgpr 1
		.amdhsa_reserve_vcc 0
		.amdhsa_reserve_flat_scratch 0
		.amdhsa_float_round_mode_32 0
		.amdhsa_float_round_mode_16_64 0
		.amdhsa_float_denorm_mode_32 3
		.amdhsa_float_denorm_mode_16_64 3
		.amdhsa_dx10_clamp 1
		.amdhsa_ieee_mode 1
		.amdhsa_fp16_overflow 0
		.amdhsa_workgroup_processor_mode 1
		.amdhsa_memory_ordered 1
		.amdhsa_forward_progress 1
		.amdhsa_shared_vgpr_count 0
		.amdhsa_exception_fp_ieee_invalid_op 0
		.amdhsa_exception_fp_denorm_src 0
		.amdhsa_exception_fp_ieee_div_zero 0
		.amdhsa_exception_fp_ieee_overflow 0
		.amdhsa_exception_fp_ieee_underflow 0
		.amdhsa_exception_fp_ieee_inexact 0
		.amdhsa_exception_int_div_zero 0
	.end_amdhsa_kernel
	.section	.text._ZN7rocprim17ROCPRIM_400000_NS6detail17trampoline_kernelINS0_14default_configENS1_38merge_sort_block_merge_config_selectorIyNS0_10empty_typeEEEZZNS1_27merge_sort_block_merge_implIS3_N6thrust23THRUST_200600_302600_NS6detail15normal_iteratorINS9_10device_ptrIyEEEEPS5_m9comp_mod3IyEEE10hipError_tT0_T1_T2_jT3_P12ihipStream_tbPNSt15iterator_traitsISJ_E10value_typeEPNSP_ISK_E10value_typeEPSL_NS1_7vsmem_tEENKUlT_SJ_SK_SL_E_clIPySE_SF_SF_EESI_SY_SJ_SK_SL_EUlSY_E0_NS1_11comp_targetILNS1_3genE3ELNS1_11target_archE908ELNS1_3gpuE7ELNS1_3repE0EEENS1_38merge_mergepath_config_static_selectorELNS0_4arch9wavefront6targetE0EEEvSK_,"axG",@progbits,_ZN7rocprim17ROCPRIM_400000_NS6detail17trampoline_kernelINS0_14default_configENS1_38merge_sort_block_merge_config_selectorIyNS0_10empty_typeEEEZZNS1_27merge_sort_block_merge_implIS3_N6thrust23THRUST_200600_302600_NS6detail15normal_iteratorINS9_10device_ptrIyEEEEPS5_m9comp_mod3IyEEE10hipError_tT0_T1_T2_jT3_P12ihipStream_tbPNSt15iterator_traitsISJ_E10value_typeEPNSP_ISK_E10value_typeEPSL_NS1_7vsmem_tEENKUlT_SJ_SK_SL_E_clIPySE_SF_SF_EESI_SY_SJ_SK_SL_EUlSY_E0_NS1_11comp_targetILNS1_3genE3ELNS1_11target_archE908ELNS1_3gpuE7ELNS1_3repE0EEENS1_38merge_mergepath_config_static_selectorELNS0_4arch9wavefront6targetE0EEEvSK_,comdat
.Lfunc_end771:
	.size	_ZN7rocprim17ROCPRIM_400000_NS6detail17trampoline_kernelINS0_14default_configENS1_38merge_sort_block_merge_config_selectorIyNS0_10empty_typeEEEZZNS1_27merge_sort_block_merge_implIS3_N6thrust23THRUST_200600_302600_NS6detail15normal_iteratorINS9_10device_ptrIyEEEEPS5_m9comp_mod3IyEEE10hipError_tT0_T1_T2_jT3_P12ihipStream_tbPNSt15iterator_traitsISJ_E10value_typeEPNSP_ISK_E10value_typeEPSL_NS1_7vsmem_tEENKUlT_SJ_SK_SL_E_clIPySE_SF_SF_EESI_SY_SJ_SK_SL_EUlSY_E0_NS1_11comp_targetILNS1_3genE3ELNS1_11target_archE908ELNS1_3gpuE7ELNS1_3repE0EEENS1_38merge_mergepath_config_static_selectorELNS0_4arch9wavefront6targetE0EEEvSK_, .Lfunc_end771-_ZN7rocprim17ROCPRIM_400000_NS6detail17trampoline_kernelINS0_14default_configENS1_38merge_sort_block_merge_config_selectorIyNS0_10empty_typeEEEZZNS1_27merge_sort_block_merge_implIS3_N6thrust23THRUST_200600_302600_NS6detail15normal_iteratorINS9_10device_ptrIyEEEEPS5_m9comp_mod3IyEEE10hipError_tT0_T1_T2_jT3_P12ihipStream_tbPNSt15iterator_traitsISJ_E10value_typeEPNSP_ISK_E10value_typeEPSL_NS1_7vsmem_tEENKUlT_SJ_SK_SL_E_clIPySE_SF_SF_EESI_SY_SJ_SK_SL_EUlSY_E0_NS1_11comp_targetILNS1_3genE3ELNS1_11target_archE908ELNS1_3gpuE7ELNS1_3repE0EEENS1_38merge_mergepath_config_static_selectorELNS0_4arch9wavefront6targetE0EEEvSK_
                                        ; -- End function
	.set _ZN7rocprim17ROCPRIM_400000_NS6detail17trampoline_kernelINS0_14default_configENS1_38merge_sort_block_merge_config_selectorIyNS0_10empty_typeEEEZZNS1_27merge_sort_block_merge_implIS3_N6thrust23THRUST_200600_302600_NS6detail15normal_iteratorINS9_10device_ptrIyEEEEPS5_m9comp_mod3IyEEE10hipError_tT0_T1_T2_jT3_P12ihipStream_tbPNSt15iterator_traitsISJ_E10value_typeEPNSP_ISK_E10value_typeEPSL_NS1_7vsmem_tEENKUlT_SJ_SK_SL_E_clIPySE_SF_SF_EESI_SY_SJ_SK_SL_EUlSY_E0_NS1_11comp_targetILNS1_3genE3ELNS1_11target_archE908ELNS1_3gpuE7ELNS1_3repE0EEENS1_38merge_mergepath_config_static_selectorELNS0_4arch9wavefront6targetE0EEEvSK_.num_vgpr, 0
	.set _ZN7rocprim17ROCPRIM_400000_NS6detail17trampoline_kernelINS0_14default_configENS1_38merge_sort_block_merge_config_selectorIyNS0_10empty_typeEEEZZNS1_27merge_sort_block_merge_implIS3_N6thrust23THRUST_200600_302600_NS6detail15normal_iteratorINS9_10device_ptrIyEEEEPS5_m9comp_mod3IyEEE10hipError_tT0_T1_T2_jT3_P12ihipStream_tbPNSt15iterator_traitsISJ_E10value_typeEPNSP_ISK_E10value_typeEPSL_NS1_7vsmem_tEENKUlT_SJ_SK_SL_E_clIPySE_SF_SF_EESI_SY_SJ_SK_SL_EUlSY_E0_NS1_11comp_targetILNS1_3genE3ELNS1_11target_archE908ELNS1_3gpuE7ELNS1_3repE0EEENS1_38merge_mergepath_config_static_selectorELNS0_4arch9wavefront6targetE0EEEvSK_.num_agpr, 0
	.set _ZN7rocprim17ROCPRIM_400000_NS6detail17trampoline_kernelINS0_14default_configENS1_38merge_sort_block_merge_config_selectorIyNS0_10empty_typeEEEZZNS1_27merge_sort_block_merge_implIS3_N6thrust23THRUST_200600_302600_NS6detail15normal_iteratorINS9_10device_ptrIyEEEEPS5_m9comp_mod3IyEEE10hipError_tT0_T1_T2_jT3_P12ihipStream_tbPNSt15iterator_traitsISJ_E10value_typeEPNSP_ISK_E10value_typeEPSL_NS1_7vsmem_tEENKUlT_SJ_SK_SL_E_clIPySE_SF_SF_EESI_SY_SJ_SK_SL_EUlSY_E0_NS1_11comp_targetILNS1_3genE3ELNS1_11target_archE908ELNS1_3gpuE7ELNS1_3repE0EEENS1_38merge_mergepath_config_static_selectorELNS0_4arch9wavefront6targetE0EEEvSK_.numbered_sgpr, 0
	.set _ZN7rocprim17ROCPRIM_400000_NS6detail17trampoline_kernelINS0_14default_configENS1_38merge_sort_block_merge_config_selectorIyNS0_10empty_typeEEEZZNS1_27merge_sort_block_merge_implIS3_N6thrust23THRUST_200600_302600_NS6detail15normal_iteratorINS9_10device_ptrIyEEEEPS5_m9comp_mod3IyEEE10hipError_tT0_T1_T2_jT3_P12ihipStream_tbPNSt15iterator_traitsISJ_E10value_typeEPNSP_ISK_E10value_typeEPSL_NS1_7vsmem_tEENKUlT_SJ_SK_SL_E_clIPySE_SF_SF_EESI_SY_SJ_SK_SL_EUlSY_E0_NS1_11comp_targetILNS1_3genE3ELNS1_11target_archE908ELNS1_3gpuE7ELNS1_3repE0EEENS1_38merge_mergepath_config_static_selectorELNS0_4arch9wavefront6targetE0EEEvSK_.num_named_barrier, 0
	.set _ZN7rocprim17ROCPRIM_400000_NS6detail17trampoline_kernelINS0_14default_configENS1_38merge_sort_block_merge_config_selectorIyNS0_10empty_typeEEEZZNS1_27merge_sort_block_merge_implIS3_N6thrust23THRUST_200600_302600_NS6detail15normal_iteratorINS9_10device_ptrIyEEEEPS5_m9comp_mod3IyEEE10hipError_tT0_T1_T2_jT3_P12ihipStream_tbPNSt15iterator_traitsISJ_E10value_typeEPNSP_ISK_E10value_typeEPSL_NS1_7vsmem_tEENKUlT_SJ_SK_SL_E_clIPySE_SF_SF_EESI_SY_SJ_SK_SL_EUlSY_E0_NS1_11comp_targetILNS1_3genE3ELNS1_11target_archE908ELNS1_3gpuE7ELNS1_3repE0EEENS1_38merge_mergepath_config_static_selectorELNS0_4arch9wavefront6targetE0EEEvSK_.private_seg_size, 0
	.set _ZN7rocprim17ROCPRIM_400000_NS6detail17trampoline_kernelINS0_14default_configENS1_38merge_sort_block_merge_config_selectorIyNS0_10empty_typeEEEZZNS1_27merge_sort_block_merge_implIS3_N6thrust23THRUST_200600_302600_NS6detail15normal_iteratorINS9_10device_ptrIyEEEEPS5_m9comp_mod3IyEEE10hipError_tT0_T1_T2_jT3_P12ihipStream_tbPNSt15iterator_traitsISJ_E10value_typeEPNSP_ISK_E10value_typeEPSL_NS1_7vsmem_tEENKUlT_SJ_SK_SL_E_clIPySE_SF_SF_EESI_SY_SJ_SK_SL_EUlSY_E0_NS1_11comp_targetILNS1_3genE3ELNS1_11target_archE908ELNS1_3gpuE7ELNS1_3repE0EEENS1_38merge_mergepath_config_static_selectorELNS0_4arch9wavefront6targetE0EEEvSK_.uses_vcc, 0
	.set _ZN7rocprim17ROCPRIM_400000_NS6detail17trampoline_kernelINS0_14default_configENS1_38merge_sort_block_merge_config_selectorIyNS0_10empty_typeEEEZZNS1_27merge_sort_block_merge_implIS3_N6thrust23THRUST_200600_302600_NS6detail15normal_iteratorINS9_10device_ptrIyEEEEPS5_m9comp_mod3IyEEE10hipError_tT0_T1_T2_jT3_P12ihipStream_tbPNSt15iterator_traitsISJ_E10value_typeEPNSP_ISK_E10value_typeEPSL_NS1_7vsmem_tEENKUlT_SJ_SK_SL_E_clIPySE_SF_SF_EESI_SY_SJ_SK_SL_EUlSY_E0_NS1_11comp_targetILNS1_3genE3ELNS1_11target_archE908ELNS1_3gpuE7ELNS1_3repE0EEENS1_38merge_mergepath_config_static_selectorELNS0_4arch9wavefront6targetE0EEEvSK_.uses_flat_scratch, 0
	.set _ZN7rocprim17ROCPRIM_400000_NS6detail17trampoline_kernelINS0_14default_configENS1_38merge_sort_block_merge_config_selectorIyNS0_10empty_typeEEEZZNS1_27merge_sort_block_merge_implIS3_N6thrust23THRUST_200600_302600_NS6detail15normal_iteratorINS9_10device_ptrIyEEEEPS5_m9comp_mod3IyEEE10hipError_tT0_T1_T2_jT3_P12ihipStream_tbPNSt15iterator_traitsISJ_E10value_typeEPNSP_ISK_E10value_typeEPSL_NS1_7vsmem_tEENKUlT_SJ_SK_SL_E_clIPySE_SF_SF_EESI_SY_SJ_SK_SL_EUlSY_E0_NS1_11comp_targetILNS1_3genE3ELNS1_11target_archE908ELNS1_3gpuE7ELNS1_3repE0EEENS1_38merge_mergepath_config_static_selectorELNS0_4arch9wavefront6targetE0EEEvSK_.has_dyn_sized_stack, 0
	.set _ZN7rocprim17ROCPRIM_400000_NS6detail17trampoline_kernelINS0_14default_configENS1_38merge_sort_block_merge_config_selectorIyNS0_10empty_typeEEEZZNS1_27merge_sort_block_merge_implIS3_N6thrust23THRUST_200600_302600_NS6detail15normal_iteratorINS9_10device_ptrIyEEEEPS5_m9comp_mod3IyEEE10hipError_tT0_T1_T2_jT3_P12ihipStream_tbPNSt15iterator_traitsISJ_E10value_typeEPNSP_ISK_E10value_typeEPSL_NS1_7vsmem_tEENKUlT_SJ_SK_SL_E_clIPySE_SF_SF_EESI_SY_SJ_SK_SL_EUlSY_E0_NS1_11comp_targetILNS1_3genE3ELNS1_11target_archE908ELNS1_3gpuE7ELNS1_3repE0EEENS1_38merge_mergepath_config_static_selectorELNS0_4arch9wavefront6targetE0EEEvSK_.has_recursion, 0
	.set _ZN7rocprim17ROCPRIM_400000_NS6detail17trampoline_kernelINS0_14default_configENS1_38merge_sort_block_merge_config_selectorIyNS0_10empty_typeEEEZZNS1_27merge_sort_block_merge_implIS3_N6thrust23THRUST_200600_302600_NS6detail15normal_iteratorINS9_10device_ptrIyEEEEPS5_m9comp_mod3IyEEE10hipError_tT0_T1_T2_jT3_P12ihipStream_tbPNSt15iterator_traitsISJ_E10value_typeEPNSP_ISK_E10value_typeEPSL_NS1_7vsmem_tEENKUlT_SJ_SK_SL_E_clIPySE_SF_SF_EESI_SY_SJ_SK_SL_EUlSY_E0_NS1_11comp_targetILNS1_3genE3ELNS1_11target_archE908ELNS1_3gpuE7ELNS1_3repE0EEENS1_38merge_mergepath_config_static_selectorELNS0_4arch9wavefront6targetE0EEEvSK_.has_indirect_call, 0
	.section	.AMDGPU.csdata,"",@progbits
; Kernel info:
; codeLenInByte = 0
; TotalNumSgprs: 0
; NumVgprs: 0
; ScratchSize: 0
; MemoryBound: 0
; FloatMode: 240
; IeeeMode: 1
; LDSByteSize: 0 bytes/workgroup (compile time only)
; SGPRBlocks: 0
; VGPRBlocks: 0
; NumSGPRsForWavesPerEU: 1
; NumVGPRsForWavesPerEU: 1
; Occupancy: 16
; WaveLimiterHint : 0
; COMPUTE_PGM_RSRC2:SCRATCH_EN: 0
; COMPUTE_PGM_RSRC2:USER_SGPR: 6
; COMPUTE_PGM_RSRC2:TRAP_HANDLER: 0
; COMPUTE_PGM_RSRC2:TGID_X_EN: 1
; COMPUTE_PGM_RSRC2:TGID_Y_EN: 0
; COMPUTE_PGM_RSRC2:TGID_Z_EN: 0
; COMPUTE_PGM_RSRC2:TIDIG_COMP_CNT: 0
	.section	.text._ZN7rocprim17ROCPRIM_400000_NS6detail17trampoline_kernelINS0_14default_configENS1_38merge_sort_block_merge_config_selectorIyNS0_10empty_typeEEEZZNS1_27merge_sort_block_merge_implIS3_N6thrust23THRUST_200600_302600_NS6detail15normal_iteratorINS9_10device_ptrIyEEEEPS5_m9comp_mod3IyEEE10hipError_tT0_T1_T2_jT3_P12ihipStream_tbPNSt15iterator_traitsISJ_E10value_typeEPNSP_ISK_E10value_typeEPSL_NS1_7vsmem_tEENKUlT_SJ_SK_SL_E_clIPySE_SF_SF_EESI_SY_SJ_SK_SL_EUlSY_E0_NS1_11comp_targetILNS1_3genE2ELNS1_11target_archE906ELNS1_3gpuE6ELNS1_3repE0EEENS1_38merge_mergepath_config_static_selectorELNS0_4arch9wavefront6targetE0EEEvSK_,"axG",@progbits,_ZN7rocprim17ROCPRIM_400000_NS6detail17trampoline_kernelINS0_14default_configENS1_38merge_sort_block_merge_config_selectorIyNS0_10empty_typeEEEZZNS1_27merge_sort_block_merge_implIS3_N6thrust23THRUST_200600_302600_NS6detail15normal_iteratorINS9_10device_ptrIyEEEEPS5_m9comp_mod3IyEEE10hipError_tT0_T1_T2_jT3_P12ihipStream_tbPNSt15iterator_traitsISJ_E10value_typeEPNSP_ISK_E10value_typeEPSL_NS1_7vsmem_tEENKUlT_SJ_SK_SL_E_clIPySE_SF_SF_EESI_SY_SJ_SK_SL_EUlSY_E0_NS1_11comp_targetILNS1_3genE2ELNS1_11target_archE906ELNS1_3gpuE6ELNS1_3repE0EEENS1_38merge_mergepath_config_static_selectorELNS0_4arch9wavefront6targetE0EEEvSK_,comdat
	.protected	_ZN7rocprim17ROCPRIM_400000_NS6detail17trampoline_kernelINS0_14default_configENS1_38merge_sort_block_merge_config_selectorIyNS0_10empty_typeEEEZZNS1_27merge_sort_block_merge_implIS3_N6thrust23THRUST_200600_302600_NS6detail15normal_iteratorINS9_10device_ptrIyEEEEPS5_m9comp_mod3IyEEE10hipError_tT0_T1_T2_jT3_P12ihipStream_tbPNSt15iterator_traitsISJ_E10value_typeEPNSP_ISK_E10value_typeEPSL_NS1_7vsmem_tEENKUlT_SJ_SK_SL_E_clIPySE_SF_SF_EESI_SY_SJ_SK_SL_EUlSY_E0_NS1_11comp_targetILNS1_3genE2ELNS1_11target_archE906ELNS1_3gpuE6ELNS1_3repE0EEENS1_38merge_mergepath_config_static_selectorELNS0_4arch9wavefront6targetE0EEEvSK_ ; -- Begin function _ZN7rocprim17ROCPRIM_400000_NS6detail17trampoline_kernelINS0_14default_configENS1_38merge_sort_block_merge_config_selectorIyNS0_10empty_typeEEEZZNS1_27merge_sort_block_merge_implIS3_N6thrust23THRUST_200600_302600_NS6detail15normal_iteratorINS9_10device_ptrIyEEEEPS5_m9comp_mod3IyEEE10hipError_tT0_T1_T2_jT3_P12ihipStream_tbPNSt15iterator_traitsISJ_E10value_typeEPNSP_ISK_E10value_typeEPSL_NS1_7vsmem_tEENKUlT_SJ_SK_SL_E_clIPySE_SF_SF_EESI_SY_SJ_SK_SL_EUlSY_E0_NS1_11comp_targetILNS1_3genE2ELNS1_11target_archE906ELNS1_3gpuE6ELNS1_3repE0EEENS1_38merge_mergepath_config_static_selectorELNS0_4arch9wavefront6targetE0EEEvSK_
	.globl	_ZN7rocprim17ROCPRIM_400000_NS6detail17trampoline_kernelINS0_14default_configENS1_38merge_sort_block_merge_config_selectorIyNS0_10empty_typeEEEZZNS1_27merge_sort_block_merge_implIS3_N6thrust23THRUST_200600_302600_NS6detail15normal_iteratorINS9_10device_ptrIyEEEEPS5_m9comp_mod3IyEEE10hipError_tT0_T1_T2_jT3_P12ihipStream_tbPNSt15iterator_traitsISJ_E10value_typeEPNSP_ISK_E10value_typeEPSL_NS1_7vsmem_tEENKUlT_SJ_SK_SL_E_clIPySE_SF_SF_EESI_SY_SJ_SK_SL_EUlSY_E0_NS1_11comp_targetILNS1_3genE2ELNS1_11target_archE906ELNS1_3gpuE6ELNS1_3repE0EEENS1_38merge_mergepath_config_static_selectorELNS0_4arch9wavefront6targetE0EEEvSK_
	.p2align	8
	.type	_ZN7rocprim17ROCPRIM_400000_NS6detail17trampoline_kernelINS0_14default_configENS1_38merge_sort_block_merge_config_selectorIyNS0_10empty_typeEEEZZNS1_27merge_sort_block_merge_implIS3_N6thrust23THRUST_200600_302600_NS6detail15normal_iteratorINS9_10device_ptrIyEEEEPS5_m9comp_mod3IyEEE10hipError_tT0_T1_T2_jT3_P12ihipStream_tbPNSt15iterator_traitsISJ_E10value_typeEPNSP_ISK_E10value_typeEPSL_NS1_7vsmem_tEENKUlT_SJ_SK_SL_E_clIPySE_SF_SF_EESI_SY_SJ_SK_SL_EUlSY_E0_NS1_11comp_targetILNS1_3genE2ELNS1_11target_archE906ELNS1_3gpuE6ELNS1_3repE0EEENS1_38merge_mergepath_config_static_selectorELNS0_4arch9wavefront6targetE0EEEvSK_,@function
_ZN7rocprim17ROCPRIM_400000_NS6detail17trampoline_kernelINS0_14default_configENS1_38merge_sort_block_merge_config_selectorIyNS0_10empty_typeEEEZZNS1_27merge_sort_block_merge_implIS3_N6thrust23THRUST_200600_302600_NS6detail15normal_iteratorINS9_10device_ptrIyEEEEPS5_m9comp_mod3IyEEE10hipError_tT0_T1_T2_jT3_P12ihipStream_tbPNSt15iterator_traitsISJ_E10value_typeEPNSP_ISK_E10value_typeEPSL_NS1_7vsmem_tEENKUlT_SJ_SK_SL_E_clIPySE_SF_SF_EESI_SY_SJ_SK_SL_EUlSY_E0_NS1_11comp_targetILNS1_3genE2ELNS1_11target_archE906ELNS1_3gpuE6ELNS1_3repE0EEENS1_38merge_mergepath_config_static_selectorELNS0_4arch9wavefront6targetE0EEEvSK_: ; @_ZN7rocprim17ROCPRIM_400000_NS6detail17trampoline_kernelINS0_14default_configENS1_38merge_sort_block_merge_config_selectorIyNS0_10empty_typeEEEZZNS1_27merge_sort_block_merge_implIS3_N6thrust23THRUST_200600_302600_NS6detail15normal_iteratorINS9_10device_ptrIyEEEEPS5_m9comp_mod3IyEEE10hipError_tT0_T1_T2_jT3_P12ihipStream_tbPNSt15iterator_traitsISJ_E10value_typeEPNSP_ISK_E10value_typeEPSL_NS1_7vsmem_tEENKUlT_SJ_SK_SL_E_clIPySE_SF_SF_EESI_SY_SJ_SK_SL_EUlSY_E0_NS1_11comp_targetILNS1_3genE2ELNS1_11target_archE906ELNS1_3gpuE6ELNS1_3repE0EEENS1_38merge_mergepath_config_static_selectorELNS0_4arch9wavefront6targetE0EEEvSK_
; %bb.0:
	.section	.rodata,"a",@progbits
	.p2align	6, 0x0
	.amdhsa_kernel _ZN7rocprim17ROCPRIM_400000_NS6detail17trampoline_kernelINS0_14default_configENS1_38merge_sort_block_merge_config_selectorIyNS0_10empty_typeEEEZZNS1_27merge_sort_block_merge_implIS3_N6thrust23THRUST_200600_302600_NS6detail15normal_iteratorINS9_10device_ptrIyEEEEPS5_m9comp_mod3IyEEE10hipError_tT0_T1_T2_jT3_P12ihipStream_tbPNSt15iterator_traitsISJ_E10value_typeEPNSP_ISK_E10value_typeEPSL_NS1_7vsmem_tEENKUlT_SJ_SK_SL_E_clIPySE_SF_SF_EESI_SY_SJ_SK_SL_EUlSY_E0_NS1_11comp_targetILNS1_3genE2ELNS1_11target_archE906ELNS1_3gpuE6ELNS1_3repE0EEENS1_38merge_mergepath_config_static_selectorELNS0_4arch9wavefront6targetE0EEEvSK_
		.amdhsa_group_segment_fixed_size 0
		.amdhsa_private_segment_fixed_size 0
		.amdhsa_kernarg_size 80
		.amdhsa_user_sgpr_count 6
		.amdhsa_user_sgpr_private_segment_buffer 1
		.amdhsa_user_sgpr_dispatch_ptr 0
		.amdhsa_user_sgpr_queue_ptr 0
		.amdhsa_user_sgpr_kernarg_segment_ptr 1
		.amdhsa_user_sgpr_dispatch_id 0
		.amdhsa_user_sgpr_flat_scratch_init 0
		.amdhsa_user_sgpr_private_segment_size 0
		.amdhsa_wavefront_size32 1
		.amdhsa_uses_dynamic_stack 0
		.amdhsa_system_sgpr_private_segment_wavefront_offset 0
		.amdhsa_system_sgpr_workgroup_id_x 1
		.amdhsa_system_sgpr_workgroup_id_y 0
		.amdhsa_system_sgpr_workgroup_id_z 0
		.amdhsa_system_sgpr_workgroup_info 0
		.amdhsa_system_vgpr_workitem_id 0
		.amdhsa_next_free_vgpr 1
		.amdhsa_next_free_sgpr 1
		.amdhsa_reserve_vcc 0
		.amdhsa_reserve_flat_scratch 0
		.amdhsa_float_round_mode_32 0
		.amdhsa_float_round_mode_16_64 0
		.amdhsa_float_denorm_mode_32 3
		.amdhsa_float_denorm_mode_16_64 3
		.amdhsa_dx10_clamp 1
		.amdhsa_ieee_mode 1
		.amdhsa_fp16_overflow 0
		.amdhsa_workgroup_processor_mode 1
		.amdhsa_memory_ordered 1
		.amdhsa_forward_progress 1
		.amdhsa_shared_vgpr_count 0
		.amdhsa_exception_fp_ieee_invalid_op 0
		.amdhsa_exception_fp_denorm_src 0
		.amdhsa_exception_fp_ieee_div_zero 0
		.amdhsa_exception_fp_ieee_overflow 0
		.amdhsa_exception_fp_ieee_underflow 0
		.amdhsa_exception_fp_ieee_inexact 0
		.amdhsa_exception_int_div_zero 0
	.end_amdhsa_kernel
	.section	.text._ZN7rocprim17ROCPRIM_400000_NS6detail17trampoline_kernelINS0_14default_configENS1_38merge_sort_block_merge_config_selectorIyNS0_10empty_typeEEEZZNS1_27merge_sort_block_merge_implIS3_N6thrust23THRUST_200600_302600_NS6detail15normal_iteratorINS9_10device_ptrIyEEEEPS5_m9comp_mod3IyEEE10hipError_tT0_T1_T2_jT3_P12ihipStream_tbPNSt15iterator_traitsISJ_E10value_typeEPNSP_ISK_E10value_typeEPSL_NS1_7vsmem_tEENKUlT_SJ_SK_SL_E_clIPySE_SF_SF_EESI_SY_SJ_SK_SL_EUlSY_E0_NS1_11comp_targetILNS1_3genE2ELNS1_11target_archE906ELNS1_3gpuE6ELNS1_3repE0EEENS1_38merge_mergepath_config_static_selectorELNS0_4arch9wavefront6targetE0EEEvSK_,"axG",@progbits,_ZN7rocprim17ROCPRIM_400000_NS6detail17trampoline_kernelINS0_14default_configENS1_38merge_sort_block_merge_config_selectorIyNS0_10empty_typeEEEZZNS1_27merge_sort_block_merge_implIS3_N6thrust23THRUST_200600_302600_NS6detail15normal_iteratorINS9_10device_ptrIyEEEEPS5_m9comp_mod3IyEEE10hipError_tT0_T1_T2_jT3_P12ihipStream_tbPNSt15iterator_traitsISJ_E10value_typeEPNSP_ISK_E10value_typeEPSL_NS1_7vsmem_tEENKUlT_SJ_SK_SL_E_clIPySE_SF_SF_EESI_SY_SJ_SK_SL_EUlSY_E0_NS1_11comp_targetILNS1_3genE2ELNS1_11target_archE906ELNS1_3gpuE6ELNS1_3repE0EEENS1_38merge_mergepath_config_static_selectorELNS0_4arch9wavefront6targetE0EEEvSK_,comdat
.Lfunc_end772:
	.size	_ZN7rocprim17ROCPRIM_400000_NS6detail17trampoline_kernelINS0_14default_configENS1_38merge_sort_block_merge_config_selectorIyNS0_10empty_typeEEEZZNS1_27merge_sort_block_merge_implIS3_N6thrust23THRUST_200600_302600_NS6detail15normal_iteratorINS9_10device_ptrIyEEEEPS5_m9comp_mod3IyEEE10hipError_tT0_T1_T2_jT3_P12ihipStream_tbPNSt15iterator_traitsISJ_E10value_typeEPNSP_ISK_E10value_typeEPSL_NS1_7vsmem_tEENKUlT_SJ_SK_SL_E_clIPySE_SF_SF_EESI_SY_SJ_SK_SL_EUlSY_E0_NS1_11comp_targetILNS1_3genE2ELNS1_11target_archE906ELNS1_3gpuE6ELNS1_3repE0EEENS1_38merge_mergepath_config_static_selectorELNS0_4arch9wavefront6targetE0EEEvSK_, .Lfunc_end772-_ZN7rocprim17ROCPRIM_400000_NS6detail17trampoline_kernelINS0_14default_configENS1_38merge_sort_block_merge_config_selectorIyNS0_10empty_typeEEEZZNS1_27merge_sort_block_merge_implIS3_N6thrust23THRUST_200600_302600_NS6detail15normal_iteratorINS9_10device_ptrIyEEEEPS5_m9comp_mod3IyEEE10hipError_tT0_T1_T2_jT3_P12ihipStream_tbPNSt15iterator_traitsISJ_E10value_typeEPNSP_ISK_E10value_typeEPSL_NS1_7vsmem_tEENKUlT_SJ_SK_SL_E_clIPySE_SF_SF_EESI_SY_SJ_SK_SL_EUlSY_E0_NS1_11comp_targetILNS1_3genE2ELNS1_11target_archE906ELNS1_3gpuE6ELNS1_3repE0EEENS1_38merge_mergepath_config_static_selectorELNS0_4arch9wavefront6targetE0EEEvSK_
                                        ; -- End function
	.set _ZN7rocprim17ROCPRIM_400000_NS6detail17trampoline_kernelINS0_14default_configENS1_38merge_sort_block_merge_config_selectorIyNS0_10empty_typeEEEZZNS1_27merge_sort_block_merge_implIS3_N6thrust23THRUST_200600_302600_NS6detail15normal_iteratorINS9_10device_ptrIyEEEEPS5_m9comp_mod3IyEEE10hipError_tT0_T1_T2_jT3_P12ihipStream_tbPNSt15iterator_traitsISJ_E10value_typeEPNSP_ISK_E10value_typeEPSL_NS1_7vsmem_tEENKUlT_SJ_SK_SL_E_clIPySE_SF_SF_EESI_SY_SJ_SK_SL_EUlSY_E0_NS1_11comp_targetILNS1_3genE2ELNS1_11target_archE906ELNS1_3gpuE6ELNS1_3repE0EEENS1_38merge_mergepath_config_static_selectorELNS0_4arch9wavefront6targetE0EEEvSK_.num_vgpr, 0
	.set _ZN7rocprim17ROCPRIM_400000_NS6detail17trampoline_kernelINS0_14default_configENS1_38merge_sort_block_merge_config_selectorIyNS0_10empty_typeEEEZZNS1_27merge_sort_block_merge_implIS3_N6thrust23THRUST_200600_302600_NS6detail15normal_iteratorINS9_10device_ptrIyEEEEPS5_m9comp_mod3IyEEE10hipError_tT0_T1_T2_jT3_P12ihipStream_tbPNSt15iterator_traitsISJ_E10value_typeEPNSP_ISK_E10value_typeEPSL_NS1_7vsmem_tEENKUlT_SJ_SK_SL_E_clIPySE_SF_SF_EESI_SY_SJ_SK_SL_EUlSY_E0_NS1_11comp_targetILNS1_3genE2ELNS1_11target_archE906ELNS1_3gpuE6ELNS1_3repE0EEENS1_38merge_mergepath_config_static_selectorELNS0_4arch9wavefront6targetE0EEEvSK_.num_agpr, 0
	.set _ZN7rocprim17ROCPRIM_400000_NS6detail17trampoline_kernelINS0_14default_configENS1_38merge_sort_block_merge_config_selectorIyNS0_10empty_typeEEEZZNS1_27merge_sort_block_merge_implIS3_N6thrust23THRUST_200600_302600_NS6detail15normal_iteratorINS9_10device_ptrIyEEEEPS5_m9comp_mod3IyEEE10hipError_tT0_T1_T2_jT3_P12ihipStream_tbPNSt15iterator_traitsISJ_E10value_typeEPNSP_ISK_E10value_typeEPSL_NS1_7vsmem_tEENKUlT_SJ_SK_SL_E_clIPySE_SF_SF_EESI_SY_SJ_SK_SL_EUlSY_E0_NS1_11comp_targetILNS1_3genE2ELNS1_11target_archE906ELNS1_3gpuE6ELNS1_3repE0EEENS1_38merge_mergepath_config_static_selectorELNS0_4arch9wavefront6targetE0EEEvSK_.numbered_sgpr, 0
	.set _ZN7rocprim17ROCPRIM_400000_NS6detail17trampoline_kernelINS0_14default_configENS1_38merge_sort_block_merge_config_selectorIyNS0_10empty_typeEEEZZNS1_27merge_sort_block_merge_implIS3_N6thrust23THRUST_200600_302600_NS6detail15normal_iteratorINS9_10device_ptrIyEEEEPS5_m9comp_mod3IyEEE10hipError_tT0_T1_T2_jT3_P12ihipStream_tbPNSt15iterator_traitsISJ_E10value_typeEPNSP_ISK_E10value_typeEPSL_NS1_7vsmem_tEENKUlT_SJ_SK_SL_E_clIPySE_SF_SF_EESI_SY_SJ_SK_SL_EUlSY_E0_NS1_11comp_targetILNS1_3genE2ELNS1_11target_archE906ELNS1_3gpuE6ELNS1_3repE0EEENS1_38merge_mergepath_config_static_selectorELNS0_4arch9wavefront6targetE0EEEvSK_.num_named_barrier, 0
	.set _ZN7rocprim17ROCPRIM_400000_NS6detail17trampoline_kernelINS0_14default_configENS1_38merge_sort_block_merge_config_selectorIyNS0_10empty_typeEEEZZNS1_27merge_sort_block_merge_implIS3_N6thrust23THRUST_200600_302600_NS6detail15normal_iteratorINS9_10device_ptrIyEEEEPS5_m9comp_mod3IyEEE10hipError_tT0_T1_T2_jT3_P12ihipStream_tbPNSt15iterator_traitsISJ_E10value_typeEPNSP_ISK_E10value_typeEPSL_NS1_7vsmem_tEENKUlT_SJ_SK_SL_E_clIPySE_SF_SF_EESI_SY_SJ_SK_SL_EUlSY_E0_NS1_11comp_targetILNS1_3genE2ELNS1_11target_archE906ELNS1_3gpuE6ELNS1_3repE0EEENS1_38merge_mergepath_config_static_selectorELNS0_4arch9wavefront6targetE0EEEvSK_.private_seg_size, 0
	.set _ZN7rocprim17ROCPRIM_400000_NS6detail17trampoline_kernelINS0_14default_configENS1_38merge_sort_block_merge_config_selectorIyNS0_10empty_typeEEEZZNS1_27merge_sort_block_merge_implIS3_N6thrust23THRUST_200600_302600_NS6detail15normal_iteratorINS9_10device_ptrIyEEEEPS5_m9comp_mod3IyEEE10hipError_tT0_T1_T2_jT3_P12ihipStream_tbPNSt15iterator_traitsISJ_E10value_typeEPNSP_ISK_E10value_typeEPSL_NS1_7vsmem_tEENKUlT_SJ_SK_SL_E_clIPySE_SF_SF_EESI_SY_SJ_SK_SL_EUlSY_E0_NS1_11comp_targetILNS1_3genE2ELNS1_11target_archE906ELNS1_3gpuE6ELNS1_3repE0EEENS1_38merge_mergepath_config_static_selectorELNS0_4arch9wavefront6targetE0EEEvSK_.uses_vcc, 0
	.set _ZN7rocprim17ROCPRIM_400000_NS6detail17trampoline_kernelINS0_14default_configENS1_38merge_sort_block_merge_config_selectorIyNS0_10empty_typeEEEZZNS1_27merge_sort_block_merge_implIS3_N6thrust23THRUST_200600_302600_NS6detail15normal_iteratorINS9_10device_ptrIyEEEEPS5_m9comp_mod3IyEEE10hipError_tT0_T1_T2_jT3_P12ihipStream_tbPNSt15iterator_traitsISJ_E10value_typeEPNSP_ISK_E10value_typeEPSL_NS1_7vsmem_tEENKUlT_SJ_SK_SL_E_clIPySE_SF_SF_EESI_SY_SJ_SK_SL_EUlSY_E0_NS1_11comp_targetILNS1_3genE2ELNS1_11target_archE906ELNS1_3gpuE6ELNS1_3repE0EEENS1_38merge_mergepath_config_static_selectorELNS0_4arch9wavefront6targetE0EEEvSK_.uses_flat_scratch, 0
	.set _ZN7rocprim17ROCPRIM_400000_NS6detail17trampoline_kernelINS0_14default_configENS1_38merge_sort_block_merge_config_selectorIyNS0_10empty_typeEEEZZNS1_27merge_sort_block_merge_implIS3_N6thrust23THRUST_200600_302600_NS6detail15normal_iteratorINS9_10device_ptrIyEEEEPS5_m9comp_mod3IyEEE10hipError_tT0_T1_T2_jT3_P12ihipStream_tbPNSt15iterator_traitsISJ_E10value_typeEPNSP_ISK_E10value_typeEPSL_NS1_7vsmem_tEENKUlT_SJ_SK_SL_E_clIPySE_SF_SF_EESI_SY_SJ_SK_SL_EUlSY_E0_NS1_11comp_targetILNS1_3genE2ELNS1_11target_archE906ELNS1_3gpuE6ELNS1_3repE0EEENS1_38merge_mergepath_config_static_selectorELNS0_4arch9wavefront6targetE0EEEvSK_.has_dyn_sized_stack, 0
	.set _ZN7rocprim17ROCPRIM_400000_NS6detail17trampoline_kernelINS0_14default_configENS1_38merge_sort_block_merge_config_selectorIyNS0_10empty_typeEEEZZNS1_27merge_sort_block_merge_implIS3_N6thrust23THRUST_200600_302600_NS6detail15normal_iteratorINS9_10device_ptrIyEEEEPS5_m9comp_mod3IyEEE10hipError_tT0_T1_T2_jT3_P12ihipStream_tbPNSt15iterator_traitsISJ_E10value_typeEPNSP_ISK_E10value_typeEPSL_NS1_7vsmem_tEENKUlT_SJ_SK_SL_E_clIPySE_SF_SF_EESI_SY_SJ_SK_SL_EUlSY_E0_NS1_11comp_targetILNS1_3genE2ELNS1_11target_archE906ELNS1_3gpuE6ELNS1_3repE0EEENS1_38merge_mergepath_config_static_selectorELNS0_4arch9wavefront6targetE0EEEvSK_.has_recursion, 0
	.set _ZN7rocprim17ROCPRIM_400000_NS6detail17trampoline_kernelINS0_14default_configENS1_38merge_sort_block_merge_config_selectorIyNS0_10empty_typeEEEZZNS1_27merge_sort_block_merge_implIS3_N6thrust23THRUST_200600_302600_NS6detail15normal_iteratorINS9_10device_ptrIyEEEEPS5_m9comp_mod3IyEEE10hipError_tT0_T1_T2_jT3_P12ihipStream_tbPNSt15iterator_traitsISJ_E10value_typeEPNSP_ISK_E10value_typeEPSL_NS1_7vsmem_tEENKUlT_SJ_SK_SL_E_clIPySE_SF_SF_EESI_SY_SJ_SK_SL_EUlSY_E0_NS1_11comp_targetILNS1_3genE2ELNS1_11target_archE906ELNS1_3gpuE6ELNS1_3repE0EEENS1_38merge_mergepath_config_static_selectorELNS0_4arch9wavefront6targetE0EEEvSK_.has_indirect_call, 0
	.section	.AMDGPU.csdata,"",@progbits
; Kernel info:
; codeLenInByte = 0
; TotalNumSgprs: 0
; NumVgprs: 0
; ScratchSize: 0
; MemoryBound: 0
; FloatMode: 240
; IeeeMode: 1
; LDSByteSize: 0 bytes/workgroup (compile time only)
; SGPRBlocks: 0
; VGPRBlocks: 0
; NumSGPRsForWavesPerEU: 1
; NumVGPRsForWavesPerEU: 1
; Occupancy: 16
; WaveLimiterHint : 0
; COMPUTE_PGM_RSRC2:SCRATCH_EN: 0
; COMPUTE_PGM_RSRC2:USER_SGPR: 6
; COMPUTE_PGM_RSRC2:TRAP_HANDLER: 0
; COMPUTE_PGM_RSRC2:TGID_X_EN: 1
; COMPUTE_PGM_RSRC2:TGID_Y_EN: 0
; COMPUTE_PGM_RSRC2:TGID_Z_EN: 0
; COMPUTE_PGM_RSRC2:TIDIG_COMP_CNT: 0
	.section	.text._ZN7rocprim17ROCPRIM_400000_NS6detail17trampoline_kernelINS0_14default_configENS1_38merge_sort_block_merge_config_selectorIyNS0_10empty_typeEEEZZNS1_27merge_sort_block_merge_implIS3_N6thrust23THRUST_200600_302600_NS6detail15normal_iteratorINS9_10device_ptrIyEEEEPS5_m9comp_mod3IyEEE10hipError_tT0_T1_T2_jT3_P12ihipStream_tbPNSt15iterator_traitsISJ_E10value_typeEPNSP_ISK_E10value_typeEPSL_NS1_7vsmem_tEENKUlT_SJ_SK_SL_E_clIPySE_SF_SF_EESI_SY_SJ_SK_SL_EUlSY_E0_NS1_11comp_targetILNS1_3genE9ELNS1_11target_archE1100ELNS1_3gpuE3ELNS1_3repE0EEENS1_38merge_mergepath_config_static_selectorELNS0_4arch9wavefront6targetE0EEEvSK_,"axG",@progbits,_ZN7rocprim17ROCPRIM_400000_NS6detail17trampoline_kernelINS0_14default_configENS1_38merge_sort_block_merge_config_selectorIyNS0_10empty_typeEEEZZNS1_27merge_sort_block_merge_implIS3_N6thrust23THRUST_200600_302600_NS6detail15normal_iteratorINS9_10device_ptrIyEEEEPS5_m9comp_mod3IyEEE10hipError_tT0_T1_T2_jT3_P12ihipStream_tbPNSt15iterator_traitsISJ_E10value_typeEPNSP_ISK_E10value_typeEPSL_NS1_7vsmem_tEENKUlT_SJ_SK_SL_E_clIPySE_SF_SF_EESI_SY_SJ_SK_SL_EUlSY_E0_NS1_11comp_targetILNS1_3genE9ELNS1_11target_archE1100ELNS1_3gpuE3ELNS1_3repE0EEENS1_38merge_mergepath_config_static_selectorELNS0_4arch9wavefront6targetE0EEEvSK_,comdat
	.protected	_ZN7rocprim17ROCPRIM_400000_NS6detail17trampoline_kernelINS0_14default_configENS1_38merge_sort_block_merge_config_selectorIyNS0_10empty_typeEEEZZNS1_27merge_sort_block_merge_implIS3_N6thrust23THRUST_200600_302600_NS6detail15normal_iteratorINS9_10device_ptrIyEEEEPS5_m9comp_mod3IyEEE10hipError_tT0_T1_T2_jT3_P12ihipStream_tbPNSt15iterator_traitsISJ_E10value_typeEPNSP_ISK_E10value_typeEPSL_NS1_7vsmem_tEENKUlT_SJ_SK_SL_E_clIPySE_SF_SF_EESI_SY_SJ_SK_SL_EUlSY_E0_NS1_11comp_targetILNS1_3genE9ELNS1_11target_archE1100ELNS1_3gpuE3ELNS1_3repE0EEENS1_38merge_mergepath_config_static_selectorELNS0_4arch9wavefront6targetE0EEEvSK_ ; -- Begin function _ZN7rocprim17ROCPRIM_400000_NS6detail17trampoline_kernelINS0_14default_configENS1_38merge_sort_block_merge_config_selectorIyNS0_10empty_typeEEEZZNS1_27merge_sort_block_merge_implIS3_N6thrust23THRUST_200600_302600_NS6detail15normal_iteratorINS9_10device_ptrIyEEEEPS5_m9comp_mod3IyEEE10hipError_tT0_T1_T2_jT3_P12ihipStream_tbPNSt15iterator_traitsISJ_E10value_typeEPNSP_ISK_E10value_typeEPSL_NS1_7vsmem_tEENKUlT_SJ_SK_SL_E_clIPySE_SF_SF_EESI_SY_SJ_SK_SL_EUlSY_E0_NS1_11comp_targetILNS1_3genE9ELNS1_11target_archE1100ELNS1_3gpuE3ELNS1_3repE0EEENS1_38merge_mergepath_config_static_selectorELNS0_4arch9wavefront6targetE0EEEvSK_
	.globl	_ZN7rocprim17ROCPRIM_400000_NS6detail17trampoline_kernelINS0_14default_configENS1_38merge_sort_block_merge_config_selectorIyNS0_10empty_typeEEEZZNS1_27merge_sort_block_merge_implIS3_N6thrust23THRUST_200600_302600_NS6detail15normal_iteratorINS9_10device_ptrIyEEEEPS5_m9comp_mod3IyEEE10hipError_tT0_T1_T2_jT3_P12ihipStream_tbPNSt15iterator_traitsISJ_E10value_typeEPNSP_ISK_E10value_typeEPSL_NS1_7vsmem_tEENKUlT_SJ_SK_SL_E_clIPySE_SF_SF_EESI_SY_SJ_SK_SL_EUlSY_E0_NS1_11comp_targetILNS1_3genE9ELNS1_11target_archE1100ELNS1_3gpuE3ELNS1_3repE0EEENS1_38merge_mergepath_config_static_selectorELNS0_4arch9wavefront6targetE0EEEvSK_
	.p2align	8
	.type	_ZN7rocprim17ROCPRIM_400000_NS6detail17trampoline_kernelINS0_14default_configENS1_38merge_sort_block_merge_config_selectorIyNS0_10empty_typeEEEZZNS1_27merge_sort_block_merge_implIS3_N6thrust23THRUST_200600_302600_NS6detail15normal_iteratorINS9_10device_ptrIyEEEEPS5_m9comp_mod3IyEEE10hipError_tT0_T1_T2_jT3_P12ihipStream_tbPNSt15iterator_traitsISJ_E10value_typeEPNSP_ISK_E10value_typeEPSL_NS1_7vsmem_tEENKUlT_SJ_SK_SL_E_clIPySE_SF_SF_EESI_SY_SJ_SK_SL_EUlSY_E0_NS1_11comp_targetILNS1_3genE9ELNS1_11target_archE1100ELNS1_3gpuE3ELNS1_3repE0EEENS1_38merge_mergepath_config_static_selectorELNS0_4arch9wavefront6targetE0EEEvSK_,@function
_ZN7rocprim17ROCPRIM_400000_NS6detail17trampoline_kernelINS0_14default_configENS1_38merge_sort_block_merge_config_selectorIyNS0_10empty_typeEEEZZNS1_27merge_sort_block_merge_implIS3_N6thrust23THRUST_200600_302600_NS6detail15normal_iteratorINS9_10device_ptrIyEEEEPS5_m9comp_mod3IyEEE10hipError_tT0_T1_T2_jT3_P12ihipStream_tbPNSt15iterator_traitsISJ_E10value_typeEPNSP_ISK_E10value_typeEPSL_NS1_7vsmem_tEENKUlT_SJ_SK_SL_E_clIPySE_SF_SF_EESI_SY_SJ_SK_SL_EUlSY_E0_NS1_11comp_targetILNS1_3genE9ELNS1_11target_archE1100ELNS1_3gpuE3ELNS1_3repE0EEENS1_38merge_mergepath_config_static_selectorELNS0_4arch9wavefront6targetE0EEEvSK_: ; @_ZN7rocprim17ROCPRIM_400000_NS6detail17trampoline_kernelINS0_14default_configENS1_38merge_sort_block_merge_config_selectorIyNS0_10empty_typeEEEZZNS1_27merge_sort_block_merge_implIS3_N6thrust23THRUST_200600_302600_NS6detail15normal_iteratorINS9_10device_ptrIyEEEEPS5_m9comp_mod3IyEEE10hipError_tT0_T1_T2_jT3_P12ihipStream_tbPNSt15iterator_traitsISJ_E10value_typeEPNSP_ISK_E10value_typeEPSL_NS1_7vsmem_tEENKUlT_SJ_SK_SL_E_clIPySE_SF_SF_EESI_SY_SJ_SK_SL_EUlSY_E0_NS1_11comp_targetILNS1_3genE9ELNS1_11target_archE1100ELNS1_3gpuE3ELNS1_3repE0EEENS1_38merge_mergepath_config_static_selectorELNS0_4arch9wavefront6targetE0EEEvSK_
; %bb.0:
	.section	.rodata,"a",@progbits
	.p2align	6, 0x0
	.amdhsa_kernel _ZN7rocprim17ROCPRIM_400000_NS6detail17trampoline_kernelINS0_14default_configENS1_38merge_sort_block_merge_config_selectorIyNS0_10empty_typeEEEZZNS1_27merge_sort_block_merge_implIS3_N6thrust23THRUST_200600_302600_NS6detail15normal_iteratorINS9_10device_ptrIyEEEEPS5_m9comp_mod3IyEEE10hipError_tT0_T1_T2_jT3_P12ihipStream_tbPNSt15iterator_traitsISJ_E10value_typeEPNSP_ISK_E10value_typeEPSL_NS1_7vsmem_tEENKUlT_SJ_SK_SL_E_clIPySE_SF_SF_EESI_SY_SJ_SK_SL_EUlSY_E0_NS1_11comp_targetILNS1_3genE9ELNS1_11target_archE1100ELNS1_3gpuE3ELNS1_3repE0EEENS1_38merge_mergepath_config_static_selectorELNS0_4arch9wavefront6targetE0EEEvSK_
		.amdhsa_group_segment_fixed_size 0
		.amdhsa_private_segment_fixed_size 0
		.amdhsa_kernarg_size 80
		.amdhsa_user_sgpr_count 6
		.amdhsa_user_sgpr_private_segment_buffer 1
		.amdhsa_user_sgpr_dispatch_ptr 0
		.amdhsa_user_sgpr_queue_ptr 0
		.amdhsa_user_sgpr_kernarg_segment_ptr 1
		.amdhsa_user_sgpr_dispatch_id 0
		.amdhsa_user_sgpr_flat_scratch_init 0
		.amdhsa_user_sgpr_private_segment_size 0
		.amdhsa_wavefront_size32 1
		.amdhsa_uses_dynamic_stack 0
		.amdhsa_system_sgpr_private_segment_wavefront_offset 0
		.amdhsa_system_sgpr_workgroup_id_x 1
		.amdhsa_system_sgpr_workgroup_id_y 0
		.amdhsa_system_sgpr_workgroup_id_z 0
		.amdhsa_system_sgpr_workgroup_info 0
		.amdhsa_system_vgpr_workitem_id 0
		.amdhsa_next_free_vgpr 1
		.amdhsa_next_free_sgpr 1
		.amdhsa_reserve_vcc 0
		.amdhsa_reserve_flat_scratch 0
		.amdhsa_float_round_mode_32 0
		.amdhsa_float_round_mode_16_64 0
		.amdhsa_float_denorm_mode_32 3
		.amdhsa_float_denorm_mode_16_64 3
		.amdhsa_dx10_clamp 1
		.amdhsa_ieee_mode 1
		.amdhsa_fp16_overflow 0
		.amdhsa_workgroup_processor_mode 1
		.amdhsa_memory_ordered 1
		.amdhsa_forward_progress 1
		.amdhsa_shared_vgpr_count 0
		.amdhsa_exception_fp_ieee_invalid_op 0
		.amdhsa_exception_fp_denorm_src 0
		.amdhsa_exception_fp_ieee_div_zero 0
		.amdhsa_exception_fp_ieee_overflow 0
		.amdhsa_exception_fp_ieee_underflow 0
		.amdhsa_exception_fp_ieee_inexact 0
		.amdhsa_exception_int_div_zero 0
	.end_amdhsa_kernel
	.section	.text._ZN7rocprim17ROCPRIM_400000_NS6detail17trampoline_kernelINS0_14default_configENS1_38merge_sort_block_merge_config_selectorIyNS0_10empty_typeEEEZZNS1_27merge_sort_block_merge_implIS3_N6thrust23THRUST_200600_302600_NS6detail15normal_iteratorINS9_10device_ptrIyEEEEPS5_m9comp_mod3IyEEE10hipError_tT0_T1_T2_jT3_P12ihipStream_tbPNSt15iterator_traitsISJ_E10value_typeEPNSP_ISK_E10value_typeEPSL_NS1_7vsmem_tEENKUlT_SJ_SK_SL_E_clIPySE_SF_SF_EESI_SY_SJ_SK_SL_EUlSY_E0_NS1_11comp_targetILNS1_3genE9ELNS1_11target_archE1100ELNS1_3gpuE3ELNS1_3repE0EEENS1_38merge_mergepath_config_static_selectorELNS0_4arch9wavefront6targetE0EEEvSK_,"axG",@progbits,_ZN7rocprim17ROCPRIM_400000_NS6detail17trampoline_kernelINS0_14default_configENS1_38merge_sort_block_merge_config_selectorIyNS0_10empty_typeEEEZZNS1_27merge_sort_block_merge_implIS3_N6thrust23THRUST_200600_302600_NS6detail15normal_iteratorINS9_10device_ptrIyEEEEPS5_m9comp_mod3IyEEE10hipError_tT0_T1_T2_jT3_P12ihipStream_tbPNSt15iterator_traitsISJ_E10value_typeEPNSP_ISK_E10value_typeEPSL_NS1_7vsmem_tEENKUlT_SJ_SK_SL_E_clIPySE_SF_SF_EESI_SY_SJ_SK_SL_EUlSY_E0_NS1_11comp_targetILNS1_3genE9ELNS1_11target_archE1100ELNS1_3gpuE3ELNS1_3repE0EEENS1_38merge_mergepath_config_static_selectorELNS0_4arch9wavefront6targetE0EEEvSK_,comdat
.Lfunc_end773:
	.size	_ZN7rocprim17ROCPRIM_400000_NS6detail17trampoline_kernelINS0_14default_configENS1_38merge_sort_block_merge_config_selectorIyNS0_10empty_typeEEEZZNS1_27merge_sort_block_merge_implIS3_N6thrust23THRUST_200600_302600_NS6detail15normal_iteratorINS9_10device_ptrIyEEEEPS5_m9comp_mod3IyEEE10hipError_tT0_T1_T2_jT3_P12ihipStream_tbPNSt15iterator_traitsISJ_E10value_typeEPNSP_ISK_E10value_typeEPSL_NS1_7vsmem_tEENKUlT_SJ_SK_SL_E_clIPySE_SF_SF_EESI_SY_SJ_SK_SL_EUlSY_E0_NS1_11comp_targetILNS1_3genE9ELNS1_11target_archE1100ELNS1_3gpuE3ELNS1_3repE0EEENS1_38merge_mergepath_config_static_selectorELNS0_4arch9wavefront6targetE0EEEvSK_, .Lfunc_end773-_ZN7rocprim17ROCPRIM_400000_NS6detail17trampoline_kernelINS0_14default_configENS1_38merge_sort_block_merge_config_selectorIyNS0_10empty_typeEEEZZNS1_27merge_sort_block_merge_implIS3_N6thrust23THRUST_200600_302600_NS6detail15normal_iteratorINS9_10device_ptrIyEEEEPS5_m9comp_mod3IyEEE10hipError_tT0_T1_T2_jT3_P12ihipStream_tbPNSt15iterator_traitsISJ_E10value_typeEPNSP_ISK_E10value_typeEPSL_NS1_7vsmem_tEENKUlT_SJ_SK_SL_E_clIPySE_SF_SF_EESI_SY_SJ_SK_SL_EUlSY_E0_NS1_11comp_targetILNS1_3genE9ELNS1_11target_archE1100ELNS1_3gpuE3ELNS1_3repE0EEENS1_38merge_mergepath_config_static_selectorELNS0_4arch9wavefront6targetE0EEEvSK_
                                        ; -- End function
	.set _ZN7rocprim17ROCPRIM_400000_NS6detail17trampoline_kernelINS0_14default_configENS1_38merge_sort_block_merge_config_selectorIyNS0_10empty_typeEEEZZNS1_27merge_sort_block_merge_implIS3_N6thrust23THRUST_200600_302600_NS6detail15normal_iteratorINS9_10device_ptrIyEEEEPS5_m9comp_mod3IyEEE10hipError_tT0_T1_T2_jT3_P12ihipStream_tbPNSt15iterator_traitsISJ_E10value_typeEPNSP_ISK_E10value_typeEPSL_NS1_7vsmem_tEENKUlT_SJ_SK_SL_E_clIPySE_SF_SF_EESI_SY_SJ_SK_SL_EUlSY_E0_NS1_11comp_targetILNS1_3genE9ELNS1_11target_archE1100ELNS1_3gpuE3ELNS1_3repE0EEENS1_38merge_mergepath_config_static_selectorELNS0_4arch9wavefront6targetE0EEEvSK_.num_vgpr, 0
	.set _ZN7rocprim17ROCPRIM_400000_NS6detail17trampoline_kernelINS0_14default_configENS1_38merge_sort_block_merge_config_selectorIyNS0_10empty_typeEEEZZNS1_27merge_sort_block_merge_implIS3_N6thrust23THRUST_200600_302600_NS6detail15normal_iteratorINS9_10device_ptrIyEEEEPS5_m9comp_mod3IyEEE10hipError_tT0_T1_T2_jT3_P12ihipStream_tbPNSt15iterator_traitsISJ_E10value_typeEPNSP_ISK_E10value_typeEPSL_NS1_7vsmem_tEENKUlT_SJ_SK_SL_E_clIPySE_SF_SF_EESI_SY_SJ_SK_SL_EUlSY_E0_NS1_11comp_targetILNS1_3genE9ELNS1_11target_archE1100ELNS1_3gpuE3ELNS1_3repE0EEENS1_38merge_mergepath_config_static_selectorELNS0_4arch9wavefront6targetE0EEEvSK_.num_agpr, 0
	.set _ZN7rocprim17ROCPRIM_400000_NS6detail17trampoline_kernelINS0_14default_configENS1_38merge_sort_block_merge_config_selectorIyNS0_10empty_typeEEEZZNS1_27merge_sort_block_merge_implIS3_N6thrust23THRUST_200600_302600_NS6detail15normal_iteratorINS9_10device_ptrIyEEEEPS5_m9comp_mod3IyEEE10hipError_tT0_T1_T2_jT3_P12ihipStream_tbPNSt15iterator_traitsISJ_E10value_typeEPNSP_ISK_E10value_typeEPSL_NS1_7vsmem_tEENKUlT_SJ_SK_SL_E_clIPySE_SF_SF_EESI_SY_SJ_SK_SL_EUlSY_E0_NS1_11comp_targetILNS1_3genE9ELNS1_11target_archE1100ELNS1_3gpuE3ELNS1_3repE0EEENS1_38merge_mergepath_config_static_selectorELNS0_4arch9wavefront6targetE0EEEvSK_.numbered_sgpr, 0
	.set _ZN7rocprim17ROCPRIM_400000_NS6detail17trampoline_kernelINS0_14default_configENS1_38merge_sort_block_merge_config_selectorIyNS0_10empty_typeEEEZZNS1_27merge_sort_block_merge_implIS3_N6thrust23THRUST_200600_302600_NS6detail15normal_iteratorINS9_10device_ptrIyEEEEPS5_m9comp_mod3IyEEE10hipError_tT0_T1_T2_jT3_P12ihipStream_tbPNSt15iterator_traitsISJ_E10value_typeEPNSP_ISK_E10value_typeEPSL_NS1_7vsmem_tEENKUlT_SJ_SK_SL_E_clIPySE_SF_SF_EESI_SY_SJ_SK_SL_EUlSY_E0_NS1_11comp_targetILNS1_3genE9ELNS1_11target_archE1100ELNS1_3gpuE3ELNS1_3repE0EEENS1_38merge_mergepath_config_static_selectorELNS0_4arch9wavefront6targetE0EEEvSK_.num_named_barrier, 0
	.set _ZN7rocprim17ROCPRIM_400000_NS6detail17trampoline_kernelINS0_14default_configENS1_38merge_sort_block_merge_config_selectorIyNS0_10empty_typeEEEZZNS1_27merge_sort_block_merge_implIS3_N6thrust23THRUST_200600_302600_NS6detail15normal_iteratorINS9_10device_ptrIyEEEEPS5_m9comp_mod3IyEEE10hipError_tT0_T1_T2_jT3_P12ihipStream_tbPNSt15iterator_traitsISJ_E10value_typeEPNSP_ISK_E10value_typeEPSL_NS1_7vsmem_tEENKUlT_SJ_SK_SL_E_clIPySE_SF_SF_EESI_SY_SJ_SK_SL_EUlSY_E0_NS1_11comp_targetILNS1_3genE9ELNS1_11target_archE1100ELNS1_3gpuE3ELNS1_3repE0EEENS1_38merge_mergepath_config_static_selectorELNS0_4arch9wavefront6targetE0EEEvSK_.private_seg_size, 0
	.set _ZN7rocprim17ROCPRIM_400000_NS6detail17trampoline_kernelINS0_14default_configENS1_38merge_sort_block_merge_config_selectorIyNS0_10empty_typeEEEZZNS1_27merge_sort_block_merge_implIS3_N6thrust23THRUST_200600_302600_NS6detail15normal_iteratorINS9_10device_ptrIyEEEEPS5_m9comp_mod3IyEEE10hipError_tT0_T1_T2_jT3_P12ihipStream_tbPNSt15iterator_traitsISJ_E10value_typeEPNSP_ISK_E10value_typeEPSL_NS1_7vsmem_tEENKUlT_SJ_SK_SL_E_clIPySE_SF_SF_EESI_SY_SJ_SK_SL_EUlSY_E0_NS1_11comp_targetILNS1_3genE9ELNS1_11target_archE1100ELNS1_3gpuE3ELNS1_3repE0EEENS1_38merge_mergepath_config_static_selectorELNS0_4arch9wavefront6targetE0EEEvSK_.uses_vcc, 0
	.set _ZN7rocprim17ROCPRIM_400000_NS6detail17trampoline_kernelINS0_14default_configENS1_38merge_sort_block_merge_config_selectorIyNS0_10empty_typeEEEZZNS1_27merge_sort_block_merge_implIS3_N6thrust23THRUST_200600_302600_NS6detail15normal_iteratorINS9_10device_ptrIyEEEEPS5_m9comp_mod3IyEEE10hipError_tT0_T1_T2_jT3_P12ihipStream_tbPNSt15iterator_traitsISJ_E10value_typeEPNSP_ISK_E10value_typeEPSL_NS1_7vsmem_tEENKUlT_SJ_SK_SL_E_clIPySE_SF_SF_EESI_SY_SJ_SK_SL_EUlSY_E0_NS1_11comp_targetILNS1_3genE9ELNS1_11target_archE1100ELNS1_3gpuE3ELNS1_3repE0EEENS1_38merge_mergepath_config_static_selectorELNS0_4arch9wavefront6targetE0EEEvSK_.uses_flat_scratch, 0
	.set _ZN7rocprim17ROCPRIM_400000_NS6detail17trampoline_kernelINS0_14default_configENS1_38merge_sort_block_merge_config_selectorIyNS0_10empty_typeEEEZZNS1_27merge_sort_block_merge_implIS3_N6thrust23THRUST_200600_302600_NS6detail15normal_iteratorINS9_10device_ptrIyEEEEPS5_m9comp_mod3IyEEE10hipError_tT0_T1_T2_jT3_P12ihipStream_tbPNSt15iterator_traitsISJ_E10value_typeEPNSP_ISK_E10value_typeEPSL_NS1_7vsmem_tEENKUlT_SJ_SK_SL_E_clIPySE_SF_SF_EESI_SY_SJ_SK_SL_EUlSY_E0_NS1_11comp_targetILNS1_3genE9ELNS1_11target_archE1100ELNS1_3gpuE3ELNS1_3repE0EEENS1_38merge_mergepath_config_static_selectorELNS0_4arch9wavefront6targetE0EEEvSK_.has_dyn_sized_stack, 0
	.set _ZN7rocprim17ROCPRIM_400000_NS6detail17trampoline_kernelINS0_14default_configENS1_38merge_sort_block_merge_config_selectorIyNS0_10empty_typeEEEZZNS1_27merge_sort_block_merge_implIS3_N6thrust23THRUST_200600_302600_NS6detail15normal_iteratorINS9_10device_ptrIyEEEEPS5_m9comp_mod3IyEEE10hipError_tT0_T1_T2_jT3_P12ihipStream_tbPNSt15iterator_traitsISJ_E10value_typeEPNSP_ISK_E10value_typeEPSL_NS1_7vsmem_tEENKUlT_SJ_SK_SL_E_clIPySE_SF_SF_EESI_SY_SJ_SK_SL_EUlSY_E0_NS1_11comp_targetILNS1_3genE9ELNS1_11target_archE1100ELNS1_3gpuE3ELNS1_3repE0EEENS1_38merge_mergepath_config_static_selectorELNS0_4arch9wavefront6targetE0EEEvSK_.has_recursion, 0
	.set _ZN7rocprim17ROCPRIM_400000_NS6detail17trampoline_kernelINS0_14default_configENS1_38merge_sort_block_merge_config_selectorIyNS0_10empty_typeEEEZZNS1_27merge_sort_block_merge_implIS3_N6thrust23THRUST_200600_302600_NS6detail15normal_iteratorINS9_10device_ptrIyEEEEPS5_m9comp_mod3IyEEE10hipError_tT0_T1_T2_jT3_P12ihipStream_tbPNSt15iterator_traitsISJ_E10value_typeEPNSP_ISK_E10value_typeEPSL_NS1_7vsmem_tEENKUlT_SJ_SK_SL_E_clIPySE_SF_SF_EESI_SY_SJ_SK_SL_EUlSY_E0_NS1_11comp_targetILNS1_3genE9ELNS1_11target_archE1100ELNS1_3gpuE3ELNS1_3repE0EEENS1_38merge_mergepath_config_static_selectorELNS0_4arch9wavefront6targetE0EEEvSK_.has_indirect_call, 0
	.section	.AMDGPU.csdata,"",@progbits
; Kernel info:
; codeLenInByte = 0
; TotalNumSgprs: 0
; NumVgprs: 0
; ScratchSize: 0
; MemoryBound: 0
; FloatMode: 240
; IeeeMode: 1
; LDSByteSize: 0 bytes/workgroup (compile time only)
; SGPRBlocks: 0
; VGPRBlocks: 0
; NumSGPRsForWavesPerEU: 1
; NumVGPRsForWavesPerEU: 1
; Occupancy: 16
; WaveLimiterHint : 0
; COMPUTE_PGM_RSRC2:SCRATCH_EN: 0
; COMPUTE_PGM_RSRC2:USER_SGPR: 6
; COMPUTE_PGM_RSRC2:TRAP_HANDLER: 0
; COMPUTE_PGM_RSRC2:TGID_X_EN: 1
; COMPUTE_PGM_RSRC2:TGID_Y_EN: 0
; COMPUTE_PGM_RSRC2:TGID_Z_EN: 0
; COMPUTE_PGM_RSRC2:TIDIG_COMP_CNT: 0
	.section	.text._ZN7rocprim17ROCPRIM_400000_NS6detail17trampoline_kernelINS0_14default_configENS1_38merge_sort_block_merge_config_selectorIyNS0_10empty_typeEEEZZNS1_27merge_sort_block_merge_implIS3_N6thrust23THRUST_200600_302600_NS6detail15normal_iteratorINS9_10device_ptrIyEEEEPS5_m9comp_mod3IyEEE10hipError_tT0_T1_T2_jT3_P12ihipStream_tbPNSt15iterator_traitsISJ_E10value_typeEPNSP_ISK_E10value_typeEPSL_NS1_7vsmem_tEENKUlT_SJ_SK_SL_E_clIPySE_SF_SF_EESI_SY_SJ_SK_SL_EUlSY_E0_NS1_11comp_targetILNS1_3genE8ELNS1_11target_archE1030ELNS1_3gpuE2ELNS1_3repE0EEENS1_38merge_mergepath_config_static_selectorELNS0_4arch9wavefront6targetE0EEEvSK_,"axG",@progbits,_ZN7rocprim17ROCPRIM_400000_NS6detail17trampoline_kernelINS0_14default_configENS1_38merge_sort_block_merge_config_selectorIyNS0_10empty_typeEEEZZNS1_27merge_sort_block_merge_implIS3_N6thrust23THRUST_200600_302600_NS6detail15normal_iteratorINS9_10device_ptrIyEEEEPS5_m9comp_mod3IyEEE10hipError_tT0_T1_T2_jT3_P12ihipStream_tbPNSt15iterator_traitsISJ_E10value_typeEPNSP_ISK_E10value_typeEPSL_NS1_7vsmem_tEENKUlT_SJ_SK_SL_E_clIPySE_SF_SF_EESI_SY_SJ_SK_SL_EUlSY_E0_NS1_11comp_targetILNS1_3genE8ELNS1_11target_archE1030ELNS1_3gpuE2ELNS1_3repE0EEENS1_38merge_mergepath_config_static_selectorELNS0_4arch9wavefront6targetE0EEEvSK_,comdat
	.protected	_ZN7rocprim17ROCPRIM_400000_NS6detail17trampoline_kernelINS0_14default_configENS1_38merge_sort_block_merge_config_selectorIyNS0_10empty_typeEEEZZNS1_27merge_sort_block_merge_implIS3_N6thrust23THRUST_200600_302600_NS6detail15normal_iteratorINS9_10device_ptrIyEEEEPS5_m9comp_mod3IyEEE10hipError_tT0_T1_T2_jT3_P12ihipStream_tbPNSt15iterator_traitsISJ_E10value_typeEPNSP_ISK_E10value_typeEPSL_NS1_7vsmem_tEENKUlT_SJ_SK_SL_E_clIPySE_SF_SF_EESI_SY_SJ_SK_SL_EUlSY_E0_NS1_11comp_targetILNS1_3genE8ELNS1_11target_archE1030ELNS1_3gpuE2ELNS1_3repE0EEENS1_38merge_mergepath_config_static_selectorELNS0_4arch9wavefront6targetE0EEEvSK_ ; -- Begin function _ZN7rocprim17ROCPRIM_400000_NS6detail17trampoline_kernelINS0_14default_configENS1_38merge_sort_block_merge_config_selectorIyNS0_10empty_typeEEEZZNS1_27merge_sort_block_merge_implIS3_N6thrust23THRUST_200600_302600_NS6detail15normal_iteratorINS9_10device_ptrIyEEEEPS5_m9comp_mod3IyEEE10hipError_tT0_T1_T2_jT3_P12ihipStream_tbPNSt15iterator_traitsISJ_E10value_typeEPNSP_ISK_E10value_typeEPSL_NS1_7vsmem_tEENKUlT_SJ_SK_SL_E_clIPySE_SF_SF_EESI_SY_SJ_SK_SL_EUlSY_E0_NS1_11comp_targetILNS1_3genE8ELNS1_11target_archE1030ELNS1_3gpuE2ELNS1_3repE0EEENS1_38merge_mergepath_config_static_selectorELNS0_4arch9wavefront6targetE0EEEvSK_
	.globl	_ZN7rocprim17ROCPRIM_400000_NS6detail17trampoline_kernelINS0_14default_configENS1_38merge_sort_block_merge_config_selectorIyNS0_10empty_typeEEEZZNS1_27merge_sort_block_merge_implIS3_N6thrust23THRUST_200600_302600_NS6detail15normal_iteratorINS9_10device_ptrIyEEEEPS5_m9comp_mod3IyEEE10hipError_tT0_T1_T2_jT3_P12ihipStream_tbPNSt15iterator_traitsISJ_E10value_typeEPNSP_ISK_E10value_typeEPSL_NS1_7vsmem_tEENKUlT_SJ_SK_SL_E_clIPySE_SF_SF_EESI_SY_SJ_SK_SL_EUlSY_E0_NS1_11comp_targetILNS1_3genE8ELNS1_11target_archE1030ELNS1_3gpuE2ELNS1_3repE0EEENS1_38merge_mergepath_config_static_selectorELNS0_4arch9wavefront6targetE0EEEvSK_
	.p2align	8
	.type	_ZN7rocprim17ROCPRIM_400000_NS6detail17trampoline_kernelINS0_14default_configENS1_38merge_sort_block_merge_config_selectorIyNS0_10empty_typeEEEZZNS1_27merge_sort_block_merge_implIS3_N6thrust23THRUST_200600_302600_NS6detail15normal_iteratorINS9_10device_ptrIyEEEEPS5_m9comp_mod3IyEEE10hipError_tT0_T1_T2_jT3_P12ihipStream_tbPNSt15iterator_traitsISJ_E10value_typeEPNSP_ISK_E10value_typeEPSL_NS1_7vsmem_tEENKUlT_SJ_SK_SL_E_clIPySE_SF_SF_EESI_SY_SJ_SK_SL_EUlSY_E0_NS1_11comp_targetILNS1_3genE8ELNS1_11target_archE1030ELNS1_3gpuE2ELNS1_3repE0EEENS1_38merge_mergepath_config_static_selectorELNS0_4arch9wavefront6targetE0EEEvSK_,@function
_ZN7rocprim17ROCPRIM_400000_NS6detail17trampoline_kernelINS0_14default_configENS1_38merge_sort_block_merge_config_selectorIyNS0_10empty_typeEEEZZNS1_27merge_sort_block_merge_implIS3_N6thrust23THRUST_200600_302600_NS6detail15normal_iteratorINS9_10device_ptrIyEEEEPS5_m9comp_mod3IyEEE10hipError_tT0_T1_T2_jT3_P12ihipStream_tbPNSt15iterator_traitsISJ_E10value_typeEPNSP_ISK_E10value_typeEPSL_NS1_7vsmem_tEENKUlT_SJ_SK_SL_E_clIPySE_SF_SF_EESI_SY_SJ_SK_SL_EUlSY_E0_NS1_11comp_targetILNS1_3genE8ELNS1_11target_archE1030ELNS1_3gpuE2ELNS1_3repE0EEENS1_38merge_mergepath_config_static_selectorELNS0_4arch9wavefront6targetE0EEEvSK_: ; @_ZN7rocprim17ROCPRIM_400000_NS6detail17trampoline_kernelINS0_14default_configENS1_38merge_sort_block_merge_config_selectorIyNS0_10empty_typeEEEZZNS1_27merge_sort_block_merge_implIS3_N6thrust23THRUST_200600_302600_NS6detail15normal_iteratorINS9_10device_ptrIyEEEEPS5_m9comp_mod3IyEEE10hipError_tT0_T1_T2_jT3_P12ihipStream_tbPNSt15iterator_traitsISJ_E10value_typeEPNSP_ISK_E10value_typeEPSL_NS1_7vsmem_tEENKUlT_SJ_SK_SL_E_clIPySE_SF_SF_EESI_SY_SJ_SK_SL_EUlSY_E0_NS1_11comp_targetILNS1_3genE8ELNS1_11target_archE1030ELNS1_3gpuE2ELNS1_3repE0EEENS1_38merge_mergepath_config_static_selectorELNS0_4arch9wavefront6targetE0EEEvSK_
; %bb.0:
	s_clause 0x1
	s_load_dwordx2 s[0:1], s[4:5], 0x50
	s_load_dword s2, s[4:5], 0x38
	s_waitcnt lgkmcnt(0)
	s_mul_i32 s1, s1, s8
	s_add_i32 s1, s1, s7
	s_mul_i32 s0, s1, s0
	s_add_i32 s0, s0, s6
	s_cmp_ge_u32 s0, s2
	s_cbranch_scc1 .LBB774_24
; %bb.1:
	s_clause 0x1
	s_load_dwordx2 s[2:3], s[4:5], 0x48
	s_load_dwordx4 s[8:11], s[4:5], 0x28
	s_mov_b32 s1, 0
	s_lshl_b64 s[6:7], s[0:1], 3
	s_mov_b32 s17, s1
	s_waitcnt lgkmcnt(0)
	s_add_u32 s2, s2, s6
	s_addc_u32 s3, s3, s7
	s_lshl_b64 s[6:7], s[0:1], 10
	s_load_dwordx4 s[12:15], s[2:3], 0x0
	s_lshr_b64 s[2:3], s[10:11], 9
	s_and_b32 s2, s2, -2
	s_sub_i32 s21, 0, s2
	s_and_b32 s16, s0, s21
	s_lshl_b64 s[2:3], s[16:17], 10
	s_sub_u32 s18, s6, s2
	s_subb_u32 s22, s7, s3
	s_lshl_b64 s[16:17], s[16:17], 11
	s_add_u32 s19, s16, s10
	s_addc_u32 s20, s17, s11
	s_add_u32 s16, s19, s18
	s_addc_u32 s17, s20, s22
	s_waitcnt lgkmcnt(0)
	s_sub_u32 s18, s16, s14
	s_subb_u32 s15, s17, s15
	s_add_u32 s22, s18, 0x400
	s_addc_u32 s23, s15, 0
	v_cmp_lt_u64_e64 s15, s[8:9], s[22:23]
	s_and_b32 s15, s15, exec_lo
	s_cselect_b32 s18, s8, s22
	s_or_b32 s15, s0, s21
	s_cmp_lg_u32 s15, -1
	s_cbranch_scc1 .LBB774_3
; %bb.2:
	s_sub_u32 s2, s19, s2
	s_subb_u32 s3, s20, s3
	v_cmp_lt_u64_e64 s14, s[8:9], s[2:3]
	s_and_b32 s14, s14, exec_lo
	s_cselect_b32 s14, s8, s2
	s_add_u32 s2, s2, s10
	s_addc_u32 s3, s3, s11
	v_cmp_lt_u64_e64 s3, s[8:9], s[2:3]
	s_and_b32 s3, s3, exec_lo
	s_cselect_b32 s18, s8, s2
.LBB774_3:
	s_lshr_b64 s[2:3], s[8:9], 10
	v_mov_b32_e32 v3, 0
	s_cmp_lg_u64 s[2:3], s[0:1]
	s_load_dwordx4 s[0:3], s[4:5], 0x8
	s_cselect_b32 s15, -1, 0
	s_sub_u32 s10, s16, s12
	s_subb_u32 s11, s17, s13
                                        ; implicit-def: $vgpr1_vgpr2
	v_cmp_lt_u64_e64 s16, s[8:9], s[10:11]
	s_and_b32 s16, s16, exec_lo
	s_cselect_b32 s10, s8, s10
	s_cselect_b32 s11, s9, s11
	s_sub_i32 s14, s14, s12
	s_sub_i32 s16, s18, s10
	s_add_i32 s9, s14, s16
	v_cmp_gt_u32_e32 vcc_lo, s9, v0
	s_or_b32 s17, s15, vcc_lo
	s_and_saveexec_b32 s18, s17
	s_xor_b32 s17, exec_lo, s18
	s_cbranch_execz .LBB774_5
; %bb.4:
	v_lshlrev_b32_e32 v1, 3, v0
	v_sub_co_u32 v2, vcc_lo, v0, s14
	s_lshl_b64 s[12:13], s[12:13], 3
	s_waitcnt lgkmcnt(0)
	s_add_u32 s12, s0, s12
	s_addc_u32 s13, s1, s13
	v_add_co_u32 v4, s12, s12, v1
	v_lshlrev_b64 v[1:2], 3, v[2:3]
	s_lshl_b64 s[10:11], s[10:11], 3
	v_add_co_ci_u32_e64 v5, null, s13, 0, s12
	s_add_u32 s0, s0, s10
	s_addc_u32 s1, s1, s11
	v_add_co_u32 v1, s0, s0, v1
	v_add_co_ci_u32_e64 v2, null, s1, v2, s0
	v_cndmask_b32_e32 v1, v1, v4, vcc_lo
	v_cndmask_b32_e32 v2, v2, v5, vcc_lo
	global_load_dwordx2 v[1:2], v[1:2], off
.LBB774_5:
	s_waitcnt lgkmcnt(0)
	s_or_saveexec_b32 s0, s17
	s_load_dwordx2 s[4:5], s[4:5], 0x40
	s_xor_b32 exec_lo, exec_lo, s0
; %bb.6:
                                        ; implicit-def: $vgpr1_vgpr2
; %bb.7:
	s_or_b32 exec_lo, exec_lo, s0
	v_min_u32_e32 v7, s9, v0
	v_lshlrev_b32_e32 v5, 3, v0
	s_mov_b32 s0, exec_lo
	v_sub_nc_u32_e64 v6, v7, s16 clamp
	v_min_u32_e32 v8, s14, v7
	s_waitcnt vmcnt(0)
	ds_write_b64 v5, v[1:2]
	s_waitcnt lgkmcnt(0)
	s_barrier
	buffer_gl0_inv
	v_cmpx_lt_u32_e64 v6, v8
	s_cbranch_execz .LBB774_11
; %bb.8:
	v_lshlrev_b32_e32 v3, 3, v7
	s_mov_b32 s1, 0
	v_lshl_add_u32 v9, s14, 3, v3
	v_mov_b32_e32 v3, 0
	s_inst_prefetch 0x1
	.p2align	6
.LBB774_9:                              ; =>This Inner Loop Header: Depth=1
	v_add_nc_u32_e32 v4, v8, v6
	v_lshrrev_b32_e32 v14, 1, v4
	v_not_b32_e32 v4, v14
	v_lshlrev_b32_e32 v12, 3, v14
	v_lshl_add_u32 v4, v4, 3, v9
	ds_read_b32 v4, v4
	s_waitcnt lgkmcnt(0)
	v_ashrrev_i64 v[10:11], 29, v[3:4]
	ds_read_b32 v4, v12
	v_add_co_u32 v10, vcc_lo, s4, v10
	v_add_co_ci_u32_e64 v11, null, s5, v11, vcc_lo
	s_waitcnt lgkmcnt(0)
	v_ashrrev_i64 v[12:13], 29, v[3:4]
	v_add_nc_u32_e32 v4, 1, v14
	v_add_co_u32 v12, vcc_lo, s4, v12
	v_add_co_ci_u32_e64 v13, null, s5, v13, vcc_lo
	s_clause 0x1
	global_load_dwordx2 v[10:11], v[10:11], off
	global_load_dwordx2 v[12:13], v[12:13], off
	s_waitcnt vmcnt(0)
	v_cmp_lt_u64_e32 vcc_lo, v[10:11], v[12:13]
	v_cndmask_b32_e32 v8, v8, v14, vcc_lo
	v_cndmask_b32_e32 v6, v4, v6, vcc_lo
	v_cmp_ge_u32_e32 vcc_lo, v6, v8
	s_or_b32 s1, vcc_lo, s1
	s_andn2_b32 exec_lo, exec_lo, s1
	s_cbranch_execnz .LBB774_9
; %bb.10:
	s_inst_prefetch 0x2
	s_or_b32 exec_lo, exec_lo, s1
.LBB774_11:
	s_or_b32 exec_lo, exec_lo, s0
	v_sub_nc_u32_e32 v3, v7, v6
	v_cmp_ge_u32_e32 vcc_lo, s14, v6
	v_add_nc_u32_e32 v7, s14, v3
	v_cmp_ge_u32_e64 s0, s9, v7
	s_or_b32 s0, vcc_lo, s0
	s_and_saveexec_b32 s1, s0
	s_cbranch_execz .LBB774_19
; %bb.12:
	s_mov_b32 s10, exec_lo
	v_cmp_le_u32_e32 vcc_lo, s14, v6
                                        ; implicit-def: $vgpr1_vgpr2
	v_cmpx_gt_u32_e64 s14, v6
; %bb.13:
	v_lshlrev_b32_e32 v1, 3, v6
	ds_read_b64 v[1:2], v1
; %bb.14:
	s_or_b32 exec_lo, exec_lo, s10
	v_cmp_le_u32_e64 s10, s9, v7
	v_cmp_gt_u32_e64 s0, s9, v7
                                        ; implicit-def: $vgpr3_vgpr4
	s_and_saveexec_b32 s9, s0
; %bb.15:
	v_lshlrev_b32_e32 v3, 3, v7
	ds_read_b64 v[3:4], v3
; %bb.16:
	s_or_b32 exec_lo, exec_lo, s9
	s_nor_b32 s9, vcc_lo, s10
	s_and_saveexec_b32 s0, s9
	s_cbranch_execz .LBB774_18
; %bb.17:
	v_mov_b32_e32 v6, 0
	s_waitcnt lgkmcnt(0)
	v_mov_b32_e32 v7, v3
	v_ashrrev_i64 v[8:9], 29, v[6:7]
	v_mov_b32_e32 v7, v1
	v_ashrrev_i64 v[6:7], 29, v[6:7]
	v_add_co_u32 v8, vcc_lo, s4, v8
	v_add_co_ci_u32_e64 v9, null, s5, v9, vcc_lo
	v_add_co_u32 v6, vcc_lo, s4, v6
	v_add_co_ci_u32_e64 v7, null, s5, v7, vcc_lo
	s_clause 0x1
	global_load_dwordx2 v[8:9], v[8:9], off
	global_load_dwordx2 v[6:7], v[6:7], off
	s_andn2_b32 s4, s10, exec_lo
	s_waitcnt vmcnt(0)
	v_cmp_ge_u64_e32 vcc_lo, v[8:9], v[6:7]
	s_and_b32 s5, vcc_lo, exec_lo
	s_or_b32 s10, s4, s5
.LBB774_18:
	s_or_b32 exec_lo, exec_lo, s0
	s_waitcnt lgkmcnt(0)
	v_cndmask_b32_e64 v2, v4, v2, s10
	v_cndmask_b32_e64 v1, v3, v1, s10
.LBB774_19:
	s_or_b32 exec_lo, exec_lo, s1
	s_and_b32 vcc_lo, exec_lo, s15
	s_mov_b32 s0, -1
	s_barrier
	buffer_gl0_inv
	s_barrier
	buffer_gl0_inv
	s_cbranch_vccz .LBB774_21
; %bb.20:
	ds_write_b64 v5, v[1:2]
	s_waitcnt lgkmcnt(0)
	s_barrier
	buffer_gl0_inv
	ds_read_b64 v[3:4], v5
	s_lshl_b64 s[0:1], s[6:7], 3
	s_add_u32 s4, s2, s0
	s_addc_u32 s5, s3, s1
	s_mov_b32 s0, 0
	s_waitcnt lgkmcnt(0)
	global_store_dwordx2 v5, v[3:4], s[4:5]
.LBB774_21:
	s_andn2_b32 vcc_lo, exec_lo, s0
	s_cbranch_vccnz .LBB774_24
; %bb.22:
	s_sub_i32 s0, s8, s6
	ds_write_b64 v5, v[1:2]
	v_cmp_gt_u32_e32 vcc_lo, s0, v0
	s_waitcnt lgkmcnt(0)
	s_waitcnt_vscnt null, 0x0
	s_barrier
	buffer_gl0_inv
	s_and_saveexec_b32 s0, vcc_lo
	s_cbranch_execz .LBB774_24
; %bb.23:
	ds_read_b64 v[0:1], v5
	s_lshl_b64 s[0:1], s[6:7], 3
	s_add_u32 s0, s2, s0
	s_addc_u32 s1, s3, s1
	s_waitcnt lgkmcnt(0)
	global_store_dwordx2 v5, v[0:1], s[0:1]
.LBB774_24:
	s_endpgm
	.section	.rodata,"a",@progbits
	.p2align	6, 0x0
	.amdhsa_kernel _ZN7rocprim17ROCPRIM_400000_NS6detail17trampoline_kernelINS0_14default_configENS1_38merge_sort_block_merge_config_selectorIyNS0_10empty_typeEEEZZNS1_27merge_sort_block_merge_implIS3_N6thrust23THRUST_200600_302600_NS6detail15normal_iteratorINS9_10device_ptrIyEEEEPS5_m9comp_mod3IyEEE10hipError_tT0_T1_T2_jT3_P12ihipStream_tbPNSt15iterator_traitsISJ_E10value_typeEPNSP_ISK_E10value_typeEPSL_NS1_7vsmem_tEENKUlT_SJ_SK_SL_E_clIPySE_SF_SF_EESI_SY_SJ_SK_SL_EUlSY_E0_NS1_11comp_targetILNS1_3genE8ELNS1_11target_archE1030ELNS1_3gpuE2ELNS1_3repE0EEENS1_38merge_mergepath_config_static_selectorELNS0_4arch9wavefront6targetE0EEEvSK_
		.amdhsa_group_segment_fixed_size 8208
		.amdhsa_private_segment_fixed_size 0
		.amdhsa_kernarg_size 336
		.amdhsa_user_sgpr_count 6
		.amdhsa_user_sgpr_private_segment_buffer 1
		.amdhsa_user_sgpr_dispatch_ptr 0
		.amdhsa_user_sgpr_queue_ptr 0
		.amdhsa_user_sgpr_kernarg_segment_ptr 1
		.amdhsa_user_sgpr_dispatch_id 0
		.amdhsa_user_sgpr_flat_scratch_init 0
		.amdhsa_user_sgpr_private_segment_size 0
		.amdhsa_wavefront_size32 1
		.amdhsa_uses_dynamic_stack 0
		.amdhsa_system_sgpr_private_segment_wavefront_offset 0
		.amdhsa_system_sgpr_workgroup_id_x 1
		.amdhsa_system_sgpr_workgroup_id_y 1
		.amdhsa_system_sgpr_workgroup_id_z 1
		.amdhsa_system_sgpr_workgroup_info 0
		.amdhsa_system_vgpr_workitem_id 0
		.amdhsa_next_free_vgpr 15
		.amdhsa_next_free_sgpr 24
		.amdhsa_reserve_vcc 1
		.amdhsa_reserve_flat_scratch 0
		.amdhsa_float_round_mode_32 0
		.amdhsa_float_round_mode_16_64 0
		.amdhsa_float_denorm_mode_32 3
		.amdhsa_float_denorm_mode_16_64 3
		.amdhsa_dx10_clamp 1
		.amdhsa_ieee_mode 1
		.amdhsa_fp16_overflow 0
		.amdhsa_workgroup_processor_mode 1
		.amdhsa_memory_ordered 1
		.amdhsa_forward_progress 1
		.amdhsa_shared_vgpr_count 0
		.amdhsa_exception_fp_ieee_invalid_op 0
		.amdhsa_exception_fp_denorm_src 0
		.amdhsa_exception_fp_ieee_div_zero 0
		.amdhsa_exception_fp_ieee_overflow 0
		.amdhsa_exception_fp_ieee_underflow 0
		.amdhsa_exception_fp_ieee_inexact 0
		.amdhsa_exception_int_div_zero 0
	.end_amdhsa_kernel
	.section	.text._ZN7rocprim17ROCPRIM_400000_NS6detail17trampoline_kernelINS0_14default_configENS1_38merge_sort_block_merge_config_selectorIyNS0_10empty_typeEEEZZNS1_27merge_sort_block_merge_implIS3_N6thrust23THRUST_200600_302600_NS6detail15normal_iteratorINS9_10device_ptrIyEEEEPS5_m9comp_mod3IyEEE10hipError_tT0_T1_T2_jT3_P12ihipStream_tbPNSt15iterator_traitsISJ_E10value_typeEPNSP_ISK_E10value_typeEPSL_NS1_7vsmem_tEENKUlT_SJ_SK_SL_E_clIPySE_SF_SF_EESI_SY_SJ_SK_SL_EUlSY_E0_NS1_11comp_targetILNS1_3genE8ELNS1_11target_archE1030ELNS1_3gpuE2ELNS1_3repE0EEENS1_38merge_mergepath_config_static_selectorELNS0_4arch9wavefront6targetE0EEEvSK_,"axG",@progbits,_ZN7rocprim17ROCPRIM_400000_NS6detail17trampoline_kernelINS0_14default_configENS1_38merge_sort_block_merge_config_selectorIyNS0_10empty_typeEEEZZNS1_27merge_sort_block_merge_implIS3_N6thrust23THRUST_200600_302600_NS6detail15normal_iteratorINS9_10device_ptrIyEEEEPS5_m9comp_mod3IyEEE10hipError_tT0_T1_T2_jT3_P12ihipStream_tbPNSt15iterator_traitsISJ_E10value_typeEPNSP_ISK_E10value_typeEPSL_NS1_7vsmem_tEENKUlT_SJ_SK_SL_E_clIPySE_SF_SF_EESI_SY_SJ_SK_SL_EUlSY_E0_NS1_11comp_targetILNS1_3genE8ELNS1_11target_archE1030ELNS1_3gpuE2ELNS1_3repE0EEENS1_38merge_mergepath_config_static_selectorELNS0_4arch9wavefront6targetE0EEEvSK_,comdat
.Lfunc_end774:
	.size	_ZN7rocprim17ROCPRIM_400000_NS6detail17trampoline_kernelINS0_14default_configENS1_38merge_sort_block_merge_config_selectorIyNS0_10empty_typeEEEZZNS1_27merge_sort_block_merge_implIS3_N6thrust23THRUST_200600_302600_NS6detail15normal_iteratorINS9_10device_ptrIyEEEEPS5_m9comp_mod3IyEEE10hipError_tT0_T1_T2_jT3_P12ihipStream_tbPNSt15iterator_traitsISJ_E10value_typeEPNSP_ISK_E10value_typeEPSL_NS1_7vsmem_tEENKUlT_SJ_SK_SL_E_clIPySE_SF_SF_EESI_SY_SJ_SK_SL_EUlSY_E0_NS1_11comp_targetILNS1_3genE8ELNS1_11target_archE1030ELNS1_3gpuE2ELNS1_3repE0EEENS1_38merge_mergepath_config_static_selectorELNS0_4arch9wavefront6targetE0EEEvSK_, .Lfunc_end774-_ZN7rocprim17ROCPRIM_400000_NS6detail17trampoline_kernelINS0_14default_configENS1_38merge_sort_block_merge_config_selectorIyNS0_10empty_typeEEEZZNS1_27merge_sort_block_merge_implIS3_N6thrust23THRUST_200600_302600_NS6detail15normal_iteratorINS9_10device_ptrIyEEEEPS5_m9comp_mod3IyEEE10hipError_tT0_T1_T2_jT3_P12ihipStream_tbPNSt15iterator_traitsISJ_E10value_typeEPNSP_ISK_E10value_typeEPSL_NS1_7vsmem_tEENKUlT_SJ_SK_SL_E_clIPySE_SF_SF_EESI_SY_SJ_SK_SL_EUlSY_E0_NS1_11comp_targetILNS1_3genE8ELNS1_11target_archE1030ELNS1_3gpuE2ELNS1_3repE0EEENS1_38merge_mergepath_config_static_selectorELNS0_4arch9wavefront6targetE0EEEvSK_
                                        ; -- End function
	.set _ZN7rocprim17ROCPRIM_400000_NS6detail17trampoline_kernelINS0_14default_configENS1_38merge_sort_block_merge_config_selectorIyNS0_10empty_typeEEEZZNS1_27merge_sort_block_merge_implIS3_N6thrust23THRUST_200600_302600_NS6detail15normal_iteratorINS9_10device_ptrIyEEEEPS5_m9comp_mod3IyEEE10hipError_tT0_T1_T2_jT3_P12ihipStream_tbPNSt15iterator_traitsISJ_E10value_typeEPNSP_ISK_E10value_typeEPSL_NS1_7vsmem_tEENKUlT_SJ_SK_SL_E_clIPySE_SF_SF_EESI_SY_SJ_SK_SL_EUlSY_E0_NS1_11comp_targetILNS1_3genE8ELNS1_11target_archE1030ELNS1_3gpuE2ELNS1_3repE0EEENS1_38merge_mergepath_config_static_selectorELNS0_4arch9wavefront6targetE0EEEvSK_.num_vgpr, 15
	.set _ZN7rocprim17ROCPRIM_400000_NS6detail17trampoline_kernelINS0_14default_configENS1_38merge_sort_block_merge_config_selectorIyNS0_10empty_typeEEEZZNS1_27merge_sort_block_merge_implIS3_N6thrust23THRUST_200600_302600_NS6detail15normal_iteratorINS9_10device_ptrIyEEEEPS5_m9comp_mod3IyEEE10hipError_tT0_T1_T2_jT3_P12ihipStream_tbPNSt15iterator_traitsISJ_E10value_typeEPNSP_ISK_E10value_typeEPSL_NS1_7vsmem_tEENKUlT_SJ_SK_SL_E_clIPySE_SF_SF_EESI_SY_SJ_SK_SL_EUlSY_E0_NS1_11comp_targetILNS1_3genE8ELNS1_11target_archE1030ELNS1_3gpuE2ELNS1_3repE0EEENS1_38merge_mergepath_config_static_selectorELNS0_4arch9wavefront6targetE0EEEvSK_.num_agpr, 0
	.set _ZN7rocprim17ROCPRIM_400000_NS6detail17trampoline_kernelINS0_14default_configENS1_38merge_sort_block_merge_config_selectorIyNS0_10empty_typeEEEZZNS1_27merge_sort_block_merge_implIS3_N6thrust23THRUST_200600_302600_NS6detail15normal_iteratorINS9_10device_ptrIyEEEEPS5_m9comp_mod3IyEEE10hipError_tT0_T1_T2_jT3_P12ihipStream_tbPNSt15iterator_traitsISJ_E10value_typeEPNSP_ISK_E10value_typeEPSL_NS1_7vsmem_tEENKUlT_SJ_SK_SL_E_clIPySE_SF_SF_EESI_SY_SJ_SK_SL_EUlSY_E0_NS1_11comp_targetILNS1_3genE8ELNS1_11target_archE1030ELNS1_3gpuE2ELNS1_3repE0EEENS1_38merge_mergepath_config_static_selectorELNS0_4arch9wavefront6targetE0EEEvSK_.numbered_sgpr, 24
	.set _ZN7rocprim17ROCPRIM_400000_NS6detail17trampoline_kernelINS0_14default_configENS1_38merge_sort_block_merge_config_selectorIyNS0_10empty_typeEEEZZNS1_27merge_sort_block_merge_implIS3_N6thrust23THRUST_200600_302600_NS6detail15normal_iteratorINS9_10device_ptrIyEEEEPS5_m9comp_mod3IyEEE10hipError_tT0_T1_T2_jT3_P12ihipStream_tbPNSt15iterator_traitsISJ_E10value_typeEPNSP_ISK_E10value_typeEPSL_NS1_7vsmem_tEENKUlT_SJ_SK_SL_E_clIPySE_SF_SF_EESI_SY_SJ_SK_SL_EUlSY_E0_NS1_11comp_targetILNS1_3genE8ELNS1_11target_archE1030ELNS1_3gpuE2ELNS1_3repE0EEENS1_38merge_mergepath_config_static_selectorELNS0_4arch9wavefront6targetE0EEEvSK_.num_named_barrier, 0
	.set _ZN7rocprim17ROCPRIM_400000_NS6detail17trampoline_kernelINS0_14default_configENS1_38merge_sort_block_merge_config_selectorIyNS0_10empty_typeEEEZZNS1_27merge_sort_block_merge_implIS3_N6thrust23THRUST_200600_302600_NS6detail15normal_iteratorINS9_10device_ptrIyEEEEPS5_m9comp_mod3IyEEE10hipError_tT0_T1_T2_jT3_P12ihipStream_tbPNSt15iterator_traitsISJ_E10value_typeEPNSP_ISK_E10value_typeEPSL_NS1_7vsmem_tEENKUlT_SJ_SK_SL_E_clIPySE_SF_SF_EESI_SY_SJ_SK_SL_EUlSY_E0_NS1_11comp_targetILNS1_3genE8ELNS1_11target_archE1030ELNS1_3gpuE2ELNS1_3repE0EEENS1_38merge_mergepath_config_static_selectorELNS0_4arch9wavefront6targetE0EEEvSK_.private_seg_size, 0
	.set _ZN7rocprim17ROCPRIM_400000_NS6detail17trampoline_kernelINS0_14default_configENS1_38merge_sort_block_merge_config_selectorIyNS0_10empty_typeEEEZZNS1_27merge_sort_block_merge_implIS3_N6thrust23THRUST_200600_302600_NS6detail15normal_iteratorINS9_10device_ptrIyEEEEPS5_m9comp_mod3IyEEE10hipError_tT0_T1_T2_jT3_P12ihipStream_tbPNSt15iterator_traitsISJ_E10value_typeEPNSP_ISK_E10value_typeEPSL_NS1_7vsmem_tEENKUlT_SJ_SK_SL_E_clIPySE_SF_SF_EESI_SY_SJ_SK_SL_EUlSY_E0_NS1_11comp_targetILNS1_3genE8ELNS1_11target_archE1030ELNS1_3gpuE2ELNS1_3repE0EEENS1_38merge_mergepath_config_static_selectorELNS0_4arch9wavefront6targetE0EEEvSK_.uses_vcc, 1
	.set _ZN7rocprim17ROCPRIM_400000_NS6detail17trampoline_kernelINS0_14default_configENS1_38merge_sort_block_merge_config_selectorIyNS0_10empty_typeEEEZZNS1_27merge_sort_block_merge_implIS3_N6thrust23THRUST_200600_302600_NS6detail15normal_iteratorINS9_10device_ptrIyEEEEPS5_m9comp_mod3IyEEE10hipError_tT0_T1_T2_jT3_P12ihipStream_tbPNSt15iterator_traitsISJ_E10value_typeEPNSP_ISK_E10value_typeEPSL_NS1_7vsmem_tEENKUlT_SJ_SK_SL_E_clIPySE_SF_SF_EESI_SY_SJ_SK_SL_EUlSY_E0_NS1_11comp_targetILNS1_3genE8ELNS1_11target_archE1030ELNS1_3gpuE2ELNS1_3repE0EEENS1_38merge_mergepath_config_static_selectorELNS0_4arch9wavefront6targetE0EEEvSK_.uses_flat_scratch, 0
	.set _ZN7rocprim17ROCPRIM_400000_NS6detail17trampoline_kernelINS0_14default_configENS1_38merge_sort_block_merge_config_selectorIyNS0_10empty_typeEEEZZNS1_27merge_sort_block_merge_implIS3_N6thrust23THRUST_200600_302600_NS6detail15normal_iteratorINS9_10device_ptrIyEEEEPS5_m9comp_mod3IyEEE10hipError_tT0_T1_T2_jT3_P12ihipStream_tbPNSt15iterator_traitsISJ_E10value_typeEPNSP_ISK_E10value_typeEPSL_NS1_7vsmem_tEENKUlT_SJ_SK_SL_E_clIPySE_SF_SF_EESI_SY_SJ_SK_SL_EUlSY_E0_NS1_11comp_targetILNS1_3genE8ELNS1_11target_archE1030ELNS1_3gpuE2ELNS1_3repE0EEENS1_38merge_mergepath_config_static_selectorELNS0_4arch9wavefront6targetE0EEEvSK_.has_dyn_sized_stack, 0
	.set _ZN7rocprim17ROCPRIM_400000_NS6detail17trampoline_kernelINS0_14default_configENS1_38merge_sort_block_merge_config_selectorIyNS0_10empty_typeEEEZZNS1_27merge_sort_block_merge_implIS3_N6thrust23THRUST_200600_302600_NS6detail15normal_iteratorINS9_10device_ptrIyEEEEPS5_m9comp_mod3IyEEE10hipError_tT0_T1_T2_jT3_P12ihipStream_tbPNSt15iterator_traitsISJ_E10value_typeEPNSP_ISK_E10value_typeEPSL_NS1_7vsmem_tEENKUlT_SJ_SK_SL_E_clIPySE_SF_SF_EESI_SY_SJ_SK_SL_EUlSY_E0_NS1_11comp_targetILNS1_3genE8ELNS1_11target_archE1030ELNS1_3gpuE2ELNS1_3repE0EEENS1_38merge_mergepath_config_static_selectorELNS0_4arch9wavefront6targetE0EEEvSK_.has_recursion, 0
	.set _ZN7rocprim17ROCPRIM_400000_NS6detail17trampoline_kernelINS0_14default_configENS1_38merge_sort_block_merge_config_selectorIyNS0_10empty_typeEEEZZNS1_27merge_sort_block_merge_implIS3_N6thrust23THRUST_200600_302600_NS6detail15normal_iteratorINS9_10device_ptrIyEEEEPS5_m9comp_mod3IyEEE10hipError_tT0_T1_T2_jT3_P12ihipStream_tbPNSt15iterator_traitsISJ_E10value_typeEPNSP_ISK_E10value_typeEPSL_NS1_7vsmem_tEENKUlT_SJ_SK_SL_E_clIPySE_SF_SF_EESI_SY_SJ_SK_SL_EUlSY_E0_NS1_11comp_targetILNS1_3genE8ELNS1_11target_archE1030ELNS1_3gpuE2ELNS1_3repE0EEENS1_38merge_mergepath_config_static_selectorELNS0_4arch9wavefront6targetE0EEEvSK_.has_indirect_call, 0
	.section	.AMDGPU.csdata,"",@progbits
; Kernel info:
; codeLenInByte = 1168
; TotalNumSgprs: 26
; NumVgprs: 15
; ScratchSize: 0
; MemoryBound: 0
; FloatMode: 240
; IeeeMode: 1
; LDSByteSize: 8208 bytes/workgroup (compile time only)
; SGPRBlocks: 0
; VGPRBlocks: 1
; NumSGPRsForWavesPerEU: 26
; NumVGPRsForWavesPerEU: 15
; Occupancy: 16
; WaveLimiterHint : 1
; COMPUTE_PGM_RSRC2:SCRATCH_EN: 0
; COMPUTE_PGM_RSRC2:USER_SGPR: 6
; COMPUTE_PGM_RSRC2:TRAP_HANDLER: 0
; COMPUTE_PGM_RSRC2:TGID_X_EN: 1
; COMPUTE_PGM_RSRC2:TGID_Y_EN: 1
; COMPUTE_PGM_RSRC2:TGID_Z_EN: 1
; COMPUTE_PGM_RSRC2:TIDIG_COMP_CNT: 0
	.section	.text._ZN7rocprim17ROCPRIM_400000_NS6detail17trampoline_kernelINS0_14default_configENS1_38merge_sort_block_merge_config_selectorIyNS0_10empty_typeEEEZZNS1_27merge_sort_block_merge_implIS3_N6thrust23THRUST_200600_302600_NS6detail15normal_iteratorINS9_10device_ptrIyEEEEPS5_m9comp_mod3IyEEE10hipError_tT0_T1_T2_jT3_P12ihipStream_tbPNSt15iterator_traitsISJ_E10value_typeEPNSP_ISK_E10value_typeEPSL_NS1_7vsmem_tEENKUlT_SJ_SK_SL_E_clIPySE_SF_SF_EESI_SY_SJ_SK_SL_EUlSY_E1_NS1_11comp_targetILNS1_3genE0ELNS1_11target_archE4294967295ELNS1_3gpuE0ELNS1_3repE0EEENS1_36merge_oddeven_config_static_selectorELNS0_4arch9wavefront6targetE0EEEvSK_,"axG",@progbits,_ZN7rocprim17ROCPRIM_400000_NS6detail17trampoline_kernelINS0_14default_configENS1_38merge_sort_block_merge_config_selectorIyNS0_10empty_typeEEEZZNS1_27merge_sort_block_merge_implIS3_N6thrust23THRUST_200600_302600_NS6detail15normal_iteratorINS9_10device_ptrIyEEEEPS5_m9comp_mod3IyEEE10hipError_tT0_T1_T2_jT3_P12ihipStream_tbPNSt15iterator_traitsISJ_E10value_typeEPNSP_ISK_E10value_typeEPSL_NS1_7vsmem_tEENKUlT_SJ_SK_SL_E_clIPySE_SF_SF_EESI_SY_SJ_SK_SL_EUlSY_E1_NS1_11comp_targetILNS1_3genE0ELNS1_11target_archE4294967295ELNS1_3gpuE0ELNS1_3repE0EEENS1_36merge_oddeven_config_static_selectorELNS0_4arch9wavefront6targetE0EEEvSK_,comdat
	.protected	_ZN7rocprim17ROCPRIM_400000_NS6detail17trampoline_kernelINS0_14default_configENS1_38merge_sort_block_merge_config_selectorIyNS0_10empty_typeEEEZZNS1_27merge_sort_block_merge_implIS3_N6thrust23THRUST_200600_302600_NS6detail15normal_iteratorINS9_10device_ptrIyEEEEPS5_m9comp_mod3IyEEE10hipError_tT0_T1_T2_jT3_P12ihipStream_tbPNSt15iterator_traitsISJ_E10value_typeEPNSP_ISK_E10value_typeEPSL_NS1_7vsmem_tEENKUlT_SJ_SK_SL_E_clIPySE_SF_SF_EESI_SY_SJ_SK_SL_EUlSY_E1_NS1_11comp_targetILNS1_3genE0ELNS1_11target_archE4294967295ELNS1_3gpuE0ELNS1_3repE0EEENS1_36merge_oddeven_config_static_selectorELNS0_4arch9wavefront6targetE0EEEvSK_ ; -- Begin function _ZN7rocprim17ROCPRIM_400000_NS6detail17trampoline_kernelINS0_14default_configENS1_38merge_sort_block_merge_config_selectorIyNS0_10empty_typeEEEZZNS1_27merge_sort_block_merge_implIS3_N6thrust23THRUST_200600_302600_NS6detail15normal_iteratorINS9_10device_ptrIyEEEEPS5_m9comp_mod3IyEEE10hipError_tT0_T1_T2_jT3_P12ihipStream_tbPNSt15iterator_traitsISJ_E10value_typeEPNSP_ISK_E10value_typeEPSL_NS1_7vsmem_tEENKUlT_SJ_SK_SL_E_clIPySE_SF_SF_EESI_SY_SJ_SK_SL_EUlSY_E1_NS1_11comp_targetILNS1_3genE0ELNS1_11target_archE4294967295ELNS1_3gpuE0ELNS1_3repE0EEENS1_36merge_oddeven_config_static_selectorELNS0_4arch9wavefront6targetE0EEEvSK_
	.globl	_ZN7rocprim17ROCPRIM_400000_NS6detail17trampoline_kernelINS0_14default_configENS1_38merge_sort_block_merge_config_selectorIyNS0_10empty_typeEEEZZNS1_27merge_sort_block_merge_implIS3_N6thrust23THRUST_200600_302600_NS6detail15normal_iteratorINS9_10device_ptrIyEEEEPS5_m9comp_mod3IyEEE10hipError_tT0_T1_T2_jT3_P12ihipStream_tbPNSt15iterator_traitsISJ_E10value_typeEPNSP_ISK_E10value_typeEPSL_NS1_7vsmem_tEENKUlT_SJ_SK_SL_E_clIPySE_SF_SF_EESI_SY_SJ_SK_SL_EUlSY_E1_NS1_11comp_targetILNS1_3genE0ELNS1_11target_archE4294967295ELNS1_3gpuE0ELNS1_3repE0EEENS1_36merge_oddeven_config_static_selectorELNS0_4arch9wavefront6targetE0EEEvSK_
	.p2align	8
	.type	_ZN7rocprim17ROCPRIM_400000_NS6detail17trampoline_kernelINS0_14default_configENS1_38merge_sort_block_merge_config_selectorIyNS0_10empty_typeEEEZZNS1_27merge_sort_block_merge_implIS3_N6thrust23THRUST_200600_302600_NS6detail15normal_iteratorINS9_10device_ptrIyEEEEPS5_m9comp_mod3IyEEE10hipError_tT0_T1_T2_jT3_P12ihipStream_tbPNSt15iterator_traitsISJ_E10value_typeEPNSP_ISK_E10value_typeEPSL_NS1_7vsmem_tEENKUlT_SJ_SK_SL_E_clIPySE_SF_SF_EESI_SY_SJ_SK_SL_EUlSY_E1_NS1_11comp_targetILNS1_3genE0ELNS1_11target_archE4294967295ELNS1_3gpuE0ELNS1_3repE0EEENS1_36merge_oddeven_config_static_selectorELNS0_4arch9wavefront6targetE0EEEvSK_,@function
_ZN7rocprim17ROCPRIM_400000_NS6detail17trampoline_kernelINS0_14default_configENS1_38merge_sort_block_merge_config_selectorIyNS0_10empty_typeEEEZZNS1_27merge_sort_block_merge_implIS3_N6thrust23THRUST_200600_302600_NS6detail15normal_iteratorINS9_10device_ptrIyEEEEPS5_m9comp_mod3IyEEE10hipError_tT0_T1_T2_jT3_P12ihipStream_tbPNSt15iterator_traitsISJ_E10value_typeEPNSP_ISK_E10value_typeEPSL_NS1_7vsmem_tEENKUlT_SJ_SK_SL_E_clIPySE_SF_SF_EESI_SY_SJ_SK_SL_EUlSY_E1_NS1_11comp_targetILNS1_3genE0ELNS1_11target_archE4294967295ELNS1_3gpuE0ELNS1_3repE0EEENS1_36merge_oddeven_config_static_selectorELNS0_4arch9wavefront6targetE0EEEvSK_: ; @_ZN7rocprim17ROCPRIM_400000_NS6detail17trampoline_kernelINS0_14default_configENS1_38merge_sort_block_merge_config_selectorIyNS0_10empty_typeEEEZZNS1_27merge_sort_block_merge_implIS3_N6thrust23THRUST_200600_302600_NS6detail15normal_iteratorINS9_10device_ptrIyEEEEPS5_m9comp_mod3IyEEE10hipError_tT0_T1_T2_jT3_P12ihipStream_tbPNSt15iterator_traitsISJ_E10value_typeEPNSP_ISK_E10value_typeEPSL_NS1_7vsmem_tEENKUlT_SJ_SK_SL_E_clIPySE_SF_SF_EESI_SY_SJ_SK_SL_EUlSY_E1_NS1_11comp_targetILNS1_3genE0ELNS1_11target_archE4294967295ELNS1_3gpuE0ELNS1_3repE0EEENS1_36merge_oddeven_config_static_selectorELNS0_4arch9wavefront6targetE0EEEvSK_
; %bb.0:
	.section	.rodata,"a",@progbits
	.p2align	6, 0x0
	.amdhsa_kernel _ZN7rocprim17ROCPRIM_400000_NS6detail17trampoline_kernelINS0_14default_configENS1_38merge_sort_block_merge_config_selectorIyNS0_10empty_typeEEEZZNS1_27merge_sort_block_merge_implIS3_N6thrust23THRUST_200600_302600_NS6detail15normal_iteratorINS9_10device_ptrIyEEEEPS5_m9comp_mod3IyEEE10hipError_tT0_T1_T2_jT3_P12ihipStream_tbPNSt15iterator_traitsISJ_E10value_typeEPNSP_ISK_E10value_typeEPSL_NS1_7vsmem_tEENKUlT_SJ_SK_SL_E_clIPySE_SF_SF_EESI_SY_SJ_SK_SL_EUlSY_E1_NS1_11comp_targetILNS1_3genE0ELNS1_11target_archE4294967295ELNS1_3gpuE0ELNS1_3repE0EEENS1_36merge_oddeven_config_static_selectorELNS0_4arch9wavefront6targetE0EEEvSK_
		.amdhsa_group_segment_fixed_size 0
		.amdhsa_private_segment_fixed_size 0
		.amdhsa_kernarg_size 56
		.amdhsa_user_sgpr_count 6
		.amdhsa_user_sgpr_private_segment_buffer 1
		.amdhsa_user_sgpr_dispatch_ptr 0
		.amdhsa_user_sgpr_queue_ptr 0
		.amdhsa_user_sgpr_kernarg_segment_ptr 1
		.amdhsa_user_sgpr_dispatch_id 0
		.amdhsa_user_sgpr_flat_scratch_init 0
		.amdhsa_user_sgpr_private_segment_size 0
		.amdhsa_wavefront_size32 1
		.amdhsa_uses_dynamic_stack 0
		.amdhsa_system_sgpr_private_segment_wavefront_offset 0
		.amdhsa_system_sgpr_workgroup_id_x 1
		.amdhsa_system_sgpr_workgroup_id_y 0
		.amdhsa_system_sgpr_workgroup_id_z 0
		.amdhsa_system_sgpr_workgroup_info 0
		.amdhsa_system_vgpr_workitem_id 0
		.amdhsa_next_free_vgpr 1
		.amdhsa_next_free_sgpr 1
		.amdhsa_reserve_vcc 0
		.amdhsa_reserve_flat_scratch 0
		.amdhsa_float_round_mode_32 0
		.amdhsa_float_round_mode_16_64 0
		.amdhsa_float_denorm_mode_32 3
		.amdhsa_float_denorm_mode_16_64 3
		.amdhsa_dx10_clamp 1
		.amdhsa_ieee_mode 1
		.amdhsa_fp16_overflow 0
		.amdhsa_workgroup_processor_mode 1
		.amdhsa_memory_ordered 1
		.amdhsa_forward_progress 1
		.amdhsa_shared_vgpr_count 0
		.amdhsa_exception_fp_ieee_invalid_op 0
		.amdhsa_exception_fp_denorm_src 0
		.amdhsa_exception_fp_ieee_div_zero 0
		.amdhsa_exception_fp_ieee_overflow 0
		.amdhsa_exception_fp_ieee_underflow 0
		.amdhsa_exception_fp_ieee_inexact 0
		.amdhsa_exception_int_div_zero 0
	.end_amdhsa_kernel
	.section	.text._ZN7rocprim17ROCPRIM_400000_NS6detail17trampoline_kernelINS0_14default_configENS1_38merge_sort_block_merge_config_selectorIyNS0_10empty_typeEEEZZNS1_27merge_sort_block_merge_implIS3_N6thrust23THRUST_200600_302600_NS6detail15normal_iteratorINS9_10device_ptrIyEEEEPS5_m9comp_mod3IyEEE10hipError_tT0_T1_T2_jT3_P12ihipStream_tbPNSt15iterator_traitsISJ_E10value_typeEPNSP_ISK_E10value_typeEPSL_NS1_7vsmem_tEENKUlT_SJ_SK_SL_E_clIPySE_SF_SF_EESI_SY_SJ_SK_SL_EUlSY_E1_NS1_11comp_targetILNS1_3genE0ELNS1_11target_archE4294967295ELNS1_3gpuE0ELNS1_3repE0EEENS1_36merge_oddeven_config_static_selectorELNS0_4arch9wavefront6targetE0EEEvSK_,"axG",@progbits,_ZN7rocprim17ROCPRIM_400000_NS6detail17trampoline_kernelINS0_14default_configENS1_38merge_sort_block_merge_config_selectorIyNS0_10empty_typeEEEZZNS1_27merge_sort_block_merge_implIS3_N6thrust23THRUST_200600_302600_NS6detail15normal_iteratorINS9_10device_ptrIyEEEEPS5_m9comp_mod3IyEEE10hipError_tT0_T1_T2_jT3_P12ihipStream_tbPNSt15iterator_traitsISJ_E10value_typeEPNSP_ISK_E10value_typeEPSL_NS1_7vsmem_tEENKUlT_SJ_SK_SL_E_clIPySE_SF_SF_EESI_SY_SJ_SK_SL_EUlSY_E1_NS1_11comp_targetILNS1_3genE0ELNS1_11target_archE4294967295ELNS1_3gpuE0ELNS1_3repE0EEENS1_36merge_oddeven_config_static_selectorELNS0_4arch9wavefront6targetE0EEEvSK_,comdat
.Lfunc_end775:
	.size	_ZN7rocprim17ROCPRIM_400000_NS6detail17trampoline_kernelINS0_14default_configENS1_38merge_sort_block_merge_config_selectorIyNS0_10empty_typeEEEZZNS1_27merge_sort_block_merge_implIS3_N6thrust23THRUST_200600_302600_NS6detail15normal_iteratorINS9_10device_ptrIyEEEEPS5_m9comp_mod3IyEEE10hipError_tT0_T1_T2_jT3_P12ihipStream_tbPNSt15iterator_traitsISJ_E10value_typeEPNSP_ISK_E10value_typeEPSL_NS1_7vsmem_tEENKUlT_SJ_SK_SL_E_clIPySE_SF_SF_EESI_SY_SJ_SK_SL_EUlSY_E1_NS1_11comp_targetILNS1_3genE0ELNS1_11target_archE4294967295ELNS1_3gpuE0ELNS1_3repE0EEENS1_36merge_oddeven_config_static_selectorELNS0_4arch9wavefront6targetE0EEEvSK_, .Lfunc_end775-_ZN7rocprim17ROCPRIM_400000_NS6detail17trampoline_kernelINS0_14default_configENS1_38merge_sort_block_merge_config_selectorIyNS0_10empty_typeEEEZZNS1_27merge_sort_block_merge_implIS3_N6thrust23THRUST_200600_302600_NS6detail15normal_iteratorINS9_10device_ptrIyEEEEPS5_m9comp_mod3IyEEE10hipError_tT0_T1_T2_jT3_P12ihipStream_tbPNSt15iterator_traitsISJ_E10value_typeEPNSP_ISK_E10value_typeEPSL_NS1_7vsmem_tEENKUlT_SJ_SK_SL_E_clIPySE_SF_SF_EESI_SY_SJ_SK_SL_EUlSY_E1_NS1_11comp_targetILNS1_3genE0ELNS1_11target_archE4294967295ELNS1_3gpuE0ELNS1_3repE0EEENS1_36merge_oddeven_config_static_selectorELNS0_4arch9wavefront6targetE0EEEvSK_
                                        ; -- End function
	.set _ZN7rocprim17ROCPRIM_400000_NS6detail17trampoline_kernelINS0_14default_configENS1_38merge_sort_block_merge_config_selectorIyNS0_10empty_typeEEEZZNS1_27merge_sort_block_merge_implIS3_N6thrust23THRUST_200600_302600_NS6detail15normal_iteratorINS9_10device_ptrIyEEEEPS5_m9comp_mod3IyEEE10hipError_tT0_T1_T2_jT3_P12ihipStream_tbPNSt15iterator_traitsISJ_E10value_typeEPNSP_ISK_E10value_typeEPSL_NS1_7vsmem_tEENKUlT_SJ_SK_SL_E_clIPySE_SF_SF_EESI_SY_SJ_SK_SL_EUlSY_E1_NS1_11comp_targetILNS1_3genE0ELNS1_11target_archE4294967295ELNS1_3gpuE0ELNS1_3repE0EEENS1_36merge_oddeven_config_static_selectorELNS0_4arch9wavefront6targetE0EEEvSK_.num_vgpr, 0
	.set _ZN7rocprim17ROCPRIM_400000_NS6detail17trampoline_kernelINS0_14default_configENS1_38merge_sort_block_merge_config_selectorIyNS0_10empty_typeEEEZZNS1_27merge_sort_block_merge_implIS3_N6thrust23THRUST_200600_302600_NS6detail15normal_iteratorINS9_10device_ptrIyEEEEPS5_m9comp_mod3IyEEE10hipError_tT0_T1_T2_jT3_P12ihipStream_tbPNSt15iterator_traitsISJ_E10value_typeEPNSP_ISK_E10value_typeEPSL_NS1_7vsmem_tEENKUlT_SJ_SK_SL_E_clIPySE_SF_SF_EESI_SY_SJ_SK_SL_EUlSY_E1_NS1_11comp_targetILNS1_3genE0ELNS1_11target_archE4294967295ELNS1_3gpuE0ELNS1_3repE0EEENS1_36merge_oddeven_config_static_selectorELNS0_4arch9wavefront6targetE0EEEvSK_.num_agpr, 0
	.set _ZN7rocprim17ROCPRIM_400000_NS6detail17trampoline_kernelINS0_14default_configENS1_38merge_sort_block_merge_config_selectorIyNS0_10empty_typeEEEZZNS1_27merge_sort_block_merge_implIS3_N6thrust23THRUST_200600_302600_NS6detail15normal_iteratorINS9_10device_ptrIyEEEEPS5_m9comp_mod3IyEEE10hipError_tT0_T1_T2_jT3_P12ihipStream_tbPNSt15iterator_traitsISJ_E10value_typeEPNSP_ISK_E10value_typeEPSL_NS1_7vsmem_tEENKUlT_SJ_SK_SL_E_clIPySE_SF_SF_EESI_SY_SJ_SK_SL_EUlSY_E1_NS1_11comp_targetILNS1_3genE0ELNS1_11target_archE4294967295ELNS1_3gpuE0ELNS1_3repE0EEENS1_36merge_oddeven_config_static_selectorELNS0_4arch9wavefront6targetE0EEEvSK_.numbered_sgpr, 0
	.set _ZN7rocprim17ROCPRIM_400000_NS6detail17trampoline_kernelINS0_14default_configENS1_38merge_sort_block_merge_config_selectorIyNS0_10empty_typeEEEZZNS1_27merge_sort_block_merge_implIS3_N6thrust23THRUST_200600_302600_NS6detail15normal_iteratorINS9_10device_ptrIyEEEEPS5_m9comp_mod3IyEEE10hipError_tT0_T1_T2_jT3_P12ihipStream_tbPNSt15iterator_traitsISJ_E10value_typeEPNSP_ISK_E10value_typeEPSL_NS1_7vsmem_tEENKUlT_SJ_SK_SL_E_clIPySE_SF_SF_EESI_SY_SJ_SK_SL_EUlSY_E1_NS1_11comp_targetILNS1_3genE0ELNS1_11target_archE4294967295ELNS1_3gpuE0ELNS1_3repE0EEENS1_36merge_oddeven_config_static_selectorELNS0_4arch9wavefront6targetE0EEEvSK_.num_named_barrier, 0
	.set _ZN7rocprim17ROCPRIM_400000_NS6detail17trampoline_kernelINS0_14default_configENS1_38merge_sort_block_merge_config_selectorIyNS0_10empty_typeEEEZZNS1_27merge_sort_block_merge_implIS3_N6thrust23THRUST_200600_302600_NS6detail15normal_iteratorINS9_10device_ptrIyEEEEPS5_m9comp_mod3IyEEE10hipError_tT0_T1_T2_jT3_P12ihipStream_tbPNSt15iterator_traitsISJ_E10value_typeEPNSP_ISK_E10value_typeEPSL_NS1_7vsmem_tEENKUlT_SJ_SK_SL_E_clIPySE_SF_SF_EESI_SY_SJ_SK_SL_EUlSY_E1_NS1_11comp_targetILNS1_3genE0ELNS1_11target_archE4294967295ELNS1_3gpuE0ELNS1_3repE0EEENS1_36merge_oddeven_config_static_selectorELNS0_4arch9wavefront6targetE0EEEvSK_.private_seg_size, 0
	.set _ZN7rocprim17ROCPRIM_400000_NS6detail17trampoline_kernelINS0_14default_configENS1_38merge_sort_block_merge_config_selectorIyNS0_10empty_typeEEEZZNS1_27merge_sort_block_merge_implIS3_N6thrust23THRUST_200600_302600_NS6detail15normal_iteratorINS9_10device_ptrIyEEEEPS5_m9comp_mod3IyEEE10hipError_tT0_T1_T2_jT3_P12ihipStream_tbPNSt15iterator_traitsISJ_E10value_typeEPNSP_ISK_E10value_typeEPSL_NS1_7vsmem_tEENKUlT_SJ_SK_SL_E_clIPySE_SF_SF_EESI_SY_SJ_SK_SL_EUlSY_E1_NS1_11comp_targetILNS1_3genE0ELNS1_11target_archE4294967295ELNS1_3gpuE0ELNS1_3repE0EEENS1_36merge_oddeven_config_static_selectorELNS0_4arch9wavefront6targetE0EEEvSK_.uses_vcc, 0
	.set _ZN7rocprim17ROCPRIM_400000_NS6detail17trampoline_kernelINS0_14default_configENS1_38merge_sort_block_merge_config_selectorIyNS0_10empty_typeEEEZZNS1_27merge_sort_block_merge_implIS3_N6thrust23THRUST_200600_302600_NS6detail15normal_iteratorINS9_10device_ptrIyEEEEPS5_m9comp_mod3IyEEE10hipError_tT0_T1_T2_jT3_P12ihipStream_tbPNSt15iterator_traitsISJ_E10value_typeEPNSP_ISK_E10value_typeEPSL_NS1_7vsmem_tEENKUlT_SJ_SK_SL_E_clIPySE_SF_SF_EESI_SY_SJ_SK_SL_EUlSY_E1_NS1_11comp_targetILNS1_3genE0ELNS1_11target_archE4294967295ELNS1_3gpuE0ELNS1_3repE0EEENS1_36merge_oddeven_config_static_selectorELNS0_4arch9wavefront6targetE0EEEvSK_.uses_flat_scratch, 0
	.set _ZN7rocprim17ROCPRIM_400000_NS6detail17trampoline_kernelINS0_14default_configENS1_38merge_sort_block_merge_config_selectorIyNS0_10empty_typeEEEZZNS1_27merge_sort_block_merge_implIS3_N6thrust23THRUST_200600_302600_NS6detail15normal_iteratorINS9_10device_ptrIyEEEEPS5_m9comp_mod3IyEEE10hipError_tT0_T1_T2_jT3_P12ihipStream_tbPNSt15iterator_traitsISJ_E10value_typeEPNSP_ISK_E10value_typeEPSL_NS1_7vsmem_tEENKUlT_SJ_SK_SL_E_clIPySE_SF_SF_EESI_SY_SJ_SK_SL_EUlSY_E1_NS1_11comp_targetILNS1_3genE0ELNS1_11target_archE4294967295ELNS1_3gpuE0ELNS1_3repE0EEENS1_36merge_oddeven_config_static_selectorELNS0_4arch9wavefront6targetE0EEEvSK_.has_dyn_sized_stack, 0
	.set _ZN7rocprim17ROCPRIM_400000_NS6detail17trampoline_kernelINS0_14default_configENS1_38merge_sort_block_merge_config_selectorIyNS0_10empty_typeEEEZZNS1_27merge_sort_block_merge_implIS3_N6thrust23THRUST_200600_302600_NS6detail15normal_iteratorINS9_10device_ptrIyEEEEPS5_m9comp_mod3IyEEE10hipError_tT0_T1_T2_jT3_P12ihipStream_tbPNSt15iterator_traitsISJ_E10value_typeEPNSP_ISK_E10value_typeEPSL_NS1_7vsmem_tEENKUlT_SJ_SK_SL_E_clIPySE_SF_SF_EESI_SY_SJ_SK_SL_EUlSY_E1_NS1_11comp_targetILNS1_3genE0ELNS1_11target_archE4294967295ELNS1_3gpuE0ELNS1_3repE0EEENS1_36merge_oddeven_config_static_selectorELNS0_4arch9wavefront6targetE0EEEvSK_.has_recursion, 0
	.set _ZN7rocprim17ROCPRIM_400000_NS6detail17trampoline_kernelINS0_14default_configENS1_38merge_sort_block_merge_config_selectorIyNS0_10empty_typeEEEZZNS1_27merge_sort_block_merge_implIS3_N6thrust23THRUST_200600_302600_NS6detail15normal_iteratorINS9_10device_ptrIyEEEEPS5_m9comp_mod3IyEEE10hipError_tT0_T1_T2_jT3_P12ihipStream_tbPNSt15iterator_traitsISJ_E10value_typeEPNSP_ISK_E10value_typeEPSL_NS1_7vsmem_tEENKUlT_SJ_SK_SL_E_clIPySE_SF_SF_EESI_SY_SJ_SK_SL_EUlSY_E1_NS1_11comp_targetILNS1_3genE0ELNS1_11target_archE4294967295ELNS1_3gpuE0ELNS1_3repE0EEENS1_36merge_oddeven_config_static_selectorELNS0_4arch9wavefront6targetE0EEEvSK_.has_indirect_call, 0
	.section	.AMDGPU.csdata,"",@progbits
; Kernel info:
; codeLenInByte = 0
; TotalNumSgprs: 0
; NumVgprs: 0
; ScratchSize: 0
; MemoryBound: 0
; FloatMode: 240
; IeeeMode: 1
; LDSByteSize: 0 bytes/workgroup (compile time only)
; SGPRBlocks: 0
; VGPRBlocks: 0
; NumSGPRsForWavesPerEU: 1
; NumVGPRsForWavesPerEU: 1
; Occupancy: 16
; WaveLimiterHint : 0
; COMPUTE_PGM_RSRC2:SCRATCH_EN: 0
; COMPUTE_PGM_RSRC2:USER_SGPR: 6
; COMPUTE_PGM_RSRC2:TRAP_HANDLER: 0
; COMPUTE_PGM_RSRC2:TGID_X_EN: 1
; COMPUTE_PGM_RSRC2:TGID_Y_EN: 0
; COMPUTE_PGM_RSRC2:TGID_Z_EN: 0
; COMPUTE_PGM_RSRC2:TIDIG_COMP_CNT: 0
	.section	.text._ZN7rocprim17ROCPRIM_400000_NS6detail17trampoline_kernelINS0_14default_configENS1_38merge_sort_block_merge_config_selectorIyNS0_10empty_typeEEEZZNS1_27merge_sort_block_merge_implIS3_N6thrust23THRUST_200600_302600_NS6detail15normal_iteratorINS9_10device_ptrIyEEEEPS5_m9comp_mod3IyEEE10hipError_tT0_T1_T2_jT3_P12ihipStream_tbPNSt15iterator_traitsISJ_E10value_typeEPNSP_ISK_E10value_typeEPSL_NS1_7vsmem_tEENKUlT_SJ_SK_SL_E_clIPySE_SF_SF_EESI_SY_SJ_SK_SL_EUlSY_E1_NS1_11comp_targetILNS1_3genE10ELNS1_11target_archE1201ELNS1_3gpuE5ELNS1_3repE0EEENS1_36merge_oddeven_config_static_selectorELNS0_4arch9wavefront6targetE0EEEvSK_,"axG",@progbits,_ZN7rocprim17ROCPRIM_400000_NS6detail17trampoline_kernelINS0_14default_configENS1_38merge_sort_block_merge_config_selectorIyNS0_10empty_typeEEEZZNS1_27merge_sort_block_merge_implIS3_N6thrust23THRUST_200600_302600_NS6detail15normal_iteratorINS9_10device_ptrIyEEEEPS5_m9comp_mod3IyEEE10hipError_tT0_T1_T2_jT3_P12ihipStream_tbPNSt15iterator_traitsISJ_E10value_typeEPNSP_ISK_E10value_typeEPSL_NS1_7vsmem_tEENKUlT_SJ_SK_SL_E_clIPySE_SF_SF_EESI_SY_SJ_SK_SL_EUlSY_E1_NS1_11comp_targetILNS1_3genE10ELNS1_11target_archE1201ELNS1_3gpuE5ELNS1_3repE0EEENS1_36merge_oddeven_config_static_selectorELNS0_4arch9wavefront6targetE0EEEvSK_,comdat
	.protected	_ZN7rocprim17ROCPRIM_400000_NS6detail17trampoline_kernelINS0_14default_configENS1_38merge_sort_block_merge_config_selectorIyNS0_10empty_typeEEEZZNS1_27merge_sort_block_merge_implIS3_N6thrust23THRUST_200600_302600_NS6detail15normal_iteratorINS9_10device_ptrIyEEEEPS5_m9comp_mod3IyEEE10hipError_tT0_T1_T2_jT3_P12ihipStream_tbPNSt15iterator_traitsISJ_E10value_typeEPNSP_ISK_E10value_typeEPSL_NS1_7vsmem_tEENKUlT_SJ_SK_SL_E_clIPySE_SF_SF_EESI_SY_SJ_SK_SL_EUlSY_E1_NS1_11comp_targetILNS1_3genE10ELNS1_11target_archE1201ELNS1_3gpuE5ELNS1_3repE0EEENS1_36merge_oddeven_config_static_selectorELNS0_4arch9wavefront6targetE0EEEvSK_ ; -- Begin function _ZN7rocprim17ROCPRIM_400000_NS6detail17trampoline_kernelINS0_14default_configENS1_38merge_sort_block_merge_config_selectorIyNS0_10empty_typeEEEZZNS1_27merge_sort_block_merge_implIS3_N6thrust23THRUST_200600_302600_NS6detail15normal_iteratorINS9_10device_ptrIyEEEEPS5_m9comp_mod3IyEEE10hipError_tT0_T1_T2_jT3_P12ihipStream_tbPNSt15iterator_traitsISJ_E10value_typeEPNSP_ISK_E10value_typeEPSL_NS1_7vsmem_tEENKUlT_SJ_SK_SL_E_clIPySE_SF_SF_EESI_SY_SJ_SK_SL_EUlSY_E1_NS1_11comp_targetILNS1_3genE10ELNS1_11target_archE1201ELNS1_3gpuE5ELNS1_3repE0EEENS1_36merge_oddeven_config_static_selectorELNS0_4arch9wavefront6targetE0EEEvSK_
	.globl	_ZN7rocprim17ROCPRIM_400000_NS6detail17trampoline_kernelINS0_14default_configENS1_38merge_sort_block_merge_config_selectorIyNS0_10empty_typeEEEZZNS1_27merge_sort_block_merge_implIS3_N6thrust23THRUST_200600_302600_NS6detail15normal_iteratorINS9_10device_ptrIyEEEEPS5_m9comp_mod3IyEEE10hipError_tT0_T1_T2_jT3_P12ihipStream_tbPNSt15iterator_traitsISJ_E10value_typeEPNSP_ISK_E10value_typeEPSL_NS1_7vsmem_tEENKUlT_SJ_SK_SL_E_clIPySE_SF_SF_EESI_SY_SJ_SK_SL_EUlSY_E1_NS1_11comp_targetILNS1_3genE10ELNS1_11target_archE1201ELNS1_3gpuE5ELNS1_3repE0EEENS1_36merge_oddeven_config_static_selectorELNS0_4arch9wavefront6targetE0EEEvSK_
	.p2align	8
	.type	_ZN7rocprim17ROCPRIM_400000_NS6detail17trampoline_kernelINS0_14default_configENS1_38merge_sort_block_merge_config_selectorIyNS0_10empty_typeEEEZZNS1_27merge_sort_block_merge_implIS3_N6thrust23THRUST_200600_302600_NS6detail15normal_iteratorINS9_10device_ptrIyEEEEPS5_m9comp_mod3IyEEE10hipError_tT0_T1_T2_jT3_P12ihipStream_tbPNSt15iterator_traitsISJ_E10value_typeEPNSP_ISK_E10value_typeEPSL_NS1_7vsmem_tEENKUlT_SJ_SK_SL_E_clIPySE_SF_SF_EESI_SY_SJ_SK_SL_EUlSY_E1_NS1_11comp_targetILNS1_3genE10ELNS1_11target_archE1201ELNS1_3gpuE5ELNS1_3repE0EEENS1_36merge_oddeven_config_static_selectorELNS0_4arch9wavefront6targetE0EEEvSK_,@function
_ZN7rocprim17ROCPRIM_400000_NS6detail17trampoline_kernelINS0_14default_configENS1_38merge_sort_block_merge_config_selectorIyNS0_10empty_typeEEEZZNS1_27merge_sort_block_merge_implIS3_N6thrust23THRUST_200600_302600_NS6detail15normal_iteratorINS9_10device_ptrIyEEEEPS5_m9comp_mod3IyEEE10hipError_tT0_T1_T2_jT3_P12ihipStream_tbPNSt15iterator_traitsISJ_E10value_typeEPNSP_ISK_E10value_typeEPSL_NS1_7vsmem_tEENKUlT_SJ_SK_SL_E_clIPySE_SF_SF_EESI_SY_SJ_SK_SL_EUlSY_E1_NS1_11comp_targetILNS1_3genE10ELNS1_11target_archE1201ELNS1_3gpuE5ELNS1_3repE0EEENS1_36merge_oddeven_config_static_selectorELNS0_4arch9wavefront6targetE0EEEvSK_: ; @_ZN7rocprim17ROCPRIM_400000_NS6detail17trampoline_kernelINS0_14default_configENS1_38merge_sort_block_merge_config_selectorIyNS0_10empty_typeEEEZZNS1_27merge_sort_block_merge_implIS3_N6thrust23THRUST_200600_302600_NS6detail15normal_iteratorINS9_10device_ptrIyEEEEPS5_m9comp_mod3IyEEE10hipError_tT0_T1_T2_jT3_P12ihipStream_tbPNSt15iterator_traitsISJ_E10value_typeEPNSP_ISK_E10value_typeEPSL_NS1_7vsmem_tEENKUlT_SJ_SK_SL_E_clIPySE_SF_SF_EESI_SY_SJ_SK_SL_EUlSY_E1_NS1_11comp_targetILNS1_3genE10ELNS1_11target_archE1201ELNS1_3gpuE5ELNS1_3repE0EEENS1_36merge_oddeven_config_static_selectorELNS0_4arch9wavefront6targetE0EEEvSK_
; %bb.0:
	.section	.rodata,"a",@progbits
	.p2align	6, 0x0
	.amdhsa_kernel _ZN7rocprim17ROCPRIM_400000_NS6detail17trampoline_kernelINS0_14default_configENS1_38merge_sort_block_merge_config_selectorIyNS0_10empty_typeEEEZZNS1_27merge_sort_block_merge_implIS3_N6thrust23THRUST_200600_302600_NS6detail15normal_iteratorINS9_10device_ptrIyEEEEPS5_m9comp_mod3IyEEE10hipError_tT0_T1_T2_jT3_P12ihipStream_tbPNSt15iterator_traitsISJ_E10value_typeEPNSP_ISK_E10value_typeEPSL_NS1_7vsmem_tEENKUlT_SJ_SK_SL_E_clIPySE_SF_SF_EESI_SY_SJ_SK_SL_EUlSY_E1_NS1_11comp_targetILNS1_3genE10ELNS1_11target_archE1201ELNS1_3gpuE5ELNS1_3repE0EEENS1_36merge_oddeven_config_static_selectorELNS0_4arch9wavefront6targetE0EEEvSK_
		.amdhsa_group_segment_fixed_size 0
		.amdhsa_private_segment_fixed_size 0
		.amdhsa_kernarg_size 56
		.amdhsa_user_sgpr_count 6
		.amdhsa_user_sgpr_private_segment_buffer 1
		.amdhsa_user_sgpr_dispatch_ptr 0
		.amdhsa_user_sgpr_queue_ptr 0
		.amdhsa_user_sgpr_kernarg_segment_ptr 1
		.amdhsa_user_sgpr_dispatch_id 0
		.amdhsa_user_sgpr_flat_scratch_init 0
		.amdhsa_user_sgpr_private_segment_size 0
		.amdhsa_wavefront_size32 1
		.amdhsa_uses_dynamic_stack 0
		.amdhsa_system_sgpr_private_segment_wavefront_offset 0
		.amdhsa_system_sgpr_workgroup_id_x 1
		.amdhsa_system_sgpr_workgroup_id_y 0
		.amdhsa_system_sgpr_workgroup_id_z 0
		.amdhsa_system_sgpr_workgroup_info 0
		.amdhsa_system_vgpr_workitem_id 0
		.amdhsa_next_free_vgpr 1
		.amdhsa_next_free_sgpr 1
		.amdhsa_reserve_vcc 0
		.amdhsa_reserve_flat_scratch 0
		.amdhsa_float_round_mode_32 0
		.amdhsa_float_round_mode_16_64 0
		.amdhsa_float_denorm_mode_32 3
		.amdhsa_float_denorm_mode_16_64 3
		.amdhsa_dx10_clamp 1
		.amdhsa_ieee_mode 1
		.amdhsa_fp16_overflow 0
		.amdhsa_workgroup_processor_mode 1
		.amdhsa_memory_ordered 1
		.amdhsa_forward_progress 1
		.amdhsa_shared_vgpr_count 0
		.amdhsa_exception_fp_ieee_invalid_op 0
		.amdhsa_exception_fp_denorm_src 0
		.amdhsa_exception_fp_ieee_div_zero 0
		.amdhsa_exception_fp_ieee_overflow 0
		.amdhsa_exception_fp_ieee_underflow 0
		.amdhsa_exception_fp_ieee_inexact 0
		.amdhsa_exception_int_div_zero 0
	.end_amdhsa_kernel
	.section	.text._ZN7rocprim17ROCPRIM_400000_NS6detail17trampoline_kernelINS0_14default_configENS1_38merge_sort_block_merge_config_selectorIyNS0_10empty_typeEEEZZNS1_27merge_sort_block_merge_implIS3_N6thrust23THRUST_200600_302600_NS6detail15normal_iteratorINS9_10device_ptrIyEEEEPS5_m9comp_mod3IyEEE10hipError_tT0_T1_T2_jT3_P12ihipStream_tbPNSt15iterator_traitsISJ_E10value_typeEPNSP_ISK_E10value_typeEPSL_NS1_7vsmem_tEENKUlT_SJ_SK_SL_E_clIPySE_SF_SF_EESI_SY_SJ_SK_SL_EUlSY_E1_NS1_11comp_targetILNS1_3genE10ELNS1_11target_archE1201ELNS1_3gpuE5ELNS1_3repE0EEENS1_36merge_oddeven_config_static_selectorELNS0_4arch9wavefront6targetE0EEEvSK_,"axG",@progbits,_ZN7rocprim17ROCPRIM_400000_NS6detail17trampoline_kernelINS0_14default_configENS1_38merge_sort_block_merge_config_selectorIyNS0_10empty_typeEEEZZNS1_27merge_sort_block_merge_implIS3_N6thrust23THRUST_200600_302600_NS6detail15normal_iteratorINS9_10device_ptrIyEEEEPS5_m9comp_mod3IyEEE10hipError_tT0_T1_T2_jT3_P12ihipStream_tbPNSt15iterator_traitsISJ_E10value_typeEPNSP_ISK_E10value_typeEPSL_NS1_7vsmem_tEENKUlT_SJ_SK_SL_E_clIPySE_SF_SF_EESI_SY_SJ_SK_SL_EUlSY_E1_NS1_11comp_targetILNS1_3genE10ELNS1_11target_archE1201ELNS1_3gpuE5ELNS1_3repE0EEENS1_36merge_oddeven_config_static_selectorELNS0_4arch9wavefront6targetE0EEEvSK_,comdat
.Lfunc_end776:
	.size	_ZN7rocprim17ROCPRIM_400000_NS6detail17trampoline_kernelINS0_14default_configENS1_38merge_sort_block_merge_config_selectorIyNS0_10empty_typeEEEZZNS1_27merge_sort_block_merge_implIS3_N6thrust23THRUST_200600_302600_NS6detail15normal_iteratorINS9_10device_ptrIyEEEEPS5_m9comp_mod3IyEEE10hipError_tT0_T1_T2_jT3_P12ihipStream_tbPNSt15iterator_traitsISJ_E10value_typeEPNSP_ISK_E10value_typeEPSL_NS1_7vsmem_tEENKUlT_SJ_SK_SL_E_clIPySE_SF_SF_EESI_SY_SJ_SK_SL_EUlSY_E1_NS1_11comp_targetILNS1_3genE10ELNS1_11target_archE1201ELNS1_3gpuE5ELNS1_3repE0EEENS1_36merge_oddeven_config_static_selectorELNS0_4arch9wavefront6targetE0EEEvSK_, .Lfunc_end776-_ZN7rocprim17ROCPRIM_400000_NS6detail17trampoline_kernelINS0_14default_configENS1_38merge_sort_block_merge_config_selectorIyNS0_10empty_typeEEEZZNS1_27merge_sort_block_merge_implIS3_N6thrust23THRUST_200600_302600_NS6detail15normal_iteratorINS9_10device_ptrIyEEEEPS5_m9comp_mod3IyEEE10hipError_tT0_T1_T2_jT3_P12ihipStream_tbPNSt15iterator_traitsISJ_E10value_typeEPNSP_ISK_E10value_typeEPSL_NS1_7vsmem_tEENKUlT_SJ_SK_SL_E_clIPySE_SF_SF_EESI_SY_SJ_SK_SL_EUlSY_E1_NS1_11comp_targetILNS1_3genE10ELNS1_11target_archE1201ELNS1_3gpuE5ELNS1_3repE0EEENS1_36merge_oddeven_config_static_selectorELNS0_4arch9wavefront6targetE0EEEvSK_
                                        ; -- End function
	.set _ZN7rocprim17ROCPRIM_400000_NS6detail17trampoline_kernelINS0_14default_configENS1_38merge_sort_block_merge_config_selectorIyNS0_10empty_typeEEEZZNS1_27merge_sort_block_merge_implIS3_N6thrust23THRUST_200600_302600_NS6detail15normal_iteratorINS9_10device_ptrIyEEEEPS5_m9comp_mod3IyEEE10hipError_tT0_T1_T2_jT3_P12ihipStream_tbPNSt15iterator_traitsISJ_E10value_typeEPNSP_ISK_E10value_typeEPSL_NS1_7vsmem_tEENKUlT_SJ_SK_SL_E_clIPySE_SF_SF_EESI_SY_SJ_SK_SL_EUlSY_E1_NS1_11comp_targetILNS1_3genE10ELNS1_11target_archE1201ELNS1_3gpuE5ELNS1_3repE0EEENS1_36merge_oddeven_config_static_selectorELNS0_4arch9wavefront6targetE0EEEvSK_.num_vgpr, 0
	.set _ZN7rocprim17ROCPRIM_400000_NS6detail17trampoline_kernelINS0_14default_configENS1_38merge_sort_block_merge_config_selectorIyNS0_10empty_typeEEEZZNS1_27merge_sort_block_merge_implIS3_N6thrust23THRUST_200600_302600_NS6detail15normal_iteratorINS9_10device_ptrIyEEEEPS5_m9comp_mod3IyEEE10hipError_tT0_T1_T2_jT3_P12ihipStream_tbPNSt15iterator_traitsISJ_E10value_typeEPNSP_ISK_E10value_typeEPSL_NS1_7vsmem_tEENKUlT_SJ_SK_SL_E_clIPySE_SF_SF_EESI_SY_SJ_SK_SL_EUlSY_E1_NS1_11comp_targetILNS1_3genE10ELNS1_11target_archE1201ELNS1_3gpuE5ELNS1_3repE0EEENS1_36merge_oddeven_config_static_selectorELNS0_4arch9wavefront6targetE0EEEvSK_.num_agpr, 0
	.set _ZN7rocprim17ROCPRIM_400000_NS6detail17trampoline_kernelINS0_14default_configENS1_38merge_sort_block_merge_config_selectorIyNS0_10empty_typeEEEZZNS1_27merge_sort_block_merge_implIS3_N6thrust23THRUST_200600_302600_NS6detail15normal_iteratorINS9_10device_ptrIyEEEEPS5_m9comp_mod3IyEEE10hipError_tT0_T1_T2_jT3_P12ihipStream_tbPNSt15iterator_traitsISJ_E10value_typeEPNSP_ISK_E10value_typeEPSL_NS1_7vsmem_tEENKUlT_SJ_SK_SL_E_clIPySE_SF_SF_EESI_SY_SJ_SK_SL_EUlSY_E1_NS1_11comp_targetILNS1_3genE10ELNS1_11target_archE1201ELNS1_3gpuE5ELNS1_3repE0EEENS1_36merge_oddeven_config_static_selectorELNS0_4arch9wavefront6targetE0EEEvSK_.numbered_sgpr, 0
	.set _ZN7rocprim17ROCPRIM_400000_NS6detail17trampoline_kernelINS0_14default_configENS1_38merge_sort_block_merge_config_selectorIyNS0_10empty_typeEEEZZNS1_27merge_sort_block_merge_implIS3_N6thrust23THRUST_200600_302600_NS6detail15normal_iteratorINS9_10device_ptrIyEEEEPS5_m9comp_mod3IyEEE10hipError_tT0_T1_T2_jT3_P12ihipStream_tbPNSt15iterator_traitsISJ_E10value_typeEPNSP_ISK_E10value_typeEPSL_NS1_7vsmem_tEENKUlT_SJ_SK_SL_E_clIPySE_SF_SF_EESI_SY_SJ_SK_SL_EUlSY_E1_NS1_11comp_targetILNS1_3genE10ELNS1_11target_archE1201ELNS1_3gpuE5ELNS1_3repE0EEENS1_36merge_oddeven_config_static_selectorELNS0_4arch9wavefront6targetE0EEEvSK_.num_named_barrier, 0
	.set _ZN7rocprim17ROCPRIM_400000_NS6detail17trampoline_kernelINS0_14default_configENS1_38merge_sort_block_merge_config_selectorIyNS0_10empty_typeEEEZZNS1_27merge_sort_block_merge_implIS3_N6thrust23THRUST_200600_302600_NS6detail15normal_iteratorINS9_10device_ptrIyEEEEPS5_m9comp_mod3IyEEE10hipError_tT0_T1_T2_jT3_P12ihipStream_tbPNSt15iterator_traitsISJ_E10value_typeEPNSP_ISK_E10value_typeEPSL_NS1_7vsmem_tEENKUlT_SJ_SK_SL_E_clIPySE_SF_SF_EESI_SY_SJ_SK_SL_EUlSY_E1_NS1_11comp_targetILNS1_3genE10ELNS1_11target_archE1201ELNS1_3gpuE5ELNS1_3repE0EEENS1_36merge_oddeven_config_static_selectorELNS0_4arch9wavefront6targetE0EEEvSK_.private_seg_size, 0
	.set _ZN7rocprim17ROCPRIM_400000_NS6detail17trampoline_kernelINS0_14default_configENS1_38merge_sort_block_merge_config_selectorIyNS0_10empty_typeEEEZZNS1_27merge_sort_block_merge_implIS3_N6thrust23THRUST_200600_302600_NS6detail15normal_iteratorINS9_10device_ptrIyEEEEPS5_m9comp_mod3IyEEE10hipError_tT0_T1_T2_jT3_P12ihipStream_tbPNSt15iterator_traitsISJ_E10value_typeEPNSP_ISK_E10value_typeEPSL_NS1_7vsmem_tEENKUlT_SJ_SK_SL_E_clIPySE_SF_SF_EESI_SY_SJ_SK_SL_EUlSY_E1_NS1_11comp_targetILNS1_3genE10ELNS1_11target_archE1201ELNS1_3gpuE5ELNS1_3repE0EEENS1_36merge_oddeven_config_static_selectorELNS0_4arch9wavefront6targetE0EEEvSK_.uses_vcc, 0
	.set _ZN7rocprim17ROCPRIM_400000_NS6detail17trampoline_kernelINS0_14default_configENS1_38merge_sort_block_merge_config_selectorIyNS0_10empty_typeEEEZZNS1_27merge_sort_block_merge_implIS3_N6thrust23THRUST_200600_302600_NS6detail15normal_iteratorINS9_10device_ptrIyEEEEPS5_m9comp_mod3IyEEE10hipError_tT0_T1_T2_jT3_P12ihipStream_tbPNSt15iterator_traitsISJ_E10value_typeEPNSP_ISK_E10value_typeEPSL_NS1_7vsmem_tEENKUlT_SJ_SK_SL_E_clIPySE_SF_SF_EESI_SY_SJ_SK_SL_EUlSY_E1_NS1_11comp_targetILNS1_3genE10ELNS1_11target_archE1201ELNS1_3gpuE5ELNS1_3repE0EEENS1_36merge_oddeven_config_static_selectorELNS0_4arch9wavefront6targetE0EEEvSK_.uses_flat_scratch, 0
	.set _ZN7rocprim17ROCPRIM_400000_NS6detail17trampoline_kernelINS0_14default_configENS1_38merge_sort_block_merge_config_selectorIyNS0_10empty_typeEEEZZNS1_27merge_sort_block_merge_implIS3_N6thrust23THRUST_200600_302600_NS6detail15normal_iteratorINS9_10device_ptrIyEEEEPS5_m9comp_mod3IyEEE10hipError_tT0_T1_T2_jT3_P12ihipStream_tbPNSt15iterator_traitsISJ_E10value_typeEPNSP_ISK_E10value_typeEPSL_NS1_7vsmem_tEENKUlT_SJ_SK_SL_E_clIPySE_SF_SF_EESI_SY_SJ_SK_SL_EUlSY_E1_NS1_11comp_targetILNS1_3genE10ELNS1_11target_archE1201ELNS1_3gpuE5ELNS1_3repE0EEENS1_36merge_oddeven_config_static_selectorELNS0_4arch9wavefront6targetE0EEEvSK_.has_dyn_sized_stack, 0
	.set _ZN7rocprim17ROCPRIM_400000_NS6detail17trampoline_kernelINS0_14default_configENS1_38merge_sort_block_merge_config_selectorIyNS0_10empty_typeEEEZZNS1_27merge_sort_block_merge_implIS3_N6thrust23THRUST_200600_302600_NS6detail15normal_iteratorINS9_10device_ptrIyEEEEPS5_m9comp_mod3IyEEE10hipError_tT0_T1_T2_jT3_P12ihipStream_tbPNSt15iterator_traitsISJ_E10value_typeEPNSP_ISK_E10value_typeEPSL_NS1_7vsmem_tEENKUlT_SJ_SK_SL_E_clIPySE_SF_SF_EESI_SY_SJ_SK_SL_EUlSY_E1_NS1_11comp_targetILNS1_3genE10ELNS1_11target_archE1201ELNS1_3gpuE5ELNS1_3repE0EEENS1_36merge_oddeven_config_static_selectorELNS0_4arch9wavefront6targetE0EEEvSK_.has_recursion, 0
	.set _ZN7rocprim17ROCPRIM_400000_NS6detail17trampoline_kernelINS0_14default_configENS1_38merge_sort_block_merge_config_selectorIyNS0_10empty_typeEEEZZNS1_27merge_sort_block_merge_implIS3_N6thrust23THRUST_200600_302600_NS6detail15normal_iteratorINS9_10device_ptrIyEEEEPS5_m9comp_mod3IyEEE10hipError_tT0_T1_T2_jT3_P12ihipStream_tbPNSt15iterator_traitsISJ_E10value_typeEPNSP_ISK_E10value_typeEPSL_NS1_7vsmem_tEENKUlT_SJ_SK_SL_E_clIPySE_SF_SF_EESI_SY_SJ_SK_SL_EUlSY_E1_NS1_11comp_targetILNS1_3genE10ELNS1_11target_archE1201ELNS1_3gpuE5ELNS1_3repE0EEENS1_36merge_oddeven_config_static_selectorELNS0_4arch9wavefront6targetE0EEEvSK_.has_indirect_call, 0
	.section	.AMDGPU.csdata,"",@progbits
; Kernel info:
; codeLenInByte = 0
; TotalNumSgprs: 0
; NumVgprs: 0
; ScratchSize: 0
; MemoryBound: 0
; FloatMode: 240
; IeeeMode: 1
; LDSByteSize: 0 bytes/workgroup (compile time only)
; SGPRBlocks: 0
; VGPRBlocks: 0
; NumSGPRsForWavesPerEU: 1
; NumVGPRsForWavesPerEU: 1
; Occupancy: 16
; WaveLimiterHint : 0
; COMPUTE_PGM_RSRC2:SCRATCH_EN: 0
; COMPUTE_PGM_RSRC2:USER_SGPR: 6
; COMPUTE_PGM_RSRC2:TRAP_HANDLER: 0
; COMPUTE_PGM_RSRC2:TGID_X_EN: 1
; COMPUTE_PGM_RSRC2:TGID_Y_EN: 0
; COMPUTE_PGM_RSRC2:TGID_Z_EN: 0
; COMPUTE_PGM_RSRC2:TIDIG_COMP_CNT: 0
	.section	.text._ZN7rocprim17ROCPRIM_400000_NS6detail17trampoline_kernelINS0_14default_configENS1_38merge_sort_block_merge_config_selectorIyNS0_10empty_typeEEEZZNS1_27merge_sort_block_merge_implIS3_N6thrust23THRUST_200600_302600_NS6detail15normal_iteratorINS9_10device_ptrIyEEEEPS5_m9comp_mod3IyEEE10hipError_tT0_T1_T2_jT3_P12ihipStream_tbPNSt15iterator_traitsISJ_E10value_typeEPNSP_ISK_E10value_typeEPSL_NS1_7vsmem_tEENKUlT_SJ_SK_SL_E_clIPySE_SF_SF_EESI_SY_SJ_SK_SL_EUlSY_E1_NS1_11comp_targetILNS1_3genE5ELNS1_11target_archE942ELNS1_3gpuE9ELNS1_3repE0EEENS1_36merge_oddeven_config_static_selectorELNS0_4arch9wavefront6targetE0EEEvSK_,"axG",@progbits,_ZN7rocprim17ROCPRIM_400000_NS6detail17trampoline_kernelINS0_14default_configENS1_38merge_sort_block_merge_config_selectorIyNS0_10empty_typeEEEZZNS1_27merge_sort_block_merge_implIS3_N6thrust23THRUST_200600_302600_NS6detail15normal_iteratorINS9_10device_ptrIyEEEEPS5_m9comp_mod3IyEEE10hipError_tT0_T1_T2_jT3_P12ihipStream_tbPNSt15iterator_traitsISJ_E10value_typeEPNSP_ISK_E10value_typeEPSL_NS1_7vsmem_tEENKUlT_SJ_SK_SL_E_clIPySE_SF_SF_EESI_SY_SJ_SK_SL_EUlSY_E1_NS1_11comp_targetILNS1_3genE5ELNS1_11target_archE942ELNS1_3gpuE9ELNS1_3repE0EEENS1_36merge_oddeven_config_static_selectorELNS0_4arch9wavefront6targetE0EEEvSK_,comdat
	.protected	_ZN7rocprim17ROCPRIM_400000_NS6detail17trampoline_kernelINS0_14default_configENS1_38merge_sort_block_merge_config_selectorIyNS0_10empty_typeEEEZZNS1_27merge_sort_block_merge_implIS3_N6thrust23THRUST_200600_302600_NS6detail15normal_iteratorINS9_10device_ptrIyEEEEPS5_m9comp_mod3IyEEE10hipError_tT0_T1_T2_jT3_P12ihipStream_tbPNSt15iterator_traitsISJ_E10value_typeEPNSP_ISK_E10value_typeEPSL_NS1_7vsmem_tEENKUlT_SJ_SK_SL_E_clIPySE_SF_SF_EESI_SY_SJ_SK_SL_EUlSY_E1_NS1_11comp_targetILNS1_3genE5ELNS1_11target_archE942ELNS1_3gpuE9ELNS1_3repE0EEENS1_36merge_oddeven_config_static_selectorELNS0_4arch9wavefront6targetE0EEEvSK_ ; -- Begin function _ZN7rocprim17ROCPRIM_400000_NS6detail17trampoline_kernelINS0_14default_configENS1_38merge_sort_block_merge_config_selectorIyNS0_10empty_typeEEEZZNS1_27merge_sort_block_merge_implIS3_N6thrust23THRUST_200600_302600_NS6detail15normal_iteratorINS9_10device_ptrIyEEEEPS5_m9comp_mod3IyEEE10hipError_tT0_T1_T2_jT3_P12ihipStream_tbPNSt15iterator_traitsISJ_E10value_typeEPNSP_ISK_E10value_typeEPSL_NS1_7vsmem_tEENKUlT_SJ_SK_SL_E_clIPySE_SF_SF_EESI_SY_SJ_SK_SL_EUlSY_E1_NS1_11comp_targetILNS1_3genE5ELNS1_11target_archE942ELNS1_3gpuE9ELNS1_3repE0EEENS1_36merge_oddeven_config_static_selectorELNS0_4arch9wavefront6targetE0EEEvSK_
	.globl	_ZN7rocprim17ROCPRIM_400000_NS6detail17trampoline_kernelINS0_14default_configENS1_38merge_sort_block_merge_config_selectorIyNS0_10empty_typeEEEZZNS1_27merge_sort_block_merge_implIS3_N6thrust23THRUST_200600_302600_NS6detail15normal_iteratorINS9_10device_ptrIyEEEEPS5_m9comp_mod3IyEEE10hipError_tT0_T1_T2_jT3_P12ihipStream_tbPNSt15iterator_traitsISJ_E10value_typeEPNSP_ISK_E10value_typeEPSL_NS1_7vsmem_tEENKUlT_SJ_SK_SL_E_clIPySE_SF_SF_EESI_SY_SJ_SK_SL_EUlSY_E1_NS1_11comp_targetILNS1_3genE5ELNS1_11target_archE942ELNS1_3gpuE9ELNS1_3repE0EEENS1_36merge_oddeven_config_static_selectorELNS0_4arch9wavefront6targetE0EEEvSK_
	.p2align	8
	.type	_ZN7rocprim17ROCPRIM_400000_NS6detail17trampoline_kernelINS0_14default_configENS1_38merge_sort_block_merge_config_selectorIyNS0_10empty_typeEEEZZNS1_27merge_sort_block_merge_implIS3_N6thrust23THRUST_200600_302600_NS6detail15normal_iteratorINS9_10device_ptrIyEEEEPS5_m9comp_mod3IyEEE10hipError_tT0_T1_T2_jT3_P12ihipStream_tbPNSt15iterator_traitsISJ_E10value_typeEPNSP_ISK_E10value_typeEPSL_NS1_7vsmem_tEENKUlT_SJ_SK_SL_E_clIPySE_SF_SF_EESI_SY_SJ_SK_SL_EUlSY_E1_NS1_11comp_targetILNS1_3genE5ELNS1_11target_archE942ELNS1_3gpuE9ELNS1_3repE0EEENS1_36merge_oddeven_config_static_selectorELNS0_4arch9wavefront6targetE0EEEvSK_,@function
_ZN7rocprim17ROCPRIM_400000_NS6detail17trampoline_kernelINS0_14default_configENS1_38merge_sort_block_merge_config_selectorIyNS0_10empty_typeEEEZZNS1_27merge_sort_block_merge_implIS3_N6thrust23THRUST_200600_302600_NS6detail15normal_iteratorINS9_10device_ptrIyEEEEPS5_m9comp_mod3IyEEE10hipError_tT0_T1_T2_jT3_P12ihipStream_tbPNSt15iterator_traitsISJ_E10value_typeEPNSP_ISK_E10value_typeEPSL_NS1_7vsmem_tEENKUlT_SJ_SK_SL_E_clIPySE_SF_SF_EESI_SY_SJ_SK_SL_EUlSY_E1_NS1_11comp_targetILNS1_3genE5ELNS1_11target_archE942ELNS1_3gpuE9ELNS1_3repE0EEENS1_36merge_oddeven_config_static_selectorELNS0_4arch9wavefront6targetE0EEEvSK_: ; @_ZN7rocprim17ROCPRIM_400000_NS6detail17trampoline_kernelINS0_14default_configENS1_38merge_sort_block_merge_config_selectorIyNS0_10empty_typeEEEZZNS1_27merge_sort_block_merge_implIS3_N6thrust23THRUST_200600_302600_NS6detail15normal_iteratorINS9_10device_ptrIyEEEEPS5_m9comp_mod3IyEEE10hipError_tT0_T1_T2_jT3_P12ihipStream_tbPNSt15iterator_traitsISJ_E10value_typeEPNSP_ISK_E10value_typeEPSL_NS1_7vsmem_tEENKUlT_SJ_SK_SL_E_clIPySE_SF_SF_EESI_SY_SJ_SK_SL_EUlSY_E1_NS1_11comp_targetILNS1_3genE5ELNS1_11target_archE942ELNS1_3gpuE9ELNS1_3repE0EEENS1_36merge_oddeven_config_static_selectorELNS0_4arch9wavefront6targetE0EEEvSK_
; %bb.0:
	.section	.rodata,"a",@progbits
	.p2align	6, 0x0
	.amdhsa_kernel _ZN7rocprim17ROCPRIM_400000_NS6detail17trampoline_kernelINS0_14default_configENS1_38merge_sort_block_merge_config_selectorIyNS0_10empty_typeEEEZZNS1_27merge_sort_block_merge_implIS3_N6thrust23THRUST_200600_302600_NS6detail15normal_iteratorINS9_10device_ptrIyEEEEPS5_m9comp_mod3IyEEE10hipError_tT0_T1_T2_jT3_P12ihipStream_tbPNSt15iterator_traitsISJ_E10value_typeEPNSP_ISK_E10value_typeEPSL_NS1_7vsmem_tEENKUlT_SJ_SK_SL_E_clIPySE_SF_SF_EESI_SY_SJ_SK_SL_EUlSY_E1_NS1_11comp_targetILNS1_3genE5ELNS1_11target_archE942ELNS1_3gpuE9ELNS1_3repE0EEENS1_36merge_oddeven_config_static_selectorELNS0_4arch9wavefront6targetE0EEEvSK_
		.amdhsa_group_segment_fixed_size 0
		.amdhsa_private_segment_fixed_size 0
		.amdhsa_kernarg_size 56
		.amdhsa_user_sgpr_count 6
		.amdhsa_user_sgpr_private_segment_buffer 1
		.amdhsa_user_sgpr_dispatch_ptr 0
		.amdhsa_user_sgpr_queue_ptr 0
		.amdhsa_user_sgpr_kernarg_segment_ptr 1
		.amdhsa_user_sgpr_dispatch_id 0
		.amdhsa_user_sgpr_flat_scratch_init 0
		.amdhsa_user_sgpr_private_segment_size 0
		.amdhsa_wavefront_size32 1
		.amdhsa_uses_dynamic_stack 0
		.amdhsa_system_sgpr_private_segment_wavefront_offset 0
		.amdhsa_system_sgpr_workgroup_id_x 1
		.amdhsa_system_sgpr_workgroup_id_y 0
		.amdhsa_system_sgpr_workgroup_id_z 0
		.amdhsa_system_sgpr_workgroup_info 0
		.amdhsa_system_vgpr_workitem_id 0
		.amdhsa_next_free_vgpr 1
		.amdhsa_next_free_sgpr 1
		.amdhsa_reserve_vcc 0
		.amdhsa_reserve_flat_scratch 0
		.amdhsa_float_round_mode_32 0
		.amdhsa_float_round_mode_16_64 0
		.amdhsa_float_denorm_mode_32 3
		.amdhsa_float_denorm_mode_16_64 3
		.amdhsa_dx10_clamp 1
		.amdhsa_ieee_mode 1
		.amdhsa_fp16_overflow 0
		.amdhsa_workgroup_processor_mode 1
		.amdhsa_memory_ordered 1
		.amdhsa_forward_progress 1
		.amdhsa_shared_vgpr_count 0
		.amdhsa_exception_fp_ieee_invalid_op 0
		.amdhsa_exception_fp_denorm_src 0
		.amdhsa_exception_fp_ieee_div_zero 0
		.amdhsa_exception_fp_ieee_overflow 0
		.amdhsa_exception_fp_ieee_underflow 0
		.amdhsa_exception_fp_ieee_inexact 0
		.amdhsa_exception_int_div_zero 0
	.end_amdhsa_kernel
	.section	.text._ZN7rocprim17ROCPRIM_400000_NS6detail17trampoline_kernelINS0_14default_configENS1_38merge_sort_block_merge_config_selectorIyNS0_10empty_typeEEEZZNS1_27merge_sort_block_merge_implIS3_N6thrust23THRUST_200600_302600_NS6detail15normal_iteratorINS9_10device_ptrIyEEEEPS5_m9comp_mod3IyEEE10hipError_tT0_T1_T2_jT3_P12ihipStream_tbPNSt15iterator_traitsISJ_E10value_typeEPNSP_ISK_E10value_typeEPSL_NS1_7vsmem_tEENKUlT_SJ_SK_SL_E_clIPySE_SF_SF_EESI_SY_SJ_SK_SL_EUlSY_E1_NS1_11comp_targetILNS1_3genE5ELNS1_11target_archE942ELNS1_3gpuE9ELNS1_3repE0EEENS1_36merge_oddeven_config_static_selectorELNS0_4arch9wavefront6targetE0EEEvSK_,"axG",@progbits,_ZN7rocprim17ROCPRIM_400000_NS6detail17trampoline_kernelINS0_14default_configENS1_38merge_sort_block_merge_config_selectorIyNS0_10empty_typeEEEZZNS1_27merge_sort_block_merge_implIS3_N6thrust23THRUST_200600_302600_NS6detail15normal_iteratorINS9_10device_ptrIyEEEEPS5_m9comp_mod3IyEEE10hipError_tT0_T1_T2_jT3_P12ihipStream_tbPNSt15iterator_traitsISJ_E10value_typeEPNSP_ISK_E10value_typeEPSL_NS1_7vsmem_tEENKUlT_SJ_SK_SL_E_clIPySE_SF_SF_EESI_SY_SJ_SK_SL_EUlSY_E1_NS1_11comp_targetILNS1_3genE5ELNS1_11target_archE942ELNS1_3gpuE9ELNS1_3repE0EEENS1_36merge_oddeven_config_static_selectorELNS0_4arch9wavefront6targetE0EEEvSK_,comdat
.Lfunc_end777:
	.size	_ZN7rocprim17ROCPRIM_400000_NS6detail17trampoline_kernelINS0_14default_configENS1_38merge_sort_block_merge_config_selectorIyNS0_10empty_typeEEEZZNS1_27merge_sort_block_merge_implIS3_N6thrust23THRUST_200600_302600_NS6detail15normal_iteratorINS9_10device_ptrIyEEEEPS5_m9comp_mod3IyEEE10hipError_tT0_T1_T2_jT3_P12ihipStream_tbPNSt15iterator_traitsISJ_E10value_typeEPNSP_ISK_E10value_typeEPSL_NS1_7vsmem_tEENKUlT_SJ_SK_SL_E_clIPySE_SF_SF_EESI_SY_SJ_SK_SL_EUlSY_E1_NS1_11comp_targetILNS1_3genE5ELNS1_11target_archE942ELNS1_3gpuE9ELNS1_3repE0EEENS1_36merge_oddeven_config_static_selectorELNS0_4arch9wavefront6targetE0EEEvSK_, .Lfunc_end777-_ZN7rocprim17ROCPRIM_400000_NS6detail17trampoline_kernelINS0_14default_configENS1_38merge_sort_block_merge_config_selectorIyNS0_10empty_typeEEEZZNS1_27merge_sort_block_merge_implIS3_N6thrust23THRUST_200600_302600_NS6detail15normal_iteratorINS9_10device_ptrIyEEEEPS5_m9comp_mod3IyEEE10hipError_tT0_T1_T2_jT3_P12ihipStream_tbPNSt15iterator_traitsISJ_E10value_typeEPNSP_ISK_E10value_typeEPSL_NS1_7vsmem_tEENKUlT_SJ_SK_SL_E_clIPySE_SF_SF_EESI_SY_SJ_SK_SL_EUlSY_E1_NS1_11comp_targetILNS1_3genE5ELNS1_11target_archE942ELNS1_3gpuE9ELNS1_3repE0EEENS1_36merge_oddeven_config_static_selectorELNS0_4arch9wavefront6targetE0EEEvSK_
                                        ; -- End function
	.set _ZN7rocprim17ROCPRIM_400000_NS6detail17trampoline_kernelINS0_14default_configENS1_38merge_sort_block_merge_config_selectorIyNS0_10empty_typeEEEZZNS1_27merge_sort_block_merge_implIS3_N6thrust23THRUST_200600_302600_NS6detail15normal_iteratorINS9_10device_ptrIyEEEEPS5_m9comp_mod3IyEEE10hipError_tT0_T1_T2_jT3_P12ihipStream_tbPNSt15iterator_traitsISJ_E10value_typeEPNSP_ISK_E10value_typeEPSL_NS1_7vsmem_tEENKUlT_SJ_SK_SL_E_clIPySE_SF_SF_EESI_SY_SJ_SK_SL_EUlSY_E1_NS1_11comp_targetILNS1_3genE5ELNS1_11target_archE942ELNS1_3gpuE9ELNS1_3repE0EEENS1_36merge_oddeven_config_static_selectorELNS0_4arch9wavefront6targetE0EEEvSK_.num_vgpr, 0
	.set _ZN7rocprim17ROCPRIM_400000_NS6detail17trampoline_kernelINS0_14default_configENS1_38merge_sort_block_merge_config_selectorIyNS0_10empty_typeEEEZZNS1_27merge_sort_block_merge_implIS3_N6thrust23THRUST_200600_302600_NS6detail15normal_iteratorINS9_10device_ptrIyEEEEPS5_m9comp_mod3IyEEE10hipError_tT0_T1_T2_jT3_P12ihipStream_tbPNSt15iterator_traitsISJ_E10value_typeEPNSP_ISK_E10value_typeEPSL_NS1_7vsmem_tEENKUlT_SJ_SK_SL_E_clIPySE_SF_SF_EESI_SY_SJ_SK_SL_EUlSY_E1_NS1_11comp_targetILNS1_3genE5ELNS1_11target_archE942ELNS1_3gpuE9ELNS1_3repE0EEENS1_36merge_oddeven_config_static_selectorELNS0_4arch9wavefront6targetE0EEEvSK_.num_agpr, 0
	.set _ZN7rocprim17ROCPRIM_400000_NS6detail17trampoline_kernelINS0_14default_configENS1_38merge_sort_block_merge_config_selectorIyNS0_10empty_typeEEEZZNS1_27merge_sort_block_merge_implIS3_N6thrust23THRUST_200600_302600_NS6detail15normal_iteratorINS9_10device_ptrIyEEEEPS5_m9comp_mod3IyEEE10hipError_tT0_T1_T2_jT3_P12ihipStream_tbPNSt15iterator_traitsISJ_E10value_typeEPNSP_ISK_E10value_typeEPSL_NS1_7vsmem_tEENKUlT_SJ_SK_SL_E_clIPySE_SF_SF_EESI_SY_SJ_SK_SL_EUlSY_E1_NS1_11comp_targetILNS1_3genE5ELNS1_11target_archE942ELNS1_3gpuE9ELNS1_3repE0EEENS1_36merge_oddeven_config_static_selectorELNS0_4arch9wavefront6targetE0EEEvSK_.numbered_sgpr, 0
	.set _ZN7rocprim17ROCPRIM_400000_NS6detail17trampoline_kernelINS0_14default_configENS1_38merge_sort_block_merge_config_selectorIyNS0_10empty_typeEEEZZNS1_27merge_sort_block_merge_implIS3_N6thrust23THRUST_200600_302600_NS6detail15normal_iteratorINS9_10device_ptrIyEEEEPS5_m9comp_mod3IyEEE10hipError_tT0_T1_T2_jT3_P12ihipStream_tbPNSt15iterator_traitsISJ_E10value_typeEPNSP_ISK_E10value_typeEPSL_NS1_7vsmem_tEENKUlT_SJ_SK_SL_E_clIPySE_SF_SF_EESI_SY_SJ_SK_SL_EUlSY_E1_NS1_11comp_targetILNS1_3genE5ELNS1_11target_archE942ELNS1_3gpuE9ELNS1_3repE0EEENS1_36merge_oddeven_config_static_selectorELNS0_4arch9wavefront6targetE0EEEvSK_.num_named_barrier, 0
	.set _ZN7rocprim17ROCPRIM_400000_NS6detail17trampoline_kernelINS0_14default_configENS1_38merge_sort_block_merge_config_selectorIyNS0_10empty_typeEEEZZNS1_27merge_sort_block_merge_implIS3_N6thrust23THRUST_200600_302600_NS6detail15normal_iteratorINS9_10device_ptrIyEEEEPS5_m9comp_mod3IyEEE10hipError_tT0_T1_T2_jT3_P12ihipStream_tbPNSt15iterator_traitsISJ_E10value_typeEPNSP_ISK_E10value_typeEPSL_NS1_7vsmem_tEENKUlT_SJ_SK_SL_E_clIPySE_SF_SF_EESI_SY_SJ_SK_SL_EUlSY_E1_NS1_11comp_targetILNS1_3genE5ELNS1_11target_archE942ELNS1_3gpuE9ELNS1_3repE0EEENS1_36merge_oddeven_config_static_selectorELNS0_4arch9wavefront6targetE0EEEvSK_.private_seg_size, 0
	.set _ZN7rocprim17ROCPRIM_400000_NS6detail17trampoline_kernelINS0_14default_configENS1_38merge_sort_block_merge_config_selectorIyNS0_10empty_typeEEEZZNS1_27merge_sort_block_merge_implIS3_N6thrust23THRUST_200600_302600_NS6detail15normal_iteratorINS9_10device_ptrIyEEEEPS5_m9comp_mod3IyEEE10hipError_tT0_T1_T2_jT3_P12ihipStream_tbPNSt15iterator_traitsISJ_E10value_typeEPNSP_ISK_E10value_typeEPSL_NS1_7vsmem_tEENKUlT_SJ_SK_SL_E_clIPySE_SF_SF_EESI_SY_SJ_SK_SL_EUlSY_E1_NS1_11comp_targetILNS1_3genE5ELNS1_11target_archE942ELNS1_3gpuE9ELNS1_3repE0EEENS1_36merge_oddeven_config_static_selectorELNS0_4arch9wavefront6targetE0EEEvSK_.uses_vcc, 0
	.set _ZN7rocprim17ROCPRIM_400000_NS6detail17trampoline_kernelINS0_14default_configENS1_38merge_sort_block_merge_config_selectorIyNS0_10empty_typeEEEZZNS1_27merge_sort_block_merge_implIS3_N6thrust23THRUST_200600_302600_NS6detail15normal_iteratorINS9_10device_ptrIyEEEEPS5_m9comp_mod3IyEEE10hipError_tT0_T1_T2_jT3_P12ihipStream_tbPNSt15iterator_traitsISJ_E10value_typeEPNSP_ISK_E10value_typeEPSL_NS1_7vsmem_tEENKUlT_SJ_SK_SL_E_clIPySE_SF_SF_EESI_SY_SJ_SK_SL_EUlSY_E1_NS1_11comp_targetILNS1_3genE5ELNS1_11target_archE942ELNS1_3gpuE9ELNS1_3repE0EEENS1_36merge_oddeven_config_static_selectorELNS0_4arch9wavefront6targetE0EEEvSK_.uses_flat_scratch, 0
	.set _ZN7rocprim17ROCPRIM_400000_NS6detail17trampoline_kernelINS0_14default_configENS1_38merge_sort_block_merge_config_selectorIyNS0_10empty_typeEEEZZNS1_27merge_sort_block_merge_implIS3_N6thrust23THRUST_200600_302600_NS6detail15normal_iteratorINS9_10device_ptrIyEEEEPS5_m9comp_mod3IyEEE10hipError_tT0_T1_T2_jT3_P12ihipStream_tbPNSt15iterator_traitsISJ_E10value_typeEPNSP_ISK_E10value_typeEPSL_NS1_7vsmem_tEENKUlT_SJ_SK_SL_E_clIPySE_SF_SF_EESI_SY_SJ_SK_SL_EUlSY_E1_NS1_11comp_targetILNS1_3genE5ELNS1_11target_archE942ELNS1_3gpuE9ELNS1_3repE0EEENS1_36merge_oddeven_config_static_selectorELNS0_4arch9wavefront6targetE0EEEvSK_.has_dyn_sized_stack, 0
	.set _ZN7rocprim17ROCPRIM_400000_NS6detail17trampoline_kernelINS0_14default_configENS1_38merge_sort_block_merge_config_selectorIyNS0_10empty_typeEEEZZNS1_27merge_sort_block_merge_implIS3_N6thrust23THRUST_200600_302600_NS6detail15normal_iteratorINS9_10device_ptrIyEEEEPS5_m9comp_mod3IyEEE10hipError_tT0_T1_T2_jT3_P12ihipStream_tbPNSt15iterator_traitsISJ_E10value_typeEPNSP_ISK_E10value_typeEPSL_NS1_7vsmem_tEENKUlT_SJ_SK_SL_E_clIPySE_SF_SF_EESI_SY_SJ_SK_SL_EUlSY_E1_NS1_11comp_targetILNS1_3genE5ELNS1_11target_archE942ELNS1_3gpuE9ELNS1_3repE0EEENS1_36merge_oddeven_config_static_selectorELNS0_4arch9wavefront6targetE0EEEvSK_.has_recursion, 0
	.set _ZN7rocprim17ROCPRIM_400000_NS6detail17trampoline_kernelINS0_14default_configENS1_38merge_sort_block_merge_config_selectorIyNS0_10empty_typeEEEZZNS1_27merge_sort_block_merge_implIS3_N6thrust23THRUST_200600_302600_NS6detail15normal_iteratorINS9_10device_ptrIyEEEEPS5_m9comp_mod3IyEEE10hipError_tT0_T1_T2_jT3_P12ihipStream_tbPNSt15iterator_traitsISJ_E10value_typeEPNSP_ISK_E10value_typeEPSL_NS1_7vsmem_tEENKUlT_SJ_SK_SL_E_clIPySE_SF_SF_EESI_SY_SJ_SK_SL_EUlSY_E1_NS1_11comp_targetILNS1_3genE5ELNS1_11target_archE942ELNS1_3gpuE9ELNS1_3repE0EEENS1_36merge_oddeven_config_static_selectorELNS0_4arch9wavefront6targetE0EEEvSK_.has_indirect_call, 0
	.section	.AMDGPU.csdata,"",@progbits
; Kernel info:
; codeLenInByte = 0
; TotalNumSgprs: 0
; NumVgprs: 0
; ScratchSize: 0
; MemoryBound: 0
; FloatMode: 240
; IeeeMode: 1
; LDSByteSize: 0 bytes/workgroup (compile time only)
; SGPRBlocks: 0
; VGPRBlocks: 0
; NumSGPRsForWavesPerEU: 1
; NumVGPRsForWavesPerEU: 1
; Occupancy: 16
; WaveLimiterHint : 0
; COMPUTE_PGM_RSRC2:SCRATCH_EN: 0
; COMPUTE_PGM_RSRC2:USER_SGPR: 6
; COMPUTE_PGM_RSRC2:TRAP_HANDLER: 0
; COMPUTE_PGM_RSRC2:TGID_X_EN: 1
; COMPUTE_PGM_RSRC2:TGID_Y_EN: 0
; COMPUTE_PGM_RSRC2:TGID_Z_EN: 0
; COMPUTE_PGM_RSRC2:TIDIG_COMP_CNT: 0
	.section	.text._ZN7rocprim17ROCPRIM_400000_NS6detail17trampoline_kernelINS0_14default_configENS1_38merge_sort_block_merge_config_selectorIyNS0_10empty_typeEEEZZNS1_27merge_sort_block_merge_implIS3_N6thrust23THRUST_200600_302600_NS6detail15normal_iteratorINS9_10device_ptrIyEEEEPS5_m9comp_mod3IyEEE10hipError_tT0_T1_T2_jT3_P12ihipStream_tbPNSt15iterator_traitsISJ_E10value_typeEPNSP_ISK_E10value_typeEPSL_NS1_7vsmem_tEENKUlT_SJ_SK_SL_E_clIPySE_SF_SF_EESI_SY_SJ_SK_SL_EUlSY_E1_NS1_11comp_targetILNS1_3genE4ELNS1_11target_archE910ELNS1_3gpuE8ELNS1_3repE0EEENS1_36merge_oddeven_config_static_selectorELNS0_4arch9wavefront6targetE0EEEvSK_,"axG",@progbits,_ZN7rocprim17ROCPRIM_400000_NS6detail17trampoline_kernelINS0_14default_configENS1_38merge_sort_block_merge_config_selectorIyNS0_10empty_typeEEEZZNS1_27merge_sort_block_merge_implIS3_N6thrust23THRUST_200600_302600_NS6detail15normal_iteratorINS9_10device_ptrIyEEEEPS5_m9comp_mod3IyEEE10hipError_tT0_T1_T2_jT3_P12ihipStream_tbPNSt15iterator_traitsISJ_E10value_typeEPNSP_ISK_E10value_typeEPSL_NS1_7vsmem_tEENKUlT_SJ_SK_SL_E_clIPySE_SF_SF_EESI_SY_SJ_SK_SL_EUlSY_E1_NS1_11comp_targetILNS1_3genE4ELNS1_11target_archE910ELNS1_3gpuE8ELNS1_3repE0EEENS1_36merge_oddeven_config_static_selectorELNS0_4arch9wavefront6targetE0EEEvSK_,comdat
	.protected	_ZN7rocprim17ROCPRIM_400000_NS6detail17trampoline_kernelINS0_14default_configENS1_38merge_sort_block_merge_config_selectorIyNS0_10empty_typeEEEZZNS1_27merge_sort_block_merge_implIS3_N6thrust23THRUST_200600_302600_NS6detail15normal_iteratorINS9_10device_ptrIyEEEEPS5_m9comp_mod3IyEEE10hipError_tT0_T1_T2_jT3_P12ihipStream_tbPNSt15iterator_traitsISJ_E10value_typeEPNSP_ISK_E10value_typeEPSL_NS1_7vsmem_tEENKUlT_SJ_SK_SL_E_clIPySE_SF_SF_EESI_SY_SJ_SK_SL_EUlSY_E1_NS1_11comp_targetILNS1_3genE4ELNS1_11target_archE910ELNS1_3gpuE8ELNS1_3repE0EEENS1_36merge_oddeven_config_static_selectorELNS0_4arch9wavefront6targetE0EEEvSK_ ; -- Begin function _ZN7rocprim17ROCPRIM_400000_NS6detail17trampoline_kernelINS0_14default_configENS1_38merge_sort_block_merge_config_selectorIyNS0_10empty_typeEEEZZNS1_27merge_sort_block_merge_implIS3_N6thrust23THRUST_200600_302600_NS6detail15normal_iteratorINS9_10device_ptrIyEEEEPS5_m9comp_mod3IyEEE10hipError_tT0_T1_T2_jT3_P12ihipStream_tbPNSt15iterator_traitsISJ_E10value_typeEPNSP_ISK_E10value_typeEPSL_NS1_7vsmem_tEENKUlT_SJ_SK_SL_E_clIPySE_SF_SF_EESI_SY_SJ_SK_SL_EUlSY_E1_NS1_11comp_targetILNS1_3genE4ELNS1_11target_archE910ELNS1_3gpuE8ELNS1_3repE0EEENS1_36merge_oddeven_config_static_selectorELNS0_4arch9wavefront6targetE0EEEvSK_
	.globl	_ZN7rocprim17ROCPRIM_400000_NS6detail17trampoline_kernelINS0_14default_configENS1_38merge_sort_block_merge_config_selectorIyNS0_10empty_typeEEEZZNS1_27merge_sort_block_merge_implIS3_N6thrust23THRUST_200600_302600_NS6detail15normal_iteratorINS9_10device_ptrIyEEEEPS5_m9comp_mod3IyEEE10hipError_tT0_T1_T2_jT3_P12ihipStream_tbPNSt15iterator_traitsISJ_E10value_typeEPNSP_ISK_E10value_typeEPSL_NS1_7vsmem_tEENKUlT_SJ_SK_SL_E_clIPySE_SF_SF_EESI_SY_SJ_SK_SL_EUlSY_E1_NS1_11comp_targetILNS1_3genE4ELNS1_11target_archE910ELNS1_3gpuE8ELNS1_3repE0EEENS1_36merge_oddeven_config_static_selectorELNS0_4arch9wavefront6targetE0EEEvSK_
	.p2align	8
	.type	_ZN7rocprim17ROCPRIM_400000_NS6detail17trampoline_kernelINS0_14default_configENS1_38merge_sort_block_merge_config_selectorIyNS0_10empty_typeEEEZZNS1_27merge_sort_block_merge_implIS3_N6thrust23THRUST_200600_302600_NS6detail15normal_iteratorINS9_10device_ptrIyEEEEPS5_m9comp_mod3IyEEE10hipError_tT0_T1_T2_jT3_P12ihipStream_tbPNSt15iterator_traitsISJ_E10value_typeEPNSP_ISK_E10value_typeEPSL_NS1_7vsmem_tEENKUlT_SJ_SK_SL_E_clIPySE_SF_SF_EESI_SY_SJ_SK_SL_EUlSY_E1_NS1_11comp_targetILNS1_3genE4ELNS1_11target_archE910ELNS1_3gpuE8ELNS1_3repE0EEENS1_36merge_oddeven_config_static_selectorELNS0_4arch9wavefront6targetE0EEEvSK_,@function
_ZN7rocprim17ROCPRIM_400000_NS6detail17trampoline_kernelINS0_14default_configENS1_38merge_sort_block_merge_config_selectorIyNS0_10empty_typeEEEZZNS1_27merge_sort_block_merge_implIS3_N6thrust23THRUST_200600_302600_NS6detail15normal_iteratorINS9_10device_ptrIyEEEEPS5_m9comp_mod3IyEEE10hipError_tT0_T1_T2_jT3_P12ihipStream_tbPNSt15iterator_traitsISJ_E10value_typeEPNSP_ISK_E10value_typeEPSL_NS1_7vsmem_tEENKUlT_SJ_SK_SL_E_clIPySE_SF_SF_EESI_SY_SJ_SK_SL_EUlSY_E1_NS1_11comp_targetILNS1_3genE4ELNS1_11target_archE910ELNS1_3gpuE8ELNS1_3repE0EEENS1_36merge_oddeven_config_static_selectorELNS0_4arch9wavefront6targetE0EEEvSK_: ; @_ZN7rocprim17ROCPRIM_400000_NS6detail17trampoline_kernelINS0_14default_configENS1_38merge_sort_block_merge_config_selectorIyNS0_10empty_typeEEEZZNS1_27merge_sort_block_merge_implIS3_N6thrust23THRUST_200600_302600_NS6detail15normal_iteratorINS9_10device_ptrIyEEEEPS5_m9comp_mod3IyEEE10hipError_tT0_T1_T2_jT3_P12ihipStream_tbPNSt15iterator_traitsISJ_E10value_typeEPNSP_ISK_E10value_typeEPSL_NS1_7vsmem_tEENKUlT_SJ_SK_SL_E_clIPySE_SF_SF_EESI_SY_SJ_SK_SL_EUlSY_E1_NS1_11comp_targetILNS1_3genE4ELNS1_11target_archE910ELNS1_3gpuE8ELNS1_3repE0EEENS1_36merge_oddeven_config_static_selectorELNS0_4arch9wavefront6targetE0EEEvSK_
; %bb.0:
	.section	.rodata,"a",@progbits
	.p2align	6, 0x0
	.amdhsa_kernel _ZN7rocprim17ROCPRIM_400000_NS6detail17trampoline_kernelINS0_14default_configENS1_38merge_sort_block_merge_config_selectorIyNS0_10empty_typeEEEZZNS1_27merge_sort_block_merge_implIS3_N6thrust23THRUST_200600_302600_NS6detail15normal_iteratorINS9_10device_ptrIyEEEEPS5_m9comp_mod3IyEEE10hipError_tT0_T1_T2_jT3_P12ihipStream_tbPNSt15iterator_traitsISJ_E10value_typeEPNSP_ISK_E10value_typeEPSL_NS1_7vsmem_tEENKUlT_SJ_SK_SL_E_clIPySE_SF_SF_EESI_SY_SJ_SK_SL_EUlSY_E1_NS1_11comp_targetILNS1_3genE4ELNS1_11target_archE910ELNS1_3gpuE8ELNS1_3repE0EEENS1_36merge_oddeven_config_static_selectorELNS0_4arch9wavefront6targetE0EEEvSK_
		.amdhsa_group_segment_fixed_size 0
		.amdhsa_private_segment_fixed_size 0
		.amdhsa_kernarg_size 56
		.amdhsa_user_sgpr_count 6
		.amdhsa_user_sgpr_private_segment_buffer 1
		.amdhsa_user_sgpr_dispatch_ptr 0
		.amdhsa_user_sgpr_queue_ptr 0
		.amdhsa_user_sgpr_kernarg_segment_ptr 1
		.amdhsa_user_sgpr_dispatch_id 0
		.amdhsa_user_sgpr_flat_scratch_init 0
		.amdhsa_user_sgpr_private_segment_size 0
		.amdhsa_wavefront_size32 1
		.amdhsa_uses_dynamic_stack 0
		.amdhsa_system_sgpr_private_segment_wavefront_offset 0
		.amdhsa_system_sgpr_workgroup_id_x 1
		.amdhsa_system_sgpr_workgroup_id_y 0
		.amdhsa_system_sgpr_workgroup_id_z 0
		.amdhsa_system_sgpr_workgroup_info 0
		.amdhsa_system_vgpr_workitem_id 0
		.amdhsa_next_free_vgpr 1
		.amdhsa_next_free_sgpr 1
		.amdhsa_reserve_vcc 0
		.amdhsa_reserve_flat_scratch 0
		.amdhsa_float_round_mode_32 0
		.amdhsa_float_round_mode_16_64 0
		.amdhsa_float_denorm_mode_32 3
		.amdhsa_float_denorm_mode_16_64 3
		.amdhsa_dx10_clamp 1
		.amdhsa_ieee_mode 1
		.amdhsa_fp16_overflow 0
		.amdhsa_workgroup_processor_mode 1
		.amdhsa_memory_ordered 1
		.amdhsa_forward_progress 1
		.amdhsa_shared_vgpr_count 0
		.amdhsa_exception_fp_ieee_invalid_op 0
		.amdhsa_exception_fp_denorm_src 0
		.amdhsa_exception_fp_ieee_div_zero 0
		.amdhsa_exception_fp_ieee_overflow 0
		.amdhsa_exception_fp_ieee_underflow 0
		.amdhsa_exception_fp_ieee_inexact 0
		.amdhsa_exception_int_div_zero 0
	.end_amdhsa_kernel
	.section	.text._ZN7rocprim17ROCPRIM_400000_NS6detail17trampoline_kernelINS0_14default_configENS1_38merge_sort_block_merge_config_selectorIyNS0_10empty_typeEEEZZNS1_27merge_sort_block_merge_implIS3_N6thrust23THRUST_200600_302600_NS6detail15normal_iteratorINS9_10device_ptrIyEEEEPS5_m9comp_mod3IyEEE10hipError_tT0_T1_T2_jT3_P12ihipStream_tbPNSt15iterator_traitsISJ_E10value_typeEPNSP_ISK_E10value_typeEPSL_NS1_7vsmem_tEENKUlT_SJ_SK_SL_E_clIPySE_SF_SF_EESI_SY_SJ_SK_SL_EUlSY_E1_NS1_11comp_targetILNS1_3genE4ELNS1_11target_archE910ELNS1_3gpuE8ELNS1_3repE0EEENS1_36merge_oddeven_config_static_selectorELNS0_4arch9wavefront6targetE0EEEvSK_,"axG",@progbits,_ZN7rocprim17ROCPRIM_400000_NS6detail17trampoline_kernelINS0_14default_configENS1_38merge_sort_block_merge_config_selectorIyNS0_10empty_typeEEEZZNS1_27merge_sort_block_merge_implIS3_N6thrust23THRUST_200600_302600_NS6detail15normal_iteratorINS9_10device_ptrIyEEEEPS5_m9comp_mod3IyEEE10hipError_tT0_T1_T2_jT3_P12ihipStream_tbPNSt15iterator_traitsISJ_E10value_typeEPNSP_ISK_E10value_typeEPSL_NS1_7vsmem_tEENKUlT_SJ_SK_SL_E_clIPySE_SF_SF_EESI_SY_SJ_SK_SL_EUlSY_E1_NS1_11comp_targetILNS1_3genE4ELNS1_11target_archE910ELNS1_3gpuE8ELNS1_3repE0EEENS1_36merge_oddeven_config_static_selectorELNS0_4arch9wavefront6targetE0EEEvSK_,comdat
.Lfunc_end778:
	.size	_ZN7rocprim17ROCPRIM_400000_NS6detail17trampoline_kernelINS0_14default_configENS1_38merge_sort_block_merge_config_selectorIyNS0_10empty_typeEEEZZNS1_27merge_sort_block_merge_implIS3_N6thrust23THRUST_200600_302600_NS6detail15normal_iteratorINS9_10device_ptrIyEEEEPS5_m9comp_mod3IyEEE10hipError_tT0_T1_T2_jT3_P12ihipStream_tbPNSt15iterator_traitsISJ_E10value_typeEPNSP_ISK_E10value_typeEPSL_NS1_7vsmem_tEENKUlT_SJ_SK_SL_E_clIPySE_SF_SF_EESI_SY_SJ_SK_SL_EUlSY_E1_NS1_11comp_targetILNS1_3genE4ELNS1_11target_archE910ELNS1_3gpuE8ELNS1_3repE0EEENS1_36merge_oddeven_config_static_selectorELNS0_4arch9wavefront6targetE0EEEvSK_, .Lfunc_end778-_ZN7rocprim17ROCPRIM_400000_NS6detail17trampoline_kernelINS0_14default_configENS1_38merge_sort_block_merge_config_selectorIyNS0_10empty_typeEEEZZNS1_27merge_sort_block_merge_implIS3_N6thrust23THRUST_200600_302600_NS6detail15normal_iteratorINS9_10device_ptrIyEEEEPS5_m9comp_mod3IyEEE10hipError_tT0_T1_T2_jT3_P12ihipStream_tbPNSt15iterator_traitsISJ_E10value_typeEPNSP_ISK_E10value_typeEPSL_NS1_7vsmem_tEENKUlT_SJ_SK_SL_E_clIPySE_SF_SF_EESI_SY_SJ_SK_SL_EUlSY_E1_NS1_11comp_targetILNS1_3genE4ELNS1_11target_archE910ELNS1_3gpuE8ELNS1_3repE0EEENS1_36merge_oddeven_config_static_selectorELNS0_4arch9wavefront6targetE0EEEvSK_
                                        ; -- End function
	.set _ZN7rocprim17ROCPRIM_400000_NS6detail17trampoline_kernelINS0_14default_configENS1_38merge_sort_block_merge_config_selectorIyNS0_10empty_typeEEEZZNS1_27merge_sort_block_merge_implIS3_N6thrust23THRUST_200600_302600_NS6detail15normal_iteratorINS9_10device_ptrIyEEEEPS5_m9comp_mod3IyEEE10hipError_tT0_T1_T2_jT3_P12ihipStream_tbPNSt15iterator_traitsISJ_E10value_typeEPNSP_ISK_E10value_typeEPSL_NS1_7vsmem_tEENKUlT_SJ_SK_SL_E_clIPySE_SF_SF_EESI_SY_SJ_SK_SL_EUlSY_E1_NS1_11comp_targetILNS1_3genE4ELNS1_11target_archE910ELNS1_3gpuE8ELNS1_3repE0EEENS1_36merge_oddeven_config_static_selectorELNS0_4arch9wavefront6targetE0EEEvSK_.num_vgpr, 0
	.set _ZN7rocprim17ROCPRIM_400000_NS6detail17trampoline_kernelINS0_14default_configENS1_38merge_sort_block_merge_config_selectorIyNS0_10empty_typeEEEZZNS1_27merge_sort_block_merge_implIS3_N6thrust23THRUST_200600_302600_NS6detail15normal_iteratorINS9_10device_ptrIyEEEEPS5_m9comp_mod3IyEEE10hipError_tT0_T1_T2_jT3_P12ihipStream_tbPNSt15iterator_traitsISJ_E10value_typeEPNSP_ISK_E10value_typeEPSL_NS1_7vsmem_tEENKUlT_SJ_SK_SL_E_clIPySE_SF_SF_EESI_SY_SJ_SK_SL_EUlSY_E1_NS1_11comp_targetILNS1_3genE4ELNS1_11target_archE910ELNS1_3gpuE8ELNS1_3repE0EEENS1_36merge_oddeven_config_static_selectorELNS0_4arch9wavefront6targetE0EEEvSK_.num_agpr, 0
	.set _ZN7rocprim17ROCPRIM_400000_NS6detail17trampoline_kernelINS0_14default_configENS1_38merge_sort_block_merge_config_selectorIyNS0_10empty_typeEEEZZNS1_27merge_sort_block_merge_implIS3_N6thrust23THRUST_200600_302600_NS6detail15normal_iteratorINS9_10device_ptrIyEEEEPS5_m9comp_mod3IyEEE10hipError_tT0_T1_T2_jT3_P12ihipStream_tbPNSt15iterator_traitsISJ_E10value_typeEPNSP_ISK_E10value_typeEPSL_NS1_7vsmem_tEENKUlT_SJ_SK_SL_E_clIPySE_SF_SF_EESI_SY_SJ_SK_SL_EUlSY_E1_NS1_11comp_targetILNS1_3genE4ELNS1_11target_archE910ELNS1_3gpuE8ELNS1_3repE0EEENS1_36merge_oddeven_config_static_selectorELNS0_4arch9wavefront6targetE0EEEvSK_.numbered_sgpr, 0
	.set _ZN7rocprim17ROCPRIM_400000_NS6detail17trampoline_kernelINS0_14default_configENS1_38merge_sort_block_merge_config_selectorIyNS0_10empty_typeEEEZZNS1_27merge_sort_block_merge_implIS3_N6thrust23THRUST_200600_302600_NS6detail15normal_iteratorINS9_10device_ptrIyEEEEPS5_m9comp_mod3IyEEE10hipError_tT0_T1_T2_jT3_P12ihipStream_tbPNSt15iterator_traitsISJ_E10value_typeEPNSP_ISK_E10value_typeEPSL_NS1_7vsmem_tEENKUlT_SJ_SK_SL_E_clIPySE_SF_SF_EESI_SY_SJ_SK_SL_EUlSY_E1_NS1_11comp_targetILNS1_3genE4ELNS1_11target_archE910ELNS1_3gpuE8ELNS1_3repE0EEENS1_36merge_oddeven_config_static_selectorELNS0_4arch9wavefront6targetE0EEEvSK_.num_named_barrier, 0
	.set _ZN7rocprim17ROCPRIM_400000_NS6detail17trampoline_kernelINS0_14default_configENS1_38merge_sort_block_merge_config_selectorIyNS0_10empty_typeEEEZZNS1_27merge_sort_block_merge_implIS3_N6thrust23THRUST_200600_302600_NS6detail15normal_iteratorINS9_10device_ptrIyEEEEPS5_m9comp_mod3IyEEE10hipError_tT0_T1_T2_jT3_P12ihipStream_tbPNSt15iterator_traitsISJ_E10value_typeEPNSP_ISK_E10value_typeEPSL_NS1_7vsmem_tEENKUlT_SJ_SK_SL_E_clIPySE_SF_SF_EESI_SY_SJ_SK_SL_EUlSY_E1_NS1_11comp_targetILNS1_3genE4ELNS1_11target_archE910ELNS1_3gpuE8ELNS1_3repE0EEENS1_36merge_oddeven_config_static_selectorELNS0_4arch9wavefront6targetE0EEEvSK_.private_seg_size, 0
	.set _ZN7rocprim17ROCPRIM_400000_NS6detail17trampoline_kernelINS0_14default_configENS1_38merge_sort_block_merge_config_selectorIyNS0_10empty_typeEEEZZNS1_27merge_sort_block_merge_implIS3_N6thrust23THRUST_200600_302600_NS6detail15normal_iteratorINS9_10device_ptrIyEEEEPS5_m9comp_mod3IyEEE10hipError_tT0_T1_T2_jT3_P12ihipStream_tbPNSt15iterator_traitsISJ_E10value_typeEPNSP_ISK_E10value_typeEPSL_NS1_7vsmem_tEENKUlT_SJ_SK_SL_E_clIPySE_SF_SF_EESI_SY_SJ_SK_SL_EUlSY_E1_NS1_11comp_targetILNS1_3genE4ELNS1_11target_archE910ELNS1_3gpuE8ELNS1_3repE0EEENS1_36merge_oddeven_config_static_selectorELNS0_4arch9wavefront6targetE0EEEvSK_.uses_vcc, 0
	.set _ZN7rocprim17ROCPRIM_400000_NS6detail17trampoline_kernelINS0_14default_configENS1_38merge_sort_block_merge_config_selectorIyNS0_10empty_typeEEEZZNS1_27merge_sort_block_merge_implIS3_N6thrust23THRUST_200600_302600_NS6detail15normal_iteratorINS9_10device_ptrIyEEEEPS5_m9comp_mod3IyEEE10hipError_tT0_T1_T2_jT3_P12ihipStream_tbPNSt15iterator_traitsISJ_E10value_typeEPNSP_ISK_E10value_typeEPSL_NS1_7vsmem_tEENKUlT_SJ_SK_SL_E_clIPySE_SF_SF_EESI_SY_SJ_SK_SL_EUlSY_E1_NS1_11comp_targetILNS1_3genE4ELNS1_11target_archE910ELNS1_3gpuE8ELNS1_3repE0EEENS1_36merge_oddeven_config_static_selectorELNS0_4arch9wavefront6targetE0EEEvSK_.uses_flat_scratch, 0
	.set _ZN7rocprim17ROCPRIM_400000_NS6detail17trampoline_kernelINS0_14default_configENS1_38merge_sort_block_merge_config_selectorIyNS0_10empty_typeEEEZZNS1_27merge_sort_block_merge_implIS3_N6thrust23THRUST_200600_302600_NS6detail15normal_iteratorINS9_10device_ptrIyEEEEPS5_m9comp_mod3IyEEE10hipError_tT0_T1_T2_jT3_P12ihipStream_tbPNSt15iterator_traitsISJ_E10value_typeEPNSP_ISK_E10value_typeEPSL_NS1_7vsmem_tEENKUlT_SJ_SK_SL_E_clIPySE_SF_SF_EESI_SY_SJ_SK_SL_EUlSY_E1_NS1_11comp_targetILNS1_3genE4ELNS1_11target_archE910ELNS1_3gpuE8ELNS1_3repE0EEENS1_36merge_oddeven_config_static_selectorELNS0_4arch9wavefront6targetE0EEEvSK_.has_dyn_sized_stack, 0
	.set _ZN7rocprim17ROCPRIM_400000_NS6detail17trampoline_kernelINS0_14default_configENS1_38merge_sort_block_merge_config_selectorIyNS0_10empty_typeEEEZZNS1_27merge_sort_block_merge_implIS3_N6thrust23THRUST_200600_302600_NS6detail15normal_iteratorINS9_10device_ptrIyEEEEPS5_m9comp_mod3IyEEE10hipError_tT0_T1_T2_jT3_P12ihipStream_tbPNSt15iterator_traitsISJ_E10value_typeEPNSP_ISK_E10value_typeEPSL_NS1_7vsmem_tEENKUlT_SJ_SK_SL_E_clIPySE_SF_SF_EESI_SY_SJ_SK_SL_EUlSY_E1_NS1_11comp_targetILNS1_3genE4ELNS1_11target_archE910ELNS1_3gpuE8ELNS1_3repE0EEENS1_36merge_oddeven_config_static_selectorELNS0_4arch9wavefront6targetE0EEEvSK_.has_recursion, 0
	.set _ZN7rocprim17ROCPRIM_400000_NS6detail17trampoline_kernelINS0_14default_configENS1_38merge_sort_block_merge_config_selectorIyNS0_10empty_typeEEEZZNS1_27merge_sort_block_merge_implIS3_N6thrust23THRUST_200600_302600_NS6detail15normal_iteratorINS9_10device_ptrIyEEEEPS5_m9comp_mod3IyEEE10hipError_tT0_T1_T2_jT3_P12ihipStream_tbPNSt15iterator_traitsISJ_E10value_typeEPNSP_ISK_E10value_typeEPSL_NS1_7vsmem_tEENKUlT_SJ_SK_SL_E_clIPySE_SF_SF_EESI_SY_SJ_SK_SL_EUlSY_E1_NS1_11comp_targetILNS1_3genE4ELNS1_11target_archE910ELNS1_3gpuE8ELNS1_3repE0EEENS1_36merge_oddeven_config_static_selectorELNS0_4arch9wavefront6targetE0EEEvSK_.has_indirect_call, 0
	.section	.AMDGPU.csdata,"",@progbits
; Kernel info:
; codeLenInByte = 0
; TotalNumSgprs: 0
; NumVgprs: 0
; ScratchSize: 0
; MemoryBound: 0
; FloatMode: 240
; IeeeMode: 1
; LDSByteSize: 0 bytes/workgroup (compile time only)
; SGPRBlocks: 0
; VGPRBlocks: 0
; NumSGPRsForWavesPerEU: 1
; NumVGPRsForWavesPerEU: 1
; Occupancy: 16
; WaveLimiterHint : 0
; COMPUTE_PGM_RSRC2:SCRATCH_EN: 0
; COMPUTE_PGM_RSRC2:USER_SGPR: 6
; COMPUTE_PGM_RSRC2:TRAP_HANDLER: 0
; COMPUTE_PGM_RSRC2:TGID_X_EN: 1
; COMPUTE_PGM_RSRC2:TGID_Y_EN: 0
; COMPUTE_PGM_RSRC2:TGID_Z_EN: 0
; COMPUTE_PGM_RSRC2:TIDIG_COMP_CNT: 0
	.section	.text._ZN7rocprim17ROCPRIM_400000_NS6detail17trampoline_kernelINS0_14default_configENS1_38merge_sort_block_merge_config_selectorIyNS0_10empty_typeEEEZZNS1_27merge_sort_block_merge_implIS3_N6thrust23THRUST_200600_302600_NS6detail15normal_iteratorINS9_10device_ptrIyEEEEPS5_m9comp_mod3IyEEE10hipError_tT0_T1_T2_jT3_P12ihipStream_tbPNSt15iterator_traitsISJ_E10value_typeEPNSP_ISK_E10value_typeEPSL_NS1_7vsmem_tEENKUlT_SJ_SK_SL_E_clIPySE_SF_SF_EESI_SY_SJ_SK_SL_EUlSY_E1_NS1_11comp_targetILNS1_3genE3ELNS1_11target_archE908ELNS1_3gpuE7ELNS1_3repE0EEENS1_36merge_oddeven_config_static_selectorELNS0_4arch9wavefront6targetE0EEEvSK_,"axG",@progbits,_ZN7rocprim17ROCPRIM_400000_NS6detail17trampoline_kernelINS0_14default_configENS1_38merge_sort_block_merge_config_selectorIyNS0_10empty_typeEEEZZNS1_27merge_sort_block_merge_implIS3_N6thrust23THRUST_200600_302600_NS6detail15normal_iteratorINS9_10device_ptrIyEEEEPS5_m9comp_mod3IyEEE10hipError_tT0_T1_T2_jT3_P12ihipStream_tbPNSt15iterator_traitsISJ_E10value_typeEPNSP_ISK_E10value_typeEPSL_NS1_7vsmem_tEENKUlT_SJ_SK_SL_E_clIPySE_SF_SF_EESI_SY_SJ_SK_SL_EUlSY_E1_NS1_11comp_targetILNS1_3genE3ELNS1_11target_archE908ELNS1_3gpuE7ELNS1_3repE0EEENS1_36merge_oddeven_config_static_selectorELNS0_4arch9wavefront6targetE0EEEvSK_,comdat
	.protected	_ZN7rocprim17ROCPRIM_400000_NS6detail17trampoline_kernelINS0_14default_configENS1_38merge_sort_block_merge_config_selectorIyNS0_10empty_typeEEEZZNS1_27merge_sort_block_merge_implIS3_N6thrust23THRUST_200600_302600_NS6detail15normal_iteratorINS9_10device_ptrIyEEEEPS5_m9comp_mod3IyEEE10hipError_tT0_T1_T2_jT3_P12ihipStream_tbPNSt15iterator_traitsISJ_E10value_typeEPNSP_ISK_E10value_typeEPSL_NS1_7vsmem_tEENKUlT_SJ_SK_SL_E_clIPySE_SF_SF_EESI_SY_SJ_SK_SL_EUlSY_E1_NS1_11comp_targetILNS1_3genE3ELNS1_11target_archE908ELNS1_3gpuE7ELNS1_3repE0EEENS1_36merge_oddeven_config_static_selectorELNS0_4arch9wavefront6targetE0EEEvSK_ ; -- Begin function _ZN7rocprim17ROCPRIM_400000_NS6detail17trampoline_kernelINS0_14default_configENS1_38merge_sort_block_merge_config_selectorIyNS0_10empty_typeEEEZZNS1_27merge_sort_block_merge_implIS3_N6thrust23THRUST_200600_302600_NS6detail15normal_iteratorINS9_10device_ptrIyEEEEPS5_m9comp_mod3IyEEE10hipError_tT0_T1_T2_jT3_P12ihipStream_tbPNSt15iterator_traitsISJ_E10value_typeEPNSP_ISK_E10value_typeEPSL_NS1_7vsmem_tEENKUlT_SJ_SK_SL_E_clIPySE_SF_SF_EESI_SY_SJ_SK_SL_EUlSY_E1_NS1_11comp_targetILNS1_3genE3ELNS1_11target_archE908ELNS1_3gpuE7ELNS1_3repE0EEENS1_36merge_oddeven_config_static_selectorELNS0_4arch9wavefront6targetE0EEEvSK_
	.globl	_ZN7rocprim17ROCPRIM_400000_NS6detail17trampoline_kernelINS0_14default_configENS1_38merge_sort_block_merge_config_selectorIyNS0_10empty_typeEEEZZNS1_27merge_sort_block_merge_implIS3_N6thrust23THRUST_200600_302600_NS6detail15normal_iteratorINS9_10device_ptrIyEEEEPS5_m9comp_mod3IyEEE10hipError_tT0_T1_T2_jT3_P12ihipStream_tbPNSt15iterator_traitsISJ_E10value_typeEPNSP_ISK_E10value_typeEPSL_NS1_7vsmem_tEENKUlT_SJ_SK_SL_E_clIPySE_SF_SF_EESI_SY_SJ_SK_SL_EUlSY_E1_NS1_11comp_targetILNS1_3genE3ELNS1_11target_archE908ELNS1_3gpuE7ELNS1_3repE0EEENS1_36merge_oddeven_config_static_selectorELNS0_4arch9wavefront6targetE0EEEvSK_
	.p2align	8
	.type	_ZN7rocprim17ROCPRIM_400000_NS6detail17trampoline_kernelINS0_14default_configENS1_38merge_sort_block_merge_config_selectorIyNS0_10empty_typeEEEZZNS1_27merge_sort_block_merge_implIS3_N6thrust23THRUST_200600_302600_NS6detail15normal_iteratorINS9_10device_ptrIyEEEEPS5_m9comp_mod3IyEEE10hipError_tT0_T1_T2_jT3_P12ihipStream_tbPNSt15iterator_traitsISJ_E10value_typeEPNSP_ISK_E10value_typeEPSL_NS1_7vsmem_tEENKUlT_SJ_SK_SL_E_clIPySE_SF_SF_EESI_SY_SJ_SK_SL_EUlSY_E1_NS1_11comp_targetILNS1_3genE3ELNS1_11target_archE908ELNS1_3gpuE7ELNS1_3repE0EEENS1_36merge_oddeven_config_static_selectorELNS0_4arch9wavefront6targetE0EEEvSK_,@function
_ZN7rocprim17ROCPRIM_400000_NS6detail17trampoline_kernelINS0_14default_configENS1_38merge_sort_block_merge_config_selectorIyNS0_10empty_typeEEEZZNS1_27merge_sort_block_merge_implIS3_N6thrust23THRUST_200600_302600_NS6detail15normal_iteratorINS9_10device_ptrIyEEEEPS5_m9comp_mod3IyEEE10hipError_tT0_T1_T2_jT3_P12ihipStream_tbPNSt15iterator_traitsISJ_E10value_typeEPNSP_ISK_E10value_typeEPSL_NS1_7vsmem_tEENKUlT_SJ_SK_SL_E_clIPySE_SF_SF_EESI_SY_SJ_SK_SL_EUlSY_E1_NS1_11comp_targetILNS1_3genE3ELNS1_11target_archE908ELNS1_3gpuE7ELNS1_3repE0EEENS1_36merge_oddeven_config_static_selectorELNS0_4arch9wavefront6targetE0EEEvSK_: ; @_ZN7rocprim17ROCPRIM_400000_NS6detail17trampoline_kernelINS0_14default_configENS1_38merge_sort_block_merge_config_selectorIyNS0_10empty_typeEEEZZNS1_27merge_sort_block_merge_implIS3_N6thrust23THRUST_200600_302600_NS6detail15normal_iteratorINS9_10device_ptrIyEEEEPS5_m9comp_mod3IyEEE10hipError_tT0_T1_T2_jT3_P12ihipStream_tbPNSt15iterator_traitsISJ_E10value_typeEPNSP_ISK_E10value_typeEPSL_NS1_7vsmem_tEENKUlT_SJ_SK_SL_E_clIPySE_SF_SF_EESI_SY_SJ_SK_SL_EUlSY_E1_NS1_11comp_targetILNS1_3genE3ELNS1_11target_archE908ELNS1_3gpuE7ELNS1_3repE0EEENS1_36merge_oddeven_config_static_selectorELNS0_4arch9wavefront6targetE0EEEvSK_
; %bb.0:
	.section	.rodata,"a",@progbits
	.p2align	6, 0x0
	.amdhsa_kernel _ZN7rocprim17ROCPRIM_400000_NS6detail17trampoline_kernelINS0_14default_configENS1_38merge_sort_block_merge_config_selectorIyNS0_10empty_typeEEEZZNS1_27merge_sort_block_merge_implIS3_N6thrust23THRUST_200600_302600_NS6detail15normal_iteratorINS9_10device_ptrIyEEEEPS5_m9comp_mod3IyEEE10hipError_tT0_T1_T2_jT3_P12ihipStream_tbPNSt15iterator_traitsISJ_E10value_typeEPNSP_ISK_E10value_typeEPSL_NS1_7vsmem_tEENKUlT_SJ_SK_SL_E_clIPySE_SF_SF_EESI_SY_SJ_SK_SL_EUlSY_E1_NS1_11comp_targetILNS1_3genE3ELNS1_11target_archE908ELNS1_3gpuE7ELNS1_3repE0EEENS1_36merge_oddeven_config_static_selectorELNS0_4arch9wavefront6targetE0EEEvSK_
		.amdhsa_group_segment_fixed_size 0
		.amdhsa_private_segment_fixed_size 0
		.amdhsa_kernarg_size 56
		.amdhsa_user_sgpr_count 6
		.amdhsa_user_sgpr_private_segment_buffer 1
		.amdhsa_user_sgpr_dispatch_ptr 0
		.amdhsa_user_sgpr_queue_ptr 0
		.amdhsa_user_sgpr_kernarg_segment_ptr 1
		.amdhsa_user_sgpr_dispatch_id 0
		.amdhsa_user_sgpr_flat_scratch_init 0
		.amdhsa_user_sgpr_private_segment_size 0
		.amdhsa_wavefront_size32 1
		.amdhsa_uses_dynamic_stack 0
		.amdhsa_system_sgpr_private_segment_wavefront_offset 0
		.amdhsa_system_sgpr_workgroup_id_x 1
		.amdhsa_system_sgpr_workgroup_id_y 0
		.amdhsa_system_sgpr_workgroup_id_z 0
		.amdhsa_system_sgpr_workgroup_info 0
		.amdhsa_system_vgpr_workitem_id 0
		.amdhsa_next_free_vgpr 1
		.amdhsa_next_free_sgpr 1
		.amdhsa_reserve_vcc 0
		.amdhsa_reserve_flat_scratch 0
		.amdhsa_float_round_mode_32 0
		.amdhsa_float_round_mode_16_64 0
		.amdhsa_float_denorm_mode_32 3
		.amdhsa_float_denorm_mode_16_64 3
		.amdhsa_dx10_clamp 1
		.amdhsa_ieee_mode 1
		.amdhsa_fp16_overflow 0
		.amdhsa_workgroup_processor_mode 1
		.amdhsa_memory_ordered 1
		.amdhsa_forward_progress 1
		.amdhsa_shared_vgpr_count 0
		.amdhsa_exception_fp_ieee_invalid_op 0
		.amdhsa_exception_fp_denorm_src 0
		.amdhsa_exception_fp_ieee_div_zero 0
		.amdhsa_exception_fp_ieee_overflow 0
		.amdhsa_exception_fp_ieee_underflow 0
		.amdhsa_exception_fp_ieee_inexact 0
		.amdhsa_exception_int_div_zero 0
	.end_amdhsa_kernel
	.section	.text._ZN7rocprim17ROCPRIM_400000_NS6detail17trampoline_kernelINS0_14default_configENS1_38merge_sort_block_merge_config_selectorIyNS0_10empty_typeEEEZZNS1_27merge_sort_block_merge_implIS3_N6thrust23THRUST_200600_302600_NS6detail15normal_iteratorINS9_10device_ptrIyEEEEPS5_m9comp_mod3IyEEE10hipError_tT0_T1_T2_jT3_P12ihipStream_tbPNSt15iterator_traitsISJ_E10value_typeEPNSP_ISK_E10value_typeEPSL_NS1_7vsmem_tEENKUlT_SJ_SK_SL_E_clIPySE_SF_SF_EESI_SY_SJ_SK_SL_EUlSY_E1_NS1_11comp_targetILNS1_3genE3ELNS1_11target_archE908ELNS1_3gpuE7ELNS1_3repE0EEENS1_36merge_oddeven_config_static_selectorELNS0_4arch9wavefront6targetE0EEEvSK_,"axG",@progbits,_ZN7rocprim17ROCPRIM_400000_NS6detail17trampoline_kernelINS0_14default_configENS1_38merge_sort_block_merge_config_selectorIyNS0_10empty_typeEEEZZNS1_27merge_sort_block_merge_implIS3_N6thrust23THRUST_200600_302600_NS6detail15normal_iteratorINS9_10device_ptrIyEEEEPS5_m9comp_mod3IyEEE10hipError_tT0_T1_T2_jT3_P12ihipStream_tbPNSt15iterator_traitsISJ_E10value_typeEPNSP_ISK_E10value_typeEPSL_NS1_7vsmem_tEENKUlT_SJ_SK_SL_E_clIPySE_SF_SF_EESI_SY_SJ_SK_SL_EUlSY_E1_NS1_11comp_targetILNS1_3genE3ELNS1_11target_archE908ELNS1_3gpuE7ELNS1_3repE0EEENS1_36merge_oddeven_config_static_selectorELNS0_4arch9wavefront6targetE0EEEvSK_,comdat
.Lfunc_end779:
	.size	_ZN7rocprim17ROCPRIM_400000_NS6detail17trampoline_kernelINS0_14default_configENS1_38merge_sort_block_merge_config_selectorIyNS0_10empty_typeEEEZZNS1_27merge_sort_block_merge_implIS3_N6thrust23THRUST_200600_302600_NS6detail15normal_iteratorINS9_10device_ptrIyEEEEPS5_m9comp_mod3IyEEE10hipError_tT0_T1_T2_jT3_P12ihipStream_tbPNSt15iterator_traitsISJ_E10value_typeEPNSP_ISK_E10value_typeEPSL_NS1_7vsmem_tEENKUlT_SJ_SK_SL_E_clIPySE_SF_SF_EESI_SY_SJ_SK_SL_EUlSY_E1_NS1_11comp_targetILNS1_3genE3ELNS1_11target_archE908ELNS1_3gpuE7ELNS1_3repE0EEENS1_36merge_oddeven_config_static_selectorELNS0_4arch9wavefront6targetE0EEEvSK_, .Lfunc_end779-_ZN7rocprim17ROCPRIM_400000_NS6detail17trampoline_kernelINS0_14default_configENS1_38merge_sort_block_merge_config_selectorIyNS0_10empty_typeEEEZZNS1_27merge_sort_block_merge_implIS3_N6thrust23THRUST_200600_302600_NS6detail15normal_iteratorINS9_10device_ptrIyEEEEPS5_m9comp_mod3IyEEE10hipError_tT0_T1_T2_jT3_P12ihipStream_tbPNSt15iterator_traitsISJ_E10value_typeEPNSP_ISK_E10value_typeEPSL_NS1_7vsmem_tEENKUlT_SJ_SK_SL_E_clIPySE_SF_SF_EESI_SY_SJ_SK_SL_EUlSY_E1_NS1_11comp_targetILNS1_3genE3ELNS1_11target_archE908ELNS1_3gpuE7ELNS1_3repE0EEENS1_36merge_oddeven_config_static_selectorELNS0_4arch9wavefront6targetE0EEEvSK_
                                        ; -- End function
	.set _ZN7rocprim17ROCPRIM_400000_NS6detail17trampoline_kernelINS0_14default_configENS1_38merge_sort_block_merge_config_selectorIyNS0_10empty_typeEEEZZNS1_27merge_sort_block_merge_implIS3_N6thrust23THRUST_200600_302600_NS6detail15normal_iteratorINS9_10device_ptrIyEEEEPS5_m9comp_mod3IyEEE10hipError_tT0_T1_T2_jT3_P12ihipStream_tbPNSt15iterator_traitsISJ_E10value_typeEPNSP_ISK_E10value_typeEPSL_NS1_7vsmem_tEENKUlT_SJ_SK_SL_E_clIPySE_SF_SF_EESI_SY_SJ_SK_SL_EUlSY_E1_NS1_11comp_targetILNS1_3genE3ELNS1_11target_archE908ELNS1_3gpuE7ELNS1_3repE0EEENS1_36merge_oddeven_config_static_selectorELNS0_4arch9wavefront6targetE0EEEvSK_.num_vgpr, 0
	.set _ZN7rocprim17ROCPRIM_400000_NS6detail17trampoline_kernelINS0_14default_configENS1_38merge_sort_block_merge_config_selectorIyNS0_10empty_typeEEEZZNS1_27merge_sort_block_merge_implIS3_N6thrust23THRUST_200600_302600_NS6detail15normal_iteratorINS9_10device_ptrIyEEEEPS5_m9comp_mod3IyEEE10hipError_tT0_T1_T2_jT3_P12ihipStream_tbPNSt15iterator_traitsISJ_E10value_typeEPNSP_ISK_E10value_typeEPSL_NS1_7vsmem_tEENKUlT_SJ_SK_SL_E_clIPySE_SF_SF_EESI_SY_SJ_SK_SL_EUlSY_E1_NS1_11comp_targetILNS1_3genE3ELNS1_11target_archE908ELNS1_3gpuE7ELNS1_3repE0EEENS1_36merge_oddeven_config_static_selectorELNS0_4arch9wavefront6targetE0EEEvSK_.num_agpr, 0
	.set _ZN7rocprim17ROCPRIM_400000_NS6detail17trampoline_kernelINS0_14default_configENS1_38merge_sort_block_merge_config_selectorIyNS0_10empty_typeEEEZZNS1_27merge_sort_block_merge_implIS3_N6thrust23THRUST_200600_302600_NS6detail15normal_iteratorINS9_10device_ptrIyEEEEPS5_m9comp_mod3IyEEE10hipError_tT0_T1_T2_jT3_P12ihipStream_tbPNSt15iterator_traitsISJ_E10value_typeEPNSP_ISK_E10value_typeEPSL_NS1_7vsmem_tEENKUlT_SJ_SK_SL_E_clIPySE_SF_SF_EESI_SY_SJ_SK_SL_EUlSY_E1_NS1_11comp_targetILNS1_3genE3ELNS1_11target_archE908ELNS1_3gpuE7ELNS1_3repE0EEENS1_36merge_oddeven_config_static_selectorELNS0_4arch9wavefront6targetE0EEEvSK_.numbered_sgpr, 0
	.set _ZN7rocprim17ROCPRIM_400000_NS6detail17trampoline_kernelINS0_14default_configENS1_38merge_sort_block_merge_config_selectorIyNS0_10empty_typeEEEZZNS1_27merge_sort_block_merge_implIS3_N6thrust23THRUST_200600_302600_NS6detail15normal_iteratorINS9_10device_ptrIyEEEEPS5_m9comp_mod3IyEEE10hipError_tT0_T1_T2_jT3_P12ihipStream_tbPNSt15iterator_traitsISJ_E10value_typeEPNSP_ISK_E10value_typeEPSL_NS1_7vsmem_tEENKUlT_SJ_SK_SL_E_clIPySE_SF_SF_EESI_SY_SJ_SK_SL_EUlSY_E1_NS1_11comp_targetILNS1_3genE3ELNS1_11target_archE908ELNS1_3gpuE7ELNS1_3repE0EEENS1_36merge_oddeven_config_static_selectorELNS0_4arch9wavefront6targetE0EEEvSK_.num_named_barrier, 0
	.set _ZN7rocprim17ROCPRIM_400000_NS6detail17trampoline_kernelINS0_14default_configENS1_38merge_sort_block_merge_config_selectorIyNS0_10empty_typeEEEZZNS1_27merge_sort_block_merge_implIS3_N6thrust23THRUST_200600_302600_NS6detail15normal_iteratorINS9_10device_ptrIyEEEEPS5_m9comp_mod3IyEEE10hipError_tT0_T1_T2_jT3_P12ihipStream_tbPNSt15iterator_traitsISJ_E10value_typeEPNSP_ISK_E10value_typeEPSL_NS1_7vsmem_tEENKUlT_SJ_SK_SL_E_clIPySE_SF_SF_EESI_SY_SJ_SK_SL_EUlSY_E1_NS1_11comp_targetILNS1_3genE3ELNS1_11target_archE908ELNS1_3gpuE7ELNS1_3repE0EEENS1_36merge_oddeven_config_static_selectorELNS0_4arch9wavefront6targetE0EEEvSK_.private_seg_size, 0
	.set _ZN7rocprim17ROCPRIM_400000_NS6detail17trampoline_kernelINS0_14default_configENS1_38merge_sort_block_merge_config_selectorIyNS0_10empty_typeEEEZZNS1_27merge_sort_block_merge_implIS3_N6thrust23THRUST_200600_302600_NS6detail15normal_iteratorINS9_10device_ptrIyEEEEPS5_m9comp_mod3IyEEE10hipError_tT0_T1_T2_jT3_P12ihipStream_tbPNSt15iterator_traitsISJ_E10value_typeEPNSP_ISK_E10value_typeEPSL_NS1_7vsmem_tEENKUlT_SJ_SK_SL_E_clIPySE_SF_SF_EESI_SY_SJ_SK_SL_EUlSY_E1_NS1_11comp_targetILNS1_3genE3ELNS1_11target_archE908ELNS1_3gpuE7ELNS1_3repE0EEENS1_36merge_oddeven_config_static_selectorELNS0_4arch9wavefront6targetE0EEEvSK_.uses_vcc, 0
	.set _ZN7rocprim17ROCPRIM_400000_NS6detail17trampoline_kernelINS0_14default_configENS1_38merge_sort_block_merge_config_selectorIyNS0_10empty_typeEEEZZNS1_27merge_sort_block_merge_implIS3_N6thrust23THRUST_200600_302600_NS6detail15normal_iteratorINS9_10device_ptrIyEEEEPS5_m9comp_mod3IyEEE10hipError_tT0_T1_T2_jT3_P12ihipStream_tbPNSt15iterator_traitsISJ_E10value_typeEPNSP_ISK_E10value_typeEPSL_NS1_7vsmem_tEENKUlT_SJ_SK_SL_E_clIPySE_SF_SF_EESI_SY_SJ_SK_SL_EUlSY_E1_NS1_11comp_targetILNS1_3genE3ELNS1_11target_archE908ELNS1_3gpuE7ELNS1_3repE0EEENS1_36merge_oddeven_config_static_selectorELNS0_4arch9wavefront6targetE0EEEvSK_.uses_flat_scratch, 0
	.set _ZN7rocprim17ROCPRIM_400000_NS6detail17trampoline_kernelINS0_14default_configENS1_38merge_sort_block_merge_config_selectorIyNS0_10empty_typeEEEZZNS1_27merge_sort_block_merge_implIS3_N6thrust23THRUST_200600_302600_NS6detail15normal_iteratorINS9_10device_ptrIyEEEEPS5_m9comp_mod3IyEEE10hipError_tT0_T1_T2_jT3_P12ihipStream_tbPNSt15iterator_traitsISJ_E10value_typeEPNSP_ISK_E10value_typeEPSL_NS1_7vsmem_tEENKUlT_SJ_SK_SL_E_clIPySE_SF_SF_EESI_SY_SJ_SK_SL_EUlSY_E1_NS1_11comp_targetILNS1_3genE3ELNS1_11target_archE908ELNS1_3gpuE7ELNS1_3repE0EEENS1_36merge_oddeven_config_static_selectorELNS0_4arch9wavefront6targetE0EEEvSK_.has_dyn_sized_stack, 0
	.set _ZN7rocprim17ROCPRIM_400000_NS6detail17trampoline_kernelINS0_14default_configENS1_38merge_sort_block_merge_config_selectorIyNS0_10empty_typeEEEZZNS1_27merge_sort_block_merge_implIS3_N6thrust23THRUST_200600_302600_NS6detail15normal_iteratorINS9_10device_ptrIyEEEEPS5_m9comp_mod3IyEEE10hipError_tT0_T1_T2_jT3_P12ihipStream_tbPNSt15iterator_traitsISJ_E10value_typeEPNSP_ISK_E10value_typeEPSL_NS1_7vsmem_tEENKUlT_SJ_SK_SL_E_clIPySE_SF_SF_EESI_SY_SJ_SK_SL_EUlSY_E1_NS1_11comp_targetILNS1_3genE3ELNS1_11target_archE908ELNS1_3gpuE7ELNS1_3repE0EEENS1_36merge_oddeven_config_static_selectorELNS0_4arch9wavefront6targetE0EEEvSK_.has_recursion, 0
	.set _ZN7rocprim17ROCPRIM_400000_NS6detail17trampoline_kernelINS0_14default_configENS1_38merge_sort_block_merge_config_selectorIyNS0_10empty_typeEEEZZNS1_27merge_sort_block_merge_implIS3_N6thrust23THRUST_200600_302600_NS6detail15normal_iteratorINS9_10device_ptrIyEEEEPS5_m9comp_mod3IyEEE10hipError_tT0_T1_T2_jT3_P12ihipStream_tbPNSt15iterator_traitsISJ_E10value_typeEPNSP_ISK_E10value_typeEPSL_NS1_7vsmem_tEENKUlT_SJ_SK_SL_E_clIPySE_SF_SF_EESI_SY_SJ_SK_SL_EUlSY_E1_NS1_11comp_targetILNS1_3genE3ELNS1_11target_archE908ELNS1_3gpuE7ELNS1_3repE0EEENS1_36merge_oddeven_config_static_selectorELNS0_4arch9wavefront6targetE0EEEvSK_.has_indirect_call, 0
	.section	.AMDGPU.csdata,"",@progbits
; Kernel info:
; codeLenInByte = 0
; TotalNumSgprs: 0
; NumVgprs: 0
; ScratchSize: 0
; MemoryBound: 0
; FloatMode: 240
; IeeeMode: 1
; LDSByteSize: 0 bytes/workgroup (compile time only)
; SGPRBlocks: 0
; VGPRBlocks: 0
; NumSGPRsForWavesPerEU: 1
; NumVGPRsForWavesPerEU: 1
; Occupancy: 16
; WaveLimiterHint : 0
; COMPUTE_PGM_RSRC2:SCRATCH_EN: 0
; COMPUTE_PGM_RSRC2:USER_SGPR: 6
; COMPUTE_PGM_RSRC2:TRAP_HANDLER: 0
; COMPUTE_PGM_RSRC2:TGID_X_EN: 1
; COMPUTE_PGM_RSRC2:TGID_Y_EN: 0
; COMPUTE_PGM_RSRC2:TGID_Z_EN: 0
; COMPUTE_PGM_RSRC2:TIDIG_COMP_CNT: 0
	.section	.text._ZN7rocprim17ROCPRIM_400000_NS6detail17trampoline_kernelINS0_14default_configENS1_38merge_sort_block_merge_config_selectorIyNS0_10empty_typeEEEZZNS1_27merge_sort_block_merge_implIS3_N6thrust23THRUST_200600_302600_NS6detail15normal_iteratorINS9_10device_ptrIyEEEEPS5_m9comp_mod3IyEEE10hipError_tT0_T1_T2_jT3_P12ihipStream_tbPNSt15iterator_traitsISJ_E10value_typeEPNSP_ISK_E10value_typeEPSL_NS1_7vsmem_tEENKUlT_SJ_SK_SL_E_clIPySE_SF_SF_EESI_SY_SJ_SK_SL_EUlSY_E1_NS1_11comp_targetILNS1_3genE2ELNS1_11target_archE906ELNS1_3gpuE6ELNS1_3repE0EEENS1_36merge_oddeven_config_static_selectorELNS0_4arch9wavefront6targetE0EEEvSK_,"axG",@progbits,_ZN7rocprim17ROCPRIM_400000_NS6detail17trampoline_kernelINS0_14default_configENS1_38merge_sort_block_merge_config_selectorIyNS0_10empty_typeEEEZZNS1_27merge_sort_block_merge_implIS3_N6thrust23THRUST_200600_302600_NS6detail15normal_iteratorINS9_10device_ptrIyEEEEPS5_m9comp_mod3IyEEE10hipError_tT0_T1_T2_jT3_P12ihipStream_tbPNSt15iterator_traitsISJ_E10value_typeEPNSP_ISK_E10value_typeEPSL_NS1_7vsmem_tEENKUlT_SJ_SK_SL_E_clIPySE_SF_SF_EESI_SY_SJ_SK_SL_EUlSY_E1_NS1_11comp_targetILNS1_3genE2ELNS1_11target_archE906ELNS1_3gpuE6ELNS1_3repE0EEENS1_36merge_oddeven_config_static_selectorELNS0_4arch9wavefront6targetE0EEEvSK_,comdat
	.protected	_ZN7rocprim17ROCPRIM_400000_NS6detail17trampoline_kernelINS0_14default_configENS1_38merge_sort_block_merge_config_selectorIyNS0_10empty_typeEEEZZNS1_27merge_sort_block_merge_implIS3_N6thrust23THRUST_200600_302600_NS6detail15normal_iteratorINS9_10device_ptrIyEEEEPS5_m9comp_mod3IyEEE10hipError_tT0_T1_T2_jT3_P12ihipStream_tbPNSt15iterator_traitsISJ_E10value_typeEPNSP_ISK_E10value_typeEPSL_NS1_7vsmem_tEENKUlT_SJ_SK_SL_E_clIPySE_SF_SF_EESI_SY_SJ_SK_SL_EUlSY_E1_NS1_11comp_targetILNS1_3genE2ELNS1_11target_archE906ELNS1_3gpuE6ELNS1_3repE0EEENS1_36merge_oddeven_config_static_selectorELNS0_4arch9wavefront6targetE0EEEvSK_ ; -- Begin function _ZN7rocprim17ROCPRIM_400000_NS6detail17trampoline_kernelINS0_14default_configENS1_38merge_sort_block_merge_config_selectorIyNS0_10empty_typeEEEZZNS1_27merge_sort_block_merge_implIS3_N6thrust23THRUST_200600_302600_NS6detail15normal_iteratorINS9_10device_ptrIyEEEEPS5_m9comp_mod3IyEEE10hipError_tT0_T1_T2_jT3_P12ihipStream_tbPNSt15iterator_traitsISJ_E10value_typeEPNSP_ISK_E10value_typeEPSL_NS1_7vsmem_tEENKUlT_SJ_SK_SL_E_clIPySE_SF_SF_EESI_SY_SJ_SK_SL_EUlSY_E1_NS1_11comp_targetILNS1_3genE2ELNS1_11target_archE906ELNS1_3gpuE6ELNS1_3repE0EEENS1_36merge_oddeven_config_static_selectorELNS0_4arch9wavefront6targetE0EEEvSK_
	.globl	_ZN7rocprim17ROCPRIM_400000_NS6detail17trampoline_kernelINS0_14default_configENS1_38merge_sort_block_merge_config_selectorIyNS0_10empty_typeEEEZZNS1_27merge_sort_block_merge_implIS3_N6thrust23THRUST_200600_302600_NS6detail15normal_iteratorINS9_10device_ptrIyEEEEPS5_m9comp_mod3IyEEE10hipError_tT0_T1_T2_jT3_P12ihipStream_tbPNSt15iterator_traitsISJ_E10value_typeEPNSP_ISK_E10value_typeEPSL_NS1_7vsmem_tEENKUlT_SJ_SK_SL_E_clIPySE_SF_SF_EESI_SY_SJ_SK_SL_EUlSY_E1_NS1_11comp_targetILNS1_3genE2ELNS1_11target_archE906ELNS1_3gpuE6ELNS1_3repE0EEENS1_36merge_oddeven_config_static_selectorELNS0_4arch9wavefront6targetE0EEEvSK_
	.p2align	8
	.type	_ZN7rocprim17ROCPRIM_400000_NS6detail17trampoline_kernelINS0_14default_configENS1_38merge_sort_block_merge_config_selectorIyNS0_10empty_typeEEEZZNS1_27merge_sort_block_merge_implIS3_N6thrust23THRUST_200600_302600_NS6detail15normal_iteratorINS9_10device_ptrIyEEEEPS5_m9comp_mod3IyEEE10hipError_tT0_T1_T2_jT3_P12ihipStream_tbPNSt15iterator_traitsISJ_E10value_typeEPNSP_ISK_E10value_typeEPSL_NS1_7vsmem_tEENKUlT_SJ_SK_SL_E_clIPySE_SF_SF_EESI_SY_SJ_SK_SL_EUlSY_E1_NS1_11comp_targetILNS1_3genE2ELNS1_11target_archE906ELNS1_3gpuE6ELNS1_3repE0EEENS1_36merge_oddeven_config_static_selectorELNS0_4arch9wavefront6targetE0EEEvSK_,@function
_ZN7rocprim17ROCPRIM_400000_NS6detail17trampoline_kernelINS0_14default_configENS1_38merge_sort_block_merge_config_selectorIyNS0_10empty_typeEEEZZNS1_27merge_sort_block_merge_implIS3_N6thrust23THRUST_200600_302600_NS6detail15normal_iteratorINS9_10device_ptrIyEEEEPS5_m9comp_mod3IyEEE10hipError_tT0_T1_T2_jT3_P12ihipStream_tbPNSt15iterator_traitsISJ_E10value_typeEPNSP_ISK_E10value_typeEPSL_NS1_7vsmem_tEENKUlT_SJ_SK_SL_E_clIPySE_SF_SF_EESI_SY_SJ_SK_SL_EUlSY_E1_NS1_11comp_targetILNS1_3genE2ELNS1_11target_archE906ELNS1_3gpuE6ELNS1_3repE0EEENS1_36merge_oddeven_config_static_selectorELNS0_4arch9wavefront6targetE0EEEvSK_: ; @_ZN7rocprim17ROCPRIM_400000_NS6detail17trampoline_kernelINS0_14default_configENS1_38merge_sort_block_merge_config_selectorIyNS0_10empty_typeEEEZZNS1_27merge_sort_block_merge_implIS3_N6thrust23THRUST_200600_302600_NS6detail15normal_iteratorINS9_10device_ptrIyEEEEPS5_m9comp_mod3IyEEE10hipError_tT0_T1_T2_jT3_P12ihipStream_tbPNSt15iterator_traitsISJ_E10value_typeEPNSP_ISK_E10value_typeEPSL_NS1_7vsmem_tEENKUlT_SJ_SK_SL_E_clIPySE_SF_SF_EESI_SY_SJ_SK_SL_EUlSY_E1_NS1_11comp_targetILNS1_3genE2ELNS1_11target_archE906ELNS1_3gpuE6ELNS1_3repE0EEENS1_36merge_oddeven_config_static_selectorELNS0_4arch9wavefront6targetE0EEEvSK_
; %bb.0:
	.section	.rodata,"a",@progbits
	.p2align	6, 0x0
	.amdhsa_kernel _ZN7rocprim17ROCPRIM_400000_NS6detail17trampoline_kernelINS0_14default_configENS1_38merge_sort_block_merge_config_selectorIyNS0_10empty_typeEEEZZNS1_27merge_sort_block_merge_implIS3_N6thrust23THRUST_200600_302600_NS6detail15normal_iteratorINS9_10device_ptrIyEEEEPS5_m9comp_mod3IyEEE10hipError_tT0_T1_T2_jT3_P12ihipStream_tbPNSt15iterator_traitsISJ_E10value_typeEPNSP_ISK_E10value_typeEPSL_NS1_7vsmem_tEENKUlT_SJ_SK_SL_E_clIPySE_SF_SF_EESI_SY_SJ_SK_SL_EUlSY_E1_NS1_11comp_targetILNS1_3genE2ELNS1_11target_archE906ELNS1_3gpuE6ELNS1_3repE0EEENS1_36merge_oddeven_config_static_selectorELNS0_4arch9wavefront6targetE0EEEvSK_
		.amdhsa_group_segment_fixed_size 0
		.amdhsa_private_segment_fixed_size 0
		.amdhsa_kernarg_size 56
		.amdhsa_user_sgpr_count 6
		.amdhsa_user_sgpr_private_segment_buffer 1
		.amdhsa_user_sgpr_dispatch_ptr 0
		.amdhsa_user_sgpr_queue_ptr 0
		.amdhsa_user_sgpr_kernarg_segment_ptr 1
		.amdhsa_user_sgpr_dispatch_id 0
		.amdhsa_user_sgpr_flat_scratch_init 0
		.amdhsa_user_sgpr_private_segment_size 0
		.amdhsa_wavefront_size32 1
		.amdhsa_uses_dynamic_stack 0
		.amdhsa_system_sgpr_private_segment_wavefront_offset 0
		.amdhsa_system_sgpr_workgroup_id_x 1
		.amdhsa_system_sgpr_workgroup_id_y 0
		.amdhsa_system_sgpr_workgroup_id_z 0
		.amdhsa_system_sgpr_workgroup_info 0
		.amdhsa_system_vgpr_workitem_id 0
		.amdhsa_next_free_vgpr 1
		.amdhsa_next_free_sgpr 1
		.amdhsa_reserve_vcc 0
		.amdhsa_reserve_flat_scratch 0
		.amdhsa_float_round_mode_32 0
		.amdhsa_float_round_mode_16_64 0
		.amdhsa_float_denorm_mode_32 3
		.amdhsa_float_denorm_mode_16_64 3
		.amdhsa_dx10_clamp 1
		.amdhsa_ieee_mode 1
		.amdhsa_fp16_overflow 0
		.amdhsa_workgroup_processor_mode 1
		.amdhsa_memory_ordered 1
		.amdhsa_forward_progress 1
		.amdhsa_shared_vgpr_count 0
		.amdhsa_exception_fp_ieee_invalid_op 0
		.amdhsa_exception_fp_denorm_src 0
		.amdhsa_exception_fp_ieee_div_zero 0
		.amdhsa_exception_fp_ieee_overflow 0
		.amdhsa_exception_fp_ieee_underflow 0
		.amdhsa_exception_fp_ieee_inexact 0
		.amdhsa_exception_int_div_zero 0
	.end_amdhsa_kernel
	.section	.text._ZN7rocprim17ROCPRIM_400000_NS6detail17trampoline_kernelINS0_14default_configENS1_38merge_sort_block_merge_config_selectorIyNS0_10empty_typeEEEZZNS1_27merge_sort_block_merge_implIS3_N6thrust23THRUST_200600_302600_NS6detail15normal_iteratorINS9_10device_ptrIyEEEEPS5_m9comp_mod3IyEEE10hipError_tT0_T1_T2_jT3_P12ihipStream_tbPNSt15iterator_traitsISJ_E10value_typeEPNSP_ISK_E10value_typeEPSL_NS1_7vsmem_tEENKUlT_SJ_SK_SL_E_clIPySE_SF_SF_EESI_SY_SJ_SK_SL_EUlSY_E1_NS1_11comp_targetILNS1_3genE2ELNS1_11target_archE906ELNS1_3gpuE6ELNS1_3repE0EEENS1_36merge_oddeven_config_static_selectorELNS0_4arch9wavefront6targetE0EEEvSK_,"axG",@progbits,_ZN7rocprim17ROCPRIM_400000_NS6detail17trampoline_kernelINS0_14default_configENS1_38merge_sort_block_merge_config_selectorIyNS0_10empty_typeEEEZZNS1_27merge_sort_block_merge_implIS3_N6thrust23THRUST_200600_302600_NS6detail15normal_iteratorINS9_10device_ptrIyEEEEPS5_m9comp_mod3IyEEE10hipError_tT0_T1_T2_jT3_P12ihipStream_tbPNSt15iterator_traitsISJ_E10value_typeEPNSP_ISK_E10value_typeEPSL_NS1_7vsmem_tEENKUlT_SJ_SK_SL_E_clIPySE_SF_SF_EESI_SY_SJ_SK_SL_EUlSY_E1_NS1_11comp_targetILNS1_3genE2ELNS1_11target_archE906ELNS1_3gpuE6ELNS1_3repE0EEENS1_36merge_oddeven_config_static_selectorELNS0_4arch9wavefront6targetE0EEEvSK_,comdat
.Lfunc_end780:
	.size	_ZN7rocprim17ROCPRIM_400000_NS6detail17trampoline_kernelINS0_14default_configENS1_38merge_sort_block_merge_config_selectorIyNS0_10empty_typeEEEZZNS1_27merge_sort_block_merge_implIS3_N6thrust23THRUST_200600_302600_NS6detail15normal_iteratorINS9_10device_ptrIyEEEEPS5_m9comp_mod3IyEEE10hipError_tT0_T1_T2_jT3_P12ihipStream_tbPNSt15iterator_traitsISJ_E10value_typeEPNSP_ISK_E10value_typeEPSL_NS1_7vsmem_tEENKUlT_SJ_SK_SL_E_clIPySE_SF_SF_EESI_SY_SJ_SK_SL_EUlSY_E1_NS1_11comp_targetILNS1_3genE2ELNS1_11target_archE906ELNS1_3gpuE6ELNS1_3repE0EEENS1_36merge_oddeven_config_static_selectorELNS0_4arch9wavefront6targetE0EEEvSK_, .Lfunc_end780-_ZN7rocprim17ROCPRIM_400000_NS6detail17trampoline_kernelINS0_14default_configENS1_38merge_sort_block_merge_config_selectorIyNS0_10empty_typeEEEZZNS1_27merge_sort_block_merge_implIS3_N6thrust23THRUST_200600_302600_NS6detail15normal_iteratorINS9_10device_ptrIyEEEEPS5_m9comp_mod3IyEEE10hipError_tT0_T1_T2_jT3_P12ihipStream_tbPNSt15iterator_traitsISJ_E10value_typeEPNSP_ISK_E10value_typeEPSL_NS1_7vsmem_tEENKUlT_SJ_SK_SL_E_clIPySE_SF_SF_EESI_SY_SJ_SK_SL_EUlSY_E1_NS1_11comp_targetILNS1_3genE2ELNS1_11target_archE906ELNS1_3gpuE6ELNS1_3repE0EEENS1_36merge_oddeven_config_static_selectorELNS0_4arch9wavefront6targetE0EEEvSK_
                                        ; -- End function
	.set _ZN7rocprim17ROCPRIM_400000_NS6detail17trampoline_kernelINS0_14default_configENS1_38merge_sort_block_merge_config_selectorIyNS0_10empty_typeEEEZZNS1_27merge_sort_block_merge_implIS3_N6thrust23THRUST_200600_302600_NS6detail15normal_iteratorINS9_10device_ptrIyEEEEPS5_m9comp_mod3IyEEE10hipError_tT0_T1_T2_jT3_P12ihipStream_tbPNSt15iterator_traitsISJ_E10value_typeEPNSP_ISK_E10value_typeEPSL_NS1_7vsmem_tEENKUlT_SJ_SK_SL_E_clIPySE_SF_SF_EESI_SY_SJ_SK_SL_EUlSY_E1_NS1_11comp_targetILNS1_3genE2ELNS1_11target_archE906ELNS1_3gpuE6ELNS1_3repE0EEENS1_36merge_oddeven_config_static_selectorELNS0_4arch9wavefront6targetE0EEEvSK_.num_vgpr, 0
	.set _ZN7rocprim17ROCPRIM_400000_NS6detail17trampoline_kernelINS0_14default_configENS1_38merge_sort_block_merge_config_selectorIyNS0_10empty_typeEEEZZNS1_27merge_sort_block_merge_implIS3_N6thrust23THRUST_200600_302600_NS6detail15normal_iteratorINS9_10device_ptrIyEEEEPS5_m9comp_mod3IyEEE10hipError_tT0_T1_T2_jT3_P12ihipStream_tbPNSt15iterator_traitsISJ_E10value_typeEPNSP_ISK_E10value_typeEPSL_NS1_7vsmem_tEENKUlT_SJ_SK_SL_E_clIPySE_SF_SF_EESI_SY_SJ_SK_SL_EUlSY_E1_NS1_11comp_targetILNS1_3genE2ELNS1_11target_archE906ELNS1_3gpuE6ELNS1_3repE0EEENS1_36merge_oddeven_config_static_selectorELNS0_4arch9wavefront6targetE0EEEvSK_.num_agpr, 0
	.set _ZN7rocprim17ROCPRIM_400000_NS6detail17trampoline_kernelINS0_14default_configENS1_38merge_sort_block_merge_config_selectorIyNS0_10empty_typeEEEZZNS1_27merge_sort_block_merge_implIS3_N6thrust23THRUST_200600_302600_NS6detail15normal_iteratorINS9_10device_ptrIyEEEEPS5_m9comp_mod3IyEEE10hipError_tT0_T1_T2_jT3_P12ihipStream_tbPNSt15iterator_traitsISJ_E10value_typeEPNSP_ISK_E10value_typeEPSL_NS1_7vsmem_tEENKUlT_SJ_SK_SL_E_clIPySE_SF_SF_EESI_SY_SJ_SK_SL_EUlSY_E1_NS1_11comp_targetILNS1_3genE2ELNS1_11target_archE906ELNS1_3gpuE6ELNS1_3repE0EEENS1_36merge_oddeven_config_static_selectorELNS0_4arch9wavefront6targetE0EEEvSK_.numbered_sgpr, 0
	.set _ZN7rocprim17ROCPRIM_400000_NS6detail17trampoline_kernelINS0_14default_configENS1_38merge_sort_block_merge_config_selectorIyNS0_10empty_typeEEEZZNS1_27merge_sort_block_merge_implIS3_N6thrust23THRUST_200600_302600_NS6detail15normal_iteratorINS9_10device_ptrIyEEEEPS5_m9comp_mod3IyEEE10hipError_tT0_T1_T2_jT3_P12ihipStream_tbPNSt15iterator_traitsISJ_E10value_typeEPNSP_ISK_E10value_typeEPSL_NS1_7vsmem_tEENKUlT_SJ_SK_SL_E_clIPySE_SF_SF_EESI_SY_SJ_SK_SL_EUlSY_E1_NS1_11comp_targetILNS1_3genE2ELNS1_11target_archE906ELNS1_3gpuE6ELNS1_3repE0EEENS1_36merge_oddeven_config_static_selectorELNS0_4arch9wavefront6targetE0EEEvSK_.num_named_barrier, 0
	.set _ZN7rocprim17ROCPRIM_400000_NS6detail17trampoline_kernelINS0_14default_configENS1_38merge_sort_block_merge_config_selectorIyNS0_10empty_typeEEEZZNS1_27merge_sort_block_merge_implIS3_N6thrust23THRUST_200600_302600_NS6detail15normal_iteratorINS9_10device_ptrIyEEEEPS5_m9comp_mod3IyEEE10hipError_tT0_T1_T2_jT3_P12ihipStream_tbPNSt15iterator_traitsISJ_E10value_typeEPNSP_ISK_E10value_typeEPSL_NS1_7vsmem_tEENKUlT_SJ_SK_SL_E_clIPySE_SF_SF_EESI_SY_SJ_SK_SL_EUlSY_E1_NS1_11comp_targetILNS1_3genE2ELNS1_11target_archE906ELNS1_3gpuE6ELNS1_3repE0EEENS1_36merge_oddeven_config_static_selectorELNS0_4arch9wavefront6targetE0EEEvSK_.private_seg_size, 0
	.set _ZN7rocprim17ROCPRIM_400000_NS6detail17trampoline_kernelINS0_14default_configENS1_38merge_sort_block_merge_config_selectorIyNS0_10empty_typeEEEZZNS1_27merge_sort_block_merge_implIS3_N6thrust23THRUST_200600_302600_NS6detail15normal_iteratorINS9_10device_ptrIyEEEEPS5_m9comp_mod3IyEEE10hipError_tT0_T1_T2_jT3_P12ihipStream_tbPNSt15iterator_traitsISJ_E10value_typeEPNSP_ISK_E10value_typeEPSL_NS1_7vsmem_tEENKUlT_SJ_SK_SL_E_clIPySE_SF_SF_EESI_SY_SJ_SK_SL_EUlSY_E1_NS1_11comp_targetILNS1_3genE2ELNS1_11target_archE906ELNS1_3gpuE6ELNS1_3repE0EEENS1_36merge_oddeven_config_static_selectorELNS0_4arch9wavefront6targetE0EEEvSK_.uses_vcc, 0
	.set _ZN7rocprim17ROCPRIM_400000_NS6detail17trampoline_kernelINS0_14default_configENS1_38merge_sort_block_merge_config_selectorIyNS0_10empty_typeEEEZZNS1_27merge_sort_block_merge_implIS3_N6thrust23THRUST_200600_302600_NS6detail15normal_iteratorINS9_10device_ptrIyEEEEPS5_m9comp_mod3IyEEE10hipError_tT0_T1_T2_jT3_P12ihipStream_tbPNSt15iterator_traitsISJ_E10value_typeEPNSP_ISK_E10value_typeEPSL_NS1_7vsmem_tEENKUlT_SJ_SK_SL_E_clIPySE_SF_SF_EESI_SY_SJ_SK_SL_EUlSY_E1_NS1_11comp_targetILNS1_3genE2ELNS1_11target_archE906ELNS1_3gpuE6ELNS1_3repE0EEENS1_36merge_oddeven_config_static_selectorELNS0_4arch9wavefront6targetE0EEEvSK_.uses_flat_scratch, 0
	.set _ZN7rocprim17ROCPRIM_400000_NS6detail17trampoline_kernelINS0_14default_configENS1_38merge_sort_block_merge_config_selectorIyNS0_10empty_typeEEEZZNS1_27merge_sort_block_merge_implIS3_N6thrust23THRUST_200600_302600_NS6detail15normal_iteratorINS9_10device_ptrIyEEEEPS5_m9comp_mod3IyEEE10hipError_tT0_T1_T2_jT3_P12ihipStream_tbPNSt15iterator_traitsISJ_E10value_typeEPNSP_ISK_E10value_typeEPSL_NS1_7vsmem_tEENKUlT_SJ_SK_SL_E_clIPySE_SF_SF_EESI_SY_SJ_SK_SL_EUlSY_E1_NS1_11comp_targetILNS1_3genE2ELNS1_11target_archE906ELNS1_3gpuE6ELNS1_3repE0EEENS1_36merge_oddeven_config_static_selectorELNS0_4arch9wavefront6targetE0EEEvSK_.has_dyn_sized_stack, 0
	.set _ZN7rocprim17ROCPRIM_400000_NS6detail17trampoline_kernelINS0_14default_configENS1_38merge_sort_block_merge_config_selectorIyNS0_10empty_typeEEEZZNS1_27merge_sort_block_merge_implIS3_N6thrust23THRUST_200600_302600_NS6detail15normal_iteratorINS9_10device_ptrIyEEEEPS5_m9comp_mod3IyEEE10hipError_tT0_T1_T2_jT3_P12ihipStream_tbPNSt15iterator_traitsISJ_E10value_typeEPNSP_ISK_E10value_typeEPSL_NS1_7vsmem_tEENKUlT_SJ_SK_SL_E_clIPySE_SF_SF_EESI_SY_SJ_SK_SL_EUlSY_E1_NS1_11comp_targetILNS1_3genE2ELNS1_11target_archE906ELNS1_3gpuE6ELNS1_3repE0EEENS1_36merge_oddeven_config_static_selectorELNS0_4arch9wavefront6targetE0EEEvSK_.has_recursion, 0
	.set _ZN7rocprim17ROCPRIM_400000_NS6detail17trampoline_kernelINS0_14default_configENS1_38merge_sort_block_merge_config_selectorIyNS0_10empty_typeEEEZZNS1_27merge_sort_block_merge_implIS3_N6thrust23THRUST_200600_302600_NS6detail15normal_iteratorINS9_10device_ptrIyEEEEPS5_m9comp_mod3IyEEE10hipError_tT0_T1_T2_jT3_P12ihipStream_tbPNSt15iterator_traitsISJ_E10value_typeEPNSP_ISK_E10value_typeEPSL_NS1_7vsmem_tEENKUlT_SJ_SK_SL_E_clIPySE_SF_SF_EESI_SY_SJ_SK_SL_EUlSY_E1_NS1_11comp_targetILNS1_3genE2ELNS1_11target_archE906ELNS1_3gpuE6ELNS1_3repE0EEENS1_36merge_oddeven_config_static_selectorELNS0_4arch9wavefront6targetE0EEEvSK_.has_indirect_call, 0
	.section	.AMDGPU.csdata,"",@progbits
; Kernel info:
; codeLenInByte = 0
; TotalNumSgprs: 0
; NumVgprs: 0
; ScratchSize: 0
; MemoryBound: 0
; FloatMode: 240
; IeeeMode: 1
; LDSByteSize: 0 bytes/workgroup (compile time only)
; SGPRBlocks: 0
; VGPRBlocks: 0
; NumSGPRsForWavesPerEU: 1
; NumVGPRsForWavesPerEU: 1
; Occupancy: 16
; WaveLimiterHint : 0
; COMPUTE_PGM_RSRC2:SCRATCH_EN: 0
; COMPUTE_PGM_RSRC2:USER_SGPR: 6
; COMPUTE_PGM_RSRC2:TRAP_HANDLER: 0
; COMPUTE_PGM_RSRC2:TGID_X_EN: 1
; COMPUTE_PGM_RSRC2:TGID_Y_EN: 0
; COMPUTE_PGM_RSRC2:TGID_Z_EN: 0
; COMPUTE_PGM_RSRC2:TIDIG_COMP_CNT: 0
	.section	.text._ZN7rocprim17ROCPRIM_400000_NS6detail17trampoline_kernelINS0_14default_configENS1_38merge_sort_block_merge_config_selectorIyNS0_10empty_typeEEEZZNS1_27merge_sort_block_merge_implIS3_N6thrust23THRUST_200600_302600_NS6detail15normal_iteratorINS9_10device_ptrIyEEEEPS5_m9comp_mod3IyEEE10hipError_tT0_T1_T2_jT3_P12ihipStream_tbPNSt15iterator_traitsISJ_E10value_typeEPNSP_ISK_E10value_typeEPSL_NS1_7vsmem_tEENKUlT_SJ_SK_SL_E_clIPySE_SF_SF_EESI_SY_SJ_SK_SL_EUlSY_E1_NS1_11comp_targetILNS1_3genE9ELNS1_11target_archE1100ELNS1_3gpuE3ELNS1_3repE0EEENS1_36merge_oddeven_config_static_selectorELNS0_4arch9wavefront6targetE0EEEvSK_,"axG",@progbits,_ZN7rocprim17ROCPRIM_400000_NS6detail17trampoline_kernelINS0_14default_configENS1_38merge_sort_block_merge_config_selectorIyNS0_10empty_typeEEEZZNS1_27merge_sort_block_merge_implIS3_N6thrust23THRUST_200600_302600_NS6detail15normal_iteratorINS9_10device_ptrIyEEEEPS5_m9comp_mod3IyEEE10hipError_tT0_T1_T2_jT3_P12ihipStream_tbPNSt15iterator_traitsISJ_E10value_typeEPNSP_ISK_E10value_typeEPSL_NS1_7vsmem_tEENKUlT_SJ_SK_SL_E_clIPySE_SF_SF_EESI_SY_SJ_SK_SL_EUlSY_E1_NS1_11comp_targetILNS1_3genE9ELNS1_11target_archE1100ELNS1_3gpuE3ELNS1_3repE0EEENS1_36merge_oddeven_config_static_selectorELNS0_4arch9wavefront6targetE0EEEvSK_,comdat
	.protected	_ZN7rocprim17ROCPRIM_400000_NS6detail17trampoline_kernelINS0_14default_configENS1_38merge_sort_block_merge_config_selectorIyNS0_10empty_typeEEEZZNS1_27merge_sort_block_merge_implIS3_N6thrust23THRUST_200600_302600_NS6detail15normal_iteratorINS9_10device_ptrIyEEEEPS5_m9comp_mod3IyEEE10hipError_tT0_T1_T2_jT3_P12ihipStream_tbPNSt15iterator_traitsISJ_E10value_typeEPNSP_ISK_E10value_typeEPSL_NS1_7vsmem_tEENKUlT_SJ_SK_SL_E_clIPySE_SF_SF_EESI_SY_SJ_SK_SL_EUlSY_E1_NS1_11comp_targetILNS1_3genE9ELNS1_11target_archE1100ELNS1_3gpuE3ELNS1_3repE0EEENS1_36merge_oddeven_config_static_selectorELNS0_4arch9wavefront6targetE0EEEvSK_ ; -- Begin function _ZN7rocprim17ROCPRIM_400000_NS6detail17trampoline_kernelINS0_14default_configENS1_38merge_sort_block_merge_config_selectorIyNS0_10empty_typeEEEZZNS1_27merge_sort_block_merge_implIS3_N6thrust23THRUST_200600_302600_NS6detail15normal_iteratorINS9_10device_ptrIyEEEEPS5_m9comp_mod3IyEEE10hipError_tT0_T1_T2_jT3_P12ihipStream_tbPNSt15iterator_traitsISJ_E10value_typeEPNSP_ISK_E10value_typeEPSL_NS1_7vsmem_tEENKUlT_SJ_SK_SL_E_clIPySE_SF_SF_EESI_SY_SJ_SK_SL_EUlSY_E1_NS1_11comp_targetILNS1_3genE9ELNS1_11target_archE1100ELNS1_3gpuE3ELNS1_3repE0EEENS1_36merge_oddeven_config_static_selectorELNS0_4arch9wavefront6targetE0EEEvSK_
	.globl	_ZN7rocprim17ROCPRIM_400000_NS6detail17trampoline_kernelINS0_14default_configENS1_38merge_sort_block_merge_config_selectorIyNS0_10empty_typeEEEZZNS1_27merge_sort_block_merge_implIS3_N6thrust23THRUST_200600_302600_NS6detail15normal_iteratorINS9_10device_ptrIyEEEEPS5_m9comp_mod3IyEEE10hipError_tT0_T1_T2_jT3_P12ihipStream_tbPNSt15iterator_traitsISJ_E10value_typeEPNSP_ISK_E10value_typeEPSL_NS1_7vsmem_tEENKUlT_SJ_SK_SL_E_clIPySE_SF_SF_EESI_SY_SJ_SK_SL_EUlSY_E1_NS1_11comp_targetILNS1_3genE9ELNS1_11target_archE1100ELNS1_3gpuE3ELNS1_3repE0EEENS1_36merge_oddeven_config_static_selectorELNS0_4arch9wavefront6targetE0EEEvSK_
	.p2align	8
	.type	_ZN7rocprim17ROCPRIM_400000_NS6detail17trampoline_kernelINS0_14default_configENS1_38merge_sort_block_merge_config_selectorIyNS0_10empty_typeEEEZZNS1_27merge_sort_block_merge_implIS3_N6thrust23THRUST_200600_302600_NS6detail15normal_iteratorINS9_10device_ptrIyEEEEPS5_m9comp_mod3IyEEE10hipError_tT0_T1_T2_jT3_P12ihipStream_tbPNSt15iterator_traitsISJ_E10value_typeEPNSP_ISK_E10value_typeEPSL_NS1_7vsmem_tEENKUlT_SJ_SK_SL_E_clIPySE_SF_SF_EESI_SY_SJ_SK_SL_EUlSY_E1_NS1_11comp_targetILNS1_3genE9ELNS1_11target_archE1100ELNS1_3gpuE3ELNS1_3repE0EEENS1_36merge_oddeven_config_static_selectorELNS0_4arch9wavefront6targetE0EEEvSK_,@function
_ZN7rocprim17ROCPRIM_400000_NS6detail17trampoline_kernelINS0_14default_configENS1_38merge_sort_block_merge_config_selectorIyNS0_10empty_typeEEEZZNS1_27merge_sort_block_merge_implIS3_N6thrust23THRUST_200600_302600_NS6detail15normal_iteratorINS9_10device_ptrIyEEEEPS5_m9comp_mod3IyEEE10hipError_tT0_T1_T2_jT3_P12ihipStream_tbPNSt15iterator_traitsISJ_E10value_typeEPNSP_ISK_E10value_typeEPSL_NS1_7vsmem_tEENKUlT_SJ_SK_SL_E_clIPySE_SF_SF_EESI_SY_SJ_SK_SL_EUlSY_E1_NS1_11comp_targetILNS1_3genE9ELNS1_11target_archE1100ELNS1_3gpuE3ELNS1_3repE0EEENS1_36merge_oddeven_config_static_selectorELNS0_4arch9wavefront6targetE0EEEvSK_: ; @_ZN7rocprim17ROCPRIM_400000_NS6detail17trampoline_kernelINS0_14default_configENS1_38merge_sort_block_merge_config_selectorIyNS0_10empty_typeEEEZZNS1_27merge_sort_block_merge_implIS3_N6thrust23THRUST_200600_302600_NS6detail15normal_iteratorINS9_10device_ptrIyEEEEPS5_m9comp_mod3IyEEE10hipError_tT0_T1_T2_jT3_P12ihipStream_tbPNSt15iterator_traitsISJ_E10value_typeEPNSP_ISK_E10value_typeEPSL_NS1_7vsmem_tEENKUlT_SJ_SK_SL_E_clIPySE_SF_SF_EESI_SY_SJ_SK_SL_EUlSY_E1_NS1_11comp_targetILNS1_3genE9ELNS1_11target_archE1100ELNS1_3gpuE3ELNS1_3repE0EEENS1_36merge_oddeven_config_static_selectorELNS0_4arch9wavefront6targetE0EEEvSK_
; %bb.0:
	.section	.rodata,"a",@progbits
	.p2align	6, 0x0
	.amdhsa_kernel _ZN7rocprim17ROCPRIM_400000_NS6detail17trampoline_kernelINS0_14default_configENS1_38merge_sort_block_merge_config_selectorIyNS0_10empty_typeEEEZZNS1_27merge_sort_block_merge_implIS3_N6thrust23THRUST_200600_302600_NS6detail15normal_iteratorINS9_10device_ptrIyEEEEPS5_m9comp_mod3IyEEE10hipError_tT0_T1_T2_jT3_P12ihipStream_tbPNSt15iterator_traitsISJ_E10value_typeEPNSP_ISK_E10value_typeEPSL_NS1_7vsmem_tEENKUlT_SJ_SK_SL_E_clIPySE_SF_SF_EESI_SY_SJ_SK_SL_EUlSY_E1_NS1_11comp_targetILNS1_3genE9ELNS1_11target_archE1100ELNS1_3gpuE3ELNS1_3repE0EEENS1_36merge_oddeven_config_static_selectorELNS0_4arch9wavefront6targetE0EEEvSK_
		.amdhsa_group_segment_fixed_size 0
		.amdhsa_private_segment_fixed_size 0
		.amdhsa_kernarg_size 56
		.amdhsa_user_sgpr_count 6
		.amdhsa_user_sgpr_private_segment_buffer 1
		.amdhsa_user_sgpr_dispatch_ptr 0
		.amdhsa_user_sgpr_queue_ptr 0
		.amdhsa_user_sgpr_kernarg_segment_ptr 1
		.amdhsa_user_sgpr_dispatch_id 0
		.amdhsa_user_sgpr_flat_scratch_init 0
		.amdhsa_user_sgpr_private_segment_size 0
		.amdhsa_wavefront_size32 1
		.amdhsa_uses_dynamic_stack 0
		.amdhsa_system_sgpr_private_segment_wavefront_offset 0
		.amdhsa_system_sgpr_workgroup_id_x 1
		.amdhsa_system_sgpr_workgroup_id_y 0
		.amdhsa_system_sgpr_workgroup_id_z 0
		.amdhsa_system_sgpr_workgroup_info 0
		.amdhsa_system_vgpr_workitem_id 0
		.amdhsa_next_free_vgpr 1
		.amdhsa_next_free_sgpr 1
		.amdhsa_reserve_vcc 0
		.amdhsa_reserve_flat_scratch 0
		.amdhsa_float_round_mode_32 0
		.amdhsa_float_round_mode_16_64 0
		.amdhsa_float_denorm_mode_32 3
		.amdhsa_float_denorm_mode_16_64 3
		.amdhsa_dx10_clamp 1
		.amdhsa_ieee_mode 1
		.amdhsa_fp16_overflow 0
		.amdhsa_workgroup_processor_mode 1
		.amdhsa_memory_ordered 1
		.amdhsa_forward_progress 1
		.amdhsa_shared_vgpr_count 0
		.amdhsa_exception_fp_ieee_invalid_op 0
		.amdhsa_exception_fp_denorm_src 0
		.amdhsa_exception_fp_ieee_div_zero 0
		.amdhsa_exception_fp_ieee_overflow 0
		.amdhsa_exception_fp_ieee_underflow 0
		.amdhsa_exception_fp_ieee_inexact 0
		.amdhsa_exception_int_div_zero 0
	.end_amdhsa_kernel
	.section	.text._ZN7rocprim17ROCPRIM_400000_NS6detail17trampoline_kernelINS0_14default_configENS1_38merge_sort_block_merge_config_selectorIyNS0_10empty_typeEEEZZNS1_27merge_sort_block_merge_implIS3_N6thrust23THRUST_200600_302600_NS6detail15normal_iteratorINS9_10device_ptrIyEEEEPS5_m9comp_mod3IyEEE10hipError_tT0_T1_T2_jT3_P12ihipStream_tbPNSt15iterator_traitsISJ_E10value_typeEPNSP_ISK_E10value_typeEPSL_NS1_7vsmem_tEENKUlT_SJ_SK_SL_E_clIPySE_SF_SF_EESI_SY_SJ_SK_SL_EUlSY_E1_NS1_11comp_targetILNS1_3genE9ELNS1_11target_archE1100ELNS1_3gpuE3ELNS1_3repE0EEENS1_36merge_oddeven_config_static_selectorELNS0_4arch9wavefront6targetE0EEEvSK_,"axG",@progbits,_ZN7rocprim17ROCPRIM_400000_NS6detail17trampoline_kernelINS0_14default_configENS1_38merge_sort_block_merge_config_selectorIyNS0_10empty_typeEEEZZNS1_27merge_sort_block_merge_implIS3_N6thrust23THRUST_200600_302600_NS6detail15normal_iteratorINS9_10device_ptrIyEEEEPS5_m9comp_mod3IyEEE10hipError_tT0_T1_T2_jT3_P12ihipStream_tbPNSt15iterator_traitsISJ_E10value_typeEPNSP_ISK_E10value_typeEPSL_NS1_7vsmem_tEENKUlT_SJ_SK_SL_E_clIPySE_SF_SF_EESI_SY_SJ_SK_SL_EUlSY_E1_NS1_11comp_targetILNS1_3genE9ELNS1_11target_archE1100ELNS1_3gpuE3ELNS1_3repE0EEENS1_36merge_oddeven_config_static_selectorELNS0_4arch9wavefront6targetE0EEEvSK_,comdat
.Lfunc_end781:
	.size	_ZN7rocprim17ROCPRIM_400000_NS6detail17trampoline_kernelINS0_14default_configENS1_38merge_sort_block_merge_config_selectorIyNS0_10empty_typeEEEZZNS1_27merge_sort_block_merge_implIS3_N6thrust23THRUST_200600_302600_NS6detail15normal_iteratorINS9_10device_ptrIyEEEEPS5_m9comp_mod3IyEEE10hipError_tT0_T1_T2_jT3_P12ihipStream_tbPNSt15iterator_traitsISJ_E10value_typeEPNSP_ISK_E10value_typeEPSL_NS1_7vsmem_tEENKUlT_SJ_SK_SL_E_clIPySE_SF_SF_EESI_SY_SJ_SK_SL_EUlSY_E1_NS1_11comp_targetILNS1_3genE9ELNS1_11target_archE1100ELNS1_3gpuE3ELNS1_3repE0EEENS1_36merge_oddeven_config_static_selectorELNS0_4arch9wavefront6targetE0EEEvSK_, .Lfunc_end781-_ZN7rocprim17ROCPRIM_400000_NS6detail17trampoline_kernelINS0_14default_configENS1_38merge_sort_block_merge_config_selectorIyNS0_10empty_typeEEEZZNS1_27merge_sort_block_merge_implIS3_N6thrust23THRUST_200600_302600_NS6detail15normal_iteratorINS9_10device_ptrIyEEEEPS5_m9comp_mod3IyEEE10hipError_tT0_T1_T2_jT3_P12ihipStream_tbPNSt15iterator_traitsISJ_E10value_typeEPNSP_ISK_E10value_typeEPSL_NS1_7vsmem_tEENKUlT_SJ_SK_SL_E_clIPySE_SF_SF_EESI_SY_SJ_SK_SL_EUlSY_E1_NS1_11comp_targetILNS1_3genE9ELNS1_11target_archE1100ELNS1_3gpuE3ELNS1_3repE0EEENS1_36merge_oddeven_config_static_selectorELNS0_4arch9wavefront6targetE0EEEvSK_
                                        ; -- End function
	.set _ZN7rocprim17ROCPRIM_400000_NS6detail17trampoline_kernelINS0_14default_configENS1_38merge_sort_block_merge_config_selectorIyNS0_10empty_typeEEEZZNS1_27merge_sort_block_merge_implIS3_N6thrust23THRUST_200600_302600_NS6detail15normal_iteratorINS9_10device_ptrIyEEEEPS5_m9comp_mod3IyEEE10hipError_tT0_T1_T2_jT3_P12ihipStream_tbPNSt15iterator_traitsISJ_E10value_typeEPNSP_ISK_E10value_typeEPSL_NS1_7vsmem_tEENKUlT_SJ_SK_SL_E_clIPySE_SF_SF_EESI_SY_SJ_SK_SL_EUlSY_E1_NS1_11comp_targetILNS1_3genE9ELNS1_11target_archE1100ELNS1_3gpuE3ELNS1_3repE0EEENS1_36merge_oddeven_config_static_selectorELNS0_4arch9wavefront6targetE0EEEvSK_.num_vgpr, 0
	.set _ZN7rocprim17ROCPRIM_400000_NS6detail17trampoline_kernelINS0_14default_configENS1_38merge_sort_block_merge_config_selectorIyNS0_10empty_typeEEEZZNS1_27merge_sort_block_merge_implIS3_N6thrust23THRUST_200600_302600_NS6detail15normal_iteratorINS9_10device_ptrIyEEEEPS5_m9comp_mod3IyEEE10hipError_tT0_T1_T2_jT3_P12ihipStream_tbPNSt15iterator_traitsISJ_E10value_typeEPNSP_ISK_E10value_typeEPSL_NS1_7vsmem_tEENKUlT_SJ_SK_SL_E_clIPySE_SF_SF_EESI_SY_SJ_SK_SL_EUlSY_E1_NS1_11comp_targetILNS1_3genE9ELNS1_11target_archE1100ELNS1_3gpuE3ELNS1_3repE0EEENS1_36merge_oddeven_config_static_selectorELNS0_4arch9wavefront6targetE0EEEvSK_.num_agpr, 0
	.set _ZN7rocprim17ROCPRIM_400000_NS6detail17trampoline_kernelINS0_14default_configENS1_38merge_sort_block_merge_config_selectorIyNS0_10empty_typeEEEZZNS1_27merge_sort_block_merge_implIS3_N6thrust23THRUST_200600_302600_NS6detail15normal_iteratorINS9_10device_ptrIyEEEEPS5_m9comp_mod3IyEEE10hipError_tT0_T1_T2_jT3_P12ihipStream_tbPNSt15iterator_traitsISJ_E10value_typeEPNSP_ISK_E10value_typeEPSL_NS1_7vsmem_tEENKUlT_SJ_SK_SL_E_clIPySE_SF_SF_EESI_SY_SJ_SK_SL_EUlSY_E1_NS1_11comp_targetILNS1_3genE9ELNS1_11target_archE1100ELNS1_3gpuE3ELNS1_3repE0EEENS1_36merge_oddeven_config_static_selectorELNS0_4arch9wavefront6targetE0EEEvSK_.numbered_sgpr, 0
	.set _ZN7rocprim17ROCPRIM_400000_NS6detail17trampoline_kernelINS0_14default_configENS1_38merge_sort_block_merge_config_selectorIyNS0_10empty_typeEEEZZNS1_27merge_sort_block_merge_implIS3_N6thrust23THRUST_200600_302600_NS6detail15normal_iteratorINS9_10device_ptrIyEEEEPS5_m9comp_mod3IyEEE10hipError_tT0_T1_T2_jT3_P12ihipStream_tbPNSt15iterator_traitsISJ_E10value_typeEPNSP_ISK_E10value_typeEPSL_NS1_7vsmem_tEENKUlT_SJ_SK_SL_E_clIPySE_SF_SF_EESI_SY_SJ_SK_SL_EUlSY_E1_NS1_11comp_targetILNS1_3genE9ELNS1_11target_archE1100ELNS1_3gpuE3ELNS1_3repE0EEENS1_36merge_oddeven_config_static_selectorELNS0_4arch9wavefront6targetE0EEEvSK_.num_named_barrier, 0
	.set _ZN7rocprim17ROCPRIM_400000_NS6detail17trampoline_kernelINS0_14default_configENS1_38merge_sort_block_merge_config_selectorIyNS0_10empty_typeEEEZZNS1_27merge_sort_block_merge_implIS3_N6thrust23THRUST_200600_302600_NS6detail15normal_iteratorINS9_10device_ptrIyEEEEPS5_m9comp_mod3IyEEE10hipError_tT0_T1_T2_jT3_P12ihipStream_tbPNSt15iterator_traitsISJ_E10value_typeEPNSP_ISK_E10value_typeEPSL_NS1_7vsmem_tEENKUlT_SJ_SK_SL_E_clIPySE_SF_SF_EESI_SY_SJ_SK_SL_EUlSY_E1_NS1_11comp_targetILNS1_3genE9ELNS1_11target_archE1100ELNS1_3gpuE3ELNS1_3repE0EEENS1_36merge_oddeven_config_static_selectorELNS0_4arch9wavefront6targetE0EEEvSK_.private_seg_size, 0
	.set _ZN7rocprim17ROCPRIM_400000_NS6detail17trampoline_kernelINS0_14default_configENS1_38merge_sort_block_merge_config_selectorIyNS0_10empty_typeEEEZZNS1_27merge_sort_block_merge_implIS3_N6thrust23THRUST_200600_302600_NS6detail15normal_iteratorINS9_10device_ptrIyEEEEPS5_m9comp_mod3IyEEE10hipError_tT0_T1_T2_jT3_P12ihipStream_tbPNSt15iterator_traitsISJ_E10value_typeEPNSP_ISK_E10value_typeEPSL_NS1_7vsmem_tEENKUlT_SJ_SK_SL_E_clIPySE_SF_SF_EESI_SY_SJ_SK_SL_EUlSY_E1_NS1_11comp_targetILNS1_3genE9ELNS1_11target_archE1100ELNS1_3gpuE3ELNS1_3repE0EEENS1_36merge_oddeven_config_static_selectorELNS0_4arch9wavefront6targetE0EEEvSK_.uses_vcc, 0
	.set _ZN7rocprim17ROCPRIM_400000_NS6detail17trampoline_kernelINS0_14default_configENS1_38merge_sort_block_merge_config_selectorIyNS0_10empty_typeEEEZZNS1_27merge_sort_block_merge_implIS3_N6thrust23THRUST_200600_302600_NS6detail15normal_iteratorINS9_10device_ptrIyEEEEPS5_m9comp_mod3IyEEE10hipError_tT0_T1_T2_jT3_P12ihipStream_tbPNSt15iterator_traitsISJ_E10value_typeEPNSP_ISK_E10value_typeEPSL_NS1_7vsmem_tEENKUlT_SJ_SK_SL_E_clIPySE_SF_SF_EESI_SY_SJ_SK_SL_EUlSY_E1_NS1_11comp_targetILNS1_3genE9ELNS1_11target_archE1100ELNS1_3gpuE3ELNS1_3repE0EEENS1_36merge_oddeven_config_static_selectorELNS0_4arch9wavefront6targetE0EEEvSK_.uses_flat_scratch, 0
	.set _ZN7rocprim17ROCPRIM_400000_NS6detail17trampoline_kernelINS0_14default_configENS1_38merge_sort_block_merge_config_selectorIyNS0_10empty_typeEEEZZNS1_27merge_sort_block_merge_implIS3_N6thrust23THRUST_200600_302600_NS6detail15normal_iteratorINS9_10device_ptrIyEEEEPS5_m9comp_mod3IyEEE10hipError_tT0_T1_T2_jT3_P12ihipStream_tbPNSt15iterator_traitsISJ_E10value_typeEPNSP_ISK_E10value_typeEPSL_NS1_7vsmem_tEENKUlT_SJ_SK_SL_E_clIPySE_SF_SF_EESI_SY_SJ_SK_SL_EUlSY_E1_NS1_11comp_targetILNS1_3genE9ELNS1_11target_archE1100ELNS1_3gpuE3ELNS1_3repE0EEENS1_36merge_oddeven_config_static_selectorELNS0_4arch9wavefront6targetE0EEEvSK_.has_dyn_sized_stack, 0
	.set _ZN7rocprim17ROCPRIM_400000_NS6detail17trampoline_kernelINS0_14default_configENS1_38merge_sort_block_merge_config_selectorIyNS0_10empty_typeEEEZZNS1_27merge_sort_block_merge_implIS3_N6thrust23THRUST_200600_302600_NS6detail15normal_iteratorINS9_10device_ptrIyEEEEPS5_m9comp_mod3IyEEE10hipError_tT0_T1_T2_jT3_P12ihipStream_tbPNSt15iterator_traitsISJ_E10value_typeEPNSP_ISK_E10value_typeEPSL_NS1_7vsmem_tEENKUlT_SJ_SK_SL_E_clIPySE_SF_SF_EESI_SY_SJ_SK_SL_EUlSY_E1_NS1_11comp_targetILNS1_3genE9ELNS1_11target_archE1100ELNS1_3gpuE3ELNS1_3repE0EEENS1_36merge_oddeven_config_static_selectorELNS0_4arch9wavefront6targetE0EEEvSK_.has_recursion, 0
	.set _ZN7rocprim17ROCPRIM_400000_NS6detail17trampoline_kernelINS0_14default_configENS1_38merge_sort_block_merge_config_selectorIyNS0_10empty_typeEEEZZNS1_27merge_sort_block_merge_implIS3_N6thrust23THRUST_200600_302600_NS6detail15normal_iteratorINS9_10device_ptrIyEEEEPS5_m9comp_mod3IyEEE10hipError_tT0_T1_T2_jT3_P12ihipStream_tbPNSt15iterator_traitsISJ_E10value_typeEPNSP_ISK_E10value_typeEPSL_NS1_7vsmem_tEENKUlT_SJ_SK_SL_E_clIPySE_SF_SF_EESI_SY_SJ_SK_SL_EUlSY_E1_NS1_11comp_targetILNS1_3genE9ELNS1_11target_archE1100ELNS1_3gpuE3ELNS1_3repE0EEENS1_36merge_oddeven_config_static_selectorELNS0_4arch9wavefront6targetE0EEEvSK_.has_indirect_call, 0
	.section	.AMDGPU.csdata,"",@progbits
; Kernel info:
; codeLenInByte = 0
; TotalNumSgprs: 0
; NumVgprs: 0
; ScratchSize: 0
; MemoryBound: 0
; FloatMode: 240
; IeeeMode: 1
; LDSByteSize: 0 bytes/workgroup (compile time only)
; SGPRBlocks: 0
; VGPRBlocks: 0
; NumSGPRsForWavesPerEU: 1
; NumVGPRsForWavesPerEU: 1
; Occupancy: 16
; WaveLimiterHint : 0
; COMPUTE_PGM_RSRC2:SCRATCH_EN: 0
; COMPUTE_PGM_RSRC2:USER_SGPR: 6
; COMPUTE_PGM_RSRC2:TRAP_HANDLER: 0
; COMPUTE_PGM_RSRC2:TGID_X_EN: 1
; COMPUTE_PGM_RSRC2:TGID_Y_EN: 0
; COMPUTE_PGM_RSRC2:TGID_Z_EN: 0
; COMPUTE_PGM_RSRC2:TIDIG_COMP_CNT: 0
	.section	.text._ZN7rocprim17ROCPRIM_400000_NS6detail17trampoline_kernelINS0_14default_configENS1_38merge_sort_block_merge_config_selectorIyNS0_10empty_typeEEEZZNS1_27merge_sort_block_merge_implIS3_N6thrust23THRUST_200600_302600_NS6detail15normal_iteratorINS9_10device_ptrIyEEEEPS5_m9comp_mod3IyEEE10hipError_tT0_T1_T2_jT3_P12ihipStream_tbPNSt15iterator_traitsISJ_E10value_typeEPNSP_ISK_E10value_typeEPSL_NS1_7vsmem_tEENKUlT_SJ_SK_SL_E_clIPySE_SF_SF_EESI_SY_SJ_SK_SL_EUlSY_E1_NS1_11comp_targetILNS1_3genE8ELNS1_11target_archE1030ELNS1_3gpuE2ELNS1_3repE0EEENS1_36merge_oddeven_config_static_selectorELNS0_4arch9wavefront6targetE0EEEvSK_,"axG",@progbits,_ZN7rocprim17ROCPRIM_400000_NS6detail17trampoline_kernelINS0_14default_configENS1_38merge_sort_block_merge_config_selectorIyNS0_10empty_typeEEEZZNS1_27merge_sort_block_merge_implIS3_N6thrust23THRUST_200600_302600_NS6detail15normal_iteratorINS9_10device_ptrIyEEEEPS5_m9comp_mod3IyEEE10hipError_tT0_T1_T2_jT3_P12ihipStream_tbPNSt15iterator_traitsISJ_E10value_typeEPNSP_ISK_E10value_typeEPSL_NS1_7vsmem_tEENKUlT_SJ_SK_SL_E_clIPySE_SF_SF_EESI_SY_SJ_SK_SL_EUlSY_E1_NS1_11comp_targetILNS1_3genE8ELNS1_11target_archE1030ELNS1_3gpuE2ELNS1_3repE0EEENS1_36merge_oddeven_config_static_selectorELNS0_4arch9wavefront6targetE0EEEvSK_,comdat
	.protected	_ZN7rocprim17ROCPRIM_400000_NS6detail17trampoline_kernelINS0_14default_configENS1_38merge_sort_block_merge_config_selectorIyNS0_10empty_typeEEEZZNS1_27merge_sort_block_merge_implIS3_N6thrust23THRUST_200600_302600_NS6detail15normal_iteratorINS9_10device_ptrIyEEEEPS5_m9comp_mod3IyEEE10hipError_tT0_T1_T2_jT3_P12ihipStream_tbPNSt15iterator_traitsISJ_E10value_typeEPNSP_ISK_E10value_typeEPSL_NS1_7vsmem_tEENKUlT_SJ_SK_SL_E_clIPySE_SF_SF_EESI_SY_SJ_SK_SL_EUlSY_E1_NS1_11comp_targetILNS1_3genE8ELNS1_11target_archE1030ELNS1_3gpuE2ELNS1_3repE0EEENS1_36merge_oddeven_config_static_selectorELNS0_4arch9wavefront6targetE0EEEvSK_ ; -- Begin function _ZN7rocprim17ROCPRIM_400000_NS6detail17trampoline_kernelINS0_14default_configENS1_38merge_sort_block_merge_config_selectorIyNS0_10empty_typeEEEZZNS1_27merge_sort_block_merge_implIS3_N6thrust23THRUST_200600_302600_NS6detail15normal_iteratorINS9_10device_ptrIyEEEEPS5_m9comp_mod3IyEEE10hipError_tT0_T1_T2_jT3_P12ihipStream_tbPNSt15iterator_traitsISJ_E10value_typeEPNSP_ISK_E10value_typeEPSL_NS1_7vsmem_tEENKUlT_SJ_SK_SL_E_clIPySE_SF_SF_EESI_SY_SJ_SK_SL_EUlSY_E1_NS1_11comp_targetILNS1_3genE8ELNS1_11target_archE1030ELNS1_3gpuE2ELNS1_3repE0EEENS1_36merge_oddeven_config_static_selectorELNS0_4arch9wavefront6targetE0EEEvSK_
	.globl	_ZN7rocprim17ROCPRIM_400000_NS6detail17trampoline_kernelINS0_14default_configENS1_38merge_sort_block_merge_config_selectorIyNS0_10empty_typeEEEZZNS1_27merge_sort_block_merge_implIS3_N6thrust23THRUST_200600_302600_NS6detail15normal_iteratorINS9_10device_ptrIyEEEEPS5_m9comp_mod3IyEEE10hipError_tT0_T1_T2_jT3_P12ihipStream_tbPNSt15iterator_traitsISJ_E10value_typeEPNSP_ISK_E10value_typeEPSL_NS1_7vsmem_tEENKUlT_SJ_SK_SL_E_clIPySE_SF_SF_EESI_SY_SJ_SK_SL_EUlSY_E1_NS1_11comp_targetILNS1_3genE8ELNS1_11target_archE1030ELNS1_3gpuE2ELNS1_3repE0EEENS1_36merge_oddeven_config_static_selectorELNS0_4arch9wavefront6targetE0EEEvSK_
	.p2align	8
	.type	_ZN7rocprim17ROCPRIM_400000_NS6detail17trampoline_kernelINS0_14default_configENS1_38merge_sort_block_merge_config_selectorIyNS0_10empty_typeEEEZZNS1_27merge_sort_block_merge_implIS3_N6thrust23THRUST_200600_302600_NS6detail15normal_iteratorINS9_10device_ptrIyEEEEPS5_m9comp_mod3IyEEE10hipError_tT0_T1_T2_jT3_P12ihipStream_tbPNSt15iterator_traitsISJ_E10value_typeEPNSP_ISK_E10value_typeEPSL_NS1_7vsmem_tEENKUlT_SJ_SK_SL_E_clIPySE_SF_SF_EESI_SY_SJ_SK_SL_EUlSY_E1_NS1_11comp_targetILNS1_3genE8ELNS1_11target_archE1030ELNS1_3gpuE2ELNS1_3repE0EEENS1_36merge_oddeven_config_static_selectorELNS0_4arch9wavefront6targetE0EEEvSK_,@function
_ZN7rocprim17ROCPRIM_400000_NS6detail17trampoline_kernelINS0_14default_configENS1_38merge_sort_block_merge_config_selectorIyNS0_10empty_typeEEEZZNS1_27merge_sort_block_merge_implIS3_N6thrust23THRUST_200600_302600_NS6detail15normal_iteratorINS9_10device_ptrIyEEEEPS5_m9comp_mod3IyEEE10hipError_tT0_T1_T2_jT3_P12ihipStream_tbPNSt15iterator_traitsISJ_E10value_typeEPNSP_ISK_E10value_typeEPSL_NS1_7vsmem_tEENKUlT_SJ_SK_SL_E_clIPySE_SF_SF_EESI_SY_SJ_SK_SL_EUlSY_E1_NS1_11comp_targetILNS1_3genE8ELNS1_11target_archE1030ELNS1_3gpuE2ELNS1_3repE0EEENS1_36merge_oddeven_config_static_selectorELNS0_4arch9wavefront6targetE0EEEvSK_: ; @_ZN7rocprim17ROCPRIM_400000_NS6detail17trampoline_kernelINS0_14default_configENS1_38merge_sort_block_merge_config_selectorIyNS0_10empty_typeEEEZZNS1_27merge_sort_block_merge_implIS3_N6thrust23THRUST_200600_302600_NS6detail15normal_iteratorINS9_10device_ptrIyEEEEPS5_m9comp_mod3IyEEE10hipError_tT0_T1_T2_jT3_P12ihipStream_tbPNSt15iterator_traitsISJ_E10value_typeEPNSP_ISK_E10value_typeEPSL_NS1_7vsmem_tEENKUlT_SJ_SK_SL_E_clIPySE_SF_SF_EESI_SY_SJ_SK_SL_EUlSY_E1_NS1_11comp_targetILNS1_3genE8ELNS1_11target_archE1030ELNS1_3gpuE2ELNS1_3repE0EEENS1_36merge_oddeven_config_static_selectorELNS0_4arch9wavefront6targetE0EEEvSK_
; %bb.0:
	s_load_dword s7, s[4:5], 0x20
	s_waitcnt lgkmcnt(0)
	s_lshr_b32 s0, s7, 8
	s_cmp_lg_u32 s6, s0
	s_cselect_b32 s2, -1, 0
	s_cmp_eq_u32 s6, s0
	s_cselect_b32 s14, -1, 0
	s_lshl_b32 s12, s6, 8
	s_sub_i32 s0, s7, s12
	v_cmp_gt_u32_e64 s0, s0, v0
	s_or_b32 s1, s2, s0
	s_and_saveexec_b32 s3, s1
	s_cbranch_execz .LBB782_28
; %bb.1:
	s_clause 0x1
	s_load_dwordx4 s[8:11], s[4:5], 0x0
	s_load_dword s15, s[4:5], 0x28
	s_mov_b32 s13, 0
	v_lshlrev_b32_e32 v1, 3, v0
	s_lshl_b64 s[16:17], s[12:13], 3
	v_add_nc_u32_e32 v5, s12, v0
	s_waitcnt lgkmcnt(0)
	s_add_u32 s16, s8, s16
	s_addc_u32 s17, s9, s17
	s_lshr_b32 s1, s15, 8
	global_load_dwordx2 v[1:2], v1, s[16:17]
	s_sub_i32 s3, 0, s1
	s_and_b32 s3, s6, s3
	s_and_b32 s6, s3, s1
	s_cmp_lg_u32 s6, 0
	s_cselect_b32 s1, -1, 0
	s_lshl_b32 s16, s3, 8
	s_sub_i32 s3, 0, s15
	s_cmp_eq_u32 s6, 0
	s_cselect_b32 s6, s15, s3
	s_add_i32 s6, s6, s16
	s_cmp_lt_u32 s6, s7
	s_cbranch_scc1 .LBB782_3
; %bb.2:
	v_cmp_gt_u32_e32 vcc_lo, s7, v5
	s_or_b32 s3, vcc_lo, s2
	s_and_b32 s13, s3, exec_lo
	s_cbranch_execz .LBB782_4
	s_branch .LBB782_26
.LBB782_3:
.LBB782_4:
	s_load_dwordx2 s[2:3], s[4:5], 0x30
	v_mov_b32_e32 v3, 0
	s_waitcnt vmcnt(0)
	v_mov_b32_e32 v4, v1
	s_min_u32 s4, s6, s7
	s_add_i32 s5, s16, s4
	s_add_i32 s12, s4, s15
	v_ashrrev_i64 v[3:4], 29, v[3:4]
	v_subrev_nc_u32_e32 v0, s5, v5
	s_min_u32 s5, s16, s4
	v_add_nc_u32_e32 v0, s5, v0
	s_min_u32 s5, s12, s7
	s_waitcnt lgkmcnt(0)
	v_add_co_u32 v3, vcc_lo, s2, v3
	v_add_co_ci_u32_e64 v4, null, s3, v4, vcc_lo
	s_and_b32 vcc_lo, exec_lo, s14
	s_cbranch_vccz .LBB782_13
; %bb.5:
                                        ; implicit-def: $vgpr5
	s_and_saveexec_b32 s7, s0
	s_cbranch_execz .LBB782_16
; %bb.6:
	v_mov_b32_e32 v9, s4
	s_cmp_ge_u32 s6, s5
	s_cbranch_scc1 .LBB782_15
; %bb.7:
	v_mov_b32_e32 v10, s5
	v_mov_b32_e32 v9, s4
	v_mov_b32_e32 v6, 0
	s_mov_b32 s0, 0
	s_branch .LBB782_9
.LBB782_8:                              ;   in Loop: Header=BB782_9 Depth=1
	s_waitcnt vmcnt(0)
	v_add_nc_u32_e32 v7, 1, v5
	v_cndmask_b32_e64 v10, v5, v10, s12
	v_cndmask_b32_e64 v9, v9, v7, s12
	v_cmp_ge_u32_e32 vcc_lo, v9, v10
	s_or_b32 s0, vcc_lo, s0
	s_andn2_b32 exec_lo, exec_lo, s0
	s_cbranch_execz .LBB782_14
.LBB782_9:                              ; =>This Inner Loop Header: Depth=1
	v_add_nc_u32_e32 v5, v9, v10
	s_mov_b32 s14, -1
                                        ; implicit-def: $sgpr12
	v_lshrrev_b32_e32 v5, 1, v5
	v_lshlrev_b64 v[7:8], 3, v[5:6]
	v_add_co_u32 v7, vcc_lo, s8, v7
	v_add_co_ci_u32_e64 v8, null, s9, v8, vcc_lo
	s_andn2_b32 vcc_lo, exec_lo, s1
	global_load_dwordx2 v[7:8], v[7:8], off
	s_cbranch_vccnz .LBB782_11
; %bb.10:                               ;   in Loop: Header=BB782_9 Depth=1
	v_mov_b32_e32 v11, v6
	s_waitcnt vmcnt(0)
	v_mov_b32_e32 v12, v7
	s_mov_b32 s14, 0
	v_ashrrev_i64 v[11:12], 29, v[11:12]
	v_add_co_u32 v11, vcc_lo, s2, v11
	v_add_co_ci_u32_e64 v12, null, s3, v12, vcc_lo
	s_clause 0x1
	global_load_dwordx2 v[13:14], v[3:4], off
	global_load_dwordx2 v[11:12], v[11:12], off
	s_waitcnt vmcnt(0)
	v_cmp_ge_u64_e64 s12, v[13:14], v[11:12]
.LBB782_11:                             ;   in Loop: Header=BB782_9 Depth=1
	s_andn2_b32 vcc_lo, exec_lo, s14
	s_cbranch_vccnz .LBB782_8
; %bb.12:                               ;   in Loop: Header=BB782_9 Depth=1
	v_mov_b32_e32 v11, v6
	s_waitcnt vmcnt(0)
	v_mov_b32_e32 v12, v7
	s_andn2_b32 s12, s12, exec_lo
	v_ashrrev_i64 v[7:8], 29, v[11:12]
	v_add_co_u32 v7, vcc_lo, s2, v7
	v_add_co_ci_u32_e64 v8, null, s3, v8, vcc_lo
	s_clause 0x1
	global_load_dwordx2 v[7:8], v[7:8], off
	global_load_dwordx2 v[11:12], v[3:4], off
	s_waitcnt vmcnt(0)
	v_cmp_lt_u64_e32 vcc_lo, v[7:8], v[11:12]
	s_and_b32 s14, vcc_lo, exec_lo
	s_or_b32 s12, s12, s14
	s_branch .LBB782_8
.LBB782_13:
                                        ; implicit-def: $vgpr5
	s_cbranch_execnz .LBB782_17
	s_branch .LBB782_26
.LBB782_14:
	s_or_b32 exec_lo, exec_lo, s0
.LBB782_15:
	v_add_nc_u32_e32 v5, v9, v0
	s_or_b32 s13, s13, exec_lo
.LBB782_16:
	s_or_b32 exec_lo, exec_lo, s7
	s_branch .LBB782_26
.LBB782_17:
	v_mov_b32_e32 v9, s4
	s_cmp_ge_u32 s6, s5
	s_cbranch_scc1 .LBB782_25
; %bb.18:
	v_mov_b32_e32 v10, s5
	v_mov_b32_e32 v9, s4
	;; [unrolled: 1-line block ×3, first 2 shown]
	s_mov_b32 s0, 0
	s_branch .LBB782_20
.LBB782_19:                             ;   in Loop: Header=BB782_20 Depth=1
	s_waitcnt vmcnt(0)
	v_add_nc_u32_e32 v7, 1, v5
	v_cndmask_b32_e64 v10, v5, v10, s4
	v_cndmask_b32_e64 v9, v9, v7, s4
	v_cmp_ge_u32_e32 vcc_lo, v9, v10
	s_or_b32 s0, vcc_lo, s0
	s_andn2_b32 exec_lo, exec_lo, s0
	s_cbranch_execz .LBB782_24
.LBB782_20:                             ; =>This Inner Loop Header: Depth=1
	v_add_nc_u32_e32 v5, v9, v10
	s_mov_b32 s5, -1
                                        ; implicit-def: $sgpr4
	v_lshrrev_b32_e32 v5, 1, v5
	v_lshlrev_b64 v[7:8], 3, v[5:6]
	v_add_co_u32 v7, vcc_lo, s8, v7
	v_add_co_ci_u32_e64 v8, null, s9, v8, vcc_lo
	s_andn2_b32 vcc_lo, exec_lo, s1
	global_load_dwordx2 v[7:8], v[7:8], off
	s_cbranch_vccnz .LBB782_22
; %bb.21:                               ;   in Loop: Header=BB782_20 Depth=1
	v_mov_b32_e32 v11, v6
	s_waitcnt vmcnt(0)
	v_mov_b32_e32 v12, v7
	s_mov_b32 s5, 0
	v_ashrrev_i64 v[11:12], 29, v[11:12]
	v_add_co_u32 v11, vcc_lo, s2, v11
	v_add_co_ci_u32_e64 v12, null, s3, v12, vcc_lo
	s_clause 0x1
	global_load_dwordx2 v[13:14], v[3:4], off
	global_load_dwordx2 v[11:12], v[11:12], off
	s_waitcnt vmcnt(0)
	v_cmp_ge_u64_e64 s4, v[13:14], v[11:12]
.LBB782_22:                             ;   in Loop: Header=BB782_20 Depth=1
	s_andn2_b32 vcc_lo, exec_lo, s5
	s_cbranch_vccnz .LBB782_19
; %bb.23:                               ;   in Loop: Header=BB782_20 Depth=1
	v_mov_b32_e32 v11, v6
	s_waitcnt vmcnt(0)
	v_mov_b32_e32 v12, v7
	s_andn2_b32 s4, s4, exec_lo
	v_ashrrev_i64 v[7:8], 29, v[11:12]
	v_add_co_u32 v7, vcc_lo, s2, v7
	v_add_co_ci_u32_e64 v8, null, s3, v8, vcc_lo
	s_clause 0x1
	global_load_dwordx2 v[7:8], v[7:8], off
	global_load_dwordx2 v[11:12], v[3:4], off
	s_waitcnt vmcnt(0)
	v_cmp_lt_u64_e32 vcc_lo, v[7:8], v[11:12]
	s_and_b32 s5, vcc_lo, exec_lo
	s_or_b32 s4, s4, s5
	s_branch .LBB782_19
.LBB782_24:
	s_or_b32 exec_lo, exec_lo, s0
.LBB782_25:
	v_add_nc_u32_e32 v5, v9, v0
	s_mov_b32 s13, -1
.LBB782_26:
	s_and_b32 exec_lo, exec_lo, s13
	s_cbranch_execz .LBB782_28
; %bb.27:
	v_mov_b32_e32 v6, 0
	v_lshlrev_b64 v[3:4], 3, v[5:6]
	v_add_co_u32 v3, vcc_lo, s10, v3
	v_add_co_ci_u32_e64 v4, null, s11, v4, vcc_lo
	s_waitcnt vmcnt(0)
	global_store_dwordx2 v[3:4], v[1:2], off
.LBB782_28:
	s_endpgm
	.section	.rodata,"a",@progbits
	.p2align	6, 0x0
	.amdhsa_kernel _ZN7rocprim17ROCPRIM_400000_NS6detail17trampoline_kernelINS0_14default_configENS1_38merge_sort_block_merge_config_selectorIyNS0_10empty_typeEEEZZNS1_27merge_sort_block_merge_implIS3_N6thrust23THRUST_200600_302600_NS6detail15normal_iteratorINS9_10device_ptrIyEEEEPS5_m9comp_mod3IyEEE10hipError_tT0_T1_T2_jT3_P12ihipStream_tbPNSt15iterator_traitsISJ_E10value_typeEPNSP_ISK_E10value_typeEPSL_NS1_7vsmem_tEENKUlT_SJ_SK_SL_E_clIPySE_SF_SF_EESI_SY_SJ_SK_SL_EUlSY_E1_NS1_11comp_targetILNS1_3genE8ELNS1_11target_archE1030ELNS1_3gpuE2ELNS1_3repE0EEENS1_36merge_oddeven_config_static_selectorELNS0_4arch9wavefront6targetE0EEEvSK_
		.amdhsa_group_segment_fixed_size 0
		.amdhsa_private_segment_fixed_size 0
		.amdhsa_kernarg_size 56
		.amdhsa_user_sgpr_count 6
		.amdhsa_user_sgpr_private_segment_buffer 1
		.amdhsa_user_sgpr_dispatch_ptr 0
		.amdhsa_user_sgpr_queue_ptr 0
		.amdhsa_user_sgpr_kernarg_segment_ptr 1
		.amdhsa_user_sgpr_dispatch_id 0
		.amdhsa_user_sgpr_flat_scratch_init 0
		.amdhsa_user_sgpr_private_segment_size 0
		.amdhsa_wavefront_size32 1
		.amdhsa_uses_dynamic_stack 0
		.amdhsa_system_sgpr_private_segment_wavefront_offset 0
		.amdhsa_system_sgpr_workgroup_id_x 1
		.amdhsa_system_sgpr_workgroup_id_y 0
		.amdhsa_system_sgpr_workgroup_id_z 0
		.amdhsa_system_sgpr_workgroup_info 0
		.amdhsa_system_vgpr_workitem_id 0
		.amdhsa_next_free_vgpr 15
		.amdhsa_next_free_sgpr 18
		.amdhsa_reserve_vcc 1
		.amdhsa_reserve_flat_scratch 0
		.amdhsa_float_round_mode_32 0
		.amdhsa_float_round_mode_16_64 0
		.amdhsa_float_denorm_mode_32 3
		.amdhsa_float_denorm_mode_16_64 3
		.amdhsa_dx10_clamp 1
		.amdhsa_ieee_mode 1
		.amdhsa_fp16_overflow 0
		.amdhsa_workgroup_processor_mode 1
		.amdhsa_memory_ordered 1
		.amdhsa_forward_progress 1
		.amdhsa_shared_vgpr_count 0
		.amdhsa_exception_fp_ieee_invalid_op 0
		.amdhsa_exception_fp_denorm_src 0
		.amdhsa_exception_fp_ieee_div_zero 0
		.amdhsa_exception_fp_ieee_overflow 0
		.amdhsa_exception_fp_ieee_underflow 0
		.amdhsa_exception_fp_ieee_inexact 0
		.amdhsa_exception_int_div_zero 0
	.end_amdhsa_kernel
	.section	.text._ZN7rocprim17ROCPRIM_400000_NS6detail17trampoline_kernelINS0_14default_configENS1_38merge_sort_block_merge_config_selectorIyNS0_10empty_typeEEEZZNS1_27merge_sort_block_merge_implIS3_N6thrust23THRUST_200600_302600_NS6detail15normal_iteratorINS9_10device_ptrIyEEEEPS5_m9comp_mod3IyEEE10hipError_tT0_T1_T2_jT3_P12ihipStream_tbPNSt15iterator_traitsISJ_E10value_typeEPNSP_ISK_E10value_typeEPSL_NS1_7vsmem_tEENKUlT_SJ_SK_SL_E_clIPySE_SF_SF_EESI_SY_SJ_SK_SL_EUlSY_E1_NS1_11comp_targetILNS1_3genE8ELNS1_11target_archE1030ELNS1_3gpuE2ELNS1_3repE0EEENS1_36merge_oddeven_config_static_selectorELNS0_4arch9wavefront6targetE0EEEvSK_,"axG",@progbits,_ZN7rocprim17ROCPRIM_400000_NS6detail17trampoline_kernelINS0_14default_configENS1_38merge_sort_block_merge_config_selectorIyNS0_10empty_typeEEEZZNS1_27merge_sort_block_merge_implIS3_N6thrust23THRUST_200600_302600_NS6detail15normal_iteratorINS9_10device_ptrIyEEEEPS5_m9comp_mod3IyEEE10hipError_tT0_T1_T2_jT3_P12ihipStream_tbPNSt15iterator_traitsISJ_E10value_typeEPNSP_ISK_E10value_typeEPSL_NS1_7vsmem_tEENKUlT_SJ_SK_SL_E_clIPySE_SF_SF_EESI_SY_SJ_SK_SL_EUlSY_E1_NS1_11comp_targetILNS1_3genE8ELNS1_11target_archE1030ELNS1_3gpuE2ELNS1_3repE0EEENS1_36merge_oddeven_config_static_selectorELNS0_4arch9wavefront6targetE0EEEvSK_,comdat
.Lfunc_end782:
	.size	_ZN7rocprim17ROCPRIM_400000_NS6detail17trampoline_kernelINS0_14default_configENS1_38merge_sort_block_merge_config_selectorIyNS0_10empty_typeEEEZZNS1_27merge_sort_block_merge_implIS3_N6thrust23THRUST_200600_302600_NS6detail15normal_iteratorINS9_10device_ptrIyEEEEPS5_m9comp_mod3IyEEE10hipError_tT0_T1_T2_jT3_P12ihipStream_tbPNSt15iterator_traitsISJ_E10value_typeEPNSP_ISK_E10value_typeEPSL_NS1_7vsmem_tEENKUlT_SJ_SK_SL_E_clIPySE_SF_SF_EESI_SY_SJ_SK_SL_EUlSY_E1_NS1_11comp_targetILNS1_3genE8ELNS1_11target_archE1030ELNS1_3gpuE2ELNS1_3repE0EEENS1_36merge_oddeven_config_static_selectorELNS0_4arch9wavefront6targetE0EEEvSK_, .Lfunc_end782-_ZN7rocprim17ROCPRIM_400000_NS6detail17trampoline_kernelINS0_14default_configENS1_38merge_sort_block_merge_config_selectorIyNS0_10empty_typeEEEZZNS1_27merge_sort_block_merge_implIS3_N6thrust23THRUST_200600_302600_NS6detail15normal_iteratorINS9_10device_ptrIyEEEEPS5_m9comp_mod3IyEEE10hipError_tT0_T1_T2_jT3_P12ihipStream_tbPNSt15iterator_traitsISJ_E10value_typeEPNSP_ISK_E10value_typeEPSL_NS1_7vsmem_tEENKUlT_SJ_SK_SL_E_clIPySE_SF_SF_EESI_SY_SJ_SK_SL_EUlSY_E1_NS1_11comp_targetILNS1_3genE8ELNS1_11target_archE1030ELNS1_3gpuE2ELNS1_3repE0EEENS1_36merge_oddeven_config_static_selectorELNS0_4arch9wavefront6targetE0EEEvSK_
                                        ; -- End function
	.set _ZN7rocprim17ROCPRIM_400000_NS6detail17trampoline_kernelINS0_14default_configENS1_38merge_sort_block_merge_config_selectorIyNS0_10empty_typeEEEZZNS1_27merge_sort_block_merge_implIS3_N6thrust23THRUST_200600_302600_NS6detail15normal_iteratorINS9_10device_ptrIyEEEEPS5_m9comp_mod3IyEEE10hipError_tT0_T1_T2_jT3_P12ihipStream_tbPNSt15iterator_traitsISJ_E10value_typeEPNSP_ISK_E10value_typeEPSL_NS1_7vsmem_tEENKUlT_SJ_SK_SL_E_clIPySE_SF_SF_EESI_SY_SJ_SK_SL_EUlSY_E1_NS1_11comp_targetILNS1_3genE8ELNS1_11target_archE1030ELNS1_3gpuE2ELNS1_3repE0EEENS1_36merge_oddeven_config_static_selectorELNS0_4arch9wavefront6targetE0EEEvSK_.num_vgpr, 15
	.set _ZN7rocprim17ROCPRIM_400000_NS6detail17trampoline_kernelINS0_14default_configENS1_38merge_sort_block_merge_config_selectorIyNS0_10empty_typeEEEZZNS1_27merge_sort_block_merge_implIS3_N6thrust23THRUST_200600_302600_NS6detail15normal_iteratorINS9_10device_ptrIyEEEEPS5_m9comp_mod3IyEEE10hipError_tT0_T1_T2_jT3_P12ihipStream_tbPNSt15iterator_traitsISJ_E10value_typeEPNSP_ISK_E10value_typeEPSL_NS1_7vsmem_tEENKUlT_SJ_SK_SL_E_clIPySE_SF_SF_EESI_SY_SJ_SK_SL_EUlSY_E1_NS1_11comp_targetILNS1_3genE8ELNS1_11target_archE1030ELNS1_3gpuE2ELNS1_3repE0EEENS1_36merge_oddeven_config_static_selectorELNS0_4arch9wavefront6targetE0EEEvSK_.num_agpr, 0
	.set _ZN7rocprim17ROCPRIM_400000_NS6detail17trampoline_kernelINS0_14default_configENS1_38merge_sort_block_merge_config_selectorIyNS0_10empty_typeEEEZZNS1_27merge_sort_block_merge_implIS3_N6thrust23THRUST_200600_302600_NS6detail15normal_iteratorINS9_10device_ptrIyEEEEPS5_m9comp_mod3IyEEE10hipError_tT0_T1_T2_jT3_P12ihipStream_tbPNSt15iterator_traitsISJ_E10value_typeEPNSP_ISK_E10value_typeEPSL_NS1_7vsmem_tEENKUlT_SJ_SK_SL_E_clIPySE_SF_SF_EESI_SY_SJ_SK_SL_EUlSY_E1_NS1_11comp_targetILNS1_3genE8ELNS1_11target_archE1030ELNS1_3gpuE2ELNS1_3repE0EEENS1_36merge_oddeven_config_static_selectorELNS0_4arch9wavefront6targetE0EEEvSK_.numbered_sgpr, 18
	.set _ZN7rocprim17ROCPRIM_400000_NS6detail17trampoline_kernelINS0_14default_configENS1_38merge_sort_block_merge_config_selectorIyNS0_10empty_typeEEEZZNS1_27merge_sort_block_merge_implIS3_N6thrust23THRUST_200600_302600_NS6detail15normal_iteratorINS9_10device_ptrIyEEEEPS5_m9comp_mod3IyEEE10hipError_tT0_T1_T2_jT3_P12ihipStream_tbPNSt15iterator_traitsISJ_E10value_typeEPNSP_ISK_E10value_typeEPSL_NS1_7vsmem_tEENKUlT_SJ_SK_SL_E_clIPySE_SF_SF_EESI_SY_SJ_SK_SL_EUlSY_E1_NS1_11comp_targetILNS1_3genE8ELNS1_11target_archE1030ELNS1_3gpuE2ELNS1_3repE0EEENS1_36merge_oddeven_config_static_selectorELNS0_4arch9wavefront6targetE0EEEvSK_.num_named_barrier, 0
	.set _ZN7rocprim17ROCPRIM_400000_NS6detail17trampoline_kernelINS0_14default_configENS1_38merge_sort_block_merge_config_selectorIyNS0_10empty_typeEEEZZNS1_27merge_sort_block_merge_implIS3_N6thrust23THRUST_200600_302600_NS6detail15normal_iteratorINS9_10device_ptrIyEEEEPS5_m9comp_mod3IyEEE10hipError_tT0_T1_T2_jT3_P12ihipStream_tbPNSt15iterator_traitsISJ_E10value_typeEPNSP_ISK_E10value_typeEPSL_NS1_7vsmem_tEENKUlT_SJ_SK_SL_E_clIPySE_SF_SF_EESI_SY_SJ_SK_SL_EUlSY_E1_NS1_11comp_targetILNS1_3genE8ELNS1_11target_archE1030ELNS1_3gpuE2ELNS1_3repE0EEENS1_36merge_oddeven_config_static_selectorELNS0_4arch9wavefront6targetE0EEEvSK_.private_seg_size, 0
	.set _ZN7rocprim17ROCPRIM_400000_NS6detail17trampoline_kernelINS0_14default_configENS1_38merge_sort_block_merge_config_selectorIyNS0_10empty_typeEEEZZNS1_27merge_sort_block_merge_implIS3_N6thrust23THRUST_200600_302600_NS6detail15normal_iteratorINS9_10device_ptrIyEEEEPS5_m9comp_mod3IyEEE10hipError_tT0_T1_T2_jT3_P12ihipStream_tbPNSt15iterator_traitsISJ_E10value_typeEPNSP_ISK_E10value_typeEPSL_NS1_7vsmem_tEENKUlT_SJ_SK_SL_E_clIPySE_SF_SF_EESI_SY_SJ_SK_SL_EUlSY_E1_NS1_11comp_targetILNS1_3genE8ELNS1_11target_archE1030ELNS1_3gpuE2ELNS1_3repE0EEENS1_36merge_oddeven_config_static_selectorELNS0_4arch9wavefront6targetE0EEEvSK_.uses_vcc, 1
	.set _ZN7rocprim17ROCPRIM_400000_NS6detail17trampoline_kernelINS0_14default_configENS1_38merge_sort_block_merge_config_selectorIyNS0_10empty_typeEEEZZNS1_27merge_sort_block_merge_implIS3_N6thrust23THRUST_200600_302600_NS6detail15normal_iteratorINS9_10device_ptrIyEEEEPS5_m9comp_mod3IyEEE10hipError_tT0_T1_T2_jT3_P12ihipStream_tbPNSt15iterator_traitsISJ_E10value_typeEPNSP_ISK_E10value_typeEPSL_NS1_7vsmem_tEENKUlT_SJ_SK_SL_E_clIPySE_SF_SF_EESI_SY_SJ_SK_SL_EUlSY_E1_NS1_11comp_targetILNS1_3genE8ELNS1_11target_archE1030ELNS1_3gpuE2ELNS1_3repE0EEENS1_36merge_oddeven_config_static_selectorELNS0_4arch9wavefront6targetE0EEEvSK_.uses_flat_scratch, 0
	.set _ZN7rocprim17ROCPRIM_400000_NS6detail17trampoline_kernelINS0_14default_configENS1_38merge_sort_block_merge_config_selectorIyNS0_10empty_typeEEEZZNS1_27merge_sort_block_merge_implIS3_N6thrust23THRUST_200600_302600_NS6detail15normal_iteratorINS9_10device_ptrIyEEEEPS5_m9comp_mod3IyEEE10hipError_tT0_T1_T2_jT3_P12ihipStream_tbPNSt15iterator_traitsISJ_E10value_typeEPNSP_ISK_E10value_typeEPSL_NS1_7vsmem_tEENKUlT_SJ_SK_SL_E_clIPySE_SF_SF_EESI_SY_SJ_SK_SL_EUlSY_E1_NS1_11comp_targetILNS1_3genE8ELNS1_11target_archE1030ELNS1_3gpuE2ELNS1_3repE0EEENS1_36merge_oddeven_config_static_selectorELNS0_4arch9wavefront6targetE0EEEvSK_.has_dyn_sized_stack, 0
	.set _ZN7rocprim17ROCPRIM_400000_NS6detail17trampoline_kernelINS0_14default_configENS1_38merge_sort_block_merge_config_selectorIyNS0_10empty_typeEEEZZNS1_27merge_sort_block_merge_implIS3_N6thrust23THRUST_200600_302600_NS6detail15normal_iteratorINS9_10device_ptrIyEEEEPS5_m9comp_mod3IyEEE10hipError_tT0_T1_T2_jT3_P12ihipStream_tbPNSt15iterator_traitsISJ_E10value_typeEPNSP_ISK_E10value_typeEPSL_NS1_7vsmem_tEENKUlT_SJ_SK_SL_E_clIPySE_SF_SF_EESI_SY_SJ_SK_SL_EUlSY_E1_NS1_11comp_targetILNS1_3genE8ELNS1_11target_archE1030ELNS1_3gpuE2ELNS1_3repE0EEENS1_36merge_oddeven_config_static_selectorELNS0_4arch9wavefront6targetE0EEEvSK_.has_recursion, 0
	.set _ZN7rocprim17ROCPRIM_400000_NS6detail17trampoline_kernelINS0_14default_configENS1_38merge_sort_block_merge_config_selectorIyNS0_10empty_typeEEEZZNS1_27merge_sort_block_merge_implIS3_N6thrust23THRUST_200600_302600_NS6detail15normal_iteratorINS9_10device_ptrIyEEEEPS5_m9comp_mod3IyEEE10hipError_tT0_T1_T2_jT3_P12ihipStream_tbPNSt15iterator_traitsISJ_E10value_typeEPNSP_ISK_E10value_typeEPSL_NS1_7vsmem_tEENKUlT_SJ_SK_SL_E_clIPySE_SF_SF_EESI_SY_SJ_SK_SL_EUlSY_E1_NS1_11comp_targetILNS1_3genE8ELNS1_11target_archE1030ELNS1_3gpuE2ELNS1_3repE0EEENS1_36merge_oddeven_config_static_selectorELNS0_4arch9wavefront6targetE0EEEvSK_.has_indirect_call, 0
	.section	.AMDGPU.csdata,"",@progbits
; Kernel info:
; codeLenInByte = 940
; TotalNumSgprs: 20
; NumVgprs: 15
; ScratchSize: 0
; MemoryBound: 0
; FloatMode: 240
; IeeeMode: 1
; LDSByteSize: 0 bytes/workgroup (compile time only)
; SGPRBlocks: 0
; VGPRBlocks: 1
; NumSGPRsForWavesPerEU: 20
; NumVGPRsForWavesPerEU: 15
; Occupancy: 16
; WaveLimiterHint : 1
; COMPUTE_PGM_RSRC2:SCRATCH_EN: 0
; COMPUTE_PGM_RSRC2:USER_SGPR: 6
; COMPUTE_PGM_RSRC2:TRAP_HANDLER: 0
; COMPUTE_PGM_RSRC2:TGID_X_EN: 1
; COMPUTE_PGM_RSRC2:TGID_Y_EN: 0
; COMPUTE_PGM_RSRC2:TGID_Z_EN: 0
; COMPUTE_PGM_RSRC2:TIDIG_COMP_CNT: 0
	.section	.text._ZN7rocprim17ROCPRIM_400000_NS6detail17trampoline_kernelINS0_14default_configENS1_38merge_sort_block_merge_config_selectorIyNS0_10empty_typeEEEZZNS1_27merge_sort_block_merge_implIS3_N6thrust23THRUST_200600_302600_NS6detail15normal_iteratorINS9_10device_ptrIyEEEEPS5_m9comp_mod3IyEEE10hipError_tT0_T1_T2_jT3_P12ihipStream_tbPNSt15iterator_traitsISJ_E10value_typeEPNSP_ISK_E10value_typeEPSL_NS1_7vsmem_tEENKUlT_SJ_SK_SL_E_clISE_PySF_SF_EESI_SY_SJ_SK_SL_EUlSY_E_NS1_11comp_targetILNS1_3genE0ELNS1_11target_archE4294967295ELNS1_3gpuE0ELNS1_3repE0EEENS1_48merge_mergepath_partition_config_static_selectorELNS0_4arch9wavefront6targetE0EEEvSK_,"axG",@progbits,_ZN7rocprim17ROCPRIM_400000_NS6detail17trampoline_kernelINS0_14default_configENS1_38merge_sort_block_merge_config_selectorIyNS0_10empty_typeEEEZZNS1_27merge_sort_block_merge_implIS3_N6thrust23THRUST_200600_302600_NS6detail15normal_iteratorINS9_10device_ptrIyEEEEPS5_m9comp_mod3IyEEE10hipError_tT0_T1_T2_jT3_P12ihipStream_tbPNSt15iterator_traitsISJ_E10value_typeEPNSP_ISK_E10value_typeEPSL_NS1_7vsmem_tEENKUlT_SJ_SK_SL_E_clISE_PySF_SF_EESI_SY_SJ_SK_SL_EUlSY_E_NS1_11comp_targetILNS1_3genE0ELNS1_11target_archE4294967295ELNS1_3gpuE0ELNS1_3repE0EEENS1_48merge_mergepath_partition_config_static_selectorELNS0_4arch9wavefront6targetE0EEEvSK_,comdat
	.protected	_ZN7rocprim17ROCPRIM_400000_NS6detail17trampoline_kernelINS0_14default_configENS1_38merge_sort_block_merge_config_selectorIyNS0_10empty_typeEEEZZNS1_27merge_sort_block_merge_implIS3_N6thrust23THRUST_200600_302600_NS6detail15normal_iteratorINS9_10device_ptrIyEEEEPS5_m9comp_mod3IyEEE10hipError_tT0_T1_T2_jT3_P12ihipStream_tbPNSt15iterator_traitsISJ_E10value_typeEPNSP_ISK_E10value_typeEPSL_NS1_7vsmem_tEENKUlT_SJ_SK_SL_E_clISE_PySF_SF_EESI_SY_SJ_SK_SL_EUlSY_E_NS1_11comp_targetILNS1_3genE0ELNS1_11target_archE4294967295ELNS1_3gpuE0ELNS1_3repE0EEENS1_48merge_mergepath_partition_config_static_selectorELNS0_4arch9wavefront6targetE0EEEvSK_ ; -- Begin function _ZN7rocprim17ROCPRIM_400000_NS6detail17trampoline_kernelINS0_14default_configENS1_38merge_sort_block_merge_config_selectorIyNS0_10empty_typeEEEZZNS1_27merge_sort_block_merge_implIS3_N6thrust23THRUST_200600_302600_NS6detail15normal_iteratorINS9_10device_ptrIyEEEEPS5_m9comp_mod3IyEEE10hipError_tT0_T1_T2_jT3_P12ihipStream_tbPNSt15iterator_traitsISJ_E10value_typeEPNSP_ISK_E10value_typeEPSL_NS1_7vsmem_tEENKUlT_SJ_SK_SL_E_clISE_PySF_SF_EESI_SY_SJ_SK_SL_EUlSY_E_NS1_11comp_targetILNS1_3genE0ELNS1_11target_archE4294967295ELNS1_3gpuE0ELNS1_3repE0EEENS1_48merge_mergepath_partition_config_static_selectorELNS0_4arch9wavefront6targetE0EEEvSK_
	.globl	_ZN7rocprim17ROCPRIM_400000_NS6detail17trampoline_kernelINS0_14default_configENS1_38merge_sort_block_merge_config_selectorIyNS0_10empty_typeEEEZZNS1_27merge_sort_block_merge_implIS3_N6thrust23THRUST_200600_302600_NS6detail15normal_iteratorINS9_10device_ptrIyEEEEPS5_m9comp_mod3IyEEE10hipError_tT0_T1_T2_jT3_P12ihipStream_tbPNSt15iterator_traitsISJ_E10value_typeEPNSP_ISK_E10value_typeEPSL_NS1_7vsmem_tEENKUlT_SJ_SK_SL_E_clISE_PySF_SF_EESI_SY_SJ_SK_SL_EUlSY_E_NS1_11comp_targetILNS1_3genE0ELNS1_11target_archE4294967295ELNS1_3gpuE0ELNS1_3repE0EEENS1_48merge_mergepath_partition_config_static_selectorELNS0_4arch9wavefront6targetE0EEEvSK_
	.p2align	8
	.type	_ZN7rocprim17ROCPRIM_400000_NS6detail17trampoline_kernelINS0_14default_configENS1_38merge_sort_block_merge_config_selectorIyNS0_10empty_typeEEEZZNS1_27merge_sort_block_merge_implIS3_N6thrust23THRUST_200600_302600_NS6detail15normal_iteratorINS9_10device_ptrIyEEEEPS5_m9comp_mod3IyEEE10hipError_tT0_T1_T2_jT3_P12ihipStream_tbPNSt15iterator_traitsISJ_E10value_typeEPNSP_ISK_E10value_typeEPSL_NS1_7vsmem_tEENKUlT_SJ_SK_SL_E_clISE_PySF_SF_EESI_SY_SJ_SK_SL_EUlSY_E_NS1_11comp_targetILNS1_3genE0ELNS1_11target_archE4294967295ELNS1_3gpuE0ELNS1_3repE0EEENS1_48merge_mergepath_partition_config_static_selectorELNS0_4arch9wavefront6targetE0EEEvSK_,@function
_ZN7rocprim17ROCPRIM_400000_NS6detail17trampoline_kernelINS0_14default_configENS1_38merge_sort_block_merge_config_selectorIyNS0_10empty_typeEEEZZNS1_27merge_sort_block_merge_implIS3_N6thrust23THRUST_200600_302600_NS6detail15normal_iteratorINS9_10device_ptrIyEEEEPS5_m9comp_mod3IyEEE10hipError_tT0_T1_T2_jT3_P12ihipStream_tbPNSt15iterator_traitsISJ_E10value_typeEPNSP_ISK_E10value_typeEPSL_NS1_7vsmem_tEENKUlT_SJ_SK_SL_E_clISE_PySF_SF_EESI_SY_SJ_SK_SL_EUlSY_E_NS1_11comp_targetILNS1_3genE0ELNS1_11target_archE4294967295ELNS1_3gpuE0ELNS1_3repE0EEENS1_48merge_mergepath_partition_config_static_selectorELNS0_4arch9wavefront6targetE0EEEvSK_: ; @_ZN7rocprim17ROCPRIM_400000_NS6detail17trampoline_kernelINS0_14default_configENS1_38merge_sort_block_merge_config_selectorIyNS0_10empty_typeEEEZZNS1_27merge_sort_block_merge_implIS3_N6thrust23THRUST_200600_302600_NS6detail15normal_iteratorINS9_10device_ptrIyEEEEPS5_m9comp_mod3IyEEE10hipError_tT0_T1_T2_jT3_P12ihipStream_tbPNSt15iterator_traitsISJ_E10value_typeEPNSP_ISK_E10value_typeEPSL_NS1_7vsmem_tEENKUlT_SJ_SK_SL_E_clISE_PySF_SF_EESI_SY_SJ_SK_SL_EUlSY_E_NS1_11comp_targetILNS1_3genE0ELNS1_11target_archE4294967295ELNS1_3gpuE0ELNS1_3repE0EEENS1_48merge_mergepath_partition_config_static_selectorELNS0_4arch9wavefront6targetE0EEEvSK_
; %bb.0:
	.section	.rodata,"a",@progbits
	.p2align	6, 0x0
	.amdhsa_kernel _ZN7rocprim17ROCPRIM_400000_NS6detail17trampoline_kernelINS0_14default_configENS1_38merge_sort_block_merge_config_selectorIyNS0_10empty_typeEEEZZNS1_27merge_sort_block_merge_implIS3_N6thrust23THRUST_200600_302600_NS6detail15normal_iteratorINS9_10device_ptrIyEEEEPS5_m9comp_mod3IyEEE10hipError_tT0_T1_T2_jT3_P12ihipStream_tbPNSt15iterator_traitsISJ_E10value_typeEPNSP_ISK_E10value_typeEPSL_NS1_7vsmem_tEENKUlT_SJ_SK_SL_E_clISE_PySF_SF_EESI_SY_SJ_SK_SL_EUlSY_E_NS1_11comp_targetILNS1_3genE0ELNS1_11target_archE4294967295ELNS1_3gpuE0ELNS1_3repE0EEENS1_48merge_mergepath_partition_config_static_selectorELNS0_4arch9wavefront6targetE0EEEvSK_
		.amdhsa_group_segment_fixed_size 0
		.amdhsa_private_segment_fixed_size 0
		.amdhsa_kernarg_size 48
		.amdhsa_user_sgpr_count 6
		.amdhsa_user_sgpr_private_segment_buffer 1
		.amdhsa_user_sgpr_dispatch_ptr 0
		.amdhsa_user_sgpr_queue_ptr 0
		.amdhsa_user_sgpr_kernarg_segment_ptr 1
		.amdhsa_user_sgpr_dispatch_id 0
		.amdhsa_user_sgpr_flat_scratch_init 0
		.amdhsa_user_sgpr_private_segment_size 0
		.amdhsa_wavefront_size32 1
		.amdhsa_uses_dynamic_stack 0
		.amdhsa_system_sgpr_private_segment_wavefront_offset 0
		.amdhsa_system_sgpr_workgroup_id_x 1
		.amdhsa_system_sgpr_workgroup_id_y 0
		.amdhsa_system_sgpr_workgroup_id_z 0
		.amdhsa_system_sgpr_workgroup_info 0
		.amdhsa_system_vgpr_workitem_id 0
		.amdhsa_next_free_vgpr 1
		.amdhsa_next_free_sgpr 1
		.amdhsa_reserve_vcc 0
		.amdhsa_reserve_flat_scratch 0
		.amdhsa_float_round_mode_32 0
		.amdhsa_float_round_mode_16_64 0
		.amdhsa_float_denorm_mode_32 3
		.amdhsa_float_denorm_mode_16_64 3
		.amdhsa_dx10_clamp 1
		.amdhsa_ieee_mode 1
		.amdhsa_fp16_overflow 0
		.amdhsa_workgroup_processor_mode 1
		.amdhsa_memory_ordered 1
		.amdhsa_forward_progress 1
		.amdhsa_shared_vgpr_count 0
		.amdhsa_exception_fp_ieee_invalid_op 0
		.amdhsa_exception_fp_denorm_src 0
		.amdhsa_exception_fp_ieee_div_zero 0
		.amdhsa_exception_fp_ieee_overflow 0
		.amdhsa_exception_fp_ieee_underflow 0
		.amdhsa_exception_fp_ieee_inexact 0
		.amdhsa_exception_int_div_zero 0
	.end_amdhsa_kernel
	.section	.text._ZN7rocprim17ROCPRIM_400000_NS6detail17trampoline_kernelINS0_14default_configENS1_38merge_sort_block_merge_config_selectorIyNS0_10empty_typeEEEZZNS1_27merge_sort_block_merge_implIS3_N6thrust23THRUST_200600_302600_NS6detail15normal_iteratorINS9_10device_ptrIyEEEEPS5_m9comp_mod3IyEEE10hipError_tT0_T1_T2_jT3_P12ihipStream_tbPNSt15iterator_traitsISJ_E10value_typeEPNSP_ISK_E10value_typeEPSL_NS1_7vsmem_tEENKUlT_SJ_SK_SL_E_clISE_PySF_SF_EESI_SY_SJ_SK_SL_EUlSY_E_NS1_11comp_targetILNS1_3genE0ELNS1_11target_archE4294967295ELNS1_3gpuE0ELNS1_3repE0EEENS1_48merge_mergepath_partition_config_static_selectorELNS0_4arch9wavefront6targetE0EEEvSK_,"axG",@progbits,_ZN7rocprim17ROCPRIM_400000_NS6detail17trampoline_kernelINS0_14default_configENS1_38merge_sort_block_merge_config_selectorIyNS0_10empty_typeEEEZZNS1_27merge_sort_block_merge_implIS3_N6thrust23THRUST_200600_302600_NS6detail15normal_iteratorINS9_10device_ptrIyEEEEPS5_m9comp_mod3IyEEE10hipError_tT0_T1_T2_jT3_P12ihipStream_tbPNSt15iterator_traitsISJ_E10value_typeEPNSP_ISK_E10value_typeEPSL_NS1_7vsmem_tEENKUlT_SJ_SK_SL_E_clISE_PySF_SF_EESI_SY_SJ_SK_SL_EUlSY_E_NS1_11comp_targetILNS1_3genE0ELNS1_11target_archE4294967295ELNS1_3gpuE0ELNS1_3repE0EEENS1_48merge_mergepath_partition_config_static_selectorELNS0_4arch9wavefront6targetE0EEEvSK_,comdat
.Lfunc_end783:
	.size	_ZN7rocprim17ROCPRIM_400000_NS6detail17trampoline_kernelINS0_14default_configENS1_38merge_sort_block_merge_config_selectorIyNS0_10empty_typeEEEZZNS1_27merge_sort_block_merge_implIS3_N6thrust23THRUST_200600_302600_NS6detail15normal_iteratorINS9_10device_ptrIyEEEEPS5_m9comp_mod3IyEEE10hipError_tT0_T1_T2_jT3_P12ihipStream_tbPNSt15iterator_traitsISJ_E10value_typeEPNSP_ISK_E10value_typeEPSL_NS1_7vsmem_tEENKUlT_SJ_SK_SL_E_clISE_PySF_SF_EESI_SY_SJ_SK_SL_EUlSY_E_NS1_11comp_targetILNS1_3genE0ELNS1_11target_archE4294967295ELNS1_3gpuE0ELNS1_3repE0EEENS1_48merge_mergepath_partition_config_static_selectorELNS0_4arch9wavefront6targetE0EEEvSK_, .Lfunc_end783-_ZN7rocprim17ROCPRIM_400000_NS6detail17trampoline_kernelINS0_14default_configENS1_38merge_sort_block_merge_config_selectorIyNS0_10empty_typeEEEZZNS1_27merge_sort_block_merge_implIS3_N6thrust23THRUST_200600_302600_NS6detail15normal_iteratorINS9_10device_ptrIyEEEEPS5_m9comp_mod3IyEEE10hipError_tT0_T1_T2_jT3_P12ihipStream_tbPNSt15iterator_traitsISJ_E10value_typeEPNSP_ISK_E10value_typeEPSL_NS1_7vsmem_tEENKUlT_SJ_SK_SL_E_clISE_PySF_SF_EESI_SY_SJ_SK_SL_EUlSY_E_NS1_11comp_targetILNS1_3genE0ELNS1_11target_archE4294967295ELNS1_3gpuE0ELNS1_3repE0EEENS1_48merge_mergepath_partition_config_static_selectorELNS0_4arch9wavefront6targetE0EEEvSK_
                                        ; -- End function
	.set _ZN7rocprim17ROCPRIM_400000_NS6detail17trampoline_kernelINS0_14default_configENS1_38merge_sort_block_merge_config_selectorIyNS0_10empty_typeEEEZZNS1_27merge_sort_block_merge_implIS3_N6thrust23THRUST_200600_302600_NS6detail15normal_iteratorINS9_10device_ptrIyEEEEPS5_m9comp_mod3IyEEE10hipError_tT0_T1_T2_jT3_P12ihipStream_tbPNSt15iterator_traitsISJ_E10value_typeEPNSP_ISK_E10value_typeEPSL_NS1_7vsmem_tEENKUlT_SJ_SK_SL_E_clISE_PySF_SF_EESI_SY_SJ_SK_SL_EUlSY_E_NS1_11comp_targetILNS1_3genE0ELNS1_11target_archE4294967295ELNS1_3gpuE0ELNS1_3repE0EEENS1_48merge_mergepath_partition_config_static_selectorELNS0_4arch9wavefront6targetE0EEEvSK_.num_vgpr, 0
	.set _ZN7rocprim17ROCPRIM_400000_NS6detail17trampoline_kernelINS0_14default_configENS1_38merge_sort_block_merge_config_selectorIyNS0_10empty_typeEEEZZNS1_27merge_sort_block_merge_implIS3_N6thrust23THRUST_200600_302600_NS6detail15normal_iteratorINS9_10device_ptrIyEEEEPS5_m9comp_mod3IyEEE10hipError_tT0_T1_T2_jT3_P12ihipStream_tbPNSt15iterator_traitsISJ_E10value_typeEPNSP_ISK_E10value_typeEPSL_NS1_7vsmem_tEENKUlT_SJ_SK_SL_E_clISE_PySF_SF_EESI_SY_SJ_SK_SL_EUlSY_E_NS1_11comp_targetILNS1_3genE0ELNS1_11target_archE4294967295ELNS1_3gpuE0ELNS1_3repE0EEENS1_48merge_mergepath_partition_config_static_selectorELNS0_4arch9wavefront6targetE0EEEvSK_.num_agpr, 0
	.set _ZN7rocprim17ROCPRIM_400000_NS6detail17trampoline_kernelINS0_14default_configENS1_38merge_sort_block_merge_config_selectorIyNS0_10empty_typeEEEZZNS1_27merge_sort_block_merge_implIS3_N6thrust23THRUST_200600_302600_NS6detail15normal_iteratorINS9_10device_ptrIyEEEEPS5_m9comp_mod3IyEEE10hipError_tT0_T1_T2_jT3_P12ihipStream_tbPNSt15iterator_traitsISJ_E10value_typeEPNSP_ISK_E10value_typeEPSL_NS1_7vsmem_tEENKUlT_SJ_SK_SL_E_clISE_PySF_SF_EESI_SY_SJ_SK_SL_EUlSY_E_NS1_11comp_targetILNS1_3genE0ELNS1_11target_archE4294967295ELNS1_3gpuE0ELNS1_3repE0EEENS1_48merge_mergepath_partition_config_static_selectorELNS0_4arch9wavefront6targetE0EEEvSK_.numbered_sgpr, 0
	.set _ZN7rocprim17ROCPRIM_400000_NS6detail17trampoline_kernelINS0_14default_configENS1_38merge_sort_block_merge_config_selectorIyNS0_10empty_typeEEEZZNS1_27merge_sort_block_merge_implIS3_N6thrust23THRUST_200600_302600_NS6detail15normal_iteratorINS9_10device_ptrIyEEEEPS5_m9comp_mod3IyEEE10hipError_tT0_T1_T2_jT3_P12ihipStream_tbPNSt15iterator_traitsISJ_E10value_typeEPNSP_ISK_E10value_typeEPSL_NS1_7vsmem_tEENKUlT_SJ_SK_SL_E_clISE_PySF_SF_EESI_SY_SJ_SK_SL_EUlSY_E_NS1_11comp_targetILNS1_3genE0ELNS1_11target_archE4294967295ELNS1_3gpuE0ELNS1_3repE0EEENS1_48merge_mergepath_partition_config_static_selectorELNS0_4arch9wavefront6targetE0EEEvSK_.num_named_barrier, 0
	.set _ZN7rocprim17ROCPRIM_400000_NS6detail17trampoline_kernelINS0_14default_configENS1_38merge_sort_block_merge_config_selectorIyNS0_10empty_typeEEEZZNS1_27merge_sort_block_merge_implIS3_N6thrust23THRUST_200600_302600_NS6detail15normal_iteratorINS9_10device_ptrIyEEEEPS5_m9comp_mod3IyEEE10hipError_tT0_T1_T2_jT3_P12ihipStream_tbPNSt15iterator_traitsISJ_E10value_typeEPNSP_ISK_E10value_typeEPSL_NS1_7vsmem_tEENKUlT_SJ_SK_SL_E_clISE_PySF_SF_EESI_SY_SJ_SK_SL_EUlSY_E_NS1_11comp_targetILNS1_3genE0ELNS1_11target_archE4294967295ELNS1_3gpuE0ELNS1_3repE0EEENS1_48merge_mergepath_partition_config_static_selectorELNS0_4arch9wavefront6targetE0EEEvSK_.private_seg_size, 0
	.set _ZN7rocprim17ROCPRIM_400000_NS6detail17trampoline_kernelINS0_14default_configENS1_38merge_sort_block_merge_config_selectorIyNS0_10empty_typeEEEZZNS1_27merge_sort_block_merge_implIS3_N6thrust23THRUST_200600_302600_NS6detail15normal_iteratorINS9_10device_ptrIyEEEEPS5_m9comp_mod3IyEEE10hipError_tT0_T1_T2_jT3_P12ihipStream_tbPNSt15iterator_traitsISJ_E10value_typeEPNSP_ISK_E10value_typeEPSL_NS1_7vsmem_tEENKUlT_SJ_SK_SL_E_clISE_PySF_SF_EESI_SY_SJ_SK_SL_EUlSY_E_NS1_11comp_targetILNS1_3genE0ELNS1_11target_archE4294967295ELNS1_3gpuE0ELNS1_3repE0EEENS1_48merge_mergepath_partition_config_static_selectorELNS0_4arch9wavefront6targetE0EEEvSK_.uses_vcc, 0
	.set _ZN7rocprim17ROCPRIM_400000_NS6detail17trampoline_kernelINS0_14default_configENS1_38merge_sort_block_merge_config_selectorIyNS0_10empty_typeEEEZZNS1_27merge_sort_block_merge_implIS3_N6thrust23THRUST_200600_302600_NS6detail15normal_iteratorINS9_10device_ptrIyEEEEPS5_m9comp_mod3IyEEE10hipError_tT0_T1_T2_jT3_P12ihipStream_tbPNSt15iterator_traitsISJ_E10value_typeEPNSP_ISK_E10value_typeEPSL_NS1_7vsmem_tEENKUlT_SJ_SK_SL_E_clISE_PySF_SF_EESI_SY_SJ_SK_SL_EUlSY_E_NS1_11comp_targetILNS1_3genE0ELNS1_11target_archE4294967295ELNS1_3gpuE0ELNS1_3repE0EEENS1_48merge_mergepath_partition_config_static_selectorELNS0_4arch9wavefront6targetE0EEEvSK_.uses_flat_scratch, 0
	.set _ZN7rocprim17ROCPRIM_400000_NS6detail17trampoline_kernelINS0_14default_configENS1_38merge_sort_block_merge_config_selectorIyNS0_10empty_typeEEEZZNS1_27merge_sort_block_merge_implIS3_N6thrust23THRUST_200600_302600_NS6detail15normal_iteratorINS9_10device_ptrIyEEEEPS5_m9comp_mod3IyEEE10hipError_tT0_T1_T2_jT3_P12ihipStream_tbPNSt15iterator_traitsISJ_E10value_typeEPNSP_ISK_E10value_typeEPSL_NS1_7vsmem_tEENKUlT_SJ_SK_SL_E_clISE_PySF_SF_EESI_SY_SJ_SK_SL_EUlSY_E_NS1_11comp_targetILNS1_3genE0ELNS1_11target_archE4294967295ELNS1_3gpuE0ELNS1_3repE0EEENS1_48merge_mergepath_partition_config_static_selectorELNS0_4arch9wavefront6targetE0EEEvSK_.has_dyn_sized_stack, 0
	.set _ZN7rocprim17ROCPRIM_400000_NS6detail17trampoline_kernelINS0_14default_configENS1_38merge_sort_block_merge_config_selectorIyNS0_10empty_typeEEEZZNS1_27merge_sort_block_merge_implIS3_N6thrust23THRUST_200600_302600_NS6detail15normal_iteratorINS9_10device_ptrIyEEEEPS5_m9comp_mod3IyEEE10hipError_tT0_T1_T2_jT3_P12ihipStream_tbPNSt15iterator_traitsISJ_E10value_typeEPNSP_ISK_E10value_typeEPSL_NS1_7vsmem_tEENKUlT_SJ_SK_SL_E_clISE_PySF_SF_EESI_SY_SJ_SK_SL_EUlSY_E_NS1_11comp_targetILNS1_3genE0ELNS1_11target_archE4294967295ELNS1_3gpuE0ELNS1_3repE0EEENS1_48merge_mergepath_partition_config_static_selectorELNS0_4arch9wavefront6targetE0EEEvSK_.has_recursion, 0
	.set _ZN7rocprim17ROCPRIM_400000_NS6detail17trampoline_kernelINS0_14default_configENS1_38merge_sort_block_merge_config_selectorIyNS0_10empty_typeEEEZZNS1_27merge_sort_block_merge_implIS3_N6thrust23THRUST_200600_302600_NS6detail15normal_iteratorINS9_10device_ptrIyEEEEPS5_m9comp_mod3IyEEE10hipError_tT0_T1_T2_jT3_P12ihipStream_tbPNSt15iterator_traitsISJ_E10value_typeEPNSP_ISK_E10value_typeEPSL_NS1_7vsmem_tEENKUlT_SJ_SK_SL_E_clISE_PySF_SF_EESI_SY_SJ_SK_SL_EUlSY_E_NS1_11comp_targetILNS1_3genE0ELNS1_11target_archE4294967295ELNS1_3gpuE0ELNS1_3repE0EEENS1_48merge_mergepath_partition_config_static_selectorELNS0_4arch9wavefront6targetE0EEEvSK_.has_indirect_call, 0
	.section	.AMDGPU.csdata,"",@progbits
; Kernel info:
; codeLenInByte = 0
; TotalNumSgprs: 0
; NumVgprs: 0
; ScratchSize: 0
; MemoryBound: 0
; FloatMode: 240
; IeeeMode: 1
; LDSByteSize: 0 bytes/workgroup (compile time only)
; SGPRBlocks: 0
; VGPRBlocks: 0
; NumSGPRsForWavesPerEU: 1
; NumVGPRsForWavesPerEU: 1
; Occupancy: 16
; WaveLimiterHint : 0
; COMPUTE_PGM_RSRC2:SCRATCH_EN: 0
; COMPUTE_PGM_RSRC2:USER_SGPR: 6
; COMPUTE_PGM_RSRC2:TRAP_HANDLER: 0
; COMPUTE_PGM_RSRC2:TGID_X_EN: 1
; COMPUTE_PGM_RSRC2:TGID_Y_EN: 0
; COMPUTE_PGM_RSRC2:TGID_Z_EN: 0
; COMPUTE_PGM_RSRC2:TIDIG_COMP_CNT: 0
	.section	.text._ZN7rocprim17ROCPRIM_400000_NS6detail17trampoline_kernelINS0_14default_configENS1_38merge_sort_block_merge_config_selectorIyNS0_10empty_typeEEEZZNS1_27merge_sort_block_merge_implIS3_N6thrust23THRUST_200600_302600_NS6detail15normal_iteratorINS9_10device_ptrIyEEEEPS5_m9comp_mod3IyEEE10hipError_tT0_T1_T2_jT3_P12ihipStream_tbPNSt15iterator_traitsISJ_E10value_typeEPNSP_ISK_E10value_typeEPSL_NS1_7vsmem_tEENKUlT_SJ_SK_SL_E_clISE_PySF_SF_EESI_SY_SJ_SK_SL_EUlSY_E_NS1_11comp_targetILNS1_3genE10ELNS1_11target_archE1201ELNS1_3gpuE5ELNS1_3repE0EEENS1_48merge_mergepath_partition_config_static_selectorELNS0_4arch9wavefront6targetE0EEEvSK_,"axG",@progbits,_ZN7rocprim17ROCPRIM_400000_NS6detail17trampoline_kernelINS0_14default_configENS1_38merge_sort_block_merge_config_selectorIyNS0_10empty_typeEEEZZNS1_27merge_sort_block_merge_implIS3_N6thrust23THRUST_200600_302600_NS6detail15normal_iteratorINS9_10device_ptrIyEEEEPS5_m9comp_mod3IyEEE10hipError_tT0_T1_T2_jT3_P12ihipStream_tbPNSt15iterator_traitsISJ_E10value_typeEPNSP_ISK_E10value_typeEPSL_NS1_7vsmem_tEENKUlT_SJ_SK_SL_E_clISE_PySF_SF_EESI_SY_SJ_SK_SL_EUlSY_E_NS1_11comp_targetILNS1_3genE10ELNS1_11target_archE1201ELNS1_3gpuE5ELNS1_3repE0EEENS1_48merge_mergepath_partition_config_static_selectorELNS0_4arch9wavefront6targetE0EEEvSK_,comdat
	.protected	_ZN7rocprim17ROCPRIM_400000_NS6detail17trampoline_kernelINS0_14default_configENS1_38merge_sort_block_merge_config_selectorIyNS0_10empty_typeEEEZZNS1_27merge_sort_block_merge_implIS3_N6thrust23THRUST_200600_302600_NS6detail15normal_iteratorINS9_10device_ptrIyEEEEPS5_m9comp_mod3IyEEE10hipError_tT0_T1_T2_jT3_P12ihipStream_tbPNSt15iterator_traitsISJ_E10value_typeEPNSP_ISK_E10value_typeEPSL_NS1_7vsmem_tEENKUlT_SJ_SK_SL_E_clISE_PySF_SF_EESI_SY_SJ_SK_SL_EUlSY_E_NS1_11comp_targetILNS1_3genE10ELNS1_11target_archE1201ELNS1_3gpuE5ELNS1_3repE0EEENS1_48merge_mergepath_partition_config_static_selectorELNS0_4arch9wavefront6targetE0EEEvSK_ ; -- Begin function _ZN7rocprim17ROCPRIM_400000_NS6detail17trampoline_kernelINS0_14default_configENS1_38merge_sort_block_merge_config_selectorIyNS0_10empty_typeEEEZZNS1_27merge_sort_block_merge_implIS3_N6thrust23THRUST_200600_302600_NS6detail15normal_iteratorINS9_10device_ptrIyEEEEPS5_m9comp_mod3IyEEE10hipError_tT0_T1_T2_jT3_P12ihipStream_tbPNSt15iterator_traitsISJ_E10value_typeEPNSP_ISK_E10value_typeEPSL_NS1_7vsmem_tEENKUlT_SJ_SK_SL_E_clISE_PySF_SF_EESI_SY_SJ_SK_SL_EUlSY_E_NS1_11comp_targetILNS1_3genE10ELNS1_11target_archE1201ELNS1_3gpuE5ELNS1_3repE0EEENS1_48merge_mergepath_partition_config_static_selectorELNS0_4arch9wavefront6targetE0EEEvSK_
	.globl	_ZN7rocprim17ROCPRIM_400000_NS6detail17trampoline_kernelINS0_14default_configENS1_38merge_sort_block_merge_config_selectorIyNS0_10empty_typeEEEZZNS1_27merge_sort_block_merge_implIS3_N6thrust23THRUST_200600_302600_NS6detail15normal_iteratorINS9_10device_ptrIyEEEEPS5_m9comp_mod3IyEEE10hipError_tT0_T1_T2_jT3_P12ihipStream_tbPNSt15iterator_traitsISJ_E10value_typeEPNSP_ISK_E10value_typeEPSL_NS1_7vsmem_tEENKUlT_SJ_SK_SL_E_clISE_PySF_SF_EESI_SY_SJ_SK_SL_EUlSY_E_NS1_11comp_targetILNS1_3genE10ELNS1_11target_archE1201ELNS1_3gpuE5ELNS1_3repE0EEENS1_48merge_mergepath_partition_config_static_selectorELNS0_4arch9wavefront6targetE0EEEvSK_
	.p2align	8
	.type	_ZN7rocprim17ROCPRIM_400000_NS6detail17trampoline_kernelINS0_14default_configENS1_38merge_sort_block_merge_config_selectorIyNS0_10empty_typeEEEZZNS1_27merge_sort_block_merge_implIS3_N6thrust23THRUST_200600_302600_NS6detail15normal_iteratorINS9_10device_ptrIyEEEEPS5_m9comp_mod3IyEEE10hipError_tT0_T1_T2_jT3_P12ihipStream_tbPNSt15iterator_traitsISJ_E10value_typeEPNSP_ISK_E10value_typeEPSL_NS1_7vsmem_tEENKUlT_SJ_SK_SL_E_clISE_PySF_SF_EESI_SY_SJ_SK_SL_EUlSY_E_NS1_11comp_targetILNS1_3genE10ELNS1_11target_archE1201ELNS1_3gpuE5ELNS1_3repE0EEENS1_48merge_mergepath_partition_config_static_selectorELNS0_4arch9wavefront6targetE0EEEvSK_,@function
_ZN7rocprim17ROCPRIM_400000_NS6detail17trampoline_kernelINS0_14default_configENS1_38merge_sort_block_merge_config_selectorIyNS0_10empty_typeEEEZZNS1_27merge_sort_block_merge_implIS3_N6thrust23THRUST_200600_302600_NS6detail15normal_iteratorINS9_10device_ptrIyEEEEPS5_m9comp_mod3IyEEE10hipError_tT0_T1_T2_jT3_P12ihipStream_tbPNSt15iterator_traitsISJ_E10value_typeEPNSP_ISK_E10value_typeEPSL_NS1_7vsmem_tEENKUlT_SJ_SK_SL_E_clISE_PySF_SF_EESI_SY_SJ_SK_SL_EUlSY_E_NS1_11comp_targetILNS1_3genE10ELNS1_11target_archE1201ELNS1_3gpuE5ELNS1_3repE0EEENS1_48merge_mergepath_partition_config_static_selectorELNS0_4arch9wavefront6targetE0EEEvSK_: ; @_ZN7rocprim17ROCPRIM_400000_NS6detail17trampoline_kernelINS0_14default_configENS1_38merge_sort_block_merge_config_selectorIyNS0_10empty_typeEEEZZNS1_27merge_sort_block_merge_implIS3_N6thrust23THRUST_200600_302600_NS6detail15normal_iteratorINS9_10device_ptrIyEEEEPS5_m9comp_mod3IyEEE10hipError_tT0_T1_T2_jT3_P12ihipStream_tbPNSt15iterator_traitsISJ_E10value_typeEPNSP_ISK_E10value_typeEPSL_NS1_7vsmem_tEENKUlT_SJ_SK_SL_E_clISE_PySF_SF_EESI_SY_SJ_SK_SL_EUlSY_E_NS1_11comp_targetILNS1_3genE10ELNS1_11target_archE1201ELNS1_3gpuE5ELNS1_3repE0EEENS1_48merge_mergepath_partition_config_static_selectorELNS0_4arch9wavefront6targetE0EEEvSK_
; %bb.0:
	.section	.rodata,"a",@progbits
	.p2align	6, 0x0
	.amdhsa_kernel _ZN7rocprim17ROCPRIM_400000_NS6detail17trampoline_kernelINS0_14default_configENS1_38merge_sort_block_merge_config_selectorIyNS0_10empty_typeEEEZZNS1_27merge_sort_block_merge_implIS3_N6thrust23THRUST_200600_302600_NS6detail15normal_iteratorINS9_10device_ptrIyEEEEPS5_m9comp_mod3IyEEE10hipError_tT0_T1_T2_jT3_P12ihipStream_tbPNSt15iterator_traitsISJ_E10value_typeEPNSP_ISK_E10value_typeEPSL_NS1_7vsmem_tEENKUlT_SJ_SK_SL_E_clISE_PySF_SF_EESI_SY_SJ_SK_SL_EUlSY_E_NS1_11comp_targetILNS1_3genE10ELNS1_11target_archE1201ELNS1_3gpuE5ELNS1_3repE0EEENS1_48merge_mergepath_partition_config_static_selectorELNS0_4arch9wavefront6targetE0EEEvSK_
		.amdhsa_group_segment_fixed_size 0
		.amdhsa_private_segment_fixed_size 0
		.amdhsa_kernarg_size 48
		.amdhsa_user_sgpr_count 6
		.amdhsa_user_sgpr_private_segment_buffer 1
		.amdhsa_user_sgpr_dispatch_ptr 0
		.amdhsa_user_sgpr_queue_ptr 0
		.amdhsa_user_sgpr_kernarg_segment_ptr 1
		.amdhsa_user_sgpr_dispatch_id 0
		.amdhsa_user_sgpr_flat_scratch_init 0
		.amdhsa_user_sgpr_private_segment_size 0
		.amdhsa_wavefront_size32 1
		.amdhsa_uses_dynamic_stack 0
		.amdhsa_system_sgpr_private_segment_wavefront_offset 0
		.amdhsa_system_sgpr_workgroup_id_x 1
		.amdhsa_system_sgpr_workgroup_id_y 0
		.amdhsa_system_sgpr_workgroup_id_z 0
		.amdhsa_system_sgpr_workgroup_info 0
		.amdhsa_system_vgpr_workitem_id 0
		.amdhsa_next_free_vgpr 1
		.amdhsa_next_free_sgpr 1
		.amdhsa_reserve_vcc 0
		.amdhsa_reserve_flat_scratch 0
		.amdhsa_float_round_mode_32 0
		.amdhsa_float_round_mode_16_64 0
		.amdhsa_float_denorm_mode_32 3
		.amdhsa_float_denorm_mode_16_64 3
		.amdhsa_dx10_clamp 1
		.amdhsa_ieee_mode 1
		.amdhsa_fp16_overflow 0
		.amdhsa_workgroup_processor_mode 1
		.amdhsa_memory_ordered 1
		.amdhsa_forward_progress 1
		.amdhsa_shared_vgpr_count 0
		.amdhsa_exception_fp_ieee_invalid_op 0
		.amdhsa_exception_fp_denorm_src 0
		.amdhsa_exception_fp_ieee_div_zero 0
		.amdhsa_exception_fp_ieee_overflow 0
		.amdhsa_exception_fp_ieee_underflow 0
		.amdhsa_exception_fp_ieee_inexact 0
		.amdhsa_exception_int_div_zero 0
	.end_amdhsa_kernel
	.section	.text._ZN7rocprim17ROCPRIM_400000_NS6detail17trampoline_kernelINS0_14default_configENS1_38merge_sort_block_merge_config_selectorIyNS0_10empty_typeEEEZZNS1_27merge_sort_block_merge_implIS3_N6thrust23THRUST_200600_302600_NS6detail15normal_iteratorINS9_10device_ptrIyEEEEPS5_m9comp_mod3IyEEE10hipError_tT0_T1_T2_jT3_P12ihipStream_tbPNSt15iterator_traitsISJ_E10value_typeEPNSP_ISK_E10value_typeEPSL_NS1_7vsmem_tEENKUlT_SJ_SK_SL_E_clISE_PySF_SF_EESI_SY_SJ_SK_SL_EUlSY_E_NS1_11comp_targetILNS1_3genE10ELNS1_11target_archE1201ELNS1_3gpuE5ELNS1_3repE0EEENS1_48merge_mergepath_partition_config_static_selectorELNS0_4arch9wavefront6targetE0EEEvSK_,"axG",@progbits,_ZN7rocprim17ROCPRIM_400000_NS6detail17trampoline_kernelINS0_14default_configENS1_38merge_sort_block_merge_config_selectorIyNS0_10empty_typeEEEZZNS1_27merge_sort_block_merge_implIS3_N6thrust23THRUST_200600_302600_NS6detail15normal_iteratorINS9_10device_ptrIyEEEEPS5_m9comp_mod3IyEEE10hipError_tT0_T1_T2_jT3_P12ihipStream_tbPNSt15iterator_traitsISJ_E10value_typeEPNSP_ISK_E10value_typeEPSL_NS1_7vsmem_tEENKUlT_SJ_SK_SL_E_clISE_PySF_SF_EESI_SY_SJ_SK_SL_EUlSY_E_NS1_11comp_targetILNS1_3genE10ELNS1_11target_archE1201ELNS1_3gpuE5ELNS1_3repE0EEENS1_48merge_mergepath_partition_config_static_selectorELNS0_4arch9wavefront6targetE0EEEvSK_,comdat
.Lfunc_end784:
	.size	_ZN7rocprim17ROCPRIM_400000_NS6detail17trampoline_kernelINS0_14default_configENS1_38merge_sort_block_merge_config_selectorIyNS0_10empty_typeEEEZZNS1_27merge_sort_block_merge_implIS3_N6thrust23THRUST_200600_302600_NS6detail15normal_iteratorINS9_10device_ptrIyEEEEPS5_m9comp_mod3IyEEE10hipError_tT0_T1_T2_jT3_P12ihipStream_tbPNSt15iterator_traitsISJ_E10value_typeEPNSP_ISK_E10value_typeEPSL_NS1_7vsmem_tEENKUlT_SJ_SK_SL_E_clISE_PySF_SF_EESI_SY_SJ_SK_SL_EUlSY_E_NS1_11comp_targetILNS1_3genE10ELNS1_11target_archE1201ELNS1_3gpuE5ELNS1_3repE0EEENS1_48merge_mergepath_partition_config_static_selectorELNS0_4arch9wavefront6targetE0EEEvSK_, .Lfunc_end784-_ZN7rocprim17ROCPRIM_400000_NS6detail17trampoline_kernelINS0_14default_configENS1_38merge_sort_block_merge_config_selectorIyNS0_10empty_typeEEEZZNS1_27merge_sort_block_merge_implIS3_N6thrust23THRUST_200600_302600_NS6detail15normal_iteratorINS9_10device_ptrIyEEEEPS5_m9comp_mod3IyEEE10hipError_tT0_T1_T2_jT3_P12ihipStream_tbPNSt15iterator_traitsISJ_E10value_typeEPNSP_ISK_E10value_typeEPSL_NS1_7vsmem_tEENKUlT_SJ_SK_SL_E_clISE_PySF_SF_EESI_SY_SJ_SK_SL_EUlSY_E_NS1_11comp_targetILNS1_3genE10ELNS1_11target_archE1201ELNS1_3gpuE5ELNS1_3repE0EEENS1_48merge_mergepath_partition_config_static_selectorELNS0_4arch9wavefront6targetE0EEEvSK_
                                        ; -- End function
	.set _ZN7rocprim17ROCPRIM_400000_NS6detail17trampoline_kernelINS0_14default_configENS1_38merge_sort_block_merge_config_selectorIyNS0_10empty_typeEEEZZNS1_27merge_sort_block_merge_implIS3_N6thrust23THRUST_200600_302600_NS6detail15normal_iteratorINS9_10device_ptrIyEEEEPS5_m9comp_mod3IyEEE10hipError_tT0_T1_T2_jT3_P12ihipStream_tbPNSt15iterator_traitsISJ_E10value_typeEPNSP_ISK_E10value_typeEPSL_NS1_7vsmem_tEENKUlT_SJ_SK_SL_E_clISE_PySF_SF_EESI_SY_SJ_SK_SL_EUlSY_E_NS1_11comp_targetILNS1_3genE10ELNS1_11target_archE1201ELNS1_3gpuE5ELNS1_3repE0EEENS1_48merge_mergepath_partition_config_static_selectorELNS0_4arch9wavefront6targetE0EEEvSK_.num_vgpr, 0
	.set _ZN7rocprim17ROCPRIM_400000_NS6detail17trampoline_kernelINS0_14default_configENS1_38merge_sort_block_merge_config_selectorIyNS0_10empty_typeEEEZZNS1_27merge_sort_block_merge_implIS3_N6thrust23THRUST_200600_302600_NS6detail15normal_iteratorINS9_10device_ptrIyEEEEPS5_m9comp_mod3IyEEE10hipError_tT0_T1_T2_jT3_P12ihipStream_tbPNSt15iterator_traitsISJ_E10value_typeEPNSP_ISK_E10value_typeEPSL_NS1_7vsmem_tEENKUlT_SJ_SK_SL_E_clISE_PySF_SF_EESI_SY_SJ_SK_SL_EUlSY_E_NS1_11comp_targetILNS1_3genE10ELNS1_11target_archE1201ELNS1_3gpuE5ELNS1_3repE0EEENS1_48merge_mergepath_partition_config_static_selectorELNS0_4arch9wavefront6targetE0EEEvSK_.num_agpr, 0
	.set _ZN7rocprim17ROCPRIM_400000_NS6detail17trampoline_kernelINS0_14default_configENS1_38merge_sort_block_merge_config_selectorIyNS0_10empty_typeEEEZZNS1_27merge_sort_block_merge_implIS3_N6thrust23THRUST_200600_302600_NS6detail15normal_iteratorINS9_10device_ptrIyEEEEPS5_m9comp_mod3IyEEE10hipError_tT0_T1_T2_jT3_P12ihipStream_tbPNSt15iterator_traitsISJ_E10value_typeEPNSP_ISK_E10value_typeEPSL_NS1_7vsmem_tEENKUlT_SJ_SK_SL_E_clISE_PySF_SF_EESI_SY_SJ_SK_SL_EUlSY_E_NS1_11comp_targetILNS1_3genE10ELNS1_11target_archE1201ELNS1_3gpuE5ELNS1_3repE0EEENS1_48merge_mergepath_partition_config_static_selectorELNS0_4arch9wavefront6targetE0EEEvSK_.numbered_sgpr, 0
	.set _ZN7rocprim17ROCPRIM_400000_NS6detail17trampoline_kernelINS0_14default_configENS1_38merge_sort_block_merge_config_selectorIyNS0_10empty_typeEEEZZNS1_27merge_sort_block_merge_implIS3_N6thrust23THRUST_200600_302600_NS6detail15normal_iteratorINS9_10device_ptrIyEEEEPS5_m9comp_mod3IyEEE10hipError_tT0_T1_T2_jT3_P12ihipStream_tbPNSt15iterator_traitsISJ_E10value_typeEPNSP_ISK_E10value_typeEPSL_NS1_7vsmem_tEENKUlT_SJ_SK_SL_E_clISE_PySF_SF_EESI_SY_SJ_SK_SL_EUlSY_E_NS1_11comp_targetILNS1_3genE10ELNS1_11target_archE1201ELNS1_3gpuE5ELNS1_3repE0EEENS1_48merge_mergepath_partition_config_static_selectorELNS0_4arch9wavefront6targetE0EEEvSK_.num_named_barrier, 0
	.set _ZN7rocprim17ROCPRIM_400000_NS6detail17trampoline_kernelINS0_14default_configENS1_38merge_sort_block_merge_config_selectorIyNS0_10empty_typeEEEZZNS1_27merge_sort_block_merge_implIS3_N6thrust23THRUST_200600_302600_NS6detail15normal_iteratorINS9_10device_ptrIyEEEEPS5_m9comp_mod3IyEEE10hipError_tT0_T1_T2_jT3_P12ihipStream_tbPNSt15iterator_traitsISJ_E10value_typeEPNSP_ISK_E10value_typeEPSL_NS1_7vsmem_tEENKUlT_SJ_SK_SL_E_clISE_PySF_SF_EESI_SY_SJ_SK_SL_EUlSY_E_NS1_11comp_targetILNS1_3genE10ELNS1_11target_archE1201ELNS1_3gpuE5ELNS1_3repE0EEENS1_48merge_mergepath_partition_config_static_selectorELNS0_4arch9wavefront6targetE0EEEvSK_.private_seg_size, 0
	.set _ZN7rocprim17ROCPRIM_400000_NS6detail17trampoline_kernelINS0_14default_configENS1_38merge_sort_block_merge_config_selectorIyNS0_10empty_typeEEEZZNS1_27merge_sort_block_merge_implIS3_N6thrust23THRUST_200600_302600_NS6detail15normal_iteratorINS9_10device_ptrIyEEEEPS5_m9comp_mod3IyEEE10hipError_tT0_T1_T2_jT3_P12ihipStream_tbPNSt15iterator_traitsISJ_E10value_typeEPNSP_ISK_E10value_typeEPSL_NS1_7vsmem_tEENKUlT_SJ_SK_SL_E_clISE_PySF_SF_EESI_SY_SJ_SK_SL_EUlSY_E_NS1_11comp_targetILNS1_3genE10ELNS1_11target_archE1201ELNS1_3gpuE5ELNS1_3repE0EEENS1_48merge_mergepath_partition_config_static_selectorELNS0_4arch9wavefront6targetE0EEEvSK_.uses_vcc, 0
	.set _ZN7rocprim17ROCPRIM_400000_NS6detail17trampoline_kernelINS0_14default_configENS1_38merge_sort_block_merge_config_selectorIyNS0_10empty_typeEEEZZNS1_27merge_sort_block_merge_implIS3_N6thrust23THRUST_200600_302600_NS6detail15normal_iteratorINS9_10device_ptrIyEEEEPS5_m9comp_mod3IyEEE10hipError_tT0_T1_T2_jT3_P12ihipStream_tbPNSt15iterator_traitsISJ_E10value_typeEPNSP_ISK_E10value_typeEPSL_NS1_7vsmem_tEENKUlT_SJ_SK_SL_E_clISE_PySF_SF_EESI_SY_SJ_SK_SL_EUlSY_E_NS1_11comp_targetILNS1_3genE10ELNS1_11target_archE1201ELNS1_3gpuE5ELNS1_3repE0EEENS1_48merge_mergepath_partition_config_static_selectorELNS0_4arch9wavefront6targetE0EEEvSK_.uses_flat_scratch, 0
	.set _ZN7rocprim17ROCPRIM_400000_NS6detail17trampoline_kernelINS0_14default_configENS1_38merge_sort_block_merge_config_selectorIyNS0_10empty_typeEEEZZNS1_27merge_sort_block_merge_implIS3_N6thrust23THRUST_200600_302600_NS6detail15normal_iteratorINS9_10device_ptrIyEEEEPS5_m9comp_mod3IyEEE10hipError_tT0_T1_T2_jT3_P12ihipStream_tbPNSt15iterator_traitsISJ_E10value_typeEPNSP_ISK_E10value_typeEPSL_NS1_7vsmem_tEENKUlT_SJ_SK_SL_E_clISE_PySF_SF_EESI_SY_SJ_SK_SL_EUlSY_E_NS1_11comp_targetILNS1_3genE10ELNS1_11target_archE1201ELNS1_3gpuE5ELNS1_3repE0EEENS1_48merge_mergepath_partition_config_static_selectorELNS0_4arch9wavefront6targetE0EEEvSK_.has_dyn_sized_stack, 0
	.set _ZN7rocprim17ROCPRIM_400000_NS6detail17trampoline_kernelINS0_14default_configENS1_38merge_sort_block_merge_config_selectorIyNS0_10empty_typeEEEZZNS1_27merge_sort_block_merge_implIS3_N6thrust23THRUST_200600_302600_NS6detail15normal_iteratorINS9_10device_ptrIyEEEEPS5_m9comp_mod3IyEEE10hipError_tT0_T1_T2_jT3_P12ihipStream_tbPNSt15iterator_traitsISJ_E10value_typeEPNSP_ISK_E10value_typeEPSL_NS1_7vsmem_tEENKUlT_SJ_SK_SL_E_clISE_PySF_SF_EESI_SY_SJ_SK_SL_EUlSY_E_NS1_11comp_targetILNS1_3genE10ELNS1_11target_archE1201ELNS1_3gpuE5ELNS1_3repE0EEENS1_48merge_mergepath_partition_config_static_selectorELNS0_4arch9wavefront6targetE0EEEvSK_.has_recursion, 0
	.set _ZN7rocprim17ROCPRIM_400000_NS6detail17trampoline_kernelINS0_14default_configENS1_38merge_sort_block_merge_config_selectorIyNS0_10empty_typeEEEZZNS1_27merge_sort_block_merge_implIS3_N6thrust23THRUST_200600_302600_NS6detail15normal_iteratorINS9_10device_ptrIyEEEEPS5_m9comp_mod3IyEEE10hipError_tT0_T1_T2_jT3_P12ihipStream_tbPNSt15iterator_traitsISJ_E10value_typeEPNSP_ISK_E10value_typeEPSL_NS1_7vsmem_tEENKUlT_SJ_SK_SL_E_clISE_PySF_SF_EESI_SY_SJ_SK_SL_EUlSY_E_NS1_11comp_targetILNS1_3genE10ELNS1_11target_archE1201ELNS1_3gpuE5ELNS1_3repE0EEENS1_48merge_mergepath_partition_config_static_selectorELNS0_4arch9wavefront6targetE0EEEvSK_.has_indirect_call, 0
	.section	.AMDGPU.csdata,"",@progbits
; Kernel info:
; codeLenInByte = 0
; TotalNumSgprs: 0
; NumVgprs: 0
; ScratchSize: 0
; MemoryBound: 0
; FloatMode: 240
; IeeeMode: 1
; LDSByteSize: 0 bytes/workgroup (compile time only)
; SGPRBlocks: 0
; VGPRBlocks: 0
; NumSGPRsForWavesPerEU: 1
; NumVGPRsForWavesPerEU: 1
; Occupancy: 16
; WaveLimiterHint : 0
; COMPUTE_PGM_RSRC2:SCRATCH_EN: 0
; COMPUTE_PGM_RSRC2:USER_SGPR: 6
; COMPUTE_PGM_RSRC2:TRAP_HANDLER: 0
; COMPUTE_PGM_RSRC2:TGID_X_EN: 1
; COMPUTE_PGM_RSRC2:TGID_Y_EN: 0
; COMPUTE_PGM_RSRC2:TGID_Z_EN: 0
; COMPUTE_PGM_RSRC2:TIDIG_COMP_CNT: 0
	.section	.text._ZN7rocprim17ROCPRIM_400000_NS6detail17trampoline_kernelINS0_14default_configENS1_38merge_sort_block_merge_config_selectorIyNS0_10empty_typeEEEZZNS1_27merge_sort_block_merge_implIS3_N6thrust23THRUST_200600_302600_NS6detail15normal_iteratorINS9_10device_ptrIyEEEEPS5_m9comp_mod3IyEEE10hipError_tT0_T1_T2_jT3_P12ihipStream_tbPNSt15iterator_traitsISJ_E10value_typeEPNSP_ISK_E10value_typeEPSL_NS1_7vsmem_tEENKUlT_SJ_SK_SL_E_clISE_PySF_SF_EESI_SY_SJ_SK_SL_EUlSY_E_NS1_11comp_targetILNS1_3genE5ELNS1_11target_archE942ELNS1_3gpuE9ELNS1_3repE0EEENS1_48merge_mergepath_partition_config_static_selectorELNS0_4arch9wavefront6targetE0EEEvSK_,"axG",@progbits,_ZN7rocprim17ROCPRIM_400000_NS6detail17trampoline_kernelINS0_14default_configENS1_38merge_sort_block_merge_config_selectorIyNS0_10empty_typeEEEZZNS1_27merge_sort_block_merge_implIS3_N6thrust23THRUST_200600_302600_NS6detail15normal_iteratorINS9_10device_ptrIyEEEEPS5_m9comp_mod3IyEEE10hipError_tT0_T1_T2_jT3_P12ihipStream_tbPNSt15iterator_traitsISJ_E10value_typeEPNSP_ISK_E10value_typeEPSL_NS1_7vsmem_tEENKUlT_SJ_SK_SL_E_clISE_PySF_SF_EESI_SY_SJ_SK_SL_EUlSY_E_NS1_11comp_targetILNS1_3genE5ELNS1_11target_archE942ELNS1_3gpuE9ELNS1_3repE0EEENS1_48merge_mergepath_partition_config_static_selectorELNS0_4arch9wavefront6targetE0EEEvSK_,comdat
	.protected	_ZN7rocprim17ROCPRIM_400000_NS6detail17trampoline_kernelINS0_14default_configENS1_38merge_sort_block_merge_config_selectorIyNS0_10empty_typeEEEZZNS1_27merge_sort_block_merge_implIS3_N6thrust23THRUST_200600_302600_NS6detail15normal_iteratorINS9_10device_ptrIyEEEEPS5_m9comp_mod3IyEEE10hipError_tT0_T1_T2_jT3_P12ihipStream_tbPNSt15iterator_traitsISJ_E10value_typeEPNSP_ISK_E10value_typeEPSL_NS1_7vsmem_tEENKUlT_SJ_SK_SL_E_clISE_PySF_SF_EESI_SY_SJ_SK_SL_EUlSY_E_NS1_11comp_targetILNS1_3genE5ELNS1_11target_archE942ELNS1_3gpuE9ELNS1_3repE0EEENS1_48merge_mergepath_partition_config_static_selectorELNS0_4arch9wavefront6targetE0EEEvSK_ ; -- Begin function _ZN7rocprim17ROCPRIM_400000_NS6detail17trampoline_kernelINS0_14default_configENS1_38merge_sort_block_merge_config_selectorIyNS0_10empty_typeEEEZZNS1_27merge_sort_block_merge_implIS3_N6thrust23THRUST_200600_302600_NS6detail15normal_iteratorINS9_10device_ptrIyEEEEPS5_m9comp_mod3IyEEE10hipError_tT0_T1_T2_jT3_P12ihipStream_tbPNSt15iterator_traitsISJ_E10value_typeEPNSP_ISK_E10value_typeEPSL_NS1_7vsmem_tEENKUlT_SJ_SK_SL_E_clISE_PySF_SF_EESI_SY_SJ_SK_SL_EUlSY_E_NS1_11comp_targetILNS1_3genE5ELNS1_11target_archE942ELNS1_3gpuE9ELNS1_3repE0EEENS1_48merge_mergepath_partition_config_static_selectorELNS0_4arch9wavefront6targetE0EEEvSK_
	.globl	_ZN7rocprim17ROCPRIM_400000_NS6detail17trampoline_kernelINS0_14default_configENS1_38merge_sort_block_merge_config_selectorIyNS0_10empty_typeEEEZZNS1_27merge_sort_block_merge_implIS3_N6thrust23THRUST_200600_302600_NS6detail15normal_iteratorINS9_10device_ptrIyEEEEPS5_m9comp_mod3IyEEE10hipError_tT0_T1_T2_jT3_P12ihipStream_tbPNSt15iterator_traitsISJ_E10value_typeEPNSP_ISK_E10value_typeEPSL_NS1_7vsmem_tEENKUlT_SJ_SK_SL_E_clISE_PySF_SF_EESI_SY_SJ_SK_SL_EUlSY_E_NS1_11comp_targetILNS1_3genE5ELNS1_11target_archE942ELNS1_3gpuE9ELNS1_3repE0EEENS1_48merge_mergepath_partition_config_static_selectorELNS0_4arch9wavefront6targetE0EEEvSK_
	.p2align	8
	.type	_ZN7rocprim17ROCPRIM_400000_NS6detail17trampoline_kernelINS0_14default_configENS1_38merge_sort_block_merge_config_selectorIyNS0_10empty_typeEEEZZNS1_27merge_sort_block_merge_implIS3_N6thrust23THRUST_200600_302600_NS6detail15normal_iteratorINS9_10device_ptrIyEEEEPS5_m9comp_mod3IyEEE10hipError_tT0_T1_T2_jT3_P12ihipStream_tbPNSt15iterator_traitsISJ_E10value_typeEPNSP_ISK_E10value_typeEPSL_NS1_7vsmem_tEENKUlT_SJ_SK_SL_E_clISE_PySF_SF_EESI_SY_SJ_SK_SL_EUlSY_E_NS1_11comp_targetILNS1_3genE5ELNS1_11target_archE942ELNS1_3gpuE9ELNS1_3repE0EEENS1_48merge_mergepath_partition_config_static_selectorELNS0_4arch9wavefront6targetE0EEEvSK_,@function
_ZN7rocprim17ROCPRIM_400000_NS6detail17trampoline_kernelINS0_14default_configENS1_38merge_sort_block_merge_config_selectorIyNS0_10empty_typeEEEZZNS1_27merge_sort_block_merge_implIS3_N6thrust23THRUST_200600_302600_NS6detail15normal_iteratorINS9_10device_ptrIyEEEEPS5_m9comp_mod3IyEEE10hipError_tT0_T1_T2_jT3_P12ihipStream_tbPNSt15iterator_traitsISJ_E10value_typeEPNSP_ISK_E10value_typeEPSL_NS1_7vsmem_tEENKUlT_SJ_SK_SL_E_clISE_PySF_SF_EESI_SY_SJ_SK_SL_EUlSY_E_NS1_11comp_targetILNS1_3genE5ELNS1_11target_archE942ELNS1_3gpuE9ELNS1_3repE0EEENS1_48merge_mergepath_partition_config_static_selectorELNS0_4arch9wavefront6targetE0EEEvSK_: ; @_ZN7rocprim17ROCPRIM_400000_NS6detail17trampoline_kernelINS0_14default_configENS1_38merge_sort_block_merge_config_selectorIyNS0_10empty_typeEEEZZNS1_27merge_sort_block_merge_implIS3_N6thrust23THRUST_200600_302600_NS6detail15normal_iteratorINS9_10device_ptrIyEEEEPS5_m9comp_mod3IyEEE10hipError_tT0_T1_T2_jT3_P12ihipStream_tbPNSt15iterator_traitsISJ_E10value_typeEPNSP_ISK_E10value_typeEPSL_NS1_7vsmem_tEENKUlT_SJ_SK_SL_E_clISE_PySF_SF_EESI_SY_SJ_SK_SL_EUlSY_E_NS1_11comp_targetILNS1_3genE5ELNS1_11target_archE942ELNS1_3gpuE9ELNS1_3repE0EEENS1_48merge_mergepath_partition_config_static_selectorELNS0_4arch9wavefront6targetE0EEEvSK_
; %bb.0:
	.section	.rodata,"a",@progbits
	.p2align	6, 0x0
	.amdhsa_kernel _ZN7rocprim17ROCPRIM_400000_NS6detail17trampoline_kernelINS0_14default_configENS1_38merge_sort_block_merge_config_selectorIyNS0_10empty_typeEEEZZNS1_27merge_sort_block_merge_implIS3_N6thrust23THRUST_200600_302600_NS6detail15normal_iteratorINS9_10device_ptrIyEEEEPS5_m9comp_mod3IyEEE10hipError_tT0_T1_T2_jT3_P12ihipStream_tbPNSt15iterator_traitsISJ_E10value_typeEPNSP_ISK_E10value_typeEPSL_NS1_7vsmem_tEENKUlT_SJ_SK_SL_E_clISE_PySF_SF_EESI_SY_SJ_SK_SL_EUlSY_E_NS1_11comp_targetILNS1_3genE5ELNS1_11target_archE942ELNS1_3gpuE9ELNS1_3repE0EEENS1_48merge_mergepath_partition_config_static_selectorELNS0_4arch9wavefront6targetE0EEEvSK_
		.amdhsa_group_segment_fixed_size 0
		.amdhsa_private_segment_fixed_size 0
		.amdhsa_kernarg_size 48
		.amdhsa_user_sgpr_count 6
		.amdhsa_user_sgpr_private_segment_buffer 1
		.amdhsa_user_sgpr_dispatch_ptr 0
		.amdhsa_user_sgpr_queue_ptr 0
		.amdhsa_user_sgpr_kernarg_segment_ptr 1
		.amdhsa_user_sgpr_dispatch_id 0
		.amdhsa_user_sgpr_flat_scratch_init 0
		.amdhsa_user_sgpr_private_segment_size 0
		.amdhsa_wavefront_size32 1
		.amdhsa_uses_dynamic_stack 0
		.amdhsa_system_sgpr_private_segment_wavefront_offset 0
		.amdhsa_system_sgpr_workgroup_id_x 1
		.amdhsa_system_sgpr_workgroup_id_y 0
		.amdhsa_system_sgpr_workgroup_id_z 0
		.amdhsa_system_sgpr_workgroup_info 0
		.amdhsa_system_vgpr_workitem_id 0
		.amdhsa_next_free_vgpr 1
		.amdhsa_next_free_sgpr 1
		.amdhsa_reserve_vcc 0
		.amdhsa_reserve_flat_scratch 0
		.amdhsa_float_round_mode_32 0
		.amdhsa_float_round_mode_16_64 0
		.amdhsa_float_denorm_mode_32 3
		.amdhsa_float_denorm_mode_16_64 3
		.amdhsa_dx10_clamp 1
		.amdhsa_ieee_mode 1
		.amdhsa_fp16_overflow 0
		.amdhsa_workgroup_processor_mode 1
		.amdhsa_memory_ordered 1
		.amdhsa_forward_progress 1
		.amdhsa_shared_vgpr_count 0
		.amdhsa_exception_fp_ieee_invalid_op 0
		.amdhsa_exception_fp_denorm_src 0
		.amdhsa_exception_fp_ieee_div_zero 0
		.amdhsa_exception_fp_ieee_overflow 0
		.amdhsa_exception_fp_ieee_underflow 0
		.amdhsa_exception_fp_ieee_inexact 0
		.amdhsa_exception_int_div_zero 0
	.end_amdhsa_kernel
	.section	.text._ZN7rocprim17ROCPRIM_400000_NS6detail17trampoline_kernelINS0_14default_configENS1_38merge_sort_block_merge_config_selectorIyNS0_10empty_typeEEEZZNS1_27merge_sort_block_merge_implIS3_N6thrust23THRUST_200600_302600_NS6detail15normal_iteratorINS9_10device_ptrIyEEEEPS5_m9comp_mod3IyEEE10hipError_tT0_T1_T2_jT3_P12ihipStream_tbPNSt15iterator_traitsISJ_E10value_typeEPNSP_ISK_E10value_typeEPSL_NS1_7vsmem_tEENKUlT_SJ_SK_SL_E_clISE_PySF_SF_EESI_SY_SJ_SK_SL_EUlSY_E_NS1_11comp_targetILNS1_3genE5ELNS1_11target_archE942ELNS1_3gpuE9ELNS1_3repE0EEENS1_48merge_mergepath_partition_config_static_selectorELNS0_4arch9wavefront6targetE0EEEvSK_,"axG",@progbits,_ZN7rocprim17ROCPRIM_400000_NS6detail17trampoline_kernelINS0_14default_configENS1_38merge_sort_block_merge_config_selectorIyNS0_10empty_typeEEEZZNS1_27merge_sort_block_merge_implIS3_N6thrust23THRUST_200600_302600_NS6detail15normal_iteratorINS9_10device_ptrIyEEEEPS5_m9comp_mod3IyEEE10hipError_tT0_T1_T2_jT3_P12ihipStream_tbPNSt15iterator_traitsISJ_E10value_typeEPNSP_ISK_E10value_typeEPSL_NS1_7vsmem_tEENKUlT_SJ_SK_SL_E_clISE_PySF_SF_EESI_SY_SJ_SK_SL_EUlSY_E_NS1_11comp_targetILNS1_3genE5ELNS1_11target_archE942ELNS1_3gpuE9ELNS1_3repE0EEENS1_48merge_mergepath_partition_config_static_selectorELNS0_4arch9wavefront6targetE0EEEvSK_,comdat
.Lfunc_end785:
	.size	_ZN7rocprim17ROCPRIM_400000_NS6detail17trampoline_kernelINS0_14default_configENS1_38merge_sort_block_merge_config_selectorIyNS0_10empty_typeEEEZZNS1_27merge_sort_block_merge_implIS3_N6thrust23THRUST_200600_302600_NS6detail15normal_iteratorINS9_10device_ptrIyEEEEPS5_m9comp_mod3IyEEE10hipError_tT0_T1_T2_jT3_P12ihipStream_tbPNSt15iterator_traitsISJ_E10value_typeEPNSP_ISK_E10value_typeEPSL_NS1_7vsmem_tEENKUlT_SJ_SK_SL_E_clISE_PySF_SF_EESI_SY_SJ_SK_SL_EUlSY_E_NS1_11comp_targetILNS1_3genE5ELNS1_11target_archE942ELNS1_3gpuE9ELNS1_3repE0EEENS1_48merge_mergepath_partition_config_static_selectorELNS0_4arch9wavefront6targetE0EEEvSK_, .Lfunc_end785-_ZN7rocprim17ROCPRIM_400000_NS6detail17trampoline_kernelINS0_14default_configENS1_38merge_sort_block_merge_config_selectorIyNS0_10empty_typeEEEZZNS1_27merge_sort_block_merge_implIS3_N6thrust23THRUST_200600_302600_NS6detail15normal_iteratorINS9_10device_ptrIyEEEEPS5_m9comp_mod3IyEEE10hipError_tT0_T1_T2_jT3_P12ihipStream_tbPNSt15iterator_traitsISJ_E10value_typeEPNSP_ISK_E10value_typeEPSL_NS1_7vsmem_tEENKUlT_SJ_SK_SL_E_clISE_PySF_SF_EESI_SY_SJ_SK_SL_EUlSY_E_NS1_11comp_targetILNS1_3genE5ELNS1_11target_archE942ELNS1_3gpuE9ELNS1_3repE0EEENS1_48merge_mergepath_partition_config_static_selectorELNS0_4arch9wavefront6targetE0EEEvSK_
                                        ; -- End function
	.set _ZN7rocprim17ROCPRIM_400000_NS6detail17trampoline_kernelINS0_14default_configENS1_38merge_sort_block_merge_config_selectorIyNS0_10empty_typeEEEZZNS1_27merge_sort_block_merge_implIS3_N6thrust23THRUST_200600_302600_NS6detail15normal_iteratorINS9_10device_ptrIyEEEEPS5_m9comp_mod3IyEEE10hipError_tT0_T1_T2_jT3_P12ihipStream_tbPNSt15iterator_traitsISJ_E10value_typeEPNSP_ISK_E10value_typeEPSL_NS1_7vsmem_tEENKUlT_SJ_SK_SL_E_clISE_PySF_SF_EESI_SY_SJ_SK_SL_EUlSY_E_NS1_11comp_targetILNS1_3genE5ELNS1_11target_archE942ELNS1_3gpuE9ELNS1_3repE0EEENS1_48merge_mergepath_partition_config_static_selectorELNS0_4arch9wavefront6targetE0EEEvSK_.num_vgpr, 0
	.set _ZN7rocprim17ROCPRIM_400000_NS6detail17trampoline_kernelINS0_14default_configENS1_38merge_sort_block_merge_config_selectorIyNS0_10empty_typeEEEZZNS1_27merge_sort_block_merge_implIS3_N6thrust23THRUST_200600_302600_NS6detail15normal_iteratorINS9_10device_ptrIyEEEEPS5_m9comp_mod3IyEEE10hipError_tT0_T1_T2_jT3_P12ihipStream_tbPNSt15iterator_traitsISJ_E10value_typeEPNSP_ISK_E10value_typeEPSL_NS1_7vsmem_tEENKUlT_SJ_SK_SL_E_clISE_PySF_SF_EESI_SY_SJ_SK_SL_EUlSY_E_NS1_11comp_targetILNS1_3genE5ELNS1_11target_archE942ELNS1_3gpuE9ELNS1_3repE0EEENS1_48merge_mergepath_partition_config_static_selectorELNS0_4arch9wavefront6targetE0EEEvSK_.num_agpr, 0
	.set _ZN7rocprim17ROCPRIM_400000_NS6detail17trampoline_kernelINS0_14default_configENS1_38merge_sort_block_merge_config_selectorIyNS0_10empty_typeEEEZZNS1_27merge_sort_block_merge_implIS3_N6thrust23THRUST_200600_302600_NS6detail15normal_iteratorINS9_10device_ptrIyEEEEPS5_m9comp_mod3IyEEE10hipError_tT0_T1_T2_jT3_P12ihipStream_tbPNSt15iterator_traitsISJ_E10value_typeEPNSP_ISK_E10value_typeEPSL_NS1_7vsmem_tEENKUlT_SJ_SK_SL_E_clISE_PySF_SF_EESI_SY_SJ_SK_SL_EUlSY_E_NS1_11comp_targetILNS1_3genE5ELNS1_11target_archE942ELNS1_3gpuE9ELNS1_3repE0EEENS1_48merge_mergepath_partition_config_static_selectorELNS0_4arch9wavefront6targetE0EEEvSK_.numbered_sgpr, 0
	.set _ZN7rocprim17ROCPRIM_400000_NS6detail17trampoline_kernelINS0_14default_configENS1_38merge_sort_block_merge_config_selectorIyNS0_10empty_typeEEEZZNS1_27merge_sort_block_merge_implIS3_N6thrust23THRUST_200600_302600_NS6detail15normal_iteratorINS9_10device_ptrIyEEEEPS5_m9comp_mod3IyEEE10hipError_tT0_T1_T2_jT3_P12ihipStream_tbPNSt15iterator_traitsISJ_E10value_typeEPNSP_ISK_E10value_typeEPSL_NS1_7vsmem_tEENKUlT_SJ_SK_SL_E_clISE_PySF_SF_EESI_SY_SJ_SK_SL_EUlSY_E_NS1_11comp_targetILNS1_3genE5ELNS1_11target_archE942ELNS1_3gpuE9ELNS1_3repE0EEENS1_48merge_mergepath_partition_config_static_selectorELNS0_4arch9wavefront6targetE0EEEvSK_.num_named_barrier, 0
	.set _ZN7rocprim17ROCPRIM_400000_NS6detail17trampoline_kernelINS0_14default_configENS1_38merge_sort_block_merge_config_selectorIyNS0_10empty_typeEEEZZNS1_27merge_sort_block_merge_implIS3_N6thrust23THRUST_200600_302600_NS6detail15normal_iteratorINS9_10device_ptrIyEEEEPS5_m9comp_mod3IyEEE10hipError_tT0_T1_T2_jT3_P12ihipStream_tbPNSt15iterator_traitsISJ_E10value_typeEPNSP_ISK_E10value_typeEPSL_NS1_7vsmem_tEENKUlT_SJ_SK_SL_E_clISE_PySF_SF_EESI_SY_SJ_SK_SL_EUlSY_E_NS1_11comp_targetILNS1_3genE5ELNS1_11target_archE942ELNS1_3gpuE9ELNS1_3repE0EEENS1_48merge_mergepath_partition_config_static_selectorELNS0_4arch9wavefront6targetE0EEEvSK_.private_seg_size, 0
	.set _ZN7rocprim17ROCPRIM_400000_NS6detail17trampoline_kernelINS0_14default_configENS1_38merge_sort_block_merge_config_selectorIyNS0_10empty_typeEEEZZNS1_27merge_sort_block_merge_implIS3_N6thrust23THRUST_200600_302600_NS6detail15normal_iteratorINS9_10device_ptrIyEEEEPS5_m9comp_mod3IyEEE10hipError_tT0_T1_T2_jT3_P12ihipStream_tbPNSt15iterator_traitsISJ_E10value_typeEPNSP_ISK_E10value_typeEPSL_NS1_7vsmem_tEENKUlT_SJ_SK_SL_E_clISE_PySF_SF_EESI_SY_SJ_SK_SL_EUlSY_E_NS1_11comp_targetILNS1_3genE5ELNS1_11target_archE942ELNS1_3gpuE9ELNS1_3repE0EEENS1_48merge_mergepath_partition_config_static_selectorELNS0_4arch9wavefront6targetE0EEEvSK_.uses_vcc, 0
	.set _ZN7rocprim17ROCPRIM_400000_NS6detail17trampoline_kernelINS0_14default_configENS1_38merge_sort_block_merge_config_selectorIyNS0_10empty_typeEEEZZNS1_27merge_sort_block_merge_implIS3_N6thrust23THRUST_200600_302600_NS6detail15normal_iteratorINS9_10device_ptrIyEEEEPS5_m9comp_mod3IyEEE10hipError_tT0_T1_T2_jT3_P12ihipStream_tbPNSt15iterator_traitsISJ_E10value_typeEPNSP_ISK_E10value_typeEPSL_NS1_7vsmem_tEENKUlT_SJ_SK_SL_E_clISE_PySF_SF_EESI_SY_SJ_SK_SL_EUlSY_E_NS1_11comp_targetILNS1_3genE5ELNS1_11target_archE942ELNS1_3gpuE9ELNS1_3repE0EEENS1_48merge_mergepath_partition_config_static_selectorELNS0_4arch9wavefront6targetE0EEEvSK_.uses_flat_scratch, 0
	.set _ZN7rocprim17ROCPRIM_400000_NS6detail17trampoline_kernelINS0_14default_configENS1_38merge_sort_block_merge_config_selectorIyNS0_10empty_typeEEEZZNS1_27merge_sort_block_merge_implIS3_N6thrust23THRUST_200600_302600_NS6detail15normal_iteratorINS9_10device_ptrIyEEEEPS5_m9comp_mod3IyEEE10hipError_tT0_T1_T2_jT3_P12ihipStream_tbPNSt15iterator_traitsISJ_E10value_typeEPNSP_ISK_E10value_typeEPSL_NS1_7vsmem_tEENKUlT_SJ_SK_SL_E_clISE_PySF_SF_EESI_SY_SJ_SK_SL_EUlSY_E_NS1_11comp_targetILNS1_3genE5ELNS1_11target_archE942ELNS1_3gpuE9ELNS1_3repE0EEENS1_48merge_mergepath_partition_config_static_selectorELNS0_4arch9wavefront6targetE0EEEvSK_.has_dyn_sized_stack, 0
	.set _ZN7rocprim17ROCPRIM_400000_NS6detail17trampoline_kernelINS0_14default_configENS1_38merge_sort_block_merge_config_selectorIyNS0_10empty_typeEEEZZNS1_27merge_sort_block_merge_implIS3_N6thrust23THRUST_200600_302600_NS6detail15normal_iteratorINS9_10device_ptrIyEEEEPS5_m9comp_mod3IyEEE10hipError_tT0_T1_T2_jT3_P12ihipStream_tbPNSt15iterator_traitsISJ_E10value_typeEPNSP_ISK_E10value_typeEPSL_NS1_7vsmem_tEENKUlT_SJ_SK_SL_E_clISE_PySF_SF_EESI_SY_SJ_SK_SL_EUlSY_E_NS1_11comp_targetILNS1_3genE5ELNS1_11target_archE942ELNS1_3gpuE9ELNS1_3repE0EEENS1_48merge_mergepath_partition_config_static_selectorELNS0_4arch9wavefront6targetE0EEEvSK_.has_recursion, 0
	.set _ZN7rocprim17ROCPRIM_400000_NS6detail17trampoline_kernelINS0_14default_configENS1_38merge_sort_block_merge_config_selectorIyNS0_10empty_typeEEEZZNS1_27merge_sort_block_merge_implIS3_N6thrust23THRUST_200600_302600_NS6detail15normal_iteratorINS9_10device_ptrIyEEEEPS5_m9comp_mod3IyEEE10hipError_tT0_T1_T2_jT3_P12ihipStream_tbPNSt15iterator_traitsISJ_E10value_typeEPNSP_ISK_E10value_typeEPSL_NS1_7vsmem_tEENKUlT_SJ_SK_SL_E_clISE_PySF_SF_EESI_SY_SJ_SK_SL_EUlSY_E_NS1_11comp_targetILNS1_3genE5ELNS1_11target_archE942ELNS1_3gpuE9ELNS1_3repE0EEENS1_48merge_mergepath_partition_config_static_selectorELNS0_4arch9wavefront6targetE0EEEvSK_.has_indirect_call, 0
	.section	.AMDGPU.csdata,"",@progbits
; Kernel info:
; codeLenInByte = 0
; TotalNumSgprs: 0
; NumVgprs: 0
; ScratchSize: 0
; MemoryBound: 0
; FloatMode: 240
; IeeeMode: 1
; LDSByteSize: 0 bytes/workgroup (compile time only)
; SGPRBlocks: 0
; VGPRBlocks: 0
; NumSGPRsForWavesPerEU: 1
; NumVGPRsForWavesPerEU: 1
; Occupancy: 16
; WaveLimiterHint : 0
; COMPUTE_PGM_RSRC2:SCRATCH_EN: 0
; COMPUTE_PGM_RSRC2:USER_SGPR: 6
; COMPUTE_PGM_RSRC2:TRAP_HANDLER: 0
; COMPUTE_PGM_RSRC2:TGID_X_EN: 1
; COMPUTE_PGM_RSRC2:TGID_Y_EN: 0
; COMPUTE_PGM_RSRC2:TGID_Z_EN: 0
; COMPUTE_PGM_RSRC2:TIDIG_COMP_CNT: 0
	.section	.text._ZN7rocprim17ROCPRIM_400000_NS6detail17trampoline_kernelINS0_14default_configENS1_38merge_sort_block_merge_config_selectorIyNS0_10empty_typeEEEZZNS1_27merge_sort_block_merge_implIS3_N6thrust23THRUST_200600_302600_NS6detail15normal_iteratorINS9_10device_ptrIyEEEEPS5_m9comp_mod3IyEEE10hipError_tT0_T1_T2_jT3_P12ihipStream_tbPNSt15iterator_traitsISJ_E10value_typeEPNSP_ISK_E10value_typeEPSL_NS1_7vsmem_tEENKUlT_SJ_SK_SL_E_clISE_PySF_SF_EESI_SY_SJ_SK_SL_EUlSY_E_NS1_11comp_targetILNS1_3genE4ELNS1_11target_archE910ELNS1_3gpuE8ELNS1_3repE0EEENS1_48merge_mergepath_partition_config_static_selectorELNS0_4arch9wavefront6targetE0EEEvSK_,"axG",@progbits,_ZN7rocprim17ROCPRIM_400000_NS6detail17trampoline_kernelINS0_14default_configENS1_38merge_sort_block_merge_config_selectorIyNS0_10empty_typeEEEZZNS1_27merge_sort_block_merge_implIS3_N6thrust23THRUST_200600_302600_NS6detail15normal_iteratorINS9_10device_ptrIyEEEEPS5_m9comp_mod3IyEEE10hipError_tT0_T1_T2_jT3_P12ihipStream_tbPNSt15iterator_traitsISJ_E10value_typeEPNSP_ISK_E10value_typeEPSL_NS1_7vsmem_tEENKUlT_SJ_SK_SL_E_clISE_PySF_SF_EESI_SY_SJ_SK_SL_EUlSY_E_NS1_11comp_targetILNS1_3genE4ELNS1_11target_archE910ELNS1_3gpuE8ELNS1_3repE0EEENS1_48merge_mergepath_partition_config_static_selectorELNS0_4arch9wavefront6targetE0EEEvSK_,comdat
	.protected	_ZN7rocprim17ROCPRIM_400000_NS6detail17trampoline_kernelINS0_14default_configENS1_38merge_sort_block_merge_config_selectorIyNS0_10empty_typeEEEZZNS1_27merge_sort_block_merge_implIS3_N6thrust23THRUST_200600_302600_NS6detail15normal_iteratorINS9_10device_ptrIyEEEEPS5_m9comp_mod3IyEEE10hipError_tT0_T1_T2_jT3_P12ihipStream_tbPNSt15iterator_traitsISJ_E10value_typeEPNSP_ISK_E10value_typeEPSL_NS1_7vsmem_tEENKUlT_SJ_SK_SL_E_clISE_PySF_SF_EESI_SY_SJ_SK_SL_EUlSY_E_NS1_11comp_targetILNS1_3genE4ELNS1_11target_archE910ELNS1_3gpuE8ELNS1_3repE0EEENS1_48merge_mergepath_partition_config_static_selectorELNS0_4arch9wavefront6targetE0EEEvSK_ ; -- Begin function _ZN7rocprim17ROCPRIM_400000_NS6detail17trampoline_kernelINS0_14default_configENS1_38merge_sort_block_merge_config_selectorIyNS0_10empty_typeEEEZZNS1_27merge_sort_block_merge_implIS3_N6thrust23THRUST_200600_302600_NS6detail15normal_iteratorINS9_10device_ptrIyEEEEPS5_m9comp_mod3IyEEE10hipError_tT0_T1_T2_jT3_P12ihipStream_tbPNSt15iterator_traitsISJ_E10value_typeEPNSP_ISK_E10value_typeEPSL_NS1_7vsmem_tEENKUlT_SJ_SK_SL_E_clISE_PySF_SF_EESI_SY_SJ_SK_SL_EUlSY_E_NS1_11comp_targetILNS1_3genE4ELNS1_11target_archE910ELNS1_3gpuE8ELNS1_3repE0EEENS1_48merge_mergepath_partition_config_static_selectorELNS0_4arch9wavefront6targetE0EEEvSK_
	.globl	_ZN7rocprim17ROCPRIM_400000_NS6detail17trampoline_kernelINS0_14default_configENS1_38merge_sort_block_merge_config_selectorIyNS0_10empty_typeEEEZZNS1_27merge_sort_block_merge_implIS3_N6thrust23THRUST_200600_302600_NS6detail15normal_iteratorINS9_10device_ptrIyEEEEPS5_m9comp_mod3IyEEE10hipError_tT0_T1_T2_jT3_P12ihipStream_tbPNSt15iterator_traitsISJ_E10value_typeEPNSP_ISK_E10value_typeEPSL_NS1_7vsmem_tEENKUlT_SJ_SK_SL_E_clISE_PySF_SF_EESI_SY_SJ_SK_SL_EUlSY_E_NS1_11comp_targetILNS1_3genE4ELNS1_11target_archE910ELNS1_3gpuE8ELNS1_3repE0EEENS1_48merge_mergepath_partition_config_static_selectorELNS0_4arch9wavefront6targetE0EEEvSK_
	.p2align	8
	.type	_ZN7rocprim17ROCPRIM_400000_NS6detail17trampoline_kernelINS0_14default_configENS1_38merge_sort_block_merge_config_selectorIyNS0_10empty_typeEEEZZNS1_27merge_sort_block_merge_implIS3_N6thrust23THRUST_200600_302600_NS6detail15normal_iteratorINS9_10device_ptrIyEEEEPS5_m9comp_mod3IyEEE10hipError_tT0_T1_T2_jT3_P12ihipStream_tbPNSt15iterator_traitsISJ_E10value_typeEPNSP_ISK_E10value_typeEPSL_NS1_7vsmem_tEENKUlT_SJ_SK_SL_E_clISE_PySF_SF_EESI_SY_SJ_SK_SL_EUlSY_E_NS1_11comp_targetILNS1_3genE4ELNS1_11target_archE910ELNS1_3gpuE8ELNS1_3repE0EEENS1_48merge_mergepath_partition_config_static_selectorELNS0_4arch9wavefront6targetE0EEEvSK_,@function
_ZN7rocprim17ROCPRIM_400000_NS6detail17trampoline_kernelINS0_14default_configENS1_38merge_sort_block_merge_config_selectorIyNS0_10empty_typeEEEZZNS1_27merge_sort_block_merge_implIS3_N6thrust23THRUST_200600_302600_NS6detail15normal_iteratorINS9_10device_ptrIyEEEEPS5_m9comp_mod3IyEEE10hipError_tT0_T1_T2_jT3_P12ihipStream_tbPNSt15iterator_traitsISJ_E10value_typeEPNSP_ISK_E10value_typeEPSL_NS1_7vsmem_tEENKUlT_SJ_SK_SL_E_clISE_PySF_SF_EESI_SY_SJ_SK_SL_EUlSY_E_NS1_11comp_targetILNS1_3genE4ELNS1_11target_archE910ELNS1_3gpuE8ELNS1_3repE0EEENS1_48merge_mergepath_partition_config_static_selectorELNS0_4arch9wavefront6targetE0EEEvSK_: ; @_ZN7rocprim17ROCPRIM_400000_NS6detail17trampoline_kernelINS0_14default_configENS1_38merge_sort_block_merge_config_selectorIyNS0_10empty_typeEEEZZNS1_27merge_sort_block_merge_implIS3_N6thrust23THRUST_200600_302600_NS6detail15normal_iteratorINS9_10device_ptrIyEEEEPS5_m9comp_mod3IyEEE10hipError_tT0_T1_T2_jT3_P12ihipStream_tbPNSt15iterator_traitsISJ_E10value_typeEPNSP_ISK_E10value_typeEPSL_NS1_7vsmem_tEENKUlT_SJ_SK_SL_E_clISE_PySF_SF_EESI_SY_SJ_SK_SL_EUlSY_E_NS1_11comp_targetILNS1_3genE4ELNS1_11target_archE910ELNS1_3gpuE8ELNS1_3repE0EEENS1_48merge_mergepath_partition_config_static_selectorELNS0_4arch9wavefront6targetE0EEEvSK_
; %bb.0:
	.section	.rodata,"a",@progbits
	.p2align	6, 0x0
	.amdhsa_kernel _ZN7rocprim17ROCPRIM_400000_NS6detail17trampoline_kernelINS0_14default_configENS1_38merge_sort_block_merge_config_selectorIyNS0_10empty_typeEEEZZNS1_27merge_sort_block_merge_implIS3_N6thrust23THRUST_200600_302600_NS6detail15normal_iteratorINS9_10device_ptrIyEEEEPS5_m9comp_mod3IyEEE10hipError_tT0_T1_T2_jT3_P12ihipStream_tbPNSt15iterator_traitsISJ_E10value_typeEPNSP_ISK_E10value_typeEPSL_NS1_7vsmem_tEENKUlT_SJ_SK_SL_E_clISE_PySF_SF_EESI_SY_SJ_SK_SL_EUlSY_E_NS1_11comp_targetILNS1_3genE4ELNS1_11target_archE910ELNS1_3gpuE8ELNS1_3repE0EEENS1_48merge_mergepath_partition_config_static_selectorELNS0_4arch9wavefront6targetE0EEEvSK_
		.amdhsa_group_segment_fixed_size 0
		.amdhsa_private_segment_fixed_size 0
		.amdhsa_kernarg_size 48
		.amdhsa_user_sgpr_count 6
		.amdhsa_user_sgpr_private_segment_buffer 1
		.amdhsa_user_sgpr_dispatch_ptr 0
		.amdhsa_user_sgpr_queue_ptr 0
		.amdhsa_user_sgpr_kernarg_segment_ptr 1
		.amdhsa_user_sgpr_dispatch_id 0
		.amdhsa_user_sgpr_flat_scratch_init 0
		.amdhsa_user_sgpr_private_segment_size 0
		.amdhsa_wavefront_size32 1
		.amdhsa_uses_dynamic_stack 0
		.amdhsa_system_sgpr_private_segment_wavefront_offset 0
		.amdhsa_system_sgpr_workgroup_id_x 1
		.amdhsa_system_sgpr_workgroup_id_y 0
		.amdhsa_system_sgpr_workgroup_id_z 0
		.amdhsa_system_sgpr_workgroup_info 0
		.amdhsa_system_vgpr_workitem_id 0
		.amdhsa_next_free_vgpr 1
		.amdhsa_next_free_sgpr 1
		.amdhsa_reserve_vcc 0
		.amdhsa_reserve_flat_scratch 0
		.amdhsa_float_round_mode_32 0
		.amdhsa_float_round_mode_16_64 0
		.amdhsa_float_denorm_mode_32 3
		.amdhsa_float_denorm_mode_16_64 3
		.amdhsa_dx10_clamp 1
		.amdhsa_ieee_mode 1
		.amdhsa_fp16_overflow 0
		.amdhsa_workgroup_processor_mode 1
		.amdhsa_memory_ordered 1
		.amdhsa_forward_progress 1
		.amdhsa_shared_vgpr_count 0
		.amdhsa_exception_fp_ieee_invalid_op 0
		.amdhsa_exception_fp_denorm_src 0
		.amdhsa_exception_fp_ieee_div_zero 0
		.amdhsa_exception_fp_ieee_overflow 0
		.amdhsa_exception_fp_ieee_underflow 0
		.amdhsa_exception_fp_ieee_inexact 0
		.amdhsa_exception_int_div_zero 0
	.end_amdhsa_kernel
	.section	.text._ZN7rocprim17ROCPRIM_400000_NS6detail17trampoline_kernelINS0_14default_configENS1_38merge_sort_block_merge_config_selectorIyNS0_10empty_typeEEEZZNS1_27merge_sort_block_merge_implIS3_N6thrust23THRUST_200600_302600_NS6detail15normal_iteratorINS9_10device_ptrIyEEEEPS5_m9comp_mod3IyEEE10hipError_tT0_T1_T2_jT3_P12ihipStream_tbPNSt15iterator_traitsISJ_E10value_typeEPNSP_ISK_E10value_typeEPSL_NS1_7vsmem_tEENKUlT_SJ_SK_SL_E_clISE_PySF_SF_EESI_SY_SJ_SK_SL_EUlSY_E_NS1_11comp_targetILNS1_3genE4ELNS1_11target_archE910ELNS1_3gpuE8ELNS1_3repE0EEENS1_48merge_mergepath_partition_config_static_selectorELNS0_4arch9wavefront6targetE0EEEvSK_,"axG",@progbits,_ZN7rocprim17ROCPRIM_400000_NS6detail17trampoline_kernelINS0_14default_configENS1_38merge_sort_block_merge_config_selectorIyNS0_10empty_typeEEEZZNS1_27merge_sort_block_merge_implIS3_N6thrust23THRUST_200600_302600_NS6detail15normal_iteratorINS9_10device_ptrIyEEEEPS5_m9comp_mod3IyEEE10hipError_tT0_T1_T2_jT3_P12ihipStream_tbPNSt15iterator_traitsISJ_E10value_typeEPNSP_ISK_E10value_typeEPSL_NS1_7vsmem_tEENKUlT_SJ_SK_SL_E_clISE_PySF_SF_EESI_SY_SJ_SK_SL_EUlSY_E_NS1_11comp_targetILNS1_3genE4ELNS1_11target_archE910ELNS1_3gpuE8ELNS1_3repE0EEENS1_48merge_mergepath_partition_config_static_selectorELNS0_4arch9wavefront6targetE0EEEvSK_,comdat
.Lfunc_end786:
	.size	_ZN7rocprim17ROCPRIM_400000_NS6detail17trampoline_kernelINS0_14default_configENS1_38merge_sort_block_merge_config_selectorIyNS0_10empty_typeEEEZZNS1_27merge_sort_block_merge_implIS3_N6thrust23THRUST_200600_302600_NS6detail15normal_iteratorINS9_10device_ptrIyEEEEPS5_m9comp_mod3IyEEE10hipError_tT0_T1_T2_jT3_P12ihipStream_tbPNSt15iterator_traitsISJ_E10value_typeEPNSP_ISK_E10value_typeEPSL_NS1_7vsmem_tEENKUlT_SJ_SK_SL_E_clISE_PySF_SF_EESI_SY_SJ_SK_SL_EUlSY_E_NS1_11comp_targetILNS1_3genE4ELNS1_11target_archE910ELNS1_3gpuE8ELNS1_3repE0EEENS1_48merge_mergepath_partition_config_static_selectorELNS0_4arch9wavefront6targetE0EEEvSK_, .Lfunc_end786-_ZN7rocprim17ROCPRIM_400000_NS6detail17trampoline_kernelINS0_14default_configENS1_38merge_sort_block_merge_config_selectorIyNS0_10empty_typeEEEZZNS1_27merge_sort_block_merge_implIS3_N6thrust23THRUST_200600_302600_NS6detail15normal_iteratorINS9_10device_ptrIyEEEEPS5_m9comp_mod3IyEEE10hipError_tT0_T1_T2_jT3_P12ihipStream_tbPNSt15iterator_traitsISJ_E10value_typeEPNSP_ISK_E10value_typeEPSL_NS1_7vsmem_tEENKUlT_SJ_SK_SL_E_clISE_PySF_SF_EESI_SY_SJ_SK_SL_EUlSY_E_NS1_11comp_targetILNS1_3genE4ELNS1_11target_archE910ELNS1_3gpuE8ELNS1_3repE0EEENS1_48merge_mergepath_partition_config_static_selectorELNS0_4arch9wavefront6targetE0EEEvSK_
                                        ; -- End function
	.set _ZN7rocprim17ROCPRIM_400000_NS6detail17trampoline_kernelINS0_14default_configENS1_38merge_sort_block_merge_config_selectorIyNS0_10empty_typeEEEZZNS1_27merge_sort_block_merge_implIS3_N6thrust23THRUST_200600_302600_NS6detail15normal_iteratorINS9_10device_ptrIyEEEEPS5_m9comp_mod3IyEEE10hipError_tT0_T1_T2_jT3_P12ihipStream_tbPNSt15iterator_traitsISJ_E10value_typeEPNSP_ISK_E10value_typeEPSL_NS1_7vsmem_tEENKUlT_SJ_SK_SL_E_clISE_PySF_SF_EESI_SY_SJ_SK_SL_EUlSY_E_NS1_11comp_targetILNS1_3genE4ELNS1_11target_archE910ELNS1_3gpuE8ELNS1_3repE0EEENS1_48merge_mergepath_partition_config_static_selectorELNS0_4arch9wavefront6targetE0EEEvSK_.num_vgpr, 0
	.set _ZN7rocprim17ROCPRIM_400000_NS6detail17trampoline_kernelINS0_14default_configENS1_38merge_sort_block_merge_config_selectorIyNS0_10empty_typeEEEZZNS1_27merge_sort_block_merge_implIS3_N6thrust23THRUST_200600_302600_NS6detail15normal_iteratorINS9_10device_ptrIyEEEEPS5_m9comp_mod3IyEEE10hipError_tT0_T1_T2_jT3_P12ihipStream_tbPNSt15iterator_traitsISJ_E10value_typeEPNSP_ISK_E10value_typeEPSL_NS1_7vsmem_tEENKUlT_SJ_SK_SL_E_clISE_PySF_SF_EESI_SY_SJ_SK_SL_EUlSY_E_NS1_11comp_targetILNS1_3genE4ELNS1_11target_archE910ELNS1_3gpuE8ELNS1_3repE0EEENS1_48merge_mergepath_partition_config_static_selectorELNS0_4arch9wavefront6targetE0EEEvSK_.num_agpr, 0
	.set _ZN7rocprim17ROCPRIM_400000_NS6detail17trampoline_kernelINS0_14default_configENS1_38merge_sort_block_merge_config_selectorIyNS0_10empty_typeEEEZZNS1_27merge_sort_block_merge_implIS3_N6thrust23THRUST_200600_302600_NS6detail15normal_iteratorINS9_10device_ptrIyEEEEPS5_m9comp_mod3IyEEE10hipError_tT0_T1_T2_jT3_P12ihipStream_tbPNSt15iterator_traitsISJ_E10value_typeEPNSP_ISK_E10value_typeEPSL_NS1_7vsmem_tEENKUlT_SJ_SK_SL_E_clISE_PySF_SF_EESI_SY_SJ_SK_SL_EUlSY_E_NS1_11comp_targetILNS1_3genE4ELNS1_11target_archE910ELNS1_3gpuE8ELNS1_3repE0EEENS1_48merge_mergepath_partition_config_static_selectorELNS0_4arch9wavefront6targetE0EEEvSK_.numbered_sgpr, 0
	.set _ZN7rocprim17ROCPRIM_400000_NS6detail17trampoline_kernelINS0_14default_configENS1_38merge_sort_block_merge_config_selectorIyNS0_10empty_typeEEEZZNS1_27merge_sort_block_merge_implIS3_N6thrust23THRUST_200600_302600_NS6detail15normal_iteratorINS9_10device_ptrIyEEEEPS5_m9comp_mod3IyEEE10hipError_tT0_T1_T2_jT3_P12ihipStream_tbPNSt15iterator_traitsISJ_E10value_typeEPNSP_ISK_E10value_typeEPSL_NS1_7vsmem_tEENKUlT_SJ_SK_SL_E_clISE_PySF_SF_EESI_SY_SJ_SK_SL_EUlSY_E_NS1_11comp_targetILNS1_3genE4ELNS1_11target_archE910ELNS1_3gpuE8ELNS1_3repE0EEENS1_48merge_mergepath_partition_config_static_selectorELNS0_4arch9wavefront6targetE0EEEvSK_.num_named_barrier, 0
	.set _ZN7rocprim17ROCPRIM_400000_NS6detail17trampoline_kernelINS0_14default_configENS1_38merge_sort_block_merge_config_selectorIyNS0_10empty_typeEEEZZNS1_27merge_sort_block_merge_implIS3_N6thrust23THRUST_200600_302600_NS6detail15normal_iteratorINS9_10device_ptrIyEEEEPS5_m9comp_mod3IyEEE10hipError_tT0_T1_T2_jT3_P12ihipStream_tbPNSt15iterator_traitsISJ_E10value_typeEPNSP_ISK_E10value_typeEPSL_NS1_7vsmem_tEENKUlT_SJ_SK_SL_E_clISE_PySF_SF_EESI_SY_SJ_SK_SL_EUlSY_E_NS1_11comp_targetILNS1_3genE4ELNS1_11target_archE910ELNS1_3gpuE8ELNS1_3repE0EEENS1_48merge_mergepath_partition_config_static_selectorELNS0_4arch9wavefront6targetE0EEEvSK_.private_seg_size, 0
	.set _ZN7rocprim17ROCPRIM_400000_NS6detail17trampoline_kernelINS0_14default_configENS1_38merge_sort_block_merge_config_selectorIyNS0_10empty_typeEEEZZNS1_27merge_sort_block_merge_implIS3_N6thrust23THRUST_200600_302600_NS6detail15normal_iteratorINS9_10device_ptrIyEEEEPS5_m9comp_mod3IyEEE10hipError_tT0_T1_T2_jT3_P12ihipStream_tbPNSt15iterator_traitsISJ_E10value_typeEPNSP_ISK_E10value_typeEPSL_NS1_7vsmem_tEENKUlT_SJ_SK_SL_E_clISE_PySF_SF_EESI_SY_SJ_SK_SL_EUlSY_E_NS1_11comp_targetILNS1_3genE4ELNS1_11target_archE910ELNS1_3gpuE8ELNS1_3repE0EEENS1_48merge_mergepath_partition_config_static_selectorELNS0_4arch9wavefront6targetE0EEEvSK_.uses_vcc, 0
	.set _ZN7rocprim17ROCPRIM_400000_NS6detail17trampoline_kernelINS0_14default_configENS1_38merge_sort_block_merge_config_selectorIyNS0_10empty_typeEEEZZNS1_27merge_sort_block_merge_implIS3_N6thrust23THRUST_200600_302600_NS6detail15normal_iteratorINS9_10device_ptrIyEEEEPS5_m9comp_mod3IyEEE10hipError_tT0_T1_T2_jT3_P12ihipStream_tbPNSt15iterator_traitsISJ_E10value_typeEPNSP_ISK_E10value_typeEPSL_NS1_7vsmem_tEENKUlT_SJ_SK_SL_E_clISE_PySF_SF_EESI_SY_SJ_SK_SL_EUlSY_E_NS1_11comp_targetILNS1_3genE4ELNS1_11target_archE910ELNS1_3gpuE8ELNS1_3repE0EEENS1_48merge_mergepath_partition_config_static_selectorELNS0_4arch9wavefront6targetE0EEEvSK_.uses_flat_scratch, 0
	.set _ZN7rocprim17ROCPRIM_400000_NS6detail17trampoline_kernelINS0_14default_configENS1_38merge_sort_block_merge_config_selectorIyNS0_10empty_typeEEEZZNS1_27merge_sort_block_merge_implIS3_N6thrust23THRUST_200600_302600_NS6detail15normal_iteratorINS9_10device_ptrIyEEEEPS5_m9comp_mod3IyEEE10hipError_tT0_T1_T2_jT3_P12ihipStream_tbPNSt15iterator_traitsISJ_E10value_typeEPNSP_ISK_E10value_typeEPSL_NS1_7vsmem_tEENKUlT_SJ_SK_SL_E_clISE_PySF_SF_EESI_SY_SJ_SK_SL_EUlSY_E_NS1_11comp_targetILNS1_3genE4ELNS1_11target_archE910ELNS1_3gpuE8ELNS1_3repE0EEENS1_48merge_mergepath_partition_config_static_selectorELNS0_4arch9wavefront6targetE0EEEvSK_.has_dyn_sized_stack, 0
	.set _ZN7rocprim17ROCPRIM_400000_NS6detail17trampoline_kernelINS0_14default_configENS1_38merge_sort_block_merge_config_selectorIyNS0_10empty_typeEEEZZNS1_27merge_sort_block_merge_implIS3_N6thrust23THRUST_200600_302600_NS6detail15normal_iteratorINS9_10device_ptrIyEEEEPS5_m9comp_mod3IyEEE10hipError_tT0_T1_T2_jT3_P12ihipStream_tbPNSt15iterator_traitsISJ_E10value_typeEPNSP_ISK_E10value_typeEPSL_NS1_7vsmem_tEENKUlT_SJ_SK_SL_E_clISE_PySF_SF_EESI_SY_SJ_SK_SL_EUlSY_E_NS1_11comp_targetILNS1_3genE4ELNS1_11target_archE910ELNS1_3gpuE8ELNS1_3repE0EEENS1_48merge_mergepath_partition_config_static_selectorELNS0_4arch9wavefront6targetE0EEEvSK_.has_recursion, 0
	.set _ZN7rocprim17ROCPRIM_400000_NS6detail17trampoline_kernelINS0_14default_configENS1_38merge_sort_block_merge_config_selectorIyNS0_10empty_typeEEEZZNS1_27merge_sort_block_merge_implIS3_N6thrust23THRUST_200600_302600_NS6detail15normal_iteratorINS9_10device_ptrIyEEEEPS5_m9comp_mod3IyEEE10hipError_tT0_T1_T2_jT3_P12ihipStream_tbPNSt15iterator_traitsISJ_E10value_typeEPNSP_ISK_E10value_typeEPSL_NS1_7vsmem_tEENKUlT_SJ_SK_SL_E_clISE_PySF_SF_EESI_SY_SJ_SK_SL_EUlSY_E_NS1_11comp_targetILNS1_3genE4ELNS1_11target_archE910ELNS1_3gpuE8ELNS1_3repE0EEENS1_48merge_mergepath_partition_config_static_selectorELNS0_4arch9wavefront6targetE0EEEvSK_.has_indirect_call, 0
	.section	.AMDGPU.csdata,"",@progbits
; Kernel info:
; codeLenInByte = 0
; TotalNumSgprs: 0
; NumVgprs: 0
; ScratchSize: 0
; MemoryBound: 0
; FloatMode: 240
; IeeeMode: 1
; LDSByteSize: 0 bytes/workgroup (compile time only)
; SGPRBlocks: 0
; VGPRBlocks: 0
; NumSGPRsForWavesPerEU: 1
; NumVGPRsForWavesPerEU: 1
; Occupancy: 16
; WaveLimiterHint : 0
; COMPUTE_PGM_RSRC2:SCRATCH_EN: 0
; COMPUTE_PGM_RSRC2:USER_SGPR: 6
; COMPUTE_PGM_RSRC2:TRAP_HANDLER: 0
; COMPUTE_PGM_RSRC2:TGID_X_EN: 1
; COMPUTE_PGM_RSRC2:TGID_Y_EN: 0
; COMPUTE_PGM_RSRC2:TGID_Z_EN: 0
; COMPUTE_PGM_RSRC2:TIDIG_COMP_CNT: 0
	.section	.text._ZN7rocprim17ROCPRIM_400000_NS6detail17trampoline_kernelINS0_14default_configENS1_38merge_sort_block_merge_config_selectorIyNS0_10empty_typeEEEZZNS1_27merge_sort_block_merge_implIS3_N6thrust23THRUST_200600_302600_NS6detail15normal_iteratorINS9_10device_ptrIyEEEEPS5_m9comp_mod3IyEEE10hipError_tT0_T1_T2_jT3_P12ihipStream_tbPNSt15iterator_traitsISJ_E10value_typeEPNSP_ISK_E10value_typeEPSL_NS1_7vsmem_tEENKUlT_SJ_SK_SL_E_clISE_PySF_SF_EESI_SY_SJ_SK_SL_EUlSY_E_NS1_11comp_targetILNS1_3genE3ELNS1_11target_archE908ELNS1_3gpuE7ELNS1_3repE0EEENS1_48merge_mergepath_partition_config_static_selectorELNS0_4arch9wavefront6targetE0EEEvSK_,"axG",@progbits,_ZN7rocprim17ROCPRIM_400000_NS6detail17trampoline_kernelINS0_14default_configENS1_38merge_sort_block_merge_config_selectorIyNS0_10empty_typeEEEZZNS1_27merge_sort_block_merge_implIS3_N6thrust23THRUST_200600_302600_NS6detail15normal_iteratorINS9_10device_ptrIyEEEEPS5_m9comp_mod3IyEEE10hipError_tT0_T1_T2_jT3_P12ihipStream_tbPNSt15iterator_traitsISJ_E10value_typeEPNSP_ISK_E10value_typeEPSL_NS1_7vsmem_tEENKUlT_SJ_SK_SL_E_clISE_PySF_SF_EESI_SY_SJ_SK_SL_EUlSY_E_NS1_11comp_targetILNS1_3genE3ELNS1_11target_archE908ELNS1_3gpuE7ELNS1_3repE0EEENS1_48merge_mergepath_partition_config_static_selectorELNS0_4arch9wavefront6targetE0EEEvSK_,comdat
	.protected	_ZN7rocprim17ROCPRIM_400000_NS6detail17trampoline_kernelINS0_14default_configENS1_38merge_sort_block_merge_config_selectorIyNS0_10empty_typeEEEZZNS1_27merge_sort_block_merge_implIS3_N6thrust23THRUST_200600_302600_NS6detail15normal_iteratorINS9_10device_ptrIyEEEEPS5_m9comp_mod3IyEEE10hipError_tT0_T1_T2_jT3_P12ihipStream_tbPNSt15iterator_traitsISJ_E10value_typeEPNSP_ISK_E10value_typeEPSL_NS1_7vsmem_tEENKUlT_SJ_SK_SL_E_clISE_PySF_SF_EESI_SY_SJ_SK_SL_EUlSY_E_NS1_11comp_targetILNS1_3genE3ELNS1_11target_archE908ELNS1_3gpuE7ELNS1_3repE0EEENS1_48merge_mergepath_partition_config_static_selectorELNS0_4arch9wavefront6targetE0EEEvSK_ ; -- Begin function _ZN7rocprim17ROCPRIM_400000_NS6detail17trampoline_kernelINS0_14default_configENS1_38merge_sort_block_merge_config_selectorIyNS0_10empty_typeEEEZZNS1_27merge_sort_block_merge_implIS3_N6thrust23THRUST_200600_302600_NS6detail15normal_iteratorINS9_10device_ptrIyEEEEPS5_m9comp_mod3IyEEE10hipError_tT0_T1_T2_jT3_P12ihipStream_tbPNSt15iterator_traitsISJ_E10value_typeEPNSP_ISK_E10value_typeEPSL_NS1_7vsmem_tEENKUlT_SJ_SK_SL_E_clISE_PySF_SF_EESI_SY_SJ_SK_SL_EUlSY_E_NS1_11comp_targetILNS1_3genE3ELNS1_11target_archE908ELNS1_3gpuE7ELNS1_3repE0EEENS1_48merge_mergepath_partition_config_static_selectorELNS0_4arch9wavefront6targetE0EEEvSK_
	.globl	_ZN7rocprim17ROCPRIM_400000_NS6detail17trampoline_kernelINS0_14default_configENS1_38merge_sort_block_merge_config_selectorIyNS0_10empty_typeEEEZZNS1_27merge_sort_block_merge_implIS3_N6thrust23THRUST_200600_302600_NS6detail15normal_iteratorINS9_10device_ptrIyEEEEPS5_m9comp_mod3IyEEE10hipError_tT0_T1_T2_jT3_P12ihipStream_tbPNSt15iterator_traitsISJ_E10value_typeEPNSP_ISK_E10value_typeEPSL_NS1_7vsmem_tEENKUlT_SJ_SK_SL_E_clISE_PySF_SF_EESI_SY_SJ_SK_SL_EUlSY_E_NS1_11comp_targetILNS1_3genE3ELNS1_11target_archE908ELNS1_3gpuE7ELNS1_3repE0EEENS1_48merge_mergepath_partition_config_static_selectorELNS0_4arch9wavefront6targetE0EEEvSK_
	.p2align	8
	.type	_ZN7rocprim17ROCPRIM_400000_NS6detail17trampoline_kernelINS0_14default_configENS1_38merge_sort_block_merge_config_selectorIyNS0_10empty_typeEEEZZNS1_27merge_sort_block_merge_implIS3_N6thrust23THRUST_200600_302600_NS6detail15normal_iteratorINS9_10device_ptrIyEEEEPS5_m9comp_mod3IyEEE10hipError_tT0_T1_T2_jT3_P12ihipStream_tbPNSt15iterator_traitsISJ_E10value_typeEPNSP_ISK_E10value_typeEPSL_NS1_7vsmem_tEENKUlT_SJ_SK_SL_E_clISE_PySF_SF_EESI_SY_SJ_SK_SL_EUlSY_E_NS1_11comp_targetILNS1_3genE3ELNS1_11target_archE908ELNS1_3gpuE7ELNS1_3repE0EEENS1_48merge_mergepath_partition_config_static_selectorELNS0_4arch9wavefront6targetE0EEEvSK_,@function
_ZN7rocprim17ROCPRIM_400000_NS6detail17trampoline_kernelINS0_14default_configENS1_38merge_sort_block_merge_config_selectorIyNS0_10empty_typeEEEZZNS1_27merge_sort_block_merge_implIS3_N6thrust23THRUST_200600_302600_NS6detail15normal_iteratorINS9_10device_ptrIyEEEEPS5_m9comp_mod3IyEEE10hipError_tT0_T1_T2_jT3_P12ihipStream_tbPNSt15iterator_traitsISJ_E10value_typeEPNSP_ISK_E10value_typeEPSL_NS1_7vsmem_tEENKUlT_SJ_SK_SL_E_clISE_PySF_SF_EESI_SY_SJ_SK_SL_EUlSY_E_NS1_11comp_targetILNS1_3genE3ELNS1_11target_archE908ELNS1_3gpuE7ELNS1_3repE0EEENS1_48merge_mergepath_partition_config_static_selectorELNS0_4arch9wavefront6targetE0EEEvSK_: ; @_ZN7rocprim17ROCPRIM_400000_NS6detail17trampoline_kernelINS0_14default_configENS1_38merge_sort_block_merge_config_selectorIyNS0_10empty_typeEEEZZNS1_27merge_sort_block_merge_implIS3_N6thrust23THRUST_200600_302600_NS6detail15normal_iteratorINS9_10device_ptrIyEEEEPS5_m9comp_mod3IyEEE10hipError_tT0_T1_T2_jT3_P12ihipStream_tbPNSt15iterator_traitsISJ_E10value_typeEPNSP_ISK_E10value_typeEPSL_NS1_7vsmem_tEENKUlT_SJ_SK_SL_E_clISE_PySF_SF_EESI_SY_SJ_SK_SL_EUlSY_E_NS1_11comp_targetILNS1_3genE3ELNS1_11target_archE908ELNS1_3gpuE7ELNS1_3repE0EEENS1_48merge_mergepath_partition_config_static_selectorELNS0_4arch9wavefront6targetE0EEEvSK_
; %bb.0:
	.section	.rodata,"a",@progbits
	.p2align	6, 0x0
	.amdhsa_kernel _ZN7rocprim17ROCPRIM_400000_NS6detail17trampoline_kernelINS0_14default_configENS1_38merge_sort_block_merge_config_selectorIyNS0_10empty_typeEEEZZNS1_27merge_sort_block_merge_implIS3_N6thrust23THRUST_200600_302600_NS6detail15normal_iteratorINS9_10device_ptrIyEEEEPS5_m9comp_mod3IyEEE10hipError_tT0_T1_T2_jT3_P12ihipStream_tbPNSt15iterator_traitsISJ_E10value_typeEPNSP_ISK_E10value_typeEPSL_NS1_7vsmem_tEENKUlT_SJ_SK_SL_E_clISE_PySF_SF_EESI_SY_SJ_SK_SL_EUlSY_E_NS1_11comp_targetILNS1_3genE3ELNS1_11target_archE908ELNS1_3gpuE7ELNS1_3repE0EEENS1_48merge_mergepath_partition_config_static_selectorELNS0_4arch9wavefront6targetE0EEEvSK_
		.amdhsa_group_segment_fixed_size 0
		.amdhsa_private_segment_fixed_size 0
		.amdhsa_kernarg_size 48
		.amdhsa_user_sgpr_count 6
		.amdhsa_user_sgpr_private_segment_buffer 1
		.amdhsa_user_sgpr_dispatch_ptr 0
		.amdhsa_user_sgpr_queue_ptr 0
		.amdhsa_user_sgpr_kernarg_segment_ptr 1
		.amdhsa_user_sgpr_dispatch_id 0
		.amdhsa_user_sgpr_flat_scratch_init 0
		.amdhsa_user_sgpr_private_segment_size 0
		.amdhsa_wavefront_size32 1
		.amdhsa_uses_dynamic_stack 0
		.amdhsa_system_sgpr_private_segment_wavefront_offset 0
		.amdhsa_system_sgpr_workgroup_id_x 1
		.amdhsa_system_sgpr_workgroup_id_y 0
		.amdhsa_system_sgpr_workgroup_id_z 0
		.amdhsa_system_sgpr_workgroup_info 0
		.amdhsa_system_vgpr_workitem_id 0
		.amdhsa_next_free_vgpr 1
		.amdhsa_next_free_sgpr 1
		.amdhsa_reserve_vcc 0
		.amdhsa_reserve_flat_scratch 0
		.amdhsa_float_round_mode_32 0
		.amdhsa_float_round_mode_16_64 0
		.amdhsa_float_denorm_mode_32 3
		.amdhsa_float_denorm_mode_16_64 3
		.amdhsa_dx10_clamp 1
		.amdhsa_ieee_mode 1
		.amdhsa_fp16_overflow 0
		.amdhsa_workgroup_processor_mode 1
		.amdhsa_memory_ordered 1
		.amdhsa_forward_progress 1
		.amdhsa_shared_vgpr_count 0
		.amdhsa_exception_fp_ieee_invalid_op 0
		.amdhsa_exception_fp_denorm_src 0
		.amdhsa_exception_fp_ieee_div_zero 0
		.amdhsa_exception_fp_ieee_overflow 0
		.amdhsa_exception_fp_ieee_underflow 0
		.amdhsa_exception_fp_ieee_inexact 0
		.amdhsa_exception_int_div_zero 0
	.end_amdhsa_kernel
	.section	.text._ZN7rocprim17ROCPRIM_400000_NS6detail17trampoline_kernelINS0_14default_configENS1_38merge_sort_block_merge_config_selectorIyNS0_10empty_typeEEEZZNS1_27merge_sort_block_merge_implIS3_N6thrust23THRUST_200600_302600_NS6detail15normal_iteratorINS9_10device_ptrIyEEEEPS5_m9comp_mod3IyEEE10hipError_tT0_T1_T2_jT3_P12ihipStream_tbPNSt15iterator_traitsISJ_E10value_typeEPNSP_ISK_E10value_typeEPSL_NS1_7vsmem_tEENKUlT_SJ_SK_SL_E_clISE_PySF_SF_EESI_SY_SJ_SK_SL_EUlSY_E_NS1_11comp_targetILNS1_3genE3ELNS1_11target_archE908ELNS1_3gpuE7ELNS1_3repE0EEENS1_48merge_mergepath_partition_config_static_selectorELNS0_4arch9wavefront6targetE0EEEvSK_,"axG",@progbits,_ZN7rocprim17ROCPRIM_400000_NS6detail17trampoline_kernelINS0_14default_configENS1_38merge_sort_block_merge_config_selectorIyNS0_10empty_typeEEEZZNS1_27merge_sort_block_merge_implIS3_N6thrust23THRUST_200600_302600_NS6detail15normal_iteratorINS9_10device_ptrIyEEEEPS5_m9comp_mod3IyEEE10hipError_tT0_T1_T2_jT3_P12ihipStream_tbPNSt15iterator_traitsISJ_E10value_typeEPNSP_ISK_E10value_typeEPSL_NS1_7vsmem_tEENKUlT_SJ_SK_SL_E_clISE_PySF_SF_EESI_SY_SJ_SK_SL_EUlSY_E_NS1_11comp_targetILNS1_3genE3ELNS1_11target_archE908ELNS1_3gpuE7ELNS1_3repE0EEENS1_48merge_mergepath_partition_config_static_selectorELNS0_4arch9wavefront6targetE0EEEvSK_,comdat
.Lfunc_end787:
	.size	_ZN7rocprim17ROCPRIM_400000_NS6detail17trampoline_kernelINS0_14default_configENS1_38merge_sort_block_merge_config_selectorIyNS0_10empty_typeEEEZZNS1_27merge_sort_block_merge_implIS3_N6thrust23THRUST_200600_302600_NS6detail15normal_iteratorINS9_10device_ptrIyEEEEPS5_m9comp_mod3IyEEE10hipError_tT0_T1_T2_jT3_P12ihipStream_tbPNSt15iterator_traitsISJ_E10value_typeEPNSP_ISK_E10value_typeEPSL_NS1_7vsmem_tEENKUlT_SJ_SK_SL_E_clISE_PySF_SF_EESI_SY_SJ_SK_SL_EUlSY_E_NS1_11comp_targetILNS1_3genE3ELNS1_11target_archE908ELNS1_3gpuE7ELNS1_3repE0EEENS1_48merge_mergepath_partition_config_static_selectorELNS0_4arch9wavefront6targetE0EEEvSK_, .Lfunc_end787-_ZN7rocprim17ROCPRIM_400000_NS6detail17trampoline_kernelINS0_14default_configENS1_38merge_sort_block_merge_config_selectorIyNS0_10empty_typeEEEZZNS1_27merge_sort_block_merge_implIS3_N6thrust23THRUST_200600_302600_NS6detail15normal_iteratorINS9_10device_ptrIyEEEEPS5_m9comp_mod3IyEEE10hipError_tT0_T1_T2_jT3_P12ihipStream_tbPNSt15iterator_traitsISJ_E10value_typeEPNSP_ISK_E10value_typeEPSL_NS1_7vsmem_tEENKUlT_SJ_SK_SL_E_clISE_PySF_SF_EESI_SY_SJ_SK_SL_EUlSY_E_NS1_11comp_targetILNS1_3genE3ELNS1_11target_archE908ELNS1_3gpuE7ELNS1_3repE0EEENS1_48merge_mergepath_partition_config_static_selectorELNS0_4arch9wavefront6targetE0EEEvSK_
                                        ; -- End function
	.set _ZN7rocprim17ROCPRIM_400000_NS6detail17trampoline_kernelINS0_14default_configENS1_38merge_sort_block_merge_config_selectorIyNS0_10empty_typeEEEZZNS1_27merge_sort_block_merge_implIS3_N6thrust23THRUST_200600_302600_NS6detail15normal_iteratorINS9_10device_ptrIyEEEEPS5_m9comp_mod3IyEEE10hipError_tT0_T1_T2_jT3_P12ihipStream_tbPNSt15iterator_traitsISJ_E10value_typeEPNSP_ISK_E10value_typeEPSL_NS1_7vsmem_tEENKUlT_SJ_SK_SL_E_clISE_PySF_SF_EESI_SY_SJ_SK_SL_EUlSY_E_NS1_11comp_targetILNS1_3genE3ELNS1_11target_archE908ELNS1_3gpuE7ELNS1_3repE0EEENS1_48merge_mergepath_partition_config_static_selectorELNS0_4arch9wavefront6targetE0EEEvSK_.num_vgpr, 0
	.set _ZN7rocprim17ROCPRIM_400000_NS6detail17trampoline_kernelINS0_14default_configENS1_38merge_sort_block_merge_config_selectorIyNS0_10empty_typeEEEZZNS1_27merge_sort_block_merge_implIS3_N6thrust23THRUST_200600_302600_NS6detail15normal_iteratorINS9_10device_ptrIyEEEEPS5_m9comp_mod3IyEEE10hipError_tT0_T1_T2_jT3_P12ihipStream_tbPNSt15iterator_traitsISJ_E10value_typeEPNSP_ISK_E10value_typeEPSL_NS1_7vsmem_tEENKUlT_SJ_SK_SL_E_clISE_PySF_SF_EESI_SY_SJ_SK_SL_EUlSY_E_NS1_11comp_targetILNS1_3genE3ELNS1_11target_archE908ELNS1_3gpuE7ELNS1_3repE0EEENS1_48merge_mergepath_partition_config_static_selectorELNS0_4arch9wavefront6targetE0EEEvSK_.num_agpr, 0
	.set _ZN7rocprim17ROCPRIM_400000_NS6detail17trampoline_kernelINS0_14default_configENS1_38merge_sort_block_merge_config_selectorIyNS0_10empty_typeEEEZZNS1_27merge_sort_block_merge_implIS3_N6thrust23THRUST_200600_302600_NS6detail15normal_iteratorINS9_10device_ptrIyEEEEPS5_m9comp_mod3IyEEE10hipError_tT0_T1_T2_jT3_P12ihipStream_tbPNSt15iterator_traitsISJ_E10value_typeEPNSP_ISK_E10value_typeEPSL_NS1_7vsmem_tEENKUlT_SJ_SK_SL_E_clISE_PySF_SF_EESI_SY_SJ_SK_SL_EUlSY_E_NS1_11comp_targetILNS1_3genE3ELNS1_11target_archE908ELNS1_3gpuE7ELNS1_3repE0EEENS1_48merge_mergepath_partition_config_static_selectorELNS0_4arch9wavefront6targetE0EEEvSK_.numbered_sgpr, 0
	.set _ZN7rocprim17ROCPRIM_400000_NS6detail17trampoline_kernelINS0_14default_configENS1_38merge_sort_block_merge_config_selectorIyNS0_10empty_typeEEEZZNS1_27merge_sort_block_merge_implIS3_N6thrust23THRUST_200600_302600_NS6detail15normal_iteratorINS9_10device_ptrIyEEEEPS5_m9comp_mod3IyEEE10hipError_tT0_T1_T2_jT3_P12ihipStream_tbPNSt15iterator_traitsISJ_E10value_typeEPNSP_ISK_E10value_typeEPSL_NS1_7vsmem_tEENKUlT_SJ_SK_SL_E_clISE_PySF_SF_EESI_SY_SJ_SK_SL_EUlSY_E_NS1_11comp_targetILNS1_3genE3ELNS1_11target_archE908ELNS1_3gpuE7ELNS1_3repE0EEENS1_48merge_mergepath_partition_config_static_selectorELNS0_4arch9wavefront6targetE0EEEvSK_.num_named_barrier, 0
	.set _ZN7rocprim17ROCPRIM_400000_NS6detail17trampoline_kernelINS0_14default_configENS1_38merge_sort_block_merge_config_selectorIyNS0_10empty_typeEEEZZNS1_27merge_sort_block_merge_implIS3_N6thrust23THRUST_200600_302600_NS6detail15normal_iteratorINS9_10device_ptrIyEEEEPS5_m9comp_mod3IyEEE10hipError_tT0_T1_T2_jT3_P12ihipStream_tbPNSt15iterator_traitsISJ_E10value_typeEPNSP_ISK_E10value_typeEPSL_NS1_7vsmem_tEENKUlT_SJ_SK_SL_E_clISE_PySF_SF_EESI_SY_SJ_SK_SL_EUlSY_E_NS1_11comp_targetILNS1_3genE3ELNS1_11target_archE908ELNS1_3gpuE7ELNS1_3repE0EEENS1_48merge_mergepath_partition_config_static_selectorELNS0_4arch9wavefront6targetE0EEEvSK_.private_seg_size, 0
	.set _ZN7rocprim17ROCPRIM_400000_NS6detail17trampoline_kernelINS0_14default_configENS1_38merge_sort_block_merge_config_selectorIyNS0_10empty_typeEEEZZNS1_27merge_sort_block_merge_implIS3_N6thrust23THRUST_200600_302600_NS6detail15normal_iteratorINS9_10device_ptrIyEEEEPS5_m9comp_mod3IyEEE10hipError_tT0_T1_T2_jT3_P12ihipStream_tbPNSt15iterator_traitsISJ_E10value_typeEPNSP_ISK_E10value_typeEPSL_NS1_7vsmem_tEENKUlT_SJ_SK_SL_E_clISE_PySF_SF_EESI_SY_SJ_SK_SL_EUlSY_E_NS1_11comp_targetILNS1_3genE3ELNS1_11target_archE908ELNS1_3gpuE7ELNS1_3repE0EEENS1_48merge_mergepath_partition_config_static_selectorELNS0_4arch9wavefront6targetE0EEEvSK_.uses_vcc, 0
	.set _ZN7rocprim17ROCPRIM_400000_NS6detail17trampoline_kernelINS0_14default_configENS1_38merge_sort_block_merge_config_selectorIyNS0_10empty_typeEEEZZNS1_27merge_sort_block_merge_implIS3_N6thrust23THRUST_200600_302600_NS6detail15normal_iteratorINS9_10device_ptrIyEEEEPS5_m9comp_mod3IyEEE10hipError_tT0_T1_T2_jT3_P12ihipStream_tbPNSt15iterator_traitsISJ_E10value_typeEPNSP_ISK_E10value_typeEPSL_NS1_7vsmem_tEENKUlT_SJ_SK_SL_E_clISE_PySF_SF_EESI_SY_SJ_SK_SL_EUlSY_E_NS1_11comp_targetILNS1_3genE3ELNS1_11target_archE908ELNS1_3gpuE7ELNS1_3repE0EEENS1_48merge_mergepath_partition_config_static_selectorELNS0_4arch9wavefront6targetE0EEEvSK_.uses_flat_scratch, 0
	.set _ZN7rocprim17ROCPRIM_400000_NS6detail17trampoline_kernelINS0_14default_configENS1_38merge_sort_block_merge_config_selectorIyNS0_10empty_typeEEEZZNS1_27merge_sort_block_merge_implIS3_N6thrust23THRUST_200600_302600_NS6detail15normal_iteratorINS9_10device_ptrIyEEEEPS5_m9comp_mod3IyEEE10hipError_tT0_T1_T2_jT3_P12ihipStream_tbPNSt15iterator_traitsISJ_E10value_typeEPNSP_ISK_E10value_typeEPSL_NS1_7vsmem_tEENKUlT_SJ_SK_SL_E_clISE_PySF_SF_EESI_SY_SJ_SK_SL_EUlSY_E_NS1_11comp_targetILNS1_3genE3ELNS1_11target_archE908ELNS1_3gpuE7ELNS1_3repE0EEENS1_48merge_mergepath_partition_config_static_selectorELNS0_4arch9wavefront6targetE0EEEvSK_.has_dyn_sized_stack, 0
	.set _ZN7rocprim17ROCPRIM_400000_NS6detail17trampoline_kernelINS0_14default_configENS1_38merge_sort_block_merge_config_selectorIyNS0_10empty_typeEEEZZNS1_27merge_sort_block_merge_implIS3_N6thrust23THRUST_200600_302600_NS6detail15normal_iteratorINS9_10device_ptrIyEEEEPS5_m9comp_mod3IyEEE10hipError_tT0_T1_T2_jT3_P12ihipStream_tbPNSt15iterator_traitsISJ_E10value_typeEPNSP_ISK_E10value_typeEPSL_NS1_7vsmem_tEENKUlT_SJ_SK_SL_E_clISE_PySF_SF_EESI_SY_SJ_SK_SL_EUlSY_E_NS1_11comp_targetILNS1_3genE3ELNS1_11target_archE908ELNS1_3gpuE7ELNS1_3repE0EEENS1_48merge_mergepath_partition_config_static_selectorELNS0_4arch9wavefront6targetE0EEEvSK_.has_recursion, 0
	.set _ZN7rocprim17ROCPRIM_400000_NS6detail17trampoline_kernelINS0_14default_configENS1_38merge_sort_block_merge_config_selectorIyNS0_10empty_typeEEEZZNS1_27merge_sort_block_merge_implIS3_N6thrust23THRUST_200600_302600_NS6detail15normal_iteratorINS9_10device_ptrIyEEEEPS5_m9comp_mod3IyEEE10hipError_tT0_T1_T2_jT3_P12ihipStream_tbPNSt15iterator_traitsISJ_E10value_typeEPNSP_ISK_E10value_typeEPSL_NS1_7vsmem_tEENKUlT_SJ_SK_SL_E_clISE_PySF_SF_EESI_SY_SJ_SK_SL_EUlSY_E_NS1_11comp_targetILNS1_3genE3ELNS1_11target_archE908ELNS1_3gpuE7ELNS1_3repE0EEENS1_48merge_mergepath_partition_config_static_selectorELNS0_4arch9wavefront6targetE0EEEvSK_.has_indirect_call, 0
	.section	.AMDGPU.csdata,"",@progbits
; Kernel info:
; codeLenInByte = 0
; TotalNumSgprs: 0
; NumVgprs: 0
; ScratchSize: 0
; MemoryBound: 0
; FloatMode: 240
; IeeeMode: 1
; LDSByteSize: 0 bytes/workgroup (compile time only)
; SGPRBlocks: 0
; VGPRBlocks: 0
; NumSGPRsForWavesPerEU: 1
; NumVGPRsForWavesPerEU: 1
; Occupancy: 16
; WaveLimiterHint : 0
; COMPUTE_PGM_RSRC2:SCRATCH_EN: 0
; COMPUTE_PGM_RSRC2:USER_SGPR: 6
; COMPUTE_PGM_RSRC2:TRAP_HANDLER: 0
; COMPUTE_PGM_RSRC2:TGID_X_EN: 1
; COMPUTE_PGM_RSRC2:TGID_Y_EN: 0
; COMPUTE_PGM_RSRC2:TGID_Z_EN: 0
; COMPUTE_PGM_RSRC2:TIDIG_COMP_CNT: 0
	.section	.text._ZN7rocprim17ROCPRIM_400000_NS6detail17trampoline_kernelINS0_14default_configENS1_38merge_sort_block_merge_config_selectorIyNS0_10empty_typeEEEZZNS1_27merge_sort_block_merge_implIS3_N6thrust23THRUST_200600_302600_NS6detail15normal_iteratorINS9_10device_ptrIyEEEEPS5_m9comp_mod3IyEEE10hipError_tT0_T1_T2_jT3_P12ihipStream_tbPNSt15iterator_traitsISJ_E10value_typeEPNSP_ISK_E10value_typeEPSL_NS1_7vsmem_tEENKUlT_SJ_SK_SL_E_clISE_PySF_SF_EESI_SY_SJ_SK_SL_EUlSY_E_NS1_11comp_targetILNS1_3genE2ELNS1_11target_archE906ELNS1_3gpuE6ELNS1_3repE0EEENS1_48merge_mergepath_partition_config_static_selectorELNS0_4arch9wavefront6targetE0EEEvSK_,"axG",@progbits,_ZN7rocprim17ROCPRIM_400000_NS6detail17trampoline_kernelINS0_14default_configENS1_38merge_sort_block_merge_config_selectorIyNS0_10empty_typeEEEZZNS1_27merge_sort_block_merge_implIS3_N6thrust23THRUST_200600_302600_NS6detail15normal_iteratorINS9_10device_ptrIyEEEEPS5_m9comp_mod3IyEEE10hipError_tT0_T1_T2_jT3_P12ihipStream_tbPNSt15iterator_traitsISJ_E10value_typeEPNSP_ISK_E10value_typeEPSL_NS1_7vsmem_tEENKUlT_SJ_SK_SL_E_clISE_PySF_SF_EESI_SY_SJ_SK_SL_EUlSY_E_NS1_11comp_targetILNS1_3genE2ELNS1_11target_archE906ELNS1_3gpuE6ELNS1_3repE0EEENS1_48merge_mergepath_partition_config_static_selectorELNS0_4arch9wavefront6targetE0EEEvSK_,comdat
	.protected	_ZN7rocprim17ROCPRIM_400000_NS6detail17trampoline_kernelINS0_14default_configENS1_38merge_sort_block_merge_config_selectorIyNS0_10empty_typeEEEZZNS1_27merge_sort_block_merge_implIS3_N6thrust23THRUST_200600_302600_NS6detail15normal_iteratorINS9_10device_ptrIyEEEEPS5_m9comp_mod3IyEEE10hipError_tT0_T1_T2_jT3_P12ihipStream_tbPNSt15iterator_traitsISJ_E10value_typeEPNSP_ISK_E10value_typeEPSL_NS1_7vsmem_tEENKUlT_SJ_SK_SL_E_clISE_PySF_SF_EESI_SY_SJ_SK_SL_EUlSY_E_NS1_11comp_targetILNS1_3genE2ELNS1_11target_archE906ELNS1_3gpuE6ELNS1_3repE0EEENS1_48merge_mergepath_partition_config_static_selectorELNS0_4arch9wavefront6targetE0EEEvSK_ ; -- Begin function _ZN7rocprim17ROCPRIM_400000_NS6detail17trampoline_kernelINS0_14default_configENS1_38merge_sort_block_merge_config_selectorIyNS0_10empty_typeEEEZZNS1_27merge_sort_block_merge_implIS3_N6thrust23THRUST_200600_302600_NS6detail15normal_iteratorINS9_10device_ptrIyEEEEPS5_m9comp_mod3IyEEE10hipError_tT0_T1_T2_jT3_P12ihipStream_tbPNSt15iterator_traitsISJ_E10value_typeEPNSP_ISK_E10value_typeEPSL_NS1_7vsmem_tEENKUlT_SJ_SK_SL_E_clISE_PySF_SF_EESI_SY_SJ_SK_SL_EUlSY_E_NS1_11comp_targetILNS1_3genE2ELNS1_11target_archE906ELNS1_3gpuE6ELNS1_3repE0EEENS1_48merge_mergepath_partition_config_static_selectorELNS0_4arch9wavefront6targetE0EEEvSK_
	.globl	_ZN7rocprim17ROCPRIM_400000_NS6detail17trampoline_kernelINS0_14default_configENS1_38merge_sort_block_merge_config_selectorIyNS0_10empty_typeEEEZZNS1_27merge_sort_block_merge_implIS3_N6thrust23THRUST_200600_302600_NS6detail15normal_iteratorINS9_10device_ptrIyEEEEPS5_m9comp_mod3IyEEE10hipError_tT0_T1_T2_jT3_P12ihipStream_tbPNSt15iterator_traitsISJ_E10value_typeEPNSP_ISK_E10value_typeEPSL_NS1_7vsmem_tEENKUlT_SJ_SK_SL_E_clISE_PySF_SF_EESI_SY_SJ_SK_SL_EUlSY_E_NS1_11comp_targetILNS1_3genE2ELNS1_11target_archE906ELNS1_3gpuE6ELNS1_3repE0EEENS1_48merge_mergepath_partition_config_static_selectorELNS0_4arch9wavefront6targetE0EEEvSK_
	.p2align	8
	.type	_ZN7rocprim17ROCPRIM_400000_NS6detail17trampoline_kernelINS0_14default_configENS1_38merge_sort_block_merge_config_selectorIyNS0_10empty_typeEEEZZNS1_27merge_sort_block_merge_implIS3_N6thrust23THRUST_200600_302600_NS6detail15normal_iteratorINS9_10device_ptrIyEEEEPS5_m9comp_mod3IyEEE10hipError_tT0_T1_T2_jT3_P12ihipStream_tbPNSt15iterator_traitsISJ_E10value_typeEPNSP_ISK_E10value_typeEPSL_NS1_7vsmem_tEENKUlT_SJ_SK_SL_E_clISE_PySF_SF_EESI_SY_SJ_SK_SL_EUlSY_E_NS1_11comp_targetILNS1_3genE2ELNS1_11target_archE906ELNS1_3gpuE6ELNS1_3repE0EEENS1_48merge_mergepath_partition_config_static_selectorELNS0_4arch9wavefront6targetE0EEEvSK_,@function
_ZN7rocprim17ROCPRIM_400000_NS6detail17trampoline_kernelINS0_14default_configENS1_38merge_sort_block_merge_config_selectorIyNS0_10empty_typeEEEZZNS1_27merge_sort_block_merge_implIS3_N6thrust23THRUST_200600_302600_NS6detail15normal_iteratorINS9_10device_ptrIyEEEEPS5_m9comp_mod3IyEEE10hipError_tT0_T1_T2_jT3_P12ihipStream_tbPNSt15iterator_traitsISJ_E10value_typeEPNSP_ISK_E10value_typeEPSL_NS1_7vsmem_tEENKUlT_SJ_SK_SL_E_clISE_PySF_SF_EESI_SY_SJ_SK_SL_EUlSY_E_NS1_11comp_targetILNS1_3genE2ELNS1_11target_archE906ELNS1_3gpuE6ELNS1_3repE0EEENS1_48merge_mergepath_partition_config_static_selectorELNS0_4arch9wavefront6targetE0EEEvSK_: ; @_ZN7rocprim17ROCPRIM_400000_NS6detail17trampoline_kernelINS0_14default_configENS1_38merge_sort_block_merge_config_selectorIyNS0_10empty_typeEEEZZNS1_27merge_sort_block_merge_implIS3_N6thrust23THRUST_200600_302600_NS6detail15normal_iteratorINS9_10device_ptrIyEEEEPS5_m9comp_mod3IyEEE10hipError_tT0_T1_T2_jT3_P12ihipStream_tbPNSt15iterator_traitsISJ_E10value_typeEPNSP_ISK_E10value_typeEPSL_NS1_7vsmem_tEENKUlT_SJ_SK_SL_E_clISE_PySF_SF_EESI_SY_SJ_SK_SL_EUlSY_E_NS1_11comp_targetILNS1_3genE2ELNS1_11target_archE906ELNS1_3gpuE6ELNS1_3repE0EEENS1_48merge_mergepath_partition_config_static_selectorELNS0_4arch9wavefront6targetE0EEEvSK_
; %bb.0:
	.section	.rodata,"a",@progbits
	.p2align	6, 0x0
	.amdhsa_kernel _ZN7rocprim17ROCPRIM_400000_NS6detail17trampoline_kernelINS0_14default_configENS1_38merge_sort_block_merge_config_selectorIyNS0_10empty_typeEEEZZNS1_27merge_sort_block_merge_implIS3_N6thrust23THRUST_200600_302600_NS6detail15normal_iteratorINS9_10device_ptrIyEEEEPS5_m9comp_mod3IyEEE10hipError_tT0_T1_T2_jT3_P12ihipStream_tbPNSt15iterator_traitsISJ_E10value_typeEPNSP_ISK_E10value_typeEPSL_NS1_7vsmem_tEENKUlT_SJ_SK_SL_E_clISE_PySF_SF_EESI_SY_SJ_SK_SL_EUlSY_E_NS1_11comp_targetILNS1_3genE2ELNS1_11target_archE906ELNS1_3gpuE6ELNS1_3repE0EEENS1_48merge_mergepath_partition_config_static_selectorELNS0_4arch9wavefront6targetE0EEEvSK_
		.amdhsa_group_segment_fixed_size 0
		.amdhsa_private_segment_fixed_size 0
		.amdhsa_kernarg_size 48
		.amdhsa_user_sgpr_count 6
		.amdhsa_user_sgpr_private_segment_buffer 1
		.amdhsa_user_sgpr_dispatch_ptr 0
		.amdhsa_user_sgpr_queue_ptr 0
		.amdhsa_user_sgpr_kernarg_segment_ptr 1
		.amdhsa_user_sgpr_dispatch_id 0
		.amdhsa_user_sgpr_flat_scratch_init 0
		.amdhsa_user_sgpr_private_segment_size 0
		.amdhsa_wavefront_size32 1
		.amdhsa_uses_dynamic_stack 0
		.amdhsa_system_sgpr_private_segment_wavefront_offset 0
		.amdhsa_system_sgpr_workgroup_id_x 1
		.amdhsa_system_sgpr_workgroup_id_y 0
		.amdhsa_system_sgpr_workgroup_id_z 0
		.amdhsa_system_sgpr_workgroup_info 0
		.amdhsa_system_vgpr_workitem_id 0
		.amdhsa_next_free_vgpr 1
		.amdhsa_next_free_sgpr 1
		.amdhsa_reserve_vcc 0
		.amdhsa_reserve_flat_scratch 0
		.amdhsa_float_round_mode_32 0
		.amdhsa_float_round_mode_16_64 0
		.amdhsa_float_denorm_mode_32 3
		.amdhsa_float_denorm_mode_16_64 3
		.amdhsa_dx10_clamp 1
		.amdhsa_ieee_mode 1
		.amdhsa_fp16_overflow 0
		.amdhsa_workgroup_processor_mode 1
		.amdhsa_memory_ordered 1
		.amdhsa_forward_progress 1
		.amdhsa_shared_vgpr_count 0
		.amdhsa_exception_fp_ieee_invalid_op 0
		.amdhsa_exception_fp_denorm_src 0
		.amdhsa_exception_fp_ieee_div_zero 0
		.amdhsa_exception_fp_ieee_overflow 0
		.amdhsa_exception_fp_ieee_underflow 0
		.amdhsa_exception_fp_ieee_inexact 0
		.amdhsa_exception_int_div_zero 0
	.end_amdhsa_kernel
	.section	.text._ZN7rocprim17ROCPRIM_400000_NS6detail17trampoline_kernelINS0_14default_configENS1_38merge_sort_block_merge_config_selectorIyNS0_10empty_typeEEEZZNS1_27merge_sort_block_merge_implIS3_N6thrust23THRUST_200600_302600_NS6detail15normal_iteratorINS9_10device_ptrIyEEEEPS5_m9comp_mod3IyEEE10hipError_tT0_T1_T2_jT3_P12ihipStream_tbPNSt15iterator_traitsISJ_E10value_typeEPNSP_ISK_E10value_typeEPSL_NS1_7vsmem_tEENKUlT_SJ_SK_SL_E_clISE_PySF_SF_EESI_SY_SJ_SK_SL_EUlSY_E_NS1_11comp_targetILNS1_3genE2ELNS1_11target_archE906ELNS1_3gpuE6ELNS1_3repE0EEENS1_48merge_mergepath_partition_config_static_selectorELNS0_4arch9wavefront6targetE0EEEvSK_,"axG",@progbits,_ZN7rocprim17ROCPRIM_400000_NS6detail17trampoline_kernelINS0_14default_configENS1_38merge_sort_block_merge_config_selectorIyNS0_10empty_typeEEEZZNS1_27merge_sort_block_merge_implIS3_N6thrust23THRUST_200600_302600_NS6detail15normal_iteratorINS9_10device_ptrIyEEEEPS5_m9comp_mod3IyEEE10hipError_tT0_T1_T2_jT3_P12ihipStream_tbPNSt15iterator_traitsISJ_E10value_typeEPNSP_ISK_E10value_typeEPSL_NS1_7vsmem_tEENKUlT_SJ_SK_SL_E_clISE_PySF_SF_EESI_SY_SJ_SK_SL_EUlSY_E_NS1_11comp_targetILNS1_3genE2ELNS1_11target_archE906ELNS1_3gpuE6ELNS1_3repE0EEENS1_48merge_mergepath_partition_config_static_selectorELNS0_4arch9wavefront6targetE0EEEvSK_,comdat
.Lfunc_end788:
	.size	_ZN7rocprim17ROCPRIM_400000_NS6detail17trampoline_kernelINS0_14default_configENS1_38merge_sort_block_merge_config_selectorIyNS0_10empty_typeEEEZZNS1_27merge_sort_block_merge_implIS3_N6thrust23THRUST_200600_302600_NS6detail15normal_iteratorINS9_10device_ptrIyEEEEPS5_m9comp_mod3IyEEE10hipError_tT0_T1_T2_jT3_P12ihipStream_tbPNSt15iterator_traitsISJ_E10value_typeEPNSP_ISK_E10value_typeEPSL_NS1_7vsmem_tEENKUlT_SJ_SK_SL_E_clISE_PySF_SF_EESI_SY_SJ_SK_SL_EUlSY_E_NS1_11comp_targetILNS1_3genE2ELNS1_11target_archE906ELNS1_3gpuE6ELNS1_3repE0EEENS1_48merge_mergepath_partition_config_static_selectorELNS0_4arch9wavefront6targetE0EEEvSK_, .Lfunc_end788-_ZN7rocprim17ROCPRIM_400000_NS6detail17trampoline_kernelINS0_14default_configENS1_38merge_sort_block_merge_config_selectorIyNS0_10empty_typeEEEZZNS1_27merge_sort_block_merge_implIS3_N6thrust23THRUST_200600_302600_NS6detail15normal_iteratorINS9_10device_ptrIyEEEEPS5_m9comp_mod3IyEEE10hipError_tT0_T1_T2_jT3_P12ihipStream_tbPNSt15iterator_traitsISJ_E10value_typeEPNSP_ISK_E10value_typeEPSL_NS1_7vsmem_tEENKUlT_SJ_SK_SL_E_clISE_PySF_SF_EESI_SY_SJ_SK_SL_EUlSY_E_NS1_11comp_targetILNS1_3genE2ELNS1_11target_archE906ELNS1_3gpuE6ELNS1_3repE0EEENS1_48merge_mergepath_partition_config_static_selectorELNS0_4arch9wavefront6targetE0EEEvSK_
                                        ; -- End function
	.set _ZN7rocprim17ROCPRIM_400000_NS6detail17trampoline_kernelINS0_14default_configENS1_38merge_sort_block_merge_config_selectorIyNS0_10empty_typeEEEZZNS1_27merge_sort_block_merge_implIS3_N6thrust23THRUST_200600_302600_NS6detail15normal_iteratorINS9_10device_ptrIyEEEEPS5_m9comp_mod3IyEEE10hipError_tT0_T1_T2_jT3_P12ihipStream_tbPNSt15iterator_traitsISJ_E10value_typeEPNSP_ISK_E10value_typeEPSL_NS1_7vsmem_tEENKUlT_SJ_SK_SL_E_clISE_PySF_SF_EESI_SY_SJ_SK_SL_EUlSY_E_NS1_11comp_targetILNS1_3genE2ELNS1_11target_archE906ELNS1_3gpuE6ELNS1_3repE0EEENS1_48merge_mergepath_partition_config_static_selectorELNS0_4arch9wavefront6targetE0EEEvSK_.num_vgpr, 0
	.set _ZN7rocprim17ROCPRIM_400000_NS6detail17trampoline_kernelINS0_14default_configENS1_38merge_sort_block_merge_config_selectorIyNS0_10empty_typeEEEZZNS1_27merge_sort_block_merge_implIS3_N6thrust23THRUST_200600_302600_NS6detail15normal_iteratorINS9_10device_ptrIyEEEEPS5_m9comp_mod3IyEEE10hipError_tT0_T1_T2_jT3_P12ihipStream_tbPNSt15iterator_traitsISJ_E10value_typeEPNSP_ISK_E10value_typeEPSL_NS1_7vsmem_tEENKUlT_SJ_SK_SL_E_clISE_PySF_SF_EESI_SY_SJ_SK_SL_EUlSY_E_NS1_11comp_targetILNS1_3genE2ELNS1_11target_archE906ELNS1_3gpuE6ELNS1_3repE0EEENS1_48merge_mergepath_partition_config_static_selectorELNS0_4arch9wavefront6targetE0EEEvSK_.num_agpr, 0
	.set _ZN7rocprim17ROCPRIM_400000_NS6detail17trampoline_kernelINS0_14default_configENS1_38merge_sort_block_merge_config_selectorIyNS0_10empty_typeEEEZZNS1_27merge_sort_block_merge_implIS3_N6thrust23THRUST_200600_302600_NS6detail15normal_iteratorINS9_10device_ptrIyEEEEPS5_m9comp_mod3IyEEE10hipError_tT0_T1_T2_jT3_P12ihipStream_tbPNSt15iterator_traitsISJ_E10value_typeEPNSP_ISK_E10value_typeEPSL_NS1_7vsmem_tEENKUlT_SJ_SK_SL_E_clISE_PySF_SF_EESI_SY_SJ_SK_SL_EUlSY_E_NS1_11comp_targetILNS1_3genE2ELNS1_11target_archE906ELNS1_3gpuE6ELNS1_3repE0EEENS1_48merge_mergepath_partition_config_static_selectorELNS0_4arch9wavefront6targetE0EEEvSK_.numbered_sgpr, 0
	.set _ZN7rocprim17ROCPRIM_400000_NS6detail17trampoline_kernelINS0_14default_configENS1_38merge_sort_block_merge_config_selectorIyNS0_10empty_typeEEEZZNS1_27merge_sort_block_merge_implIS3_N6thrust23THRUST_200600_302600_NS6detail15normal_iteratorINS9_10device_ptrIyEEEEPS5_m9comp_mod3IyEEE10hipError_tT0_T1_T2_jT3_P12ihipStream_tbPNSt15iterator_traitsISJ_E10value_typeEPNSP_ISK_E10value_typeEPSL_NS1_7vsmem_tEENKUlT_SJ_SK_SL_E_clISE_PySF_SF_EESI_SY_SJ_SK_SL_EUlSY_E_NS1_11comp_targetILNS1_3genE2ELNS1_11target_archE906ELNS1_3gpuE6ELNS1_3repE0EEENS1_48merge_mergepath_partition_config_static_selectorELNS0_4arch9wavefront6targetE0EEEvSK_.num_named_barrier, 0
	.set _ZN7rocprim17ROCPRIM_400000_NS6detail17trampoline_kernelINS0_14default_configENS1_38merge_sort_block_merge_config_selectorIyNS0_10empty_typeEEEZZNS1_27merge_sort_block_merge_implIS3_N6thrust23THRUST_200600_302600_NS6detail15normal_iteratorINS9_10device_ptrIyEEEEPS5_m9comp_mod3IyEEE10hipError_tT0_T1_T2_jT3_P12ihipStream_tbPNSt15iterator_traitsISJ_E10value_typeEPNSP_ISK_E10value_typeEPSL_NS1_7vsmem_tEENKUlT_SJ_SK_SL_E_clISE_PySF_SF_EESI_SY_SJ_SK_SL_EUlSY_E_NS1_11comp_targetILNS1_3genE2ELNS1_11target_archE906ELNS1_3gpuE6ELNS1_3repE0EEENS1_48merge_mergepath_partition_config_static_selectorELNS0_4arch9wavefront6targetE0EEEvSK_.private_seg_size, 0
	.set _ZN7rocprim17ROCPRIM_400000_NS6detail17trampoline_kernelINS0_14default_configENS1_38merge_sort_block_merge_config_selectorIyNS0_10empty_typeEEEZZNS1_27merge_sort_block_merge_implIS3_N6thrust23THRUST_200600_302600_NS6detail15normal_iteratorINS9_10device_ptrIyEEEEPS5_m9comp_mod3IyEEE10hipError_tT0_T1_T2_jT3_P12ihipStream_tbPNSt15iterator_traitsISJ_E10value_typeEPNSP_ISK_E10value_typeEPSL_NS1_7vsmem_tEENKUlT_SJ_SK_SL_E_clISE_PySF_SF_EESI_SY_SJ_SK_SL_EUlSY_E_NS1_11comp_targetILNS1_3genE2ELNS1_11target_archE906ELNS1_3gpuE6ELNS1_3repE0EEENS1_48merge_mergepath_partition_config_static_selectorELNS0_4arch9wavefront6targetE0EEEvSK_.uses_vcc, 0
	.set _ZN7rocprim17ROCPRIM_400000_NS6detail17trampoline_kernelINS0_14default_configENS1_38merge_sort_block_merge_config_selectorIyNS0_10empty_typeEEEZZNS1_27merge_sort_block_merge_implIS3_N6thrust23THRUST_200600_302600_NS6detail15normal_iteratorINS9_10device_ptrIyEEEEPS5_m9comp_mod3IyEEE10hipError_tT0_T1_T2_jT3_P12ihipStream_tbPNSt15iterator_traitsISJ_E10value_typeEPNSP_ISK_E10value_typeEPSL_NS1_7vsmem_tEENKUlT_SJ_SK_SL_E_clISE_PySF_SF_EESI_SY_SJ_SK_SL_EUlSY_E_NS1_11comp_targetILNS1_3genE2ELNS1_11target_archE906ELNS1_3gpuE6ELNS1_3repE0EEENS1_48merge_mergepath_partition_config_static_selectorELNS0_4arch9wavefront6targetE0EEEvSK_.uses_flat_scratch, 0
	.set _ZN7rocprim17ROCPRIM_400000_NS6detail17trampoline_kernelINS0_14default_configENS1_38merge_sort_block_merge_config_selectorIyNS0_10empty_typeEEEZZNS1_27merge_sort_block_merge_implIS3_N6thrust23THRUST_200600_302600_NS6detail15normal_iteratorINS9_10device_ptrIyEEEEPS5_m9comp_mod3IyEEE10hipError_tT0_T1_T2_jT3_P12ihipStream_tbPNSt15iterator_traitsISJ_E10value_typeEPNSP_ISK_E10value_typeEPSL_NS1_7vsmem_tEENKUlT_SJ_SK_SL_E_clISE_PySF_SF_EESI_SY_SJ_SK_SL_EUlSY_E_NS1_11comp_targetILNS1_3genE2ELNS1_11target_archE906ELNS1_3gpuE6ELNS1_3repE0EEENS1_48merge_mergepath_partition_config_static_selectorELNS0_4arch9wavefront6targetE0EEEvSK_.has_dyn_sized_stack, 0
	.set _ZN7rocprim17ROCPRIM_400000_NS6detail17trampoline_kernelINS0_14default_configENS1_38merge_sort_block_merge_config_selectorIyNS0_10empty_typeEEEZZNS1_27merge_sort_block_merge_implIS3_N6thrust23THRUST_200600_302600_NS6detail15normal_iteratorINS9_10device_ptrIyEEEEPS5_m9comp_mod3IyEEE10hipError_tT0_T1_T2_jT3_P12ihipStream_tbPNSt15iterator_traitsISJ_E10value_typeEPNSP_ISK_E10value_typeEPSL_NS1_7vsmem_tEENKUlT_SJ_SK_SL_E_clISE_PySF_SF_EESI_SY_SJ_SK_SL_EUlSY_E_NS1_11comp_targetILNS1_3genE2ELNS1_11target_archE906ELNS1_3gpuE6ELNS1_3repE0EEENS1_48merge_mergepath_partition_config_static_selectorELNS0_4arch9wavefront6targetE0EEEvSK_.has_recursion, 0
	.set _ZN7rocprim17ROCPRIM_400000_NS6detail17trampoline_kernelINS0_14default_configENS1_38merge_sort_block_merge_config_selectorIyNS0_10empty_typeEEEZZNS1_27merge_sort_block_merge_implIS3_N6thrust23THRUST_200600_302600_NS6detail15normal_iteratorINS9_10device_ptrIyEEEEPS5_m9comp_mod3IyEEE10hipError_tT0_T1_T2_jT3_P12ihipStream_tbPNSt15iterator_traitsISJ_E10value_typeEPNSP_ISK_E10value_typeEPSL_NS1_7vsmem_tEENKUlT_SJ_SK_SL_E_clISE_PySF_SF_EESI_SY_SJ_SK_SL_EUlSY_E_NS1_11comp_targetILNS1_3genE2ELNS1_11target_archE906ELNS1_3gpuE6ELNS1_3repE0EEENS1_48merge_mergepath_partition_config_static_selectorELNS0_4arch9wavefront6targetE0EEEvSK_.has_indirect_call, 0
	.section	.AMDGPU.csdata,"",@progbits
; Kernel info:
; codeLenInByte = 0
; TotalNumSgprs: 0
; NumVgprs: 0
; ScratchSize: 0
; MemoryBound: 0
; FloatMode: 240
; IeeeMode: 1
; LDSByteSize: 0 bytes/workgroup (compile time only)
; SGPRBlocks: 0
; VGPRBlocks: 0
; NumSGPRsForWavesPerEU: 1
; NumVGPRsForWavesPerEU: 1
; Occupancy: 16
; WaveLimiterHint : 0
; COMPUTE_PGM_RSRC2:SCRATCH_EN: 0
; COMPUTE_PGM_RSRC2:USER_SGPR: 6
; COMPUTE_PGM_RSRC2:TRAP_HANDLER: 0
; COMPUTE_PGM_RSRC2:TGID_X_EN: 1
; COMPUTE_PGM_RSRC2:TGID_Y_EN: 0
; COMPUTE_PGM_RSRC2:TGID_Z_EN: 0
; COMPUTE_PGM_RSRC2:TIDIG_COMP_CNT: 0
	.section	.text._ZN7rocprim17ROCPRIM_400000_NS6detail17trampoline_kernelINS0_14default_configENS1_38merge_sort_block_merge_config_selectorIyNS0_10empty_typeEEEZZNS1_27merge_sort_block_merge_implIS3_N6thrust23THRUST_200600_302600_NS6detail15normal_iteratorINS9_10device_ptrIyEEEEPS5_m9comp_mod3IyEEE10hipError_tT0_T1_T2_jT3_P12ihipStream_tbPNSt15iterator_traitsISJ_E10value_typeEPNSP_ISK_E10value_typeEPSL_NS1_7vsmem_tEENKUlT_SJ_SK_SL_E_clISE_PySF_SF_EESI_SY_SJ_SK_SL_EUlSY_E_NS1_11comp_targetILNS1_3genE9ELNS1_11target_archE1100ELNS1_3gpuE3ELNS1_3repE0EEENS1_48merge_mergepath_partition_config_static_selectorELNS0_4arch9wavefront6targetE0EEEvSK_,"axG",@progbits,_ZN7rocprim17ROCPRIM_400000_NS6detail17trampoline_kernelINS0_14default_configENS1_38merge_sort_block_merge_config_selectorIyNS0_10empty_typeEEEZZNS1_27merge_sort_block_merge_implIS3_N6thrust23THRUST_200600_302600_NS6detail15normal_iteratorINS9_10device_ptrIyEEEEPS5_m9comp_mod3IyEEE10hipError_tT0_T1_T2_jT3_P12ihipStream_tbPNSt15iterator_traitsISJ_E10value_typeEPNSP_ISK_E10value_typeEPSL_NS1_7vsmem_tEENKUlT_SJ_SK_SL_E_clISE_PySF_SF_EESI_SY_SJ_SK_SL_EUlSY_E_NS1_11comp_targetILNS1_3genE9ELNS1_11target_archE1100ELNS1_3gpuE3ELNS1_3repE0EEENS1_48merge_mergepath_partition_config_static_selectorELNS0_4arch9wavefront6targetE0EEEvSK_,comdat
	.protected	_ZN7rocprim17ROCPRIM_400000_NS6detail17trampoline_kernelINS0_14default_configENS1_38merge_sort_block_merge_config_selectorIyNS0_10empty_typeEEEZZNS1_27merge_sort_block_merge_implIS3_N6thrust23THRUST_200600_302600_NS6detail15normal_iteratorINS9_10device_ptrIyEEEEPS5_m9comp_mod3IyEEE10hipError_tT0_T1_T2_jT3_P12ihipStream_tbPNSt15iterator_traitsISJ_E10value_typeEPNSP_ISK_E10value_typeEPSL_NS1_7vsmem_tEENKUlT_SJ_SK_SL_E_clISE_PySF_SF_EESI_SY_SJ_SK_SL_EUlSY_E_NS1_11comp_targetILNS1_3genE9ELNS1_11target_archE1100ELNS1_3gpuE3ELNS1_3repE0EEENS1_48merge_mergepath_partition_config_static_selectorELNS0_4arch9wavefront6targetE0EEEvSK_ ; -- Begin function _ZN7rocprim17ROCPRIM_400000_NS6detail17trampoline_kernelINS0_14default_configENS1_38merge_sort_block_merge_config_selectorIyNS0_10empty_typeEEEZZNS1_27merge_sort_block_merge_implIS3_N6thrust23THRUST_200600_302600_NS6detail15normal_iteratorINS9_10device_ptrIyEEEEPS5_m9comp_mod3IyEEE10hipError_tT0_T1_T2_jT3_P12ihipStream_tbPNSt15iterator_traitsISJ_E10value_typeEPNSP_ISK_E10value_typeEPSL_NS1_7vsmem_tEENKUlT_SJ_SK_SL_E_clISE_PySF_SF_EESI_SY_SJ_SK_SL_EUlSY_E_NS1_11comp_targetILNS1_3genE9ELNS1_11target_archE1100ELNS1_3gpuE3ELNS1_3repE0EEENS1_48merge_mergepath_partition_config_static_selectorELNS0_4arch9wavefront6targetE0EEEvSK_
	.globl	_ZN7rocprim17ROCPRIM_400000_NS6detail17trampoline_kernelINS0_14default_configENS1_38merge_sort_block_merge_config_selectorIyNS0_10empty_typeEEEZZNS1_27merge_sort_block_merge_implIS3_N6thrust23THRUST_200600_302600_NS6detail15normal_iteratorINS9_10device_ptrIyEEEEPS5_m9comp_mod3IyEEE10hipError_tT0_T1_T2_jT3_P12ihipStream_tbPNSt15iterator_traitsISJ_E10value_typeEPNSP_ISK_E10value_typeEPSL_NS1_7vsmem_tEENKUlT_SJ_SK_SL_E_clISE_PySF_SF_EESI_SY_SJ_SK_SL_EUlSY_E_NS1_11comp_targetILNS1_3genE9ELNS1_11target_archE1100ELNS1_3gpuE3ELNS1_3repE0EEENS1_48merge_mergepath_partition_config_static_selectorELNS0_4arch9wavefront6targetE0EEEvSK_
	.p2align	8
	.type	_ZN7rocprim17ROCPRIM_400000_NS6detail17trampoline_kernelINS0_14default_configENS1_38merge_sort_block_merge_config_selectorIyNS0_10empty_typeEEEZZNS1_27merge_sort_block_merge_implIS3_N6thrust23THRUST_200600_302600_NS6detail15normal_iteratorINS9_10device_ptrIyEEEEPS5_m9comp_mod3IyEEE10hipError_tT0_T1_T2_jT3_P12ihipStream_tbPNSt15iterator_traitsISJ_E10value_typeEPNSP_ISK_E10value_typeEPSL_NS1_7vsmem_tEENKUlT_SJ_SK_SL_E_clISE_PySF_SF_EESI_SY_SJ_SK_SL_EUlSY_E_NS1_11comp_targetILNS1_3genE9ELNS1_11target_archE1100ELNS1_3gpuE3ELNS1_3repE0EEENS1_48merge_mergepath_partition_config_static_selectorELNS0_4arch9wavefront6targetE0EEEvSK_,@function
_ZN7rocprim17ROCPRIM_400000_NS6detail17trampoline_kernelINS0_14default_configENS1_38merge_sort_block_merge_config_selectorIyNS0_10empty_typeEEEZZNS1_27merge_sort_block_merge_implIS3_N6thrust23THRUST_200600_302600_NS6detail15normal_iteratorINS9_10device_ptrIyEEEEPS5_m9comp_mod3IyEEE10hipError_tT0_T1_T2_jT3_P12ihipStream_tbPNSt15iterator_traitsISJ_E10value_typeEPNSP_ISK_E10value_typeEPSL_NS1_7vsmem_tEENKUlT_SJ_SK_SL_E_clISE_PySF_SF_EESI_SY_SJ_SK_SL_EUlSY_E_NS1_11comp_targetILNS1_3genE9ELNS1_11target_archE1100ELNS1_3gpuE3ELNS1_3repE0EEENS1_48merge_mergepath_partition_config_static_selectorELNS0_4arch9wavefront6targetE0EEEvSK_: ; @_ZN7rocprim17ROCPRIM_400000_NS6detail17trampoline_kernelINS0_14default_configENS1_38merge_sort_block_merge_config_selectorIyNS0_10empty_typeEEEZZNS1_27merge_sort_block_merge_implIS3_N6thrust23THRUST_200600_302600_NS6detail15normal_iteratorINS9_10device_ptrIyEEEEPS5_m9comp_mod3IyEEE10hipError_tT0_T1_T2_jT3_P12ihipStream_tbPNSt15iterator_traitsISJ_E10value_typeEPNSP_ISK_E10value_typeEPSL_NS1_7vsmem_tEENKUlT_SJ_SK_SL_E_clISE_PySF_SF_EESI_SY_SJ_SK_SL_EUlSY_E_NS1_11comp_targetILNS1_3genE9ELNS1_11target_archE1100ELNS1_3gpuE3ELNS1_3repE0EEENS1_48merge_mergepath_partition_config_static_selectorELNS0_4arch9wavefront6targetE0EEEvSK_
; %bb.0:
	.section	.rodata,"a",@progbits
	.p2align	6, 0x0
	.amdhsa_kernel _ZN7rocprim17ROCPRIM_400000_NS6detail17trampoline_kernelINS0_14default_configENS1_38merge_sort_block_merge_config_selectorIyNS0_10empty_typeEEEZZNS1_27merge_sort_block_merge_implIS3_N6thrust23THRUST_200600_302600_NS6detail15normal_iteratorINS9_10device_ptrIyEEEEPS5_m9comp_mod3IyEEE10hipError_tT0_T1_T2_jT3_P12ihipStream_tbPNSt15iterator_traitsISJ_E10value_typeEPNSP_ISK_E10value_typeEPSL_NS1_7vsmem_tEENKUlT_SJ_SK_SL_E_clISE_PySF_SF_EESI_SY_SJ_SK_SL_EUlSY_E_NS1_11comp_targetILNS1_3genE9ELNS1_11target_archE1100ELNS1_3gpuE3ELNS1_3repE0EEENS1_48merge_mergepath_partition_config_static_selectorELNS0_4arch9wavefront6targetE0EEEvSK_
		.amdhsa_group_segment_fixed_size 0
		.amdhsa_private_segment_fixed_size 0
		.amdhsa_kernarg_size 48
		.amdhsa_user_sgpr_count 6
		.amdhsa_user_sgpr_private_segment_buffer 1
		.amdhsa_user_sgpr_dispatch_ptr 0
		.amdhsa_user_sgpr_queue_ptr 0
		.amdhsa_user_sgpr_kernarg_segment_ptr 1
		.amdhsa_user_sgpr_dispatch_id 0
		.amdhsa_user_sgpr_flat_scratch_init 0
		.amdhsa_user_sgpr_private_segment_size 0
		.amdhsa_wavefront_size32 1
		.amdhsa_uses_dynamic_stack 0
		.amdhsa_system_sgpr_private_segment_wavefront_offset 0
		.amdhsa_system_sgpr_workgroup_id_x 1
		.amdhsa_system_sgpr_workgroup_id_y 0
		.amdhsa_system_sgpr_workgroup_id_z 0
		.amdhsa_system_sgpr_workgroup_info 0
		.amdhsa_system_vgpr_workitem_id 0
		.amdhsa_next_free_vgpr 1
		.amdhsa_next_free_sgpr 1
		.amdhsa_reserve_vcc 0
		.amdhsa_reserve_flat_scratch 0
		.amdhsa_float_round_mode_32 0
		.amdhsa_float_round_mode_16_64 0
		.amdhsa_float_denorm_mode_32 3
		.amdhsa_float_denorm_mode_16_64 3
		.amdhsa_dx10_clamp 1
		.amdhsa_ieee_mode 1
		.amdhsa_fp16_overflow 0
		.amdhsa_workgroup_processor_mode 1
		.amdhsa_memory_ordered 1
		.amdhsa_forward_progress 1
		.amdhsa_shared_vgpr_count 0
		.amdhsa_exception_fp_ieee_invalid_op 0
		.amdhsa_exception_fp_denorm_src 0
		.amdhsa_exception_fp_ieee_div_zero 0
		.amdhsa_exception_fp_ieee_overflow 0
		.amdhsa_exception_fp_ieee_underflow 0
		.amdhsa_exception_fp_ieee_inexact 0
		.amdhsa_exception_int_div_zero 0
	.end_amdhsa_kernel
	.section	.text._ZN7rocprim17ROCPRIM_400000_NS6detail17trampoline_kernelINS0_14default_configENS1_38merge_sort_block_merge_config_selectorIyNS0_10empty_typeEEEZZNS1_27merge_sort_block_merge_implIS3_N6thrust23THRUST_200600_302600_NS6detail15normal_iteratorINS9_10device_ptrIyEEEEPS5_m9comp_mod3IyEEE10hipError_tT0_T1_T2_jT3_P12ihipStream_tbPNSt15iterator_traitsISJ_E10value_typeEPNSP_ISK_E10value_typeEPSL_NS1_7vsmem_tEENKUlT_SJ_SK_SL_E_clISE_PySF_SF_EESI_SY_SJ_SK_SL_EUlSY_E_NS1_11comp_targetILNS1_3genE9ELNS1_11target_archE1100ELNS1_3gpuE3ELNS1_3repE0EEENS1_48merge_mergepath_partition_config_static_selectorELNS0_4arch9wavefront6targetE0EEEvSK_,"axG",@progbits,_ZN7rocprim17ROCPRIM_400000_NS6detail17trampoline_kernelINS0_14default_configENS1_38merge_sort_block_merge_config_selectorIyNS0_10empty_typeEEEZZNS1_27merge_sort_block_merge_implIS3_N6thrust23THRUST_200600_302600_NS6detail15normal_iteratorINS9_10device_ptrIyEEEEPS5_m9comp_mod3IyEEE10hipError_tT0_T1_T2_jT3_P12ihipStream_tbPNSt15iterator_traitsISJ_E10value_typeEPNSP_ISK_E10value_typeEPSL_NS1_7vsmem_tEENKUlT_SJ_SK_SL_E_clISE_PySF_SF_EESI_SY_SJ_SK_SL_EUlSY_E_NS1_11comp_targetILNS1_3genE9ELNS1_11target_archE1100ELNS1_3gpuE3ELNS1_3repE0EEENS1_48merge_mergepath_partition_config_static_selectorELNS0_4arch9wavefront6targetE0EEEvSK_,comdat
.Lfunc_end789:
	.size	_ZN7rocprim17ROCPRIM_400000_NS6detail17trampoline_kernelINS0_14default_configENS1_38merge_sort_block_merge_config_selectorIyNS0_10empty_typeEEEZZNS1_27merge_sort_block_merge_implIS3_N6thrust23THRUST_200600_302600_NS6detail15normal_iteratorINS9_10device_ptrIyEEEEPS5_m9comp_mod3IyEEE10hipError_tT0_T1_T2_jT3_P12ihipStream_tbPNSt15iterator_traitsISJ_E10value_typeEPNSP_ISK_E10value_typeEPSL_NS1_7vsmem_tEENKUlT_SJ_SK_SL_E_clISE_PySF_SF_EESI_SY_SJ_SK_SL_EUlSY_E_NS1_11comp_targetILNS1_3genE9ELNS1_11target_archE1100ELNS1_3gpuE3ELNS1_3repE0EEENS1_48merge_mergepath_partition_config_static_selectorELNS0_4arch9wavefront6targetE0EEEvSK_, .Lfunc_end789-_ZN7rocprim17ROCPRIM_400000_NS6detail17trampoline_kernelINS0_14default_configENS1_38merge_sort_block_merge_config_selectorIyNS0_10empty_typeEEEZZNS1_27merge_sort_block_merge_implIS3_N6thrust23THRUST_200600_302600_NS6detail15normal_iteratorINS9_10device_ptrIyEEEEPS5_m9comp_mod3IyEEE10hipError_tT0_T1_T2_jT3_P12ihipStream_tbPNSt15iterator_traitsISJ_E10value_typeEPNSP_ISK_E10value_typeEPSL_NS1_7vsmem_tEENKUlT_SJ_SK_SL_E_clISE_PySF_SF_EESI_SY_SJ_SK_SL_EUlSY_E_NS1_11comp_targetILNS1_3genE9ELNS1_11target_archE1100ELNS1_3gpuE3ELNS1_3repE0EEENS1_48merge_mergepath_partition_config_static_selectorELNS0_4arch9wavefront6targetE0EEEvSK_
                                        ; -- End function
	.set _ZN7rocprim17ROCPRIM_400000_NS6detail17trampoline_kernelINS0_14default_configENS1_38merge_sort_block_merge_config_selectorIyNS0_10empty_typeEEEZZNS1_27merge_sort_block_merge_implIS3_N6thrust23THRUST_200600_302600_NS6detail15normal_iteratorINS9_10device_ptrIyEEEEPS5_m9comp_mod3IyEEE10hipError_tT0_T1_T2_jT3_P12ihipStream_tbPNSt15iterator_traitsISJ_E10value_typeEPNSP_ISK_E10value_typeEPSL_NS1_7vsmem_tEENKUlT_SJ_SK_SL_E_clISE_PySF_SF_EESI_SY_SJ_SK_SL_EUlSY_E_NS1_11comp_targetILNS1_3genE9ELNS1_11target_archE1100ELNS1_3gpuE3ELNS1_3repE0EEENS1_48merge_mergepath_partition_config_static_selectorELNS0_4arch9wavefront6targetE0EEEvSK_.num_vgpr, 0
	.set _ZN7rocprim17ROCPRIM_400000_NS6detail17trampoline_kernelINS0_14default_configENS1_38merge_sort_block_merge_config_selectorIyNS0_10empty_typeEEEZZNS1_27merge_sort_block_merge_implIS3_N6thrust23THRUST_200600_302600_NS6detail15normal_iteratorINS9_10device_ptrIyEEEEPS5_m9comp_mod3IyEEE10hipError_tT0_T1_T2_jT3_P12ihipStream_tbPNSt15iterator_traitsISJ_E10value_typeEPNSP_ISK_E10value_typeEPSL_NS1_7vsmem_tEENKUlT_SJ_SK_SL_E_clISE_PySF_SF_EESI_SY_SJ_SK_SL_EUlSY_E_NS1_11comp_targetILNS1_3genE9ELNS1_11target_archE1100ELNS1_3gpuE3ELNS1_3repE0EEENS1_48merge_mergepath_partition_config_static_selectorELNS0_4arch9wavefront6targetE0EEEvSK_.num_agpr, 0
	.set _ZN7rocprim17ROCPRIM_400000_NS6detail17trampoline_kernelINS0_14default_configENS1_38merge_sort_block_merge_config_selectorIyNS0_10empty_typeEEEZZNS1_27merge_sort_block_merge_implIS3_N6thrust23THRUST_200600_302600_NS6detail15normal_iteratorINS9_10device_ptrIyEEEEPS5_m9comp_mod3IyEEE10hipError_tT0_T1_T2_jT3_P12ihipStream_tbPNSt15iterator_traitsISJ_E10value_typeEPNSP_ISK_E10value_typeEPSL_NS1_7vsmem_tEENKUlT_SJ_SK_SL_E_clISE_PySF_SF_EESI_SY_SJ_SK_SL_EUlSY_E_NS1_11comp_targetILNS1_3genE9ELNS1_11target_archE1100ELNS1_3gpuE3ELNS1_3repE0EEENS1_48merge_mergepath_partition_config_static_selectorELNS0_4arch9wavefront6targetE0EEEvSK_.numbered_sgpr, 0
	.set _ZN7rocprim17ROCPRIM_400000_NS6detail17trampoline_kernelINS0_14default_configENS1_38merge_sort_block_merge_config_selectorIyNS0_10empty_typeEEEZZNS1_27merge_sort_block_merge_implIS3_N6thrust23THRUST_200600_302600_NS6detail15normal_iteratorINS9_10device_ptrIyEEEEPS5_m9comp_mod3IyEEE10hipError_tT0_T1_T2_jT3_P12ihipStream_tbPNSt15iterator_traitsISJ_E10value_typeEPNSP_ISK_E10value_typeEPSL_NS1_7vsmem_tEENKUlT_SJ_SK_SL_E_clISE_PySF_SF_EESI_SY_SJ_SK_SL_EUlSY_E_NS1_11comp_targetILNS1_3genE9ELNS1_11target_archE1100ELNS1_3gpuE3ELNS1_3repE0EEENS1_48merge_mergepath_partition_config_static_selectorELNS0_4arch9wavefront6targetE0EEEvSK_.num_named_barrier, 0
	.set _ZN7rocprim17ROCPRIM_400000_NS6detail17trampoline_kernelINS0_14default_configENS1_38merge_sort_block_merge_config_selectorIyNS0_10empty_typeEEEZZNS1_27merge_sort_block_merge_implIS3_N6thrust23THRUST_200600_302600_NS6detail15normal_iteratorINS9_10device_ptrIyEEEEPS5_m9comp_mod3IyEEE10hipError_tT0_T1_T2_jT3_P12ihipStream_tbPNSt15iterator_traitsISJ_E10value_typeEPNSP_ISK_E10value_typeEPSL_NS1_7vsmem_tEENKUlT_SJ_SK_SL_E_clISE_PySF_SF_EESI_SY_SJ_SK_SL_EUlSY_E_NS1_11comp_targetILNS1_3genE9ELNS1_11target_archE1100ELNS1_3gpuE3ELNS1_3repE0EEENS1_48merge_mergepath_partition_config_static_selectorELNS0_4arch9wavefront6targetE0EEEvSK_.private_seg_size, 0
	.set _ZN7rocprim17ROCPRIM_400000_NS6detail17trampoline_kernelINS0_14default_configENS1_38merge_sort_block_merge_config_selectorIyNS0_10empty_typeEEEZZNS1_27merge_sort_block_merge_implIS3_N6thrust23THRUST_200600_302600_NS6detail15normal_iteratorINS9_10device_ptrIyEEEEPS5_m9comp_mod3IyEEE10hipError_tT0_T1_T2_jT3_P12ihipStream_tbPNSt15iterator_traitsISJ_E10value_typeEPNSP_ISK_E10value_typeEPSL_NS1_7vsmem_tEENKUlT_SJ_SK_SL_E_clISE_PySF_SF_EESI_SY_SJ_SK_SL_EUlSY_E_NS1_11comp_targetILNS1_3genE9ELNS1_11target_archE1100ELNS1_3gpuE3ELNS1_3repE0EEENS1_48merge_mergepath_partition_config_static_selectorELNS0_4arch9wavefront6targetE0EEEvSK_.uses_vcc, 0
	.set _ZN7rocprim17ROCPRIM_400000_NS6detail17trampoline_kernelINS0_14default_configENS1_38merge_sort_block_merge_config_selectorIyNS0_10empty_typeEEEZZNS1_27merge_sort_block_merge_implIS3_N6thrust23THRUST_200600_302600_NS6detail15normal_iteratorINS9_10device_ptrIyEEEEPS5_m9comp_mod3IyEEE10hipError_tT0_T1_T2_jT3_P12ihipStream_tbPNSt15iterator_traitsISJ_E10value_typeEPNSP_ISK_E10value_typeEPSL_NS1_7vsmem_tEENKUlT_SJ_SK_SL_E_clISE_PySF_SF_EESI_SY_SJ_SK_SL_EUlSY_E_NS1_11comp_targetILNS1_3genE9ELNS1_11target_archE1100ELNS1_3gpuE3ELNS1_3repE0EEENS1_48merge_mergepath_partition_config_static_selectorELNS0_4arch9wavefront6targetE0EEEvSK_.uses_flat_scratch, 0
	.set _ZN7rocprim17ROCPRIM_400000_NS6detail17trampoline_kernelINS0_14default_configENS1_38merge_sort_block_merge_config_selectorIyNS0_10empty_typeEEEZZNS1_27merge_sort_block_merge_implIS3_N6thrust23THRUST_200600_302600_NS6detail15normal_iteratorINS9_10device_ptrIyEEEEPS5_m9comp_mod3IyEEE10hipError_tT0_T1_T2_jT3_P12ihipStream_tbPNSt15iterator_traitsISJ_E10value_typeEPNSP_ISK_E10value_typeEPSL_NS1_7vsmem_tEENKUlT_SJ_SK_SL_E_clISE_PySF_SF_EESI_SY_SJ_SK_SL_EUlSY_E_NS1_11comp_targetILNS1_3genE9ELNS1_11target_archE1100ELNS1_3gpuE3ELNS1_3repE0EEENS1_48merge_mergepath_partition_config_static_selectorELNS0_4arch9wavefront6targetE0EEEvSK_.has_dyn_sized_stack, 0
	.set _ZN7rocprim17ROCPRIM_400000_NS6detail17trampoline_kernelINS0_14default_configENS1_38merge_sort_block_merge_config_selectorIyNS0_10empty_typeEEEZZNS1_27merge_sort_block_merge_implIS3_N6thrust23THRUST_200600_302600_NS6detail15normal_iteratorINS9_10device_ptrIyEEEEPS5_m9comp_mod3IyEEE10hipError_tT0_T1_T2_jT3_P12ihipStream_tbPNSt15iterator_traitsISJ_E10value_typeEPNSP_ISK_E10value_typeEPSL_NS1_7vsmem_tEENKUlT_SJ_SK_SL_E_clISE_PySF_SF_EESI_SY_SJ_SK_SL_EUlSY_E_NS1_11comp_targetILNS1_3genE9ELNS1_11target_archE1100ELNS1_3gpuE3ELNS1_3repE0EEENS1_48merge_mergepath_partition_config_static_selectorELNS0_4arch9wavefront6targetE0EEEvSK_.has_recursion, 0
	.set _ZN7rocprim17ROCPRIM_400000_NS6detail17trampoline_kernelINS0_14default_configENS1_38merge_sort_block_merge_config_selectorIyNS0_10empty_typeEEEZZNS1_27merge_sort_block_merge_implIS3_N6thrust23THRUST_200600_302600_NS6detail15normal_iteratorINS9_10device_ptrIyEEEEPS5_m9comp_mod3IyEEE10hipError_tT0_T1_T2_jT3_P12ihipStream_tbPNSt15iterator_traitsISJ_E10value_typeEPNSP_ISK_E10value_typeEPSL_NS1_7vsmem_tEENKUlT_SJ_SK_SL_E_clISE_PySF_SF_EESI_SY_SJ_SK_SL_EUlSY_E_NS1_11comp_targetILNS1_3genE9ELNS1_11target_archE1100ELNS1_3gpuE3ELNS1_3repE0EEENS1_48merge_mergepath_partition_config_static_selectorELNS0_4arch9wavefront6targetE0EEEvSK_.has_indirect_call, 0
	.section	.AMDGPU.csdata,"",@progbits
; Kernel info:
; codeLenInByte = 0
; TotalNumSgprs: 0
; NumVgprs: 0
; ScratchSize: 0
; MemoryBound: 0
; FloatMode: 240
; IeeeMode: 1
; LDSByteSize: 0 bytes/workgroup (compile time only)
; SGPRBlocks: 0
; VGPRBlocks: 0
; NumSGPRsForWavesPerEU: 1
; NumVGPRsForWavesPerEU: 1
; Occupancy: 16
; WaveLimiterHint : 0
; COMPUTE_PGM_RSRC2:SCRATCH_EN: 0
; COMPUTE_PGM_RSRC2:USER_SGPR: 6
; COMPUTE_PGM_RSRC2:TRAP_HANDLER: 0
; COMPUTE_PGM_RSRC2:TGID_X_EN: 1
; COMPUTE_PGM_RSRC2:TGID_Y_EN: 0
; COMPUTE_PGM_RSRC2:TGID_Z_EN: 0
; COMPUTE_PGM_RSRC2:TIDIG_COMP_CNT: 0
	.section	.text._ZN7rocprim17ROCPRIM_400000_NS6detail17trampoline_kernelINS0_14default_configENS1_38merge_sort_block_merge_config_selectorIyNS0_10empty_typeEEEZZNS1_27merge_sort_block_merge_implIS3_N6thrust23THRUST_200600_302600_NS6detail15normal_iteratorINS9_10device_ptrIyEEEEPS5_m9comp_mod3IyEEE10hipError_tT0_T1_T2_jT3_P12ihipStream_tbPNSt15iterator_traitsISJ_E10value_typeEPNSP_ISK_E10value_typeEPSL_NS1_7vsmem_tEENKUlT_SJ_SK_SL_E_clISE_PySF_SF_EESI_SY_SJ_SK_SL_EUlSY_E_NS1_11comp_targetILNS1_3genE8ELNS1_11target_archE1030ELNS1_3gpuE2ELNS1_3repE0EEENS1_48merge_mergepath_partition_config_static_selectorELNS0_4arch9wavefront6targetE0EEEvSK_,"axG",@progbits,_ZN7rocprim17ROCPRIM_400000_NS6detail17trampoline_kernelINS0_14default_configENS1_38merge_sort_block_merge_config_selectorIyNS0_10empty_typeEEEZZNS1_27merge_sort_block_merge_implIS3_N6thrust23THRUST_200600_302600_NS6detail15normal_iteratorINS9_10device_ptrIyEEEEPS5_m9comp_mod3IyEEE10hipError_tT0_T1_T2_jT3_P12ihipStream_tbPNSt15iterator_traitsISJ_E10value_typeEPNSP_ISK_E10value_typeEPSL_NS1_7vsmem_tEENKUlT_SJ_SK_SL_E_clISE_PySF_SF_EESI_SY_SJ_SK_SL_EUlSY_E_NS1_11comp_targetILNS1_3genE8ELNS1_11target_archE1030ELNS1_3gpuE2ELNS1_3repE0EEENS1_48merge_mergepath_partition_config_static_selectorELNS0_4arch9wavefront6targetE0EEEvSK_,comdat
	.protected	_ZN7rocprim17ROCPRIM_400000_NS6detail17trampoline_kernelINS0_14default_configENS1_38merge_sort_block_merge_config_selectorIyNS0_10empty_typeEEEZZNS1_27merge_sort_block_merge_implIS3_N6thrust23THRUST_200600_302600_NS6detail15normal_iteratorINS9_10device_ptrIyEEEEPS5_m9comp_mod3IyEEE10hipError_tT0_T1_T2_jT3_P12ihipStream_tbPNSt15iterator_traitsISJ_E10value_typeEPNSP_ISK_E10value_typeEPSL_NS1_7vsmem_tEENKUlT_SJ_SK_SL_E_clISE_PySF_SF_EESI_SY_SJ_SK_SL_EUlSY_E_NS1_11comp_targetILNS1_3genE8ELNS1_11target_archE1030ELNS1_3gpuE2ELNS1_3repE0EEENS1_48merge_mergepath_partition_config_static_selectorELNS0_4arch9wavefront6targetE0EEEvSK_ ; -- Begin function _ZN7rocprim17ROCPRIM_400000_NS6detail17trampoline_kernelINS0_14default_configENS1_38merge_sort_block_merge_config_selectorIyNS0_10empty_typeEEEZZNS1_27merge_sort_block_merge_implIS3_N6thrust23THRUST_200600_302600_NS6detail15normal_iteratorINS9_10device_ptrIyEEEEPS5_m9comp_mod3IyEEE10hipError_tT0_T1_T2_jT3_P12ihipStream_tbPNSt15iterator_traitsISJ_E10value_typeEPNSP_ISK_E10value_typeEPSL_NS1_7vsmem_tEENKUlT_SJ_SK_SL_E_clISE_PySF_SF_EESI_SY_SJ_SK_SL_EUlSY_E_NS1_11comp_targetILNS1_3genE8ELNS1_11target_archE1030ELNS1_3gpuE2ELNS1_3repE0EEENS1_48merge_mergepath_partition_config_static_selectorELNS0_4arch9wavefront6targetE0EEEvSK_
	.globl	_ZN7rocprim17ROCPRIM_400000_NS6detail17trampoline_kernelINS0_14default_configENS1_38merge_sort_block_merge_config_selectorIyNS0_10empty_typeEEEZZNS1_27merge_sort_block_merge_implIS3_N6thrust23THRUST_200600_302600_NS6detail15normal_iteratorINS9_10device_ptrIyEEEEPS5_m9comp_mod3IyEEE10hipError_tT0_T1_T2_jT3_P12ihipStream_tbPNSt15iterator_traitsISJ_E10value_typeEPNSP_ISK_E10value_typeEPSL_NS1_7vsmem_tEENKUlT_SJ_SK_SL_E_clISE_PySF_SF_EESI_SY_SJ_SK_SL_EUlSY_E_NS1_11comp_targetILNS1_3genE8ELNS1_11target_archE1030ELNS1_3gpuE2ELNS1_3repE0EEENS1_48merge_mergepath_partition_config_static_selectorELNS0_4arch9wavefront6targetE0EEEvSK_
	.p2align	8
	.type	_ZN7rocprim17ROCPRIM_400000_NS6detail17trampoline_kernelINS0_14default_configENS1_38merge_sort_block_merge_config_selectorIyNS0_10empty_typeEEEZZNS1_27merge_sort_block_merge_implIS3_N6thrust23THRUST_200600_302600_NS6detail15normal_iteratorINS9_10device_ptrIyEEEEPS5_m9comp_mod3IyEEE10hipError_tT0_T1_T2_jT3_P12ihipStream_tbPNSt15iterator_traitsISJ_E10value_typeEPNSP_ISK_E10value_typeEPSL_NS1_7vsmem_tEENKUlT_SJ_SK_SL_E_clISE_PySF_SF_EESI_SY_SJ_SK_SL_EUlSY_E_NS1_11comp_targetILNS1_3genE8ELNS1_11target_archE1030ELNS1_3gpuE2ELNS1_3repE0EEENS1_48merge_mergepath_partition_config_static_selectorELNS0_4arch9wavefront6targetE0EEEvSK_,@function
_ZN7rocprim17ROCPRIM_400000_NS6detail17trampoline_kernelINS0_14default_configENS1_38merge_sort_block_merge_config_selectorIyNS0_10empty_typeEEEZZNS1_27merge_sort_block_merge_implIS3_N6thrust23THRUST_200600_302600_NS6detail15normal_iteratorINS9_10device_ptrIyEEEEPS5_m9comp_mod3IyEEE10hipError_tT0_T1_T2_jT3_P12ihipStream_tbPNSt15iterator_traitsISJ_E10value_typeEPNSP_ISK_E10value_typeEPSL_NS1_7vsmem_tEENKUlT_SJ_SK_SL_E_clISE_PySF_SF_EESI_SY_SJ_SK_SL_EUlSY_E_NS1_11comp_targetILNS1_3genE8ELNS1_11target_archE1030ELNS1_3gpuE2ELNS1_3repE0EEENS1_48merge_mergepath_partition_config_static_selectorELNS0_4arch9wavefront6targetE0EEEvSK_: ; @_ZN7rocprim17ROCPRIM_400000_NS6detail17trampoline_kernelINS0_14default_configENS1_38merge_sort_block_merge_config_selectorIyNS0_10empty_typeEEEZZNS1_27merge_sort_block_merge_implIS3_N6thrust23THRUST_200600_302600_NS6detail15normal_iteratorINS9_10device_ptrIyEEEEPS5_m9comp_mod3IyEEE10hipError_tT0_T1_T2_jT3_P12ihipStream_tbPNSt15iterator_traitsISJ_E10value_typeEPNSP_ISK_E10value_typeEPSL_NS1_7vsmem_tEENKUlT_SJ_SK_SL_E_clISE_PySF_SF_EESI_SY_SJ_SK_SL_EUlSY_E_NS1_11comp_targetILNS1_3genE8ELNS1_11target_archE1030ELNS1_3gpuE2ELNS1_3repE0EEENS1_48merge_mergepath_partition_config_static_selectorELNS0_4arch9wavefront6targetE0EEEvSK_
; %bb.0:
	s_load_dword s0, s[4:5], 0x0
	v_lshl_or_b32 v0, s6, 7, v0
	s_waitcnt lgkmcnt(0)
	v_cmp_gt_u32_e32 vcc_lo, s0, v0
	s_and_saveexec_b32 s0, vcc_lo
	s_cbranch_execz .LBB790_6
; %bb.1:
	s_clause 0x1
	s_load_dwordx4 s[0:3], s[4:5], 0x8
	s_load_dwordx4 s[8:11], s[4:5], 0x20
	v_mov_b32_e32 v1, 0
	v_mov_b32_e32 v3, v1
	;; [unrolled: 1-line block ×3, first 2 shown]
	s_waitcnt lgkmcnt(0)
	s_lshr_b64 s[6:7], s[0:1], 9
	s_and_b32 s6, s6, -2
	s_sub_i32 s7, 0, s6
	s_add_i32 s6, s6, -1
	v_and_b32_e32 v2, s7, v0
	v_and_b32_e32 v7, s6, v0
	v_lshlrev_b64 v[2:3], 10, v[2:3]
	v_add_co_u32 v4, vcc_lo, v2, s0
	v_add_co_ci_u32_e64 v5, null, s1, v3, vcc_lo
	v_cmp_lt_u64_e32 vcc_lo, s[2:3], v[4:5]
	v_cndmask_b32_e64 v9, v4, s2, vcc_lo
	v_cndmask_b32_e64 v10, v5, s3, vcc_lo
	v_add_co_u32 v5, vcc_lo, v9, s0
	v_add_co_ci_u32_e64 v6, null, s1, v10, vcc_lo
	v_cmp_lt_u64_e32 vcc_lo, s[2:3], v[2:3]
	s_mov_b32 s1, exec_lo
	v_cmp_lt_u64_e64 s0, s[2:3], v[5:6]
	v_cndmask_b32_e64 v4, v3, s3, vcc_lo
	v_cndmask_b32_e64 v3, v2, s2, vcc_lo
	v_cndmask_b32_e64 v13, v5, s2, s0
	v_cndmask_b32_e64 v2, v6, s3, s0
	v_lshlrev_b64 v[5:6], 10, v[7:8]
	s_mov_b32 s2, 0
	v_sub_co_u32 v7, vcc_lo, v13, v3
	v_sub_co_ci_u32_e64 v8, null, v2, v4, vcc_lo
	v_cmp_lt_u64_e32 vcc_lo, v[7:8], v[5:6]
	v_cndmask_b32_e32 v12, v6, v8, vcc_lo
	v_cndmask_b32_e32 v11, v5, v7, vcc_lo
	v_sub_co_u32 v5, vcc_lo, v9, v13
	v_sub_co_ci_u32_e64 v2, null, v10, v2, vcc_lo
	v_add_co_u32 v5, vcc_lo, v11, v5
	v_add_co_ci_u32_e64 v6, null, v12, v2, vcc_lo
	v_sub_co_u32 v7, vcc_lo, v9, v3
	v_sub_co_ci_u32_e64 v8, null, v10, v4, vcc_lo
	v_cmp_gt_u64_e32 vcc_lo, v[5:6], v[11:12]
	v_cmp_lt_u64_e64 s0, v[11:12], v[7:8]
	v_cndmask_b32_e64 v6, v6, 0, vcc_lo
	v_cndmask_b32_e64 v5, v5, 0, vcc_lo
	v_cndmask_b32_e64 v8, v8, v12, s0
	v_cndmask_b32_e64 v7, v7, v11, s0
	v_cmpx_lt_u64_e64 v[5:6], v[7:8]
	s_cbranch_execz .LBB790_5
; %bb.2:
	s_load_dwordx2 s[4:5], s[4:5], 0x18
	v_lshlrev_b64 v[9:10], 3, v[9:10]
	v_lshlrev_b64 v[13:14], 3, v[3:4]
	v_lshlrev_b64 v[11:12], 3, v[11:12]
	s_waitcnt lgkmcnt(0)
	v_add_co_u32 v2, vcc_lo, s4, v9
	v_add_co_ci_u32_e64 v15, null, s5, v10, vcc_lo
	v_add_co_u32 v9, vcc_lo, s4, v13
	v_add_co_ci_u32_e64 v10, null, s5, v14, vcc_lo
	;; [unrolled: 2-line block ×3, first 2 shown]
.LBB790_3:                              ; =>This Inner Loop Header: Depth=1
	v_add_co_u32 v13, vcc_lo, v7, v5
	v_add_co_ci_u32_e64 v14, null, v8, v6, vcc_lo
	v_lshrrev_b64 v[13:14], 1, v[13:14]
	v_lshlrev_b64 v[15:16], 3, v[13:14]
	v_xor_b32_e32 v2, -8, v15
	v_xor_b32_e32 v18, -1, v16
	v_add_co_u32 v17, vcc_lo, v11, v2
	v_add_co_ci_u32_e64 v18, null, v12, v18, vcc_lo
	v_add_co_u32 v15, vcc_lo, v9, v15
	v_add_co_ci_u32_e64 v16, null, v10, v16, vcc_lo
	flat_load_dword v2, v[17:18]
	s_waitcnt vmcnt(0) lgkmcnt(0)
	v_ashrrev_i64 v[17:18], 29, v[1:2]
	flat_load_dword v2, v[15:16]
	v_add_co_u32 v15, vcc_lo, s8, v17
	v_add_co_ci_u32_e64 v16, null, s9, v18, vcc_lo
	s_waitcnt vmcnt(0) lgkmcnt(0)
	v_ashrrev_i64 v[17:18], 29, v[1:2]
	v_add_co_u32 v17, vcc_lo, s8, v17
	v_add_co_ci_u32_e64 v18, null, s9, v18, vcc_lo
	s_clause 0x1
	global_load_dwordx2 v[15:16], v[15:16], off
	global_load_dwordx2 v[17:18], v[17:18], off
	v_add_co_u32 v2, vcc_lo, v13, 1
	s_waitcnt vmcnt(0)
	v_cmp_lt_u64_e64 s0, v[15:16], v[17:18]
	v_add_co_ci_u32_e64 v15, null, 0, v14, vcc_lo
	v_cndmask_b32_e64 v8, v8, v14, s0
	v_cndmask_b32_e64 v7, v7, v13, s0
	v_cndmask_b32_e64 v6, v15, v6, s0
	v_cndmask_b32_e64 v5, v2, v5, s0
	v_cmp_ge_u64_e32 vcc_lo, v[5:6], v[7:8]
	s_or_b32 s2, vcc_lo, s2
	s_andn2_b32 exec_lo, exec_lo, s2
	s_cbranch_execnz .LBB790_3
; %bb.4:
	s_or_b32 exec_lo, exec_lo, s2
.LBB790_5:
	s_or_b32 exec_lo, exec_lo, s1
	v_mov_b32_e32 v1, 0
	v_add_co_u32 v2, vcc_lo, v5, v3
	v_add_co_ci_u32_e64 v3, null, v6, v4, vcc_lo
	v_lshlrev_b64 v[0:1], 3, v[0:1]
	v_add_co_u32 v0, vcc_lo, s10, v0
	v_add_co_ci_u32_e64 v1, null, s11, v1, vcc_lo
	global_store_dwordx2 v[0:1], v[2:3], off
.LBB790_6:
	s_endpgm
	.section	.rodata,"a",@progbits
	.p2align	6, 0x0
	.amdhsa_kernel _ZN7rocprim17ROCPRIM_400000_NS6detail17trampoline_kernelINS0_14default_configENS1_38merge_sort_block_merge_config_selectorIyNS0_10empty_typeEEEZZNS1_27merge_sort_block_merge_implIS3_N6thrust23THRUST_200600_302600_NS6detail15normal_iteratorINS9_10device_ptrIyEEEEPS5_m9comp_mod3IyEEE10hipError_tT0_T1_T2_jT3_P12ihipStream_tbPNSt15iterator_traitsISJ_E10value_typeEPNSP_ISK_E10value_typeEPSL_NS1_7vsmem_tEENKUlT_SJ_SK_SL_E_clISE_PySF_SF_EESI_SY_SJ_SK_SL_EUlSY_E_NS1_11comp_targetILNS1_3genE8ELNS1_11target_archE1030ELNS1_3gpuE2ELNS1_3repE0EEENS1_48merge_mergepath_partition_config_static_selectorELNS0_4arch9wavefront6targetE0EEEvSK_
		.amdhsa_group_segment_fixed_size 0
		.amdhsa_private_segment_fixed_size 0
		.amdhsa_kernarg_size 48
		.amdhsa_user_sgpr_count 6
		.amdhsa_user_sgpr_private_segment_buffer 1
		.amdhsa_user_sgpr_dispatch_ptr 0
		.amdhsa_user_sgpr_queue_ptr 0
		.amdhsa_user_sgpr_kernarg_segment_ptr 1
		.amdhsa_user_sgpr_dispatch_id 0
		.amdhsa_user_sgpr_flat_scratch_init 0
		.amdhsa_user_sgpr_private_segment_size 0
		.amdhsa_wavefront_size32 1
		.amdhsa_uses_dynamic_stack 0
		.amdhsa_system_sgpr_private_segment_wavefront_offset 0
		.amdhsa_system_sgpr_workgroup_id_x 1
		.amdhsa_system_sgpr_workgroup_id_y 0
		.amdhsa_system_sgpr_workgroup_id_z 0
		.amdhsa_system_sgpr_workgroup_info 0
		.amdhsa_system_vgpr_workitem_id 0
		.amdhsa_next_free_vgpr 19
		.amdhsa_next_free_sgpr 12
		.amdhsa_reserve_vcc 1
		.amdhsa_reserve_flat_scratch 0
		.amdhsa_float_round_mode_32 0
		.amdhsa_float_round_mode_16_64 0
		.amdhsa_float_denorm_mode_32 3
		.amdhsa_float_denorm_mode_16_64 3
		.amdhsa_dx10_clamp 1
		.amdhsa_ieee_mode 1
		.amdhsa_fp16_overflow 0
		.amdhsa_workgroup_processor_mode 1
		.amdhsa_memory_ordered 1
		.amdhsa_forward_progress 1
		.amdhsa_shared_vgpr_count 0
		.amdhsa_exception_fp_ieee_invalid_op 0
		.amdhsa_exception_fp_denorm_src 0
		.amdhsa_exception_fp_ieee_div_zero 0
		.amdhsa_exception_fp_ieee_overflow 0
		.amdhsa_exception_fp_ieee_underflow 0
		.amdhsa_exception_fp_ieee_inexact 0
		.amdhsa_exception_int_div_zero 0
	.end_amdhsa_kernel
	.section	.text._ZN7rocprim17ROCPRIM_400000_NS6detail17trampoline_kernelINS0_14default_configENS1_38merge_sort_block_merge_config_selectorIyNS0_10empty_typeEEEZZNS1_27merge_sort_block_merge_implIS3_N6thrust23THRUST_200600_302600_NS6detail15normal_iteratorINS9_10device_ptrIyEEEEPS5_m9comp_mod3IyEEE10hipError_tT0_T1_T2_jT3_P12ihipStream_tbPNSt15iterator_traitsISJ_E10value_typeEPNSP_ISK_E10value_typeEPSL_NS1_7vsmem_tEENKUlT_SJ_SK_SL_E_clISE_PySF_SF_EESI_SY_SJ_SK_SL_EUlSY_E_NS1_11comp_targetILNS1_3genE8ELNS1_11target_archE1030ELNS1_3gpuE2ELNS1_3repE0EEENS1_48merge_mergepath_partition_config_static_selectorELNS0_4arch9wavefront6targetE0EEEvSK_,"axG",@progbits,_ZN7rocprim17ROCPRIM_400000_NS6detail17trampoline_kernelINS0_14default_configENS1_38merge_sort_block_merge_config_selectorIyNS0_10empty_typeEEEZZNS1_27merge_sort_block_merge_implIS3_N6thrust23THRUST_200600_302600_NS6detail15normal_iteratorINS9_10device_ptrIyEEEEPS5_m9comp_mod3IyEEE10hipError_tT0_T1_T2_jT3_P12ihipStream_tbPNSt15iterator_traitsISJ_E10value_typeEPNSP_ISK_E10value_typeEPSL_NS1_7vsmem_tEENKUlT_SJ_SK_SL_E_clISE_PySF_SF_EESI_SY_SJ_SK_SL_EUlSY_E_NS1_11comp_targetILNS1_3genE8ELNS1_11target_archE1030ELNS1_3gpuE2ELNS1_3repE0EEENS1_48merge_mergepath_partition_config_static_selectorELNS0_4arch9wavefront6targetE0EEEvSK_,comdat
.Lfunc_end790:
	.size	_ZN7rocprim17ROCPRIM_400000_NS6detail17trampoline_kernelINS0_14default_configENS1_38merge_sort_block_merge_config_selectorIyNS0_10empty_typeEEEZZNS1_27merge_sort_block_merge_implIS3_N6thrust23THRUST_200600_302600_NS6detail15normal_iteratorINS9_10device_ptrIyEEEEPS5_m9comp_mod3IyEEE10hipError_tT0_T1_T2_jT3_P12ihipStream_tbPNSt15iterator_traitsISJ_E10value_typeEPNSP_ISK_E10value_typeEPSL_NS1_7vsmem_tEENKUlT_SJ_SK_SL_E_clISE_PySF_SF_EESI_SY_SJ_SK_SL_EUlSY_E_NS1_11comp_targetILNS1_3genE8ELNS1_11target_archE1030ELNS1_3gpuE2ELNS1_3repE0EEENS1_48merge_mergepath_partition_config_static_selectorELNS0_4arch9wavefront6targetE0EEEvSK_, .Lfunc_end790-_ZN7rocprim17ROCPRIM_400000_NS6detail17trampoline_kernelINS0_14default_configENS1_38merge_sort_block_merge_config_selectorIyNS0_10empty_typeEEEZZNS1_27merge_sort_block_merge_implIS3_N6thrust23THRUST_200600_302600_NS6detail15normal_iteratorINS9_10device_ptrIyEEEEPS5_m9comp_mod3IyEEE10hipError_tT0_T1_T2_jT3_P12ihipStream_tbPNSt15iterator_traitsISJ_E10value_typeEPNSP_ISK_E10value_typeEPSL_NS1_7vsmem_tEENKUlT_SJ_SK_SL_E_clISE_PySF_SF_EESI_SY_SJ_SK_SL_EUlSY_E_NS1_11comp_targetILNS1_3genE8ELNS1_11target_archE1030ELNS1_3gpuE2ELNS1_3repE0EEENS1_48merge_mergepath_partition_config_static_selectorELNS0_4arch9wavefront6targetE0EEEvSK_
                                        ; -- End function
	.set _ZN7rocprim17ROCPRIM_400000_NS6detail17trampoline_kernelINS0_14default_configENS1_38merge_sort_block_merge_config_selectorIyNS0_10empty_typeEEEZZNS1_27merge_sort_block_merge_implIS3_N6thrust23THRUST_200600_302600_NS6detail15normal_iteratorINS9_10device_ptrIyEEEEPS5_m9comp_mod3IyEEE10hipError_tT0_T1_T2_jT3_P12ihipStream_tbPNSt15iterator_traitsISJ_E10value_typeEPNSP_ISK_E10value_typeEPSL_NS1_7vsmem_tEENKUlT_SJ_SK_SL_E_clISE_PySF_SF_EESI_SY_SJ_SK_SL_EUlSY_E_NS1_11comp_targetILNS1_3genE8ELNS1_11target_archE1030ELNS1_3gpuE2ELNS1_3repE0EEENS1_48merge_mergepath_partition_config_static_selectorELNS0_4arch9wavefront6targetE0EEEvSK_.num_vgpr, 19
	.set _ZN7rocprim17ROCPRIM_400000_NS6detail17trampoline_kernelINS0_14default_configENS1_38merge_sort_block_merge_config_selectorIyNS0_10empty_typeEEEZZNS1_27merge_sort_block_merge_implIS3_N6thrust23THRUST_200600_302600_NS6detail15normal_iteratorINS9_10device_ptrIyEEEEPS5_m9comp_mod3IyEEE10hipError_tT0_T1_T2_jT3_P12ihipStream_tbPNSt15iterator_traitsISJ_E10value_typeEPNSP_ISK_E10value_typeEPSL_NS1_7vsmem_tEENKUlT_SJ_SK_SL_E_clISE_PySF_SF_EESI_SY_SJ_SK_SL_EUlSY_E_NS1_11comp_targetILNS1_3genE8ELNS1_11target_archE1030ELNS1_3gpuE2ELNS1_3repE0EEENS1_48merge_mergepath_partition_config_static_selectorELNS0_4arch9wavefront6targetE0EEEvSK_.num_agpr, 0
	.set _ZN7rocprim17ROCPRIM_400000_NS6detail17trampoline_kernelINS0_14default_configENS1_38merge_sort_block_merge_config_selectorIyNS0_10empty_typeEEEZZNS1_27merge_sort_block_merge_implIS3_N6thrust23THRUST_200600_302600_NS6detail15normal_iteratorINS9_10device_ptrIyEEEEPS5_m9comp_mod3IyEEE10hipError_tT0_T1_T2_jT3_P12ihipStream_tbPNSt15iterator_traitsISJ_E10value_typeEPNSP_ISK_E10value_typeEPSL_NS1_7vsmem_tEENKUlT_SJ_SK_SL_E_clISE_PySF_SF_EESI_SY_SJ_SK_SL_EUlSY_E_NS1_11comp_targetILNS1_3genE8ELNS1_11target_archE1030ELNS1_3gpuE2ELNS1_3repE0EEENS1_48merge_mergepath_partition_config_static_selectorELNS0_4arch9wavefront6targetE0EEEvSK_.numbered_sgpr, 12
	.set _ZN7rocprim17ROCPRIM_400000_NS6detail17trampoline_kernelINS0_14default_configENS1_38merge_sort_block_merge_config_selectorIyNS0_10empty_typeEEEZZNS1_27merge_sort_block_merge_implIS3_N6thrust23THRUST_200600_302600_NS6detail15normal_iteratorINS9_10device_ptrIyEEEEPS5_m9comp_mod3IyEEE10hipError_tT0_T1_T2_jT3_P12ihipStream_tbPNSt15iterator_traitsISJ_E10value_typeEPNSP_ISK_E10value_typeEPSL_NS1_7vsmem_tEENKUlT_SJ_SK_SL_E_clISE_PySF_SF_EESI_SY_SJ_SK_SL_EUlSY_E_NS1_11comp_targetILNS1_3genE8ELNS1_11target_archE1030ELNS1_3gpuE2ELNS1_3repE0EEENS1_48merge_mergepath_partition_config_static_selectorELNS0_4arch9wavefront6targetE0EEEvSK_.num_named_barrier, 0
	.set _ZN7rocprim17ROCPRIM_400000_NS6detail17trampoline_kernelINS0_14default_configENS1_38merge_sort_block_merge_config_selectorIyNS0_10empty_typeEEEZZNS1_27merge_sort_block_merge_implIS3_N6thrust23THRUST_200600_302600_NS6detail15normal_iteratorINS9_10device_ptrIyEEEEPS5_m9comp_mod3IyEEE10hipError_tT0_T1_T2_jT3_P12ihipStream_tbPNSt15iterator_traitsISJ_E10value_typeEPNSP_ISK_E10value_typeEPSL_NS1_7vsmem_tEENKUlT_SJ_SK_SL_E_clISE_PySF_SF_EESI_SY_SJ_SK_SL_EUlSY_E_NS1_11comp_targetILNS1_3genE8ELNS1_11target_archE1030ELNS1_3gpuE2ELNS1_3repE0EEENS1_48merge_mergepath_partition_config_static_selectorELNS0_4arch9wavefront6targetE0EEEvSK_.private_seg_size, 0
	.set _ZN7rocprim17ROCPRIM_400000_NS6detail17trampoline_kernelINS0_14default_configENS1_38merge_sort_block_merge_config_selectorIyNS0_10empty_typeEEEZZNS1_27merge_sort_block_merge_implIS3_N6thrust23THRUST_200600_302600_NS6detail15normal_iteratorINS9_10device_ptrIyEEEEPS5_m9comp_mod3IyEEE10hipError_tT0_T1_T2_jT3_P12ihipStream_tbPNSt15iterator_traitsISJ_E10value_typeEPNSP_ISK_E10value_typeEPSL_NS1_7vsmem_tEENKUlT_SJ_SK_SL_E_clISE_PySF_SF_EESI_SY_SJ_SK_SL_EUlSY_E_NS1_11comp_targetILNS1_3genE8ELNS1_11target_archE1030ELNS1_3gpuE2ELNS1_3repE0EEENS1_48merge_mergepath_partition_config_static_selectorELNS0_4arch9wavefront6targetE0EEEvSK_.uses_vcc, 1
	.set _ZN7rocprim17ROCPRIM_400000_NS6detail17trampoline_kernelINS0_14default_configENS1_38merge_sort_block_merge_config_selectorIyNS0_10empty_typeEEEZZNS1_27merge_sort_block_merge_implIS3_N6thrust23THRUST_200600_302600_NS6detail15normal_iteratorINS9_10device_ptrIyEEEEPS5_m9comp_mod3IyEEE10hipError_tT0_T1_T2_jT3_P12ihipStream_tbPNSt15iterator_traitsISJ_E10value_typeEPNSP_ISK_E10value_typeEPSL_NS1_7vsmem_tEENKUlT_SJ_SK_SL_E_clISE_PySF_SF_EESI_SY_SJ_SK_SL_EUlSY_E_NS1_11comp_targetILNS1_3genE8ELNS1_11target_archE1030ELNS1_3gpuE2ELNS1_3repE0EEENS1_48merge_mergepath_partition_config_static_selectorELNS0_4arch9wavefront6targetE0EEEvSK_.uses_flat_scratch, 0
	.set _ZN7rocprim17ROCPRIM_400000_NS6detail17trampoline_kernelINS0_14default_configENS1_38merge_sort_block_merge_config_selectorIyNS0_10empty_typeEEEZZNS1_27merge_sort_block_merge_implIS3_N6thrust23THRUST_200600_302600_NS6detail15normal_iteratorINS9_10device_ptrIyEEEEPS5_m9comp_mod3IyEEE10hipError_tT0_T1_T2_jT3_P12ihipStream_tbPNSt15iterator_traitsISJ_E10value_typeEPNSP_ISK_E10value_typeEPSL_NS1_7vsmem_tEENKUlT_SJ_SK_SL_E_clISE_PySF_SF_EESI_SY_SJ_SK_SL_EUlSY_E_NS1_11comp_targetILNS1_3genE8ELNS1_11target_archE1030ELNS1_3gpuE2ELNS1_3repE0EEENS1_48merge_mergepath_partition_config_static_selectorELNS0_4arch9wavefront6targetE0EEEvSK_.has_dyn_sized_stack, 0
	.set _ZN7rocprim17ROCPRIM_400000_NS6detail17trampoline_kernelINS0_14default_configENS1_38merge_sort_block_merge_config_selectorIyNS0_10empty_typeEEEZZNS1_27merge_sort_block_merge_implIS3_N6thrust23THRUST_200600_302600_NS6detail15normal_iteratorINS9_10device_ptrIyEEEEPS5_m9comp_mod3IyEEE10hipError_tT0_T1_T2_jT3_P12ihipStream_tbPNSt15iterator_traitsISJ_E10value_typeEPNSP_ISK_E10value_typeEPSL_NS1_7vsmem_tEENKUlT_SJ_SK_SL_E_clISE_PySF_SF_EESI_SY_SJ_SK_SL_EUlSY_E_NS1_11comp_targetILNS1_3genE8ELNS1_11target_archE1030ELNS1_3gpuE2ELNS1_3repE0EEENS1_48merge_mergepath_partition_config_static_selectorELNS0_4arch9wavefront6targetE0EEEvSK_.has_recursion, 0
	.set _ZN7rocprim17ROCPRIM_400000_NS6detail17trampoline_kernelINS0_14default_configENS1_38merge_sort_block_merge_config_selectorIyNS0_10empty_typeEEEZZNS1_27merge_sort_block_merge_implIS3_N6thrust23THRUST_200600_302600_NS6detail15normal_iteratorINS9_10device_ptrIyEEEEPS5_m9comp_mod3IyEEE10hipError_tT0_T1_T2_jT3_P12ihipStream_tbPNSt15iterator_traitsISJ_E10value_typeEPNSP_ISK_E10value_typeEPSL_NS1_7vsmem_tEENKUlT_SJ_SK_SL_E_clISE_PySF_SF_EESI_SY_SJ_SK_SL_EUlSY_E_NS1_11comp_targetILNS1_3genE8ELNS1_11target_archE1030ELNS1_3gpuE2ELNS1_3repE0EEENS1_48merge_mergepath_partition_config_static_selectorELNS0_4arch9wavefront6targetE0EEEvSK_.has_indirect_call, 0
	.section	.AMDGPU.csdata,"",@progbits
; Kernel info:
; codeLenInByte = 732
; TotalNumSgprs: 14
; NumVgprs: 19
; ScratchSize: 0
; MemoryBound: 0
; FloatMode: 240
; IeeeMode: 1
; LDSByteSize: 0 bytes/workgroup (compile time only)
; SGPRBlocks: 0
; VGPRBlocks: 2
; NumSGPRsForWavesPerEU: 14
; NumVGPRsForWavesPerEU: 19
; Occupancy: 16
; WaveLimiterHint : 1
; COMPUTE_PGM_RSRC2:SCRATCH_EN: 0
; COMPUTE_PGM_RSRC2:USER_SGPR: 6
; COMPUTE_PGM_RSRC2:TRAP_HANDLER: 0
; COMPUTE_PGM_RSRC2:TGID_X_EN: 1
; COMPUTE_PGM_RSRC2:TGID_Y_EN: 0
; COMPUTE_PGM_RSRC2:TGID_Z_EN: 0
; COMPUTE_PGM_RSRC2:TIDIG_COMP_CNT: 0
	.section	.text._ZN7rocprim17ROCPRIM_400000_NS6detail17trampoline_kernelINS0_14default_configENS1_38merge_sort_block_merge_config_selectorIyNS0_10empty_typeEEEZZNS1_27merge_sort_block_merge_implIS3_N6thrust23THRUST_200600_302600_NS6detail15normal_iteratorINS9_10device_ptrIyEEEEPS5_m9comp_mod3IyEEE10hipError_tT0_T1_T2_jT3_P12ihipStream_tbPNSt15iterator_traitsISJ_E10value_typeEPNSP_ISK_E10value_typeEPSL_NS1_7vsmem_tEENKUlT_SJ_SK_SL_E_clISE_PySF_SF_EESI_SY_SJ_SK_SL_EUlSY_E0_NS1_11comp_targetILNS1_3genE0ELNS1_11target_archE4294967295ELNS1_3gpuE0ELNS1_3repE0EEENS1_38merge_mergepath_config_static_selectorELNS0_4arch9wavefront6targetE0EEEvSK_,"axG",@progbits,_ZN7rocprim17ROCPRIM_400000_NS6detail17trampoline_kernelINS0_14default_configENS1_38merge_sort_block_merge_config_selectorIyNS0_10empty_typeEEEZZNS1_27merge_sort_block_merge_implIS3_N6thrust23THRUST_200600_302600_NS6detail15normal_iteratorINS9_10device_ptrIyEEEEPS5_m9comp_mod3IyEEE10hipError_tT0_T1_T2_jT3_P12ihipStream_tbPNSt15iterator_traitsISJ_E10value_typeEPNSP_ISK_E10value_typeEPSL_NS1_7vsmem_tEENKUlT_SJ_SK_SL_E_clISE_PySF_SF_EESI_SY_SJ_SK_SL_EUlSY_E0_NS1_11comp_targetILNS1_3genE0ELNS1_11target_archE4294967295ELNS1_3gpuE0ELNS1_3repE0EEENS1_38merge_mergepath_config_static_selectorELNS0_4arch9wavefront6targetE0EEEvSK_,comdat
	.protected	_ZN7rocprim17ROCPRIM_400000_NS6detail17trampoline_kernelINS0_14default_configENS1_38merge_sort_block_merge_config_selectorIyNS0_10empty_typeEEEZZNS1_27merge_sort_block_merge_implIS3_N6thrust23THRUST_200600_302600_NS6detail15normal_iteratorINS9_10device_ptrIyEEEEPS5_m9comp_mod3IyEEE10hipError_tT0_T1_T2_jT3_P12ihipStream_tbPNSt15iterator_traitsISJ_E10value_typeEPNSP_ISK_E10value_typeEPSL_NS1_7vsmem_tEENKUlT_SJ_SK_SL_E_clISE_PySF_SF_EESI_SY_SJ_SK_SL_EUlSY_E0_NS1_11comp_targetILNS1_3genE0ELNS1_11target_archE4294967295ELNS1_3gpuE0ELNS1_3repE0EEENS1_38merge_mergepath_config_static_selectorELNS0_4arch9wavefront6targetE0EEEvSK_ ; -- Begin function _ZN7rocprim17ROCPRIM_400000_NS6detail17trampoline_kernelINS0_14default_configENS1_38merge_sort_block_merge_config_selectorIyNS0_10empty_typeEEEZZNS1_27merge_sort_block_merge_implIS3_N6thrust23THRUST_200600_302600_NS6detail15normal_iteratorINS9_10device_ptrIyEEEEPS5_m9comp_mod3IyEEE10hipError_tT0_T1_T2_jT3_P12ihipStream_tbPNSt15iterator_traitsISJ_E10value_typeEPNSP_ISK_E10value_typeEPSL_NS1_7vsmem_tEENKUlT_SJ_SK_SL_E_clISE_PySF_SF_EESI_SY_SJ_SK_SL_EUlSY_E0_NS1_11comp_targetILNS1_3genE0ELNS1_11target_archE4294967295ELNS1_3gpuE0ELNS1_3repE0EEENS1_38merge_mergepath_config_static_selectorELNS0_4arch9wavefront6targetE0EEEvSK_
	.globl	_ZN7rocprim17ROCPRIM_400000_NS6detail17trampoline_kernelINS0_14default_configENS1_38merge_sort_block_merge_config_selectorIyNS0_10empty_typeEEEZZNS1_27merge_sort_block_merge_implIS3_N6thrust23THRUST_200600_302600_NS6detail15normal_iteratorINS9_10device_ptrIyEEEEPS5_m9comp_mod3IyEEE10hipError_tT0_T1_T2_jT3_P12ihipStream_tbPNSt15iterator_traitsISJ_E10value_typeEPNSP_ISK_E10value_typeEPSL_NS1_7vsmem_tEENKUlT_SJ_SK_SL_E_clISE_PySF_SF_EESI_SY_SJ_SK_SL_EUlSY_E0_NS1_11comp_targetILNS1_3genE0ELNS1_11target_archE4294967295ELNS1_3gpuE0ELNS1_3repE0EEENS1_38merge_mergepath_config_static_selectorELNS0_4arch9wavefront6targetE0EEEvSK_
	.p2align	8
	.type	_ZN7rocprim17ROCPRIM_400000_NS6detail17trampoline_kernelINS0_14default_configENS1_38merge_sort_block_merge_config_selectorIyNS0_10empty_typeEEEZZNS1_27merge_sort_block_merge_implIS3_N6thrust23THRUST_200600_302600_NS6detail15normal_iteratorINS9_10device_ptrIyEEEEPS5_m9comp_mod3IyEEE10hipError_tT0_T1_T2_jT3_P12ihipStream_tbPNSt15iterator_traitsISJ_E10value_typeEPNSP_ISK_E10value_typeEPSL_NS1_7vsmem_tEENKUlT_SJ_SK_SL_E_clISE_PySF_SF_EESI_SY_SJ_SK_SL_EUlSY_E0_NS1_11comp_targetILNS1_3genE0ELNS1_11target_archE4294967295ELNS1_3gpuE0ELNS1_3repE0EEENS1_38merge_mergepath_config_static_selectorELNS0_4arch9wavefront6targetE0EEEvSK_,@function
_ZN7rocprim17ROCPRIM_400000_NS6detail17trampoline_kernelINS0_14default_configENS1_38merge_sort_block_merge_config_selectorIyNS0_10empty_typeEEEZZNS1_27merge_sort_block_merge_implIS3_N6thrust23THRUST_200600_302600_NS6detail15normal_iteratorINS9_10device_ptrIyEEEEPS5_m9comp_mod3IyEEE10hipError_tT0_T1_T2_jT3_P12ihipStream_tbPNSt15iterator_traitsISJ_E10value_typeEPNSP_ISK_E10value_typeEPSL_NS1_7vsmem_tEENKUlT_SJ_SK_SL_E_clISE_PySF_SF_EESI_SY_SJ_SK_SL_EUlSY_E0_NS1_11comp_targetILNS1_3genE0ELNS1_11target_archE4294967295ELNS1_3gpuE0ELNS1_3repE0EEENS1_38merge_mergepath_config_static_selectorELNS0_4arch9wavefront6targetE0EEEvSK_: ; @_ZN7rocprim17ROCPRIM_400000_NS6detail17trampoline_kernelINS0_14default_configENS1_38merge_sort_block_merge_config_selectorIyNS0_10empty_typeEEEZZNS1_27merge_sort_block_merge_implIS3_N6thrust23THRUST_200600_302600_NS6detail15normal_iteratorINS9_10device_ptrIyEEEEPS5_m9comp_mod3IyEEE10hipError_tT0_T1_T2_jT3_P12ihipStream_tbPNSt15iterator_traitsISJ_E10value_typeEPNSP_ISK_E10value_typeEPSL_NS1_7vsmem_tEENKUlT_SJ_SK_SL_E_clISE_PySF_SF_EESI_SY_SJ_SK_SL_EUlSY_E0_NS1_11comp_targetILNS1_3genE0ELNS1_11target_archE4294967295ELNS1_3gpuE0ELNS1_3repE0EEENS1_38merge_mergepath_config_static_selectorELNS0_4arch9wavefront6targetE0EEEvSK_
; %bb.0:
	.section	.rodata,"a",@progbits
	.p2align	6, 0x0
	.amdhsa_kernel _ZN7rocprim17ROCPRIM_400000_NS6detail17trampoline_kernelINS0_14default_configENS1_38merge_sort_block_merge_config_selectorIyNS0_10empty_typeEEEZZNS1_27merge_sort_block_merge_implIS3_N6thrust23THRUST_200600_302600_NS6detail15normal_iteratorINS9_10device_ptrIyEEEEPS5_m9comp_mod3IyEEE10hipError_tT0_T1_T2_jT3_P12ihipStream_tbPNSt15iterator_traitsISJ_E10value_typeEPNSP_ISK_E10value_typeEPSL_NS1_7vsmem_tEENKUlT_SJ_SK_SL_E_clISE_PySF_SF_EESI_SY_SJ_SK_SL_EUlSY_E0_NS1_11comp_targetILNS1_3genE0ELNS1_11target_archE4294967295ELNS1_3gpuE0ELNS1_3repE0EEENS1_38merge_mergepath_config_static_selectorELNS0_4arch9wavefront6targetE0EEEvSK_
		.amdhsa_group_segment_fixed_size 0
		.amdhsa_private_segment_fixed_size 0
		.amdhsa_kernarg_size 80
		.amdhsa_user_sgpr_count 6
		.amdhsa_user_sgpr_private_segment_buffer 1
		.amdhsa_user_sgpr_dispatch_ptr 0
		.amdhsa_user_sgpr_queue_ptr 0
		.amdhsa_user_sgpr_kernarg_segment_ptr 1
		.amdhsa_user_sgpr_dispatch_id 0
		.amdhsa_user_sgpr_flat_scratch_init 0
		.amdhsa_user_sgpr_private_segment_size 0
		.amdhsa_wavefront_size32 1
		.amdhsa_uses_dynamic_stack 0
		.amdhsa_system_sgpr_private_segment_wavefront_offset 0
		.amdhsa_system_sgpr_workgroup_id_x 1
		.amdhsa_system_sgpr_workgroup_id_y 0
		.amdhsa_system_sgpr_workgroup_id_z 0
		.amdhsa_system_sgpr_workgroup_info 0
		.amdhsa_system_vgpr_workitem_id 0
		.amdhsa_next_free_vgpr 1
		.amdhsa_next_free_sgpr 1
		.amdhsa_reserve_vcc 0
		.amdhsa_reserve_flat_scratch 0
		.amdhsa_float_round_mode_32 0
		.amdhsa_float_round_mode_16_64 0
		.amdhsa_float_denorm_mode_32 3
		.amdhsa_float_denorm_mode_16_64 3
		.amdhsa_dx10_clamp 1
		.amdhsa_ieee_mode 1
		.amdhsa_fp16_overflow 0
		.amdhsa_workgroup_processor_mode 1
		.amdhsa_memory_ordered 1
		.amdhsa_forward_progress 1
		.amdhsa_shared_vgpr_count 0
		.amdhsa_exception_fp_ieee_invalid_op 0
		.amdhsa_exception_fp_denorm_src 0
		.amdhsa_exception_fp_ieee_div_zero 0
		.amdhsa_exception_fp_ieee_overflow 0
		.amdhsa_exception_fp_ieee_underflow 0
		.amdhsa_exception_fp_ieee_inexact 0
		.amdhsa_exception_int_div_zero 0
	.end_amdhsa_kernel
	.section	.text._ZN7rocprim17ROCPRIM_400000_NS6detail17trampoline_kernelINS0_14default_configENS1_38merge_sort_block_merge_config_selectorIyNS0_10empty_typeEEEZZNS1_27merge_sort_block_merge_implIS3_N6thrust23THRUST_200600_302600_NS6detail15normal_iteratorINS9_10device_ptrIyEEEEPS5_m9comp_mod3IyEEE10hipError_tT0_T1_T2_jT3_P12ihipStream_tbPNSt15iterator_traitsISJ_E10value_typeEPNSP_ISK_E10value_typeEPSL_NS1_7vsmem_tEENKUlT_SJ_SK_SL_E_clISE_PySF_SF_EESI_SY_SJ_SK_SL_EUlSY_E0_NS1_11comp_targetILNS1_3genE0ELNS1_11target_archE4294967295ELNS1_3gpuE0ELNS1_3repE0EEENS1_38merge_mergepath_config_static_selectorELNS0_4arch9wavefront6targetE0EEEvSK_,"axG",@progbits,_ZN7rocprim17ROCPRIM_400000_NS6detail17trampoline_kernelINS0_14default_configENS1_38merge_sort_block_merge_config_selectorIyNS0_10empty_typeEEEZZNS1_27merge_sort_block_merge_implIS3_N6thrust23THRUST_200600_302600_NS6detail15normal_iteratorINS9_10device_ptrIyEEEEPS5_m9comp_mod3IyEEE10hipError_tT0_T1_T2_jT3_P12ihipStream_tbPNSt15iterator_traitsISJ_E10value_typeEPNSP_ISK_E10value_typeEPSL_NS1_7vsmem_tEENKUlT_SJ_SK_SL_E_clISE_PySF_SF_EESI_SY_SJ_SK_SL_EUlSY_E0_NS1_11comp_targetILNS1_3genE0ELNS1_11target_archE4294967295ELNS1_3gpuE0ELNS1_3repE0EEENS1_38merge_mergepath_config_static_selectorELNS0_4arch9wavefront6targetE0EEEvSK_,comdat
.Lfunc_end791:
	.size	_ZN7rocprim17ROCPRIM_400000_NS6detail17trampoline_kernelINS0_14default_configENS1_38merge_sort_block_merge_config_selectorIyNS0_10empty_typeEEEZZNS1_27merge_sort_block_merge_implIS3_N6thrust23THRUST_200600_302600_NS6detail15normal_iteratorINS9_10device_ptrIyEEEEPS5_m9comp_mod3IyEEE10hipError_tT0_T1_T2_jT3_P12ihipStream_tbPNSt15iterator_traitsISJ_E10value_typeEPNSP_ISK_E10value_typeEPSL_NS1_7vsmem_tEENKUlT_SJ_SK_SL_E_clISE_PySF_SF_EESI_SY_SJ_SK_SL_EUlSY_E0_NS1_11comp_targetILNS1_3genE0ELNS1_11target_archE4294967295ELNS1_3gpuE0ELNS1_3repE0EEENS1_38merge_mergepath_config_static_selectorELNS0_4arch9wavefront6targetE0EEEvSK_, .Lfunc_end791-_ZN7rocprim17ROCPRIM_400000_NS6detail17trampoline_kernelINS0_14default_configENS1_38merge_sort_block_merge_config_selectorIyNS0_10empty_typeEEEZZNS1_27merge_sort_block_merge_implIS3_N6thrust23THRUST_200600_302600_NS6detail15normal_iteratorINS9_10device_ptrIyEEEEPS5_m9comp_mod3IyEEE10hipError_tT0_T1_T2_jT3_P12ihipStream_tbPNSt15iterator_traitsISJ_E10value_typeEPNSP_ISK_E10value_typeEPSL_NS1_7vsmem_tEENKUlT_SJ_SK_SL_E_clISE_PySF_SF_EESI_SY_SJ_SK_SL_EUlSY_E0_NS1_11comp_targetILNS1_3genE0ELNS1_11target_archE4294967295ELNS1_3gpuE0ELNS1_3repE0EEENS1_38merge_mergepath_config_static_selectorELNS0_4arch9wavefront6targetE0EEEvSK_
                                        ; -- End function
	.set _ZN7rocprim17ROCPRIM_400000_NS6detail17trampoline_kernelINS0_14default_configENS1_38merge_sort_block_merge_config_selectorIyNS0_10empty_typeEEEZZNS1_27merge_sort_block_merge_implIS3_N6thrust23THRUST_200600_302600_NS6detail15normal_iteratorINS9_10device_ptrIyEEEEPS5_m9comp_mod3IyEEE10hipError_tT0_T1_T2_jT3_P12ihipStream_tbPNSt15iterator_traitsISJ_E10value_typeEPNSP_ISK_E10value_typeEPSL_NS1_7vsmem_tEENKUlT_SJ_SK_SL_E_clISE_PySF_SF_EESI_SY_SJ_SK_SL_EUlSY_E0_NS1_11comp_targetILNS1_3genE0ELNS1_11target_archE4294967295ELNS1_3gpuE0ELNS1_3repE0EEENS1_38merge_mergepath_config_static_selectorELNS0_4arch9wavefront6targetE0EEEvSK_.num_vgpr, 0
	.set _ZN7rocprim17ROCPRIM_400000_NS6detail17trampoline_kernelINS0_14default_configENS1_38merge_sort_block_merge_config_selectorIyNS0_10empty_typeEEEZZNS1_27merge_sort_block_merge_implIS3_N6thrust23THRUST_200600_302600_NS6detail15normal_iteratorINS9_10device_ptrIyEEEEPS5_m9comp_mod3IyEEE10hipError_tT0_T1_T2_jT3_P12ihipStream_tbPNSt15iterator_traitsISJ_E10value_typeEPNSP_ISK_E10value_typeEPSL_NS1_7vsmem_tEENKUlT_SJ_SK_SL_E_clISE_PySF_SF_EESI_SY_SJ_SK_SL_EUlSY_E0_NS1_11comp_targetILNS1_3genE0ELNS1_11target_archE4294967295ELNS1_3gpuE0ELNS1_3repE0EEENS1_38merge_mergepath_config_static_selectorELNS0_4arch9wavefront6targetE0EEEvSK_.num_agpr, 0
	.set _ZN7rocprim17ROCPRIM_400000_NS6detail17trampoline_kernelINS0_14default_configENS1_38merge_sort_block_merge_config_selectorIyNS0_10empty_typeEEEZZNS1_27merge_sort_block_merge_implIS3_N6thrust23THRUST_200600_302600_NS6detail15normal_iteratorINS9_10device_ptrIyEEEEPS5_m9comp_mod3IyEEE10hipError_tT0_T1_T2_jT3_P12ihipStream_tbPNSt15iterator_traitsISJ_E10value_typeEPNSP_ISK_E10value_typeEPSL_NS1_7vsmem_tEENKUlT_SJ_SK_SL_E_clISE_PySF_SF_EESI_SY_SJ_SK_SL_EUlSY_E0_NS1_11comp_targetILNS1_3genE0ELNS1_11target_archE4294967295ELNS1_3gpuE0ELNS1_3repE0EEENS1_38merge_mergepath_config_static_selectorELNS0_4arch9wavefront6targetE0EEEvSK_.numbered_sgpr, 0
	.set _ZN7rocprim17ROCPRIM_400000_NS6detail17trampoline_kernelINS0_14default_configENS1_38merge_sort_block_merge_config_selectorIyNS0_10empty_typeEEEZZNS1_27merge_sort_block_merge_implIS3_N6thrust23THRUST_200600_302600_NS6detail15normal_iteratorINS9_10device_ptrIyEEEEPS5_m9comp_mod3IyEEE10hipError_tT0_T1_T2_jT3_P12ihipStream_tbPNSt15iterator_traitsISJ_E10value_typeEPNSP_ISK_E10value_typeEPSL_NS1_7vsmem_tEENKUlT_SJ_SK_SL_E_clISE_PySF_SF_EESI_SY_SJ_SK_SL_EUlSY_E0_NS1_11comp_targetILNS1_3genE0ELNS1_11target_archE4294967295ELNS1_3gpuE0ELNS1_3repE0EEENS1_38merge_mergepath_config_static_selectorELNS0_4arch9wavefront6targetE0EEEvSK_.num_named_barrier, 0
	.set _ZN7rocprim17ROCPRIM_400000_NS6detail17trampoline_kernelINS0_14default_configENS1_38merge_sort_block_merge_config_selectorIyNS0_10empty_typeEEEZZNS1_27merge_sort_block_merge_implIS3_N6thrust23THRUST_200600_302600_NS6detail15normal_iteratorINS9_10device_ptrIyEEEEPS5_m9comp_mod3IyEEE10hipError_tT0_T1_T2_jT3_P12ihipStream_tbPNSt15iterator_traitsISJ_E10value_typeEPNSP_ISK_E10value_typeEPSL_NS1_7vsmem_tEENKUlT_SJ_SK_SL_E_clISE_PySF_SF_EESI_SY_SJ_SK_SL_EUlSY_E0_NS1_11comp_targetILNS1_3genE0ELNS1_11target_archE4294967295ELNS1_3gpuE0ELNS1_3repE0EEENS1_38merge_mergepath_config_static_selectorELNS0_4arch9wavefront6targetE0EEEvSK_.private_seg_size, 0
	.set _ZN7rocprim17ROCPRIM_400000_NS6detail17trampoline_kernelINS0_14default_configENS1_38merge_sort_block_merge_config_selectorIyNS0_10empty_typeEEEZZNS1_27merge_sort_block_merge_implIS3_N6thrust23THRUST_200600_302600_NS6detail15normal_iteratorINS9_10device_ptrIyEEEEPS5_m9comp_mod3IyEEE10hipError_tT0_T1_T2_jT3_P12ihipStream_tbPNSt15iterator_traitsISJ_E10value_typeEPNSP_ISK_E10value_typeEPSL_NS1_7vsmem_tEENKUlT_SJ_SK_SL_E_clISE_PySF_SF_EESI_SY_SJ_SK_SL_EUlSY_E0_NS1_11comp_targetILNS1_3genE0ELNS1_11target_archE4294967295ELNS1_3gpuE0ELNS1_3repE0EEENS1_38merge_mergepath_config_static_selectorELNS0_4arch9wavefront6targetE0EEEvSK_.uses_vcc, 0
	.set _ZN7rocprim17ROCPRIM_400000_NS6detail17trampoline_kernelINS0_14default_configENS1_38merge_sort_block_merge_config_selectorIyNS0_10empty_typeEEEZZNS1_27merge_sort_block_merge_implIS3_N6thrust23THRUST_200600_302600_NS6detail15normal_iteratorINS9_10device_ptrIyEEEEPS5_m9comp_mod3IyEEE10hipError_tT0_T1_T2_jT3_P12ihipStream_tbPNSt15iterator_traitsISJ_E10value_typeEPNSP_ISK_E10value_typeEPSL_NS1_7vsmem_tEENKUlT_SJ_SK_SL_E_clISE_PySF_SF_EESI_SY_SJ_SK_SL_EUlSY_E0_NS1_11comp_targetILNS1_3genE0ELNS1_11target_archE4294967295ELNS1_3gpuE0ELNS1_3repE0EEENS1_38merge_mergepath_config_static_selectorELNS0_4arch9wavefront6targetE0EEEvSK_.uses_flat_scratch, 0
	.set _ZN7rocprim17ROCPRIM_400000_NS6detail17trampoline_kernelINS0_14default_configENS1_38merge_sort_block_merge_config_selectorIyNS0_10empty_typeEEEZZNS1_27merge_sort_block_merge_implIS3_N6thrust23THRUST_200600_302600_NS6detail15normal_iteratorINS9_10device_ptrIyEEEEPS5_m9comp_mod3IyEEE10hipError_tT0_T1_T2_jT3_P12ihipStream_tbPNSt15iterator_traitsISJ_E10value_typeEPNSP_ISK_E10value_typeEPSL_NS1_7vsmem_tEENKUlT_SJ_SK_SL_E_clISE_PySF_SF_EESI_SY_SJ_SK_SL_EUlSY_E0_NS1_11comp_targetILNS1_3genE0ELNS1_11target_archE4294967295ELNS1_3gpuE0ELNS1_3repE0EEENS1_38merge_mergepath_config_static_selectorELNS0_4arch9wavefront6targetE0EEEvSK_.has_dyn_sized_stack, 0
	.set _ZN7rocprim17ROCPRIM_400000_NS6detail17trampoline_kernelINS0_14default_configENS1_38merge_sort_block_merge_config_selectorIyNS0_10empty_typeEEEZZNS1_27merge_sort_block_merge_implIS3_N6thrust23THRUST_200600_302600_NS6detail15normal_iteratorINS9_10device_ptrIyEEEEPS5_m9comp_mod3IyEEE10hipError_tT0_T1_T2_jT3_P12ihipStream_tbPNSt15iterator_traitsISJ_E10value_typeEPNSP_ISK_E10value_typeEPSL_NS1_7vsmem_tEENKUlT_SJ_SK_SL_E_clISE_PySF_SF_EESI_SY_SJ_SK_SL_EUlSY_E0_NS1_11comp_targetILNS1_3genE0ELNS1_11target_archE4294967295ELNS1_3gpuE0ELNS1_3repE0EEENS1_38merge_mergepath_config_static_selectorELNS0_4arch9wavefront6targetE0EEEvSK_.has_recursion, 0
	.set _ZN7rocprim17ROCPRIM_400000_NS6detail17trampoline_kernelINS0_14default_configENS1_38merge_sort_block_merge_config_selectorIyNS0_10empty_typeEEEZZNS1_27merge_sort_block_merge_implIS3_N6thrust23THRUST_200600_302600_NS6detail15normal_iteratorINS9_10device_ptrIyEEEEPS5_m9comp_mod3IyEEE10hipError_tT0_T1_T2_jT3_P12ihipStream_tbPNSt15iterator_traitsISJ_E10value_typeEPNSP_ISK_E10value_typeEPSL_NS1_7vsmem_tEENKUlT_SJ_SK_SL_E_clISE_PySF_SF_EESI_SY_SJ_SK_SL_EUlSY_E0_NS1_11comp_targetILNS1_3genE0ELNS1_11target_archE4294967295ELNS1_3gpuE0ELNS1_3repE0EEENS1_38merge_mergepath_config_static_selectorELNS0_4arch9wavefront6targetE0EEEvSK_.has_indirect_call, 0
	.section	.AMDGPU.csdata,"",@progbits
; Kernel info:
; codeLenInByte = 0
; TotalNumSgprs: 0
; NumVgprs: 0
; ScratchSize: 0
; MemoryBound: 0
; FloatMode: 240
; IeeeMode: 1
; LDSByteSize: 0 bytes/workgroup (compile time only)
; SGPRBlocks: 0
; VGPRBlocks: 0
; NumSGPRsForWavesPerEU: 1
; NumVGPRsForWavesPerEU: 1
; Occupancy: 16
; WaveLimiterHint : 0
; COMPUTE_PGM_RSRC2:SCRATCH_EN: 0
; COMPUTE_PGM_RSRC2:USER_SGPR: 6
; COMPUTE_PGM_RSRC2:TRAP_HANDLER: 0
; COMPUTE_PGM_RSRC2:TGID_X_EN: 1
; COMPUTE_PGM_RSRC2:TGID_Y_EN: 0
; COMPUTE_PGM_RSRC2:TGID_Z_EN: 0
; COMPUTE_PGM_RSRC2:TIDIG_COMP_CNT: 0
	.section	.text._ZN7rocprim17ROCPRIM_400000_NS6detail17trampoline_kernelINS0_14default_configENS1_38merge_sort_block_merge_config_selectorIyNS0_10empty_typeEEEZZNS1_27merge_sort_block_merge_implIS3_N6thrust23THRUST_200600_302600_NS6detail15normal_iteratorINS9_10device_ptrIyEEEEPS5_m9comp_mod3IyEEE10hipError_tT0_T1_T2_jT3_P12ihipStream_tbPNSt15iterator_traitsISJ_E10value_typeEPNSP_ISK_E10value_typeEPSL_NS1_7vsmem_tEENKUlT_SJ_SK_SL_E_clISE_PySF_SF_EESI_SY_SJ_SK_SL_EUlSY_E0_NS1_11comp_targetILNS1_3genE10ELNS1_11target_archE1201ELNS1_3gpuE5ELNS1_3repE0EEENS1_38merge_mergepath_config_static_selectorELNS0_4arch9wavefront6targetE0EEEvSK_,"axG",@progbits,_ZN7rocprim17ROCPRIM_400000_NS6detail17trampoline_kernelINS0_14default_configENS1_38merge_sort_block_merge_config_selectorIyNS0_10empty_typeEEEZZNS1_27merge_sort_block_merge_implIS3_N6thrust23THRUST_200600_302600_NS6detail15normal_iteratorINS9_10device_ptrIyEEEEPS5_m9comp_mod3IyEEE10hipError_tT0_T1_T2_jT3_P12ihipStream_tbPNSt15iterator_traitsISJ_E10value_typeEPNSP_ISK_E10value_typeEPSL_NS1_7vsmem_tEENKUlT_SJ_SK_SL_E_clISE_PySF_SF_EESI_SY_SJ_SK_SL_EUlSY_E0_NS1_11comp_targetILNS1_3genE10ELNS1_11target_archE1201ELNS1_3gpuE5ELNS1_3repE0EEENS1_38merge_mergepath_config_static_selectorELNS0_4arch9wavefront6targetE0EEEvSK_,comdat
	.protected	_ZN7rocprim17ROCPRIM_400000_NS6detail17trampoline_kernelINS0_14default_configENS1_38merge_sort_block_merge_config_selectorIyNS0_10empty_typeEEEZZNS1_27merge_sort_block_merge_implIS3_N6thrust23THRUST_200600_302600_NS6detail15normal_iteratorINS9_10device_ptrIyEEEEPS5_m9comp_mod3IyEEE10hipError_tT0_T1_T2_jT3_P12ihipStream_tbPNSt15iterator_traitsISJ_E10value_typeEPNSP_ISK_E10value_typeEPSL_NS1_7vsmem_tEENKUlT_SJ_SK_SL_E_clISE_PySF_SF_EESI_SY_SJ_SK_SL_EUlSY_E0_NS1_11comp_targetILNS1_3genE10ELNS1_11target_archE1201ELNS1_3gpuE5ELNS1_3repE0EEENS1_38merge_mergepath_config_static_selectorELNS0_4arch9wavefront6targetE0EEEvSK_ ; -- Begin function _ZN7rocprim17ROCPRIM_400000_NS6detail17trampoline_kernelINS0_14default_configENS1_38merge_sort_block_merge_config_selectorIyNS0_10empty_typeEEEZZNS1_27merge_sort_block_merge_implIS3_N6thrust23THRUST_200600_302600_NS6detail15normal_iteratorINS9_10device_ptrIyEEEEPS5_m9comp_mod3IyEEE10hipError_tT0_T1_T2_jT3_P12ihipStream_tbPNSt15iterator_traitsISJ_E10value_typeEPNSP_ISK_E10value_typeEPSL_NS1_7vsmem_tEENKUlT_SJ_SK_SL_E_clISE_PySF_SF_EESI_SY_SJ_SK_SL_EUlSY_E0_NS1_11comp_targetILNS1_3genE10ELNS1_11target_archE1201ELNS1_3gpuE5ELNS1_3repE0EEENS1_38merge_mergepath_config_static_selectorELNS0_4arch9wavefront6targetE0EEEvSK_
	.globl	_ZN7rocprim17ROCPRIM_400000_NS6detail17trampoline_kernelINS0_14default_configENS1_38merge_sort_block_merge_config_selectorIyNS0_10empty_typeEEEZZNS1_27merge_sort_block_merge_implIS3_N6thrust23THRUST_200600_302600_NS6detail15normal_iteratorINS9_10device_ptrIyEEEEPS5_m9comp_mod3IyEEE10hipError_tT0_T1_T2_jT3_P12ihipStream_tbPNSt15iterator_traitsISJ_E10value_typeEPNSP_ISK_E10value_typeEPSL_NS1_7vsmem_tEENKUlT_SJ_SK_SL_E_clISE_PySF_SF_EESI_SY_SJ_SK_SL_EUlSY_E0_NS1_11comp_targetILNS1_3genE10ELNS1_11target_archE1201ELNS1_3gpuE5ELNS1_3repE0EEENS1_38merge_mergepath_config_static_selectorELNS0_4arch9wavefront6targetE0EEEvSK_
	.p2align	8
	.type	_ZN7rocprim17ROCPRIM_400000_NS6detail17trampoline_kernelINS0_14default_configENS1_38merge_sort_block_merge_config_selectorIyNS0_10empty_typeEEEZZNS1_27merge_sort_block_merge_implIS3_N6thrust23THRUST_200600_302600_NS6detail15normal_iteratorINS9_10device_ptrIyEEEEPS5_m9comp_mod3IyEEE10hipError_tT0_T1_T2_jT3_P12ihipStream_tbPNSt15iterator_traitsISJ_E10value_typeEPNSP_ISK_E10value_typeEPSL_NS1_7vsmem_tEENKUlT_SJ_SK_SL_E_clISE_PySF_SF_EESI_SY_SJ_SK_SL_EUlSY_E0_NS1_11comp_targetILNS1_3genE10ELNS1_11target_archE1201ELNS1_3gpuE5ELNS1_3repE0EEENS1_38merge_mergepath_config_static_selectorELNS0_4arch9wavefront6targetE0EEEvSK_,@function
_ZN7rocprim17ROCPRIM_400000_NS6detail17trampoline_kernelINS0_14default_configENS1_38merge_sort_block_merge_config_selectorIyNS0_10empty_typeEEEZZNS1_27merge_sort_block_merge_implIS3_N6thrust23THRUST_200600_302600_NS6detail15normal_iteratorINS9_10device_ptrIyEEEEPS5_m9comp_mod3IyEEE10hipError_tT0_T1_T2_jT3_P12ihipStream_tbPNSt15iterator_traitsISJ_E10value_typeEPNSP_ISK_E10value_typeEPSL_NS1_7vsmem_tEENKUlT_SJ_SK_SL_E_clISE_PySF_SF_EESI_SY_SJ_SK_SL_EUlSY_E0_NS1_11comp_targetILNS1_3genE10ELNS1_11target_archE1201ELNS1_3gpuE5ELNS1_3repE0EEENS1_38merge_mergepath_config_static_selectorELNS0_4arch9wavefront6targetE0EEEvSK_: ; @_ZN7rocprim17ROCPRIM_400000_NS6detail17trampoline_kernelINS0_14default_configENS1_38merge_sort_block_merge_config_selectorIyNS0_10empty_typeEEEZZNS1_27merge_sort_block_merge_implIS3_N6thrust23THRUST_200600_302600_NS6detail15normal_iteratorINS9_10device_ptrIyEEEEPS5_m9comp_mod3IyEEE10hipError_tT0_T1_T2_jT3_P12ihipStream_tbPNSt15iterator_traitsISJ_E10value_typeEPNSP_ISK_E10value_typeEPSL_NS1_7vsmem_tEENKUlT_SJ_SK_SL_E_clISE_PySF_SF_EESI_SY_SJ_SK_SL_EUlSY_E0_NS1_11comp_targetILNS1_3genE10ELNS1_11target_archE1201ELNS1_3gpuE5ELNS1_3repE0EEENS1_38merge_mergepath_config_static_selectorELNS0_4arch9wavefront6targetE0EEEvSK_
; %bb.0:
	.section	.rodata,"a",@progbits
	.p2align	6, 0x0
	.amdhsa_kernel _ZN7rocprim17ROCPRIM_400000_NS6detail17trampoline_kernelINS0_14default_configENS1_38merge_sort_block_merge_config_selectorIyNS0_10empty_typeEEEZZNS1_27merge_sort_block_merge_implIS3_N6thrust23THRUST_200600_302600_NS6detail15normal_iteratorINS9_10device_ptrIyEEEEPS5_m9comp_mod3IyEEE10hipError_tT0_T1_T2_jT3_P12ihipStream_tbPNSt15iterator_traitsISJ_E10value_typeEPNSP_ISK_E10value_typeEPSL_NS1_7vsmem_tEENKUlT_SJ_SK_SL_E_clISE_PySF_SF_EESI_SY_SJ_SK_SL_EUlSY_E0_NS1_11comp_targetILNS1_3genE10ELNS1_11target_archE1201ELNS1_3gpuE5ELNS1_3repE0EEENS1_38merge_mergepath_config_static_selectorELNS0_4arch9wavefront6targetE0EEEvSK_
		.amdhsa_group_segment_fixed_size 0
		.amdhsa_private_segment_fixed_size 0
		.amdhsa_kernarg_size 80
		.amdhsa_user_sgpr_count 6
		.amdhsa_user_sgpr_private_segment_buffer 1
		.amdhsa_user_sgpr_dispatch_ptr 0
		.amdhsa_user_sgpr_queue_ptr 0
		.amdhsa_user_sgpr_kernarg_segment_ptr 1
		.amdhsa_user_sgpr_dispatch_id 0
		.amdhsa_user_sgpr_flat_scratch_init 0
		.amdhsa_user_sgpr_private_segment_size 0
		.amdhsa_wavefront_size32 1
		.amdhsa_uses_dynamic_stack 0
		.amdhsa_system_sgpr_private_segment_wavefront_offset 0
		.amdhsa_system_sgpr_workgroup_id_x 1
		.amdhsa_system_sgpr_workgroup_id_y 0
		.amdhsa_system_sgpr_workgroup_id_z 0
		.amdhsa_system_sgpr_workgroup_info 0
		.amdhsa_system_vgpr_workitem_id 0
		.amdhsa_next_free_vgpr 1
		.amdhsa_next_free_sgpr 1
		.amdhsa_reserve_vcc 0
		.amdhsa_reserve_flat_scratch 0
		.amdhsa_float_round_mode_32 0
		.amdhsa_float_round_mode_16_64 0
		.amdhsa_float_denorm_mode_32 3
		.amdhsa_float_denorm_mode_16_64 3
		.amdhsa_dx10_clamp 1
		.amdhsa_ieee_mode 1
		.amdhsa_fp16_overflow 0
		.amdhsa_workgroup_processor_mode 1
		.amdhsa_memory_ordered 1
		.amdhsa_forward_progress 1
		.amdhsa_shared_vgpr_count 0
		.amdhsa_exception_fp_ieee_invalid_op 0
		.amdhsa_exception_fp_denorm_src 0
		.amdhsa_exception_fp_ieee_div_zero 0
		.amdhsa_exception_fp_ieee_overflow 0
		.amdhsa_exception_fp_ieee_underflow 0
		.amdhsa_exception_fp_ieee_inexact 0
		.amdhsa_exception_int_div_zero 0
	.end_amdhsa_kernel
	.section	.text._ZN7rocprim17ROCPRIM_400000_NS6detail17trampoline_kernelINS0_14default_configENS1_38merge_sort_block_merge_config_selectorIyNS0_10empty_typeEEEZZNS1_27merge_sort_block_merge_implIS3_N6thrust23THRUST_200600_302600_NS6detail15normal_iteratorINS9_10device_ptrIyEEEEPS5_m9comp_mod3IyEEE10hipError_tT0_T1_T2_jT3_P12ihipStream_tbPNSt15iterator_traitsISJ_E10value_typeEPNSP_ISK_E10value_typeEPSL_NS1_7vsmem_tEENKUlT_SJ_SK_SL_E_clISE_PySF_SF_EESI_SY_SJ_SK_SL_EUlSY_E0_NS1_11comp_targetILNS1_3genE10ELNS1_11target_archE1201ELNS1_3gpuE5ELNS1_3repE0EEENS1_38merge_mergepath_config_static_selectorELNS0_4arch9wavefront6targetE0EEEvSK_,"axG",@progbits,_ZN7rocprim17ROCPRIM_400000_NS6detail17trampoline_kernelINS0_14default_configENS1_38merge_sort_block_merge_config_selectorIyNS0_10empty_typeEEEZZNS1_27merge_sort_block_merge_implIS3_N6thrust23THRUST_200600_302600_NS6detail15normal_iteratorINS9_10device_ptrIyEEEEPS5_m9comp_mod3IyEEE10hipError_tT0_T1_T2_jT3_P12ihipStream_tbPNSt15iterator_traitsISJ_E10value_typeEPNSP_ISK_E10value_typeEPSL_NS1_7vsmem_tEENKUlT_SJ_SK_SL_E_clISE_PySF_SF_EESI_SY_SJ_SK_SL_EUlSY_E0_NS1_11comp_targetILNS1_3genE10ELNS1_11target_archE1201ELNS1_3gpuE5ELNS1_3repE0EEENS1_38merge_mergepath_config_static_selectorELNS0_4arch9wavefront6targetE0EEEvSK_,comdat
.Lfunc_end792:
	.size	_ZN7rocprim17ROCPRIM_400000_NS6detail17trampoline_kernelINS0_14default_configENS1_38merge_sort_block_merge_config_selectorIyNS0_10empty_typeEEEZZNS1_27merge_sort_block_merge_implIS3_N6thrust23THRUST_200600_302600_NS6detail15normal_iteratorINS9_10device_ptrIyEEEEPS5_m9comp_mod3IyEEE10hipError_tT0_T1_T2_jT3_P12ihipStream_tbPNSt15iterator_traitsISJ_E10value_typeEPNSP_ISK_E10value_typeEPSL_NS1_7vsmem_tEENKUlT_SJ_SK_SL_E_clISE_PySF_SF_EESI_SY_SJ_SK_SL_EUlSY_E0_NS1_11comp_targetILNS1_3genE10ELNS1_11target_archE1201ELNS1_3gpuE5ELNS1_3repE0EEENS1_38merge_mergepath_config_static_selectorELNS0_4arch9wavefront6targetE0EEEvSK_, .Lfunc_end792-_ZN7rocprim17ROCPRIM_400000_NS6detail17trampoline_kernelINS0_14default_configENS1_38merge_sort_block_merge_config_selectorIyNS0_10empty_typeEEEZZNS1_27merge_sort_block_merge_implIS3_N6thrust23THRUST_200600_302600_NS6detail15normal_iteratorINS9_10device_ptrIyEEEEPS5_m9comp_mod3IyEEE10hipError_tT0_T1_T2_jT3_P12ihipStream_tbPNSt15iterator_traitsISJ_E10value_typeEPNSP_ISK_E10value_typeEPSL_NS1_7vsmem_tEENKUlT_SJ_SK_SL_E_clISE_PySF_SF_EESI_SY_SJ_SK_SL_EUlSY_E0_NS1_11comp_targetILNS1_3genE10ELNS1_11target_archE1201ELNS1_3gpuE5ELNS1_3repE0EEENS1_38merge_mergepath_config_static_selectorELNS0_4arch9wavefront6targetE0EEEvSK_
                                        ; -- End function
	.set _ZN7rocprim17ROCPRIM_400000_NS6detail17trampoline_kernelINS0_14default_configENS1_38merge_sort_block_merge_config_selectorIyNS0_10empty_typeEEEZZNS1_27merge_sort_block_merge_implIS3_N6thrust23THRUST_200600_302600_NS6detail15normal_iteratorINS9_10device_ptrIyEEEEPS5_m9comp_mod3IyEEE10hipError_tT0_T1_T2_jT3_P12ihipStream_tbPNSt15iterator_traitsISJ_E10value_typeEPNSP_ISK_E10value_typeEPSL_NS1_7vsmem_tEENKUlT_SJ_SK_SL_E_clISE_PySF_SF_EESI_SY_SJ_SK_SL_EUlSY_E0_NS1_11comp_targetILNS1_3genE10ELNS1_11target_archE1201ELNS1_3gpuE5ELNS1_3repE0EEENS1_38merge_mergepath_config_static_selectorELNS0_4arch9wavefront6targetE0EEEvSK_.num_vgpr, 0
	.set _ZN7rocprim17ROCPRIM_400000_NS6detail17trampoline_kernelINS0_14default_configENS1_38merge_sort_block_merge_config_selectorIyNS0_10empty_typeEEEZZNS1_27merge_sort_block_merge_implIS3_N6thrust23THRUST_200600_302600_NS6detail15normal_iteratorINS9_10device_ptrIyEEEEPS5_m9comp_mod3IyEEE10hipError_tT0_T1_T2_jT3_P12ihipStream_tbPNSt15iterator_traitsISJ_E10value_typeEPNSP_ISK_E10value_typeEPSL_NS1_7vsmem_tEENKUlT_SJ_SK_SL_E_clISE_PySF_SF_EESI_SY_SJ_SK_SL_EUlSY_E0_NS1_11comp_targetILNS1_3genE10ELNS1_11target_archE1201ELNS1_3gpuE5ELNS1_3repE0EEENS1_38merge_mergepath_config_static_selectorELNS0_4arch9wavefront6targetE0EEEvSK_.num_agpr, 0
	.set _ZN7rocprim17ROCPRIM_400000_NS6detail17trampoline_kernelINS0_14default_configENS1_38merge_sort_block_merge_config_selectorIyNS0_10empty_typeEEEZZNS1_27merge_sort_block_merge_implIS3_N6thrust23THRUST_200600_302600_NS6detail15normal_iteratorINS9_10device_ptrIyEEEEPS5_m9comp_mod3IyEEE10hipError_tT0_T1_T2_jT3_P12ihipStream_tbPNSt15iterator_traitsISJ_E10value_typeEPNSP_ISK_E10value_typeEPSL_NS1_7vsmem_tEENKUlT_SJ_SK_SL_E_clISE_PySF_SF_EESI_SY_SJ_SK_SL_EUlSY_E0_NS1_11comp_targetILNS1_3genE10ELNS1_11target_archE1201ELNS1_3gpuE5ELNS1_3repE0EEENS1_38merge_mergepath_config_static_selectorELNS0_4arch9wavefront6targetE0EEEvSK_.numbered_sgpr, 0
	.set _ZN7rocprim17ROCPRIM_400000_NS6detail17trampoline_kernelINS0_14default_configENS1_38merge_sort_block_merge_config_selectorIyNS0_10empty_typeEEEZZNS1_27merge_sort_block_merge_implIS3_N6thrust23THRUST_200600_302600_NS6detail15normal_iteratorINS9_10device_ptrIyEEEEPS5_m9comp_mod3IyEEE10hipError_tT0_T1_T2_jT3_P12ihipStream_tbPNSt15iterator_traitsISJ_E10value_typeEPNSP_ISK_E10value_typeEPSL_NS1_7vsmem_tEENKUlT_SJ_SK_SL_E_clISE_PySF_SF_EESI_SY_SJ_SK_SL_EUlSY_E0_NS1_11comp_targetILNS1_3genE10ELNS1_11target_archE1201ELNS1_3gpuE5ELNS1_3repE0EEENS1_38merge_mergepath_config_static_selectorELNS0_4arch9wavefront6targetE0EEEvSK_.num_named_barrier, 0
	.set _ZN7rocprim17ROCPRIM_400000_NS6detail17trampoline_kernelINS0_14default_configENS1_38merge_sort_block_merge_config_selectorIyNS0_10empty_typeEEEZZNS1_27merge_sort_block_merge_implIS3_N6thrust23THRUST_200600_302600_NS6detail15normal_iteratorINS9_10device_ptrIyEEEEPS5_m9comp_mod3IyEEE10hipError_tT0_T1_T2_jT3_P12ihipStream_tbPNSt15iterator_traitsISJ_E10value_typeEPNSP_ISK_E10value_typeEPSL_NS1_7vsmem_tEENKUlT_SJ_SK_SL_E_clISE_PySF_SF_EESI_SY_SJ_SK_SL_EUlSY_E0_NS1_11comp_targetILNS1_3genE10ELNS1_11target_archE1201ELNS1_3gpuE5ELNS1_3repE0EEENS1_38merge_mergepath_config_static_selectorELNS0_4arch9wavefront6targetE0EEEvSK_.private_seg_size, 0
	.set _ZN7rocprim17ROCPRIM_400000_NS6detail17trampoline_kernelINS0_14default_configENS1_38merge_sort_block_merge_config_selectorIyNS0_10empty_typeEEEZZNS1_27merge_sort_block_merge_implIS3_N6thrust23THRUST_200600_302600_NS6detail15normal_iteratorINS9_10device_ptrIyEEEEPS5_m9comp_mod3IyEEE10hipError_tT0_T1_T2_jT3_P12ihipStream_tbPNSt15iterator_traitsISJ_E10value_typeEPNSP_ISK_E10value_typeEPSL_NS1_7vsmem_tEENKUlT_SJ_SK_SL_E_clISE_PySF_SF_EESI_SY_SJ_SK_SL_EUlSY_E0_NS1_11comp_targetILNS1_3genE10ELNS1_11target_archE1201ELNS1_3gpuE5ELNS1_3repE0EEENS1_38merge_mergepath_config_static_selectorELNS0_4arch9wavefront6targetE0EEEvSK_.uses_vcc, 0
	.set _ZN7rocprim17ROCPRIM_400000_NS6detail17trampoline_kernelINS0_14default_configENS1_38merge_sort_block_merge_config_selectorIyNS0_10empty_typeEEEZZNS1_27merge_sort_block_merge_implIS3_N6thrust23THRUST_200600_302600_NS6detail15normal_iteratorINS9_10device_ptrIyEEEEPS5_m9comp_mod3IyEEE10hipError_tT0_T1_T2_jT3_P12ihipStream_tbPNSt15iterator_traitsISJ_E10value_typeEPNSP_ISK_E10value_typeEPSL_NS1_7vsmem_tEENKUlT_SJ_SK_SL_E_clISE_PySF_SF_EESI_SY_SJ_SK_SL_EUlSY_E0_NS1_11comp_targetILNS1_3genE10ELNS1_11target_archE1201ELNS1_3gpuE5ELNS1_3repE0EEENS1_38merge_mergepath_config_static_selectorELNS0_4arch9wavefront6targetE0EEEvSK_.uses_flat_scratch, 0
	.set _ZN7rocprim17ROCPRIM_400000_NS6detail17trampoline_kernelINS0_14default_configENS1_38merge_sort_block_merge_config_selectorIyNS0_10empty_typeEEEZZNS1_27merge_sort_block_merge_implIS3_N6thrust23THRUST_200600_302600_NS6detail15normal_iteratorINS9_10device_ptrIyEEEEPS5_m9comp_mod3IyEEE10hipError_tT0_T1_T2_jT3_P12ihipStream_tbPNSt15iterator_traitsISJ_E10value_typeEPNSP_ISK_E10value_typeEPSL_NS1_7vsmem_tEENKUlT_SJ_SK_SL_E_clISE_PySF_SF_EESI_SY_SJ_SK_SL_EUlSY_E0_NS1_11comp_targetILNS1_3genE10ELNS1_11target_archE1201ELNS1_3gpuE5ELNS1_3repE0EEENS1_38merge_mergepath_config_static_selectorELNS0_4arch9wavefront6targetE0EEEvSK_.has_dyn_sized_stack, 0
	.set _ZN7rocprim17ROCPRIM_400000_NS6detail17trampoline_kernelINS0_14default_configENS1_38merge_sort_block_merge_config_selectorIyNS0_10empty_typeEEEZZNS1_27merge_sort_block_merge_implIS3_N6thrust23THRUST_200600_302600_NS6detail15normal_iteratorINS9_10device_ptrIyEEEEPS5_m9comp_mod3IyEEE10hipError_tT0_T1_T2_jT3_P12ihipStream_tbPNSt15iterator_traitsISJ_E10value_typeEPNSP_ISK_E10value_typeEPSL_NS1_7vsmem_tEENKUlT_SJ_SK_SL_E_clISE_PySF_SF_EESI_SY_SJ_SK_SL_EUlSY_E0_NS1_11comp_targetILNS1_3genE10ELNS1_11target_archE1201ELNS1_3gpuE5ELNS1_3repE0EEENS1_38merge_mergepath_config_static_selectorELNS0_4arch9wavefront6targetE0EEEvSK_.has_recursion, 0
	.set _ZN7rocprim17ROCPRIM_400000_NS6detail17trampoline_kernelINS0_14default_configENS1_38merge_sort_block_merge_config_selectorIyNS0_10empty_typeEEEZZNS1_27merge_sort_block_merge_implIS3_N6thrust23THRUST_200600_302600_NS6detail15normal_iteratorINS9_10device_ptrIyEEEEPS5_m9comp_mod3IyEEE10hipError_tT0_T1_T2_jT3_P12ihipStream_tbPNSt15iterator_traitsISJ_E10value_typeEPNSP_ISK_E10value_typeEPSL_NS1_7vsmem_tEENKUlT_SJ_SK_SL_E_clISE_PySF_SF_EESI_SY_SJ_SK_SL_EUlSY_E0_NS1_11comp_targetILNS1_3genE10ELNS1_11target_archE1201ELNS1_3gpuE5ELNS1_3repE0EEENS1_38merge_mergepath_config_static_selectorELNS0_4arch9wavefront6targetE0EEEvSK_.has_indirect_call, 0
	.section	.AMDGPU.csdata,"",@progbits
; Kernel info:
; codeLenInByte = 0
; TotalNumSgprs: 0
; NumVgprs: 0
; ScratchSize: 0
; MemoryBound: 0
; FloatMode: 240
; IeeeMode: 1
; LDSByteSize: 0 bytes/workgroup (compile time only)
; SGPRBlocks: 0
; VGPRBlocks: 0
; NumSGPRsForWavesPerEU: 1
; NumVGPRsForWavesPerEU: 1
; Occupancy: 16
; WaveLimiterHint : 0
; COMPUTE_PGM_RSRC2:SCRATCH_EN: 0
; COMPUTE_PGM_RSRC2:USER_SGPR: 6
; COMPUTE_PGM_RSRC2:TRAP_HANDLER: 0
; COMPUTE_PGM_RSRC2:TGID_X_EN: 1
; COMPUTE_PGM_RSRC2:TGID_Y_EN: 0
; COMPUTE_PGM_RSRC2:TGID_Z_EN: 0
; COMPUTE_PGM_RSRC2:TIDIG_COMP_CNT: 0
	.section	.text._ZN7rocprim17ROCPRIM_400000_NS6detail17trampoline_kernelINS0_14default_configENS1_38merge_sort_block_merge_config_selectorIyNS0_10empty_typeEEEZZNS1_27merge_sort_block_merge_implIS3_N6thrust23THRUST_200600_302600_NS6detail15normal_iteratorINS9_10device_ptrIyEEEEPS5_m9comp_mod3IyEEE10hipError_tT0_T1_T2_jT3_P12ihipStream_tbPNSt15iterator_traitsISJ_E10value_typeEPNSP_ISK_E10value_typeEPSL_NS1_7vsmem_tEENKUlT_SJ_SK_SL_E_clISE_PySF_SF_EESI_SY_SJ_SK_SL_EUlSY_E0_NS1_11comp_targetILNS1_3genE5ELNS1_11target_archE942ELNS1_3gpuE9ELNS1_3repE0EEENS1_38merge_mergepath_config_static_selectorELNS0_4arch9wavefront6targetE0EEEvSK_,"axG",@progbits,_ZN7rocprim17ROCPRIM_400000_NS6detail17trampoline_kernelINS0_14default_configENS1_38merge_sort_block_merge_config_selectorIyNS0_10empty_typeEEEZZNS1_27merge_sort_block_merge_implIS3_N6thrust23THRUST_200600_302600_NS6detail15normal_iteratorINS9_10device_ptrIyEEEEPS5_m9comp_mod3IyEEE10hipError_tT0_T1_T2_jT3_P12ihipStream_tbPNSt15iterator_traitsISJ_E10value_typeEPNSP_ISK_E10value_typeEPSL_NS1_7vsmem_tEENKUlT_SJ_SK_SL_E_clISE_PySF_SF_EESI_SY_SJ_SK_SL_EUlSY_E0_NS1_11comp_targetILNS1_3genE5ELNS1_11target_archE942ELNS1_3gpuE9ELNS1_3repE0EEENS1_38merge_mergepath_config_static_selectorELNS0_4arch9wavefront6targetE0EEEvSK_,comdat
	.protected	_ZN7rocprim17ROCPRIM_400000_NS6detail17trampoline_kernelINS0_14default_configENS1_38merge_sort_block_merge_config_selectorIyNS0_10empty_typeEEEZZNS1_27merge_sort_block_merge_implIS3_N6thrust23THRUST_200600_302600_NS6detail15normal_iteratorINS9_10device_ptrIyEEEEPS5_m9comp_mod3IyEEE10hipError_tT0_T1_T2_jT3_P12ihipStream_tbPNSt15iterator_traitsISJ_E10value_typeEPNSP_ISK_E10value_typeEPSL_NS1_7vsmem_tEENKUlT_SJ_SK_SL_E_clISE_PySF_SF_EESI_SY_SJ_SK_SL_EUlSY_E0_NS1_11comp_targetILNS1_3genE5ELNS1_11target_archE942ELNS1_3gpuE9ELNS1_3repE0EEENS1_38merge_mergepath_config_static_selectorELNS0_4arch9wavefront6targetE0EEEvSK_ ; -- Begin function _ZN7rocprim17ROCPRIM_400000_NS6detail17trampoline_kernelINS0_14default_configENS1_38merge_sort_block_merge_config_selectorIyNS0_10empty_typeEEEZZNS1_27merge_sort_block_merge_implIS3_N6thrust23THRUST_200600_302600_NS6detail15normal_iteratorINS9_10device_ptrIyEEEEPS5_m9comp_mod3IyEEE10hipError_tT0_T1_T2_jT3_P12ihipStream_tbPNSt15iterator_traitsISJ_E10value_typeEPNSP_ISK_E10value_typeEPSL_NS1_7vsmem_tEENKUlT_SJ_SK_SL_E_clISE_PySF_SF_EESI_SY_SJ_SK_SL_EUlSY_E0_NS1_11comp_targetILNS1_3genE5ELNS1_11target_archE942ELNS1_3gpuE9ELNS1_3repE0EEENS1_38merge_mergepath_config_static_selectorELNS0_4arch9wavefront6targetE0EEEvSK_
	.globl	_ZN7rocprim17ROCPRIM_400000_NS6detail17trampoline_kernelINS0_14default_configENS1_38merge_sort_block_merge_config_selectorIyNS0_10empty_typeEEEZZNS1_27merge_sort_block_merge_implIS3_N6thrust23THRUST_200600_302600_NS6detail15normal_iteratorINS9_10device_ptrIyEEEEPS5_m9comp_mod3IyEEE10hipError_tT0_T1_T2_jT3_P12ihipStream_tbPNSt15iterator_traitsISJ_E10value_typeEPNSP_ISK_E10value_typeEPSL_NS1_7vsmem_tEENKUlT_SJ_SK_SL_E_clISE_PySF_SF_EESI_SY_SJ_SK_SL_EUlSY_E0_NS1_11comp_targetILNS1_3genE5ELNS1_11target_archE942ELNS1_3gpuE9ELNS1_3repE0EEENS1_38merge_mergepath_config_static_selectorELNS0_4arch9wavefront6targetE0EEEvSK_
	.p2align	8
	.type	_ZN7rocprim17ROCPRIM_400000_NS6detail17trampoline_kernelINS0_14default_configENS1_38merge_sort_block_merge_config_selectorIyNS0_10empty_typeEEEZZNS1_27merge_sort_block_merge_implIS3_N6thrust23THRUST_200600_302600_NS6detail15normal_iteratorINS9_10device_ptrIyEEEEPS5_m9comp_mod3IyEEE10hipError_tT0_T1_T2_jT3_P12ihipStream_tbPNSt15iterator_traitsISJ_E10value_typeEPNSP_ISK_E10value_typeEPSL_NS1_7vsmem_tEENKUlT_SJ_SK_SL_E_clISE_PySF_SF_EESI_SY_SJ_SK_SL_EUlSY_E0_NS1_11comp_targetILNS1_3genE5ELNS1_11target_archE942ELNS1_3gpuE9ELNS1_3repE0EEENS1_38merge_mergepath_config_static_selectorELNS0_4arch9wavefront6targetE0EEEvSK_,@function
_ZN7rocprim17ROCPRIM_400000_NS6detail17trampoline_kernelINS0_14default_configENS1_38merge_sort_block_merge_config_selectorIyNS0_10empty_typeEEEZZNS1_27merge_sort_block_merge_implIS3_N6thrust23THRUST_200600_302600_NS6detail15normal_iteratorINS9_10device_ptrIyEEEEPS5_m9comp_mod3IyEEE10hipError_tT0_T1_T2_jT3_P12ihipStream_tbPNSt15iterator_traitsISJ_E10value_typeEPNSP_ISK_E10value_typeEPSL_NS1_7vsmem_tEENKUlT_SJ_SK_SL_E_clISE_PySF_SF_EESI_SY_SJ_SK_SL_EUlSY_E0_NS1_11comp_targetILNS1_3genE5ELNS1_11target_archE942ELNS1_3gpuE9ELNS1_3repE0EEENS1_38merge_mergepath_config_static_selectorELNS0_4arch9wavefront6targetE0EEEvSK_: ; @_ZN7rocprim17ROCPRIM_400000_NS6detail17trampoline_kernelINS0_14default_configENS1_38merge_sort_block_merge_config_selectorIyNS0_10empty_typeEEEZZNS1_27merge_sort_block_merge_implIS3_N6thrust23THRUST_200600_302600_NS6detail15normal_iteratorINS9_10device_ptrIyEEEEPS5_m9comp_mod3IyEEE10hipError_tT0_T1_T2_jT3_P12ihipStream_tbPNSt15iterator_traitsISJ_E10value_typeEPNSP_ISK_E10value_typeEPSL_NS1_7vsmem_tEENKUlT_SJ_SK_SL_E_clISE_PySF_SF_EESI_SY_SJ_SK_SL_EUlSY_E0_NS1_11comp_targetILNS1_3genE5ELNS1_11target_archE942ELNS1_3gpuE9ELNS1_3repE0EEENS1_38merge_mergepath_config_static_selectorELNS0_4arch9wavefront6targetE0EEEvSK_
; %bb.0:
	.section	.rodata,"a",@progbits
	.p2align	6, 0x0
	.amdhsa_kernel _ZN7rocprim17ROCPRIM_400000_NS6detail17trampoline_kernelINS0_14default_configENS1_38merge_sort_block_merge_config_selectorIyNS0_10empty_typeEEEZZNS1_27merge_sort_block_merge_implIS3_N6thrust23THRUST_200600_302600_NS6detail15normal_iteratorINS9_10device_ptrIyEEEEPS5_m9comp_mod3IyEEE10hipError_tT0_T1_T2_jT3_P12ihipStream_tbPNSt15iterator_traitsISJ_E10value_typeEPNSP_ISK_E10value_typeEPSL_NS1_7vsmem_tEENKUlT_SJ_SK_SL_E_clISE_PySF_SF_EESI_SY_SJ_SK_SL_EUlSY_E0_NS1_11comp_targetILNS1_3genE5ELNS1_11target_archE942ELNS1_3gpuE9ELNS1_3repE0EEENS1_38merge_mergepath_config_static_selectorELNS0_4arch9wavefront6targetE0EEEvSK_
		.amdhsa_group_segment_fixed_size 0
		.amdhsa_private_segment_fixed_size 0
		.amdhsa_kernarg_size 80
		.amdhsa_user_sgpr_count 6
		.amdhsa_user_sgpr_private_segment_buffer 1
		.amdhsa_user_sgpr_dispatch_ptr 0
		.amdhsa_user_sgpr_queue_ptr 0
		.amdhsa_user_sgpr_kernarg_segment_ptr 1
		.amdhsa_user_sgpr_dispatch_id 0
		.amdhsa_user_sgpr_flat_scratch_init 0
		.amdhsa_user_sgpr_private_segment_size 0
		.amdhsa_wavefront_size32 1
		.amdhsa_uses_dynamic_stack 0
		.amdhsa_system_sgpr_private_segment_wavefront_offset 0
		.amdhsa_system_sgpr_workgroup_id_x 1
		.amdhsa_system_sgpr_workgroup_id_y 0
		.amdhsa_system_sgpr_workgroup_id_z 0
		.amdhsa_system_sgpr_workgroup_info 0
		.amdhsa_system_vgpr_workitem_id 0
		.amdhsa_next_free_vgpr 1
		.amdhsa_next_free_sgpr 1
		.amdhsa_reserve_vcc 0
		.amdhsa_reserve_flat_scratch 0
		.amdhsa_float_round_mode_32 0
		.amdhsa_float_round_mode_16_64 0
		.amdhsa_float_denorm_mode_32 3
		.amdhsa_float_denorm_mode_16_64 3
		.amdhsa_dx10_clamp 1
		.amdhsa_ieee_mode 1
		.amdhsa_fp16_overflow 0
		.amdhsa_workgroup_processor_mode 1
		.amdhsa_memory_ordered 1
		.amdhsa_forward_progress 1
		.amdhsa_shared_vgpr_count 0
		.amdhsa_exception_fp_ieee_invalid_op 0
		.amdhsa_exception_fp_denorm_src 0
		.amdhsa_exception_fp_ieee_div_zero 0
		.amdhsa_exception_fp_ieee_overflow 0
		.amdhsa_exception_fp_ieee_underflow 0
		.amdhsa_exception_fp_ieee_inexact 0
		.amdhsa_exception_int_div_zero 0
	.end_amdhsa_kernel
	.section	.text._ZN7rocprim17ROCPRIM_400000_NS6detail17trampoline_kernelINS0_14default_configENS1_38merge_sort_block_merge_config_selectorIyNS0_10empty_typeEEEZZNS1_27merge_sort_block_merge_implIS3_N6thrust23THRUST_200600_302600_NS6detail15normal_iteratorINS9_10device_ptrIyEEEEPS5_m9comp_mod3IyEEE10hipError_tT0_T1_T2_jT3_P12ihipStream_tbPNSt15iterator_traitsISJ_E10value_typeEPNSP_ISK_E10value_typeEPSL_NS1_7vsmem_tEENKUlT_SJ_SK_SL_E_clISE_PySF_SF_EESI_SY_SJ_SK_SL_EUlSY_E0_NS1_11comp_targetILNS1_3genE5ELNS1_11target_archE942ELNS1_3gpuE9ELNS1_3repE0EEENS1_38merge_mergepath_config_static_selectorELNS0_4arch9wavefront6targetE0EEEvSK_,"axG",@progbits,_ZN7rocprim17ROCPRIM_400000_NS6detail17trampoline_kernelINS0_14default_configENS1_38merge_sort_block_merge_config_selectorIyNS0_10empty_typeEEEZZNS1_27merge_sort_block_merge_implIS3_N6thrust23THRUST_200600_302600_NS6detail15normal_iteratorINS9_10device_ptrIyEEEEPS5_m9comp_mod3IyEEE10hipError_tT0_T1_T2_jT3_P12ihipStream_tbPNSt15iterator_traitsISJ_E10value_typeEPNSP_ISK_E10value_typeEPSL_NS1_7vsmem_tEENKUlT_SJ_SK_SL_E_clISE_PySF_SF_EESI_SY_SJ_SK_SL_EUlSY_E0_NS1_11comp_targetILNS1_3genE5ELNS1_11target_archE942ELNS1_3gpuE9ELNS1_3repE0EEENS1_38merge_mergepath_config_static_selectorELNS0_4arch9wavefront6targetE0EEEvSK_,comdat
.Lfunc_end793:
	.size	_ZN7rocprim17ROCPRIM_400000_NS6detail17trampoline_kernelINS0_14default_configENS1_38merge_sort_block_merge_config_selectorIyNS0_10empty_typeEEEZZNS1_27merge_sort_block_merge_implIS3_N6thrust23THRUST_200600_302600_NS6detail15normal_iteratorINS9_10device_ptrIyEEEEPS5_m9comp_mod3IyEEE10hipError_tT0_T1_T2_jT3_P12ihipStream_tbPNSt15iterator_traitsISJ_E10value_typeEPNSP_ISK_E10value_typeEPSL_NS1_7vsmem_tEENKUlT_SJ_SK_SL_E_clISE_PySF_SF_EESI_SY_SJ_SK_SL_EUlSY_E0_NS1_11comp_targetILNS1_3genE5ELNS1_11target_archE942ELNS1_3gpuE9ELNS1_3repE0EEENS1_38merge_mergepath_config_static_selectorELNS0_4arch9wavefront6targetE0EEEvSK_, .Lfunc_end793-_ZN7rocprim17ROCPRIM_400000_NS6detail17trampoline_kernelINS0_14default_configENS1_38merge_sort_block_merge_config_selectorIyNS0_10empty_typeEEEZZNS1_27merge_sort_block_merge_implIS3_N6thrust23THRUST_200600_302600_NS6detail15normal_iteratorINS9_10device_ptrIyEEEEPS5_m9comp_mod3IyEEE10hipError_tT0_T1_T2_jT3_P12ihipStream_tbPNSt15iterator_traitsISJ_E10value_typeEPNSP_ISK_E10value_typeEPSL_NS1_7vsmem_tEENKUlT_SJ_SK_SL_E_clISE_PySF_SF_EESI_SY_SJ_SK_SL_EUlSY_E0_NS1_11comp_targetILNS1_3genE5ELNS1_11target_archE942ELNS1_3gpuE9ELNS1_3repE0EEENS1_38merge_mergepath_config_static_selectorELNS0_4arch9wavefront6targetE0EEEvSK_
                                        ; -- End function
	.set _ZN7rocprim17ROCPRIM_400000_NS6detail17trampoline_kernelINS0_14default_configENS1_38merge_sort_block_merge_config_selectorIyNS0_10empty_typeEEEZZNS1_27merge_sort_block_merge_implIS3_N6thrust23THRUST_200600_302600_NS6detail15normal_iteratorINS9_10device_ptrIyEEEEPS5_m9comp_mod3IyEEE10hipError_tT0_T1_T2_jT3_P12ihipStream_tbPNSt15iterator_traitsISJ_E10value_typeEPNSP_ISK_E10value_typeEPSL_NS1_7vsmem_tEENKUlT_SJ_SK_SL_E_clISE_PySF_SF_EESI_SY_SJ_SK_SL_EUlSY_E0_NS1_11comp_targetILNS1_3genE5ELNS1_11target_archE942ELNS1_3gpuE9ELNS1_3repE0EEENS1_38merge_mergepath_config_static_selectorELNS0_4arch9wavefront6targetE0EEEvSK_.num_vgpr, 0
	.set _ZN7rocprim17ROCPRIM_400000_NS6detail17trampoline_kernelINS0_14default_configENS1_38merge_sort_block_merge_config_selectorIyNS0_10empty_typeEEEZZNS1_27merge_sort_block_merge_implIS3_N6thrust23THRUST_200600_302600_NS6detail15normal_iteratorINS9_10device_ptrIyEEEEPS5_m9comp_mod3IyEEE10hipError_tT0_T1_T2_jT3_P12ihipStream_tbPNSt15iterator_traitsISJ_E10value_typeEPNSP_ISK_E10value_typeEPSL_NS1_7vsmem_tEENKUlT_SJ_SK_SL_E_clISE_PySF_SF_EESI_SY_SJ_SK_SL_EUlSY_E0_NS1_11comp_targetILNS1_3genE5ELNS1_11target_archE942ELNS1_3gpuE9ELNS1_3repE0EEENS1_38merge_mergepath_config_static_selectorELNS0_4arch9wavefront6targetE0EEEvSK_.num_agpr, 0
	.set _ZN7rocprim17ROCPRIM_400000_NS6detail17trampoline_kernelINS0_14default_configENS1_38merge_sort_block_merge_config_selectorIyNS0_10empty_typeEEEZZNS1_27merge_sort_block_merge_implIS3_N6thrust23THRUST_200600_302600_NS6detail15normal_iteratorINS9_10device_ptrIyEEEEPS5_m9comp_mod3IyEEE10hipError_tT0_T1_T2_jT3_P12ihipStream_tbPNSt15iterator_traitsISJ_E10value_typeEPNSP_ISK_E10value_typeEPSL_NS1_7vsmem_tEENKUlT_SJ_SK_SL_E_clISE_PySF_SF_EESI_SY_SJ_SK_SL_EUlSY_E0_NS1_11comp_targetILNS1_3genE5ELNS1_11target_archE942ELNS1_3gpuE9ELNS1_3repE0EEENS1_38merge_mergepath_config_static_selectorELNS0_4arch9wavefront6targetE0EEEvSK_.numbered_sgpr, 0
	.set _ZN7rocprim17ROCPRIM_400000_NS6detail17trampoline_kernelINS0_14default_configENS1_38merge_sort_block_merge_config_selectorIyNS0_10empty_typeEEEZZNS1_27merge_sort_block_merge_implIS3_N6thrust23THRUST_200600_302600_NS6detail15normal_iteratorINS9_10device_ptrIyEEEEPS5_m9comp_mod3IyEEE10hipError_tT0_T1_T2_jT3_P12ihipStream_tbPNSt15iterator_traitsISJ_E10value_typeEPNSP_ISK_E10value_typeEPSL_NS1_7vsmem_tEENKUlT_SJ_SK_SL_E_clISE_PySF_SF_EESI_SY_SJ_SK_SL_EUlSY_E0_NS1_11comp_targetILNS1_3genE5ELNS1_11target_archE942ELNS1_3gpuE9ELNS1_3repE0EEENS1_38merge_mergepath_config_static_selectorELNS0_4arch9wavefront6targetE0EEEvSK_.num_named_barrier, 0
	.set _ZN7rocprim17ROCPRIM_400000_NS6detail17trampoline_kernelINS0_14default_configENS1_38merge_sort_block_merge_config_selectorIyNS0_10empty_typeEEEZZNS1_27merge_sort_block_merge_implIS3_N6thrust23THRUST_200600_302600_NS6detail15normal_iteratorINS9_10device_ptrIyEEEEPS5_m9comp_mod3IyEEE10hipError_tT0_T1_T2_jT3_P12ihipStream_tbPNSt15iterator_traitsISJ_E10value_typeEPNSP_ISK_E10value_typeEPSL_NS1_7vsmem_tEENKUlT_SJ_SK_SL_E_clISE_PySF_SF_EESI_SY_SJ_SK_SL_EUlSY_E0_NS1_11comp_targetILNS1_3genE5ELNS1_11target_archE942ELNS1_3gpuE9ELNS1_3repE0EEENS1_38merge_mergepath_config_static_selectorELNS0_4arch9wavefront6targetE0EEEvSK_.private_seg_size, 0
	.set _ZN7rocprim17ROCPRIM_400000_NS6detail17trampoline_kernelINS0_14default_configENS1_38merge_sort_block_merge_config_selectorIyNS0_10empty_typeEEEZZNS1_27merge_sort_block_merge_implIS3_N6thrust23THRUST_200600_302600_NS6detail15normal_iteratorINS9_10device_ptrIyEEEEPS5_m9comp_mod3IyEEE10hipError_tT0_T1_T2_jT3_P12ihipStream_tbPNSt15iterator_traitsISJ_E10value_typeEPNSP_ISK_E10value_typeEPSL_NS1_7vsmem_tEENKUlT_SJ_SK_SL_E_clISE_PySF_SF_EESI_SY_SJ_SK_SL_EUlSY_E0_NS1_11comp_targetILNS1_3genE5ELNS1_11target_archE942ELNS1_3gpuE9ELNS1_3repE0EEENS1_38merge_mergepath_config_static_selectorELNS0_4arch9wavefront6targetE0EEEvSK_.uses_vcc, 0
	.set _ZN7rocprim17ROCPRIM_400000_NS6detail17trampoline_kernelINS0_14default_configENS1_38merge_sort_block_merge_config_selectorIyNS0_10empty_typeEEEZZNS1_27merge_sort_block_merge_implIS3_N6thrust23THRUST_200600_302600_NS6detail15normal_iteratorINS9_10device_ptrIyEEEEPS5_m9comp_mod3IyEEE10hipError_tT0_T1_T2_jT3_P12ihipStream_tbPNSt15iterator_traitsISJ_E10value_typeEPNSP_ISK_E10value_typeEPSL_NS1_7vsmem_tEENKUlT_SJ_SK_SL_E_clISE_PySF_SF_EESI_SY_SJ_SK_SL_EUlSY_E0_NS1_11comp_targetILNS1_3genE5ELNS1_11target_archE942ELNS1_3gpuE9ELNS1_3repE0EEENS1_38merge_mergepath_config_static_selectorELNS0_4arch9wavefront6targetE0EEEvSK_.uses_flat_scratch, 0
	.set _ZN7rocprim17ROCPRIM_400000_NS6detail17trampoline_kernelINS0_14default_configENS1_38merge_sort_block_merge_config_selectorIyNS0_10empty_typeEEEZZNS1_27merge_sort_block_merge_implIS3_N6thrust23THRUST_200600_302600_NS6detail15normal_iteratorINS9_10device_ptrIyEEEEPS5_m9comp_mod3IyEEE10hipError_tT0_T1_T2_jT3_P12ihipStream_tbPNSt15iterator_traitsISJ_E10value_typeEPNSP_ISK_E10value_typeEPSL_NS1_7vsmem_tEENKUlT_SJ_SK_SL_E_clISE_PySF_SF_EESI_SY_SJ_SK_SL_EUlSY_E0_NS1_11comp_targetILNS1_3genE5ELNS1_11target_archE942ELNS1_3gpuE9ELNS1_3repE0EEENS1_38merge_mergepath_config_static_selectorELNS0_4arch9wavefront6targetE0EEEvSK_.has_dyn_sized_stack, 0
	.set _ZN7rocprim17ROCPRIM_400000_NS6detail17trampoline_kernelINS0_14default_configENS1_38merge_sort_block_merge_config_selectorIyNS0_10empty_typeEEEZZNS1_27merge_sort_block_merge_implIS3_N6thrust23THRUST_200600_302600_NS6detail15normal_iteratorINS9_10device_ptrIyEEEEPS5_m9comp_mod3IyEEE10hipError_tT0_T1_T2_jT3_P12ihipStream_tbPNSt15iterator_traitsISJ_E10value_typeEPNSP_ISK_E10value_typeEPSL_NS1_7vsmem_tEENKUlT_SJ_SK_SL_E_clISE_PySF_SF_EESI_SY_SJ_SK_SL_EUlSY_E0_NS1_11comp_targetILNS1_3genE5ELNS1_11target_archE942ELNS1_3gpuE9ELNS1_3repE0EEENS1_38merge_mergepath_config_static_selectorELNS0_4arch9wavefront6targetE0EEEvSK_.has_recursion, 0
	.set _ZN7rocprim17ROCPRIM_400000_NS6detail17trampoline_kernelINS0_14default_configENS1_38merge_sort_block_merge_config_selectorIyNS0_10empty_typeEEEZZNS1_27merge_sort_block_merge_implIS3_N6thrust23THRUST_200600_302600_NS6detail15normal_iteratorINS9_10device_ptrIyEEEEPS5_m9comp_mod3IyEEE10hipError_tT0_T1_T2_jT3_P12ihipStream_tbPNSt15iterator_traitsISJ_E10value_typeEPNSP_ISK_E10value_typeEPSL_NS1_7vsmem_tEENKUlT_SJ_SK_SL_E_clISE_PySF_SF_EESI_SY_SJ_SK_SL_EUlSY_E0_NS1_11comp_targetILNS1_3genE5ELNS1_11target_archE942ELNS1_3gpuE9ELNS1_3repE0EEENS1_38merge_mergepath_config_static_selectorELNS0_4arch9wavefront6targetE0EEEvSK_.has_indirect_call, 0
	.section	.AMDGPU.csdata,"",@progbits
; Kernel info:
; codeLenInByte = 0
; TotalNumSgprs: 0
; NumVgprs: 0
; ScratchSize: 0
; MemoryBound: 0
; FloatMode: 240
; IeeeMode: 1
; LDSByteSize: 0 bytes/workgroup (compile time only)
; SGPRBlocks: 0
; VGPRBlocks: 0
; NumSGPRsForWavesPerEU: 1
; NumVGPRsForWavesPerEU: 1
; Occupancy: 16
; WaveLimiterHint : 0
; COMPUTE_PGM_RSRC2:SCRATCH_EN: 0
; COMPUTE_PGM_RSRC2:USER_SGPR: 6
; COMPUTE_PGM_RSRC2:TRAP_HANDLER: 0
; COMPUTE_PGM_RSRC2:TGID_X_EN: 1
; COMPUTE_PGM_RSRC2:TGID_Y_EN: 0
; COMPUTE_PGM_RSRC2:TGID_Z_EN: 0
; COMPUTE_PGM_RSRC2:TIDIG_COMP_CNT: 0
	.section	.text._ZN7rocprim17ROCPRIM_400000_NS6detail17trampoline_kernelINS0_14default_configENS1_38merge_sort_block_merge_config_selectorIyNS0_10empty_typeEEEZZNS1_27merge_sort_block_merge_implIS3_N6thrust23THRUST_200600_302600_NS6detail15normal_iteratorINS9_10device_ptrIyEEEEPS5_m9comp_mod3IyEEE10hipError_tT0_T1_T2_jT3_P12ihipStream_tbPNSt15iterator_traitsISJ_E10value_typeEPNSP_ISK_E10value_typeEPSL_NS1_7vsmem_tEENKUlT_SJ_SK_SL_E_clISE_PySF_SF_EESI_SY_SJ_SK_SL_EUlSY_E0_NS1_11comp_targetILNS1_3genE4ELNS1_11target_archE910ELNS1_3gpuE8ELNS1_3repE0EEENS1_38merge_mergepath_config_static_selectorELNS0_4arch9wavefront6targetE0EEEvSK_,"axG",@progbits,_ZN7rocprim17ROCPRIM_400000_NS6detail17trampoline_kernelINS0_14default_configENS1_38merge_sort_block_merge_config_selectorIyNS0_10empty_typeEEEZZNS1_27merge_sort_block_merge_implIS3_N6thrust23THRUST_200600_302600_NS6detail15normal_iteratorINS9_10device_ptrIyEEEEPS5_m9comp_mod3IyEEE10hipError_tT0_T1_T2_jT3_P12ihipStream_tbPNSt15iterator_traitsISJ_E10value_typeEPNSP_ISK_E10value_typeEPSL_NS1_7vsmem_tEENKUlT_SJ_SK_SL_E_clISE_PySF_SF_EESI_SY_SJ_SK_SL_EUlSY_E0_NS1_11comp_targetILNS1_3genE4ELNS1_11target_archE910ELNS1_3gpuE8ELNS1_3repE0EEENS1_38merge_mergepath_config_static_selectorELNS0_4arch9wavefront6targetE0EEEvSK_,comdat
	.protected	_ZN7rocprim17ROCPRIM_400000_NS6detail17trampoline_kernelINS0_14default_configENS1_38merge_sort_block_merge_config_selectorIyNS0_10empty_typeEEEZZNS1_27merge_sort_block_merge_implIS3_N6thrust23THRUST_200600_302600_NS6detail15normal_iteratorINS9_10device_ptrIyEEEEPS5_m9comp_mod3IyEEE10hipError_tT0_T1_T2_jT3_P12ihipStream_tbPNSt15iterator_traitsISJ_E10value_typeEPNSP_ISK_E10value_typeEPSL_NS1_7vsmem_tEENKUlT_SJ_SK_SL_E_clISE_PySF_SF_EESI_SY_SJ_SK_SL_EUlSY_E0_NS1_11comp_targetILNS1_3genE4ELNS1_11target_archE910ELNS1_3gpuE8ELNS1_3repE0EEENS1_38merge_mergepath_config_static_selectorELNS0_4arch9wavefront6targetE0EEEvSK_ ; -- Begin function _ZN7rocprim17ROCPRIM_400000_NS6detail17trampoline_kernelINS0_14default_configENS1_38merge_sort_block_merge_config_selectorIyNS0_10empty_typeEEEZZNS1_27merge_sort_block_merge_implIS3_N6thrust23THRUST_200600_302600_NS6detail15normal_iteratorINS9_10device_ptrIyEEEEPS5_m9comp_mod3IyEEE10hipError_tT0_T1_T2_jT3_P12ihipStream_tbPNSt15iterator_traitsISJ_E10value_typeEPNSP_ISK_E10value_typeEPSL_NS1_7vsmem_tEENKUlT_SJ_SK_SL_E_clISE_PySF_SF_EESI_SY_SJ_SK_SL_EUlSY_E0_NS1_11comp_targetILNS1_3genE4ELNS1_11target_archE910ELNS1_3gpuE8ELNS1_3repE0EEENS1_38merge_mergepath_config_static_selectorELNS0_4arch9wavefront6targetE0EEEvSK_
	.globl	_ZN7rocprim17ROCPRIM_400000_NS6detail17trampoline_kernelINS0_14default_configENS1_38merge_sort_block_merge_config_selectorIyNS0_10empty_typeEEEZZNS1_27merge_sort_block_merge_implIS3_N6thrust23THRUST_200600_302600_NS6detail15normal_iteratorINS9_10device_ptrIyEEEEPS5_m9comp_mod3IyEEE10hipError_tT0_T1_T2_jT3_P12ihipStream_tbPNSt15iterator_traitsISJ_E10value_typeEPNSP_ISK_E10value_typeEPSL_NS1_7vsmem_tEENKUlT_SJ_SK_SL_E_clISE_PySF_SF_EESI_SY_SJ_SK_SL_EUlSY_E0_NS1_11comp_targetILNS1_3genE4ELNS1_11target_archE910ELNS1_3gpuE8ELNS1_3repE0EEENS1_38merge_mergepath_config_static_selectorELNS0_4arch9wavefront6targetE0EEEvSK_
	.p2align	8
	.type	_ZN7rocprim17ROCPRIM_400000_NS6detail17trampoline_kernelINS0_14default_configENS1_38merge_sort_block_merge_config_selectorIyNS0_10empty_typeEEEZZNS1_27merge_sort_block_merge_implIS3_N6thrust23THRUST_200600_302600_NS6detail15normal_iteratorINS9_10device_ptrIyEEEEPS5_m9comp_mod3IyEEE10hipError_tT0_T1_T2_jT3_P12ihipStream_tbPNSt15iterator_traitsISJ_E10value_typeEPNSP_ISK_E10value_typeEPSL_NS1_7vsmem_tEENKUlT_SJ_SK_SL_E_clISE_PySF_SF_EESI_SY_SJ_SK_SL_EUlSY_E0_NS1_11comp_targetILNS1_3genE4ELNS1_11target_archE910ELNS1_3gpuE8ELNS1_3repE0EEENS1_38merge_mergepath_config_static_selectorELNS0_4arch9wavefront6targetE0EEEvSK_,@function
_ZN7rocprim17ROCPRIM_400000_NS6detail17trampoline_kernelINS0_14default_configENS1_38merge_sort_block_merge_config_selectorIyNS0_10empty_typeEEEZZNS1_27merge_sort_block_merge_implIS3_N6thrust23THRUST_200600_302600_NS6detail15normal_iteratorINS9_10device_ptrIyEEEEPS5_m9comp_mod3IyEEE10hipError_tT0_T1_T2_jT3_P12ihipStream_tbPNSt15iterator_traitsISJ_E10value_typeEPNSP_ISK_E10value_typeEPSL_NS1_7vsmem_tEENKUlT_SJ_SK_SL_E_clISE_PySF_SF_EESI_SY_SJ_SK_SL_EUlSY_E0_NS1_11comp_targetILNS1_3genE4ELNS1_11target_archE910ELNS1_3gpuE8ELNS1_3repE0EEENS1_38merge_mergepath_config_static_selectorELNS0_4arch9wavefront6targetE0EEEvSK_: ; @_ZN7rocprim17ROCPRIM_400000_NS6detail17trampoline_kernelINS0_14default_configENS1_38merge_sort_block_merge_config_selectorIyNS0_10empty_typeEEEZZNS1_27merge_sort_block_merge_implIS3_N6thrust23THRUST_200600_302600_NS6detail15normal_iteratorINS9_10device_ptrIyEEEEPS5_m9comp_mod3IyEEE10hipError_tT0_T1_T2_jT3_P12ihipStream_tbPNSt15iterator_traitsISJ_E10value_typeEPNSP_ISK_E10value_typeEPSL_NS1_7vsmem_tEENKUlT_SJ_SK_SL_E_clISE_PySF_SF_EESI_SY_SJ_SK_SL_EUlSY_E0_NS1_11comp_targetILNS1_3genE4ELNS1_11target_archE910ELNS1_3gpuE8ELNS1_3repE0EEENS1_38merge_mergepath_config_static_selectorELNS0_4arch9wavefront6targetE0EEEvSK_
; %bb.0:
	.section	.rodata,"a",@progbits
	.p2align	6, 0x0
	.amdhsa_kernel _ZN7rocprim17ROCPRIM_400000_NS6detail17trampoline_kernelINS0_14default_configENS1_38merge_sort_block_merge_config_selectorIyNS0_10empty_typeEEEZZNS1_27merge_sort_block_merge_implIS3_N6thrust23THRUST_200600_302600_NS6detail15normal_iteratorINS9_10device_ptrIyEEEEPS5_m9comp_mod3IyEEE10hipError_tT0_T1_T2_jT3_P12ihipStream_tbPNSt15iterator_traitsISJ_E10value_typeEPNSP_ISK_E10value_typeEPSL_NS1_7vsmem_tEENKUlT_SJ_SK_SL_E_clISE_PySF_SF_EESI_SY_SJ_SK_SL_EUlSY_E0_NS1_11comp_targetILNS1_3genE4ELNS1_11target_archE910ELNS1_3gpuE8ELNS1_3repE0EEENS1_38merge_mergepath_config_static_selectorELNS0_4arch9wavefront6targetE0EEEvSK_
		.amdhsa_group_segment_fixed_size 0
		.amdhsa_private_segment_fixed_size 0
		.amdhsa_kernarg_size 80
		.amdhsa_user_sgpr_count 6
		.amdhsa_user_sgpr_private_segment_buffer 1
		.amdhsa_user_sgpr_dispatch_ptr 0
		.amdhsa_user_sgpr_queue_ptr 0
		.amdhsa_user_sgpr_kernarg_segment_ptr 1
		.amdhsa_user_sgpr_dispatch_id 0
		.amdhsa_user_sgpr_flat_scratch_init 0
		.amdhsa_user_sgpr_private_segment_size 0
		.amdhsa_wavefront_size32 1
		.amdhsa_uses_dynamic_stack 0
		.amdhsa_system_sgpr_private_segment_wavefront_offset 0
		.amdhsa_system_sgpr_workgroup_id_x 1
		.amdhsa_system_sgpr_workgroup_id_y 0
		.amdhsa_system_sgpr_workgroup_id_z 0
		.amdhsa_system_sgpr_workgroup_info 0
		.amdhsa_system_vgpr_workitem_id 0
		.amdhsa_next_free_vgpr 1
		.amdhsa_next_free_sgpr 1
		.amdhsa_reserve_vcc 0
		.amdhsa_reserve_flat_scratch 0
		.amdhsa_float_round_mode_32 0
		.amdhsa_float_round_mode_16_64 0
		.amdhsa_float_denorm_mode_32 3
		.amdhsa_float_denorm_mode_16_64 3
		.amdhsa_dx10_clamp 1
		.amdhsa_ieee_mode 1
		.amdhsa_fp16_overflow 0
		.amdhsa_workgroup_processor_mode 1
		.amdhsa_memory_ordered 1
		.amdhsa_forward_progress 1
		.amdhsa_shared_vgpr_count 0
		.amdhsa_exception_fp_ieee_invalid_op 0
		.amdhsa_exception_fp_denorm_src 0
		.amdhsa_exception_fp_ieee_div_zero 0
		.amdhsa_exception_fp_ieee_overflow 0
		.amdhsa_exception_fp_ieee_underflow 0
		.amdhsa_exception_fp_ieee_inexact 0
		.amdhsa_exception_int_div_zero 0
	.end_amdhsa_kernel
	.section	.text._ZN7rocprim17ROCPRIM_400000_NS6detail17trampoline_kernelINS0_14default_configENS1_38merge_sort_block_merge_config_selectorIyNS0_10empty_typeEEEZZNS1_27merge_sort_block_merge_implIS3_N6thrust23THRUST_200600_302600_NS6detail15normal_iteratorINS9_10device_ptrIyEEEEPS5_m9comp_mod3IyEEE10hipError_tT0_T1_T2_jT3_P12ihipStream_tbPNSt15iterator_traitsISJ_E10value_typeEPNSP_ISK_E10value_typeEPSL_NS1_7vsmem_tEENKUlT_SJ_SK_SL_E_clISE_PySF_SF_EESI_SY_SJ_SK_SL_EUlSY_E0_NS1_11comp_targetILNS1_3genE4ELNS1_11target_archE910ELNS1_3gpuE8ELNS1_3repE0EEENS1_38merge_mergepath_config_static_selectorELNS0_4arch9wavefront6targetE0EEEvSK_,"axG",@progbits,_ZN7rocprim17ROCPRIM_400000_NS6detail17trampoline_kernelINS0_14default_configENS1_38merge_sort_block_merge_config_selectorIyNS0_10empty_typeEEEZZNS1_27merge_sort_block_merge_implIS3_N6thrust23THRUST_200600_302600_NS6detail15normal_iteratorINS9_10device_ptrIyEEEEPS5_m9comp_mod3IyEEE10hipError_tT0_T1_T2_jT3_P12ihipStream_tbPNSt15iterator_traitsISJ_E10value_typeEPNSP_ISK_E10value_typeEPSL_NS1_7vsmem_tEENKUlT_SJ_SK_SL_E_clISE_PySF_SF_EESI_SY_SJ_SK_SL_EUlSY_E0_NS1_11comp_targetILNS1_3genE4ELNS1_11target_archE910ELNS1_3gpuE8ELNS1_3repE0EEENS1_38merge_mergepath_config_static_selectorELNS0_4arch9wavefront6targetE0EEEvSK_,comdat
.Lfunc_end794:
	.size	_ZN7rocprim17ROCPRIM_400000_NS6detail17trampoline_kernelINS0_14default_configENS1_38merge_sort_block_merge_config_selectorIyNS0_10empty_typeEEEZZNS1_27merge_sort_block_merge_implIS3_N6thrust23THRUST_200600_302600_NS6detail15normal_iteratorINS9_10device_ptrIyEEEEPS5_m9comp_mod3IyEEE10hipError_tT0_T1_T2_jT3_P12ihipStream_tbPNSt15iterator_traitsISJ_E10value_typeEPNSP_ISK_E10value_typeEPSL_NS1_7vsmem_tEENKUlT_SJ_SK_SL_E_clISE_PySF_SF_EESI_SY_SJ_SK_SL_EUlSY_E0_NS1_11comp_targetILNS1_3genE4ELNS1_11target_archE910ELNS1_3gpuE8ELNS1_3repE0EEENS1_38merge_mergepath_config_static_selectorELNS0_4arch9wavefront6targetE0EEEvSK_, .Lfunc_end794-_ZN7rocprim17ROCPRIM_400000_NS6detail17trampoline_kernelINS0_14default_configENS1_38merge_sort_block_merge_config_selectorIyNS0_10empty_typeEEEZZNS1_27merge_sort_block_merge_implIS3_N6thrust23THRUST_200600_302600_NS6detail15normal_iteratorINS9_10device_ptrIyEEEEPS5_m9comp_mod3IyEEE10hipError_tT0_T1_T2_jT3_P12ihipStream_tbPNSt15iterator_traitsISJ_E10value_typeEPNSP_ISK_E10value_typeEPSL_NS1_7vsmem_tEENKUlT_SJ_SK_SL_E_clISE_PySF_SF_EESI_SY_SJ_SK_SL_EUlSY_E0_NS1_11comp_targetILNS1_3genE4ELNS1_11target_archE910ELNS1_3gpuE8ELNS1_3repE0EEENS1_38merge_mergepath_config_static_selectorELNS0_4arch9wavefront6targetE0EEEvSK_
                                        ; -- End function
	.set _ZN7rocprim17ROCPRIM_400000_NS6detail17trampoline_kernelINS0_14default_configENS1_38merge_sort_block_merge_config_selectorIyNS0_10empty_typeEEEZZNS1_27merge_sort_block_merge_implIS3_N6thrust23THRUST_200600_302600_NS6detail15normal_iteratorINS9_10device_ptrIyEEEEPS5_m9comp_mod3IyEEE10hipError_tT0_T1_T2_jT3_P12ihipStream_tbPNSt15iterator_traitsISJ_E10value_typeEPNSP_ISK_E10value_typeEPSL_NS1_7vsmem_tEENKUlT_SJ_SK_SL_E_clISE_PySF_SF_EESI_SY_SJ_SK_SL_EUlSY_E0_NS1_11comp_targetILNS1_3genE4ELNS1_11target_archE910ELNS1_3gpuE8ELNS1_3repE0EEENS1_38merge_mergepath_config_static_selectorELNS0_4arch9wavefront6targetE0EEEvSK_.num_vgpr, 0
	.set _ZN7rocprim17ROCPRIM_400000_NS6detail17trampoline_kernelINS0_14default_configENS1_38merge_sort_block_merge_config_selectorIyNS0_10empty_typeEEEZZNS1_27merge_sort_block_merge_implIS3_N6thrust23THRUST_200600_302600_NS6detail15normal_iteratorINS9_10device_ptrIyEEEEPS5_m9comp_mod3IyEEE10hipError_tT0_T1_T2_jT3_P12ihipStream_tbPNSt15iterator_traitsISJ_E10value_typeEPNSP_ISK_E10value_typeEPSL_NS1_7vsmem_tEENKUlT_SJ_SK_SL_E_clISE_PySF_SF_EESI_SY_SJ_SK_SL_EUlSY_E0_NS1_11comp_targetILNS1_3genE4ELNS1_11target_archE910ELNS1_3gpuE8ELNS1_3repE0EEENS1_38merge_mergepath_config_static_selectorELNS0_4arch9wavefront6targetE0EEEvSK_.num_agpr, 0
	.set _ZN7rocprim17ROCPRIM_400000_NS6detail17trampoline_kernelINS0_14default_configENS1_38merge_sort_block_merge_config_selectorIyNS0_10empty_typeEEEZZNS1_27merge_sort_block_merge_implIS3_N6thrust23THRUST_200600_302600_NS6detail15normal_iteratorINS9_10device_ptrIyEEEEPS5_m9comp_mod3IyEEE10hipError_tT0_T1_T2_jT3_P12ihipStream_tbPNSt15iterator_traitsISJ_E10value_typeEPNSP_ISK_E10value_typeEPSL_NS1_7vsmem_tEENKUlT_SJ_SK_SL_E_clISE_PySF_SF_EESI_SY_SJ_SK_SL_EUlSY_E0_NS1_11comp_targetILNS1_3genE4ELNS1_11target_archE910ELNS1_3gpuE8ELNS1_3repE0EEENS1_38merge_mergepath_config_static_selectorELNS0_4arch9wavefront6targetE0EEEvSK_.numbered_sgpr, 0
	.set _ZN7rocprim17ROCPRIM_400000_NS6detail17trampoline_kernelINS0_14default_configENS1_38merge_sort_block_merge_config_selectorIyNS0_10empty_typeEEEZZNS1_27merge_sort_block_merge_implIS3_N6thrust23THRUST_200600_302600_NS6detail15normal_iteratorINS9_10device_ptrIyEEEEPS5_m9comp_mod3IyEEE10hipError_tT0_T1_T2_jT3_P12ihipStream_tbPNSt15iterator_traitsISJ_E10value_typeEPNSP_ISK_E10value_typeEPSL_NS1_7vsmem_tEENKUlT_SJ_SK_SL_E_clISE_PySF_SF_EESI_SY_SJ_SK_SL_EUlSY_E0_NS1_11comp_targetILNS1_3genE4ELNS1_11target_archE910ELNS1_3gpuE8ELNS1_3repE0EEENS1_38merge_mergepath_config_static_selectorELNS0_4arch9wavefront6targetE0EEEvSK_.num_named_barrier, 0
	.set _ZN7rocprim17ROCPRIM_400000_NS6detail17trampoline_kernelINS0_14default_configENS1_38merge_sort_block_merge_config_selectorIyNS0_10empty_typeEEEZZNS1_27merge_sort_block_merge_implIS3_N6thrust23THRUST_200600_302600_NS6detail15normal_iteratorINS9_10device_ptrIyEEEEPS5_m9comp_mod3IyEEE10hipError_tT0_T1_T2_jT3_P12ihipStream_tbPNSt15iterator_traitsISJ_E10value_typeEPNSP_ISK_E10value_typeEPSL_NS1_7vsmem_tEENKUlT_SJ_SK_SL_E_clISE_PySF_SF_EESI_SY_SJ_SK_SL_EUlSY_E0_NS1_11comp_targetILNS1_3genE4ELNS1_11target_archE910ELNS1_3gpuE8ELNS1_3repE0EEENS1_38merge_mergepath_config_static_selectorELNS0_4arch9wavefront6targetE0EEEvSK_.private_seg_size, 0
	.set _ZN7rocprim17ROCPRIM_400000_NS6detail17trampoline_kernelINS0_14default_configENS1_38merge_sort_block_merge_config_selectorIyNS0_10empty_typeEEEZZNS1_27merge_sort_block_merge_implIS3_N6thrust23THRUST_200600_302600_NS6detail15normal_iteratorINS9_10device_ptrIyEEEEPS5_m9comp_mod3IyEEE10hipError_tT0_T1_T2_jT3_P12ihipStream_tbPNSt15iterator_traitsISJ_E10value_typeEPNSP_ISK_E10value_typeEPSL_NS1_7vsmem_tEENKUlT_SJ_SK_SL_E_clISE_PySF_SF_EESI_SY_SJ_SK_SL_EUlSY_E0_NS1_11comp_targetILNS1_3genE4ELNS1_11target_archE910ELNS1_3gpuE8ELNS1_3repE0EEENS1_38merge_mergepath_config_static_selectorELNS0_4arch9wavefront6targetE0EEEvSK_.uses_vcc, 0
	.set _ZN7rocprim17ROCPRIM_400000_NS6detail17trampoline_kernelINS0_14default_configENS1_38merge_sort_block_merge_config_selectorIyNS0_10empty_typeEEEZZNS1_27merge_sort_block_merge_implIS3_N6thrust23THRUST_200600_302600_NS6detail15normal_iteratorINS9_10device_ptrIyEEEEPS5_m9comp_mod3IyEEE10hipError_tT0_T1_T2_jT3_P12ihipStream_tbPNSt15iterator_traitsISJ_E10value_typeEPNSP_ISK_E10value_typeEPSL_NS1_7vsmem_tEENKUlT_SJ_SK_SL_E_clISE_PySF_SF_EESI_SY_SJ_SK_SL_EUlSY_E0_NS1_11comp_targetILNS1_3genE4ELNS1_11target_archE910ELNS1_3gpuE8ELNS1_3repE0EEENS1_38merge_mergepath_config_static_selectorELNS0_4arch9wavefront6targetE0EEEvSK_.uses_flat_scratch, 0
	.set _ZN7rocprim17ROCPRIM_400000_NS6detail17trampoline_kernelINS0_14default_configENS1_38merge_sort_block_merge_config_selectorIyNS0_10empty_typeEEEZZNS1_27merge_sort_block_merge_implIS3_N6thrust23THRUST_200600_302600_NS6detail15normal_iteratorINS9_10device_ptrIyEEEEPS5_m9comp_mod3IyEEE10hipError_tT0_T1_T2_jT3_P12ihipStream_tbPNSt15iterator_traitsISJ_E10value_typeEPNSP_ISK_E10value_typeEPSL_NS1_7vsmem_tEENKUlT_SJ_SK_SL_E_clISE_PySF_SF_EESI_SY_SJ_SK_SL_EUlSY_E0_NS1_11comp_targetILNS1_3genE4ELNS1_11target_archE910ELNS1_3gpuE8ELNS1_3repE0EEENS1_38merge_mergepath_config_static_selectorELNS0_4arch9wavefront6targetE0EEEvSK_.has_dyn_sized_stack, 0
	.set _ZN7rocprim17ROCPRIM_400000_NS6detail17trampoline_kernelINS0_14default_configENS1_38merge_sort_block_merge_config_selectorIyNS0_10empty_typeEEEZZNS1_27merge_sort_block_merge_implIS3_N6thrust23THRUST_200600_302600_NS6detail15normal_iteratorINS9_10device_ptrIyEEEEPS5_m9comp_mod3IyEEE10hipError_tT0_T1_T2_jT3_P12ihipStream_tbPNSt15iterator_traitsISJ_E10value_typeEPNSP_ISK_E10value_typeEPSL_NS1_7vsmem_tEENKUlT_SJ_SK_SL_E_clISE_PySF_SF_EESI_SY_SJ_SK_SL_EUlSY_E0_NS1_11comp_targetILNS1_3genE4ELNS1_11target_archE910ELNS1_3gpuE8ELNS1_3repE0EEENS1_38merge_mergepath_config_static_selectorELNS0_4arch9wavefront6targetE0EEEvSK_.has_recursion, 0
	.set _ZN7rocprim17ROCPRIM_400000_NS6detail17trampoline_kernelINS0_14default_configENS1_38merge_sort_block_merge_config_selectorIyNS0_10empty_typeEEEZZNS1_27merge_sort_block_merge_implIS3_N6thrust23THRUST_200600_302600_NS6detail15normal_iteratorINS9_10device_ptrIyEEEEPS5_m9comp_mod3IyEEE10hipError_tT0_T1_T2_jT3_P12ihipStream_tbPNSt15iterator_traitsISJ_E10value_typeEPNSP_ISK_E10value_typeEPSL_NS1_7vsmem_tEENKUlT_SJ_SK_SL_E_clISE_PySF_SF_EESI_SY_SJ_SK_SL_EUlSY_E0_NS1_11comp_targetILNS1_3genE4ELNS1_11target_archE910ELNS1_3gpuE8ELNS1_3repE0EEENS1_38merge_mergepath_config_static_selectorELNS0_4arch9wavefront6targetE0EEEvSK_.has_indirect_call, 0
	.section	.AMDGPU.csdata,"",@progbits
; Kernel info:
; codeLenInByte = 0
; TotalNumSgprs: 0
; NumVgprs: 0
; ScratchSize: 0
; MemoryBound: 0
; FloatMode: 240
; IeeeMode: 1
; LDSByteSize: 0 bytes/workgroup (compile time only)
; SGPRBlocks: 0
; VGPRBlocks: 0
; NumSGPRsForWavesPerEU: 1
; NumVGPRsForWavesPerEU: 1
; Occupancy: 16
; WaveLimiterHint : 0
; COMPUTE_PGM_RSRC2:SCRATCH_EN: 0
; COMPUTE_PGM_RSRC2:USER_SGPR: 6
; COMPUTE_PGM_RSRC2:TRAP_HANDLER: 0
; COMPUTE_PGM_RSRC2:TGID_X_EN: 1
; COMPUTE_PGM_RSRC2:TGID_Y_EN: 0
; COMPUTE_PGM_RSRC2:TGID_Z_EN: 0
; COMPUTE_PGM_RSRC2:TIDIG_COMP_CNT: 0
	.section	.text._ZN7rocprim17ROCPRIM_400000_NS6detail17trampoline_kernelINS0_14default_configENS1_38merge_sort_block_merge_config_selectorIyNS0_10empty_typeEEEZZNS1_27merge_sort_block_merge_implIS3_N6thrust23THRUST_200600_302600_NS6detail15normal_iteratorINS9_10device_ptrIyEEEEPS5_m9comp_mod3IyEEE10hipError_tT0_T1_T2_jT3_P12ihipStream_tbPNSt15iterator_traitsISJ_E10value_typeEPNSP_ISK_E10value_typeEPSL_NS1_7vsmem_tEENKUlT_SJ_SK_SL_E_clISE_PySF_SF_EESI_SY_SJ_SK_SL_EUlSY_E0_NS1_11comp_targetILNS1_3genE3ELNS1_11target_archE908ELNS1_3gpuE7ELNS1_3repE0EEENS1_38merge_mergepath_config_static_selectorELNS0_4arch9wavefront6targetE0EEEvSK_,"axG",@progbits,_ZN7rocprim17ROCPRIM_400000_NS6detail17trampoline_kernelINS0_14default_configENS1_38merge_sort_block_merge_config_selectorIyNS0_10empty_typeEEEZZNS1_27merge_sort_block_merge_implIS3_N6thrust23THRUST_200600_302600_NS6detail15normal_iteratorINS9_10device_ptrIyEEEEPS5_m9comp_mod3IyEEE10hipError_tT0_T1_T2_jT3_P12ihipStream_tbPNSt15iterator_traitsISJ_E10value_typeEPNSP_ISK_E10value_typeEPSL_NS1_7vsmem_tEENKUlT_SJ_SK_SL_E_clISE_PySF_SF_EESI_SY_SJ_SK_SL_EUlSY_E0_NS1_11comp_targetILNS1_3genE3ELNS1_11target_archE908ELNS1_3gpuE7ELNS1_3repE0EEENS1_38merge_mergepath_config_static_selectorELNS0_4arch9wavefront6targetE0EEEvSK_,comdat
	.protected	_ZN7rocprim17ROCPRIM_400000_NS6detail17trampoline_kernelINS0_14default_configENS1_38merge_sort_block_merge_config_selectorIyNS0_10empty_typeEEEZZNS1_27merge_sort_block_merge_implIS3_N6thrust23THRUST_200600_302600_NS6detail15normal_iteratorINS9_10device_ptrIyEEEEPS5_m9comp_mod3IyEEE10hipError_tT0_T1_T2_jT3_P12ihipStream_tbPNSt15iterator_traitsISJ_E10value_typeEPNSP_ISK_E10value_typeEPSL_NS1_7vsmem_tEENKUlT_SJ_SK_SL_E_clISE_PySF_SF_EESI_SY_SJ_SK_SL_EUlSY_E0_NS1_11comp_targetILNS1_3genE3ELNS1_11target_archE908ELNS1_3gpuE7ELNS1_3repE0EEENS1_38merge_mergepath_config_static_selectorELNS0_4arch9wavefront6targetE0EEEvSK_ ; -- Begin function _ZN7rocprim17ROCPRIM_400000_NS6detail17trampoline_kernelINS0_14default_configENS1_38merge_sort_block_merge_config_selectorIyNS0_10empty_typeEEEZZNS1_27merge_sort_block_merge_implIS3_N6thrust23THRUST_200600_302600_NS6detail15normal_iteratorINS9_10device_ptrIyEEEEPS5_m9comp_mod3IyEEE10hipError_tT0_T1_T2_jT3_P12ihipStream_tbPNSt15iterator_traitsISJ_E10value_typeEPNSP_ISK_E10value_typeEPSL_NS1_7vsmem_tEENKUlT_SJ_SK_SL_E_clISE_PySF_SF_EESI_SY_SJ_SK_SL_EUlSY_E0_NS1_11comp_targetILNS1_3genE3ELNS1_11target_archE908ELNS1_3gpuE7ELNS1_3repE0EEENS1_38merge_mergepath_config_static_selectorELNS0_4arch9wavefront6targetE0EEEvSK_
	.globl	_ZN7rocprim17ROCPRIM_400000_NS6detail17trampoline_kernelINS0_14default_configENS1_38merge_sort_block_merge_config_selectorIyNS0_10empty_typeEEEZZNS1_27merge_sort_block_merge_implIS3_N6thrust23THRUST_200600_302600_NS6detail15normal_iteratorINS9_10device_ptrIyEEEEPS5_m9comp_mod3IyEEE10hipError_tT0_T1_T2_jT3_P12ihipStream_tbPNSt15iterator_traitsISJ_E10value_typeEPNSP_ISK_E10value_typeEPSL_NS1_7vsmem_tEENKUlT_SJ_SK_SL_E_clISE_PySF_SF_EESI_SY_SJ_SK_SL_EUlSY_E0_NS1_11comp_targetILNS1_3genE3ELNS1_11target_archE908ELNS1_3gpuE7ELNS1_3repE0EEENS1_38merge_mergepath_config_static_selectorELNS0_4arch9wavefront6targetE0EEEvSK_
	.p2align	8
	.type	_ZN7rocprim17ROCPRIM_400000_NS6detail17trampoline_kernelINS0_14default_configENS1_38merge_sort_block_merge_config_selectorIyNS0_10empty_typeEEEZZNS1_27merge_sort_block_merge_implIS3_N6thrust23THRUST_200600_302600_NS6detail15normal_iteratorINS9_10device_ptrIyEEEEPS5_m9comp_mod3IyEEE10hipError_tT0_T1_T2_jT3_P12ihipStream_tbPNSt15iterator_traitsISJ_E10value_typeEPNSP_ISK_E10value_typeEPSL_NS1_7vsmem_tEENKUlT_SJ_SK_SL_E_clISE_PySF_SF_EESI_SY_SJ_SK_SL_EUlSY_E0_NS1_11comp_targetILNS1_3genE3ELNS1_11target_archE908ELNS1_3gpuE7ELNS1_3repE0EEENS1_38merge_mergepath_config_static_selectorELNS0_4arch9wavefront6targetE0EEEvSK_,@function
_ZN7rocprim17ROCPRIM_400000_NS6detail17trampoline_kernelINS0_14default_configENS1_38merge_sort_block_merge_config_selectorIyNS0_10empty_typeEEEZZNS1_27merge_sort_block_merge_implIS3_N6thrust23THRUST_200600_302600_NS6detail15normal_iteratorINS9_10device_ptrIyEEEEPS5_m9comp_mod3IyEEE10hipError_tT0_T1_T2_jT3_P12ihipStream_tbPNSt15iterator_traitsISJ_E10value_typeEPNSP_ISK_E10value_typeEPSL_NS1_7vsmem_tEENKUlT_SJ_SK_SL_E_clISE_PySF_SF_EESI_SY_SJ_SK_SL_EUlSY_E0_NS1_11comp_targetILNS1_3genE3ELNS1_11target_archE908ELNS1_3gpuE7ELNS1_3repE0EEENS1_38merge_mergepath_config_static_selectorELNS0_4arch9wavefront6targetE0EEEvSK_: ; @_ZN7rocprim17ROCPRIM_400000_NS6detail17trampoline_kernelINS0_14default_configENS1_38merge_sort_block_merge_config_selectorIyNS0_10empty_typeEEEZZNS1_27merge_sort_block_merge_implIS3_N6thrust23THRUST_200600_302600_NS6detail15normal_iteratorINS9_10device_ptrIyEEEEPS5_m9comp_mod3IyEEE10hipError_tT0_T1_T2_jT3_P12ihipStream_tbPNSt15iterator_traitsISJ_E10value_typeEPNSP_ISK_E10value_typeEPSL_NS1_7vsmem_tEENKUlT_SJ_SK_SL_E_clISE_PySF_SF_EESI_SY_SJ_SK_SL_EUlSY_E0_NS1_11comp_targetILNS1_3genE3ELNS1_11target_archE908ELNS1_3gpuE7ELNS1_3repE0EEENS1_38merge_mergepath_config_static_selectorELNS0_4arch9wavefront6targetE0EEEvSK_
; %bb.0:
	.section	.rodata,"a",@progbits
	.p2align	6, 0x0
	.amdhsa_kernel _ZN7rocprim17ROCPRIM_400000_NS6detail17trampoline_kernelINS0_14default_configENS1_38merge_sort_block_merge_config_selectorIyNS0_10empty_typeEEEZZNS1_27merge_sort_block_merge_implIS3_N6thrust23THRUST_200600_302600_NS6detail15normal_iteratorINS9_10device_ptrIyEEEEPS5_m9comp_mod3IyEEE10hipError_tT0_T1_T2_jT3_P12ihipStream_tbPNSt15iterator_traitsISJ_E10value_typeEPNSP_ISK_E10value_typeEPSL_NS1_7vsmem_tEENKUlT_SJ_SK_SL_E_clISE_PySF_SF_EESI_SY_SJ_SK_SL_EUlSY_E0_NS1_11comp_targetILNS1_3genE3ELNS1_11target_archE908ELNS1_3gpuE7ELNS1_3repE0EEENS1_38merge_mergepath_config_static_selectorELNS0_4arch9wavefront6targetE0EEEvSK_
		.amdhsa_group_segment_fixed_size 0
		.amdhsa_private_segment_fixed_size 0
		.amdhsa_kernarg_size 80
		.amdhsa_user_sgpr_count 6
		.amdhsa_user_sgpr_private_segment_buffer 1
		.amdhsa_user_sgpr_dispatch_ptr 0
		.amdhsa_user_sgpr_queue_ptr 0
		.amdhsa_user_sgpr_kernarg_segment_ptr 1
		.amdhsa_user_sgpr_dispatch_id 0
		.amdhsa_user_sgpr_flat_scratch_init 0
		.amdhsa_user_sgpr_private_segment_size 0
		.amdhsa_wavefront_size32 1
		.amdhsa_uses_dynamic_stack 0
		.amdhsa_system_sgpr_private_segment_wavefront_offset 0
		.amdhsa_system_sgpr_workgroup_id_x 1
		.amdhsa_system_sgpr_workgroup_id_y 0
		.amdhsa_system_sgpr_workgroup_id_z 0
		.amdhsa_system_sgpr_workgroup_info 0
		.amdhsa_system_vgpr_workitem_id 0
		.amdhsa_next_free_vgpr 1
		.amdhsa_next_free_sgpr 1
		.amdhsa_reserve_vcc 0
		.amdhsa_reserve_flat_scratch 0
		.amdhsa_float_round_mode_32 0
		.amdhsa_float_round_mode_16_64 0
		.amdhsa_float_denorm_mode_32 3
		.amdhsa_float_denorm_mode_16_64 3
		.amdhsa_dx10_clamp 1
		.amdhsa_ieee_mode 1
		.amdhsa_fp16_overflow 0
		.amdhsa_workgroup_processor_mode 1
		.amdhsa_memory_ordered 1
		.amdhsa_forward_progress 1
		.amdhsa_shared_vgpr_count 0
		.amdhsa_exception_fp_ieee_invalid_op 0
		.amdhsa_exception_fp_denorm_src 0
		.amdhsa_exception_fp_ieee_div_zero 0
		.amdhsa_exception_fp_ieee_overflow 0
		.amdhsa_exception_fp_ieee_underflow 0
		.amdhsa_exception_fp_ieee_inexact 0
		.amdhsa_exception_int_div_zero 0
	.end_amdhsa_kernel
	.section	.text._ZN7rocprim17ROCPRIM_400000_NS6detail17trampoline_kernelINS0_14default_configENS1_38merge_sort_block_merge_config_selectorIyNS0_10empty_typeEEEZZNS1_27merge_sort_block_merge_implIS3_N6thrust23THRUST_200600_302600_NS6detail15normal_iteratorINS9_10device_ptrIyEEEEPS5_m9comp_mod3IyEEE10hipError_tT0_T1_T2_jT3_P12ihipStream_tbPNSt15iterator_traitsISJ_E10value_typeEPNSP_ISK_E10value_typeEPSL_NS1_7vsmem_tEENKUlT_SJ_SK_SL_E_clISE_PySF_SF_EESI_SY_SJ_SK_SL_EUlSY_E0_NS1_11comp_targetILNS1_3genE3ELNS1_11target_archE908ELNS1_3gpuE7ELNS1_3repE0EEENS1_38merge_mergepath_config_static_selectorELNS0_4arch9wavefront6targetE0EEEvSK_,"axG",@progbits,_ZN7rocprim17ROCPRIM_400000_NS6detail17trampoline_kernelINS0_14default_configENS1_38merge_sort_block_merge_config_selectorIyNS0_10empty_typeEEEZZNS1_27merge_sort_block_merge_implIS3_N6thrust23THRUST_200600_302600_NS6detail15normal_iteratorINS9_10device_ptrIyEEEEPS5_m9comp_mod3IyEEE10hipError_tT0_T1_T2_jT3_P12ihipStream_tbPNSt15iterator_traitsISJ_E10value_typeEPNSP_ISK_E10value_typeEPSL_NS1_7vsmem_tEENKUlT_SJ_SK_SL_E_clISE_PySF_SF_EESI_SY_SJ_SK_SL_EUlSY_E0_NS1_11comp_targetILNS1_3genE3ELNS1_11target_archE908ELNS1_3gpuE7ELNS1_3repE0EEENS1_38merge_mergepath_config_static_selectorELNS0_4arch9wavefront6targetE0EEEvSK_,comdat
.Lfunc_end795:
	.size	_ZN7rocprim17ROCPRIM_400000_NS6detail17trampoline_kernelINS0_14default_configENS1_38merge_sort_block_merge_config_selectorIyNS0_10empty_typeEEEZZNS1_27merge_sort_block_merge_implIS3_N6thrust23THRUST_200600_302600_NS6detail15normal_iteratorINS9_10device_ptrIyEEEEPS5_m9comp_mod3IyEEE10hipError_tT0_T1_T2_jT3_P12ihipStream_tbPNSt15iterator_traitsISJ_E10value_typeEPNSP_ISK_E10value_typeEPSL_NS1_7vsmem_tEENKUlT_SJ_SK_SL_E_clISE_PySF_SF_EESI_SY_SJ_SK_SL_EUlSY_E0_NS1_11comp_targetILNS1_3genE3ELNS1_11target_archE908ELNS1_3gpuE7ELNS1_3repE0EEENS1_38merge_mergepath_config_static_selectorELNS0_4arch9wavefront6targetE0EEEvSK_, .Lfunc_end795-_ZN7rocprim17ROCPRIM_400000_NS6detail17trampoline_kernelINS0_14default_configENS1_38merge_sort_block_merge_config_selectorIyNS0_10empty_typeEEEZZNS1_27merge_sort_block_merge_implIS3_N6thrust23THRUST_200600_302600_NS6detail15normal_iteratorINS9_10device_ptrIyEEEEPS5_m9comp_mod3IyEEE10hipError_tT0_T1_T2_jT3_P12ihipStream_tbPNSt15iterator_traitsISJ_E10value_typeEPNSP_ISK_E10value_typeEPSL_NS1_7vsmem_tEENKUlT_SJ_SK_SL_E_clISE_PySF_SF_EESI_SY_SJ_SK_SL_EUlSY_E0_NS1_11comp_targetILNS1_3genE3ELNS1_11target_archE908ELNS1_3gpuE7ELNS1_3repE0EEENS1_38merge_mergepath_config_static_selectorELNS0_4arch9wavefront6targetE0EEEvSK_
                                        ; -- End function
	.set _ZN7rocprim17ROCPRIM_400000_NS6detail17trampoline_kernelINS0_14default_configENS1_38merge_sort_block_merge_config_selectorIyNS0_10empty_typeEEEZZNS1_27merge_sort_block_merge_implIS3_N6thrust23THRUST_200600_302600_NS6detail15normal_iteratorINS9_10device_ptrIyEEEEPS5_m9comp_mod3IyEEE10hipError_tT0_T1_T2_jT3_P12ihipStream_tbPNSt15iterator_traitsISJ_E10value_typeEPNSP_ISK_E10value_typeEPSL_NS1_7vsmem_tEENKUlT_SJ_SK_SL_E_clISE_PySF_SF_EESI_SY_SJ_SK_SL_EUlSY_E0_NS1_11comp_targetILNS1_3genE3ELNS1_11target_archE908ELNS1_3gpuE7ELNS1_3repE0EEENS1_38merge_mergepath_config_static_selectorELNS0_4arch9wavefront6targetE0EEEvSK_.num_vgpr, 0
	.set _ZN7rocprim17ROCPRIM_400000_NS6detail17trampoline_kernelINS0_14default_configENS1_38merge_sort_block_merge_config_selectorIyNS0_10empty_typeEEEZZNS1_27merge_sort_block_merge_implIS3_N6thrust23THRUST_200600_302600_NS6detail15normal_iteratorINS9_10device_ptrIyEEEEPS5_m9comp_mod3IyEEE10hipError_tT0_T1_T2_jT3_P12ihipStream_tbPNSt15iterator_traitsISJ_E10value_typeEPNSP_ISK_E10value_typeEPSL_NS1_7vsmem_tEENKUlT_SJ_SK_SL_E_clISE_PySF_SF_EESI_SY_SJ_SK_SL_EUlSY_E0_NS1_11comp_targetILNS1_3genE3ELNS1_11target_archE908ELNS1_3gpuE7ELNS1_3repE0EEENS1_38merge_mergepath_config_static_selectorELNS0_4arch9wavefront6targetE0EEEvSK_.num_agpr, 0
	.set _ZN7rocprim17ROCPRIM_400000_NS6detail17trampoline_kernelINS0_14default_configENS1_38merge_sort_block_merge_config_selectorIyNS0_10empty_typeEEEZZNS1_27merge_sort_block_merge_implIS3_N6thrust23THRUST_200600_302600_NS6detail15normal_iteratorINS9_10device_ptrIyEEEEPS5_m9comp_mod3IyEEE10hipError_tT0_T1_T2_jT3_P12ihipStream_tbPNSt15iterator_traitsISJ_E10value_typeEPNSP_ISK_E10value_typeEPSL_NS1_7vsmem_tEENKUlT_SJ_SK_SL_E_clISE_PySF_SF_EESI_SY_SJ_SK_SL_EUlSY_E0_NS1_11comp_targetILNS1_3genE3ELNS1_11target_archE908ELNS1_3gpuE7ELNS1_3repE0EEENS1_38merge_mergepath_config_static_selectorELNS0_4arch9wavefront6targetE0EEEvSK_.numbered_sgpr, 0
	.set _ZN7rocprim17ROCPRIM_400000_NS6detail17trampoline_kernelINS0_14default_configENS1_38merge_sort_block_merge_config_selectorIyNS0_10empty_typeEEEZZNS1_27merge_sort_block_merge_implIS3_N6thrust23THRUST_200600_302600_NS6detail15normal_iteratorINS9_10device_ptrIyEEEEPS5_m9comp_mod3IyEEE10hipError_tT0_T1_T2_jT3_P12ihipStream_tbPNSt15iterator_traitsISJ_E10value_typeEPNSP_ISK_E10value_typeEPSL_NS1_7vsmem_tEENKUlT_SJ_SK_SL_E_clISE_PySF_SF_EESI_SY_SJ_SK_SL_EUlSY_E0_NS1_11comp_targetILNS1_3genE3ELNS1_11target_archE908ELNS1_3gpuE7ELNS1_3repE0EEENS1_38merge_mergepath_config_static_selectorELNS0_4arch9wavefront6targetE0EEEvSK_.num_named_barrier, 0
	.set _ZN7rocprim17ROCPRIM_400000_NS6detail17trampoline_kernelINS0_14default_configENS1_38merge_sort_block_merge_config_selectorIyNS0_10empty_typeEEEZZNS1_27merge_sort_block_merge_implIS3_N6thrust23THRUST_200600_302600_NS6detail15normal_iteratorINS9_10device_ptrIyEEEEPS5_m9comp_mod3IyEEE10hipError_tT0_T1_T2_jT3_P12ihipStream_tbPNSt15iterator_traitsISJ_E10value_typeEPNSP_ISK_E10value_typeEPSL_NS1_7vsmem_tEENKUlT_SJ_SK_SL_E_clISE_PySF_SF_EESI_SY_SJ_SK_SL_EUlSY_E0_NS1_11comp_targetILNS1_3genE3ELNS1_11target_archE908ELNS1_3gpuE7ELNS1_3repE0EEENS1_38merge_mergepath_config_static_selectorELNS0_4arch9wavefront6targetE0EEEvSK_.private_seg_size, 0
	.set _ZN7rocprim17ROCPRIM_400000_NS6detail17trampoline_kernelINS0_14default_configENS1_38merge_sort_block_merge_config_selectorIyNS0_10empty_typeEEEZZNS1_27merge_sort_block_merge_implIS3_N6thrust23THRUST_200600_302600_NS6detail15normal_iteratorINS9_10device_ptrIyEEEEPS5_m9comp_mod3IyEEE10hipError_tT0_T1_T2_jT3_P12ihipStream_tbPNSt15iterator_traitsISJ_E10value_typeEPNSP_ISK_E10value_typeEPSL_NS1_7vsmem_tEENKUlT_SJ_SK_SL_E_clISE_PySF_SF_EESI_SY_SJ_SK_SL_EUlSY_E0_NS1_11comp_targetILNS1_3genE3ELNS1_11target_archE908ELNS1_3gpuE7ELNS1_3repE0EEENS1_38merge_mergepath_config_static_selectorELNS0_4arch9wavefront6targetE0EEEvSK_.uses_vcc, 0
	.set _ZN7rocprim17ROCPRIM_400000_NS6detail17trampoline_kernelINS0_14default_configENS1_38merge_sort_block_merge_config_selectorIyNS0_10empty_typeEEEZZNS1_27merge_sort_block_merge_implIS3_N6thrust23THRUST_200600_302600_NS6detail15normal_iteratorINS9_10device_ptrIyEEEEPS5_m9comp_mod3IyEEE10hipError_tT0_T1_T2_jT3_P12ihipStream_tbPNSt15iterator_traitsISJ_E10value_typeEPNSP_ISK_E10value_typeEPSL_NS1_7vsmem_tEENKUlT_SJ_SK_SL_E_clISE_PySF_SF_EESI_SY_SJ_SK_SL_EUlSY_E0_NS1_11comp_targetILNS1_3genE3ELNS1_11target_archE908ELNS1_3gpuE7ELNS1_3repE0EEENS1_38merge_mergepath_config_static_selectorELNS0_4arch9wavefront6targetE0EEEvSK_.uses_flat_scratch, 0
	.set _ZN7rocprim17ROCPRIM_400000_NS6detail17trampoline_kernelINS0_14default_configENS1_38merge_sort_block_merge_config_selectorIyNS0_10empty_typeEEEZZNS1_27merge_sort_block_merge_implIS3_N6thrust23THRUST_200600_302600_NS6detail15normal_iteratorINS9_10device_ptrIyEEEEPS5_m9comp_mod3IyEEE10hipError_tT0_T1_T2_jT3_P12ihipStream_tbPNSt15iterator_traitsISJ_E10value_typeEPNSP_ISK_E10value_typeEPSL_NS1_7vsmem_tEENKUlT_SJ_SK_SL_E_clISE_PySF_SF_EESI_SY_SJ_SK_SL_EUlSY_E0_NS1_11comp_targetILNS1_3genE3ELNS1_11target_archE908ELNS1_3gpuE7ELNS1_3repE0EEENS1_38merge_mergepath_config_static_selectorELNS0_4arch9wavefront6targetE0EEEvSK_.has_dyn_sized_stack, 0
	.set _ZN7rocprim17ROCPRIM_400000_NS6detail17trampoline_kernelINS0_14default_configENS1_38merge_sort_block_merge_config_selectorIyNS0_10empty_typeEEEZZNS1_27merge_sort_block_merge_implIS3_N6thrust23THRUST_200600_302600_NS6detail15normal_iteratorINS9_10device_ptrIyEEEEPS5_m9comp_mod3IyEEE10hipError_tT0_T1_T2_jT3_P12ihipStream_tbPNSt15iterator_traitsISJ_E10value_typeEPNSP_ISK_E10value_typeEPSL_NS1_7vsmem_tEENKUlT_SJ_SK_SL_E_clISE_PySF_SF_EESI_SY_SJ_SK_SL_EUlSY_E0_NS1_11comp_targetILNS1_3genE3ELNS1_11target_archE908ELNS1_3gpuE7ELNS1_3repE0EEENS1_38merge_mergepath_config_static_selectorELNS0_4arch9wavefront6targetE0EEEvSK_.has_recursion, 0
	.set _ZN7rocprim17ROCPRIM_400000_NS6detail17trampoline_kernelINS0_14default_configENS1_38merge_sort_block_merge_config_selectorIyNS0_10empty_typeEEEZZNS1_27merge_sort_block_merge_implIS3_N6thrust23THRUST_200600_302600_NS6detail15normal_iteratorINS9_10device_ptrIyEEEEPS5_m9comp_mod3IyEEE10hipError_tT0_T1_T2_jT3_P12ihipStream_tbPNSt15iterator_traitsISJ_E10value_typeEPNSP_ISK_E10value_typeEPSL_NS1_7vsmem_tEENKUlT_SJ_SK_SL_E_clISE_PySF_SF_EESI_SY_SJ_SK_SL_EUlSY_E0_NS1_11comp_targetILNS1_3genE3ELNS1_11target_archE908ELNS1_3gpuE7ELNS1_3repE0EEENS1_38merge_mergepath_config_static_selectorELNS0_4arch9wavefront6targetE0EEEvSK_.has_indirect_call, 0
	.section	.AMDGPU.csdata,"",@progbits
; Kernel info:
; codeLenInByte = 0
; TotalNumSgprs: 0
; NumVgprs: 0
; ScratchSize: 0
; MemoryBound: 0
; FloatMode: 240
; IeeeMode: 1
; LDSByteSize: 0 bytes/workgroup (compile time only)
; SGPRBlocks: 0
; VGPRBlocks: 0
; NumSGPRsForWavesPerEU: 1
; NumVGPRsForWavesPerEU: 1
; Occupancy: 16
; WaveLimiterHint : 0
; COMPUTE_PGM_RSRC2:SCRATCH_EN: 0
; COMPUTE_PGM_RSRC2:USER_SGPR: 6
; COMPUTE_PGM_RSRC2:TRAP_HANDLER: 0
; COMPUTE_PGM_RSRC2:TGID_X_EN: 1
; COMPUTE_PGM_RSRC2:TGID_Y_EN: 0
; COMPUTE_PGM_RSRC2:TGID_Z_EN: 0
; COMPUTE_PGM_RSRC2:TIDIG_COMP_CNT: 0
	.section	.text._ZN7rocprim17ROCPRIM_400000_NS6detail17trampoline_kernelINS0_14default_configENS1_38merge_sort_block_merge_config_selectorIyNS0_10empty_typeEEEZZNS1_27merge_sort_block_merge_implIS3_N6thrust23THRUST_200600_302600_NS6detail15normal_iteratorINS9_10device_ptrIyEEEEPS5_m9comp_mod3IyEEE10hipError_tT0_T1_T2_jT3_P12ihipStream_tbPNSt15iterator_traitsISJ_E10value_typeEPNSP_ISK_E10value_typeEPSL_NS1_7vsmem_tEENKUlT_SJ_SK_SL_E_clISE_PySF_SF_EESI_SY_SJ_SK_SL_EUlSY_E0_NS1_11comp_targetILNS1_3genE2ELNS1_11target_archE906ELNS1_3gpuE6ELNS1_3repE0EEENS1_38merge_mergepath_config_static_selectorELNS0_4arch9wavefront6targetE0EEEvSK_,"axG",@progbits,_ZN7rocprim17ROCPRIM_400000_NS6detail17trampoline_kernelINS0_14default_configENS1_38merge_sort_block_merge_config_selectorIyNS0_10empty_typeEEEZZNS1_27merge_sort_block_merge_implIS3_N6thrust23THRUST_200600_302600_NS6detail15normal_iteratorINS9_10device_ptrIyEEEEPS5_m9comp_mod3IyEEE10hipError_tT0_T1_T2_jT3_P12ihipStream_tbPNSt15iterator_traitsISJ_E10value_typeEPNSP_ISK_E10value_typeEPSL_NS1_7vsmem_tEENKUlT_SJ_SK_SL_E_clISE_PySF_SF_EESI_SY_SJ_SK_SL_EUlSY_E0_NS1_11comp_targetILNS1_3genE2ELNS1_11target_archE906ELNS1_3gpuE6ELNS1_3repE0EEENS1_38merge_mergepath_config_static_selectorELNS0_4arch9wavefront6targetE0EEEvSK_,comdat
	.protected	_ZN7rocprim17ROCPRIM_400000_NS6detail17trampoline_kernelINS0_14default_configENS1_38merge_sort_block_merge_config_selectorIyNS0_10empty_typeEEEZZNS1_27merge_sort_block_merge_implIS3_N6thrust23THRUST_200600_302600_NS6detail15normal_iteratorINS9_10device_ptrIyEEEEPS5_m9comp_mod3IyEEE10hipError_tT0_T1_T2_jT3_P12ihipStream_tbPNSt15iterator_traitsISJ_E10value_typeEPNSP_ISK_E10value_typeEPSL_NS1_7vsmem_tEENKUlT_SJ_SK_SL_E_clISE_PySF_SF_EESI_SY_SJ_SK_SL_EUlSY_E0_NS1_11comp_targetILNS1_3genE2ELNS1_11target_archE906ELNS1_3gpuE6ELNS1_3repE0EEENS1_38merge_mergepath_config_static_selectorELNS0_4arch9wavefront6targetE0EEEvSK_ ; -- Begin function _ZN7rocprim17ROCPRIM_400000_NS6detail17trampoline_kernelINS0_14default_configENS1_38merge_sort_block_merge_config_selectorIyNS0_10empty_typeEEEZZNS1_27merge_sort_block_merge_implIS3_N6thrust23THRUST_200600_302600_NS6detail15normal_iteratorINS9_10device_ptrIyEEEEPS5_m9comp_mod3IyEEE10hipError_tT0_T1_T2_jT3_P12ihipStream_tbPNSt15iterator_traitsISJ_E10value_typeEPNSP_ISK_E10value_typeEPSL_NS1_7vsmem_tEENKUlT_SJ_SK_SL_E_clISE_PySF_SF_EESI_SY_SJ_SK_SL_EUlSY_E0_NS1_11comp_targetILNS1_3genE2ELNS1_11target_archE906ELNS1_3gpuE6ELNS1_3repE0EEENS1_38merge_mergepath_config_static_selectorELNS0_4arch9wavefront6targetE0EEEvSK_
	.globl	_ZN7rocprim17ROCPRIM_400000_NS6detail17trampoline_kernelINS0_14default_configENS1_38merge_sort_block_merge_config_selectorIyNS0_10empty_typeEEEZZNS1_27merge_sort_block_merge_implIS3_N6thrust23THRUST_200600_302600_NS6detail15normal_iteratorINS9_10device_ptrIyEEEEPS5_m9comp_mod3IyEEE10hipError_tT0_T1_T2_jT3_P12ihipStream_tbPNSt15iterator_traitsISJ_E10value_typeEPNSP_ISK_E10value_typeEPSL_NS1_7vsmem_tEENKUlT_SJ_SK_SL_E_clISE_PySF_SF_EESI_SY_SJ_SK_SL_EUlSY_E0_NS1_11comp_targetILNS1_3genE2ELNS1_11target_archE906ELNS1_3gpuE6ELNS1_3repE0EEENS1_38merge_mergepath_config_static_selectorELNS0_4arch9wavefront6targetE0EEEvSK_
	.p2align	8
	.type	_ZN7rocprim17ROCPRIM_400000_NS6detail17trampoline_kernelINS0_14default_configENS1_38merge_sort_block_merge_config_selectorIyNS0_10empty_typeEEEZZNS1_27merge_sort_block_merge_implIS3_N6thrust23THRUST_200600_302600_NS6detail15normal_iteratorINS9_10device_ptrIyEEEEPS5_m9comp_mod3IyEEE10hipError_tT0_T1_T2_jT3_P12ihipStream_tbPNSt15iterator_traitsISJ_E10value_typeEPNSP_ISK_E10value_typeEPSL_NS1_7vsmem_tEENKUlT_SJ_SK_SL_E_clISE_PySF_SF_EESI_SY_SJ_SK_SL_EUlSY_E0_NS1_11comp_targetILNS1_3genE2ELNS1_11target_archE906ELNS1_3gpuE6ELNS1_3repE0EEENS1_38merge_mergepath_config_static_selectorELNS0_4arch9wavefront6targetE0EEEvSK_,@function
_ZN7rocprim17ROCPRIM_400000_NS6detail17trampoline_kernelINS0_14default_configENS1_38merge_sort_block_merge_config_selectorIyNS0_10empty_typeEEEZZNS1_27merge_sort_block_merge_implIS3_N6thrust23THRUST_200600_302600_NS6detail15normal_iteratorINS9_10device_ptrIyEEEEPS5_m9comp_mod3IyEEE10hipError_tT0_T1_T2_jT3_P12ihipStream_tbPNSt15iterator_traitsISJ_E10value_typeEPNSP_ISK_E10value_typeEPSL_NS1_7vsmem_tEENKUlT_SJ_SK_SL_E_clISE_PySF_SF_EESI_SY_SJ_SK_SL_EUlSY_E0_NS1_11comp_targetILNS1_3genE2ELNS1_11target_archE906ELNS1_3gpuE6ELNS1_3repE0EEENS1_38merge_mergepath_config_static_selectorELNS0_4arch9wavefront6targetE0EEEvSK_: ; @_ZN7rocprim17ROCPRIM_400000_NS6detail17trampoline_kernelINS0_14default_configENS1_38merge_sort_block_merge_config_selectorIyNS0_10empty_typeEEEZZNS1_27merge_sort_block_merge_implIS3_N6thrust23THRUST_200600_302600_NS6detail15normal_iteratorINS9_10device_ptrIyEEEEPS5_m9comp_mod3IyEEE10hipError_tT0_T1_T2_jT3_P12ihipStream_tbPNSt15iterator_traitsISJ_E10value_typeEPNSP_ISK_E10value_typeEPSL_NS1_7vsmem_tEENKUlT_SJ_SK_SL_E_clISE_PySF_SF_EESI_SY_SJ_SK_SL_EUlSY_E0_NS1_11comp_targetILNS1_3genE2ELNS1_11target_archE906ELNS1_3gpuE6ELNS1_3repE0EEENS1_38merge_mergepath_config_static_selectorELNS0_4arch9wavefront6targetE0EEEvSK_
; %bb.0:
	.section	.rodata,"a",@progbits
	.p2align	6, 0x0
	.amdhsa_kernel _ZN7rocprim17ROCPRIM_400000_NS6detail17trampoline_kernelINS0_14default_configENS1_38merge_sort_block_merge_config_selectorIyNS0_10empty_typeEEEZZNS1_27merge_sort_block_merge_implIS3_N6thrust23THRUST_200600_302600_NS6detail15normal_iteratorINS9_10device_ptrIyEEEEPS5_m9comp_mod3IyEEE10hipError_tT0_T1_T2_jT3_P12ihipStream_tbPNSt15iterator_traitsISJ_E10value_typeEPNSP_ISK_E10value_typeEPSL_NS1_7vsmem_tEENKUlT_SJ_SK_SL_E_clISE_PySF_SF_EESI_SY_SJ_SK_SL_EUlSY_E0_NS1_11comp_targetILNS1_3genE2ELNS1_11target_archE906ELNS1_3gpuE6ELNS1_3repE0EEENS1_38merge_mergepath_config_static_selectorELNS0_4arch9wavefront6targetE0EEEvSK_
		.amdhsa_group_segment_fixed_size 0
		.amdhsa_private_segment_fixed_size 0
		.amdhsa_kernarg_size 80
		.amdhsa_user_sgpr_count 6
		.amdhsa_user_sgpr_private_segment_buffer 1
		.amdhsa_user_sgpr_dispatch_ptr 0
		.amdhsa_user_sgpr_queue_ptr 0
		.amdhsa_user_sgpr_kernarg_segment_ptr 1
		.amdhsa_user_sgpr_dispatch_id 0
		.amdhsa_user_sgpr_flat_scratch_init 0
		.amdhsa_user_sgpr_private_segment_size 0
		.amdhsa_wavefront_size32 1
		.amdhsa_uses_dynamic_stack 0
		.amdhsa_system_sgpr_private_segment_wavefront_offset 0
		.amdhsa_system_sgpr_workgroup_id_x 1
		.amdhsa_system_sgpr_workgroup_id_y 0
		.amdhsa_system_sgpr_workgroup_id_z 0
		.amdhsa_system_sgpr_workgroup_info 0
		.amdhsa_system_vgpr_workitem_id 0
		.amdhsa_next_free_vgpr 1
		.amdhsa_next_free_sgpr 1
		.amdhsa_reserve_vcc 0
		.amdhsa_reserve_flat_scratch 0
		.amdhsa_float_round_mode_32 0
		.amdhsa_float_round_mode_16_64 0
		.amdhsa_float_denorm_mode_32 3
		.amdhsa_float_denorm_mode_16_64 3
		.amdhsa_dx10_clamp 1
		.amdhsa_ieee_mode 1
		.amdhsa_fp16_overflow 0
		.amdhsa_workgroup_processor_mode 1
		.amdhsa_memory_ordered 1
		.amdhsa_forward_progress 1
		.amdhsa_shared_vgpr_count 0
		.amdhsa_exception_fp_ieee_invalid_op 0
		.amdhsa_exception_fp_denorm_src 0
		.amdhsa_exception_fp_ieee_div_zero 0
		.amdhsa_exception_fp_ieee_overflow 0
		.amdhsa_exception_fp_ieee_underflow 0
		.amdhsa_exception_fp_ieee_inexact 0
		.amdhsa_exception_int_div_zero 0
	.end_amdhsa_kernel
	.section	.text._ZN7rocprim17ROCPRIM_400000_NS6detail17trampoline_kernelINS0_14default_configENS1_38merge_sort_block_merge_config_selectorIyNS0_10empty_typeEEEZZNS1_27merge_sort_block_merge_implIS3_N6thrust23THRUST_200600_302600_NS6detail15normal_iteratorINS9_10device_ptrIyEEEEPS5_m9comp_mod3IyEEE10hipError_tT0_T1_T2_jT3_P12ihipStream_tbPNSt15iterator_traitsISJ_E10value_typeEPNSP_ISK_E10value_typeEPSL_NS1_7vsmem_tEENKUlT_SJ_SK_SL_E_clISE_PySF_SF_EESI_SY_SJ_SK_SL_EUlSY_E0_NS1_11comp_targetILNS1_3genE2ELNS1_11target_archE906ELNS1_3gpuE6ELNS1_3repE0EEENS1_38merge_mergepath_config_static_selectorELNS0_4arch9wavefront6targetE0EEEvSK_,"axG",@progbits,_ZN7rocprim17ROCPRIM_400000_NS6detail17trampoline_kernelINS0_14default_configENS1_38merge_sort_block_merge_config_selectorIyNS0_10empty_typeEEEZZNS1_27merge_sort_block_merge_implIS3_N6thrust23THRUST_200600_302600_NS6detail15normal_iteratorINS9_10device_ptrIyEEEEPS5_m9comp_mod3IyEEE10hipError_tT0_T1_T2_jT3_P12ihipStream_tbPNSt15iterator_traitsISJ_E10value_typeEPNSP_ISK_E10value_typeEPSL_NS1_7vsmem_tEENKUlT_SJ_SK_SL_E_clISE_PySF_SF_EESI_SY_SJ_SK_SL_EUlSY_E0_NS1_11comp_targetILNS1_3genE2ELNS1_11target_archE906ELNS1_3gpuE6ELNS1_3repE0EEENS1_38merge_mergepath_config_static_selectorELNS0_4arch9wavefront6targetE0EEEvSK_,comdat
.Lfunc_end796:
	.size	_ZN7rocprim17ROCPRIM_400000_NS6detail17trampoline_kernelINS0_14default_configENS1_38merge_sort_block_merge_config_selectorIyNS0_10empty_typeEEEZZNS1_27merge_sort_block_merge_implIS3_N6thrust23THRUST_200600_302600_NS6detail15normal_iteratorINS9_10device_ptrIyEEEEPS5_m9comp_mod3IyEEE10hipError_tT0_T1_T2_jT3_P12ihipStream_tbPNSt15iterator_traitsISJ_E10value_typeEPNSP_ISK_E10value_typeEPSL_NS1_7vsmem_tEENKUlT_SJ_SK_SL_E_clISE_PySF_SF_EESI_SY_SJ_SK_SL_EUlSY_E0_NS1_11comp_targetILNS1_3genE2ELNS1_11target_archE906ELNS1_3gpuE6ELNS1_3repE0EEENS1_38merge_mergepath_config_static_selectorELNS0_4arch9wavefront6targetE0EEEvSK_, .Lfunc_end796-_ZN7rocprim17ROCPRIM_400000_NS6detail17trampoline_kernelINS0_14default_configENS1_38merge_sort_block_merge_config_selectorIyNS0_10empty_typeEEEZZNS1_27merge_sort_block_merge_implIS3_N6thrust23THRUST_200600_302600_NS6detail15normal_iteratorINS9_10device_ptrIyEEEEPS5_m9comp_mod3IyEEE10hipError_tT0_T1_T2_jT3_P12ihipStream_tbPNSt15iterator_traitsISJ_E10value_typeEPNSP_ISK_E10value_typeEPSL_NS1_7vsmem_tEENKUlT_SJ_SK_SL_E_clISE_PySF_SF_EESI_SY_SJ_SK_SL_EUlSY_E0_NS1_11comp_targetILNS1_3genE2ELNS1_11target_archE906ELNS1_3gpuE6ELNS1_3repE0EEENS1_38merge_mergepath_config_static_selectorELNS0_4arch9wavefront6targetE0EEEvSK_
                                        ; -- End function
	.set _ZN7rocprim17ROCPRIM_400000_NS6detail17trampoline_kernelINS0_14default_configENS1_38merge_sort_block_merge_config_selectorIyNS0_10empty_typeEEEZZNS1_27merge_sort_block_merge_implIS3_N6thrust23THRUST_200600_302600_NS6detail15normal_iteratorINS9_10device_ptrIyEEEEPS5_m9comp_mod3IyEEE10hipError_tT0_T1_T2_jT3_P12ihipStream_tbPNSt15iterator_traitsISJ_E10value_typeEPNSP_ISK_E10value_typeEPSL_NS1_7vsmem_tEENKUlT_SJ_SK_SL_E_clISE_PySF_SF_EESI_SY_SJ_SK_SL_EUlSY_E0_NS1_11comp_targetILNS1_3genE2ELNS1_11target_archE906ELNS1_3gpuE6ELNS1_3repE0EEENS1_38merge_mergepath_config_static_selectorELNS0_4arch9wavefront6targetE0EEEvSK_.num_vgpr, 0
	.set _ZN7rocprim17ROCPRIM_400000_NS6detail17trampoline_kernelINS0_14default_configENS1_38merge_sort_block_merge_config_selectorIyNS0_10empty_typeEEEZZNS1_27merge_sort_block_merge_implIS3_N6thrust23THRUST_200600_302600_NS6detail15normal_iteratorINS9_10device_ptrIyEEEEPS5_m9comp_mod3IyEEE10hipError_tT0_T1_T2_jT3_P12ihipStream_tbPNSt15iterator_traitsISJ_E10value_typeEPNSP_ISK_E10value_typeEPSL_NS1_7vsmem_tEENKUlT_SJ_SK_SL_E_clISE_PySF_SF_EESI_SY_SJ_SK_SL_EUlSY_E0_NS1_11comp_targetILNS1_3genE2ELNS1_11target_archE906ELNS1_3gpuE6ELNS1_3repE0EEENS1_38merge_mergepath_config_static_selectorELNS0_4arch9wavefront6targetE0EEEvSK_.num_agpr, 0
	.set _ZN7rocprim17ROCPRIM_400000_NS6detail17trampoline_kernelINS0_14default_configENS1_38merge_sort_block_merge_config_selectorIyNS0_10empty_typeEEEZZNS1_27merge_sort_block_merge_implIS3_N6thrust23THRUST_200600_302600_NS6detail15normal_iteratorINS9_10device_ptrIyEEEEPS5_m9comp_mod3IyEEE10hipError_tT0_T1_T2_jT3_P12ihipStream_tbPNSt15iterator_traitsISJ_E10value_typeEPNSP_ISK_E10value_typeEPSL_NS1_7vsmem_tEENKUlT_SJ_SK_SL_E_clISE_PySF_SF_EESI_SY_SJ_SK_SL_EUlSY_E0_NS1_11comp_targetILNS1_3genE2ELNS1_11target_archE906ELNS1_3gpuE6ELNS1_3repE0EEENS1_38merge_mergepath_config_static_selectorELNS0_4arch9wavefront6targetE0EEEvSK_.numbered_sgpr, 0
	.set _ZN7rocprim17ROCPRIM_400000_NS6detail17trampoline_kernelINS0_14default_configENS1_38merge_sort_block_merge_config_selectorIyNS0_10empty_typeEEEZZNS1_27merge_sort_block_merge_implIS3_N6thrust23THRUST_200600_302600_NS6detail15normal_iteratorINS9_10device_ptrIyEEEEPS5_m9comp_mod3IyEEE10hipError_tT0_T1_T2_jT3_P12ihipStream_tbPNSt15iterator_traitsISJ_E10value_typeEPNSP_ISK_E10value_typeEPSL_NS1_7vsmem_tEENKUlT_SJ_SK_SL_E_clISE_PySF_SF_EESI_SY_SJ_SK_SL_EUlSY_E0_NS1_11comp_targetILNS1_3genE2ELNS1_11target_archE906ELNS1_3gpuE6ELNS1_3repE0EEENS1_38merge_mergepath_config_static_selectorELNS0_4arch9wavefront6targetE0EEEvSK_.num_named_barrier, 0
	.set _ZN7rocprim17ROCPRIM_400000_NS6detail17trampoline_kernelINS0_14default_configENS1_38merge_sort_block_merge_config_selectorIyNS0_10empty_typeEEEZZNS1_27merge_sort_block_merge_implIS3_N6thrust23THRUST_200600_302600_NS6detail15normal_iteratorINS9_10device_ptrIyEEEEPS5_m9comp_mod3IyEEE10hipError_tT0_T1_T2_jT3_P12ihipStream_tbPNSt15iterator_traitsISJ_E10value_typeEPNSP_ISK_E10value_typeEPSL_NS1_7vsmem_tEENKUlT_SJ_SK_SL_E_clISE_PySF_SF_EESI_SY_SJ_SK_SL_EUlSY_E0_NS1_11comp_targetILNS1_3genE2ELNS1_11target_archE906ELNS1_3gpuE6ELNS1_3repE0EEENS1_38merge_mergepath_config_static_selectorELNS0_4arch9wavefront6targetE0EEEvSK_.private_seg_size, 0
	.set _ZN7rocprim17ROCPRIM_400000_NS6detail17trampoline_kernelINS0_14default_configENS1_38merge_sort_block_merge_config_selectorIyNS0_10empty_typeEEEZZNS1_27merge_sort_block_merge_implIS3_N6thrust23THRUST_200600_302600_NS6detail15normal_iteratorINS9_10device_ptrIyEEEEPS5_m9comp_mod3IyEEE10hipError_tT0_T1_T2_jT3_P12ihipStream_tbPNSt15iterator_traitsISJ_E10value_typeEPNSP_ISK_E10value_typeEPSL_NS1_7vsmem_tEENKUlT_SJ_SK_SL_E_clISE_PySF_SF_EESI_SY_SJ_SK_SL_EUlSY_E0_NS1_11comp_targetILNS1_3genE2ELNS1_11target_archE906ELNS1_3gpuE6ELNS1_3repE0EEENS1_38merge_mergepath_config_static_selectorELNS0_4arch9wavefront6targetE0EEEvSK_.uses_vcc, 0
	.set _ZN7rocprim17ROCPRIM_400000_NS6detail17trampoline_kernelINS0_14default_configENS1_38merge_sort_block_merge_config_selectorIyNS0_10empty_typeEEEZZNS1_27merge_sort_block_merge_implIS3_N6thrust23THRUST_200600_302600_NS6detail15normal_iteratorINS9_10device_ptrIyEEEEPS5_m9comp_mod3IyEEE10hipError_tT0_T1_T2_jT3_P12ihipStream_tbPNSt15iterator_traitsISJ_E10value_typeEPNSP_ISK_E10value_typeEPSL_NS1_7vsmem_tEENKUlT_SJ_SK_SL_E_clISE_PySF_SF_EESI_SY_SJ_SK_SL_EUlSY_E0_NS1_11comp_targetILNS1_3genE2ELNS1_11target_archE906ELNS1_3gpuE6ELNS1_3repE0EEENS1_38merge_mergepath_config_static_selectorELNS0_4arch9wavefront6targetE0EEEvSK_.uses_flat_scratch, 0
	.set _ZN7rocprim17ROCPRIM_400000_NS6detail17trampoline_kernelINS0_14default_configENS1_38merge_sort_block_merge_config_selectorIyNS0_10empty_typeEEEZZNS1_27merge_sort_block_merge_implIS3_N6thrust23THRUST_200600_302600_NS6detail15normal_iteratorINS9_10device_ptrIyEEEEPS5_m9comp_mod3IyEEE10hipError_tT0_T1_T2_jT3_P12ihipStream_tbPNSt15iterator_traitsISJ_E10value_typeEPNSP_ISK_E10value_typeEPSL_NS1_7vsmem_tEENKUlT_SJ_SK_SL_E_clISE_PySF_SF_EESI_SY_SJ_SK_SL_EUlSY_E0_NS1_11comp_targetILNS1_3genE2ELNS1_11target_archE906ELNS1_3gpuE6ELNS1_3repE0EEENS1_38merge_mergepath_config_static_selectorELNS0_4arch9wavefront6targetE0EEEvSK_.has_dyn_sized_stack, 0
	.set _ZN7rocprim17ROCPRIM_400000_NS6detail17trampoline_kernelINS0_14default_configENS1_38merge_sort_block_merge_config_selectorIyNS0_10empty_typeEEEZZNS1_27merge_sort_block_merge_implIS3_N6thrust23THRUST_200600_302600_NS6detail15normal_iteratorINS9_10device_ptrIyEEEEPS5_m9comp_mod3IyEEE10hipError_tT0_T1_T2_jT3_P12ihipStream_tbPNSt15iterator_traitsISJ_E10value_typeEPNSP_ISK_E10value_typeEPSL_NS1_7vsmem_tEENKUlT_SJ_SK_SL_E_clISE_PySF_SF_EESI_SY_SJ_SK_SL_EUlSY_E0_NS1_11comp_targetILNS1_3genE2ELNS1_11target_archE906ELNS1_3gpuE6ELNS1_3repE0EEENS1_38merge_mergepath_config_static_selectorELNS0_4arch9wavefront6targetE0EEEvSK_.has_recursion, 0
	.set _ZN7rocprim17ROCPRIM_400000_NS6detail17trampoline_kernelINS0_14default_configENS1_38merge_sort_block_merge_config_selectorIyNS0_10empty_typeEEEZZNS1_27merge_sort_block_merge_implIS3_N6thrust23THRUST_200600_302600_NS6detail15normal_iteratorINS9_10device_ptrIyEEEEPS5_m9comp_mod3IyEEE10hipError_tT0_T1_T2_jT3_P12ihipStream_tbPNSt15iterator_traitsISJ_E10value_typeEPNSP_ISK_E10value_typeEPSL_NS1_7vsmem_tEENKUlT_SJ_SK_SL_E_clISE_PySF_SF_EESI_SY_SJ_SK_SL_EUlSY_E0_NS1_11comp_targetILNS1_3genE2ELNS1_11target_archE906ELNS1_3gpuE6ELNS1_3repE0EEENS1_38merge_mergepath_config_static_selectorELNS0_4arch9wavefront6targetE0EEEvSK_.has_indirect_call, 0
	.section	.AMDGPU.csdata,"",@progbits
; Kernel info:
; codeLenInByte = 0
; TotalNumSgprs: 0
; NumVgprs: 0
; ScratchSize: 0
; MemoryBound: 0
; FloatMode: 240
; IeeeMode: 1
; LDSByteSize: 0 bytes/workgroup (compile time only)
; SGPRBlocks: 0
; VGPRBlocks: 0
; NumSGPRsForWavesPerEU: 1
; NumVGPRsForWavesPerEU: 1
; Occupancy: 16
; WaveLimiterHint : 0
; COMPUTE_PGM_RSRC2:SCRATCH_EN: 0
; COMPUTE_PGM_RSRC2:USER_SGPR: 6
; COMPUTE_PGM_RSRC2:TRAP_HANDLER: 0
; COMPUTE_PGM_RSRC2:TGID_X_EN: 1
; COMPUTE_PGM_RSRC2:TGID_Y_EN: 0
; COMPUTE_PGM_RSRC2:TGID_Z_EN: 0
; COMPUTE_PGM_RSRC2:TIDIG_COMP_CNT: 0
	.section	.text._ZN7rocprim17ROCPRIM_400000_NS6detail17trampoline_kernelINS0_14default_configENS1_38merge_sort_block_merge_config_selectorIyNS0_10empty_typeEEEZZNS1_27merge_sort_block_merge_implIS3_N6thrust23THRUST_200600_302600_NS6detail15normal_iteratorINS9_10device_ptrIyEEEEPS5_m9comp_mod3IyEEE10hipError_tT0_T1_T2_jT3_P12ihipStream_tbPNSt15iterator_traitsISJ_E10value_typeEPNSP_ISK_E10value_typeEPSL_NS1_7vsmem_tEENKUlT_SJ_SK_SL_E_clISE_PySF_SF_EESI_SY_SJ_SK_SL_EUlSY_E0_NS1_11comp_targetILNS1_3genE9ELNS1_11target_archE1100ELNS1_3gpuE3ELNS1_3repE0EEENS1_38merge_mergepath_config_static_selectorELNS0_4arch9wavefront6targetE0EEEvSK_,"axG",@progbits,_ZN7rocprim17ROCPRIM_400000_NS6detail17trampoline_kernelINS0_14default_configENS1_38merge_sort_block_merge_config_selectorIyNS0_10empty_typeEEEZZNS1_27merge_sort_block_merge_implIS3_N6thrust23THRUST_200600_302600_NS6detail15normal_iteratorINS9_10device_ptrIyEEEEPS5_m9comp_mod3IyEEE10hipError_tT0_T1_T2_jT3_P12ihipStream_tbPNSt15iterator_traitsISJ_E10value_typeEPNSP_ISK_E10value_typeEPSL_NS1_7vsmem_tEENKUlT_SJ_SK_SL_E_clISE_PySF_SF_EESI_SY_SJ_SK_SL_EUlSY_E0_NS1_11comp_targetILNS1_3genE9ELNS1_11target_archE1100ELNS1_3gpuE3ELNS1_3repE0EEENS1_38merge_mergepath_config_static_selectorELNS0_4arch9wavefront6targetE0EEEvSK_,comdat
	.protected	_ZN7rocprim17ROCPRIM_400000_NS6detail17trampoline_kernelINS0_14default_configENS1_38merge_sort_block_merge_config_selectorIyNS0_10empty_typeEEEZZNS1_27merge_sort_block_merge_implIS3_N6thrust23THRUST_200600_302600_NS6detail15normal_iteratorINS9_10device_ptrIyEEEEPS5_m9comp_mod3IyEEE10hipError_tT0_T1_T2_jT3_P12ihipStream_tbPNSt15iterator_traitsISJ_E10value_typeEPNSP_ISK_E10value_typeEPSL_NS1_7vsmem_tEENKUlT_SJ_SK_SL_E_clISE_PySF_SF_EESI_SY_SJ_SK_SL_EUlSY_E0_NS1_11comp_targetILNS1_3genE9ELNS1_11target_archE1100ELNS1_3gpuE3ELNS1_3repE0EEENS1_38merge_mergepath_config_static_selectorELNS0_4arch9wavefront6targetE0EEEvSK_ ; -- Begin function _ZN7rocprim17ROCPRIM_400000_NS6detail17trampoline_kernelINS0_14default_configENS1_38merge_sort_block_merge_config_selectorIyNS0_10empty_typeEEEZZNS1_27merge_sort_block_merge_implIS3_N6thrust23THRUST_200600_302600_NS6detail15normal_iteratorINS9_10device_ptrIyEEEEPS5_m9comp_mod3IyEEE10hipError_tT0_T1_T2_jT3_P12ihipStream_tbPNSt15iterator_traitsISJ_E10value_typeEPNSP_ISK_E10value_typeEPSL_NS1_7vsmem_tEENKUlT_SJ_SK_SL_E_clISE_PySF_SF_EESI_SY_SJ_SK_SL_EUlSY_E0_NS1_11comp_targetILNS1_3genE9ELNS1_11target_archE1100ELNS1_3gpuE3ELNS1_3repE0EEENS1_38merge_mergepath_config_static_selectorELNS0_4arch9wavefront6targetE0EEEvSK_
	.globl	_ZN7rocprim17ROCPRIM_400000_NS6detail17trampoline_kernelINS0_14default_configENS1_38merge_sort_block_merge_config_selectorIyNS0_10empty_typeEEEZZNS1_27merge_sort_block_merge_implIS3_N6thrust23THRUST_200600_302600_NS6detail15normal_iteratorINS9_10device_ptrIyEEEEPS5_m9comp_mod3IyEEE10hipError_tT0_T1_T2_jT3_P12ihipStream_tbPNSt15iterator_traitsISJ_E10value_typeEPNSP_ISK_E10value_typeEPSL_NS1_7vsmem_tEENKUlT_SJ_SK_SL_E_clISE_PySF_SF_EESI_SY_SJ_SK_SL_EUlSY_E0_NS1_11comp_targetILNS1_3genE9ELNS1_11target_archE1100ELNS1_3gpuE3ELNS1_3repE0EEENS1_38merge_mergepath_config_static_selectorELNS0_4arch9wavefront6targetE0EEEvSK_
	.p2align	8
	.type	_ZN7rocprim17ROCPRIM_400000_NS6detail17trampoline_kernelINS0_14default_configENS1_38merge_sort_block_merge_config_selectorIyNS0_10empty_typeEEEZZNS1_27merge_sort_block_merge_implIS3_N6thrust23THRUST_200600_302600_NS6detail15normal_iteratorINS9_10device_ptrIyEEEEPS5_m9comp_mod3IyEEE10hipError_tT0_T1_T2_jT3_P12ihipStream_tbPNSt15iterator_traitsISJ_E10value_typeEPNSP_ISK_E10value_typeEPSL_NS1_7vsmem_tEENKUlT_SJ_SK_SL_E_clISE_PySF_SF_EESI_SY_SJ_SK_SL_EUlSY_E0_NS1_11comp_targetILNS1_3genE9ELNS1_11target_archE1100ELNS1_3gpuE3ELNS1_3repE0EEENS1_38merge_mergepath_config_static_selectorELNS0_4arch9wavefront6targetE0EEEvSK_,@function
_ZN7rocprim17ROCPRIM_400000_NS6detail17trampoline_kernelINS0_14default_configENS1_38merge_sort_block_merge_config_selectorIyNS0_10empty_typeEEEZZNS1_27merge_sort_block_merge_implIS3_N6thrust23THRUST_200600_302600_NS6detail15normal_iteratorINS9_10device_ptrIyEEEEPS5_m9comp_mod3IyEEE10hipError_tT0_T1_T2_jT3_P12ihipStream_tbPNSt15iterator_traitsISJ_E10value_typeEPNSP_ISK_E10value_typeEPSL_NS1_7vsmem_tEENKUlT_SJ_SK_SL_E_clISE_PySF_SF_EESI_SY_SJ_SK_SL_EUlSY_E0_NS1_11comp_targetILNS1_3genE9ELNS1_11target_archE1100ELNS1_3gpuE3ELNS1_3repE0EEENS1_38merge_mergepath_config_static_selectorELNS0_4arch9wavefront6targetE0EEEvSK_: ; @_ZN7rocprim17ROCPRIM_400000_NS6detail17trampoline_kernelINS0_14default_configENS1_38merge_sort_block_merge_config_selectorIyNS0_10empty_typeEEEZZNS1_27merge_sort_block_merge_implIS3_N6thrust23THRUST_200600_302600_NS6detail15normal_iteratorINS9_10device_ptrIyEEEEPS5_m9comp_mod3IyEEE10hipError_tT0_T1_T2_jT3_P12ihipStream_tbPNSt15iterator_traitsISJ_E10value_typeEPNSP_ISK_E10value_typeEPSL_NS1_7vsmem_tEENKUlT_SJ_SK_SL_E_clISE_PySF_SF_EESI_SY_SJ_SK_SL_EUlSY_E0_NS1_11comp_targetILNS1_3genE9ELNS1_11target_archE1100ELNS1_3gpuE3ELNS1_3repE0EEENS1_38merge_mergepath_config_static_selectorELNS0_4arch9wavefront6targetE0EEEvSK_
; %bb.0:
	.section	.rodata,"a",@progbits
	.p2align	6, 0x0
	.amdhsa_kernel _ZN7rocprim17ROCPRIM_400000_NS6detail17trampoline_kernelINS0_14default_configENS1_38merge_sort_block_merge_config_selectorIyNS0_10empty_typeEEEZZNS1_27merge_sort_block_merge_implIS3_N6thrust23THRUST_200600_302600_NS6detail15normal_iteratorINS9_10device_ptrIyEEEEPS5_m9comp_mod3IyEEE10hipError_tT0_T1_T2_jT3_P12ihipStream_tbPNSt15iterator_traitsISJ_E10value_typeEPNSP_ISK_E10value_typeEPSL_NS1_7vsmem_tEENKUlT_SJ_SK_SL_E_clISE_PySF_SF_EESI_SY_SJ_SK_SL_EUlSY_E0_NS1_11comp_targetILNS1_3genE9ELNS1_11target_archE1100ELNS1_3gpuE3ELNS1_3repE0EEENS1_38merge_mergepath_config_static_selectorELNS0_4arch9wavefront6targetE0EEEvSK_
		.amdhsa_group_segment_fixed_size 0
		.amdhsa_private_segment_fixed_size 0
		.amdhsa_kernarg_size 80
		.amdhsa_user_sgpr_count 6
		.amdhsa_user_sgpr_private_segment_buffer 1
		.amdhsa_user_sgpr_dispatch_ptr 0
		.amdhsa_user_sgpr_queue_ptr 0
		.amdhsa_user_sgpr_kernarg_segment_ptr 1
		.amdhsa_user_sgpr_dispatch_id 0
		.amdhsa_user_sgpr_flat_scratch_init 0
		.amdhsa_user_sgpr_private_segment_size 0
		.amdhsa_wavefront_size32 1
		.amdhsa_uses_dynamic_stack 0
		.amdhsa_system_sgpr_private_segment_wavefront_offset 0
		.amdhsa_system_sgpr_workgroup_id_x 1
		.amdhsa_system_sgpr_workgroup_id_y 0
		.amdhsa_system_sgpr_workgroup_id_z 0
		.amdhsa_system_sgpr_workgroup_info 0
		.amdhsa_system_vgpr_workitem_id 0
		.amdhsa_next_free_vgpr 1
		.amdhsa_next_free_sgpr 1
		.amdhsa_reserve_vcc 0
		.amdhsa_reserve_flat_scratch 0
		.amdhsa_float_round_mode_32 0
		.amdhsa_float_round_mode_16_64 0
		.amdhsa_float_denorm_mode_32 3
		.amdhsa_float_denorm_mode_16_64 3
		.amdhsa_dx10_clamp 1
		.amdhsa_ieee_mode 1
		.amdhsa_fp16_overflow 0
		.amdhsa_workgroup_processor_mode 1
		.amdhsa_memory_ordered 1
		.amdhsa_forward_progress 1
		.amdhsa_shared_vgpr_count 0
		.amdhsa_exception_fp_ieee_invalid_op 0
		.amdhsa_exception_fp_denorm_src 0
		.amdhsa_exception_fp_ieee_div_zero 0
		.amdhsa_exception_fp_ieee_overflow 0
		.amdhsa_exception_fp_ieee_underflow 0
		.amdhsa_exception_fp_ieee_inexact 0
		.amdhsa_exception_int_div_zero 0
	.end_amdhsa_kernel
	.section	.text._ZN7rocprim17ROCPRIM_400000_NS6detail17trampoline_kernelINS0_14default_configENS1_38merge_sort_block_merge_config_selectorIyNS0_10empty_typeEEEZZNS1_27merge_sort_block_merge_implIS3_N6thrust23THRUST_200600_302600_NS6detail15normal_iteratorINS9_10device_ptrIyEEEEPS5_m9comp_mod3IyEEE10hipError_tT0_T1_T2_jT3_P12ihipStream_tbPNSt15iterator_traitsISJ_E10value_typeEPNSP_ISK_E10value_typeEPSL_NS1_7vsmem_tEENKUlT_SJ_SK_SL_E_clISE_PySF_SF_EESI_SY_SJ_SK_SL_EUlSY_E0_NS1_11comp_targetILNS1_3genE9ELNS1_11target_archE1100ELNS1_3gpuE3ELNS1_3repE0EEENS1_38merge_mergepath_config_static_selectorELNS0_4arch9wavefront6targetE0EEEvSK_,"axG",@progbits,_ZN7rocprim17ROCPRIM_400000_NS6detail17trampoline_kernelINS0_14default_configENS1_38merge_sort_block_merge_config_selectorIyNS0_10empty_typeEEEZZNS1_27merge_sort_block_merge_implIS3_N6thrust23THRUST_200600_302600_NS6detail15normal_iteratorINS9_10device_ptrIyEEEEPS5_m9comp_mod3IyEEE10hipError_tT0_T1_T2_jT3_P12ihipStream_tbPNSt15iterator_traitsISJ_E10value_typeEPNSP_ISK_E10value_typeEPSL_NS1_7vsmem_tEENKUlT_SJ_SK_SL_E_clISE_PySF_SF_EESI_SY_SJ_SK_SL_EUlSY_E0_NS1_11comp_targetILNS1_3genE9ELNS1_11target_archE1100ELNS1_3gpuE3ELNS1_3repE0EEENS1_38merge_mergepath_config_static_selectorELNS0_4arch9wavefront6targetE0EEEvSK_,comdat
.Lfunc_end797:
	.size	_ZN7rocprim17ROCPRIM_400000_NS6detail17trampoline_kernelINS0_14default_configENS1_38merge_sort_block_merge_config_selectorIyNS0_10empty_typeEEEZZNS1_27merge_sort_block_merge_implIS3_N6thrust23THRUST_200600_302600_NS6detail15normal_iteratorINS9_10device_ptrIyEEEEPS5_m9comp_mod3IyEEE10hipError_tT0_T1_T2_jT3_P12ihipStream_tbPNSt15iterator_traitsISJ_E10value_typeEPNSP_ISK_E10value_typeEPSL_NS1_7vsmem_tEENKUlT_SJ_SK_SL_E_clISE_PySF_SF_EESI_SY_SJ_SK_SL_EUlSY_E0_NS1_11comp_targetILNS1_3genE9ELNS1_11target_archE1100ELNS1_3gpuE3ELNS1_3repE0EEENS1_38merge_mergepath_config_static_selectorELNS0_4arch9wavefront6targetE0EEEvSK_, .Lfunc_end797-_ZN7rocprim17ROCPRIM_400000_NS6detail17trampoline_kernelINS0_14default_configENS1_38merge_sort_block_merge_config_selectorIyNS0_10empty_typeEEEZZNS1_27merge_sort_block_merge_implIS3_N6thrust23THRUST_200600_302600_NS6detail15normal_iteratorINS9_10device_ptrIyEEEEPS5_m9comp_mod3IyEEE10hipError_tT0_T1_T2_jT3_P12ihipStream_tbPNSt15iterator_traitsISJ_E10value_typeEPNSP_ISK_E10value_typeEPSL_NS1_7vsmem_tEENKUlT_SJ_SK_SL_E_clISE_PySF_SF_EESI_SY_SJ_SK_SL_EUlSY_E0_NS1_11comp_targetILNS1_3genE9ELNS1_11target_archE1100ELNS1_3gpuE3ELNS1_3repE0EEENS1_38merge_mergepath_config_static_selectorELNS0_4arch9wavefront6targetE0EEEvSK_
                                        ; -- End function
	.set _ZN7rocprim17ROCPRIM_400000_NS6detail17trampoline_kernelINS0_14default_configENS1_38merge_sort_block_merge_config_selectorIyNS0_10empty_typeEEEZZNS1_27merge_sort_block_merge_implIS3_N6thrust23THRUST_200600_302600_NS6detail15normal_iteratorINS9_10device_ptrIyEEEEPS5_m9comp_mod3IyEEE10hipError_tT0_T1_T2_jT3_P12ihipStream_tbPNSt15iterator_traitsISJ_E10value_typeEPNSP_ISK_E10value_typeEPSL_NS1_7vsmem_tEENKUlT_SJ_SK_SL_E_clISE_PySF_SF_EESI_SY_SJ_SK_SL_EUlSY_E0_NS1_11comp_targetILNS1_3genE9ELNS1_11target_archE1100ELNS1_3gpuE3ELNS1_3repE0EEENS1_38merge_mergepath_config_static_selectorELNS0_4arch9wavefront6targetE0EEEvSK_.num_vgpr, 0
	.set _ZN7rocprim17ROCPRIM_400000_NS6detail17trampoline_kernelINS0_14default_configENS1_38merge_sort_block_merge_config_selectorIyNS0_10empty_typeEEEZZNS1_27merge_sort_block_merge_implIS3_N6thrust23THRUST_200600_302600_NS6detail15normal_iteratorINS9_10device_ptrIyEEEEPS5_m9comp_mod3IyEEE10hipError_tT0_T1_T2_jT3_P12ihipStream_tbPNSt15iterator_traitsISJ_E10value_typeEPNSP_ISK_E10value_typeEPSL_NS1_7vsmem_tEENKUlT_SJ_SK_SL_E_clISE_PySF_SF_EESI_SY_SJ_SK_SL_EUlSY_E0_NS1_11comp_targetILNS1_3genE9ELNS1_11target_archE1100ELNS1_3gpuE3ELNS1_3repE0EEENS1_38merge_mergepath_config_static_selectorELNS0_4arch9wavefront6targetE0EEEvSK_.num_agpr, 0
	.set _ZN7rocprim17ROCPRIM_400000_NS6detail17trampoline_kernelINS0_14default_configENS1_38merge_sort_block_merge_config_selectorIyNS0_10empty_typeEEEZZNS1_27merge_sort_block_merge_implIS3_N6thrust23THRUST_200600_302600_NS6detail15normal_iteratorINS9_10device_ptrIyEEEEPS5_m9comp_mod3IyEEE10hipError_tT0_T1_T2_jT3_P12ihipStream_tbPNSt15iterator_traitsISJ_E10value_typeEPNSP_ISK_E10value_typeEPSL_NS1_7vsmem_tEENKUlT_SJ_SK_SL_E_clISE_PySF_SF_EESI_SY_SJ_SK_SL_EUlSY_E0_NS1_11comp_targetILNS1_3genE9ELNS1_11target_archE1100ELNS1_3gpuE3ELNS1_3repE0EEENS1_38merge_mergepath_config_static_selectorELNS0_4arch9wavefront6targetE0EEEvSK_.numbered_sgpr, 0
	.set _ZN7rocprim17ROCPRIM_400000_NS6detail17trampoline_kernelINS0_14default_configENS1_38merge_sort_block_merge_config_selectorIyNS0_10empty_typeEEEZZNS1_27merge_sort_block_merge_implIS3_N6thrust23THRUST_200600_302600_NS6detail15normal_iteratorINS9_10device_ptrIyEEEEPS5_m9comp_mod3IyEEE10hipError_tT0_T1_T2_jT3_P12ihipStream_tbPNSt15iterator_traitsISJ_E10value_typeEPNSP_ISK_E10value_typeEPSL_NS1_7vsmem_tEENKUlT_SJ_SK_SL_E_clISE_PySF_SF_EESI_SY_SJ_SK_SL_EUlSY_E0_NS1_11comp_targetILNS1_3genE9ELNS1_11target_archE1100ELNS1_3gpuE3ELNS1_3repE0EEENS1_38merge_mergepath_config_static_selectorELNS0_4arch9wavefront6targetE0EEEvSK_.num_named_barrier, 0
	.set _ZN7rocprim17ROCPRIM_400000_NS6detail17trampoline_kernelINS0_14default_configENS1_38merge_sort_block_merge_config_selectorIyNS0_10empty_typeEEEZZNS1_27merge_sort_block_merge_implIS3_N6thrust23THRUST_200600_302600_NS6detail15normal_iteratorINS9_10device_ptrIyEEEEPS5_m9comp_mod3IyEEE10hipError_tT0_T1_T2_jT3_P12ihipStream_tbPNSt15iterator_traitsISJ_E10value_typeEPNSP_ISK_E10value_typeEPSL_NS1_7vsmem_tEENKUlT_SJ_SK_SL_E_clISE_PySF_SF_EESI_SY_SJ_SK_SL_EUlSY_E0_NS1_11comp_targetILNS1_3genE9ELNS1_11target_archE1100ELNS1_3gpuE3ELNS1_3repE0EEENS1_38merge_mergepath_config_static_selectorELNS0_4arch9wavefront6targetE0EEEvSK_.private_seg_size, 0
	.set _ZN7rocprim17ROCPRIM_400000_NS6detail17trampoline_kernelINS0_14default_configENS1_38merge_sort_block_merge_config_selectorIyNS0_10empty_typeEEEZZNS1_27merge_sort_block_merge_implIS3_N6thrust23THRUST_200600_302600_NS6detail15normal_iteratorINS9_10device_ptrIyEEEEPS5_m9comp_mod3IyEEE10hipError_tT0_T1_T2_jT3_P12ihipStream_tbPNSt15iterator_traitsISJ_E10value_typeEPNSP_ISK_E10value_typeEPSL_NS1_7vsmem_tEENKUlT_SJ_SK_SL_E_clISE_PySF_SF_EESI_SY_SJ_SK_SL_EUlSY_E0_NS1_11comp_targetILNS1_3genE9ELNS1_11target_archE1100ELNS1_3gpuE3ELNS1_3repE0EEENS1_38merge_mergepath_config_static_selectorELNS0_4arch9wavefront6targetE0EEEvSK_.uses_vcc, 0
	.set _ZN7rocprim17ROCPRIM_400000_NS6detail17trampoline_kernelINS0_14default_configENS1_38merge_sort_block_merge_config_selectorIyNS0_10empty_typeEEEZZNS1_27merge_sort_block_merge_implIS3_N6thrust23THRUST_200600_302600_NS6detail15normal_iteratorINS9_10device_ptrIyEEEEPS5_m9comp_mod3IyEEE10hipError_tT0_T1_T2_jT3_P12ihipStream_tbPNSt15iterator_traitsISJ_E10value_typeEPNSP_ISK_E10value_typeEPSL_NS1_7vsmem_tEENKUlT_SJ_SK_SL_E_clISE_PySF_SF_EESI_SY_SJ_SK_SL_EUlSY_E0_NS1_11comp_targetILNS1_3genE9ELNS1_11target_archE1100ELNS1_3gpuE3ELNS1_3repE0EEENS1_38merge_mergepath_config_static_selectorELNS0_4arch9wavefront6targetE0EEEvSK_.uses_flat_scratch, 0
	.set _ZN7rocprim17ROCPRIM_400000_NS6detail17trampoline_kernelINS0_14default_configENS1_38merge_sort_block_merge_config_selectorIyNS0_10empty_typeEEEZZNS1_27merge_sort_block_merge_implIS3_N6thrust23THRUST_200600_302600_NS6detail15normal_iteratorINS9_10device_ptrIyEEEEPS5_m9comp_mod3IyEEE10hipError_tT0_T1_T2_jT3_P12ihipStream_tbPNSt15iterator_traitsISJ_E10value_typeEPNSP_ISK_E10value_typeEPSL_NS1_7vsmem_tEENKUlT_SJ_SK_SL_E_clISE_PySF_SF_EESI_SY_SJ_SK_SL_EUlSY_E0_NS1_11comp_targetILNS1_3genE9ELNS1_11target_archE1100ELNS1_3gpuE3ELNS1_3repE0EEENS1_38merge_mergepath_config_static_selectorELNS0_4arch9wavefront6targetE0EEEvSK_.has_dyn_sized_stack, 0
	.set _ZN7rocprim17ROCPRIM_400000_NS6detail17trampoline_kernelINS0_14default_configENS1_38merge_sort_block_merge_config_selectorIyNS0_10empty_typeEEEZZNS1_27merge_sort_block_merge_implIS3_N6thrust23THRUST_200600_302600_NS6detail15normal_iteratorINS9_10device_ptrIyEEEEPS5_m9comp_mod3IyEEE10hipError_tT0_T1_T2_jT3_P12ihipStream_tbPNSt15iterator_traitsISJ_E10value_typeEPNSP_ISK_E10value_typeEPSL_NS1_7vsmem_tEENKUlT_SJ_SK_SL_E_clISE_PySF_SF_EESI_SY_SJ_SK_SL_EUlSY_E0_NS1_11comp_targetILNS1_3genE9ELNS1_11target_archE1100ELNS1_3gpuE3ELNS1_3repE0EEENS1_38merge_mergepath_config_static_selectorELNS0_4arch9wavefront6targetE0EEEvSK_.has_recursion, 0
	.set _ZN7rocprim17ROCPRIM_400000_NS6detail17trampoline_kernelINS0_14default_configENS1_38merge_sort_block_merge_config_selectorIyNS0_10empty_typeEEEZZNS1_27merge_sort_block_merge_implIS3_N6thrust23THRUST_200600_302600_NS6detail15normal_iteratorINS9_10device_ptrIyEEEEPS5_m9comp_mod3IyEEE10hipError_tT0_T1_T2_jT3_P12ihipStream_tbPNSt15iterator_traitsISJ_E10value_typeEPNSP_ISK_E10value_typeEPSL_NS1_7vsmem_tEENKUlT_SJ_SK_SL_E_clISE_PySF_SF_EESI_SY_SJ_SK_SL_EUlSY_E0_NS1_11comp_targetILNS1_3genE9ELNS1_11target_archE1100ELNS1_3gpuE3ELNS1_3repE0EEENS1_38merge_mergepath_config_static_selectorELNS0_4arch9wavefront6targetE0EEEvSK_.has_indirect_call, 0
	.section	.AMDGPU.csdata,"",@progbits
; Kernel info:
; codeLenInByte = 0
; TotalNumSgprs: 0
; NumVgprs: 0
; ScratchSize: 0
; MemoryBound: 0
; FloatMode: 240
; IeeeMode: 1
; LDSByteSize: 0 bytes/workgroup (compile time only)
; SGPRBlocks: 0
; VGPRBlocks: 0
; NumSGPRsForWavesPerEU: 1
; NumVGPRsForWavesPerEU: 1
; Occupancy: 16
; WaveLimiterHint : 0
; COMPUTE_PGM_RSRC2:SCRATCH_EN: 0
; COMPUTE_PGM_RSRC2:USER_SGPR: 6
; COMPUTE_PGM_RSRC2:TRAP_HANDLER: 0
; COMPUTE_PGM_RSRC2:TGID_X_EN: 1
; COMPUTE_PGM_RSRC2:TGID_Y_EN: 0
; COMPUTE_PGM_RSRC2:TGID_Z_EN: 0
; COMPUTE_PGM_RSRC2:TIDIG_COMP_CNT: 0
	.section	.text._ZN7rocprim17ROCPRIM_400000_NS6detail17trampoline_kernelINS0_14default_configENS1_38merge_sort_block_merge_config_selectorIyNS0_10empty_typeEEEZZNS1_27merge_sort_block_merge_implIS3_N6thrust23THRUST_200600_302600_NS6detail15normal_iteratorINS9_10device_ptrIyEEEEPS5_m9comp_mod3IyEEE10hipError_tT0_T1_T2_jT3_P12ihipStream_tbPNSt15iterator_traitsISJ_E10value_typeEPNSP_ISK_E10value_typeEPSL_NS1_7vsmem_tEENKUlT_SJ_SK_SL_E_clISE_PySF_SF_EESI_SY_SJ_SK_SL_EUlSY_E0_NS1_11comp_targetILNS1_3genE8ELNS1_11target_archE1030ELNS1_3gpuE2ELNS1_3repE0EEENS1_38merge_mergepath_config_static_selectorELNS0_4arch9wavefront6targetE0EEEvSK_,"axG",@progbits,_ZN7rocprim17ROCPRIM_400000_NS6detail17trampoline_kernelINS0_14default_configENS1_38merge_sort_block_merge_config_selectorIyNS0_10empty_typeEEEZZNS1_27merge_sort_block_merge_implIS3_N6thrust23THRUST_200600_302600_NS6detail15normal_iteratorINS9_10device_ptrIyEEEEPS5_m9comp_mod3IyEEE10hipError_tT0_T1_T2_jT3_P12ihipStream_tbPNSt15iterator_traitsISJ_E10value_typeEPNSP_ISK_E10value_typeEPSL_NS1_7vsmem_tEENKUlT_SJ_SK_SL_E_clISE_PySF_SF_EESI_SY_SJ_SK_SL_EUlSY_E0_NS1_11comp_targetILNS1_3genE8ELNS1_11target_archE1030ELNS1_3gpuE2ELNS1_3repE0EEENS1_38merge_mergepath_config_static_selectorELNS0_4arch9wavefront6targetE0EEEvSK_,comdat
	.protected	_ZN7rocprim17ROCPRIM_400000_NS6detail17trampoline_kernelINS0_14default_configENS1_38merge_sort_block_merge_config_selectorIyNS0_10empty_typeEEEZZNS1_27merge_sort_block_merge_implIS3_N6thrust23THRUST_200600_302600_NS6detail15normal_iteratorINS9_10device_ptrIyEEEEPS5_m9comp_mod3IyEEE10hipError_tT0_T1_T2_jT3_P12ihipStream_tbPNSt15iterator_traitsISJ_E10value_typeEPNSP_ISK_E10value_typeEPSL_NS1_7vsmem_tEENKUlT_SJ_SK_SL_E_clISE_PySF_SF_EESI_SY_SJ_SK_SL_EUlSY_E0_NS1_11comp_targetILNS1_3genE8ELNS1_11target_archE1030ELNS1_3gpuE2ELNS1_3repE0EEENS1_38merge_mergepath_config_static_selectorELNS0_4arch9wavefront6targetE0EEEvSK_ ; -- Begin function _ZN7rocprim17ROCPRIM_400000_NS6detail17trampoline_kernelINS0_14default_configENS1_38merge_sort_block_merge_config_selectorIyNS0_10empty_typeEEEZZNS1_27merge_sort_block_merge_implIS3_N6thrust23THRUST_200600_302600_NS6detail15normal_iteratorINS9_10device_ptrIyEEEEPS5_m9comp_mod3IyEEE10hipError_tT0_T1_T2_jT3_P12ihipStream_tbPNSt15iterator_traitsISJ_E10value_typeEPNSP_ISK_E10value_typeEPSL_NS1_7vsmem_tEENKUlT_SJ_SK_SL_E_clISE_PySF_SF_EESI_SY_SJ_SK_SL_EUlSY_E0_NS1_11comp_targetILNS1_3genE8ELNS1_11target_archE1030ELNS1_3gpuE2ELNS1_3repE0EEENS1_38merge_mergepath_config_static_selectorELNS0_4arch9wavefront6targetE0EEEvSK_
	.globl	_ZN7rocprim17ROCPRIM_400000_NS6detail17trampoline_kernelINS0_14default_configENS1_38merge_sort_block_merge_config_selectorIyNS0_10empty_typeEEEZZNS1_27merge_sort_block_merge_implIS3_N6thrust23THRUST_200600_302600_NS6detail15normal_iteratorINS9_10device_ptrIyEEEEPS5_m9comp_mod3IyEEE10hipError_tT0_T1_T2_jT3_P12ihipStream_tbPNSt15iterator_traitsISJ_E10value_typeEPNSP_ISK_E10value_typeEPSL_NS1_7vsmem_tEENKUlT_SJ_SK_SL_E_clISE_PySF_SF_EESI_SY_SJ_SK_SL_EUlSY_E0_NS1_11comp_targetILNS1_3genE8ELNS1_11target_archE1030ELNS1_3gpuE2ELNS1_3repE0EEENS1_38merge_mergepath_config_static_selectorELNS0_4arch9wavefront6targetE0EEEvSK_
	.p2align	8
	.type	_ZN7rocprim17ROCPRIM_400000_NS6detail17trampoline_kernelINS0_14default_configENS1_38merge_sort_block_merge_config_selectorIyNS0_10empty_typeEEEZZNS1_27merge_sort_block_merge_implIS3_N6thrust23THRUST_200600_302600_NS6detail15normal_iteratorINS9_10device_ptrIyEEEEPS5_m9comp_mod3IyEEE10hipError_tT0_T1_T2_jT3_P12ihipStream_tbPNSt15iterator_traitsISJ_E10value_typeEPNSP_ISK_E10value_typeEPSL_NS1_7vsmem_tEENKUlT_SJ_SK_SL_E_clISE_PySF_SF_EESI_SY_SJ_SK_SL_EUlSY_E0_NS1_11comp_targetILNS1_3genE8ELNS1_11target_archE1030ELNS1_3gpuE2ELNS1_3repE0EEENS1_38merge_mergepath_config_static_selectorELNS0_4arch9wavefront6targetE0EEEvSK_,@function
_ZN7rocprim17ROCPRIM_400000_NS6detail17trampoline_kernelINS0_14default_configENS1_38merge_sort_block_merge_config_selectorIyNS0_10empty_typeEEEZZNS1_27merge_sort_block_merge_implIS3_N6thrust23THRUST_200600_302600_NS6detail15normal_iteratorINS9_10device_ptrIyEEEEPS5_m9comp_mod3IyEEE10hipError_tT0_T1_T2_jT3_P12ihipStream_tbPNSt15iterator_traitsISJ_E10value_typeEPNSP_ISK_E10value_typeEPSL_NS1_7vsmem_tEENKUlT_SJ_SK_SL_E_clISE_PySF_SF_EESI_SY_SJ_SK_SL_EUlSY_E0_NS1_11comp_targetILNS1_3genE8ELNS1_11target_archE1030ELNS1_3gpuE2ELNS1_3repE0EEENS1_38merge_mergepath_config_static_selectorELNS0_4arch9wavefront6targetE0EEEvSK_: ; @_ZN7rocprim17ROCPRIM_400000_NS6detail17trampoline_kernelINS0_14default_configENS1_38merge_sort_block_merge_config_selectorIyNS0_10empty_typeEEEZZNS1_27merge_sort_block_merge_implIS3_N6thrust23THRUST_200600_302600_NS6detail15normal_iteratorINS9_10device_ptrIyEEEEPS5_m9comp_mod3IyEEE10hipError_tT0_T1_T2_jT3_P12ihipStream_tbPNSt15iterator_traitsISJ_E10value_typeEPNSP_ISK_E10value_typeEPSL_NS1_7vsmem_tEENKUlT_SJ_SK_SL_E_clISE_PySF_SF_EESI_SY_SJ_SK_SL_EUlSY_E0_NS1_11comp_targetILNS1_3genE8ELNS1_11target_archE1030ELNS1_3gpuE2ELNS1_3repE0EEENS1_38merge_mergepath_config_static_selectorELNS0_4arch9wavefront6targetE0EEEvSK_
; %bb.0:
	s_clause 0x1
	s_load_dwordx2 s[0:1], s[4:5], 0x50
	s_load_dword s2, s[4:5], 0x38
	s_waitcnt lgkmcnt(0)
	s_mul_i32 s1, s1, s8
	s_add_i32 s1, s1, s7
	s_mul_i32 s0, s1, s0
	s_add_i32 s16, s0, s6
	s_cmp_ge_u32 s16, s2
	s_cbranch_scc1 .LBB798_28
; %bb.1:
	s_clause 0x1
	s_load_dwordx2 s[0:1], s[4:5], 0x48
	s_load_dwordx4 s[8:11], s[4:5], 0x28
	s_mov_b32 s17, 0
	s_lshl_b64 s[2:3], s[16:17], 3
	s_waitcnt lgkmcnt(0)
	s_add_u32 s0, s0, s2
	s_addc_u32 s1, s1, s3
	s_lshl_b64 s[6:7], s[16:17], 10
	s_load_dwordx4 s[12:15], s[0:1], 0x0
	s_lshr_b64 s[0:1], s[10:11], 9
	s_mov_b32 s1, s17
	s_and_b32 s0, s0, -2
	s_sub_i32 s25, 0, s0
	s_and_b32 s0, s16, s25
	s_lshl_b64 s[18:19], s[0:1], 10
	s_sub_u32 s22, s6, s18
	s_subb_u32 s26, s7, s19
	s_lshl_b64 s[20:21], s[0:1], 11
	s_load_dwordx4 s[0:3], s[4:5], 0x8
	s_add_u32 s23, s20, s10
	s_addc_u32 s24, s21, s11
	s_add_u32 s20, s23, s22
	s_addc_u32 s21, s24, s26
	s_waitcnt lgkmcnt(0)
	s_sub_u32 s22, s20, s14
	s_subb_u32 s15, s21, s15
	s_add_u32 s26, s22, 0x400
	s_addc_u32 s27, s15, 0
	v_cmp_lt_u64_e64 s15, s[8:9], s[26:27]
	s_and_b32 s15, s15, exec_lo
	s_cselect_b32 s22, s8, s26
	s_or_b32 s15, s16, s25
	s_cmp_lg_u32 s15, -1
	s_mov_b32 s15, -1
	s_cbranch_scc1 .LBB798_3
; %bb.2:
	s_sub_u32 s18, s23, s18
	s_subb_u32 s19, s24, s19
	v_cmp_lt_u64_e64 s14, s[8:9], s[18:19]
	s_and_b32 s14, s14, exec_lo
	s_cselect_b32 s14, s8, s18
	s_add_u32 s10, s18, s10
	s_addc_u32 s11, s19, s11
	v_cmp_lt_u64_e64 s11, s[8:9], s[10:11]
	s_and_b32 s11, s11, exec_lo
	s_cselect_b32 s22, s8, s10
.LBB798_3:
	s_lshr_b64 s[24:25], s[8:9], 10
	v_lshlrev_b32_e32 v5, 3, v0
	s_cmp_lg_u64 s[24:25], s[16:17]
	s_cselect_b32 s10, -1, 0
	s_sub_u32 s18, s20, s12
	s_subb_u32 s19, s21, s13
	v_cmp_lt_u64_e64 s11, s[8:9], s[18:19]
	s_and_b32 s11, s11, exec_lo
	s_cselect_b32 s20, s8, s18
	s_cselect_b32 s21, s9, s19
	s_sub_i32 s9, s14, s12
	s_lshl_b64 s[12:13], s[12:13], 3
	s_sub_i32 s11, s22, s20
	s_add_u32 s14, s0, s12
	s_addc_u32 s18, s1, s13
	s_lshl_b64 s[12:13], s[20:21], 3
	s_add_u32 s12, s0, s12
	s_addc_u32 s13, s1, s13
	s_cmp_eq_u64 s[24:25], s[16:17]
	s_cbranch_scc1 .LBB798_5
; %bb.4:
	v_sub_co_u32 v1, vcc_lo, v0, s9
	v_mov_b32_e32 v2, 0
	v_add_co_u32 v3, s0, s14, v5
	v_add_co_ci_u32_e64 v4, null, s18, 0, s0
	v_lshlrev_b64 v[1:2], 3, v[1:2]
	s_add_i32 s1, s9, s11
	s_mov_b32 s17, -1
	v_add_co_u32 v1, s0, s12, v1
	v_add_co_ci_u32_e64 v2, null, s13, v2, s0
	v_cndmask_b32_e32 v3, v1, v3, vcc_lo
	v_cndmask_b32_e32 v4, v2, v4, vcc_lo
	s_cbranch_execz .LBB798_6
	s_branch .LBB798_9
.LBB798_5:
                                        ; implicit-def: $vgpr3_vgpr4
                                        ; implicit-def: $sgpr1
	s_andn2_b32 vcc_lo, exec_lo, s15
	s_cbranch_vccnz .LBB798_9
.LBB798_6:
	s_add_i32 s1, s9, s11
	s_mov_b32 s15, exec_lo
                                        ; implicit-def: $vgpr3_vgpr4
	v_cmpx_gt_u32_e64 s1, v0
	s_cbranch_execz .LBB798_8
; %bb.7:
	v_sub_co_u32 v1, vcc_lo, v0, s9
	v_mov_b32_e32 v2, 0
	v_add_co_u32 v3, s0, s14, v5
	v_add_co_ci_u32_e64 v4, null, s18, 0, s0
	v_lshlrev_b64 v[1:2], 3, v[1:2]
	s_or_b32 s17, s17, exec_lo
	v_add_co_u32 v1, s0, s12, v1
	v_add_co_ci_u32_e64 v2, null, s13, v2, s0
	v_cndmask_b32_e32 v3, v1, v3, vcc_lo
	v_cndmask_b32_e32 v4, v2, v4, vcc_lo
.LBB798_8:
	s_or_b32 exec_lo, exec_lo, s15
.LBB798_9:
	s_load_dwordx2 s[4:5], s[4:5], 0x40
	v_mov_b32_e32 v6, s1
                                        ; implicit-def: $vgpr1_vgpr2
	s_and_saveexec_b32 s0, s17
	s_cbranch_execz .LBB798_11
; %bb.10:
	global_load_dwordx2 v[1:2], v[3:4], off
	v_mov_b32_e32 v6, s1
.LBB798_11:
	s_or_b32 exec_lo, exec_lo, s0
	v_min_u32_e32 v8, v6, v0
	s_mov_b32 s0, exec_lo
	s_waitcnt vmcnt(0)
	ds_write_b64 v5, v[1:2]
	s_waitcnt lgkmcnt(0)
	s_barrier
	v_sub_nc_u32_e64 v7, v8, s11 clamp
	v_min_u32_e32 v9, s9, v8
	buffer_gl0_inv
	v_cmpx_lt_u32_e64 v7, v9
	s_cbranch_execz .LBB798_15
; %bb.12:
	v_lshlrev_b32_e32 v3, 3, v8
	s_mov_b32 s1, 0
	v_lshl_add_u32 v10, s9, 3, v3
	v_mov_b32_e32 v3, 0
	s_inst_prefetch 0x1
	.p2align	6
.LBB798_13:                             ; =>This Inner Loop Header: Depth=1
	v_add_nc_u32_e32 v4, v9, v7
	v_lshrrev_b32_e32 v15, 1, v4
	v_not_b32_e32 v4, v15
	v_lshlrev_b32_e32 v13, 3, v15
	v_lshl_add_u32 v4, v4, 3, v10
	ds_read_b32 v4, v4
	s_waitcnt lgkmcnt(0)
	v_ashrrev_i64 v[11:12], 29, v[3:4]
	ds_read_b32 v4, v13
	v_add_co_u32 v11, vcc_lo, s4, v11
	v_add_co_ci_u32_e64 v12, null, s5, v12, vcc_lo
	s_waitcnt lgkmcnt(0)
	v_ashrrev_i64 v[13:14], 29, v[3:4]
	v_add_nc_u32_e32 v4, 1, v15
	v_add_co_u32 v13, vcc_lo, s4, v13
	v_add_co_ci_u32_e64 v14, null, s5, v14, vcc_lo
	s_clause 0x1
	global_load_dwordx2 v[11:12], v[11:12], off
	global_load_dwordx2 v[13:14], v[13:14], off
	s_waitcnt vmcnt(0)
	v_cmp_lt_u64_e32 vcc_lo, v[11:12], v[13:14]
	v_cndmask_b32_e32 v9, v9, v15, vcc_lo
	v_cndmask_b32_e32 v7, v4, v7, vcc_lo
	v_cmp_ge_u32_e32 vcc_lo, v7, v9
	s_or_b32 s1, vcc_lo, s1
	s_andn2_b32 exec_lo, exec_lo, s1
	s_cbranch_execnz .LBB798_13
; %bb.14:
	s_inst_prefetch 0x2
	s_or_b32 exec_lo, exec_lo, s1
.LBB798_15:
	s_or_b32 exec_lo, exec_lo, s0
	v_sub_nc_u32_e32 v3, v8, v7
	v_cmp_ge_u32_e32 vcc_lo, s9, v7
	v_add_nc_u32_e32 v8, s9, v3
	v_cmp_le_u32_e64 s0, v8, v6
	s_or_b32 s0, vcc_lo, s0
	s_and_saveexec_b32 s1, s0
	s_cbranch_execz .LBB798_23
; %bb.16:
	v_cmp_gt_u32_e64 s0, s9, v7
	v_cmp_le_u32_e32 vcc_lo, s9, v7
                                        ; implicit-def: $vgpr1_vgpr2
	s_and_saveexec_b32 s9, s0
; %bb.17:
	v_lshlrev_b32_e32 v1, 3, v7
	ds_read_b64 v[1:2], v1
; %bb.18:
	s_or_b32 exec_lo, exec_lo, s9
	v_cmp_ge_u32_e64 s9, v8, v6
	s_mov_b32 s11, exec_lo
                                        ; implicit-def: $vgpr3_vgpr4
	v_cmpx_lt_u32_e64 v8, v6
; %bb.19:
	v_lshlrev_b32_e32 v3, 3, v8
	ds_read_b64 v[3:4], v3
; %bb.20:
	s_or_b32 exec_lo, exec_lo, s11
	s_nor_b32 s11, vcc_lo, s9
	s_and_saveexec_b32 s0, s11
	s_cbranch_execz .LBB798_22
; %bb.21:
	v_mov_b32_e32 v6, 0
	s_waitcnt lgkmcnt(0)
	v_mov_b32_e32 v7, v3
	v_ashrrev_i64 v[8:9], 29, v[6:7]
	v_mov_b32_e32 v7, v1
	v_ashrrev_i64 v[6:7], 29, v[6:7]
	v_add_co_u32 v8, vcc_lo, s4, v8
	v_add_co_ci_u32_e64 v9, null, s5, v9, vcc_lo
	v_add_co_u32 v6, vcc_lo, s4, v6
	v_add_co_ci_u32_e64 v7, null, s5, v7, vcc_lo
	s_clause 0x1
	global_load_dwordx2 v[8:9], v[8:9], off
	global_load_dwordx2 v[6:7], v[6:7], off
	s_andn2_b32 s4, s9, exec_lo
	s_waitcnt vmcnt(0)
	v_cmp_ge_u64_e32 vcc_lo, v[8:9], v[6:7]
	s_and_b32 s5, vcc_lo, exec_lo
	s_or_b32 s9, s4, s5
.LBB798_22:
	s_or_b32 exec_lo, exec_lo, s0
	s_waitcnt lgkmcnt(0)
	v_cndmask_b32_e64 v2, v4, v2, s9
	v_cndmask_b32_e64 v1, v3, v1, s9
.LBB798_23:
	s_or_b32 exec_lo, exec_lo, s1
	s_and_b32 vcc_lo, exec_lo, s10
	s_mov_b32 s0, -1
	s_barrier
	buffer_gl0_inv
	s_barrier
	buffer_gl0_inv
	s_cbranch_vccz .LBB798_25
; %bb.24:
	ds_write_b64 v5, v[1:2]
	s_waitcnt lgkmcnt(0)
	s_barrier
	buffer_gl0_inv
	ds_read_b64 v[3:4], v5
	s_lshl_b64 s[0:1], s[6:7], 3
	s_add_u32 s4, s2, s0
	s_addc_u32 s5, s3, s1
	s_mov_b32 s0, 0
	s_waitcnt lgkmcnt(0)
	global_store_dwordx2 v5, v[3:4], s[4:5]
.LBB798_25:
	s_andn2_b32 vcc_lo, exec_lo, s0
	s_cbranch_vccnz .LBB798_28
; %bb.26:
	s_sub_i32 s0, s8, s6
	ds_write_b64 v5, v[1:2]
	v_cmp_gt_u32_e32 vcc_lo, s0, v0
	s_waitcnt lgkmcnt(0)
	s_waitcnt_vscnt null, 0x0
	s_barrier
	buffer_gl0_inv
	s_and_saveexec_b32 s0, vcc_lo
	s_cbranch_execz .LBB798_28
; %bb.27:
	ds_read_b64 v[0:1], v5
	s_lshl_b64 s[0:1], s[6:7], 3
	s_add_u32 s0, s2, s0
	s_addc_u32 s1, s3, s1
	s_waitcnt lgkmcnt(0)
	global_store_dwordx2 v5, v[0:1], s[0:1]
.LBB798_28:
	s_endpgm
	.section	.rodata,"a",@progbits
	.p2align	6, 0x0
	.amdhsa_kernel _ZN7rocprim17ROCPRIM_400000_NS6detail17trampoline_kernelINS0_14default_configENS1_38merge_sort_block_merge_config_selectorIyNS0_10empty_typeEEEZZNS1_27merge_sort_block_merge_implIS3_N6thrust23THRUST_200600_302600_NS6detail15normal_iteratorINS9_10device_ptrIyEEEEPS5_m9comp_mod3IyEEE10hipError_tT0_T1_T2_jT3_P12ihipStream_tbPNSt15iterator_traitsISJ_E10value_typeEPNSP_ISK_E10value_typeEPSL_NS1_7vsmem_tEENKUlT_SJ_SK_SL_E_clISE_PySF_SF_EESI_SY_SJ_SK_SL_EUlSY_E0_NS1_11comp_targetILNS1_3genE8ELNS1_11target_archE1030ELNS1_3gpuE2ELNS1_3repE0EEENS1_38merge_mergepath_config_static_selectorELNS0_4arch9wavefront6targetE0EEEvSK_
		.amdhsa_group_segment_fixed_size 8208
		.amdhsa_private_segment_fixed_size 0
		.amdhsa_kernarg_size 336
		.amdhsa_user_sgpr_count 6
		.amdhsa_user_sgpr_private_segment_buffer 1
		.amdhsa_user_sgpr_dispatch_ptr 0
		.amdhsa_user_sgpr_queue_ptr 0
		.amdhsa_user_sgpr_kernarg_segment_ptr 1
		.amdhsa_user_sgpr_dispatch_id 0
		.amdhsa_user_sgpr_flat_scratch_init 0
		.amdhsa_user_sgpr_private_segment_size 0
		.amdhsa_wavefront_size32 1
		.amdhsa_uses_dynamic_stack 0
		.amdhsa_system_sgpr_private_segment_wavefront_offset 0
		.amdhsa_system_sgpr_workgroup_id_x 1
		.amdhsa_system_sgpr_workgroup_id_y 1
		.amdhsa_system_sgpr_workgroup_id_z 1
		.amdhsa_system_sgpr_workgroup_info 0
		.amdhsa_system_vgpr_workitem_id 0
		.amdhsa_next_free_vgpr 16
		.amdhsa_next_free_sgpr 28
		.amdhsa_reserve_vcc 1
		.amdhsa_reserve_flat_scratch 0
		.amdhsa_float_round_mode_32 0
		.amdhsa_float_round_mode_16_64 0
		.amdhsa_float_denorm_mode_32 3
		.amdhsa_float_denorm_mode_16_64 3
		.amdhsa_dx10_clamp 1
		.amdhsa_ieee_mode 1
		.amdhsa_fp16_overflow 0
		.amdhsa_workgroup_processor_mode 1
		.amdhsa_memory_ordered 1
		.amdhsa_forward_progress 1
		.amdhsa_shared_vgpr_count 0
		.amdhsa_exception_fp_ieee_invalid_op 0
		.amdhsa_exception_fp_denorm_src 0
		.amdhsa_exception_fp_ieee_div_zero 0
		.amdhsa_exception_fp_ieee_overflow 0
		.amdhsa_exception_fp_ieee_underflow 0
		.amdhsa_exception_fp_ieee_inexact 0
		.amdhsa_exception_int_div_zero 0
	.end_amdhsa_kernel
	.section	.text._ZN7rocprim17ROCPRIM_400000_NS6detail17trampoline_kernelINS0_14default_configENS1_38merge_sort_block_merge_config_selectorIyNS0_10empty_typeEEEZZNS1_27merge_sort_block_merge_implIS3_N6thrust23THRUST_200600_302600_NS6detail15normal_iteratorINS9_10device_ptrIyEEEEPS5_m9comp_mod3IyEEE10hipError_tT0_T1_T2_jT3_P12ihipStream_tbPNSt15iterator_traitsISJ_E10value_typeEPNSP_ISK_E10value_typeEPSL_NS1_7vsmem_tEENKUlT_SJ_SK_SL_E_clISE_PySF_SF_EESI_SY_SJ_SK_SL_EUlSY_E0_NS1_11comp_targetILNS1_3genE8ELNS1_11target_archE1030ELNS1_3gpuE2ELNS1_3repE0EEENS1_38merge_mergepath_config_static_selectorELNS0_4arch9wavefront6targetE0EEEvSK_,"axG",@progbits,_ZN7rocprim17ROCPRIM_400000_NS6detail17trampoline_kernelINS0_14default_configENS1_38merge_sort_block_merge_config_selectorIyNS0_10empty_typeEEEZZNS1_27merge_sort_block_merge_implIS3_N6thrust23THRUST_200600_302600_NS6detail15normal_iteratorINS9_10device_ptrIyEEEEPS5_m9comp_mod3IyEEE10hipError_tT0_T1_T2_jT3_P12ihipStream_tbPNSt15iterator_traitsISJ_E10value_typeEPNSP_ISK_E10value_typeEPSL_NS1_7vsmem_tEENKUlT_SJ_SK_SL_E_clISE_PySF_SF_EESI_SY_SJ_SK_SL_EUlSY_E0_NS1_11comp_targetILNS1_3genE8ELNS1_11target_archE1030ELNS1_3gpuE2ELNS1_3repE0EEENS1_38merge_mergepath_config_static_selectorELNS0_4arch9wavefront6targetE0EEEvSK_,comdat
.Lfunc_end798:
	.size	_ZN7rocprim17ROCPRIM_400000_NS6detail17trampoline_kernelINS0_14default_configENS1_38merge_sort_block_merge_config_selectorIyNS0_10empty_typeEEEZZNS1_27merge_sort_block_merge_implIS3_N6thrust23THRUST_200600_302600_NS6detail15normal_iteratorINS9_10device_ptrIyEEEEPS5_m9comp_mod3IyEEE10hipError_tT0_T1_T2_jT3_P12ihipStream_tbPNSt15iterator_traitsISJ_E10value_typeEPNSP_ISK_E10value_typeEPSL_NS1_7vsmem_tEENKUlT_SJ_SK_SL_E_clISE_PySF_SF_EESI_SY_SJ_SK_SL_EUlSY_E0_NS1_11comp_targetILNS1_3genE8ELNS1_11target_archE1030ELNS1_3gpuE2ELNS1_3repE0EEENS1_38merge_mergepath_config_static_selectorELNS0_4arch9wavefront6targetE0EEEvSK_, .Lfunc_end798-_ZN7rocprim17ROCPRIM_400000_NS6detail17trampoline_kernelINS0_14default_configENS1_38merge_sort_block_merge_config_selectorIyNS0_10empty_typeEEEZZNS1_27merge_sort_block_merge_implIS3_N6thrust23THRUST_200600_302600_NS6detail15normal_iteratorINS9_10device_ptrIyEEEEPS5_m9comp_mod3IyEEE10hipError_tT0_T1_T2_jT3_P12ihipStream_tbPNSt15iterator_traitsISJ_E10value_typeEPNSP_ISK_E10value_typeEPSL_NS1_7vsmem_tEENKUlT_SJ_SK_SL_E_clISE_PySF_SF_EESI_SY_SJ_SK_SL_EUlSY_E0_NS1_11comp_targetILNS1_3genE8ELNS1_11target_archE1030ELNS1_3gpuE2ELNS1_3repE0EEENS1_38merge_mergepath_config_static_selectorELNS0_4arch9wavefront6targetE0EEEvSK_
                                        ; -- End function
	.set _ZN7rocprim17ROCPRIM_400000_NS6detail17trampoline_kernelINS0_14default_configENS1_38merge_sort_block_merge_config_selectorIyNS0_10empty_typeEEEZZNS1_27merge_sort_block_merge_implIS3_N6thrust23THRUST_200600_302600_NS6detail15normal_iteratorINS9_10device_ptrIyEEEEPS5_m9comp_mod3IyEEE10hipError_tT0_T1_T2_jT3_P12ihipStream_tbPNSt15iterator_traitsISJ_E10value_typeEPNSP_ISK_E10value_typeEPSL_NS1_7vsmem_tEENKUlT_SJ_SK_SL_E_clISE_PySF_SF_EESI_SY_SJ_SK_SL_EUlSY_E0_NS1_11comp_targetILNS1_3genE8ELNS1_11target_archE1030ELNS1_3gpuE2ELNS1_3repE0EEENS1_38merge_mergepath_config_static_selectorELNS0_4arch9wavefront6targetE0EEEvSK_.num_vgpr, 16
	.set _ZN7rocprim17ROCPRIM_400000_NS6detail17trampoline_kernelINS0_14default_configENS1_38merge_sort_block_merge_config_selectorIyNS0_10empty_typeEEEZZNS1_27merge_sort_block_merge_implIS3_N6thrust23THRUST_200600_302600_NS6detail15normal_iteratorINS9_10device_ptrIyEEEEPS5_m9comp_mod3IyEEE10hipError_tT0_T1_T2_jT3_P12ihipStream_tbPNSt15iterator_traitsISJ_E10value_typeEPNSP_ISK_E10value_typeEPSL_NS1_7vsmem_tEENKUlT_SJ_SK_SL_E_clISE_PySF_SF_EESI_SY_SJ_SK_SL_EUlSY_E0_NS1_11comp_targetILNS1_3genE8ELNS1_11target_archE1030ELNS1_3gpuE2ELNS1_3repE0EEENS1_38merge_mergepath_config_static_selectorELNS0_4arch9wavefront6targetE0EEEvSK_.num_agpr, 0
	.set _ZN7rocprim17ROCPRIM_400000_NS6detail17trampoline_kernelINS0_14default_configENS1_38merge_sort_block_merge_config_selectorIyNS0_10empty_typeEEEZZNS1_27merge_sort_block_merge_implIS3_N6thrust23THRUST_200600_302600_NS6detail15normal_iteratorINS9_10device_ptrIyEEEEPS5_m9comp_mod3IyEEE10hipError_tT0_T1_T2_jT3_P12ihipStream_tbPNSt15iterator_traitsISJ_E10value_typeEPNSP_ISK_E10value_typeEPSL_NS1_7vsmem_tEENKUlT_SJ_SK_SL_E_clISE_PySF_SF_EESI_SY_SJ_SK_SL_EUlSY_E0_NS1_11comp_targetILNS1_3genE8ELNS1_11target_archE1030ELNS1_3gpuE2ELNS1_3repE0EEENS1_38merge_mergepath_config_static_selectorELNS0_4arch9wavefront6targetE0EEEvSK_.numbered_sgpr, 28
	.set _ZN7rocprim17ROCPRIM_400000_NS6detail17trampoline_kernelINS0_14default_configENS1_38merge_sort_block_merge_config_selectorIyNS0_10empty_typeEEEZZNS1_27merge_sort_block_merge_implIS3_N6thrust23THRUST_200600_302600_NS6detail15normal_iteratorINS9_10device_ptrIyEEEEPS5_m9comp_mod3IyEEE10hipError_tT0_T1_T2_jT3_P12ihipStream_tbPNSt15iterator_traitsISJ_E10value_typeEPNSP_ISK_E10value_typeEPSL_NS1_7vsmem_tEENKUlT_SJ_SK_SL_E_clISE_PySF_SF_EESI_SY_SJ_SK_SL_EUlSY_E0_NS1_11comp_targetILNS1_3genE8ELNS1_11target_archE1030ELNS1_3gpuE2ELNS1_3repE0EEENS1_38merge_mergepath_config_static_selectorELNS0_4arch9wavefront6targetE0EEEvSK_.num_named_barrier, 0
	.set _ZN7rocprim17ROCPRIM_400000_NS6detail17trampoline_kernelINS0_14default_configENS1_38merge_sort_block_merge_config_selectorIyNS0_10empty_typeEEEZZNS1_27merge_sort_block_merge_implIS3_N6thrust23THRUST_200600_302600_NS6detail15normal_iteratorINS9_10device_ptrIyEEEEPS5_m9comp_mod3IyEEE10hipError_tT0_T1_T2_jT3_P12ihipStream_tbPNSt15iterator_traitsISJ_E10value_typeEPNSP_ISK_E10value_typeEPSL_NS1_7vsmem_tEENKUlT_SJ_SK_SL_E_clISE_PySF_SF_EESI_SY_SJ_SK_SL_EUlSY_E0_NS1_11comp_targetILNS1_3genE8ELNS1_11target_archE1030ELNS1_3gpuE2ELNS1_3repE0EEENS1_38merge_mergepath_config_static_selectorELNS0_4arch9wavefront6targetE0EEEvSK_.private_seg_size, 0
	.set _ZN7rocprim17ROCPRIM_400000_NS6detail17trampoline_kernelINS0_14default_configENS1_38merge_sort_block_merge_config_selectorIyNS0_10empty_typeEEEZZNS1_27merge_sort_block_merge_implIS3_N6thrust23THRUST_200600_302600_NS6detail15normal_iteratorINS9_10device_ptrIyEEEEPS5_m9comp_mod3IyEEE10hipError_tT0_T1_T2_jT3_P12ihipStream_tbPNSt15iterator_traitsISJ_E10value_typeEPNSP_ISK_E10value_typeEPSL_NS1_7vsmem_tEENKUlT_SJ_SK_SL_E_clISE_PySF_SF_EESI_SY_SJ_SK_SL_EUlSY_E0_NS1_11comp_targetILNS1_3genE8ELNS1_11target_archE1030ELNS1_3gpuE2ELNS1_3repE0EEENS1_38merge_mergepath_config_static_selectorELNS0_4arch9wavefront6targetE0EEEvSK_.uses_vcc, 1
	.set _ZN7rocprim17ROCPRIM_400000_NS6detail17trampoline_kernelINS0_14default_configENS1_38merge_sort_block_merge_config_selectorIyNS0_10empty_typeEEEZZNS1_27merge_sort_block_merge_implIS3_N6thrust23THRUST_200600_302600_NS6detail15normal_iteratorINS9_10device_ptrIyEEEEPS5_m9comp_mod3IyEEE10hipError_tT0_T1_T2_jT3_P12ihipStream_tbPNSt15iterator_traitsISJ_E10value_typeEPNSP_ISK_E10value_typeEPSL_NS1_7vsmem_tEENKUlT_SJ_SK_SL_E_clISE_PySF_SF_EESI_SY_SJ_SK_SL_EUlSY_E0_NS1_11comp_targetILNS1_3genE8ELNS1_11target_archE1030ELNS1_3gpuE2ELNS1_3repE0EEENS1_38merge_mergepath_config_static_selectorELNS0_4arch9wavefront6targetE0EEEvSK_.uses_flat_scratch, 0
	.set _ZN7rocprim17ROCPRIM_400000_NS6detail17trampoline_kernelINS0_14default_configENS1_38merge_sort_block_merge_config_selectorIyNS0_10empty_typeEEEZZNS1_27merge_sort_block_merge_implIS3_N6thrust23THRUST_200600_302600_NS6detail15normal_iteratorINS9_10device_ptrIyEEEEPS5_m9comp_mod3IyEEE10hipError_tT0_T1_T2_jT3_P12ihipStream_tbPNSt15iterator_traitsISJ_E10value_typeEPNSP_ISK_E10value_typeEPSL_NS1_7vsmem_tEENKUlT_SJ_SK_SL_E_clISE_PySF_SF_EESI_SY_SJ_SK_SL_EUlSY_E0_NS1_11comp_targetILNS1_3genE8ELNS1_11target_archE1030ELNS1_3gpuE2ELNS1_3repE0EEENS1_38merge_mergepath_config_static_selectorELNS0_4arch9wavefront6targetE0EEEvSK_.has_dyn_sized_stack, 0
	.set _ZN7rocprim17ROCPRIM_400000_NS6detail17trampoline_kernelINS0_14default_configENS1_38merge_sort_block_merge_config_selectorIyNS0_10empty_typeEEEZZNS1_27merge_sort_block_merge_implIS3_N6thrust23THRUST_200600_302600_NS6detail15normal_iteratorINS9_10device_ptrIyEEEEPS5_m9comp_mod3IyEEE10hipError_tT0_T1_T2_jT3_P12ihipStream_tbPNSt15iterator_traitsISJ_E10value_typeEPNSP_ISK_E10value_typeEPSL_NS1_7vsmem_tEENKUlT_SJ_SK_SL_E_clISE_PySF_SF_EESI_SY_SJ_SK_SL_EUlSY_E0_NS1_11comp_targetILNS1_3genE8ELNS1_11target_archE1030ELNS1_3gpuE2ELNS1_3repE0EEENS1_38merge_mergepath_config_static_selectorELNS0_4arch9wavefront6targetE0EEEvSK_.has_recursion, 0
	.set _ZN7rocprim17ROCPRIM_400000_NS6detail17trampoline_kernelINS0_14default_configENS1_38merge_sort_block_merge_config_selectorIyNS0_10empty_typeEEEZZNS1_27merge_sort_block_merge_implIS3_N6thrust23THRUST_200600_302600_NS6detail15normal_iteratorINS9_10device_ptrIyEEEEPS5_m9comp_mod3IyEEE10hipError_tT0_T1_T2_jT3_P12ihipStream_tbPNSt15iterator_traitsISJ_E10value_typeEPNSP_ISK_E10value_typeEPSL_NS1_7vsmem_tEENKUlT_SJ_SK_SL_E_clISE_PySF_SF_EESI_SY_SJ_SK_SL_EUlSY_E0_NS1_11comp_targetILNS1_3genE8ELNS1_11target_archE1030ELNS1_3gpuE2ELNS1_3repE0EEENS1_38merge_mergepath_config_static_selectorELNS0_4arch9wavefront6targetE0EEEvSK_.has_indirect_call, 0
	.section	.AMDGPU.csdata,"",@progbits
; Kernel info:
; codeLenInByte = 1232
; TotalNumSgprs: 30
; NumVgprs: 16
; ScratchSize: 0
; MemoryBound: 0
; FloatMode: 240
; IeeeMode: 1
; LDSByteSize: 8208 bytes/workgroup (compile time only)
; SGPRBlocks: 0
; VGPRBlocks: 1
; NumSGPRsForWavesPerEU: 30
; NumVGPRsForWavesPerEU: 16
; Occupancy: 16
; WaveLimiterHint : 0
; COMPUTE_PGM_RSRC2:SCRATCH_EN: 0
; COMPUTE_PGM_RSRC2:USER_SGPR: 6
; COMPUTE_PGM_RSRC2:TRAP_HANDLER: 0
; COMPUTE_PGM_RSRC2:TGID_X_EN: 1
; COMPUTE_PGM_RSRC2:TGID_Y_EN: 1
; COMPUTE_PGM_RSRC2:TGID_Z_EN: 1
; COMPUTE_PGM_RSRC2:TIDIG_COMP_CNT: 0
	.section	.text._ZN7rocprim17ROCPRIM_400000_NS6detail17trampoline_kernelINS0_14default_configENS1_38merge_sort_block_merge_config_selectorIyNS0_10empty_typeEEEZZNS1_27merge_sort_block_merge_implIS3_N6thrust23THRUST_200600_302600_NS6detail15normal_iteratorINS9_10device_ptrIyEEEEPS5_m9comp_mod3IyEEE10hipError_tT0_T1_T2_jT3_P12ihipStream_tbPNSt15iterator_traitsISJ_E10value_typeEPNSP_ISK_E10value_typeEPSL_NS1_7vsmem_tEENKUlT_SJ_SK_SL_E_clISE_PySF_SF_EESI_SY_SJ_SK_SL_EUlSY_E1_NS1_11comp_targetILNS1_3genE0ELNS1_11target_archE4294967295ELNS1_3gpuE0ELNS1_3repE0EEENS1_36merge_oddeven_config_static_selectorELNS0_4arch9wavefront6targetE0EEEvSK_,"axG",@progbits,_ZN7rocprim17ROCPRIM_400000_NS6detail17trampoline_kernelINS0_14default_configENS1_38merge_sort_block_merge_config_selectorIyNS0_10empty_typeEEEZZNS1_27merge_sort_block_merge_implIS3_N6thrust23THRUST_200600_302600_NS6detail15normal_iteratorINS9_10device_ptrIyEEEEPS5_m9comp_mod3IyEEE10hipError_tT0_T1_T2_jT3_P12ihipStream_tbPNSt15iterator_traitsISJ_E10value_typeEPNSP_ISK_E10value_typeEPSL_NS1_7vsmem_tEENKUlT_SJ_SK_SL_E_clISE_PySF_SF_EESI_SY_SJ_SK_SL_EUlSY_E1_NS1_11comp_targetILNS1_3genE0ELNS1_11target_archE4294967295ELNS1_3gpuE0ELNS1_3repE0EEENS1_36merge_oddeven_config_static_selectorELNS0_4arch9wavefront6targetE0EEEvSK_,comdat
	.protected	_ZN7rocprim17ROCPRIM_400000_NS6detail17trampoline_kernelINS0_14default_configENS1_38merge_sort_block_merge_config_selectorIyNS0_10empty_typeEEEZZNS1_27merge_sort_block_merge_implIS3_N6thrust23THRUST_200600_302600_NS6detail15normal_iteratorINS9_10device_ptrIyEEEEPS5_m9comp_mod3IyEEE10hipError_tT0_T1_T2_jT3_P12ihipStream_tbPNSt15iterator_traitsISJ_E10value_typeEPNSP_ISK_E10value_typeEPSL_NS1_7vsmem_tEENKUlT_SJ_SK_SL_E_clISE_PySF_SF_EESI_SY_SJ_SK_SL_EUlSY_E1_NS1_11comp_targetILNS1_3genE0ELNS1_11target_archE4294967295ELNS1_3gpuE0ELNS1_3repE0EEENS1_36merge_oddeven_config_static_selectorELNS0_4arch9wavefront6targetE0EEEvSK_ ; -- Begin function _ZN7rocprim17ROCPRIM_400000_NS6detail17trampoline_kernelINS0_14default_configENS1_38merge_sort_block_merge_config_selectorIyNS0_10empty_typeEEEZZNS1_27merge_sort_block_merge_implIS3_N6thrust23THRUST_200600_302600_NS6detail15normal_iteratorINS9_10device_ptrIyEEEEPS5_m9comp_mod3IyEEE10hipError_tT0_T1_T2_jT3_P12ihipStream_tbPNSt15iterator_traitsISJ_E10value_typeEPNSP_ISK_E10value_typeEPSL_NS1_7vsmem_tEENKUlT_SJ_SK_SL_E_clISE_PySF_SF_EESI_SY_SJ_SK_SL_EUlSY_E1_NS1_11comp_targetILNS1_3genE0ELNS1_11target_archE4294967295ELNS1_3gpuE0ELNS1_3repE0EEENS1_36merge_oddeven_config_static_selectorELNS0_4arch9wavefront6targetE0EEEvSK_
	.globl	_ZN7rocprim17ROCPRIM_400000_NS6detail17trampoline_kernelINS0_14default_configENS1_38merge_sort_block_merge_config_selectorIyNS0_10empty_typeEEEZZNS1_27merge_sort_block_merge_implIS3_N6thrust23THRUST_200600_302600_NS6detail15normal_iteratorINS9_10device_ptrIyEEEEPS5_m9comp_mod3IyEEE10hipError_tT0_T1_T2_jT3_P12ihipStream_tbPNSt15iterator_traitsISJ_E10value_typeEPNSP_ISK_E10value_typeEPSL_NS1_7vsmem_tEENKUlT_SJ_SK_SL_E_clISE_PySF_SF_EESI_SY_SJ_SK_SL_EUlSY_E1_NS1_11comp_targetILNS1_3genE0ELNS1_11target_archE4294967295ELNS1_3gpuE0ELNS1_3repE0EEENS1_36merge_oddeven_config_static_selectorELNS0_4arch9wavefront6targetE0EEEvSK_
	.p2align	8
	.type	_ZN7rocprim17ROCPRIM_400000_NS6detail17trampoline_kernelINS0_14default_configENS1_38merge_sort_block_merge_config_selectorIyNS0_10empty_typeEEEZZNS1_27merge_sort_block_merge_implIS3_N6thrust23THRUST_200600_302600_NS6detail15normal_iteratorINS9_10device_ptrIyEEEEPS5_m9comp_mod3IyEEE10hipError_tT0_T1_T2_jT3_P12ihipStream_tbPNSt15iterator_traitsISJ_E10value_typeEPNSP_ISK_E10value_typeEPSL_NS1_7vsmem_tEENKUlT_SJ_SK_SL_E_clISE_PySF_SF_EESI_SY_SJ_SK_SL_EUlSY_E1_NS1_11comp_targetILNS1_3genE0ELNS1_11target_archE4294967295ELNS1_3gpuE0ELNS1_3repE0EEENS1_36merge_oddeven_config_static_selectorELNS0_4arch9wavefront6targetE0EEEvSK_,@function
_ZN7rocprim17ROCPRIM_400000_NS6detail17trampoline_kernelINS0_14default_configENS1_38merge_sort_block_merge_config_selectorIyNS0_10empty_typeEEEZZNS1_27merge_sort_block_merge_implIS3_N6thrust23THRUST_200600_302600_NS6detail15normal_iteratorINS9_10device_ptrIyEEEEPS5_m9comp_mod3IyEEE10hipError_tT0_T1_T2_jT3_P12ihipStream_tbPNSt15iterator_traitsISJ_E10value_typeEPNSP_ISK_E10value_typeEPSL_NS1_7vsmem_tEENKUlT_SJ_SK_SL_E_clISE_PySF_SF_EESI_SY_SJ_SK_SL_EUlSY_E1_NS1_11comp_targetILNS1_3genE0ELNS1_11target_archE4294967295ELNS1_3gpuE0ELNS1_3repE0EEENS1_36merge_oddeven_config_static_selectorELNS0_4arch9wavefront6targetE0EEEvSK_: ; @_ZN7rocprim17ROCPRIM_400000_NS6detail17trampoline_kernelINS0_14default_configENS1_38merge_sort_block_merge_config_selectorIyNS0_10empty_typeEEEZZNS1_27merge_sort_block_merge_implIS3_N6thrust23THRUST_200600_302600_NS6detail15normal_iteratorINS9_10device_ptrIyEEEEPS5_m9comp_mod3IyEEE10hipError_tT0_T1_T2_jT3_P12ihipStream_tbPNSt15iterator_traitsISJ_E10value_typeEPNSP_ISK_E10value_typeEPSL_NS1_7vsmem_tEENKUlT_SJ_SK_SL_E_clISE_PySF_SF_EESI_SY_SJ_SK_SL_EUlSY_E1_NS1_11comp_targetILNS1_3genE0ELNS1_11target_archE4294967295ELNS1_3gpuE0ELNS1_3repE0EEENS1_36merge_oddeven_config_static_selectorELNS0_4arch9wavefront6targetE0EEEvSK_
; %bb.0:
	.section	.rodata,"a",@progbits
	.p2align	6, 0x0
	.amdhsa_kernel _ZN7rocprim17ROCPRIM_400000_NS6detail17trampoline_kernelINS0_14default_configENS1_38merge_sort_block_merge_config_selectorIyNS0_10empty_typeEEEZZNS1_27merge_sort_block_merge_implIS3_N6thrust23THRUST_200600_302600_NS6detail15normal_iteratorINS9_10device_ptrIyEEEEPS5_m9comp_mod3IyEEE10hipError_tT0_T1_T2_jT3_P12ihipStream_tbPNSt15iterator_traitsISJ_E10value_typeEPNSP_ISK_E10value_typeEPSL_NS1_7vsmem_tEENKUlT_SJ_SK_SL_E_clISE_PySF_SF_EESI_SY_SJ_SK_SL_EUlSY_E1_NS1_11comp_targetILNS1_3genE0ELNS1_11target_archE4294967295ELNS1_3gpuE0ELNS1_3repE0EEENS1_36merge_oddeven_config_static_selectorELNS0_4arch9wavefront6targetE0EEEvSK_
		.amdhsa_group_segment_fixed_size 0
		.amdhsa_private_segment_fixed_size 0
		.amdhsa_kernarg_size 56
		.amdhsa_user_sgpr_count 6
		.amdhsa_user_sgpr_private_segment_buffer 1
		.amdhsa_user_sgpr_dispatch_ptr 0
		.amdhsa_user_sgpr_queue_ptr 0
		.amdhsa_user_sgpr_kernarg_segment_ptr 1
		.amdhsa_user_sgpr_dispatch_id 0
		.amdhsa_user_sgpr_flat_scratch_init 0
		.amdhsa_user_sgpr_private_segment_size 0
		.amdhsa_wavefront_size32 1
		.amdhsa_uses_dynamic_stack 0
		.amdhsa_system_sgpr_private_segment_wavefront_offset 0
		.amdhsa_system_sgpr_workgroup_id_x 1
		.amdhsa_system_sgpr_workgroup_id_y 0
		.amdhsa_system_sgpr_workgroup_id_z 0
		.amdhsa_system_sgpr_workgroup_info 0
		.amdhsa_system_vgpr_workitem_id 0
		.amdhsa_next_free_vgpr 1
		.amdhsa_next_free_sgpr 1
		.amdhsa_reserve_vcc 0
		.amdhsa_reserve_flat_scratch 0
		.amdhsa_float_round_mode_32 0
		.amdhsa_float_round_mode_16_64 0
		.amdhsa_float_denorm_mode_32 3
		.amdhsa_float_denorm_mode_16_64 3
		.amdhsa_dx10_clamp 1
		.amdhsa_ieee_mode 1
		.amdhsa_fp16_overflow 0
		.amdhsa_workgroup_processor_mode 1
		.amdhsa_memory_ordered 1
		.amdhsa_forward_progress 1
		.amdhsa_shared_vgpr_count 0
		.amdhsa_exception_fp_ieee_invalid_op 0
		.amdhsa_exception_fp_denorm_src 0
		.amdhsa_exception_fp_ieee_div_zero 0
		.amdhsa_exception_fp_ieee_overflow 0
		.amdhsa_exception_fp_ieee_underflow 0
		.amdhsa_exception_fp_ieee_inexact 0
		.amdhsa_exception_int_div_zero 0
	.end_amdhsa_kernel
	.section	.text._ZN7rocprim17ROCPRIM_400000_NS6detail17trampoline_kernelINS0_14default_configENS1_38merge_sort_block_merge_config_selectorIyNS0_10empty_typeEEEZZNS1_27merge_sort_block_merge_implIS3_N6thrust23THRUST_200600_302600_NS6detail15normal_iteratorINS9_10device_ptrIyEEEEPS5_m9comp_mod3IyEEE10hipError_tT0_T1_T2_jT3_P12ihipStream_tbPNSt15iterator_traitsISJ_E10value_typeEPNSP_ISK_E10value_typeEPSL_NS1_7vsmem_tEENKUlT_SJ_SK_SL_E_clISE_PySF_SF_EESI_SY_SJ_SK_SL_EUlSY_E1_NS1_11comp_targetILNS1_3genE0ELNS1_11target_archE4294967295ELNS1_3gpuE0ELNS1_3repE0EEENS1_36merge_oddeven_config_static_selectorELNS0_4arch9wavefront6targetE0EEEvSK_,"axG",@progbits,_ZN7rocprim17ROCPRIM_400000_NS6detail17trampoline_kernelINS0_14default_configENS1_38merge_sort_block_merge_config_selectorIyNS0_10empty_typeEEEZZNS1_27merge_sort_block_merge_implIS3_N6thrust23THRUST_200600_302600_NS6detail15normal_iteratorINS9_10device_ptrIyEEEEPS5_m9comp_mod3IyEEE10hipError_tT0_T1_T2_jT3_P12ihipStream_tbPNSt15iterator_traitsISJ_E10value_typeEPNSP_ISK_E10value_typeEPSL_NS1_7vsmem_tEENKUlT_SJ_SK_SL_E_clISE_PySF_SF_EESI_SY_SJ_SK_SL_EUlSY_E1_NS1_11comp_targetILNS1_3genE0ELNS1_11target_archE4294967295ELNS1_3gpuE0ELNS1_3repE0EEENS1_36merge_oddeven_config_static_selectorELNS0_4arch9wavefront6targetE0EEEvSK_,comdat
.Lfunc_end799:
	.size	_ZN7rocprim17ROCPRIM_400000_NS6detail17trampoline_kernelINS0_14default_configENS1_38merge_sort_block_merge_config_selectorIyNS0_10empty_typeEEEZZNS1_27merge_sort_block_merge_implIS3_N6thrust23THRUST_200600_302600_NS6detail15normal_iteratorINS9_10device_ptrIyEEEEPS5_m9comp_mod3IyEEE10hipError_tT0_T1_T2_jT3_P12ihipStream_tbPNSt15iterator_traitsISJ_E10value_typeEPNSP_ISK_E10value_typeEPSL_NS1_7vsmem_tEENKUlT_SJ_SK_SL_E_clISE_PySF_SF_EESI_SY_SJ_SK_SL_EUlSY_E1_NS1_11comp_targetILNS1_3genE0ELNS1_11target_archE4294967295ELNS1_3gpuE0ELNS1_3repE0EEENS1_36merge_oddeven_config_static_selectorELNS0_4arch9wavefront6targetE0EEEvSK_, .Lfunc_end799-_ZN7rocprim17ROCPRIM_400000_NS6detail17trampoline_kernelINS0_14default_configENS1_38merge_sort_block_merge_config_selectorIyNS0_10empty_typeEEEZZNS1_27merge_sort_block_merge_implIS3_N6thrust23THRUST_200600_302600_NS6detail15normal_iteratorINS9_10device_ptrIyEEEEPS5_m9comp_mod3IyEEE10hipError_tT0_T1_T2_jT3_P12ihipStream_tbPNSt15iterator_traitsISJ_E10value_typeEPNSP_ISK_E10value_typeEPSL_NS1_7vsmem_tEENKUlT_SJ_SK_SL_E_clISE_PySF_SF_EESI_SY_SJ_SK_SL_EUlSY_E1_NS1_11comp_targetILNS1_3genE0ELNS1_11target_archE4294967295ELNS1_3gpuE0ELNS1_3repE0EEENS1_36merge_oddeven_config_static_selectorELNS0_4arch9wavefront6targetE0EEEvSK_
                                        ; -- End function
	.set _ZN7rocprim17ROCPRIM_400000_NS6detail17trampoline_kernelINS0_14default_configENS1_38merge_sort_block_merge_config_selectorIyNS0_10empty_typeEEEZZNS1_27merge_sort_block_merge_implIS3_N6thrust23THRUST_200600_302600_NS6detail15normal_iteratorINS9_10device_ptrIyEEEEPS5_m9comp_mod3IyEEE10hipError_tT0_T1_T2_jT3_P12ihipStream_tbPNSt15iterator_traitsISJ_E10value_typeEPNSP_ISK_E10value_typeEPSL_NS1_7vsmem_tEENKUlT_SJ_SK_SL_E_clISE_PySF_SF_EESI_SY_SJ_SK_SL_EUlSY_E1_NS1_11comp_targetILNS1_3genE0ELNS1_11target_archE4294967295ELNS1_3gpuE0ELNS1_3repE0EEENS1_36merge_oddeven_config_static_selectorELNS0_4arch9wavefront6targetE0EEEvSK_.num_vgpr, 0
	.set _ZN7rocprim17ROCPRIM_400000_NS6detail17trampoline_kernelINS0_14default_configENS1_38merge_sort_block_merge_config_selectorIyNS0_10empty_typeEEEZZNS1_27merge_sort_block_merge_implIS3_N6thrust23THRUST_200600_302600_NS6detail15normal_iteratorINS9_10device_ptrIyEEEEPS5_m9comp_mod3IyEEE10hipError_tT0_T1_T2_jT3_P12ihipStream_tbPNSt15iterator_traitsISJ_E10value_typeEPNSP_ISK_E10value_typeEPSL_NS1_7vsmem_tEENKUlT_SJ_SK_SL_E_clISE_PySF_SF_EESI_SY_SJ_SK_SL_EUlSY_E1_NS1_11comp_targetILNS1_3genE0ELNS1_11target_archE4294967295ELNS1_3gpuE0ELNS1_3repE0EEENS1_36merge_oddeven_config_static_selectorELNS0_4arch9wavefront6targetE0EEEvSK_.num_agpr, 0
	.set _ZN7rocprim17ROCPRIM_400000_NS6detail17trampoline_kernelINS0_14default_configENS1_38merge_sort_block_merge_config_selectorIyNS0_10empty_typeEEEZZNS1_27merge_sort_block_merge_implIS3_N6thrust23THRUST_200600_302600_NS6detail15normal_iteratorINS9_10device_ptrIyEEEEPS5_m9comp_mod3IyEEE10hipError_tT0_T1_T2_jT3_P12ihipStream_tbPNSt15iterator_traitsISJ_E10value_typeEPNSP_ISK_E10value_typeEPSL_NS1_7vsmem_tEENKUlT_SJ_SK_SL_E_clISE_PySF_SF_EESI_SY_SJ_SK_SL_EUlSY_E1_NS1_11comp_targetILNS1_3genE0ELNS1_11target_archE4294967295ELNS1_3gpuE0ELNS1_3repE0EEENS1_36merge_oddeven_config_static_selectorELNS0_4arch9wavefront6targetE0EEEvSK_.numbered_sgpr, 0
	.set _ZN7rocprim17ROCPRIM_400000_NS6detail17trampoline_kernelINS0_14default_configENS1_38merge_sort_block_merge_config_selectorIyNS0_10empty_typeEEEZZNS1_27merge_sort_block_merge_implIS3_N6thrust23THRUST_200600_302600_NS6detail15normal_iteratorINS9_10device_ptrIyEEEEPS5_m9comp_mod3IyEEE10hipError_tT0_T1_T2_jT3_P12ihipStream_tbPNSt15iterator_traitsISJ_E10value_typeEPNSP_ISK_E10value_typeEPSL_NS1_7vsmem_tEENKUlT_SJ_SK_SL_E_clISE_PySF_SF_EESI_SY_SJ_SK_SL_EUlSY_E1_NS1_11comp_targetILNS1_3genE0ELNS1_11target_archE4294967295ELNS1_3gpuE0ELNS1_3repE0EEENS1_36merge_oddeven_config_static_selectorELNS0_4arch9wavefront6targetE0EEEvSK_.num_named_barrier, 0
	.set _ZN7rocprim17ROCPRIM_400000_NS6detail17trampoline_kernelINS0_14default_configENS1_38merge_sort_block_merge_config_selectorIyNS0_10empty_typeEEEZZNS1_27merge_sort_block_merge_implIS3_N6thrust23THRUST_200600_302600_NS6detail15normal_iteratorINS9_10device_ptrIyEEEEPS5_m9comp_mod3IyEEE10hipError_tT0_T1_T2_jT3_P12ihipStream_tbPNSt15iterator_traitsISJ_E10value_typeEPNSP_ISK_E10value_typeEPSL_NS1_7vsmem_tEENKUlT_SJ_SK_SL_E_clISE_PySF_SF_EESI_SY_SJ_SK_SL_EUlSY_E1_NS1_11comp_targetILNS1_3genE0ELNS1_11target_archE4294967295ELNS1_3gpuE0ELNS1_3repE0EEENS1_36merge_oddeven_config_static_selectorELNS0_4arch9wavefront6targetE0EEEvSK_.private_seg_size, 0
	.set _ZN7rocprim17ROCPRIM_400000_NS6detail17trampoline_kernelINS0_14default_configENS1_38merge_sort_block_merge_config_selectorIyNS0_10empty_typeEEEZZNS1_27merge_sort_block_merge_implIS3_N6thrust23THRUST_200600_302600_NS6detail15normal_iteratorINS9_10device_ptrIyEEEEPS5_m9comp_mod3IyEEE10hipError_tT0_T1_T2_jT3_P12ihipStream_tbPNSt15iterator_traitsISJ_E10value_typeEPNSP_ISK_E10value_typeEPSL_NS1_7vsmem_tEENKUlT_SJ_SK_SL_E_clISE_PySF_SF_EESI_SY_SJ_SK_SL_EUlSY_E1_NS1_11comp_targetILNS1_3genE0ELNS1_11target_archE4294967295ELNS1_3gpuE0ELNS1_3repE0EEENS1_36merge_oddeven_config_static_selectorELNS0_4arch9wavefront6targetE0EEEvSK_.uses_vcc, 0
	.set _ZN7rocprim17ROCPRIM_400000_NS6detail17trampoline_kernelINS0_14default_configENS1_38merge_sort_block_merge_config_selectorIyNS0_10empty_typeEEEZZNS1_27merge_sort_block_merge_implIS3_N6thrust23THRUST_200600_302600_NS6detail15normal_iteratorINS9_10device_ptrIyEEEEPS5_m9comp_mod3IyEEE10hipError_tT0_T1_T2_jT3_P12ihipStream_tbPNSt15iterator_traitsISJ_E10value_typeEPNSP_ISK_E10value_typeEPSL_NS1_7vsmem_tEENKUlT_SJ_SK_SL_E_clISE_PySF_SF_EESI_SY_SJ_SK_SL_EUlSY_E1_NS1_11comp_targetILNS1_3genE0ELNS1_11target_archE4294967295ELNS1_3gpuE0ELNS1_3repE0EEENS1_36merge_oddeven_config_static_selectorELNS0_4arch9wavefront6targetE0EEEvSK_.uses_flat_scratch, 0
	.set _ZN7rocprim17ROCPRIM_400000_NS6detail17trampoline_kernelINS0_14default_configENS1_38merge_sort_block_merge_config_selectorIyNS0_10empty_typeEEEZZNS1_27merge_sort_block_merge_implIS3_N6thrust23THRUST_200600_302600_NS6detail15normal_iteratorINS9_10device_ptrIyEEEEPS5_m9comp_mod3IyEEE10hipError_tT0_T1_T2_jT3_P12ihipStream_tbPNSt15iterator_traitsISJ_E10value_typeEPNSP_ISK_E10value_typeEPSL_NS1_7vsmem_tEENKUlT_SJ_SK_SL_E_clISE_PySF_SF_EESI_SY_SJ_SK_SL_EUlSY_E1_NS1_11comp_targetILNS1_3genE0ELNS1_11target_archE4294967295ELNS1_3gpuE0ELNS1_3repE0EEENS1_36merge_oddeven_config_static_selectorELNS0_4arch9wavefront6targetE0EEEvSK_.has_dyn_sized_stack, 0
	.set _ZN7rocprim17ROCPRIM_400000_NS6detail17trampoline_kernelINS0_14default_configENS1_38merge_sort_block_merge_config_selectorIyNS0_10empty_typeEEEZZNS1_27merge_sort_block_merge_implIS3_N6thrust23THRUST_200600_302600_NS6detail15normal_iteratorINS9_10device_ptrIyEEEEPS5_m9comp_mod3IyEEE10hipError_tT0_T1_T2_jT3_P12ihipStream_tbPNSt15iterator_traitsISJ_E10value_typeEPNSP_ISK_E10value_typeEPSL_NS1_7vsmem_tEENKUlT_SJ_SK_SL_E_clISE_PySF_SF_EESI_SY_SJ_SK_SL_EUlSY_E1_NS1_11comp_targetILNS1_3genE0ELNS1_11target_archE4294967295ELNS1_3gpuE0ELNS1_3repE0EEENS1_36merge_oddeven_config_static_selectorELNS0_4arch9wavefront6targetE0EEEvSK_.has_recursion, 0
	.set _ZN7rocprim17ROCPRIM_400000_NS6detail17trampoline_kernelINS0_14default_configENS1_38merge_sort_block_merge_config_selectorIyNS0_10empty_typeEEEZZNS1_27merge_sort_block_merge_implIS3_N6thrust23THRUST_200600_302600_NS6detail15normal_iteratorINS9_10device_ptrIyEEEEPS5_m9comp_mod3IyEEE10hipError_tT0_T1_T2_jT3_P12ihipStream_tbPNSt15iterator_traitsISJ_E10value_typeEPNSP_ISK_E10value_typeEPSL_NS1_7vsmem_tEENKUlT_SJ_SK_SL_E_clISE_PySF_SF_EESI_SY_SJ_SK_SL_EUlSY_E1_NS1_11comp_targetILNS1_3genE0ELNS1_11target_archE4294967295ELNS1_3gpuE0ELNS1_3repE0EEENS1_36merge_oddeven_config_static_selectorELNS0_4arch9wavefront6targetE0EEEvSK_.has_indirect_call, 0
	.section	.AMDGPU.csdata,"",@progbits
; Kernel info:
; codeLenInByte = 0
; TotalNumSgprs: 0
; NumVgprs: 0
; ScratchSize: 0
; MemoryBound: 0
; FloatMode: 240
; IeeeMode: 1
; LDSByteSize: 0 bytes/workgroup (compile time only)
; SGPRBlocks: 0
; VGPRBlocks: 0
; NumSGPRsForWavesPerEU: 1
; NumVGPRsForWavesPerEU: 1
; Occupancy: 16
; WaveLimiterHint : 0
; COMPUTE_PGM_RSRC2:SCRATCH_EN: 0
; COMPUTE_PGM_RSRC2:USER_SGPR: 6
; COMPUTE_PGM_RSRC2:TRAP_HANDLER: 0
; COMPUTE_PGM_RSRC2:TGID_X_EN: 1
; COMPUTE_PGM_RSRC2:TGID_Y_EN: 0
; COMPUTE_PGM_RSRC2:TGID_Z_EN: 0
; COMPUTE_PGM_RSRC2:TIDIG_COMP_CNT: 0
	.section	.text._ZN7rocprim17ROCPRIM_400000_NS6detail17trampoline_kernelINS0_14default_configENS1_38merge_sort_block_merge_config_selectorIyNS0_10empty_typeEEEZZNS1_27merge_sort_block_merge_implIS3_N6thrust23THRUST_200600_302600_NS6detail15normal_iteratorINS9_10device_ptrIyEEEEPS5_m9comp_mod3IyEEE10hipError_tT0_T1_T2_jT3_P12ihipStream_tbPNSt15iterator_traitsISJ_E10value_typeEPNSP_ISK_E10value_typeEPSL_NS1_7vsmem_tEENKUlT_SJ_SK_SL_E_clISE_PySF_SF_EESI_SY_SJ_SK_SL_EUlSY_E1_NS1_11comp_targetILNS1_3genE10ELNS1_11target_archE1201ELNS1_3gpuE5ELNS1_3repE0EEENS1_36merge_oddeven_config_static_selectorELNS0_4arch9wavefront6targetE0EEEvSK_,"axG",@progbits,_ZN7rocprim17ROCPRIM_400000_NS6detail17trampoline_kernelINS0_14default_configENS1_38merge_sort_block_merge_config_selectorIyNS0_10empty_typeEEEZZNS1_27merge_sort_block_merge_implIS3_N6thrust23THRUST_200600_302600_NS6detail15normal_iteratorINS9_10device_ptrIyEEEEPS5_m9comp_mod3IyEEE10hipError_tT0_T1_T2_jT3_P12ihipStream_tbPNSt15iterator_traitsISJ_E10value_typeEPNSP_ISK_E10value_typeEPSL_NS1_7vsmem_tEENKUlT_SJ_SK_SL_E_clISE_PySF_SF_EESI_SY_SJ_SK_SL_EUlSY_E1_NS1_11comp_targetILNS1_3genE10ELNS1_11target_archE1201ELNS1_3gpuE5ELNS1_3repE0EEENS1_36merge_oddeven_config_static_selectorELNS0_4arch9wavefront6targetE0EEEvSK_,comdat
	.protected	_ZN7rocprim17ROCPRIM_400000_NS6detail17trampoline_kernelINS0_14default_configENS1_38merge_sort_block_merge_config_selectorIyNS0_10empty_typeEEEZZNS1_27merge_sort_block_merge_implIS3_N6thrust23THRUST_200600_302600_NS6detail15normal_iteratorINS9_10device_ptrIyEEEEPS5_m9comp_mod3IyEEE10hipError_tT0_T1_T2_jT3_P12ihipStream_tbPNSt15iterator_traitsISJ_E10value_typeEPNSP_ISK_E10value_typeEPSL_NS1_7vsmem_tEENKUlT_SJ_SK_SL_E_clISE_PySF_SF_EESI_SY_SJ_SK_SL_EUlSY_E1_NS1_11comp_targetILNS1_3genE10ELNS1_11target_archE1201ELNS1_3gpuE5ELNS1_3repE0EEENS1_36merge_oddeven_config_static_selectorELNS0_4arch9wavefront6targetE0EEEvSK_ ; -- Begin function _ZN7rocprim17ROCPRIM_400000_NS6detail17trampoline_kernelINS0_14default_configENS1_38merge_sort_block_merge_config_selectorIyNS0_10empty_typeEEEZZNS1_27merge_sort_block_merge_implIS3_N6thrust23THRUST_200600_302600_NS6detail15normal_iteratorINS9_10device_ptrIyEEEEPS5_m9comp_mod3IyEEE10hipError_tT0_T1_T2_jT3_P12ihipStream_tbPNSt15iterator_traitsISJ_E10value_typeEPNSP_ISK_E10value_typeEPSL_NS1_7vsmem_tEENKUlT_SJ_SK_SL_E_clISE_PySF_SF_EESI_SY_SJ_SK_SL_EUlSY_E1_NS1_11comp_targetILNS1_3genE10ELNS1_11target_archE1201ELNS1_3gpuE5ELNS1_3repE0EEENS1_36merge_oddeven_config_static_selectorELNS0_4arch9wavefront6targetE0EEEvSK_
	.globl	_ZN7rocprim17ROCPRIM_400000_NS6detail17trampoline_kernelINS0_14default_configENS1_38merge_sort_block_merge_config_selectorIyNS0_10empty_typeEEEZZNS1_27merge_sort_block_merge_implIS3_N6thrust23THRUST_200600_302600_NS6detail15normal_iteratorINS9_10device_ptrIyEEEEPS5_m9comp_mod3IyEEE10hipError_tT0_T1_T2_jT3_P12ihipStream_tbPNSt15iterator_traitsISJ_E10value_typeEPNSP_ISK_E10value_typeEPSL_NS1_7vsmem_tEENKUlT_SJ_SK_SL_E_clISE_PySF_SF_EESI_SY_SJ_SK_SL_EUlSY_E1_NS1_11comp_targetILNS1_3genE10ELNS1_11target_archE1201ELNS1_3gpuE5ELNS1_3repE0EEENS1_36merge_oddeven_config_static_selectorELNS0_4arch9wavefront6targetE0EEEvSK_
	.p2align	8
	.type	_ZN7rocprim17ROCPRIM_400000_NS6detail17trampoline_kernelINS0_14default_configENS1_38merge_sort_block_merge_config_selectorIyNS0_10empty_typeEEEZZNS1_27merge_sort_block_merge_implIS3_N6thrust23THRUST_200600_302600_NS6detail15normal_iteratorINS9_10device_ptrIyEEEEPS5_m9comp_mod3IyEEE10hipError_tT0_T1_T2_jT3_P12ihipStream_tbPNSt15iterator_traitsISJ_E10value_typeEPNSP_ISK_E10value_typeEPSL_NS1_7vsmem_tEENKUlT_SJ_SK_SL_E_clISE_PySF_SF_EESI_SY_SJ_SK_SL_EUlSY_E1_NS1_11comp_targetILNS1_3genE10ELNS1_11target_archE1201ELNS1_3gpuE5ELNS1_3repE0EEENS1_36merge_oddeven_config_static_selectorELNS0_4arch9wavefront6targetE0EEEvSK_,@function
_ZN7rocprim17ROCPRIM_400000_NS6detail17trampoline_kernelINS0_14default_configENS1_38merge_sort_block_merge_config_selectorIyNS0_10empty_typeEEEZZNS1_27merge_sort_block_merge_implIS3_N6thrust23THRUST_200600_302600_NS6detail15normal_iteratorINS9_10device_ptrIyEEEEPS5_m9comp_mod3IyEEE10hipError_tT0_T1_T2_jT3_P12ihipStream_tbPNSt15iterator_traitsISJ_E10value_typeEPNSP_ISK_E10value_typeEPSL_NS1_7vsmem_tEENKUlT_SJ_SK_SL_E_clISE_PySF_SF_EESI_SY_SJ_SK_SL_EUlSY_E1_NS1_11comp_targetILNS1_3genE10ELNS1_11target_archE1201ELNS1_3gpuE5ELNS1_3repE0EEENS1_36merge_oddeven_config_static_selectorELNS0_4arch9wavefront6targetE0EEEvSK_: ; @_ZN7rocprim17ROCPRIM_400000_NS6detail17trampoline_kernelINS0_14default_configENS1_38merge_sort_block_merge_config_selectorIyNS0_10empty_typeEEEZZNS1_27merge_sort_block_merge_implIS3_N6thrust23THRUST_200600_302600_NS6detail15normal_iteratorINS9_10device_ptrIyEEEEPS5_m9comp_mod3IyEEE10hipError_tT0_T1_T2_jT3_P12ihipStream_tbPNSt15iterator_traitsISJ_E10value_typeEPNSP_ISK_E10value_typeEPSL_NS1_7vsmem_tEENKUlT_SJ_SK_SL_E_clISE_PySF_SF_EESI_SY_SJ_SK_SL_EUlSY_E1_NS1_11comp_targetILNS1_3genE10ELNS1_11target_archE1201ELNS1_3gpuE5ELNS1_3repE0EEENS1_36merge_oddeven_config_static_selectorELNS0_4arch9wavefront6targetE0EEEvSK_
; %bb.0:
	.section	.rodata,"a",@progbits
	.p2align	6, 0x0
	.amdhsa_kernel _ZN7rocprim17ROCPRIM_400000_NS6detail17trampoline_kernelINS0_14default_configENS1_38merge_sort_block_merge_config_selectorIyNS0_10empty_typeEEEZZNS1_27merge_sort_block_merge_implIS3_N6thrust23THRUST_200600_302600_NS6detail15normal_iteratorINS9_10device_ptrIyEEEEPS5_m9comp_mod3IyEEE10hipError_tT0_T1_T2_jT3_P12ihipStream_tbPNSt15iterator_traitsISJ_E10value_typeEPNSP_ISK_E10value_typeEPSL_NS1_7vsmem_tEENKUlT_SJ_SK_SL_E_clISE_PySF_SF_EESI_SY_SJ_SK_SL_EUlSY_E1_NS1_11comp_targetILNS1_3genE10ELNS1_11target_archE1201ELNS1_3gpuE5ELNS1_3repE0EEENS1_36merge_oddeven_config_static_selectorELNS0_4arch9wavefront6targetE0EEEvSK_
		.amdhsa_group_segment_fixed_size 0
		.amdhsa_private_segment_fixed_size 0
		.amdhsa_kernarg_size 56
		.amdhsa_user_sgpr_count 6
		.amdhsa_user_sgpr_private_segment_buffer 1
		.amdhsa_user_sgpr_dispatch_ptr 0
		.amdhsa_user_sgpr_queue_ptr 0
		.amdhsa_user_sgpr_kernarg_segment_ptr 1
		.amdhsa_user_sgpr_dispatch_id 0
		.amdhsa_user_sgpr_flat_scratch_init 0
		.amdhsa_user_sgpr_private_segment_size 0
		.amdhsa_wavefront_size32 1
		.amdhsa_uses_dynamic_stack 0
		.amdhsa_system_sgpr_private_segment_wavefront_offset 0
		.amdhsa_system_sgpr_workgroup_id_x 1
		.amdhsa_system_sgpr_workgroup_id_y 0
		.amdhsa_system_sgpr_workgroup_id_z 0
		.amdhsa_system_sgpr_workgroup_info 0
		.amdhsa_system_vgpr_workitem_id 0
		.amdhsa_next_free_vgpr 1
		.amdhsa_next_free_sgpr 1
		.amdhsa_reserve_vcc 0
		.amdhsa_reserve_flat_scratch 0
		.amdhsa_float_round_mode_32 0
		.amdhsa_float_round_mode_16_64 0
		.amdhsa_float_denorm_mode_32 3
		.amdhsa_float_denorm_mode_16_64 3
		.amdhsa_dx10_clamp 1
		.amdhsa_ieee_mode 1
		.amdhsa_fp16_overflow 0
		.amdhsa_workgroup_processor_mode 1
		.amdhsa_memory_ordered 1
		.amdhsa_forward_progress 1
		.amdhsa_shared_vgpr_count 0
		.amdhsa_exception_fp_ieee_invalid_op 0
		.amdhsa_exception_fp_denorm_src 0
		.amdhsa_exception_fp_ieee_div_zero 0
		.amdhsa_exception_fp_ieee_overflow 0
		.amdhsa_exception_fp_ieee_underflow 0
		.amdhsa_exception_fp_ieee_inexact 0
		.amdhsa_exception_int_div_zero 0
	.end_amdhsa_kernel
	.section	.text._ZN7rocprim17ROCPRIM_400000_NS6detail17trampoline_kernelINS0_14default_configENS1_38merge_sort_block_merge_config_selectorIyNS0_10empty_typeEEEZZNS1_27merge_sort_block_merge_implIS3_N6thrust23THRUST_200600_302600_NS6detail15normal_iteratorINS9_10device_ptrIyEEEEPS5_m9comp_mod3IyEEE10hipError_tT0_T1_T2_jT3_P12ihipStream_tbPNSt15iterator_traitsISJ_E10value_typeEPNSP_ISK_E10value_typeEPSL_NS1_7vsmem_tEENKUlT_SJ_SK_SL_E_clISE_PySF_SF_EESI_SY_SJ_SK_SL_EUlSY_E1_NS1_11comp_targetILNS1_3genE10ELNS1_11target_archE1201ELNS1_3gpuE5ELNS1_3repE0EEENS1_36merge_oddeven_config_static_selectorELNS0_4arch9wavefront6targetE0EEEvSK_,"axG",@progbits,_ZN7rocprim17ROCPRIM_400000_NS6detail17trampoline_kernelINS0_14default_configENS1_38merge_sort_block_merge_config_selectorIyNS0_10empty_typeEEEZZNS1_27merge_sort_block_merge_implIS3_N6thrust23THRUST_200600_302600_NS6detail15normal_iteratorINS9_10device_ptrIyEEEEPS5_m9comp_mod3IyEEE10hipError_tT0_T1_T2_jT3_P12ihipStream_tbPNSt15iterator_traitsISJ_E10value_typeEPNSP_ISK_E10value_typeEPSL_NS1_7vsmem_tEENKUlT_SJ_SK_SL_E_clISE_PySF_SF_EESI_SY_SJ_SK_SL_EUlSY_E1_NS1_11comp_targetILNS1_3genE10ELNS1_11target_archE1201ELNS1_3gpuE5ELNS1_3repE0EEENS1_36merge_oddeven_config_static_selectorELNS0_4arch9wavefront6targetE0EEEvSK_,comdat
.Lfunc_end800:
	.size	_ZN7rocprim17ROCPRIM_400000_NS6detail17trampoline_kernelINS0_14default_configENS1_38merge_sort_block_merge_config_selectorIyNS0_10empty_typeEEEZZNS1_27merge_sort_block_merge_implIS3_N6thrust23THRUST_200600_302600_NS6detail15normal_iteratorINS9_10device_ptrIyEEEEPS5_m9comp_mod3IyEEE10hipError_tT0_T1_T2_jT3_P12ihipStream_tbPNSt15iterator_traitsISJ_E10value_typeEPNSP_ISK_E10value_typeEPSL_NS1_7vsmem_tEENKUlT_SJ_SK_SL_E_clISE_PySF_SF_EESI_SY_SJ_SK_SL_EUlSY_E1_NS1_11comp_targetILNS1_3genE10ELNS1_11target_archE1201ELNS1_3gpuE5ELNS1_3repE0EEENS1_36merge_oddeven_config_static_selectorELNS0_4arch9wavefront6targetE0EEEvSK_, .Lfunc_end800-_ZN7rocprim17ROCPRIM_400000_NS6detail17trampoline_kernelINS0_14default_configENS1_38merge_sort_block_merge_config_selectorIyNS0_10empty_typeEEEZZNS1_27merge_sort_block_merge_implIS3_N6thrust23THRUST_200600_302600_NS6detail15normal_iteratorINS9_10device_ptrIyEEEEPS5_m9comp_mod3IyEEE10hipError_tT0_T1_T2_jT3_P12ihipStream_tbPNSt15iterator_traitsISJ_E10value_typeEPNSP_ISK_E10value_typeEPSL_NS1_7vsmem_tEENKUlT_SJ_SK_SL_E_clISE_PySF_SF_EESI_SY_SJ_SK_SL_EUlSY_E1_NS1_11comp_targetILNS1_3genE10ELNS1_11target_archE1201ELNS1_3gpuE5ELNS1_3repE0EEENS1_36merge_oddeven_config_static_selectorELNS0_4arch9wavefront6targetE0EEEvSK_
                                        ; -- End function
	.set _ZN7rocprim17ROCPRIM_400000_NS6detail17trampoline_kernelINS0_14default_configENS1_38merge_sort_block_merge_config_selectorIyNS0_10empty_typeEEEZZNS1_27merge_sort_block_merge_implIS3_N6thrust23THRUST_200600_302600_NS6detail15normal_iteratorINS9_10device_ptrIyEEEEPS5_m9comp_mod3IyEEE10hipError_tT0_T1_T2_jT3_P12ihipStream_tbPNSt15iterator_traitsISJ_E10value_typeEPNSP_ISK_E10value_typeEPSL_NS1_7vsmem_tEENKUlT_SJ_SK_SL_E_clISE_PySF_SF_EESI_SY_SJ_SK_SL_EUlSY_E1_NS1_11comp_targetILNS1_3genE10ELNS1_11target_archE1201ELNS1_3gpuE5ELNS1_3repE0EEENS1_36merge_oddeven_config_static_selectorELNS0_4arch9wavefront6targetE0EEEvSK_.num_vgpr, 0
	.set _ZN7rocprim17ROCPRIM_400000_NS6detail17trampoline_kernelINS0_14default_configENS1_38merge_sort_block_merge_config_selectorIyNS0_10empty_typeEEEZZNS1_27merge_sort_block_merge_implIS3_N6thrust23THRUST_200600_302600_NS6detail15normal_iteratorINS9_10device_ptrIyEEEEPS5_m9comp_mod3IyEEE10hipError_tT0_T1_T2_jT3_P12ihipStream_tbPNSt15iterator_traitsISJ_E10value_typeEPNSP_ISK_E10value_typeEPSL_NS1_7vsmem_tEENKUlT_SJ_SK_SL_E_clISE_PySF_SF_EESI_SY_SJ_SK_SL_EUlSY_E1_NS1_11comp_targetILNS1_3genE10ELNS1_11target_archE1201ELNS1_3gpuE5ELNS1_3repE0EEENS1_36merge_oddeven_config_static_selectorELNS0_4arch9wavefront6targetE0EEEvSK_.num_agpr, 0
	.set _ZN7rocprim17ROCPRIM_400000_NS6detail17trampoline_kernelINS0_14default_configENS1_38merge_sort_block_merge_config_selectorIyNS0_10empty_typeEEEZZNS1_27merge_sort_block_merge_implIS3_N6thrust23THRUST_200600_302600_NS6detail15normal_iteratorINS9_10device_ptrIyEEEEPS5_m9comp_mod3IyEEE10hipError_tT0_T1_T2_jT3_P12ihipStream_tbPNSt15iterator_traitsISJ_E10value_typeEPNSP_ISK_E10value_typeEPSL_NS1_7vsmem_tEENKUlT_SJ_SK_SL_E_clISE_PySF_SF_EESI_SY_SJ_SK_SL_EUlSY_E1_NS1_11comp_targetILNS1_3genE10ELNS1_11target_archE1201ELNS1_3gpuE5ELNS1_3repE0EEENS1_36merge_oddeven_config_static_selectorELNS0_4arch9wavefront6targetE0EEEvSK_.numbered_sgpr, 0
	.set _ZN7rocprim17ROCPRIM_400000_NS6detail17trampoline_kernelINS0_14default_configENS1_38merge_sort_block_merge_config_selectorIyNS0_10empty_typeEEEZZNS1_27merge_sort_block_merge_implIS3_N6thrust23THRUST_200600_302600_NS6detail15normal_iteratorINS9_10device_ptrIyEEEEPS5_m9comp_mod3IyEEE10hipError_tT0_T1_T2_jT3_P12ihipStream_tbPNSt15iterator_traitsISJ_E10value_typeEPNSP_ISK_E10value_typeEPSL_NS1_7vsmem_tEENKUlT_SJ_SK_SL_E_clISE_PySF_SF_EESI_SY_SJ_SK_SL_EUlSY_E1_NS1_11comp_targetILNS1_3genE10ELNS1_11target_archE1201ELNS1_3gpuE5ELNS1_3repE0EEENS1_36merge_oddeven_config_static_selectorELNS0_4arch9wavefront6targetE0EEEvSK_.num_named_barrier, 0
	.set _ZN7rocprim17ROCPRIM_400000_NS6detail17trampoline_kernelINS0_14default_configENS1_38merge_sort_block_merge_config_selectorIyNS0_10empty_typeEEEZZNS1_27merge_sort_block_merge_implIS3_N6thrust23THRUST_200600_302600_NS6detail15normal_iteratorINS9_10device_ptrIyEEEEPS5_m9comp_mod3IyEEE10hipError_tT0_T1_T2_jT3_P12ihipStream_tbPNSt15iterator_traitsISJ_E10value_typeEPNSP_ISK_E10value_typeEPSL_NS1_7vsmem_tEENKUlT_SJ_SK_SL_E_clISE_PySF_SF_EESI_SY_SJ_SK_SL_EUlSY_E1_NS1_11comp_targetILNS1_3genE10ELNS1_11target_archE1201ELNS1_3gpuE5ELNS1_3repE0EEENS1_36merge_oddeven_config_static_selectorELNS0_4arch9wavefront6targetE0EEEvSK_.private_seg_size, 0
	.set _ZN7rocprim17ROCPRIM_400000_NS6detail17trampoline_kernelINS0_14default_configENS1_38merge_sort_block_merge_config_selectorIyNS0_10empty_typeEEEZZNS1_27merge_sort_block_merge_implIS3_N6thrust23THRUST_200600_302600_NS6detail15normal_iteratorINS9_10device_ptrIyEEEEPS5_m9comp_mod3IyEEE10hipError_tT0_T1_T2_jT3_P12ihipStream_tbPNSt15iterator_traitsISJ_E10value_typeEPNSP_ISK_E10value_typeEPSL_NS1_7vsmem_tEENKUlT_SJ_SK_SL_E_clISE_PySF_SF_EESI_SY_SJ_SK_SL_EUlSY_E1_NS1_11comp_targetILNS1_3genE10ELNS1_11target_archE1201ELNS1_3gpuE5ELNS1_3repE0EEENS1_36merge_oddeven_config_static_selectorELNS0_4arch9wavefront6targetE0EEEvSK_.uses_vcc, 0
	.set _ZN7rocprim17ROCPRIM_400000_NS6detail17trampoline_kernelINS0_14default_configENS1_38merge_sort_block_merge_config_selectorIyNS0_10empty_typeEEEZZNS1_27merge_sort_block_merge_implIS3_N6thrust23THRUST_200600_302600_NS6detail15normal_iteratorINS9_10device_ptrIyEEEEPS5_m9comp_mod3IyEEE10hipError_tT0_T1_T2_jT3_P12ihipStream_tbPNSt15iterator_traitsISJ_E10value_typeEPNSP_ISK_E10value_typeEPSL_NS1_7vsmem_tEENKUlT_SJ_SK_SL_E_clISE_PySF_SF_EESI_SY_SJ_SK_SL_EUlSY_E1_NS1_11comp_targetILNS1_3genE10ELNS1_11target_archE1201ELNS1_3gpuE5ELNS1_3repE0EEENS1_36merge_oddeven_config_static_selectorELNS0_4arch9wavefront6targetE0EEEvSK_.uses_flat_scratch, 0
	.set _ZN7rocprim17ROCPRIM_400000_NS6detail17trampoline_kernelINS0_14default_configENS1_38merge_sort_block_merge_config_selectorIyNS0_10empty_typeEEEZZNS1_27merge_sort_block_merge_implIS3_N6thrust23THRUST_200600_302600_NS6detail15normal_iteratorINS9_10device_ptrIyEEEEPS5_m9comp_mod3IyEEE10hipError_tT0_T1_T2_jT3_P12ihipStream_tbPNSt15iterator_traitsISJ_E10value_typeEPNSP_ISK_E10value_typeEPSL_NS1_7vsmem_tEENKUlT_SJ_SK_SL_E_clISE_PySF_SF_EESI_SY_SJ_SK_SL_EUlSY_E1_NS1_11comp_targetILNS1_3genE10ELNS1_11target_archE1201ELNS1_3gpuE5ELNS1_3repE0EEENS1_36merge_oddeven_config_static_selectorELNS0_4arch9wavefront6targetE0EEEvSK_.has_dyn_sized_stack, 0
	.set _ZN7rocprim17ROCPRIM_400000_NS6detail17trampoline_kernelINS0_14default_configENS1_38merge_sort_block_merge_config_selectorIyNS0_10empty_typeEEEZZNS1_27merge_sort_block_merge_implIS3_N6thrust23THRUST_200600_302600_NS6detail15normal_iteratorINS9_10device_ptrIyEEEEPS5_m9comp_mod3IyEEE10hipError_tT0_T1_T2_jT3_P12ihipStream_tbPNSt15iterator_traitsISJ_E10value_typeEPNSP_ISK_E10value_typeEPSL_NS1_7vsmem_tEENKUlT_SJ_SK_SL_E_clISE_PySF_SF_EESI_SY_SJ_SK_SL_EUlSY_E1_NS1_11comp_targetILNS1_3genE10ELNS1_11target_archE1201ELNS1_3gpuE5ELNS1_3repE0EEENS1_36merge_oddeven_config_static_selectorELNS0_4arch9wavefront6targetE0EEEvSK_.has_recursion, 0
	.set _ZN7rocprim17ROCPRIM_400000_NS6detail17trampoline_kernelINS0_14default_configENS1_38merge_sort_block_merge_config_selectorIyNS0_10empty_typeEEEZZNS1_27merge_sort_block_merge_implIS3_N6thrust23THRUST_200600_302600_NS6detail15normal_iteratorINS9_10device_ptrIyEEEEPS5_m9comp_mod3IyEEE10hipError_tT0_T1_T2_jT3_P12ihipStream_tbPNSt15iterator_traitsISJ_E10value_typeEPNSP_ISK_E10value_typeEPSL_NS1_7vsmem_tEENKUlT_SJ_SK_SL_E_clISE_PySF_SF_EESI_SY_SJ_SK_SL_EUlSY_E1_NS1_11comp_targetILNS1_3genE10ELNS1_11target_archE1201ELNS1_3gpuE5ELNS1_3repE0EEENS1_36merge_oddeven_config_static_selectorELNS0_4arch9wavefront6targetE0EEEvSK_.has_indirect_call, 0
	.section	.AMDGPU.csdata,"",@progbits
; Kernel info:
; codeLenInByte = 0
; TotalNumSgprs: 0
; NumVgprs: 0
; ScratchSize: 0
; MemoryBound: 0
; FloatMode: 240
; IeeeMode: 1
; LDSByteSize: 0 bytes/workgroup (compile time only)
; SGPRBlocks: 0
; VGPRBlocks: 0
; NumSGPRsForWavesPerEU: 1
; NumVGPRsForWavesPerEU: 1
; Occupancy: 16
; WaveLimiterHint : 0
; COMPUTE_PGM_RSRC2:SCRATCH_EN: 0
; COMPUTE_PGM_RSRC2:USER_SGPR: 6
; COMPUTE_PGM_RSRC2:TRAP_HANDLER: 0
; COMPUTE_PGM_RSRC2:TGID_X_EN: 1
; COMPUTE_PGM_RSRC2:TGID_Y_EN: 0
; COMPUTE_PGM_RSRC2:TGID_Z_EN: 0
; COMPUTE_PGM_RSRC2:TIDIG_COMP_CNT: 0
	.section	.text._ZN7rocprim17ROCPRIM_400000_NS6detail17trampoline_kernelINS0_14default_configENS1_38merge_sort_block_merge_config_selectorIyNS0_10empty_typeEEEZZNS1_27merge_sort_block_merge_implIS3_N6thrust23THRUST_200600_302600_NS6detail15normal_iteratorINS9_10device_ptrIyEEEEPS5_m9comp_mod3IyEEE10hipError_tT0_T1_T2_jT3_P12ihipStream_tbPNSt15iterator_traitsISJ_E10value_typeEPNSP_ISK_E10value_typeEPSL_NS1_7vsmem_tEENKUlT_SJ_SK_SL_E_clISE_PySF_SF_EESI_SY_SJ_SK_SL_EUlSY_E1_NS1_11comp_targetILNS1_3genE5ELNS1_11target_archE942ELNS1_3gpuE9ELNS1_3repE0EEENS1_36merge_oddeven_config_static_selectorELNS0_4arch9wavefront6targetE0EEEvSK_,"axG",@progbits,_ZN7rocprim17ROCPRIM_400000_NS6detail17trampoline_kernelINS0_14default_configENS1_38merge_sort_block_merge_config_selectorIyNS0_10empty_typeEEEZZNS1_27merge_sort_block_merge_implIS3_N6thrust23THRUST_200600_302600_NS6detail15normal_iteratorINS9_10device_ptrIyEEEEPS5_m9comp_mod3IyEEE10hipError_tT0_T1_T2_jT3_P12ihipStream_tbPNSt15iterator_traitsISJ_E10value_typeEPNSP_ISK_E10value_typeEPSL_NS1_7vsmem_tEENKUlT_SJ_SK_SL_E_clISE_PySF_SF_EESI_SY_SJ_SK_SL_EUlSY_E1_NS1_11comp_targetILNS1_3genE5ELNS1_11target_archE942ELNS1_3gpuE9ELNS1_3repE0EEENS1_36merge_oddeven_config_static_selectorELNS0_4arch9wavefront6targetE0EEEvSK_,comdat
	.protected	_ZN7rocprim17ROCPRIM_400000_NS6detail17trampoline_kernelINS0_14default_configENS1_38merge_sort_block_merge_config_selectorIyNS0_10empty_typeEEEZZNS1_27merge_sort_block_merge_implIS3_N6thrust23THRUST_200600_302600_NS6detail15normal_iteratorINS9_10device_ptrIyEEEEPS5_m9comp_mod3IyEEE10hipError_tT0_T1_T2_jT3_P12ihipStream_tbPNSt15iterator_traitsISJ_E10value_typeEPNSP_ISK_E10value_typeEPSL_NS1_7vsmem_tEENKUlT_SJ_SK_SL_E_clISE_PySF_SF_EESI_SY_SJ_SK_SL_EUlSY_E1_NS1_11comp_targetILNS1_3genE5ELNS1_11target_archE942ELNS1_3gpuE9ELNS1_3repE0EEENS1_36merge_oddeven_config_static_selectorELNS0_4arch9wavefront6targetE0EEEvSK_ ; -- Begin function _ZN7rocprim17ROCPRIM_400000_NS6detail17trampoline_kernelINS0_14default_configENS1_38merge_sort_block_merge_config_selectorIyNS0_10empty_typeEEEZZNS1_27merge_sort_block_merge_implIS3_N6thrust23THRUST_200600_302600_NS6detail15normal_iteratorINS9_10device_ptrIyEEEEPS5_m9comp_mod3IyEEE10hipError_tT0_T1_T2_jT3_P12ihipStream_tbPNSt15iterator_traitsISJ_E10value_typeEPNSP_ISK_E10value_typeEPSL_NS1_7vsmem_tEENKUlT_SJ_SK_SL_E_clISE_PySF_SF_EESI_SY_SJ_SK_SL_EUlSY_E1_NS1_11comp_targetILNS1_3genE5ELNS1_11target_archE942ELNS1_3gpuE9ELNS1_3repE0EEENS1_36merge_oddeven_config_static_selectorELNS0_4arch9wavefront6targetE0EEEvSK_
	.globl	_ZN7rocprim17ROCPRIM_400000_NS6detail17trampoline_kernelINS0_14default_configENS1_38merge_sort_block_merge_config_selectorIyNS0_10empty_typeEEEZZNS1_27merge_sort_block_merge_implIS3_N6thrust23THRUST_200600_302600_NS6detail15normal_iteratorINS9_10device_ptrIyEEEEPS5_m9comp_mod3IyEEE10hipError_tT0_T1_T2_jT3_P12ihipStream_tbPNSt15iterator_traitsISJ_E10value_typeEPNSP_ISK_E10value_typeEPSL_NS1_7vsmem_tEENKUlT_SJ_SK_SL_E_clISE_PySF_SF_EESI_SY_SJ_SK_SL_EUlSY_E1_NS1_11comp_targetILNS1_3genE5ELNS1_11target_archE942ELNS1_3gpuE9ELNS1_3repE0EEENS1_36merge_oddeven_config_static_selectorELNS0_4arch9wavefront6targetE0EEEvSK_
	.p2align	8
	.type	_ZN7rocprim17ROCPRIM_400000_NS6detail17trampoline_kernelINS0_14default_configENS1_38merge_sort_block_merge_config_selectorIyNS0_10empty_typeEEEZZNS1_27merge_sort_block_merge_implIS3_N6thrust23THRUST_200600_302600_NS6detail15normal_iteratorINS9_10device_ptrIyEEEEPS5_m9comp_mod3IyEEE10hipError_tT0_T1_T2_jT3_P12ihipStream_tbPNSt15iterator_traitsISJ_E10value_typeEPNSP_ISK_E10value_typeEPSL_NS1_7vsmem_tEENKUlT_SJ_SK_SL_E_clISE_PySF_SF_EESI_SY_SJ_SK_SL_EUlSY_E1_NS1_11comp_targetILNS1_3genE5ELNS1_11target_archE942ELNS1_3gpuE9ELNS1_3repE0EEENS1_36merge_oddeven_config_static_selectorELNS0_4arch9wavefront6targetE0EEEvSK_,@function
_ZN7rocprim17ROCPRIM_400000_NS6detail17trampoline_kernelINS0_14default_configENS1_38merge_sort_block_merge_config_selectorIyNS0_10empty_typeEEEZZNS1_27merge_sort_block_merge_implIS3_N6thrust23THRUST_200600_302600_NS6detail15normal_iteratorINS9_10device_ptrIyEEEEPS5_m9comp_mod3IyEEE10hipError_tT0_T1_T2_jT3_P12ihipStream_tbPNSt15iterator_traitsISJ_E10value_typeEPNSP_ISK_E10value_typeEPSL_NS1_7vsmem_tEENKUlT_SJ_SK_SL_E_clISE_PySF_SF_EESI_SY_SJ_SK_SL_EUlSY_E1_NS1_11comp_targetILNS1_3genE5ELNS1_11target_archE942ELNS1_3gpuE9ELNS1_3repE0EEENS1_36merge_oddeven_config_static_selectorELNS0_4arch9wavefront6targetE0EEEvSK_: ; @_ZN7rocprim17ROCPRIM_400000_NS6detail17trampoline_kernelINS0_14default_configENS1_38merge_sort_block_merge_config_selectorIyNS0_10empty_typeEEEZZNS1_27merge_sort_block_merge_implIS3_N6thrust23THRUST_200600_302600_NS6detail15normal_iteratorINS9_10device_ptrIyEEEEPS5_m9comp_mod3IyEEE10hipError_tT0_T1_T2_jT3_P12ihipStream_tbPNSt15iterator_traitsISJ_E10value_typeEPNSP_ISK_E10value_typeEPSL_NS1_7vsmem_tEENKUlT_SJ_SK_SL_E_clISE_PySF_SF_EESI_SY_SJ_SK_SL_EUlSY_E1_NS1_11comp_targetILNS1_3genE5ELNS1_11target_archE942ELNS1_3gpuE9ELNS1_3repE0EEENS1_36merge_oddeven_config_static_selectorELNS0_4arch9wavefront6targetE0EEEvSK_
; %bb.0:
	.section	.rodata,"a",@progbits
	.p2align	6, 0x0
	.amdhsa_kernel _ZN7rocprim17ROCPRIM_400000_NS6detail17trampoline_kernelINS0_14default_configENS1_38merge_sort_block_merge_config_selectorIyNS0_10empty_typeEEEZZNS1_27merge_sort_block_merge_implIS3_N6thrust23THRUST_200600_302600_NS6detail15normal_iteratorINS9_10device_ptrIyEEEEPS5_m9comp_mod3IyEEE10hipError_tT0_T1_T2_jT3_P12ihipStream_tbPNSt15iterator_traitsISJ_E10value_typeEPNSP_ISK_E10value_typeEPSL_NS1_7vsmem_tEENKUlT_SJ_SK_SL_E_clISE_PySF_SF_EESI_SY_SJ_SK_SL_EUlSY_E1_NS1_11comp_targetILNS1_3genE5ELNS1_11target_archE942ELNS1_3gpuE9ELNS1_3repE0EEENS1_36merge_oddeven_config_static_selectorELNS0_4arch9wavefront6targetE0EEEvSK_
		.amdhsa_group_segment_fixed_size 0
		.amdhsa_private_segment_fixed_size 0
		.amdhsa_kernarg_size 56
		.amdhsa_user_sgpr_count 6
		.amdhsa_user_sgpr_private_segment_buffer 1
		.amdhsa_user_sgpr_dispatch_ptr 0
		.amdhsa_user_sgpr_queue_ptr 0
		.amdhsa_user_sgpr_kernarg_segment_ptr 1
		.amdhsa_user_sgpr_dispatch_id 0
		.amdhsa_user_sgpr_flat_scratch_init 0
		.amdhsa_user_sgpr_private_segment_size 0
		.amdhsa_wavefront_size32 1
		.amdhsa_uses_dynamic_stack 0
		.amdhsa_system_sgpr_private_segment_wavefront_offset 0
		.amdhsa_system_sgpr_workgroup_id_x 1
		.amdhsa_system_sgpr_workgroup_id_y 0
		.amdhsa_system_sgpr_workgroup_id_z 0
		.amdhsa_system_sgpr_workgroup_info 0
		.amdhsa_system_vgpr_workitem_id 0
		.amdhsa_next_free_vgpr 1
		.amdhsa_next_free_sgpr 1
		.amdhsa_reserve_vcc 0
		.amdhsa_reserve_flat_scratch 0
		.amdhsa_float_round_mode_32 0
		.amdhsa_float_round_mode_16_64 0
		.amdhsa_float_denorm_mode_32 3
		.amdhsa_float_denorm_mode_16_64 3
		.amdhsa_dx10_clamp 1
		.amdhsa_ieee_mode 1
		.amdhsa_fp16_overflow 0
		.amdhsa_workgroup_processor_mode 1
		.amdhsa_memory_ordered 1
		.amdhsa_forward_progress 1
		.amdhsa_shared_vgpr_count 0
		.amdhsa_exception_fp_ieee_invalid_op 0
		.amdhsa_exception_fp_denorm_src 0
		.amdhsa_exception_fp_ieee_div_zero 0
		.amdhsa_exception_fp_ieee_overflow 0
		.amdhsa_exception_fp_ieee_underflow 0
		.amdhsa_exception_fp_ieee_inexact 0
		.amdhsa_exception_int_div_zero 0
	.end_amdhsa_kernel
	.section	.text._ZN7rocprim17ROCPRIM_400000_NS6detail17trampoline_kernelINS0_14default_configENS1_38merge_sort_block_merge_config_selectorIyNS0_10empty_typeEEEZZNS1_27merge_sort_block_merge_implIS3_N6thrust23THRUST_200600_302600_NS6detail15normal_iteratorINS9_10device_ptrIyEEEEPS5_m9comp_mod3IyEEE10hipError_tT0_T1_T2_jT3_P12ihipStream_tbPNSt15iterator_traitsISJ_E10value_typeEPNSP_ISK_E10value_typeEPSL_NS1_7vsmem_tEENKUlT_SJ_SK_SL_E_clISE_PySF_SF_EESI_SY_SJ_SK_SL_EUlSY_E1_NS1_11comp_targetILNS1_3genE5ELNS1_11target_archE942ELNS1_3gpuE9ELNS1_3repE0EEENS1_36merge_oddeven_config_static_selectorELNS0_4arch9wavefront6targetE0EEEvSK_,"axG",@progbits,_ZN7rocprim17ROCPRIM_400000_NS6detail17trampoline_kernelINS0_14default_configENS1_38merge_sort_block_merge_config_selectorIyNS0_10empty_typeEEEZZNS1_27merge_sort_block_merge_implIS3_N6thrust23THRUST_200600_302600_NS6detail15normal_iteratorINS9_10device_ptrIyEEEEPS5_m9comp_mod3IyEEE10hipError_tT0_T1_T2_jT3_P12ihipStream_tbPNSt15iterator_traitsISJ_E10value_typeEPNSP_ISK_E10value_typeEPSL_NS1_7vsmem_tEENKUlT_SJ_SK_SL_E_clISE_PySF_SF_EESI_SY_SJ_SK_SL_EUlSY_E1_NS1_11comp_targetILNS1_3genE5ELNS1_11target_archE942ELNS1_3gpuE9ELNS1_3repE0EEENS1_36merge_oddeven_config_static_selectorELNS0_4arch9wavefront6targetE0EEEvSK_,comdat
.Lfunc_end801:
	.size	_ZN7rocprim17ROCPRIM_400000_NS6detail17trampoline_kernelINS0_14default_configENS1_38merge_sort_block_merge_config_selectorIyNS0_10empty_typeEEEZZNS1_27merge_sort_block_merge_implIS3_N6thrust23THRUST_200600_302600_NS6detail15normal_iteratorINS9_10device_ptrIyEEEEPS5_m9comp_mod3IyEEE10hipError_tT0_T1_T2_jT3_P12ihipStream_tbPNSt15iterator_traitsISJ_E10value_typeEPNSP_ISK_E10value_typeEPSL_NS1_7vsmem_tEENKUlT_SJ_SK_SL_E_clISE_PySF_SF_EESI_SY_SJ_SK_SL_EUlSY_E1_NS1_11comp_targetILNS1_3genE5ELNS1_11target_archE942ELNS1_3gpuE9ELNS1_3repE0EEENS1_36merge_oddeven_config_static_selectorELNS0_4arch9wavefront6targetE0EEEvSK_, .Lfunc_end801-_ZN7rocprim17ROCPRIM_400000_NS6detail17trampoline_kernelINS0_14default_configENS1_38merge_sort_block_merge_config_selectorIyNS0_10empty_typeEEEZZNS1_27merge_sort_block_merge_implIS3_N6thrust23THRUST_200600_302600_NS6detail15normal_iteratorINS9_10device_ptrIyEEEEPS5_m9comp_mod3IyEEE10hipError_tT0_T1_T2_jT3_P12ihipStream_tbPNSt15iterator_traitsISJ_E10value_typeEPNSP_ISK_E10value_typeEPSL_NS1_7vsmem_tEENKUlT_SJ_SK_SL_E_clISE_PySF_SF_EESI_SY_SJ_SK_SL_EUlSY_E1_NS1_11comp_targetILNS1_3genE5ELNS1_11target_archE942ELNS1_3gpuE9ELNS1_3repE0EEENS1_36merge_oddeven_config_static_selectorELNS0_4arch9wavefront6targetE0EEEvSK_
                                        ; -- End function
	.set _ZN7rocprim17ROCPRIM_400000_NS6detail17trampoline_kernelINS0_14default_configENS1_38merge_sort_block_merge_config_selectorIyNS0_10empty_typeEEEZZNS1_27merge_sort_block_merge_implIS3_N6thrust23THRUST_200600_302600_NS6detail15normal_iteratorINS9_10device_ptrIyEEEEPS5_m9comp_mod3IyEEE10hipError_tT0_T1_T2_jT3_P12ihipStream_tbPNSt15iterator_traitsISJ_E10value_typeEPNSP_ISK_E10value_typeEPSL_NS1_7vsmem_tEENKUlT_SJ_SK_SL_E_clISE_PySF_SF_EESI_SY_SJ_SK_SL_EUlSY_E1_NS1_11comp_targetILNS1_3genE5ELNS1_11target_archE942ELNS1_3gpuE9ELNS1_3repE0EEENS1_36merge_oddeven_config_static_selectorELNS0_4arch9wavefront6targetE0EEEvSK_.num_vgpr, 0
	.set _ZN7rocprim17ROCPRIM_400000_NS6detail17trampoline_kernelINS0_14default_configENS1_38merge_sort_block_merge_config_selectorIyNS0_10empty_typeEEEZZNS1_27merge_sort_block_merge_implIS3_N6thrust23THRUST_200600_302600_NS6detail15normal_iteratorINS9_10device_ptrIyEEEEPS5_m9comp_mod3IyEEE10hipError_tT0_T1_T2_jT3_P12ihipStream_tbPNSt15iterator_traitsISJ_E10value_typeEPNSP_ISK_E10value_typeEPSL_NS1_7vsmem_tEENKUlT_SJ_SK_SL_E_clISE_PySF_SF_EESI_SY_SJ_SK_SL_EUlSY_E1_NS1_11comp_targetILNS1_3genE5ELNS1_11target_archE942ELNS1_3gpuE9ELNS1_3repE0EEENS1_36merge_oddeven_config_static_selectorELNS0_4arch9wavefront6targetE0EEEvSK_.num_agpr, 0
	.set _ZN7rocprim17ROCPRIM_400000_NS6detail17trampoline_kernelINS0_14default_configENS1_38merge_sort_block_merge_config_selectorIyNS0_10empty_typeEEEZZNS1_27merge_sort_block_merge_implIS3_N6thrust23THRUST_200600_302600_NS6detail15normal_iteratorINS9_10device_ptrIyEEEEPS5_m9comp_mod3IyEEE10hipError_tT0_T1_T2_jT3_P12ihipStream_tbPNSt15iterator_traitsISJ_E10value_typeEPNSP_ISK_E10value_typeEPSL_NS1_7vsmem_tEENKUlT_SJ_SK_SL_E_clISE_PySF_SF_EESI_SY_SJ_SK_SL_EUlSY_E1_NS1_11comp_targetILNS1_3genE5ELNS1_11target_archE942ELNS1_3gpuE9ELNS1_3repE0EEENS1_36merge_oddeven_config_static_selectorELNS0_4arch9wavefront6targetE0EEEvSK_.numbered_sgpr, 0
	.set _ZN7rocprim17ROCPRIM_400000_NS6detail17trampoline_kernelINS0_14default_configENS1_38merge_sort_block_merge_config_selectorIyNS0_10empty_typeEEEZZNS1_27merge_sort_block_merge_implIS3_N6thrust23THRUST_200600_302600_NS6detail15normal_iteratorINS9_10device_ptrIyEEEEPS5_m9comp_mod3IyEEE10hipError_tT0_T1_T2_jT3_P12ihipStream_tbPNSt15iterator_traitsISJ_E10value_typeEPNSP_ISK_E10value_typeEPSL_NS1_7vsmem_tEENKUlT_SJ_SK_SL_E_clISE_PySF_SF_EESI_SY_SJ_SK_SL_EUlSY_E1_NS1_11comp_targetILNS1_3genE5ELNS1_11target_archE942ELNS1_3gpuE9ELNS1_3repE0EEENS1_36merge_oddeven_config_static_selectorELNS0_4arch9wavefront6targetE0EEEvSK_.num_named_barrier, 0
	.set _ZN7rocprim17ROCPRIM_400000_NS6detail17trampoline_kernelINS0_14default_configENS1_38merge_sort_block_merge_config_selectorIyNS0_10empty_typeEEEZZNS1_27merge_sort_block_merge_implIS3_N6thrust23THRUST_200600_302600_NS6detail15normal_iteratorINS9_10device_ptrIyEEEEPS5_m9comp_mod3IyEEE10hipError_tT0_T1_T2_jT3_P12ihipStream_tbPNSt15iterator_traitsISJ_E10value_typeEPNSP_ISK_E10value_typeEPSL_NS1_7vsmem_tEENKUlT_SJ_SK_SL_E_clISE_PySF_SF_EESI_SY_SJ_SK_SL_EUlSY_E1_NS1_11comp_targetILNS1_3genE5ELNS1_11target_archE942ELNS1_3gpuE9ELNS1_3repE0EEENS1_36merge_oddeven_config_static_selectorELNS0_4arch9wavefront6targetE0EEEvSK_.private_seg_size, 0
	.set _ZN7rocprim17ROCPRIM_400000_NS6detail17trampoline_kernelINS0_14default_configENS1_38merge_sort_block_merge_config_selectorIyNS0_10empty_typeEEEZZNS1_27merge_sort_block_merge_implIS3_N6thrust23THRUST_200600_302600_NS6detail15normal_iteratorINS9_10device_ptrIyEEEEPS5_m9comp_mod3IyEEE10hipError_tT0_T1_T2_jT3_P12ihipStream_tbPNSt15iterator_traitsISJ_E10value_typeEPNSP_ISK_E10value_typeEPSL_NS1_7vsmem_tEENKUlT_SJ_SK_SL_E_clISE_PySF_SF_EESI_SY_SJ_SK_SL_EUlSY_E1_NS1_11comp_targetILNS1_3genE5ELNS1_11target_archE942ELNS1_3gpuE9ELNS1_3repE0EEENS1_36merge_oddeven_config_static_selectorELNS0_4arch9wavefront6targetE0EEEvSK_.uses_vcc, 0
	.set _ZN7rocprim17ROCPRIM_400000_NS6detail17trampoline_kernelINS0_14default_configENS1_38merge_sort_block_merge_config_selectorIyNS0_10empty_typeEEEZZNS1_27merge_sort_block_merge_implIS3_N6thrust23THRUST_200600_302600_NS6detail15normal_iteratorINS9_10device_ptrIyEEEEPS5_m9comp_mod3IyEEE10hipError_tT0_T1_T2_jT3_P12ihipStream_tbPNSt15iterator_traitsISJ_E10value_typeEPNSP_ISK_E10value_typeEPSL_NS1_7vsmem_tEENKUlT_SJ_SK_SL_E_clISE_PySF_SF_EESI_SY_SJ_SK_SL_EUlSY_E1_NS1_11comp_targetILNS1_3genE5ELNS1_11target_archE942ELNS1_3gpuE9ELNS1_3repE0EEENS1_36merge_oddeven_config_static_selectorELNS0_4arch9wavefront6targetE0EEEvSK_.uses_flat_scratch, 0
	.set _ZN7rocprim17ROCPRIM_400000_NS6detail17trampoline_kernelINS0_14default_configENS1_38merge_sort_block_merge_config_selectorIyNS0_10empty_typeEEEZZNS1_27merge_sort_block_merge_implIS3_N6thrust23THRUST_200600_302600_NS6detail15normal_iteratorINS9_10device_ptrIyEEEEPS5_m9comp_mod3IyEEE10hipError_tT0_T1_T2_jT3_P12ihipStream_tbPNSt15iterator_traitsISJ_E10value_typeEPNSP_ISK_E10value_typeEPSL_NS1_7vsmem_tEENKUlT_SJ_SK_SL_E_clISE_PySF_SF_EESI_SY_SJ_SK_SL_EUlSY_E1_NS1_11comp_targetILNS1_3genE5ELNS1_11target_archE942ELNS1_3gpuE9ELNS1_3repE0EEENS1_36merge_oddeven_config_static_selectorELNS0_4arch9wavefront6targetE0EEEvSK_.has_dyn_sized_stack, 0
	.set _ZN7rocprim17ROCPRIM_400000_NS6detail17trampoline_kernelINS0_14default_configENS1_38merge_sort_block_merge_config_selectorIyNS0_10empty_typeEEEZZNS1_27merge_sort_block_merge_implIS3_N6thrust23THRUST_200600_302600_NS6detail15normal_iteratorINS9_10device_ptrIyEEEEPS5_m9comp_mod3IyEEE10hipError_tT0_T1_T2_jT3_P12ihipStream_tbPNSt15iterator_traitsISJ_E10value_typeEPNSP_ISK_E10value_typeEPSL_NS1_7vsmem_tEENKUlT_SJ_SK_SL_E_clISE_PySF_SF_EESI_SY_SJ_SK_SL_EUlSY_E1_NS1_11comp_targetILNS1_3genE5ELNS1_11target_archE942ELNS1_3gpuE9ELNS1_3repE0EEENS1_36merge_oddeven_config_static_selectorELNS0_4arch9wavefront6targetE0EEEvSK_.has_recursion, 0
	.set _ZN7rocprim17ROCPRIM_400000_NS6detail17trampoline_kernelINS0_14default_configENS1_38merge_sort_block_merge_config_selectorIyNS0_10empty_typeEEEZZNS1_27merge_sort_block_merge_implIS3_N6thrust23THRUST_200600_302600_NS6detail15normal_iteratorINS9_10device_ptrIyEEEEPS5_m9comp_mod3IyEEE10hipError_tT0_T1_T2_jT3_P12ihipStream_tbPNSt15iterator_traitsISJ_E10value_typeEPNSP_ISK_E10value_typeEPSL_NS1_7vsmem_tEENKUlT_SJ_SK_SL_E_clISE_PySF_SF_EESI_SY_SJ_SK_SL_EUlSY_E1_NS1_11comp_targetILNS1_3genE5ELNS1_11target_archE942ELNS1_3gpuE9ELNS1_3repE0EEENS1_36merge_oddeven_config_static_selectorELNS0_4arch9wavefront6targetE0EEEvSK_.has_indirect_call, 0
	.section	.AMDGPU.csdata,"",@progbits
; Kernel info:
; codeLenInByte = 0
; TotalNumSgprs: 0
; NumVgprs: 0
; ScratchSize: 0
; MemoryBound: 0
; FloatMode: 240
; IeeeMode: 1
; LDSByteSize: 0 bytes/workgroup (compile time only)
; SGPRBlocks: 0
; VGPRBlocks: 0
; NumSGPRsForWavesPerEU: 1
; NumVGPRsForWavesPerEU: 1
; Occupancy: 16
; WaveLimiterHint : 0
; COMPUTE_PGM_RSRC2:SCRATCH_EN: 0
; COMPUTE_PGM_RSRC2:USER_SGPR: 6
; COMPUTE_PGM_RSRC2:TRAP_HANDLER: 0
; COMPUTE_PGM_RSRC2:TGID_X_EN: 1
; COMPUTE_PGM_RSRC2:TGID_Y_EN: 0
; COMPUTE_PGM_RSRC2:TGID_Z_EN: 0
; COMPUTE_PGM_RSRC2:TIDIG_COMP_CNT: 0
	.section	.text._ZN7rocprim17ROCPRIM_400000_NS6detail17trampoline_kernelINS0_14default_configENS1_38merge_sort_block_merge_config_selectorIyNS0_10empty_typeEEEZZNS1_27merge_sort_block_merge_implIS3_N6thrust23THRUST_200600_302600_NS6detail15normal_iteratorINS9_10device_ptrIyEEEEPS5_m9comp_mod3IyEEE10hipError_tT0_T1_T2_jT3_P12ihipStream_tbPNSt15iterator_traitsISJ_E10value_typeEPNSP_ISK_E10value_typeEPSL_NS1_7vsmem_tEENKUlT_SJ_SK_SL_E_clISE_PySF_SF_EESI_SY_SJ_SK_SL_EUlSY_E1_NS1_11comp_targetILNS1_3genE4ELNS1_11target_archE910ELNS1_3gpuE8ELNS1_3repE0EEENS1_36merge_oddeven_config_static_selectorELNS0_4arch9wavefront6targetE0EEEvSK_,"axG",@progbits,_ZN7rocprim17ROCPRIM_400000_NS6detail17trampoline_kernelINS0_14default_configENS1_38merge_sort_block_merge_config_selectorIyNS0_10empty_typeEEEZZNS1_27merge_sort_block_merge_implIS3_N6thrust23THRUST_200600_302600_NS6detail15normal_iteratorINS9_10device_ptrIyEEEEPS5_m9comp_mod3IyEEE10hipError_tT0_T1_T2_jT3_P12ihipStream_tbPNSt15iterator_traitsISJ_E10value_typeEPNSP_ISK_E10value_typeEPSL_NS1_7vsmem_tEENKUlT_SJ_SK_SL_E_clISE_PySF_SF_EESI_SY_SJ_SK_SL_EUlSY_E1_NS1_11comp_targetILNS1_3genE4ELNS1_11target_archE910ELNS1_3gpuE8ELNS1_3repE0EEENS1_36merge_oddeven_config_static_selectorELNS0_4arch9wavefront6targetE0EEEvSK_,comdat
	.protected	_ZN7rocprim17ROCPRIM_400000_NS6detail17trampoline_kernelINS0_14default_configENS1_38merge_sort_block_merge_config_selectorIyNS0_10empty_typeEEEZZNS1_27merge_sort_block_merge_implIS3_N6thrust23THRUST_200600_302600_NS6detail15normal_iteratorINS9_10device_ptrIyEEEEPS5_m9comp_mod3IyEEE10hipError_tT0_T1_T2_jT3_P12ihipStream_tbPNSt15iterator_traitsISJ_E10value_typeEPNSP_ISK_E10value_typeEPSL_NS1_7vsmem_tEENKUlT_SJ_SK_SL_E_clISE_PySF_SF_EESI_SY_SJ_SK_SL_EUlSY_E1_NS1_11comp_targetILNS1_3genE4ELNS1_11target_archE910ELNS1_3gpuE8ELNS1_3repE0EEENS1_36merge_oddeven_config_static_selectorELNS0_4arch9wavefront6targetE0EEEvSK_ ; -- Begin function _ZN7rocprim17ROCPRIM_400000_NS6detail17trampoline_kernelINS0_14default_configENS1_38merge_sort_block_merge_config_selectorIyNS0_10empty_typeEEEZZNS1_27merge_sort_block_merge_implIS3_N6thrust23THRUST_200600_302600_NS6detail15normal_iteratorINS9_10device_ptrIyEEEEPS5_m9comp_mod3IyEEE10hipError_tT0_T1_T2_jT3_P12ihipStream_tbPNSt15iterator_traitsISJ_E10value_typeEPNSP_ISK_E10value_typeEPSL_NS1_7vsmem_tEENKUlT_SJ_SK_SL_E_clISE_PySF_SF_EESI_SY_SJ_SK_SL_EUlSY_E1_NS1_11comp_targetILNS1_3genE4ELNS1_11target_archE910ELNS1_3gpuE8ELNS1_3repE0EEENS1_36merge_oddeven_config_static_selectorELNS0_4arch9wavefront6targetE0EEEvSK_
	.globl	_ZN7rocprim17ROCPRIM_400000_NS6detail17trampoline_kernelINS0_14default_configENS1_38merge_sort_block_merge_config_selectorIyNS0_10empty_typeEEEZZNS1_27merge_sort_block_merge_implIS3_N6thrust23THRUST_200600_302600_NS6detail15normal_iteratorINS9_10device_ptrIyEEEEPS5_m9comp_mod3IyEEE10hipError_tT0_T1_T2_jT3_P12ihipStream_tbPNSt15iterator_traitsISJ_E10value_typeEPNSP_ISK_E10value_typeEPSL_NS1_7vsmem_tEENKUlT_SJ_SK_SL_E_clISE_PySF_SF_EESI_SY_SJ_SK_SL_EUlSY_E1_NS1_11comp_targetILNS1_3genE4ELNS1_11target_archE910ELNS1_3gpuE8ELNS1_3repE0EEENS1_36merge_oddeven_config_static_selectorELNS0_4arch9wavefront6targetE0EEEvSK_
	.p2align	8
	.type	_ZN7rocprim17ROCPRIM_400000_NS6detail17trampoline_kernelINS0_14default_configENS1_38merge_sort_block_merge_config_selectorIyNS0_10empty_typeEEEZZNS1_27merge_sort_block_merge_implIS3_N6thrust23THRUST_200600_302600_NS6detail15normal_iteratorINS9_10device_ptrIyEEEEPS5_m9comp_mod3IyEEE10hipError_tT0_T1_T2_jT3_P12ihipStream_tbPNSt15iterator_traitsISJ_E10value_typeEPNSP_ISK_E10value_typeEPSL_NS1_7vsmem_tEENKUlT_SJ_SK_SL_E_clISE_PySF_SF_EESI_SY_SJ_SK_SL_EUlSY_E1_NS1_11comp_targetILNS1_3genE4ELNS1_11target_archE910ELNS1_3gpuE8ELNS1_3repE0EEENS1_36merge_oddeven_config_static_selectorELNS0_4arch9wavefront6targetE0EEEvSK_,@function
_ZN7rocprim17ROCPRIM_400000_NS6detail17trampoline_kernelINS0_14default_configENS1_38merge_sort_block_merge_config_selectorIyNS0_10empty_typeEEEZZNS1_27merge_sort_block_merge_implIS3_N6thrust23THRUST_200600_302600_NS6detail15normal_iteratorINS9_10device_ptrIyEEEEPS5_m9comp_mod3IyEEE10hipError_tT0_T1_T2_jT3_P12ihipStream_tbPNSt15iterator_traitsISJ_E10value_typeEPNSP_ISK_E10value_typeEPSL_NS1_7vsmem_tEENKUlT_SJ_SK_SL_E_clISE_PySF_SF_EESI_SY_SJ_SK_SL_EUlSY_E1_NS1_11comp_targetILNS1_3genE4ELNS1_11target_archE910ELNS1_3gpuE8ELNS1_3repE0EEENS1_36merge_oddeven_config_static_selectorELNS0_4arch9wavefront6targetE0EEEvSK_: ; @_ZN7rocprim17ROCPRIM_400000_NS6detail17trampoline_kernelINS0_14default_configENS1_38merge_sort_block_merge_config_selectorIyNS0_10empty_typeEEEZZNS1_27merge_sort_block_merge_implIS3_N6thrust23THRUST_200600_302600_NS6detail15normal_iteratorINS9_10device_ptrIyEEEEPS5_m9comp_mod3IyEEE10hipError_tT0_T1_T2_jT3_P12ihipStream_tbPNSt15iterator_traitsISJ_E10value_typeEPNSP_ISK_E10value_typeEPSL_NS1_7vsmem_tEENKUlT_SJ_SK_SL_E_clISE_PySF_SF_EESI_SY_SJ_SK_SL_EUlSY_E1_NS1_11comp_targetILNS1_3genE4ELNS1_11target_archE910ELNS1_3gpuE8ELNS1_3repE0EEENS1_36merge_oddeven_config_static_selectorELNS0_4arch9wavefront6targetE0EEEvSK_
; %bb.0:
	.section	.rodata,"a",@progbits
	.p2align	6, 0x0
	.amdhsa_kernel _ZN7rocprim17ROCPRIM_400000_NS6detail17trampoline_kernelINS0_14default_configENS1_38merge_sort_block_merge_config_selectorIyNS0_10empty_typeEEEZZNS1_27merge_sort_block_merge_implIS3_N6thrust23THRUST_200600_302600_NS6detail15normal_iteratorINS9_10device_ptrIyEEEEPS5_m9comp_mod3IyEEE10hipError_tT0_T1_T2_jT3_P12ihipStream_tbPNSt15iterator_traitsISJ_E10value_typeEPNSP_ISK_E10value_typeEPSL_NS1_7vsmem_tEENKUlT_SJ_SK_SL_E_clISE_PySF_SF_EESI_SY_SJ_SK_SL_EUlSY_E1_NS1_11comp_targetILNS1_3genE4ELNS1_11target_archE910ELNS1_3gpuE8ELNS1_3repE0EEENS1_36merge_oddeven_config_static_selectorELNS0_4arch9wavefront6targetE0EEEvSK_
		.amdhsa_group_segment_fixed_size 0
		.amdhsa_private_segment_fixed_size 0
		.amdhsa_kernarg_size 56
		.amdhsa_user_sgpr_count 6
		.amdhsa_user_sgpr_private_segment_buffer 1
		.amdhsa_user_sgpr_dispatch_ptr 0
		.amdhsa_user_sgpr_queue_ptr 0
		.amdhsa_user_sgpr_kernarg_segment_ptr 1
		.amdhsa_user_sgpr_dispatch_id 0
		.amdhsa_user_sgpr_flat_scratch_init 0
		.amdhsa_user_sgpr_private_segment_size 0
		.amdhsa_wavefront_size32 1
		.amdhsa_uses_dynamic_stack 0
		.amdhsa_system_sgpr_private_segment_wavefront_offset 0
		.amdhsa_system_sgpr_workgroup_id_x 1
		.amdhsa_system_sgpr_workgroup_id_y 0
		.amdhsa_system_sgpr_workgroup_id_z 0
		.amdhsa_system_sgpr_workgroup_info 0
		.amdhsa_system_vgpr_workitem_id 0
		.amdhsa_next_free_vgpr 1
		.amdhsa_next_free_sgpr 1
		.amdhsa_reserve_vcc 0
		.amdhsa_reserve_flat_scratch 0
		.amdhsa_float_round_mode_32 0
		.amdhsa_float_round_mode_16_64 0
		.amdhsa_float_denorm_mode_32 3
		.amdhsa_float_denorm_mode_16_64 3
		.amdhsa_dx10_clamp 1
		.amdhsa_ieee_mode 1
		.amdhsa_fp16_overflow 0
		.amdhsa_workgroup_processor_mode 1
		.amdhsa_memory_ordered 1
		.amdhsa_forward_progress 1
		.amdhsa_shared_vgpr_count 0
		.amdhsa_exception_fp_ieee_invalid_op 0
		.amdhsa_exception_fp_denorm_src 0
		.amdhsa_exception_fp_ieee_div_zero 0
		.amdhsa_exception_fp_ieee_overflow 0
		.amdhsa_exception_fp_ieee_underflow 0
		.amdhsa_exception_fp_ieee_inexact 0
		.amdhsa_exception_int_div_zero 0
	.end_amdhsa_kernel
	.section	.text._ZN7rocprim17ROCPRIM_400000_NS6detail17trampoline_kernelINS0_14default_configENS1_38merge_sort_block_merge_config_selectorIyNS0_10empty_typeEEEZZNS1_27merge_sort_block_merge_implIS3_N6thrust23THRUST_200600_302600_NS6detail15normal_iteratorINS9_10device_ptrIyEEEEPS5_m9comp_mod3IyEEE10hipError_tT0_T1_T2_jT3_P12ihipStream_tbPNSt15iterator_traitsISJ_E10value_typeEPNSP_ISK_E10value_typeEPSL_NS1_7vsmem_tEENKUlT_SJ_SK_SL_E_clISE_PySF_SF_EESI_SY_SJ_SK_SL_EUlSY_E1_NS1_11comp_targetILNS1_3genE4ELNS1_11target_archE910ELNS1_3gpuE8ELNS1_3repE0EEENS1_36merge_oddeven_config_static_selectorELNS0_4arch9wavefront6targetE0EEEvSK_,"axG",@progbits,_ZN7rocprim17ROCPRIM_400000_NS6detail17trampoline_kernelINS0_14default_configENS1_38merge_sort_block_merge_config_selectorIyNS0_10empty_typeEEEZZNS1_27merge_sort_block_merge_implIS3_N6thrust23THRUST_200600_302600_NS6detail15normal_iteratorINS9_10device_ptrIyEEEEPS5_m9comp_mod3IyEEE10hipError_tT0_T1_T2_jT3_P12ihipStream_tbPNSt15iterator_traitsISJ_E10value_typeEPNSP_ISK_E10value_typeEPSL_NS1_7vsmem_tEENKUlT_SJ_SK_SL_E_clISE_PySF_SF_EESI_SY_SJ_SK_SL_EUlSY_E1_NS1_11comp_targetILNS1_3genE4ELNS1_11target_archE910ELNS1_3gpuE8ELNS1_3repE0EEENS1_36merge_oddeven_config_static_selectorELNS0_4arch9wavefront6targetE0EEEvSK_,comdat
.Lfunc_end802:
	.size	_ZN7rocprim17ROCPRIM_400000_NS6detail17trampoline_kernelINS0_14default_configENS1_38merge_sort_block_merge_config_selectorIyNS0_10empty_typeEEEZZNS1_27merge_sort_block_merge_implIS3_N6thrust23THRUST_200600_302600_NS6detail15normal_iteratorINS9_10device_ptrIyEEEEPS5_m9comp_mod3IyEEE10hipError_tT0_T1_T2_jT3_P12ihipStream_tbPNSt15iterator_traitsISJ_E10value_typeEPNSP_ISK_E10value_typeEPSL_NS1_7vsmem_tEENKUlT_SJ_SK_SL_E_clISE_PySF_SF_EESI_SY_SJ_SK_SL_EUlSY_E1_NS1_11comp_targetILNS1_3genE4ELNS1_11target_archE910ELNS1_3gpuE8ELNS1_3repE0EEENS1_36merge_oddeven_config_static_selectorELNS0_4arch9wavefront6targetE0EEEvSK_, .Lfunc_end802-_ZN7rocprim17ROCPRIM_400000_NS6detail17trampoline_kernelINS0_14default_configENS1_38merge_sort_block_merge_config_selectorIyNS0_10empty_typeEEEZZNS1_27merge_sort_block_merge_implIS3_N6thrust23THRUST_200600_302600_NS6detail15normal_iteratorINS9_10device_ptrIyEEEEPS5_m9comp_mod3IyEEE10hipError_tT0_T1_T2_jT3_P12ihipStream_tbPNSt15iterator_traitsISJ_E10value_typeEPNSP_ISK_E10value_typeEPSL_NS1_7vsmem_tEENKUlT_SJ_SK_SL_E_clISE_PySF_SF_EESI_SY_SJ_SK_SL_EUlSY_E1_NS1_11comp_targetILNS1_3genE4ELNS1_11target_archE910ELNS1_3gpuE8ELNS1_3repE0EEENS1_36merge_oddeven_config_static_selectorELNS0_4arch9wavefront6targetE0EEEvSK_
                                        ; -- End function
	.set _ZN7rocprim17ROCPRIM_400000_NS6detail17trampoline_kernelINS0_14default_configENS1_38merge_sort_block_merge_config_selectorIyNS0_10empty_typeEEEZZNS1_27merge_sort_block_merge_implIS3_N6thrust23THRUST_200600_302600_NS6detail15normal_iteratorINS9_10device_ptrIyEEEEPS5_m9comp_mod3IyEEE10hipError_tT0_T1_T2_jT3_P12ihipStream_tbPNSt15iterator_traitsISJ_E10value_typeEPNSP_ISK_E10value_typeEPSL_NS1_7vsmem_tEENKUlT_SJ_SK_SL_E_clISE_PySF_SF_EESI_SY_SJ_SK_SL_EUlSY_E1_NS1_11comp_targetILNS1_3genE4ELNS1_11target_archE910ELNS1_3gpuE8ELNS1_3repE0EEENS1_36merge_oddeven_config_static_selectorELNS0_4arch9wavefront6targetE0EEEvSK_.num_vgpr, 0
	.set _ZN7rocprim17ROCPRIM_400000_NS6detail17trampoline_kernelINS0_14default_configENS1_38merge_sort_block_merge_config_selectorIyNS0_10empty_typeEEEZZNS1_27merge_sort_block_merge_implIS3_N6thrust23THRUST_200600_302600_NS6detail15normal_iteratorINS9_10device_ptrIyEEEEPS5_m9comp_mod3IyEEE10hipError_tT0_T1_T2_jT3_P12ihipStream_tbPNSt15iterator_traitsISJ_E10value_typeEPNSP_ISK_E10value_typeEPSL_NS1_7vsmem_tEENKUlT_SJ_SK_SL_E_clISE_PySF_SF_EESI_SY_SJ_SK_SL_EUlSY_E1_NS1_11comp_targetILNS1_3genE4ELNS1_11target_archE910ELNS1_3gpuE8ELNS1_3repE0EEENS1_36merge_oddeven_config_static_selectorELNS0_4arch9wavefront6targetE0EEEvSK_.num_agpr, 0
	.set _ZN7rocprim17ROCPRIM_400000_NS6detail17trampoline_kernelINS0_14default_configENS1_38merge_sort_block_merge_config_selectorIyNS0_10empty_typeEEEZZNS1_27merge_sort_block_merge_implIS3_N6thrust23THRUST_200600_302600_NS6detail15normal_iteratorINS9_10device_ptrIyEEEEPS5_m9comp_mod3IyEEE10hipError_tT0_T1_T2_jT3_P12ihipStream_tbPNSt15iterator_traitsISJ_E10value_typeEPNSP_ISK_E10value_typeEPSL_NS1_7vsmem_tEENKUlT_SJ_SK_SL_E_clISE_PySF_SF_EESI_SY_SJ_SK_SL_EUlSY_E1_NS1_11comp_targetILNS1_3genE4ELNS1_11target_archE910ELNS1_3gpuE8ELNS1_3repE0EEENS1_36merge_oddeven_config_static_selectorELNS0_4arch9wavefront6targetE0EEEvSK_.numbered_sgpr, 0
	.set _ZN7rocprim17ROCPRIM_400000_NS6detail17trampoline_kernelINS0_14default_configENS1_38merge_sort_block_merge_config_selectorIyNS0_10empty_typeEEEZZNS1_27merge_sort_block_merge_implIS3_N6thrust23THRUST_200600_302600_NS6detail15normal_iteratorINS9_10device_ptrIyEEEEPS5_m9comp_mod3IyEEE10hipError_tT0_T1_T2_jT3_P12ihipStream_tbPNSt15iterator_traitsISJ_E10value_typeEPNSP_ISK_E10value_typeEPSL_NS1_7vsmem_tEENKUlT_SJ_SK_SL_E_clISE_PySF_SF_EESI_SY_SJ_SK_SL_EUlSY_E1_NS1_11comp_targetILNS1_3genE4ELNS1_11target_archE910ELNS1_3gpuE8ELNS1_3repE0EEENS1_36merge_oddeven_config_static_selectorELNS0_4arch9wavefront6targetE0EEEvSK_.num_named_barrier, 0
	.set _ZN7rocprim17ROCPRIM_400000_NS6detail17trampoline_kernelINS0_14default_configENS1_38merge_sort_block_merge_config_selectorIyNS0_10empty_typeEEEZZNS1_27merge_sort_block_merge_implIS3_N6thrust23THRUST_200600_302600_NS6detail15normal_iteratorINS9_10device_ptrIyEEEEPS5_m9comp_mod3IyEEE10hipError_tT0_T1_T2_jT3_P12ihipStream_tbPNSt15iterator_traitsISJ_E10value_typeEPNSP_ISK_E10value_typeEPSL_NS1_7vsmem_tEENKUlT_SJ_SK_SL_E_clISE_PySF_SF_EESI_SY_SJ_SK_SL_EUlSY_E1_NS1_11comp_targetILNS1_3genE4ELNS1_11target_archE910ELNS1_3gpuE8ELNS1_3repE0EEENS1_36merge_oddeven_config_static_selectorELNS0_4arch9wavefront6targetE0EEEvSK_.private_seg_size, 0
	.set _ZN7rocprim17ROCPRIM_400000_NS6detail17trampoline_kernelINS0_14default_configENS1_38merge_sort_block_merge_config_selectorIyNS0_10empty_typeEEEZZNS1_27merge_sort_block_merge_implIS3_N6thrust23THRUST_200600_302600_NS6detail15normal_iteratorINS9_10device_ptrIyEEEEPS5_m9comp_mod3IyEEE10hipError_tT0_T1_T2_jT3_P12ihipStream_tbPNSt15iterator_traitsISJ_E10value_typeEPNSP_ISK_E10value_typeEPSL_NS1_7vsmem_tEENKUlT_SJ_SK_SL_E_clISE_PySF_SF_EESI_SY_SJ_SK_SL_EUlSY_E1_NS1_11comp_targetILNS1_3genE4ELNS1_11target_archE910ELNS1_3gpuE8ELNS1_3repE0EEENS1_36merge_oddeven_config_static_selectorELNS0_4arch9wavefront6targetE0EEEvSK_.uses_vcc, 0
	.set _ZN7rocprim17ROCPRIM_400000_NS6detail17trampoline_kernelINS0_14default_configENS1_38merge_sort_block_merge_config_selectorIyNS0_10empty_typeEEEZZNS1_27merge_sort_block_merge_implIS3_N6thrust23THRUST_200600_302600_NS6detail15normal_iteratorINS9_10device_ptrIyEEEEPS5_m9comp_mod3IyEEE10hipError_tT0_T1_T2_jT3_P12ihipStream_tbPNSt15iterator_traitsISJ_E10value_typeEPNSP_ISK_E10value_typeEPSL_NS1_7vsmem_tEENKUlT_SJ_SK_SL_E_clISE_PySF_SF_EESI_SY_SJ_SK_SL_EUlSY_E1_NS1_11comp_targetILNS1_3genE4ELNS1_11target_archE910ELNS1_3gpuE8ELNS1_3repE0EEENS1_36merge_oddeven_config_static_selectorELNS0_4arch9wavefront6targetE0EEEvSK_.uses_flat_scratch, 0
	.set _ZN7rocprim17ROCPRIM_400000_NS6detail17trampoline_kernelINS0_14default_configENS1_38merge_sort_block_merge_config_selectorIyNS0_10empty_typeEEEZZNS1_27merge_sort_block_merge_implIS3_N6thrust23THRUST_200600_302600_NS6detail15normal_iteratorINS9_10device_ptrIyEEEEPS5_m9comp_mod3IyEEE10hipError_tT0_T1_T2_jT3_P12ihipStream_tbPNSt15iterator_traitsISJ_E10value_typeEPNSP_ISK_E10value_typeEPSL_NS1_7vsmem_tEENKUlT_SJ_SK_SL_E_clISE_PySF_SF_EESI_SY_SJ_SK_SL_EUlSY_E1_NS1_11comp_targetILNS1_3genE4ELNS1_11target_archE910ELNS1_3gpuE8ELNS1_3repE0EEENS1_36merge_oddeven_config_static_selectorELNS0_4arch9wavefront6targetE0EEEvSK_.has_dyn_sized_stack, 0
	.set _ZN7rocprim17ROCPRIM_400000_NS6detail17trampoline_kernelINS0_14default_configENS1_38merge_sort_block_merge_config_selectorIyNS0_10empty_typeEEEZZNS1_27merge_sort_block_merge_implIS3_N6thrust23THRUST_200600_302600_NS6detail15normal_iteratorINS9_10device_ptrIyEEEEPS5_m9comp_mod3IyEEE10hipError_tT0_T1_T2_jT3_P12ihipStream_tbPNSt15iterator_traitsISJ_E10value_typeEPNSP_ISK_E10value_typeEPSL_NS1_7vsmem_tEENKUlT_SJ_SK_SL_E_clISE_PySF_SF_EESI_SY_SJ_SK_SL_EUlSY_E1_NS1_11comp_targetILNS1_3genE4ELNS1_11target_archE910ELNS1_3gpuE8ELNS1_3repE0EEENS1_36merge_oddeven_config_static_selectorELNS0_4arch9wavefront6targetE0EEEvSK_.has_recursion, 0
	.set _ZN7rocprim17ROCPRIM_400000_NS6detail17trampoline_kernelINS0_14default_configENS1_38merge_sort_block_merge_config_selectorIyNS0_10empty_typeEEEZZNS1_27merge_sort_block_merge_implIS3_N6thrust23THRUST_200600_302600_NS6detail15normal_iteratorINS9_10device_ptrIyEEEEPS5_m9comp_mod3IyEEE10hipError_tT0_T1_T2_jT3_P12ihipStream_tbPNSt15iterator_traitsISJ_E10value_typeEPNSP_ISK_E10value_typeEPSL_NS1_7vsmem_tEENKUlT_SJ_SK_SL_E_clISE_PySF_SF_EESI_SY_SJ_SK_SL_EUlSY_E1_NS1_11comp_targetILNS1_3genE4ELNS1_11target_archE910ELNS1_3gpuE8ELNS1_3repE0EEENS1_36merge_oddeven_config_static_selectorELNS0_4arch9wavefront6targetE0EEEvSK_.has_indirect_call, 0
	.section	.AMDGPU.csdata,"",@progbits
; Kernel info:
; codeLenInByte = 0
; TotalNumSgprs: 0
; NumVgprs: 0
; ScratchSize: 0
; MemoryBound: 0
; FloatMode: 240
; IeeeMode: 1
; LDSByteSize: 0 bytes/workgroup (compile time only)
; SGPRBlocks: 0
; VGPRBlocks: 0
; NumSGPRsForWavesPerEU: 1
; NumVGPRsForWavesPerEU: 1
; Occupancy: 16
; WaveLimiterHint : 0
; COMPUTE_PGM_RSRC2:SCRATCH_EN: 0
; COMPUTE_PGM_RSRC2:USER_SGPR: 6
; COMPUTE_PGM_RSRC2:TRAP_HANDLER: 0
; COMPUTE_PGM_RSRC2:TGID_X_EN: 1
; COMPUTE_PGM_RSRC2:TGID_Y_EN: 0
; COMPUTE_PGM_RSRC2:TGID_Z_EN: 0
; COMPUTE_PGM_RSRC2:TIDIG_COMP_CNT: 0
	.section	.text._ZN7rocprim17ROCPRIM_400000_NS6detail17trampoline_kernelINS0_14default_configENS1_38merge_sort_block_merge_config_selectorIyNS0_10empty_typeEEEZZNS1_27merge_sort_block_merge_implIS3_N6thrust23THRUST_200600_302600_NS6detail15normal_iteratorINS9_10device_ptrIyEEEEPS5_m9comp_mod3IyEEE10hipError_tT0_T1_T2_jT3_P12ihipStream_tbPNSt15iterator_traitsISJ_E10value_typeEPNSP_ISK_E10value_typeEPSL_NS1_7vsmem_tEENKUlT_SJ_SK_SL_E_clISE_PySF_SF_EESI_SY_SJ_SK_SL_EUlSY_E1_NS1_11comp_targetILNS1_3genE3ELNS1_11target_archE908ELNS1_3gpuE7ELNS1_3repE0EEENS1_36merge_oddeven_config_static_selectorELNS0_4arch9wavefront6targetE0EEEvSK_,"axG",@progbits,_ZN7rocprim17ROCPRIM_400000_NS6detail17trampoline_kernelINS0_14default_configENS1_38merge_sort_block_merge_config_selectorIyNS0_10empty_typeEEEZZNS1_27merge_sort_block_merge_implIS3_N6thrust23THRUST_200600_302600_NS6detail15normal_iteratorINS9_10device_ptrIyEEEEPS5_m9comp_mod3IyEEE10hipError_tT0_T1_T2_jT3_P12ihipStream_tbPNSt15iterator_traitsISJ_E10value_typeEPNSP_ISK_E10value_typeEPSL_NS1_7vsmem_tEENKUlT_SJ_SK_SL_E_clISE_PySF_SF_EESI_SY_SJ_SK_SL_EUlSY_E1_NS1_11comp_targetILNS1_3genE3ELNS1_11target_archE908ELNS1_3gpuE7ELNS1_3repE0EEENS1_36merge_oddeven_config_static_selectorELNS0_4arch9wavefront6targetE0EEEvSK_,comdat
	.protected	_ZN7rocprim17ROCPRIM_400000_NS6detail17trampoline_kernelINS0_14default_configENS1_38merge_sort_block_merge_config_selectorIyNS0_10empty_typeEEEZZNS1_27merge_sort_block_merge_implIS3_N6thrust23THRUST_200600_302600_NS6detail15normal_iteratorINS9_10device_ptrIyEEEEPS5_m9comp_mod3IyEEE10hipError_tT0_T1_T2_jT3_P12ihipStream_tbPNSt15iterator_traitsISJ_E10value_typeEPNSP_ISK_E10value_typeEPSL_NS1_7vsmem_tEENKUlT_SJ_SK_SL_E_clISE_PySF_SF_EESI_SY_SJ_SK_SL_EUlSY_E1_NS1_11comp_targetILNS1_3genE3ELNS1_11target_archE908ELNS1_3gpuE7ELNS1_3repE0EEENS1_36merge_oddeven_config_static_selectorELNS0_4arch9wavefront6targetE0EEEvSK_ ; -- Begin function _ZN7rocprim17ROCPRIM_400000_NS6detail17trampoline_kernelINS0_14default_configENS1_38merge_sort_block_merge_config_selectorIyNS0_10empty_typeEEEZZNS1_27merge_sort_block_merge_implIS3_N6thrust23THRUST_200600_302600_NS6detail15normal_iteratorINS9_10device_ptrIyEEEEPS5_m9comp_mod3IyEEE10hipError_tT0_T1_T2_jT3_P12ihipStream_tbPNSt15iterator_traitsISJ_E10value_typeEPNSP_ISK_E10value_typeEPSL_NS1_7vsmem_tEENKUlT_SJ_SK_SL_E_clISE_PySF_SF_EESI_SY_SJ_SK_SL_EUlSY_E1_NS1_11comp_targetILNS1_3genE3ELNS1_11target_archE908ELNS1_3gpuE7ELNS1_3repE0EEENS1_36merge_oddeven_config_static_selectorELNS0_4arch9wavefront6targetE0EEEvSK_
	.globl	_ZN7rocprim17ROCPRIM_400000_NS6detail17trampoline_kernelINS0_14default_configENS1_38merge_sort_block_merge_config_selectorIyNS0_10empty_typeEEEZZNS1_27merge_sort_block_merge_implIS3_N6thrust23THRUST_200600_302600_NS6detail15normal_iteratorINS9_10device_ptrIyEEEEPS5_m9comp_mod3IyEEE10hipError_tT0_T1_T2_jT3_P12ihipStream_tbPNSt15iterator_traitsISJ_E10value_typeEPNSP_ISK_E10value_typeEPSL_NS1_7vsmem_tEENKUlT_SJ_SK_SL_E_clISE_PySF_SF_EESI_SY_SJ_SK_SL_EUlSY_E1_NS1_11comp_targetILNS1_3genE3ELNS1_11target_archE908ELNS1_3gpuE7ELNS1_3repE0EEENS1_36merge_oddeven_config_static_selectorELNS0_4arch9wavefront6targetE0EEEvSK_
	.p2align	8
	.type	_ZN7rocprim17ROCPRIM_400000_NS6detail17trampoline_kernelINS0_14default_configENS1_38merge_sort_block_merge_config_selectorIyNS0_10empty_typeEEEZZNS1_27merge_sort_block_merge_implIS3_N6thrust23THRUST_200600_302600_NS6detail15normal_iteratorINS9_10device_ptrIyEEEEPS5_m9comp_mod3IyEEE10hipError_tT0_T1_T2_jT3_P12ihipStream_tbPNSt15iterator_traitsISJ_E10value_typeEPNSP_ISK_E10value_typeEPSL_NS1_7vsmem_tEENKUlT_SJ_SK_SL_E_clISE_PySF_SF_EESI_SY_SJ_SK_SL_EUlSY_E1_NS1_11comp_targetILNS1_3genE3ELNS1_11target_archE908ELNS1_3gpuE7ELNS1_3repE0EEENS1_36merge_oddeven_config_static_selectorELNS0_4arch9wavefront6targetE0EEEvSK_,@function
_ZN7rocprim17ROCPRIM_400000_NS6detail17trampoline_kernelINS0_14default_configENS1_38merge_sort_block_merge_config_selectorIyNS0_10empty_typeEEEZZNS1_27merge_sort_block_merge_implIS3_N6thrust23THRUST_200600_302600_NS6detail15normal_iteratorINS9_10device_ptrIyEEEEPS5_m9comp_mod3IyEEE10hipError_tT0_T1_T2_jT3_P12ihipStream_tbPNSt15iterator_traitsISJ_E10value_typeEPNSP_ISK_E10value_typeEPSL_NS1_7vsmem_tEENKUlT_SJ_SK_SL_E_clISE_PySF_SF_EESI_SY_SJ_SK_SL_EUlSY_E1_NS1_11comp_targetILNS1_3genE3ELNS1_11target_archE908ELNS1_3gpuE7ELNS1_3repE0EEENS1_36merge_oddeven_config_static_selectorELNS0_4arch9wavefront6targetE0EEEvSK_: ; @_ZN7rocprim17ROCPRIM_400000_NS6detail17trampoline_kernelINS0_14default_configENS1_38merge_sort_block_merge_config_selectorIyNS0_10empty_typeEEEZZNS1_27merge_sort_block_merge_implIS3_N6thrust23THRUST_200600_302600_NS6detail15normal_iteratorINS9_10device_ptrIyEEEEPS5_m9comp_mod3IyEEE10hipError_tT0_T1_T2_jT3_P12ihipStream_tbPNSt15iterator_traitsISJ_E10value_typeEPNSP_ISK_E10value_typeEPSL_NS1_7vsmem_tEENKUlT_SJ_SK_SL_E_clISE_PySF_SF_EESI_SY_SJ_SK_SL_EUlSY_E1_NS1_11comp_targetILNS1_3genE3ELNS1_11target_archE908ELNS1_3gpuE7ELNS1_3repE0EEENS1_36merge_oddeven_config_static_selectorELNS0_4arch9wavefront6targetE0EEEvSK_
; %bb.0:
	.section	.rodata,"a",@progbits
	.p2align	6, 0x0
	.amdhsa_kernel _ZN7rocprim17ROCPRIM_400000_NS6detail17trampoline_kernelINS0_14default_configENS1_38merge_sort_block_merge_config_selectorIyNS0_10empty_typeEEEZZNS1_27merge_sort_block_merge_implIS3_N6thrust23THRUST_200600_302600_NS6detail15normal_iteratorINS9_10device_ptrIyEEEEPS5_m9comp_mod3IyEEE10hipError_tT0_T1_T2_jT3_P12ihipStream_tbPNSt15iterator_traitsISJ_E10value_typeEPNSP_ISK_E10value_typeEPSL_NS1_7vsmem_tEENKUlT_SJ_SK_SL_E_clISE_PySF_SF_EESI_SY_SJ_SK_SL_EUlSY_E1_NS1_11comp_targetILNS1_3genE3ELNS1_11target_archE908ELNS1_3gpuE7ELNS1_3repE0EEENS1_36merge_oddeven_config_static_selectorELNS0_4arch9wavefront6targetE0EEEvSK_
		.amdhsa_group_segment_fixed_size 0
		.amdhsa_private_segment_fixed_size 0
		.amdhsa_kernarg_size 56
		.amdhsa_user_sgpr_count 6
		.amdhsa_user_sgpr_private_segment_buffer 1
		.amdhsa_user_sgpr_dispatch_ptr 0
		.amdhsa_user_sgpr_queue_ptr 0
		.amdhsa_user_sgpr_kernarg_segment_ptr 1
		.amdhsa_user_sgpr_dispatch_id 0
		.amdhsa_user_sgpr_flat_scratch_init 0
		.amdhsa_user_sgpr_private_segment_size 0
		.amdhsa_wavefront_size32 1
		.amdhsa_uses_dynamic_stack 0
		.amdhsa_system_sgpr_private_segment_wavefront_offset 0
		.amdhsa_system_sgpr_workgroup_id_x 1
		.amdhsa_system_sgpr_workgroup_id_y 0
		.amdhsa_system_sgpr_workgroup_id_z 0
		.amdhsa_system_sgpr_workgroup_info 0
		.amdhsa_system_vgpr_workitem_id 0
		.amdhsa_next_free_vgpr 1
		.amdhsa_next_free_sgpr 1
		.amdhsa_reserve_vcc 0
		.amdhsa_reserve_flat_scratch 0
		.amdhsa_float_round_mode_32 0
		.amdhsa_float_round_mode_16_64 0
		.amdhsa_float_denorm_mode_32 3
		.amdhsa_float_denorm_mode_16_64 3
		.amdhsa_dx10_clamp 1
		.amdhsa_ieee_mode 1
		.amdhsa_fp16_overflow 0
		.amdhsa_workgroup_processor_mode 1
		.amdhsa_memory_ordered 1
		.amdhsa_forward_progress 1
		.amdhsa_shared_vgpr_count 0
		.amdhsa_exception_fp_ieee_invalid_op 0
		.amdhsa_exception_fp_denorm_src 0
		.amdhsa_exception_fp_ieee_div_zero 0
		.amdhsa_exception_fp_ieee_overflow 0
		.amdhsa_exception_fp_ieee_underflow 0
		.amdhsa_exception_fp_ieee_inexact 0
		.amdhsa_exception_int_div_zero 0
	.end_amdhsa_kernel
	.section	.text._ZN7rocprim17ROCPRIM_400000_NS6detail17trampoline_kernelINS0_14default_configENS1_38merge_sort_block_merge_config_selectorIyNS0_10empty_typeEEEZZNS1_27merge_sort_block_merge_implIS3_N6thrust23THRUST_200600_302600_NS6detail15normal_iteratorINS9_10device_ptrIyEEEEPS5_m9comp_mod3IyEEE10hipError_tT0_T1_T2_jT3_P12ihipStream_tbPNSt15iterator_traitsISJ_E10value_typeEPNSP_ISK_E10value_typeEPSL_NS1_7vsmem_tEENKUlT_SJ_SK_SL_E_clISE_PySF_SF_EESI_SY_SJ_SK_SL_EUlSY_E1_NS1_11comp_targetILNS1_3genE3ELNS1_11target_archE908ELNS1_3gpuE7ELNS1_3repE0EEENS1_36merge_oddeven_config_static_selectorELNS0_4arch9wavefront6targetE0EEEvSK_,"axG",@progbits,_ZN7rocprim17ROCPRIM_400000_NS6detail17trampoline_kernelINS0_14default_configENS1_38merge_sort_block_merge_config_selectorIyNS0_10empty_typeEEEZZNS1_27merge_sort_block_merge_implIS3_N6thrust23THRUST_200600_302600_NS6detail15normal_iteratorINS9_10device_ptrIyEEEEPS5_m9comp_mod3IyEEE10hipError_tT0_T1_T2_jT3_P12ihipStream_tbPNSt15iterator_traitsISJ_E10value_typeEPNSP_ISK_E10value_typeEPSL_NS1_7vsmem_tEENKUlT_SJ_SK_SL_E_clISE_PySF_SF_EESI_SY_SJ_SK_SL_EUlSY_E1_NS1_11comp_targetILNS1_3genE3ELNS1_11target_archE908ELNS1_3gpuE7ELNS1_3repE0EEENS1_36merge_oddeven_config_static_selectorELNS0_4arch9wavefront6targetE0EEEvSK_,comdat
.Lfunc_end803:
	.size	_ZN7rocprim17ROCPRIM_400000_NS6detail17trampoline_kernelINS0_14default_configENS1_38merge_sort_block_merge_config_selectorIyNS0_10empty_typeEEEZZNS1_27merge_sort_block_merge_implIS3_N6thrust23THRUST_200600_302600_NS6detail15normal_iteratorINS9_10device_ptrIyEEEEPS5_m9comp_mod3IyEEE10hipError_tT0_T1_T2_jT3_P12ihipStream_tbPNSt15iterator_traitsISJ_E10value_typeEPNSP_ISK_E10value_typeEPSL_NS1_7vsmem_tEENKUlT_SJ_SK_SL_E_clISE_PySF_SF_EESI_SY_SJ_SK_SL_EUlSY_E1_NS1_11comp_targetILNS1_3genE3ELNS1_11target_archE908ELNS1_3gpuE7ELNS1_3repE0EEENS1_36merge_oddeven_config_static_selectorELNS0_4arch9wavefront6targetE0EEEvSK_, .Lfunc_end803-_ZN7rocprim17ROCPRIM_400000_NS6detail17trampoline_kernelINS0_14default_configENS1_38merge_sort_block_merge_config_selectorIyNS0_10empty_typeEEEZZNS1_27merge_sort_block_merge_implIS3_N6thrust23THRUST_200600_302600_NS6detail15normal_iteratorINS9_10device_ptrIyEEEEPS5_m9comp_mod3IyEEE10hipError_tT0_T1_T2_jT3_P12ihipStream_tbPNSt15iterator_traitsISJ_E10value_typeEPNSP_ISK_E10value_typeEPSL_NS1_7vsmem_tEENKUlT_SJ_SK_SL_E_clISE_PySF_SF_EESI_SY_SJ_SK_SL_EUlSY_E1_NS1_11comp_targetILNS1_3genE3ELNS1_11target_archE908ELNS1_3gpuE7ELNS1_3repE0EEENS1_36merge_oddeven_config_static_selectorELNS0_4arch9wavefront6targetE0EEEvSK_
                                        ; -- End function
	.set _ZN7rocprim17ROCPRIM_400000_NS6detail17trampoline_kernelINS0_14default_configENS1_38merge_sort_block_merge_config_selectorIyNS0_10empty_typeEEEZZNS1_27merge_sort_block_merge_implIS3_N6thrust23THRUST_200600_302600_NS6detail15normal_iteratorINS9_10device_ptrIyEEEEPS5_m9comp_mod3IyEEE10hipError_tT0_T1_T2_jT3_P12ihipStream_tbPNSt15iterator_traitsISJ_E10value_typeEPNSP_ISK_E10value_typeEPSL_NS1_7vsmem_tEENKUlT_SJ_SK_SL_E_clISE_PySF_SF_EESI_SY_SJ_SK_SL_EUlSY_E1_NS1_11comp_targetILNS1_3genE3ELNS1_11target_archE908ELNS1_3gpuE7ELNS1_3repE0EEENS1_36merge_oddeven_config_static_selectorELNS0_4arch9wavefront6targetE0EEEvSK_.num_vgpr, 0
	.set _ZN7rocprim17ROCPRIM_400000_NS6detail17trampoline_kernelINS0_14default_configENS1_38merge_sort_block_merge_config_selectorIyNS0_10empty_typeEEEZZNS1_27merge_sort_block_merge_implIS3_N6thrust23THRUST_200600_302600_NS6detail15normal_iteratorINS9_10device_ptrIyEEEEPS5_m9comp_mod3IyEEE10hipError_tT0_T1_T2_jT3_P12ihipStream_tbPNSt15iterator_traitsISJ_E10value_typeEPNSP_ISK_E10value_typeEPSL_NS1_7vsmem_tEENKUlT_SJ_SK_SL_E_clISE_PySF_SF_EESI_SY_SJ_SK_SL_EUlSY_E1_NS1_11comp_targetILNS1_3genE3ELNS1_11target_archE908ELNS1_3gpuE7ELNS1_3repE0EEENS1_36merge_oddeven_config_static_selectorELNS0_4arch9wavefront6targetE0EEEvSK_.num_agpr, 0
	.set _ZN7rocprim17ROCPRIM_400000_NS6detail17trampoline_kernelINS0_14default_configENS1_38merge_sort_block_merge_config_selectorIyNS0_10empty_typeEEEZZNS1_27merge_sort_block_merge_implIS3_N6thrust23THRUST_200600_302600_NS6detail15normal_iteratorINS9_10device_ptrIyEEEEPS5_m9comp_mod3IyEEE10hipError_tT0_T1_T2_jT3_P12ihipStream_tbPNSt15iterator_traitsISJ_E10value_typeEPNSP_ISK_E10value_typeEPSL_NS1_7vsmem_tEENKUlT_SJ_SK_SL_E_clISE_PySF_SF_EESI_SY_SJ_SK_SL_EUlSY_E1_NS1_11comp_targetILNS1_3genE3ELNS1_11target_archE908ELNS1_3gpuE7ELNS1_3repE0EEENS1_36merge_oddeven_config_static_selectorELNS0_4arch9wavefront6targetE0EEEvSK_.numbered_sgpr, 0
	.set _ZN7rocprim17ROCPRIM_400000_NS6detail17trampoline_kernelINS0_14default_configENS1_38merge_sort_block_merge_config_selectorIyNS0_10empty_typeEEEZZNS1_27merge_sort_block_merge_implIS3_N6thrust23THRUST_200600_302600_NS6detail15normal_iteratorINS9_10device_ptrIyEEEEPS5_m9comp_mod3IyEEE10hipError_tT0_T1_T2_jT3_P12ihipStream_tbPNSt15iterator_traitsISJ_E10value_typeEPNSP_ISK_E10value_typeEPSL_NS1_7vsmem_tEENKUlT_SJ_SK_SL_E_clISE_PySF_SF_EESI_SY_SJ_SK_SL_EUlSY_E1_NS1_11comp_targetILNS1_3genE3ELNS1_11target_archE908ELNS1_3gpuE7ELNS1_3repE0EEENS1_36merge_oddeven_config_static_selectorELNS0_4arch9wavefront6targetE0EEEvSK_.num_named_barrier, 0
	.set _ZN7rocprim17ROCPRIM_400000_NS6detail17trampoline_kernelINS0_14default_configENS1_38merge_sort_block_merge_config_selectorIyNS0_10empty_typeEEEZZNS1_27merge_sort_block_merge_implIS3_N6thrust23THRUST_200600_302600_NS6detail15normal_iteratorINS9_10device_ptrIyEEEEPS5_m9comp_mod3IyEEE10hipError_tT0_T1_T2_jT3_P12ihipStream_tbPNSt15iterator_traitsISJ_E10value_typeEPNSP_ISK_E10value_typeEPSL_NS1_7vsmem_tEENKUlT_SJ_SK_SL_E_clISE_PySF_SF_EESI_SY_SJ_SK_SL_EUlSY_E1_NS1_11comp_targetILNS1_3genE3ELNS1_11target_archE908ELNS1_3gpuE7ELNS1_3repE0EEENS1_36merge_oddeven_config_static_selectorELNS0_4arch9wavefront6targetE0EEEvSK_.private_seg_size, 0
	.set _ZN7rocprim17ROCPRIM_400000_NS6detail17trampoline_kernelINS0_14default_configENS1_38merge_sort_block_merge_config_selectorIyNS0_10empty_typeEEEZZNS1_27merge_sort_block_merge_implIS3_N6thrust23THRUST_200600_302600_NS6detail15normal_iteratorINS9_10device_ptrIyEEEEPS5_m9comp_mod3IyEEE10hipError_tT0_T1_T2_jT3_P12ihipStream_tbPNSt15iterator_traitsISJ_E10value_typeEPNSP_ISK_E10value_typeEPSL_NS1_7vsmem_tEENKUlT_SJ_SK_SL_E_clISE_PySF_SF_EESI_SY_SJ_SK_SL_EUlSY_E1_NS1_11comp_targetILNS1_3genE3ELNS1_11target_archE908ELNS1_3gpuE7ELNS1_3repE0EEENS1_36merge_oddeven_config_static_selectorELNS0_4arch9wavefront6targetE0EEEvSK_.uses_vcc, 0
	.set _ZN7rocprim17ROCPRIM_400000_NS6detail17trampoline_kernelINS0_14default_configENS1_38merge_sort_block_merge_config_selectorIyNS0_10empty_typeEEEZZNS1_27merge_sort_block_merge_implIS3_N6thrust23THRUST_200600_302600_NS6detail15normal_iteratorINS9_10device_ptrIyEEEEPS5_m9comp_mod3IyEEE10hipError_tT0_T1_T2_jT3_P12ihipStream_tbPNSt15iterator_traitsISJ_E10value_typeEPNSP_ISK_E10value_typeEPSL_NS1_7vsmem_tEENKUlT_SJ_SK_SL_E_clISE_PySF_SF_EESI_SY_SJ_SK_SL_EUlSY_E1_NS1_11comp_targetILNS1_3genE3ELNS1_11target_archE908ELNS1_3gpuE7ELNS1_3repE0EEENS1_36merge_oddeven_config_static_selectorELNS0_4arch9wavefront6targetE0EEEvSK_.uses_flat_scratch, 0
	.set _ZN7rocprim17ROCPRIM_400000_NS6detail17trampoline_kernelINS0_14default_configENS1_38merge_sort_block_merge_config_selectorIyNS0_10empty_typeEEEZZNS1_27merge_sort_block_merge_implIS3_N6thrust23THRUST_200600_302600_NS6detail15normal_iteratorINS9_10device_ptrIyEEEEPS5_m9comp_mod3IyEEE10hipError_tT0_T1_T2_jT3_P12ihipStream_tbPNSt15iterator_traitsISJ_E10value_typeEPNSP_ISK_E10value_typeEPSL_NS1_7vsmem_tEENKUlT_SJ_SK_SL_E_clISE_PySF_SF_EESI_SY_SJ_SK_SL_EUlSY_E1_NS1_11comp_targetILNS1_3genE3ELNS1_11target_archE908ELNS1_3gpuE7ELNS1_3repE0EEENS1_36merge_oddeven_config_static_selectorELNS0_4arch9wavefront6targetE0EEEvSK_.has_dyn_sized_stack, 0
	.set _ZN7rocprim17ROCPRIM_400000_NS6detail17trampoline_kernelINS0_14default_configENS1_38merge_sort_block_merge_config_selectorIyNS0_10empty_typeEEEZZNS1_27merge_sort_block_merge_implIS3_N6thrust23THRUST_200600_302600_NS6detail15normal_iteratorINS9_10device_ptrIyEEEEPS5_m9comp_mod3IyEEE10hipError_tT0_T1_T2_jT3_P12ihipStream_tbPNSt15iterator_traitsISJ_E10value_typeEPNSP_ISK_E10value_typeEPSL_NS1_7vsmem_tEENKUlT_SJ_SK_SL_E_clISE_PySF_SF_EESI_SY_SJ_SK_SL_EUlSY_E1_NS1_11comp_targetILNS1_3genE3ELNS1_11target_archE908ELNS1_3gpuE7ELNS1_3repE0EEENS1_36merge_oddeven_config_static_selectorELNS0_4arch9wavefront6targetE0EEEvSK_.has_recursion, 0
	.set _ZN7rocprim17ROCPRIM_400000_NS6detail17trampoline_kernelINS0_14default_configENS1_38merge_sort_block_merge_config_selectorIyNS0_10empty_typeEEEZZNS1_27merge_sort_block_merge_implIS3_N6thrust23THRUST_200600_302600_NS6detail15normal_iteratorINS9_10device_ptrIyEEEEPS5_m9comp_mod3IyEEE10hipError_tT0_T1_T2_jT3_P12ihipStream_tbPNSt15iterator_traitsISJ_E10value_typeEPNSP_ISK_E10value_typeEPSL_NS1_7vsmem_tEENKUlT_SJ_SK_SL_E_clISE_PySF_SF_EESI_SY_SJ_SK_SL_EUlSY_E1_NS1_11comp_targetILNS1_3genE3ELNS1_11target_archE908ELNS1_3gpuE7ELNS1_3repE0EEENS1_36merge_oddeven_config_static_selectorELNS0_4arch9wavefront6targetE0EEEvSK_.has_indirect_call, 0
	.section	.AMDGPU.csdata,"",@progbits
; Kernel info:
; codeLenInByte = 0
; TotalNumSgprs: 0
; NumVgprs: 0
; ScratchSize: 0
; MemoryBound: 0
; FloatMode: 240
; IeeeMode: 1
; LDSByteSize: 0 bytes/workgroup (compile time only)
; SGPRBlocks: 0
; VGPRBlocks: 0
; NumSGPRsForWavesPerEU: 1
; NumVGPRsForWavesPerEU: 1
; Occupancy: 16
; WaveLimiterHint : 0
; COMPUTE_PGM_RSRC2:SCRATCH_EN: 0
; COMPUTE_PGM_RSRC2:USER_SGPR: 6
; COMPUTE_PGM_RSRC2:TRAP_HANDLER: 0
; COMPUTE_PGM_RSRC2:TGID_X_EN: 1
; COMPUTE_PGM_RSRC2:TGID_Y_EN: 0
; COMPUTE_PGM_RSRC2:TGID_Z_EN: 0
; COMPUTE_PGM_RSRC2:TIDIG_COMP_CNT: 0
	.section	.text._ZN7rocprim17ROCPRIM_400000_NS6detail17trampoline_kernelINS0_14default_configENS1_38merge_sort_block_merge_config_selectorIyNS0_10empty_typeEEEZZNS1_27merge_sort_block_merge_implIS3_N6thrust23THRUST_200600_302600_NS6detail15normal_iteratorINS9_10device_ptrIyEEEEPS5_m9comp_mod3IyEEE10hipError_tT0_T1_T2_jT3_P12ihipStream_tbPNSt15iterator_traitsISJ_E10value_typeEPNSP_ISK_E10value_typeEPSL_NS1_7vsmem_tEENKUlT_SJ_SK_SL_E_clISE_PySF_SF_EESI_SY_SJ_SK_SL_EUlSY_E1_NS1_11comp_targetILNS1_3genE2ELNS1_11target_archE906ELNS1_3gpuE6ELNS1_3repE0EEENS1_36merge_oddeven_config_static_selectorELNS0_4arch9wavefront6targetE0EEEvSK_,"axG",@progbits,_ZN7rocprim17ROCPRIM_400000_NS6detail17trampoline_kernelINS0_14default_configENS1_38merge_sort_block_merge_config_selectorIyNS0_10empty_typeEEEZZNS1_27merge_sort_block_merge_implIS3_N6thrust23THRUST_200600_302600_NS6detail15normal_iteratorINS9_10device_ptrIyEEEEPS5_m9comp_mod3IyEEE10hipError_tT0_T1_T2_jT3_P12ihipStream_tbPNSt15iterator_traitsISJ_E10value_typeEPNSP_ISK_E10value_typeEPSL_NS1_7vsmem_tEENKUlT_SJ_SK_SL_E_clISE_PySF_SF_EESI_SY_SJ_SK_SL_EUlSY_E1_NS1_11comp_targetILNS1_3genE2ELNS1_11target_archE906ELNS1_3gpuE6ELNS1_3repE0EEENS1_36merge_oddeven_config_static_selectorELNS0_4arch9wavefront6targetE0EEEvSK_,comdat
	.protected	_ZN7rocprim17ROCPRIM_400000_NS6detail17trampoline_kernelINS0_14default_configENS1_38merge_sort_block_merge_config_selectorIyNS0_10empty_typeEEEZZNS1_27merge_sort_block_merge_implIS3_N6thrust23THRUST_200600_302600_NS6detail15normal_iteratorINS9_10device_ptrIyEEEEPS5_m9comp_mod3IyEEE10hipError_tT0_T1_T2_jT3_P12ihipStream_tbPNSt15iterator_traitsISJ_E10value_typeEPNSP_ISK_E10value_typeEPSL_NS1_7vsmem_tEENKUlT_SJ_SK_SL_E_clISE_PySF_SF_EESI_SY_SJ_SK_SL_EUlSY_E1_NS1_11comp_targetILNS1_3genE2ELNS1_11target_archE906ELNS1_3gpuE6ELNS1_3repE0EEENS1_36merge_oddeven_config_static_selectorELNS0_4arch9wavefront6targetE0EEEvSK_ ; -- Begin function _ZN7rocprim17ROCPRIM_400000_NS6detail17trampoline_kernelINS0_14default_configENS1_38merge_sort_block_merge_config_selectorIyNS0_10empty_typeEEEZZNS1_27merge_sort_block_merge_implIS3_N6thrust23THRUST_200600_302600_NS6detail15normal_iteratorINS9_10device_ptrIyEEEEPS5_m9comp_mod3IyEEE10hipError_tT0_T1_T2_jT3_P12ihipStream_tbPNSt15iterator_traitsISJ_E10value_typeEPNSP_ISK_E10value_typeEPSL_NS1_7vsmem_tEENKUlT_SJ_SK_SL_E_clISE_PySF_SF_EESI_SY_SJ_SK_SL_EUlSY_E1_NS1_11comp_targetILNS1_3genE2ELNS1_11target_archE906ELNS1_3gpuE6ELNS1_3repE0EEENS1_36merge_oddeven_config_static_selectorELNS0_4arch9wavefront6targetE0EEEvSK_
	.globl	_ZN7rocprim17ROCPRIM_400000_NS6detail17trampoline_kernelINS0_14default_configENS1_38merge_sort_block_merge_config_selectorIyNS0_10empty_typeEEEZZNS1_27merge_sort_block_merge_implIS3_N6thrust23THRUST_200600_302600_NS6detail15normal_iteratorINS9_10device_ptrIyEEEEPS5_m9comp_mod3IyEEE10hipError_tT0_T1_T2_jT3_P12ihipStream_tbPNSt15iterator_traitsISJ_E10value_typeEPNSP_ISK_E10value_typeEPSL_NS1_7vsmem_tEENKUlT_SJ_SK_SL_E_clISE_PySF_SF_EESI_SY_SJ_SK_SL_EUlSY_E1_NS1_11comp_targetILNS1_3genE2ELNS1_11target_archE906ELNS1_3gpuE6ELNS1_3repE0EEENS1_36merge_oddeven_config_static_selectorELNS0_4arch9wavefront6targetE0EEEvSK_
	.p2align	8
	.type	_ZN7rocprim17ROCPRIM_400000_NS6detail17trampoline_kernelINS0_14default_configENS1_38merge_sort_block_merge_config_selectorIyNS0_10empty_typeEEEZZNS1_27merge_sort_block_merge_implIS3_N6thrust23THRUST_200600_302600_NS6detail15normal_iteratorINS9_10device_ptrIyEEEEPS5_m9comp_mod3IyEEE10hipError_tT0_T1_T2_jT3_P12ihipStream_tbPNSt15iterator_traitsISJ_E10value_typeEPNSP_ISK_E10value_typeEPSL_NS1_7vsmem_tEENKUlT_SJ_SK_SL_E_clISE_PySF_SF_EESI_SY_SJ_SK_SL_EUlSY_E1_NS1_11comp_targetILNS1_3genE2ELNS1_11target_archE906ELNS1_3gpuE6ELNS1_3repE0EEENS1_36merge_oddeven_config_static_selectorELNS0_4arch9wavefront6targetE0EEEvSK_,@function
_ZN7rocprim17ROCPRIM_400000_NS6detail17trampoline_kernelINS0_14default_configENS1_38merge_sort_block_merge_config_selectorIyNS0_10empty_typeEEEZZNS1_27merge_sort_block_merge_implIS3_N6thrust23THRUST_200600_302600_NS6detail15normal_iteratorINS9_10device_ptrIyEEEEPS5_m9comp_mod3IyEEE10hipError_tT0_T1_T2_jT3_P12ihipStream_tbPNSt15iterator_traitsISJ_E10value_typeEPNSP_ISK_E10value_typeEPSL_NS1_7vsmem_tEENKUlT_SJ_SK_SL_E_clISE_PySF_SF_EESI_SY_SJ_SK_SL_EUlSY_E1_NS1_11comp_targetILNS1_3genE2ELNS1_11target_archE906ELNS1_3gpuE6ELNS1_3repE0EEENS1_36merge_oddeven_config_static_selectorELNS0_4arch9wavefront6targetE0EEEvSK_: ; @_ZN7rocprim17ROCPRIM_400000_NS6detail17trampoline_kernelINS0_14default_configENS1_38merge_sort_block_merge_config_selectorIyNS0_10empty_typeEEEZZNS1_27merge_sort_block_merge_implIS3_N6thrust23THRUST_200600_302600_NS6detail15normal_iteratorINS9_10device_ptrIyEEEEPS5_m9comp_mod3IyEEE10hipError_tT0_T1_T2_jT3_P12ihipStream_tbPNSt15iterator_traitsISJ_E10value_typeEPNSP_ISK_E10value_typeEPSL_NS1_7vsmem_tEENKUlT_SJ_SK_SL_E_clISE_PySF_SF_EESI_SY_SJ_SK_SL_EUlSY_E1_NS1_11comp_targetILNS1_3genE2ELNS1_11target_archE906ELNS1_3gpuE6ELNS1_3repE0EEENS1_36merge_oddeven_config_static_selectorELNS0_4arch9wavefront6targetE0EEEvSK_
; %bb.0:
	.section	.rodata,"a",@progbits
	.p2align	6, 0x0
	.amdhsa_kernel _ZN7rocprim17ROCPRIM_400000_NS6detail17trampoline_kernelINS0_14default_configENS1_38merge_sort_block_merge_config_selectorIyNS0_10empty_typeEEEZZNS1_27merge_sort_block_merge_implIS3_N6thrust23THRUST_200600_302600_NS6detail15normal_iteratorINS9_10device_ptrIyEEEEPS5_m9comp_mod3IyEEE10hipError_tT0_T1_T2_jT3_P12ihipStream_tbPNSt15iterator_traitsISJ_E10value_typeEPNSP_ISK_E10value_typeEPSL_NS1_7vsmem_tEENKUlT_SJ_SK_SL_E_clISE_PySF_SF_EESI_SY_SJ_SK_SL_EUlSY_E1_NS1_11comp_targetILNS1_3genE2ELNS1_11target_archE906ELNS1_3gpuE6ELNS1_3repE0EEENS1_36merge_oddeven_config_static_selectorELNS0_4arch9wavefront6targetE0EEEvSK_
		.amdhsa_group_segment_fixed_size 0
		.amdhsa_private_segment_fixed_size 0
		.amdhsa_kernarg_size 56
		.amdhsa_user_sgpr_count 6
		.amdhsa_user_sgpr_private_segment_buffer 1
		.amdhsa_user_sgpr_dispatch_ptr 0
		.amdhsa_user_sgpr_queue_ptr 0
		.amdhsa_user_sgpr_kernarg_segment_ptr 1
		.amdhsa_user_sgpr_dispatch_id 0
		.amdhsa_user_sgpr_flat_scratch_init 0
		.amdhsa_user_sgpr_private_segment_size 0
		.amdhsa_wavefront_size32 1
		.amdhsa_uses_dynamic_stack 0
		.amdhsa_system_sgpr_private_segment_wavefront_offset 0
		.amdhsa_system_sgpr_workgroup_id_x 1
		.amdhsa_system_sgpr_workgroup_id_y 0
		.amdhsa_system_sgpr_workgroup_id_z 0
		.amdhsa_system_sgpr_workgroup_info 0
		.amdhsa_system_vgpr_workitem_id 0
		.amdhsa_next_free_vgpr 1
		.amdhsa_next_free_sgpr 1
		.amdhsa_reserve_vcc 0
		.amdhsa_reserve_flat_scratch 0
		.amdhsa_float_round_mode_32 0
		.amdhsa_float_round_mode_16_64 0
		.amdhsa_float_denorm_mode_32 3
		.amdhsa_float_denorm_mode_16_64 3
		.amdhsa_dx10_clamp 1
		.amdhsa_ieee_mode 1
		.amdhsa_fp16_overflow 0
		.amdhsa_workgroup_processor_mode 1
		.amdhsa_memory_ordered 1
		.amdhsa_forward_progress 1
		.amdhsa_shared_vgpr_count 0
		.amdhsa_exception_fp_ieee_invalid_op 0
		.amdhsa_exception_fp_denorm_src 0
		.amdhsa_exception_fp_ieee_div_zero 0
		.amdhsa_exception_fp_ieee_overflow 0
		.amdhsa_exception_fp_ieee_underflow 0
		.amdhsa_exception_fp_ieee_inexact 0
		.amdhsa_exception_int_div_zero 0
	.end_amdhsa_kernel
	.section	.text._ZN7rocprim17ROCPRIM_400000_NS6detail17trampoline_kernelINS0_14default_configENS1_38merge_sort_block_merge_config_selectorIyNS0_10empty_typeEEEZZNS1_27merge_sort_block_merge_implIS3_N6thrust23THRUST_200600_302600_NS6detail15normal_iteratorINS9_10device_ptrIyEEEEPS5_m9comp_mod3IyEEE10hipError_tT0_T1_T2_jT3_P12ihipStream_tbPNSt15iterator_traitsISJ_E10value_typeEPNSP_ISK_E10value_typeEPSL_NS1_7vsmem_tEENKUlT_SJ_SK_SL_E_clISE_PySF_SF_EESI_SY_SJ_SK_SL_EUlSY_E1_NS1_11comp_targetILNS1_3genE2ELNS1_11target_archE906ELNS1_3gpuE6ELNS1_3repE0EEENS1_36merge_oddeven_config_static_selectorELNS0_4arch9wavefront6targetE0EEEvSK_,"axG",@progbits,_ZN7rocprim17ROCPRIM_400000_NS6detail17trampoline_kernelINS0_14default_configENS1_38merge_sort_block_merge_config_selectorIyNS0_10empty_typeEEEZZNS1_27merge_sort_block_merge_implIS3_N6thrust23THRUST_200600_302600_NS6detail15normal_iteratorINS9_10device_ptrIyEEEEPS5_m9comp_mod3IyEEE10hipError_tT0_T1_T2_jT3_P12ihipStream_tbPNSt15iterator_traitsISJ_E10value_typeEPNSP_ISK_E10value_typeEPSL_NS1_7vsmem_tEENKUlT_SJ_SK_SL_E_clISE_PySF_SF_EESI_SY_SJ_SK_SL_EUlSY_E1_NS1_11comp_targetILNS1_3genE2ELNS1_11target_archE906ELNS1_3gpuE6ELNS1_3repE0EEENS1_36merge_oddeven_config_static_selectorELNS0_4arch9wavefront6targetE0EEEvSK_,comdat
.Lfunc_end804:
	.size	_ZN7rocprim17ROCPRIM_400000_NS6detail17trampoline_kernelINS0_14default_configENS1_38merge_sort_block_merge_config_selectorIyNS0_10empty_typeEEEZZNS1_27merge_sort_block_merge_implIS3_N6thrust23THRUST_200600_302600_NS6detail15normal_iteratorINS9_10device_ptrIyEEEEPS5_m9comp_mod3IyEEE10hipError_tT0_T1_T2_jT3_P12ihipStream_tbPNSt15iterator_traitsISJ_E10value_typeEPNSP_ISK_E10value_typeEPSL_NS1_7vsmem_tEENKUlT_SJ_SK_SL_E_clISE_PySF_SF_EESI_SY_SJ_SK_SL_EUlSY_E1_NS1_11comp_targetILNS1_3genE2ELNS1_11target_archE906ELNS1_3gpuE6ELNS1_3repE0EEENS1_36merge_oddeven_config_static_selectorELNS0_4arch9wavefront6targetE0EEEvSK_, .Lfunc_end804-_ZN7rocprim17ROCPRIM_400000_NS6detail17trampoline_kernelINS0_14default_configENS1_38merge_sort_block_merge_config_selectorIyNS0_10empty_typeEEEZZNS1_27merge_sort_block_merge_implIS3_N6thrust23THRUST_200600_302600_NS6detail15normal_iteratorINS9_10device_ptrIyEEEEPS5_m9comp_mod3IyEEE10hipError_tT0_T1_T2_jT3_P12ihipStream_tbPNSt15iterator_traitsISJ_E10value_typeEPNSP_ISK_E10value_typeEPSL_NS1_7vsmem_tEENKUlT_SJ_SK_SL_E_clISE_PySF_SF_EESI_SY_SJ_SK_SL_EUlSY_E1_NS1_11comp_targetILNS1_3genE2ELNS1_11target_archE906ELNS1_3gpuE6ELNS1_3repE0EEENS1_36merge_oddeven_config_static_selectorELNS0_4arch9wavefront6targetE0EEEvSK_
                                        ; -- End function
	.set _ZN7rocprim17ROCPRIM_400000_NS6detail17trampoline_kernelINS0_14default_configENS1_38merge_sort_block_merge_config_selectorIyNS0_10empty_typeEEEZZNS1_27merge_sort_block_merge_implIS3_N6thrust23THRUST_200600_302600_NS6detail15normal_iteratorINS9_10device_ptrIyEEEEPS5_m9comp_mod3IyEEE10hipError_tT0_T1_T2_jT3_P12ihipStream_tbPNSt15iterator_traitsISJ_E10value_typeEPNSP_ISK_E10value_typeEPSL_NS1_7vsmem_tEENKUlT_SJ_SK_SL_E_clISE_PySF_SF_EESI_SY_SJ_SK_SL_EUlSY_E1_NS1_11comp_targetILNS1_3genE2ELNS1_11target_archE906ELNS1_3gpuE6ELNS1_3repE0EEENS1_36merge_oddeven_config_static_selectorELNS0_4arch9wavefront6targetE0EEEvSK_.num_vgpr, 0
	.set _ZN7rocprim17ROCPRIM_400000_NS6detail17trampoline_kernelINS0_14default_configENS1_38merge_sort_block_merge_config_selectorIyNS0_10empty_typeEEEZZNS1_27merge_sort_block_merge_implIS3_N6thrust23THRUST_200600_302600_NS6detail15normal_iteratorINS9_10device_ptrIyEEEEPS5_m9comp_mod3IyEEE10hipError_tT0_T1_T2_jT3_P12ihipStream_tbPNSt15iterator_traitsISJ_E10value_typeEPNSP_ISK_E10value_typeEPSL_NS1_7vsmem_tEENKUlT_SJ_SK_SL_E_clISE_PySF_SF_EESI_SY_SJ_SK_SL_EUlSY_E1_NS1_11comp_targetILNS1_3genE2ELNS1_11target_archE906ELNS1_3gpuE6ELNS1_3repE0EEENS1_36merge_oddeven_config_static_selectorELNS0_4arch9wavefront6targetE0EEEvSK_.num_agpr, 0
	.set _ZN7rocprim17ROCPRIM_400000_NS6detail17trampoline_kernelINS0_14default_configENS1_38merge_sort_block_merge_config_selectorIyNS0_10empty_typeEEEZZNS1_27merge_sort_block_merge_implIS3_N6thrust23THRUST_200600_302600_NS6detail15normal_iteratorINS9_10device_ptrIyEEEEPS5_m9comp_mod3IyEEE10hipError_tT0_T1_T2_jT3_P12ihipStream_tbPNSt15iterator_traitsISJ_E10value_typeEPNSP_ISK_E10value_typeEPSL_NS1_7vsmem_tEENKUlT_SJ_SK_SL_E_clISE_PySF_SF_EESI_SY_SJ_SK_SL_EUlSY_E1_NS1_11comp_targetILNS1_3genE2ELNS1_11target_archE906ELNS1_3gpuE6ELNS1_3repE0EEENS1_36merge_oddeven_config_static_selectorELNS0_4arch9wavefront6targetE0EEEvSK_.numbered_sgpr, 0
	.set _ZN7rocprim17ROCPRIM_400000_NS6detail17trampoline_kernelINS0_14default_configENS1_38merge_sort_block_merge_config_selectorIyNS0_10empty_typeEEEZZNS1_27merge_sort_block_merge_implIS3_N6thrust23THRUST_200600_302600_NS6detail15normal_iteratorINS9_10device_ptrIyEEEEPS5_m9comp_mod3IyEEE10hipError_tT0_T1_T2_jT3_P12ihipStream_tbPNSt15iterator_traitsISJ_E10value_typeEPNSP_ISK_E10value_typeEPSL_NS1_7vsmem_tEENKUlT_SJ_SK_SL_E_clISE_PySF_SF_EESI_SY_SJ_SK_SL_EUlSY_E1_NS1_11comp_targetILNS1_3genE2ELNS1_11target_archE906ELNS1_3gpuE6ELNS1_3repE0EEENS1_36merge_oddeven_config_static_selectorELNS0_4arch9wavefront6targetE0EEEvSK_.num_named_barrier, 0
	.set _ZN7rocprim17ROCPRIM_400000_NS6detail17trampoline_kernelINS0_14default_configENS1_38merge_sort_block_merge_config_selectorIyNS0_10empty_typeEEEZZNS1_27merge_sort_block_merge_implIS3_N6thrust23THRUST_200600_302600_NS6detail15normal_iteratorINS9_10device_ptrIyEEEEPS5_m9comp_mod3IyEEE10hipError_tT0_T1_T2_jT3_P12ihipStream_tbPNSt15iterator_traitsISJ_E10value_typeEPNSP_ISK_E10value_typeEPSL_NS1_7vsmem_tEENKUlT_SJ_SK_SL_E_clISE_PySF_SF_EESI_SY_SJ_SK_SL_EUlSY_E1_NS1_11comp_targetILNS1_3genE2ELNS1_11target_archE906ELNS1_3gpuE6ELNS1_3repE0EEENS1_36merge_oddeven_config_static_selectorELNS0_4arch9wavefront6targetE0EEEvSK_.private_seg_size, 0
	.set _ZN7rocprim17ROCPRIM_400000_NS6detail17trampoline_kernelINS0_14default_configENS1_38merge_sort_block_merge_config_selectorIyNS0_10empty_typeEEEZZNS1_27merge_sort_block_merge_implIS3_N6thrust23THRUST_200600_302600_NS6detail15normal_iteratorINS9_10device_ptrIyEEEEPS5_m9comp_mod3IyEEE10hipError_tT0_T1_T2_jT3_P12ihipStream_tbPNSt15iterator_traitsISJ_E10value_typeEPNSP_ISK_E10value_typeEPSL_NS1_7vsmem_tEENKUlT_SJ_SK_SL_E_clISE_PySF_SF_EESI_SY_SJ_SK_SL_EUlSY_E1_NS1_11comp_targetILNS1_3genE2ELNS1_11target_archE906ELNS1_3gpuE6ELNS1_3repE0EEENS1_36merge_oddeven_config_static_selectorELNS0_4arch9wavefront6targetE0EEEvSK_.uses_vcc, 0
	.set _ZN7rocprim17ROCPRIM_400000_NS6detail17trampoline_kernelINS0_14default_configENS1_38merge_sort_block_merge_config_selectorIyNS0_10empty_typeEEEZZNS1_27merge_sort_block_merge_implIS3_N6thrust23THRUST_200600_302600_NS6detail15normal_iteratorINS9_10device_ptrIyEEEEPS5_m9comp_mod3IyEEE10hipError_tT0_T1_T2_jT3_P12ihipStream_tbPNSt15iterator_traitsISJ_E10value_typeEPNSP_ISK_E10value_typeEPSL_NS1_7vsmem_tEENKUlT_SJ_SK_SL_E_clISE_PySF_SF_EESI_SY_SJ_SK_SL_EUlSY_E1_NS1_11comp_targetILNS1_3genE2ELNS1_11target_archE906ELNS1_3gpuE6ELNS1_3repE0EEENS1_36merge_oddeven_config_static_selectorELNS0_4arch9wavefront6targetE0EEEvSK_.uses_flat_scratch, 0
	.set _ZN7rocprim17ROCPRIM_400000_NS6detail17trampoline_kernelINS0_14default_configENS1_38merge_sort_block_merge_config_selectorIyNS0_10empty_typeEEEZZNS1_27merge_sort_block_merge_implIS3_N6thrust23THRUST_200600_302600_NS6detail15normal_iteratorINS9_10device_ptrIyEEEEPS5_m9comp_mod3IyEEE10hipError_tT0_T1_T2_jT3_P12ihipStream_tbPNSt15iterator_traitsISJ_E10value_typeEPNSP_ISK_E10value_typeEPSL_NS1_7vsmem_tEENKUlT_SJ_SK_SL_E_clISE_PySF_SF_EESI_SY_SJ_SK_SL_EUlSY_E1_NS1_11comp_targetILNS1_3genE2ELNS1_11target_archE906ELNS1_3gpuE6ELNS1_3repE0EEENS1_36merge_oddeven_config_static_selectorELNS0_4arch9wavefront6targetE0EEEvSK_.has_dyn_sized_stack, 0
	.set _ZN7rocprim17ROCPRIM_400000_NS6detail17trampoline_kernelINS0_14default_configENS1_38merge_sort_block_merge_config_selectorIyNS0_10empty_typeEEEZZNS1_27merge_sort_block_merge_implIS3_N6thrust23THRUST_200600_302600_NS6detail15normal_iteratorINS9_10device_ptrIyEEEEPS5_m9comp_mod3IyEEE10hipError_tT0_T1_T2_jT3_P12ihipStream_tbPNSt15iterator_traitsISJ_E10value_typeEPNSP_ISK_E10value_typeEPSL_NS1_7vsmem_tEENKUlT_SJ_SK_SL_E_clISE_PySF_SF_EESI_SY_SJ_SK_SL_EUlSY_E1_NS1_11comp_targetILNS1_3genE2ELNS1_11target_archE906ELNS1_3gpuE6ELNS1_3repE0EEENS1_36merge_oddeven_config_static_selectorELNS0_4arch9wavefront6targetE0EEEvSK_.has_recursion, 0
	.set _ZN7rocprim17ROCPRIM_400000_NS6detail17trampoline_kernelINS0_14default_configENS1_38merge_sort_block_merge_config_selectorIyNS0_10empty_typeEEEZZNS1_27merge_sort_block_merge_implIS3_N6thrust23THRUST_200600_302600_NS6detail15normal_iteratorINS9_10device_ptrIyEEEEPS5_m9comp_mod3IyEEE10hipError_tT0_T1_T2_jT3_P12ihipStream_tbPNSt15iterator_traitsISJ_E10value_typeEPNSP_ISK_E10value_typeEPSL_NS1_7vsmem_tEENKUlT_SJ_SK_SL_E_clISE_PySF_SF_EESI_SY_SJ_SK_SL_EUlSY_E1_NS1_11comp_targetILNS1_3genE2ELNS1_11target_archE906ELNS1_3gpuE6ELNS1_3repE0EEENS1_36merge_oddeven_config_static_selectorELNS0_4arch9wavefront6targetE0EEEvSK_.has_indirect_call, 0
	.section	.AMDGPU.csdata,"",@progbits
; Kernel info:
; codeLenInByte = 0
; TotalNumSgprs: 0
; NumVgprs: 0
; ScratchSize: 0
; MemoryBound: 0
; FloatMode: 240
; IeeeMode: 1
; LDSByteSize: 0 bytes/workgroup (compile time only)
; SGPRBlocks: 0
; VGPRBlocks: 0
; NumSGPRsForWavesPerEU: 1
; NumVGPRsForWavesPerEU: 1
; Occupancy: 16
; WaveLimiterHint : 0
; COMPUTE_PGM_RSRC2:SCRATCH_EN: 0
; COMPUTE_PGM_RSRC2:USER_SGPR: 6
; COMPUTE_PGM_RSRC2:TRAP_HANDLER: 0
; COMPUTE_PGM_RSRC2:TGID_X_EN: 1
; COMPUTE_PGM_RSRC2:TGID_Y_EN: 0
; COMPUTE_PGM_RSRC2:TGID_Z_EN: 0
; COMPUTE_PGM_RSRC2:TIDIG_COMP_CNT: 0
	.section	.text._ZN7rocprim17ROCPRIM_400000_NS6detail17trampoline_kernelINS0_14default_configENS1_38merge_sort_block_merge_config_selectorIyNS0_10empty_typeEEEZZNS1_27merge_sort_block_merge_implIS3_N6thrust23THRUST_200600_302600_NS6detail15normal_iteratorINS9_10device_ptrIyEEEEPS5_m9comp_mod3IyEEE10hipError_tT0_T1_T2_jT3_P12ihipStream_tbPNSt15iterator_traitsISJ_E10value_typeEPNSP_ISK_E10value_typeEPSL_NS1_7vsmem_tEENKUlT_SJ_SK_SL_E_clISE_PySF_SF_EESI_SY_SJ_SK_SL_EUlSY_E1_NS1_11comp_targetILNS1_3genE9ELNS1_11target_archE1100ELNS1_3gpuE3ELNS1_3repE0EEENS1_36merge_oddeven_config_static_selectorELNS0_4arch9wavefront6targetE0EEEvSK_,"axG",@progbits,_ZN7rocprim17ROCPRIM_400000_NS6detail17trampoline_kernelINS0_14default_configENS1_38merge_sort_block_merge_config_selectorIyNS0_10empty_typeEEEZZNS1_27merge_sort_block_merge_implIS3_N6thrust23THRUST_200600_302600_NS6detail15normal_iteratorINS9_10device_ptrIyEEEEPS5_m9comp_mod3IyEEE10hipError_tT0_T1_T2_jT3_P12ihipStream_tbPNSt15iterator_traitsISJ_E10value_typeEPNSP_ISK_E10value_typeEPSL_NS1_7vsmem_tEENKUlT_SJ_SK_SL_E_clISE_PySF_SF_EESI_SY_SJ_SK_SL_EUlSY_E1_NS1_11comp_targetILNS1_3genE9ELNS1_11target_archE1100ELNS1_3gpuE3ELNS1_3repE0EEENS1_36merge_oddeven_config_static_selectorELNS0_4arch9wavefront6targetE0EEEvSK_,comdat
	.protected	_ZN7rocprim17ROCPRIM_400000_NS6detail17trampoline_kernelINS0_14default_configENS1_38merge_sort_block_merge_config_selectorIyNS0_10empty_typeEEEZZNS1_27merge_sort_block_merge_implIS3_N6thrust23THRUST_200600_302600_NS6detail15normal_iteratorINS9_10device_ptrIyEEEEPS5_m9comp_mod3IyEEE10hipError_tT0_T1_T2_jT3_P12ihipStream_tbPNSt15iterator_traitsISJ_E10value_typeEPNSP_ISK_E10value_typeEPSL_NS1_7vsmem_tEENKUlT_SJ_SK_SL_E_clISE_PySF_SF_EESI_SY_SJ_SK_SL_EUlSY_E1_NS1_11comp_targetILNS1_3genE9ELNS1_11target_archE1100ELNS1_3gpuE3ELNS1_3repE0EEENS1_36merge_oddeven_config_static_selectorELNS0_4arch9wavefront6targetE0EEEvSK_ ; -- Begin function _ZN7rocprim17ROCPRIM_400000_NS6detail17trampoline_kernelINS0_14default_configENS1_38merge_sort_block_merge_config_selectorIyNS0_10empty_typeEEEZZNS1_27merge_sort_block_merge_implIS3_N6thrust23THRUST_200600_302600_NS6detail15normal_iteratorINS9_10device_ptrIyEEEEPS5_m9comp_mod3IyEEE10hipError_tT0_T1_T2_jT3_P12ihipStream_tbPNSt15iterator_traitsISJ_E10value_typeEPNSP_ISK_E10value_typeEPSL_NS1_7vsmem_tEENKUlT_SJ_SK_SL_E_clISE_PySF_SF_EESI_SY_SJ_SK_SL_EUlSY_E1_NS1_11comp_targetILNS1_3genE9ELNS1_11target_archE1100ELNS1_3gpuE3ELNS1_3repE0EEENS1_36merge_oddeven_config_static_selectorELNS0_4arch9wavefront6targetE0EEEvSK_
	.globl	_ZN7rocprim17ROCPRIM_400000_NS6detail17trampoline_kernelINS0_14default_configENS1_38merge_sort_block_merge_config_selectorIyNS0_10empty_typeEEEZZNS1_27merge_sort_block_merge_implIS3_N6thrust23THRUST_200600_302600_NS6detail15normal_iteratorINS9_10device_ptrIyEEEEPS5_m9comp_mod3IyEEE10hipError_tT0_T1_T2_jT3_P12ihipStream_tbPNSt15iterator_traitsISJ_E10value_typeEPNSP_ISK_E10value_typeEPSL_NS1_7vsmem_tEENKUlT_SJ_SK_SL_E_clISE_PySF_SF_EESI_SY_SJ_SK_SL_EUlSY_E1_NS1_11comp_targetILNS1_3genE9ELNS1_11target_archE1100ELNS1_3gpuE3ELNS1_3repE0EEENS1_36merge_oddeven_config_static_selectorELNS0_4arch9wavefront6targetE0EEEvSK_
	.p2align	8
	.type	_ZN7rocprim17ROCPRIM_400000_NS6detail17trampoline_kernelINS0_14default_configENS1_38merge_sort_block_merge_config_selectorIyNS0_10empty_typeEEEZZNS1_27merge_sort_block_merge_implIS3_N6thrust23THRUST_200600_302600_NS6detail15normal_iteratorINS9_10device_ptrIyEEEEPS5_m9comp_mod3IyEEE10hipError_tT0_T1_T2_jT3_P12ihipStream_tbPNSt15iterator_traitsISJ_E10value_typeEPNSP_ISK_E10value_typeEPSL_NS1_7vsmem_tEENKUlT_SJ_SK_SL_E_clISE_PySF_SF_EESI_SY_SJ_SK_SL_EUlSY_E1_NS1_11comp_targetILNS1_3genE9ELNS1_11target_archE1100ELNS1_3gpuE3ELNS1_3repE0EEENS1_36merge_oddeven_config_static_selectorELNS0_4arch9wavefront6targetE0EEEvSK_,@function
_ZN7rocprim17ROCPRIM_400000_NS6detail17trampoline_kernelINS0_14default_configENS1_38merge_sort_block_merge_config_selectorIyNS0_10empty_typeEEEZZNS1_27merge_sort_block_merge_implIS3_N6thrust23THRUST_200600_302600_NS6detail15normal_iteratorINS9_10device_ptrIyEEEEPS5_m9comp_mod3IyEEE10hipError_tT0_T1_T2_jT3_P12ihipStream_tbPNSt15iterator_traitsISJ_E10value_typeEPNSP_ISK_E10value_typeEPSL_NS1_7vsmem_tEENKUlT_SJ_SK_SL_E_clISE_PySF_SF_EESI_SY_SJ_SK_SL_EUlSY_E1_NS1_11comp_targetILNS1_3genE9ELNS1_11target_archE1100ELNS1_3gpuE3ELNS1_3repE0EEENS1_36merge_oddeven_config_static_selectorELNS0_4arch9wavefront6targetE0EEEvSK_: ; @_ZN7rocprim17ROCPRIM_400000_NS6detail17trampoline_kernelINS0_14default_configENS1_38merge_sort_block_merge_config_selectorIyNS0_10empty_typeEEEZZNS1_27merge_sort_block_merge_implIS3_N6thrust23THRUST_200600_302600_NS6detail15normal_iteratorINS9_10device_ptrIyEEEEPS5_m9comp_mod3IyEEE10hipError_tT0_T1_T2_jT3_P12ihipStream_tbPNSt15iterator_traitsISJ_E10value_typeEPNSP_ISK_E10value_typeEPSL_NS1_7vsmem_tEENKUlT_SJ_SK_SL_E_clISE_PySF_SF_EESI_SY_SJ_SK_SL_EUlSY_E1_NS1_11comp_targetILNS1_3genE9ELNS1_11target_archE1100ELNS1_3gpuE3ELNS1_3repE0EEENS1_36merge_oddeven_config_static_selectorELNS0_4arch9wavefront6targetE0EEEvSK_
; %bb.0:
	.section	.rodata,"a",@progbits
	.p2align	6, 0x0
	.amdhsa_kernel _ZN7rocprim17ROCPRIM_400000_NS6detail17trampoline_kernelINS0_14default_configENS1_38merge_sort_block_merge_config_selectorIyNS0_10empty_typeEEEZZNS1_27merge_sort_block_merge_implIS3_N6thrust23THRUST_200600_302600_NS6detail15normal_iteratorINS9_10device_ptrIyEEEEPS5_m9comp_mod3IyEEE10hipError_tT0_T1_T2_jT3_P12ihipStream_tbPNSt15iterator_traitsISJ_E10value_typeEPNSP_ISK_E10value_typeEPSL_NS1_7vsmem_tEENKUlT_SJ_SK_SL_E_clISE_PySF_SF_EESI_SY_SJ_SK_SL_EUlSY_E1_NS1_11comp_targetILNS1_3genE9ELNS1_11target_archE1100ELNS1_3gpuE3ELNS1_3repE0EEENS1_36merge_oddeven_config_static_selectorELNS0_4arch9wavefront6targetE0EEEvSK_
		.amdhsa_group_segment_fixed_size 0
		.amdhsa_private_segment_fixed_size 0
		.amdhsa_kernarg_size 56
		.amdhsa_user_sgpr_count 6
		.amdhsa_user_sgpr_private_segment_buffer 1
		.amdhsa_user_sgpr_dispatch_ptr 0
		.amdhsa_user_sgpr_queue_ptr 0
		.amdhsa_user_sgpr_kernarg_segment_ptr 1
		.amdhsa_user_sgpr_dispatch_id 0
		.amdhsa_user_sgpr_flat_scratch_init 0
		.amdhsa_user_sgpr_private_segment_size 0
		.amdhsa_wavefront_size32 1
		.amdhsa_uses_dynamic_stack 0
		.amdhsa_system_sgpr_private_segment_wavefront_offset 0
		.amdhsa_system_sgpr_workgroup_id_x 1
		.amdhsa_system_sgpr_workgroup_id_y 0
		.amdhsa_system_sgpr_workgroup_id_z 0
		.amdhsa_system_sgpr_workgroup_info 0
		.amdhsa_system_vgpr_workitem_id 0
		.amdhsa_next_free_vgpr 1
		.amdhsa_next_free_sgpr 1
		.amdhsa_reserve_vcc 0
		.amdhsa_reserve_flat_scratch 0
		.amdhsa_float_round_mode_32 0
		.amdhsa_float_round_mode_16_64 0
		.amdhsa_float_denorm_mode_32 3
		.amdhsa_float_denorm_mode_16_64 3
		.amdhsa_dx10_clamp 1
		.amdhsa_ieee_mode 1
		.amdhsa_fp16_overflow 0
		.amdhsa_workgroup_processor_mode 1
		.amdhsa_memory_ordered 1
		.amdhsa_forward_progress 1
		.amdhsa_shared_vgpr_count 0
		.amdhsa_exception_fp_ieee_invalid_op 0
		.amdhsa_exception_fp_denorm_src 0
		.amdhsa_exception_fp_ieee_div_zero 0
		.amdhsa_exception_fp_ieee_overflow 0
		.amdhsa_exception_fp_ieee_underflow 0
		.amdhsa_exception_fp_ieee_inexact 0
		.amdhsa_exception_int_div_zero 0
	.end_amdhsa_kernel
	.section	.text._ZN7rocprim17ROCPRIM_400000_NS6detail17trampoline_kernelINS0_14default_configENS1_38merge_sort_block_merge_config_selectorIyNS0_10empty_typeEEEZZNS1_27merge_sort_block_merge_implIS3_N6thrust23THRUST_200600_302600_NS6detail15normal_iteratorINS9_10device_ptrIyEEEEPS5_m9comp_mod3IyEEE10hipError_tT0_T1_T2_jT3_P12ihipStream_tbPNSt15iterator_traitsISJ_E10value_typeEPNSP_ISK_E10value_typeEPSL_NS1_7vsmem_tEENKUlT_SJ_SK_SL_E_clISE_PySF_SF_EESI_SY_SJ_SK_SL_EUlSY_E1_NS1_11comp_targetILNS1_3genE9ELNS1_11target_archE1100ELNS1_3gpuE3ELNS1_3repE0EEENS1_36merge_oddeven_config_static_selectorELNS0_4arch9wavefront6targetE0EEEvSK_,"axG",@progbits,_ZN7rocprim17ROCPRIM_400000_NS6detail17trampoline_kernelINS0_14default_configENS1_38merge_sort_block_merge_config_selectorIyNS0_10empty_typeEEEZZNS1_27merge_sort_block_merge_implIS3_N6thrust23THRUST_200600_302600_NS6detail15normal_iteratorINS9_10device_ptrIyEEEEPS5_m9comp_mod3IyEEE10hipError_tT0_T1_T2_jT3_P12ihipStream_tbPNSt15iterator_traitsISJ_E10value_typeEPNSP_ISK_E10value_typeEPSL_NS1_7vsmem_tEENKUlT_SJ_SK_SL_E_clISE_PySF_SF_EESI_SY_SJ_SK_SL_EUlSY_E1_NS1_11comp_targetILNS1_3genE9ELNS1_11target_archE1100ELNS1_3gpuE3ELNS1_3repE0EEENS1_36merge_oddeven_config_static_selectorELNS0_4arch9wavefront6targetE0EEEvSK_,comdat
.Lfunc_end805:
	.size	_ZN7rocprim17ROCPRIM_400000_NS6detail17trampoline_kernelINS0_14default_configENS1_38merge_sort_block_merge_config_selectorIyNS0_10empty_typeEEEZZNS1_27merge_sort_block_merge_implIS3_N6thrust23THRUST_200600_302600_NS6detail15normal_iteratorINS9_10device_ptrIyEEEEPS5_m9comp_mod3IyEEE10hipError_tT0_T1_T2_jT3_P12ihipStream_tbPNSt15iterator_traitsISJ_E10value_typeEPNSP_ISK_E10value_typeEPSL_NS1_7vsmem_tEENKUlT_SJ_SK_SL_E_clISE_PySF_SF_EESI_SY_SJ_SK_SL_EUlSY_E1_NS1_11comp_targetILNS1_3genE9ELNS1_11target_archE1100ELNS1_3gpuE3ELNS1_3repE0EEENS1_36merge_oddeven_config_static_selectorELNS0_4arch9wavefront6targetE0EEEvSK_, .Lfunc_end805-_ZN7rocprim17ROCPRIM_400000_NS6detail17trampoline_kernelINS0_14default_configENS1_38merge_sort_block_merge_config_selectorIyNS0_10empty_typeEEEZZNS1_27merge_sort_block_merge_implIS3_N6thrust23THRUST_200600_302600_NS6detail15normal_iteratorINS9_10device_ptrIyEEEEPS5_m9comp_mod3IyEEE10hipError_tT0_T1_T2_jT3_P12ihipStream_tbPNSt15iterator_traitsISJ_E10value_typeEPNSP_ISK_E10value_typeEPSL_NS1_7vsmem_tEENKUlT_SJ_SK_SL_E_clISE_PySF_SF_EESI_SY_SJ_SK_SL_EUlSY_E1_NS1_11comp_targetILNS1_3genE9ELNS1_11target_archE1100ELNS1_3gpuE3ELNS1_3repE0EEENS1_36merge_oddeven_config_static_selectorELNS0_4arch9wavefront6targetE0EEEvSK_
                                        ; -- End function
	.set _ZN7rocprim17ROCPRIM_400000_NS6detail17trampoline_kernelINS0_14default_configENS1_38merge_sort_block_merge_config_selectorIyNS0_10empty_typeEEEZZNS1_27merge_sort_block_merge_implIS3_N6thrust23THRUST_200600_302600_NS6detail15normal_iteratorINS9_10device_ptrIyEEEEPS5_m9comp_mod3IyEEE10hipError_tT0_T1_T2_jT3_P12ihipStream_tbPNSt15iterator_traitsISJ_E10value_typeEPNSP_ISK_E10value_typeEPSL_NS1_7vsmem_tEENKUlT_SJ_SK_SL_E_clISE_PySF_SF_EESI_SY_SJ_SK_SL_EUlSY_E1_NS1_11comp_targetILNS1_3genE9ELNS1_11target_archE1100ELNS1_3gpuE3ELNS1_3repE0EEENS1_36merge_oddeven_config_static_selectorELNS0_4arch9wavefront6targetE0EEEvSK_.num_vgpr, 0
	.set _ZN7rocprim17ROCPRIM_400000_NS6detail17trampoline_kernelINS0_14default_configENS1_38merge_sort_block_merge_config_selectorIyNS0_10empty_typeEEEZZNS1_27merge_sort_block_merge_implIS3_N6thrust23THRUST_200600_302600_NS6detail15normal_iteratorINS9_10device_ptrIyEEEEPS5_m9comp_mod3IyEEE10hipError_tT0_T1_T2_jT3_P12ihipStream_tbPNSt15iterator_traitsISJ_E10value_typeEPNSP_ISK_E10value_typeEPSL_NS1_7vsmem_tEENKUlT_SJ_SK_SL_E_clISE_PySF_SF_EESI_SY_SJ_SK_SL_EUlSY_E1_NS1_11comp_targetILNS1_3genE9ELNS1_11target_archE1100ELNS1_3gpuE3ELNS1_3repE0EEENS1_36merge_oddeven_config_static_selectorELNS0_4arch9wavefront6targetE0EEEvSK_.num_agpr, 0
	.set _ZN7rocprim17ROCPRIM_400000_NS6detail17trampoline_kernelINS0_14default_configENS1_38merge_sort_block_merge_config_selectorIyNS0_10empty_typeEEEZZNS1_27merge_sort_block_merge_implIS3_N6thrust23THRUST_200600_302600_NS6detail15normal_iteratorINS9_10device_ptrIyEEEEPS5_m9comp_mod3IyEEE10hipError_tT0_T1_T2_jT3_P12ihipStream_tbPNSt15iterator_traitsISJ_E10value_typeEPNSP_ISK_E10value_typeEPSL_NS1_7vsmem_tEENKUlT_SJ_SK_SL_E_clISE_PySF_SF_EESI_SY_SJ_SK_SL_EUlSY_E1_NS1_11comp_targetILNS1_3genE9ELNS1_11target_archE1100ELNS1_3gpuE3ELNS1_3repE0EEENS1_36merge_oddeven_config_static_selectorELNS0_4arch9wavefront6targetE0EEEvSK_.numbered_sgpr, 0
	.set _ZN7rocprim17ROCPRIM_400000_NS6detail17trampoline_kernelINS0_14default_configENS1_38merge_sort_block_merge_config_selectorIyNS0_10empty_typeEEEZZNS1_27merge_sort_block_merge_implIS3_N6thrust23THRUST_200600_302600_NS6detail15normal_iteratorINS9_10device_ptrIyEEEEPS5_m9comp_mod3IyEEE10hipError_tT0_T1_T2_jT3_P12ihipStream_tbPNSt15iterator_traitsISJ_E10value_typeEPNSP_ISK_E10value_typeEPSL_NS1_7vsmem_tEENKUlT_SJ_SK_SL_E_clISE_PySF_SF_EESI_SY_SJ_SK_SL_EUlSY_E1_NS1_11comp_targetILNS1_3genE9ELNS1_11target_archE1100ELNS1_3gpuE3ELNS1_3repE0EEENS1_36merge_oddeven_config_static_selectorELNS0_4arch9wavefront6targetE0EEEvSK_.num_named_barrier, 0
	.set _ZN7rocprim17ROCPRIM_400000_NS6detail17trampoline_kernelINS0_14default_configENS1_38merge_sort_block_merge_config_selectorIyNS0_10empty_typeEEEZZNS1_27merge_sort_block_merge_implIS3_N6thrust23THRUST_200600_302600_NS6detail15normal_iteratorINS9_10device_ptrIyEEEEPS5_m9comp_mod3IyEEE10hipError_tT0_T1_T2_jT3_P12ihipStream_tbPNSt15iterator_traitsISJ_E10value_typeEPNSP_ISK_E10value_typeEPSL_NS1_7vsmem_tEENKUlT_SJ_SK_SL_E_clISE_PySF_SF_EESI_SY_SJ_SK_SL_EUlSY_E1_NS1_11comp_targetILNS1_3genE9ELNS1_11target_archE1100ELNS1_3gpuE3ELNS1_3repE0EEENS1_36merge_oddeven_config_static_selectorELNS0_4arch9wavefront6targetE0EEEvSK_.private_seg_size, 0
	.set _ZN7rocprim17ROCPRIM_400000_NS6detail17trampoline_kernelINS0_14default_configENS1_38merge_sort_block_merge_config_selectorIyNS0_10empty_typeEEEZZNS1_27merge_sort_block_merge_implIS3_N6thrust23THRUST_200600_302600_NS6detail15normal_iteratorINS9_10device_ptrIyEEEEPS5_m9comp_mod3IyEEE10hipError_tT0_T1_T2_jT3_P12ihipStream_tbPNSt15iterator_traitsISJ_E10value_typeEPNSP_ISK_E10value_typeEPSL_NS1_7vsmem_tEENKUlT_SJ_SK_SL_E_clISE_PySF_SF_EESI_SY_SJ_SK_SL_EUlSY_E1_NS1_11comp_targetILNS1_3genE9ELNS1_11target_archE1100ELNS1_3gpuE3ELNS1_3repE0EEENS1_36merge_oddeven_config_static_selectorELNS0_4arch9wavefront6targetE0EEEvSK_.uses_vcc, 0
	.set _ZN7rocprim17ROCPRIM_400000_NS6detail17trampoline_kernelINS0_14default_configENS1_38merge_sort_block_merge_config_selectorIyNS0_10empty_typeEEEZZNS1_27merge_sort_block_merge_implIS3_N6thrust23THRUST_200600_302600_NS6detail15normal_iteratorINS9_10device_ptrIyEEEEPS5_m9comp_mod3IyEEE10hipError_tT0_T1_T2_jT3_P12ihipStream_tbPNSt15iterator_traitsISJ_E10value_typeEPNSP_ISK_E10value_typeEPSL_NS1_7vsmem_tEENKUlT_SJ_SK_SL_E_clISE_PySF_SF_EESI_SY_SJ_SK_SL_EUlSY_E1_NS1_11comp_targetILNS1_3genE9ELNS1_11target_archE1100ELNS1_3gpuE3ELNS1_3repE0EEENS1_36merge_oddeven_config_static_selectorELNS0_4arch9wavefront6targetE0EEEvSK_.uses_flat_scratch, 0
	.set _ZN7rocprim17ROCPRIM_400000_NS6detail17trampoline_kernelINS0_14default_configENS1_38merge_sort_block_merge_config_selectorIyNS0_10empty_typeEEEZZNS1_27merge_sort_block_merge_implIS3_N6thrust23THRUST_200600_302600_NS6detail15normal_iteratorINS9_10device_ptrIyEEEEPS5_m9comp_mod3IyEEE10hipError_tT0_T1_T2_jT3_P12ihipStream_tbPNSt15iterator_traitsISJ_E10value_typeEPNSP_ISK_E10value_typeEPSL_NS1_7vsmem_tEENKUlT_SJ_SK_SL_E_clISE_PySF_SF_EESI_SY_SJ_SK_SL_EUlSY_E1_NS1_11comp_targetILNS1_3genE9ELNS1_11target_archE1100ELNS1_3gpuE3ELNS1_3repE0EEENS1_36merge_oddeven_config_static_selectorELNS0_4arch9wavefront6targetE0EEEvSK_.has_dyn_sized_stack, 0
	.set _ZN7rocprim17ROCPRIM_400000_NS6detail17trampoline_kernelINS0_14default_configENS1_38merge_sort_block_merge_config_selectorIyNS0_10empty_typeEEEZZNS1_27merge_sort_block_merge_implIS3_N6thrust23THRUST_200600_302600_NS6detail15normal_iteratorINS9_10device_ptrIyEEEEPS5_m9comp_mod3IyEEE10hipError_tT0_T1_T2_jT3_P12ihipStream_tbPNSt15iterator_traitsISJ_E10value_typeEPNSP_ISK_E10value_typeEPSL_NS1_7vsmem_tEENKUlT_SJ_SK_SL_E_clISE_PySF_SF_EESI_SY_SJ_SK_SL_EUlSY_E1_NS1_11comp_targetILNS1_3genE9ELNS1_11target_archE1100ELNS1_3gpuE3ELNS1_3repE0EEENS1_36merge_oddeven_config_static_selectorELNS0_4arch9wavefront6targetE0EEEvSK_.has_recursion, 0
	.set _ZN7rocprim17ROCPRIM_400000_NS6detail17trampoline_kernelINS0_14default_configENS1_38merge_sort_block_merge_config_selectorIyNS0_10empty_typeEEEZZNS1_27merge_sort_block_merge_implIS3_N6thrust23THRUST_200600_302600_NS6detail15normal_iteratorINS9_10device_ptrIyEEEEPS5_m9comp_mod3IyEEE10hipError_tT0_T1_T2_jT3_P12ihipStream_tbPNSt15iterator_traitsISJ_E10value_typeEPNSP_ISK_E10value_typeEPSL_NS1_7vsmem_tEENKUlT_SJ_SK_SL_E_clISE_PySF_SF_EESI_SY_SJ_SK_SL_EUlSY_E1_NS1_11comp_targetILNS1_3genE9ELNS1_11target_archE1100ELNS1_3gpuE3ELNS1_3repE0EEENS1_36merge_oddeven_config_static_selectorELNS0_4arch9wavefront6targetE0EEEvSK_.has_indirect_call, 0
	.section	.AMDGPU.csdata,"",@progbits
; Kernel info:
; codeLenInByte = 0
; TotalNumSgprs: 0
; NumVgprs: 0
; ScratchSize: 0
; MemoryBound: 0
; FloatMode: 240
; IeeeMode: 1
; LDSByteSize: 0 bytes/workgroup (compile time only)
; SGPRBlocks: 0
; VGPRBlocks: 0
; NumSGPRsForWavesPerEU: 1
; NumVGPRsForWavesPerEU: 1
; Occupancy: 16
; WaveLimiterHint : 0
; COMPUTE_PGM_RSRC2:SCRATCH_EN: 0
; COMPUTE_PGM_RSRC2:USER_SGPR: 6
; COMPUTE_PGM_RSRC2:TRAP_HANDLER: 0
; COMPUTE_PGM_RSRC2:TGID_X_EN: 1
; COMPUTE_PGM_RSRC2:TGID_Y_EN: 0
; COMPUTE_PGM_RSRC2:TGID_Z_EN: 0
; COMPUTE_PGM_RSRC2:TIDIG_COMP_CNT: 0
	.section	.text._ZN7rocprim17ROCPRIM_400000_NS6detail17trampoline_kernelINS0_14default_configENS1_38merge_sort_block_merge_config_selectorIyNS0_10empty_typeEEEZZNS1_27merge_sort_block_merge_implIS3_N6thrust23THRUST_200600_302600_NS6detail15normal_iteratorINS9_10device_ptrIyEEEEPS5_m9comp_mod3IyEEE10hipError_tT0_T1_T2_jT3_P12ihipStream_tbPNSt15iterator_traitsISJ_E10value_typeEPNSP_ISK_E10value_typeEPSL_NS1_7vsmem_tEENKUlT_SJ_SK_SL_E_clISE_PySF_SF_EESI_SY_SJ_SK_SL_EUlSY_E1_NS1_11comp_targetILNS1_3genE8ELNS1_11target_archE1030ELNS1_3gpuE2ELNS1_3repE0EEENS1_36merge_oddeven_config_static_selectorELNS0_4arch9wavefront6targetE0EEEvSK_,"axG",@progbits,_ZN7rocprim17ROCPRIM_400000_NS6detail17trampoline_kernelINS0_14default_configENS1_38merge_sort_block_merge_config_selectorIyNS0_10empty_typeEEEZZNS1_27merge_sort_block_merge_implIS3_N6thrust23THRUST_200600_302600_NS6detail15normal_iteratorINS9_10device_ptrIyEEEEPS5_m9comp_mod3IyEEE10hipError_tT0_T1_T2_jT3_P12ihipStream_tbPNSt15iterator_traitsISJ_E10value_typeEPNSP_ISK_E10value_typeEPSL_NS1_7vsmem_tEENKUlT_SJ_SK_SL_E_clISE_PySF_SF_EESI_SY_SJ_SK_SL_EUlSY_E1_NS1_11comp_targetILNS1_3genE8ELNS1_11target_archE1030ELNS1_3gpuE2ELNS1_3repE0EEENS1_36merge_oddeven_config_static_selectorELNS0_4arch9wavefront6targetE0EEEvSK_,comdat
	.protected	_ZN7rocprim17ROCPRIM_400000_NS6detail17trampoline_kernelINS0_14default_configENS1_38merge_sort_block_merge_config_selectorIyNS0_10empty_typeEEEZZNS1_27merge_sort_block_merge_implIS3_N6thrust23THRUST_200600_302600_NS6detail15normal_iteratorINS9_10device_ptrIyEEEEPS5_m9comp_mod3IyEEE10hipError_tT0_T1_T2_jT3_P12ihipStream_tbPNSt15iterator_traitsISJ_E10value_typeEPNSP_ISK_E10value_typeEPSL_NS1_7vsmem_tEENKUlT_SJ_SK_SL_E_clISE_PySF_SF_EESI_SY_SJ_SK_SL_EUlSY_E1_NS1_11comp_targetILNS1_3genE8ELNS1_11target_archE1030ELNS1_3gpuE2ELNS1_3repE0EEENS1_36merge_oddeven_config_static_selectorELNS0_4arch9wavefront6targetE0EEEvSK_ ; -- Begin function _ZN7rocprim17ROCPRIM_400000_NS6detail17trampoline_kernelINS0_14default_configENS1_38merge_sort_block_merge_config_selectorIyNS0_10empty_typeEEEZZNS1_27merge_sort_block_merge_implIS3_N6thrust23THRUST_200600_302600_NS6detail15normal_iteratorINS9_10device_ptrIyEEEEPS5_m9comp_mod3IyEEE10hipError_tT0_T1_T2_jT3_P12ihipStream_tbPNSt15iterator_traitsISJ_E10value_typeEPNSP_ISK_E10value_typeEPSL_NS1_7vsmem_tEENKUlT_SJ_SK_SL_E_clISE_PySF_SF_EESI_SY_SJ_SK_SL_EUlSY_E1_NS1_11comp_targetILNS1_3genE8ELNS1_11target_archE1030ELNS1_3gpuE2ELNS1_3repE0EEENS1_36merge_oddeven_config_static_selectorELNS0_4arch9wavefront6targetE0EEEvSK_
	.globl	_ZN7rocprim17ROCPRIM_400000_NS6detail17trampoline_kernelINS0_14default_configENS1_38merge_sort_block_merge_config_selectorIyNS0_10empty_typeEEEZZNS1_27merge_sort_block_merge_implIS3_N6thrust23THRUST_200600_302600_NS6detail15normal_iteratorINS9_10device_ptrIyEEEEPS5_m9comp_mod3IyEEE10hipError_tT0_T1_T2_jT3_P12ihipStream_tbPNSt15iterator_traitsISJ_E10value_typeEPNSP_ISK_E10value_typeEPSL_NS1_7vsmem_tEENKUlT_SJ_SK_SL_E_clISE_PySF_SF_EESI_SY_SJ_SK_SL_EUlSY_E1_NS1_11comp_targetILNS1_3genE8ELNS1_11target_archE1030ELNS1_3gpuE2ELNS1_3repE0EEENS1_36merge_oddeven_config_static_selectorELNS0_4arch9wavefront6targetE0EEEvSK_
	.p2align	8
	.type	_ZN7rocprim17ROCPRIM_400000_NS6detail17trampoline_kernelINS0_14default_configENS1_38merge_sort_block_merge_config_selectorIyNS0_10empty_typeEEEZZNS1_27merge_sort_block_merge_implIS3_N6thrust23THRUST_200600_302600_NS6detail15normal_iteratorINS9_10device_ptrIyEEEEPS5_m9comp_mod3IyEEE10hipError_tT0_T1_T2_jT3_P12ihipStream_tbPNSt15iterator_traitsISJ_E10value_typeEPNSP_ISK_E10value_typeEPSL_NS1_7vsmem_tEENKUlT_SJ_SK_SL_E_clISE_PySF_SF_EESI_SY_SJ_SK_SL_EUlSY_E1_NS1_11comp_targetILNS1_3genE8ELNS1_11target_archE1030ELNS1_3gpuE2ELNS1_3repE0EEENS1_36merge_oddeven_config_static_selectorELNS0_4arch9wavefront6targetE0EEEvSK_,@function
_ZN7rocprim17ROCPRIM_400000_NS6detail17trampoline_kernelINS0_14default_configENS1_38merge_sort_block_merge_config_selectorIyNS0_10empty_typeEEEZZNS1_27merge_sort_block_merge_implIS3_N6thrust23THRUST_200600_302600_NS6detail15normal_iteratorINS9_10device_ptrIyEEEEPS5_m9comp_mod3IyEEE10hipError_tT0_T1_T2_jT3_P12ihipStream_tbPNSt15iterator_traitsISJ_E10value_typeEPNSP_ISK_E10value_typeEPSL_NS1_7vsmem_tEENKUlT_SJ_SK_SL_E_clISE_PySF_SF_EESI_SY_SJ_SK_SL_EUlSY_E1_NS1_11comp_targetILNS1_3genE8ELNS1_11target_archE1030ELNS1_3gpuE2ELNS1_3repE0EEENS1_36merge_oddeven_config_static_selectorELNS0_4arch9wavefront6targetE0EEEvSK_: ; @_ZN7rocprim17ROCPRIM_400000_NS6detail17trampoline_kernelINS0_14default_configENS1_38merge_sort_block_merge_config_selectorIyNS0_10empty_typeEEEZZNS1_27merge_sort_block_merge_implIS3_N6thrust23THRUST_200600_302600_NS6detail15normal_iteratorINS9_10device_ptrIyEEEEPS5_m9comp_mod3IyEEE10hipError_tT0_T1_T2_jT3_P12ihipStream_tbPNSt15iterator_traitsISJ_E10value_typeEPNSP_ISK_E10value_typeEPSL_NS1_7vsmem_tEENKUlT_SJ_SK_SL_E_clISE_PySF_SF_EESI_SY_SJ_SK_SL_EUlSY_E1_NS1_11comp_targetILNS1_3genE8ELNS1_11target_archE1030ELNS1_3gpuE2ELNS1_3repE0EEENS1_36merge_oddeven_config_static_selectorELNS0_4arch9wavefront6targetE0EEEvSK_
; %bb.0:
	s_load_dword s7, s[4:5], 0x20
	s_waitcnt lgkmcnt(0)
	s_lshr_b32 s0, s7, 8
	s_cmp_lg_u32 s6, s0
	s_cselect_b32 s2, -1, 0
	s_cmp_eq_u32 s6, s0
	s_cselect_b32 s14, -1, 0
	s_lshl_b32 s12, s6, 8
	s_sub_i32 s0, s7, s12
	v_cmp_gt_u32_e64 s0, s0, v0
	s_or_b32 s1, s2, s0
	s_and_saveexec_b32 s3, s1
	s_cbranch_execz .LBB806_28
; %bb.1:
	s_clause 0x1
	s_load_dwordx4 s[8:11], s[4:5], 0x0
	s_load_dword s15, s[4:5], 0x28
	s_mov_b32 s13, 0
	v_lshlrev_b32_e32 v1, 3, v0
	s_lshl_b64 s[16:17], s[12:13], 3
	v_add_nc_u32_e32 v5, s12, v0
	s_waitcnt lgkmcnt(0)
	s_add_u32 s16, s8, s16
	s_addc_u32 s17, s9, s17
	s_lshr_b32 s1, s15, 8
	global_load_dwordx2 v[1:2], v1, s[16:17]
	s_sub_i32 s3, 0, s1
	s_and_b32 s3, s6, s3
	s_and_b32 s6, s3, s1
	s_cmp_lg_u32 s6, 0
	s_cselect_b32 s1, -1, 0
	s_lshl_b32 s16, s3, 8
	s_sub_i32 s3, 0, s15
	s_cmp_eq_u32 s6, 0
	s_cselect_b32 s6, s15, s3
	s_add_i32 s6, s6, s16
	s_cmp_lt_u32 s6, s7
	s_cbranch_scc1 .LBB806_3
; %bb.2:
	v_cmp_gt_u32_e32 vcc_lo, s7, v5
	s_or_b32 s3, vcc_lo, s2
	s_and_b32 s13, s3, exec_lo
	s_cbranch_execz .LBB806_4
	s_branch .LBB806_26
.LBB806_3:
.LBB806_4:
	s_load_dwordx2 s[2:3], s[4:5], 0x30
	v_mov_b32_e32 v3, 0
	s_waitcnt vmcnt(0)
	v_mov_b32_e32 v4, v1
	s_min_u32 s4, s6, s7
	s_add_i32 s5, s16, s4
	s_add_i32 s12, s4, s15
	v_ashrrev_i64 v[3:4], 29, v[3:4]
	v_subrev_nc_u32_e32 v0, s5, v5
	s_min_u32 s5, s16, s4
	v_add_nc_u32_e32 v0, s5, v0
	s_min_u32 s5, s12, s7
	s_waitcnt lgkmcnt(0)
	v_add_co_u32 v3, vcc_lo, s2, v3
	v_add_co_ci_u32_e64 v4, null, s3, v4, vcc_lo
	s_and_b32 vcc_lo, exec_lo, s14
	s_cbranch_vccz .LBB806_13
; %bb.5:
                                        ; implicit-def: $vgpr5
	s_and_saveexec_b32 s7, s0
	s_cbranch_execz .LBB806_16
; %bb.6:
	v_mov_b32_e32 v9, s4
	s_cmp_ge_u32 s6, s5
	s_cbranch_scc1 .LBB806_15
; %bb.7:
	v_mov_b32_e32 v10, s5
	v_mov_b32_e32 v9, s4
	;; [unrolled: 1-line block ×3, first 2 shown]
	s_mov_b32 s0, 0
	s_branch .LBB806_9
.LBB806_8:                              ;   in Loop: Header=BB806_9 Depth=1
	s_waitcnt vmcnt(0)
	v_add_nc_u32_e32 v7, 1, v5
	v_cndmask_b32_e64 v10, v5, v10, s12
	v_cndmask_b32_e64 v9, v9, v7, s12
	v_cmp_ge_u32_e32 vcc_lo, v9, v10
	s_or_b32 s0, vcc_lo, s0
	s_andn2_b32 exec_lo, exec_lo, s0
	s_cbranch_execz .LBB806_14
.LBB806_9:                              ; =>This Inner Loop Header: Depth=1
	v_add_nc_u32_e32 v5, v9, v10
	s_mov_b32 s14, -1
                                        ; implicit-def: $sgpr12
	v_lshrrev_b32_e32 v5, 1, v5
	v_lshlrev_b64 v[7:8], 3, v[5:6]
	v_add_co_u32 v7, vcc_lo, s8, v7
	v_add_co_ci_u32_e64 v8, null, s9, v8, vcc_lo
	s_andn2_b32 vcc_lo, exec_lo, s1
	global_load_dwordx2 v[7:8], v[7:8], off
	s_cbranch_vccnz .LBB806_11
; %bb.10:                               ;   in Loop: Header=BB806_9 Depth=1
	v_mov_b32_e32 v11, v6
	s_waitcnt vmcnt(0)
	v_mov_b32_e32 v12, v7
	s_mov_b32 s14, 0
	v_ashrrev_i64 v[11:12], 29, v[11:12]
	v_add_co_u32 v11, vcc_lo, s2, v11
	v_add_co_ci_u32_e64 v12, null, s3, v12, vcc_lo
	s_clause 0x1
	global_load_dwordx2 v[13:14], v[3:4], off
	global_load_dwordx2 v[11:12], v[11:12], off
	s_waitcnt vmcnt(0)
	v_cmp_ge_u64_e64 s12, v[13:14], v[11:12]
.LBB806_11:                             ;   in Loop: Header=BB806_9 Depth=1
	s_andn2_b32 vcc_lo, exec_lo, s14
	s_cbranch_vccnz .LBB806_8
; %bb.12:                               ;   in Loop: Header=BB806_9 Depth=1
	v_mov_b32_e32 v11, v6
	s_waitcnt vmcnt(0)
	v_mov_b32_e32 v12, v7
	s_andn2_b32 s12, s12, exec_lo
	v_ashrrev_i64 v[7:8], 29, v[11:12]
	v_add_co_u32 v7, vcc_lo, s2, v7
	v_add_co_ci_u32_e64 v8, null, s3, v8, vcc_lo
	s_clause 0x1
	global_load_dwordx2 v[7:8], v[7:8], off
	global_load_dwordx2 v[11:12], v[3:4], off
	s_waitcnt vmcnt(0)
	v_cmp_lt_u64_e32 vcc_lo, v[7:8], v[11:12]
	s_and_b32 s14, vcc_lo, exec_lo
	s_or_b32 s12, s12, s14
	s_branch .LBB806_8
.LBB806_13:
                                        ; implicit-def: $vgpr5
	s_cbranch_execnz .LBB806_17
	s_branch .LBB806_26
.LBB806_14:
	s_or_b32 exec_lo, exec_lo, s0
.LBB806_15:
	v_add_nc_u32_e32 v5, v9, v0
	s_or_b32 s13, s13, exec_lo
.LBB806_16:
	s_or_b32 exec_lo, exec_lo, s7
	s_branch .LBB806_26
.LBB806_17:
	v_mov_b32_e32 v9, s4
	s_cmp_ge_u32 s6, s5
	s_cbranch_scc1 .LBB806_25
; %bb.18:
	v_mov_b32_e32 v10, s5
	v_mov_b32_e32 v9, s4
	;; [unrolled: 1-line block ×3, first 2 shown]
	s_mov_b32 s0, 0
	s_branch .LBB806_20
.LBB806_19:                             ;   in Loop: Header=BB806_20 Depth=1
	s_waitcnt vmcnt(0)
	v_add_nc_u32_e32 v7, 1, v5
	v_cndmask_b32_e64 v10, v5, v10, s4
	v_cndmask_b32_e64 v9, v9, v7, s4
	v_cmp_ge_u32_e32 vcc_lo, v9, v10
	s_or_b32 s0, vcc_lo, s0
	s_andn2_b32 exec_lo, exec_lo, s0
	s_cbranch_execz .LBB806_24
.LBB806_20:                             ; =>This Inner Loop Header: Depth=1
	v_add_nc_u32_e32 v5, v9, v10
	s_mov_b32 s5, -1
                                        ; implicit-def: $sgpr4
	v_lshrrev_b32_e32 v5, 1, v5
	v_lshlrev_b64 v[7:8], 3, v[5:6]
	v_add_co_u32 v7, vcc_lo, s8, v7
	v_add_co_ci_u32_e64 v8, null, s9, v8, vcc_lo
	s_andn2_b32 vcc_lo, exec_lo, s1
	global_load_dwordx2 v[7:8], v[7:8], off
	s_cbranch_vccnz .LBB806_22
; %bb.21:                               ;   in Loop: Header=BB806_20 Depth=1
	v_mov_b32_e32 v11, v6
	s_waitcnt vmcnt(0)
	v_mov_b32_e32 v12, v7
	s_mov_b32 s5, 0
	v_ashrrev_i64 v[11:12], 29, v[11:12]
	v_add_co_u32 v11, vcc_lo, s2, v11
	v_add_co_ci_u32_e64 v12, null, s3, v12, vcc_lo
	s_clause 0x1
	global_load_dwordx2 v[13:14], v[3:4], off
	global_load_dwordx2 v[11:12], v[11:12], off
	s_waitcnt vmcnt(0)
	v_cmp_ge_u64_e64 s4, v[13:14], v[11:12]
.LBB806_22:                             ;   in Loop: Header=BB806_20 Depth=1
	s_andn2_b32 vcc_lo, exec_lo, s5
	s_cbranch_vccnz .LBB806_19
; %bb.23:                               ;   in Loop: Header=BB806_20 Depth=1
	v_mov_b32_e32 v11, v6
	s_waitcnt vmcnt(0)
	v_mov_b32_e32 v12, v7
	s_andn2_b32 s4, s4, exec_lo
	v_ashrrev_i64 v[7:8], 29, v[11:12]
	v_add_co_u32 v7, vcc_lo, s2, v7
	v_add_co_ci_u32_e64 v8, null, s3, v8, vcc_lo
	s_clause 0x1
	global_load_dwordx2 v[7:8], v[7:8], off
	global_load_dwordx2 v[11:12], v[3:4], off
	s_waitcnt vmcnt(0)
	v_cmp_lt_u64_e32 vcc_lo, v[7:8], v[11:12]
	s_and_b32 s5, vcc_lo, exec_lo
	s_or_b32 s4, s4, s5
	s_branch .LBB806_19
.LBB806_24:
	s_or_b32 exec_lo, exec_lo, s0
.LBB806_25:
	v_add_nc_u32_e32 v5, v9, v0
	s_mov_b32 s13, -1
.LBB806_26:
	s_and_b32 exec_lo, exec_lo, s13
	s_cbranch_execz .LBB806_28
; %bb.27:
	v_mov_b32_e32 v6, 0
	v_lshlrev_b64 v[3:4], 3, v[5:6]
	v_add_co_u32 v3, vcc_lo, s10, v3
	v_add_co_ci_u32_e64 v4, null, s11, v4, vcc_lo
	s_waitcnt vmcnt(0)
	global_store_dwordx2 v[3:4], v[1:2], off
.LBB806_28:
	s_endpgm
	.section	.rodata,"a",@progbits
	.p2align	6, 0x0
	.amdhsa_kernel _ZN7rocprim17ROCPRIM_400000_NS6detail17trampoline_kernelINS0_14default_configENS1_38merge_sort_block_merge_config_selectorIyNS0_10empty_typeEEEZZNS1_27merge_sort_block_merge_implIS3_N6thrust23THRUST_200600_302600_NS6detail15normal_iteratorINS9_10device_ptrIyEEEEPS5_m9comp_mod3IyEEE10hipError_tT0_T1_T2_jT3_P12ihipStream_tbPNSt15iterator_traitsISJ_E10value_typeEPNSP_ISK_E10value_typeEPSL_NS1_7vsmem_tEENKUlT_SJ_SK_SL_E_clISE_PySF_SF_EESI_SY_SJ_SK_SL_EUlSY_E1_NS1_11comp_targetILNS1_3genE8ELNS1_11target_archE1030ELNS1_3gpuE2ELNS1_3repE0EEENS1_36merge_oddeven_config_static_selectorELNS0_4arch9wavefront6targetE0EEEvSK_
		.amdhsa_group_segment_fixed_size 0
		.amdhsa_private_segment_fixed_size 0
		.amdhsa_kernarg_size 56
		.amdhsa_user_sgpr_count 6
		.amdhsa_user_sgpr_private_segment_buffer 1
		.amdhsa_user_sgpr_dispatch_ptr 0
		.amdhsa_user_sgpr_queue_ptr 0
		.amdhsa_user_sgpr_kernarg_segment_ptr 1
		.amdhsa_user_sgpr_dispatch_id 0
		.amdhsa_user_sgpr_flat_scratch_init 0
		.amdhsa_user_sgpr_private_segment_size 0
		.amdhsa_wavefront_size32 1
		.amdhsa_uses_dynamic_stack 0
		.amdhsa_system_sgpr_private_segment_wavefront_offset 0
		.amdhsa_system_sgpr_workgroup_id_x 1
		.amdhsa_system_sgpr_workgroup_id_y 0
		.amdhsa_system_sgpr_workgroup_id_z 0
		.amdhsa_system_sgpr_workgroup_info 0
		.amdhsa_system_vgpr_workitem_id 0
		.amdhsa_next_free_vgpr 15
		.amdhsa_next_free_sgpr 18
		.amdhsa_reserve_vcc 1
		.amdhsa_reserve_flat_scratch 0
		.amdhsa_float_round_mode_32 0
		.amdhsa_float_round_mode_16_64 0
		.amdhsa_float_denorm_mode_32 3
		.amdhsa_float_denorm_mode_16_64 3
		.amdhsa_dx10_clamp 1
		.amdhsa_ieee_mode 1
		.amdhsa_fp16_overflow 0
		.amdhsa_workgroup_processor_mode 1
		.amdhsa_memory_ordered 1
		.amdhsa_forward_progress 1
		.amdhsa_shared_vgpr_count 0
		.amdhsa_exception_fp_ieee_invalid_op 0
		.amdhsa_exception_fp_denorm_src 0
		.amdhsa_exception_fp_ieee_div_zero 0
		.amdhsa_exception_fp_ieee_overflow 0
		.amdhsa_exception_fp_ieee_underflow 0
		.amdhsa_exception_fp_ieee_inexact 0
		.amdhsa_exception_int_div_zero 0
	.end_amdhsa_kernel
	.section	.text._ZN7rocprim17ROCPRIM_400000_NS6detail17trampoline_kernelINS0_14default_configENS1_38merge_sort_block_merge_config_selectorIyNS0_10empty_typeEEEZZNS1_27merge_sort_block_merge_implIS3_N6thrust23THRUST_200600_302600_NS6detail15normal_iteratorINS9_10device_ptrIyEEEEPS5_m9comp_mod3IyEEE10hipError_tT0_T1_T2_jT3_P12ihipStream_tbPNSt15iterator_traitsISJ_E10value_typeEPNSP_ISK_E10value_typeEPSL_NS1_7vsmem_tEENKUlT_SJ_SK_SL_E_clISE_PySF_SF_EESI_SY_SJ_SK_SL_EUlSY_E1_NS1_11comp_targetILNS1_3genE8ELNS1_11target_archE1030ELNS1_3gpuE2ELNS1_3repE0EEENS1_36merge_oddeven_config_static_selectorELNS0_4arch9wavefront6targetE0EEEvSK_,"axG",@progbits,_ZN7rocprim17ROCPRIM_400000_NS6detail17trampoline_kernelINS0_14default_configENS1_38merge_sort_block_merge_config_selectorIyNS0_10empty_typeEEEZZNS1_27merge_sort_block_merge_implIS3_N6thrust23THRUST_200600_302600_NS6detail15normal_iteratorINS9_10device_ptrIyEEEEPS5_m9comp_mod3IyEEE10hipError_tT0_T1_T2_jT3_P12ihipStream_tbPNSt15iterator_traitsISJ_E10value_typeEPNSP_ISK_E10value_typeEPSL_NS1_7vsmem_tEENKUlT_SJ_SK_SL_E_clISE_PySF_SF_EESI_SY_SJ_SK_SL_EUlSY_E1_NS1_11comp_targetILNS1_3genE8ELNS1_11target_archE1030ELNS1_3gpuE2ELNS1_3repE0EEENS1_36merge_oddeven_config_static_selectorELNS0_4arch9wavefront6targetE0EEEvSK_,comdat
.Lfunc_end806:
	.size	_ZN7rocprim17ROCPRIM_400000_NS6detail17trampoline_kernelINS0_14default_configENS1_38merge_sort_block_merge_config_selectorIyNS0_10empty_typeEEEZZNS1_27merge_sort_block_merge_implIS3_N6thrust23THRUST_200600_302600_NS6detail15normal_iteratorINS9_10device_ptrIyEEEEPS5_m9comp_mod3IyEEE10hipError_tT0_T1_T2_jT3_P12ihipStream_tbPNSt15iterator_traitsISJ_E10value_typeEPNSP_ISK_E10value_typeEPSL_NS1_7vsmem_tEENKUlT_SJ_SK_SL_E_clISE_PySF_SF_EESI_SY_SJ_SK_SL_EUlSY_E1_NS1_11comp_targetILNS1_3genE8ELNS1_11target_archE1030ELNS1_3gpuE2ELNS1_3repE0EEENS1_36merge_oddeven_config_static_selectorELNS0_4arch9wavefront6targetE0EEEvSK_, .Lfunc_end806-_ZN7rocprim17ROCPRIM_400000_NS6detail17trampoline_kernelINS0_14default_configENS1_38merge_sort_block_merge_config_selectorIyNS0_10empty_typeEEEZZNS1_27merge_sort_block_merge_implIS3_N6thrust23THRUST_200600_302600_NS6detail15normal_iteratorINS9_10device_ptrIyEEEEPS5_m9comp_mod3IyEEE10hipError_tT0_T1_T2_jT3_P12ihipStream_tbPNSt15iterator_traitsISJ_E10value_typeEPNSP_ISK_E10value_typeEPSL_NS1_7vsmem_tEENKUlT_SJ_SK_SL_E_clISE_PySF_SF_EESI_SY_SJ_SK_SL_EUlSY_E1_NS1_11comp_targetILNS1_3genE8ELNS1_11target_archE1030ELNS1_3gpuE2ELNS1_3repE0EEENS1_36merge_oddeven_config_static_selectorELNS0_4arch9wavefront6targetE0EEEvSK_
                                        ; -- End function
	.set _ZN7rocprim17ROCPRIM_400000_NS6detail17trampoline_kernelINS0_14default_configENS1_38merge_sort_block_merge_config_selectorIyNS0_10empty_typeEEEZZNS1_27merge_sort_block_merge_implIS3_N6thrust23THRUST_200600_302600_NS6detail15normal_iteratorINS9_10device_ptrIyEEEEPS5_m9comp_mod3IyEEE10hipError_tT0_T1_T2_jT3_P12ihipStream_tbPNSt15iterator_traitsISJ_E10value_typeEPNSP_ISK_E10value_typeEPSL_NS1_7vsmem_tEENKUlT_SJ_SK_SL_E_clISE_PySF_SF_EESI_SY_SJ_SK_SL_EUlSY_E1_NS1_11comp_targetILNS1_3genE8ELNS1_11target_archE1030ELNS1_3gpuE2ELNS1_3repE0EEENS1_36merge_oddeven_config_static_selectorELNS0_4arch9wavefront6targetE0EEEvSK_.num_vgpr, 15
	.set _ZN7rocprim17ROCPRIM_400000_NS6detail17trampoline_kernelINS0_14default_configENS1_38merge_sort_block_merge_config_selectorIyNS0_10empty_typeEEEZZNS1_27merge_sort_block_merge_implIS3_N6thrust23THRUST_200600_302600_NS6detail15normal_iteratorINS9_10device_ptrIyEEEEPS5_m9comp_mod3IyEEE10hipError_tT0_T1_T2_jT3_P12ihipStream_tbPNSt15iterator_traitsISJ_E10value_typeEPNSP_ISK_E10value_typeEPSL_NS1_7vsmem_tEENKUlT_SJ_SK_SL_E_clISE_PySF_SF_EESI_SY_SJ_SK_SL_EUlSY_E1_NS1_11comp_targetILNS1_3genE8ELNS1_11target_archE1030ELNS1_3gpuE2ELNS1_3repE0EEENS1_36merge_oddeven_config_static_selectorELNS0_4arch9wavefront6targetE0EEEvSK_.num_agpr, 0
	.set _ZN7rocprim17ROCPRIM_400000_NS6detail17trampoline_kernelINS0_14default_configENS1_38merge_sort_block_merge_config_selectorIyNS0_10empty_typeEEEZZNS1_27merge_sort_block_merge_implIS3_N6thrust23THRUST_200600_302600_NS6detail15normal_iteratorINS9_10device_ptrIyEEEEPS5_m9comp_mod3IyEEE10hipError_tT0_T1_T2_jT3_P12ihipStream_tbPNSt15iterator_traitsISJ_E10value_typeEPNSP_ISK_E10value_typeEPSL_NS1_7vsmem_tEENKUlT_SJ_SK_SL_E_clISE_PySF_SF_EESI_SY_SJ_SK_SL_EUlSY_E1_NS1_11comp_targetILNS1_3genE8ELNS1_11target_archE1030ELNS1_3gpuE2ELNS1_3repE0EEENS1_36merge_oddeven_config_static_selectorELNS0_4arch9wavefront6targetE0EEEvSK_.numbered_sgpr, 18
	.set _ZN7rocprim17ROCPRIM_400000_NS6detail17trampoline_kernelINS0_14default_configENS1_38merge_sort_block_merge_config_selectorIyNS0_10empty_typeEEEZZNS1_27merge_sort_block_merge_implIS3_N6thrust23THRUST_200600_302600_NS6detail15normal_iteratorINS9_10device_ptrIyEEEEPS5_m9comp_mod3IyEEE10hipError_tT0_T1_T2_jT3_P12ihipStream_tbPNSt15iterator_traitsISJ_E10value_typeEPNSP_ISK_E10value_typeEPSL_NS1_7vsmem_tEENKUlT_SJ_SK_SL_E_clISE_PySF_SF_EESI_SY_SJ_SK_SL_EUlSY_E1_NS1_11comp_targetILNS1_3genE8ELNS1_11target_archE1030ELNS1_3gpuE2ELNS1_3repE0EEENS1_36merge_oddeven_config_static_selectorELNS0_4arch9wavefront6targetE0EEEvSK_.num_named_barrier, 0
	.set _ZN7rocprim17ROCPRIM_400000_NS6detail17trampoline_kernelINS0_14default_configENS1_38merge_sort_block_merge_config_selectorIyNS0_10empty_typeEEEZZNS1_27merge_sort_block_merge_implIS3_N6thrust23THRUST_200600_302600_NS6detail15normal_iteratorINS9_10device_ptrIyEEEEPS5_m9comp_mod3IyEEE10hipError_tT0_T1_T2_jT3_P12ihipStream_tbPNSt15iterator_traitsISJ_E10value_typeEPNSP_ISK_E10value_typeEPSL_NS1_7vsmem_tEENKUlT_SJ_SK_SL_E_clISE_PySF_SF_EESI_SY_SJ_SK_SL_EUlSY_E1_NS1_11comp_targetILNS1_3genE8ELNS1_11target_archE1030ELNS1_3gpuE2ELNS1_3repE0EEENS1_36merge_oddeven_config_static_selectorELNS0_4arch9wavefront6targetE0EEEvSK_.private_seg_size, 0
	.set _ZN7rocprim17ROCPRIM_400000_NS6detail17trampoline_kernelINS0_14default_configENS1_38merge_sort_block_merge_config_selectorIyNS0_10empty_typeEEEZZNS1_27merge_sort_block_merge_implIS3_N6thrust23THRUST_200600_302600_NS6detail15normal_iteratorINS9_10device_ptrIyEEEEPS5_m9comp_mod3IyEEE10hipError_tT0_T1_T2_jT3_P12ihipStream_tbPNSt15iterator_traitsISJ_E10value_typeEPNSP_ISK_E10value_typeEPSL_NS1_7vsmem_tEENKUlT_SJ_SK_SL_E_clISE_PySF_SF_EESI_SY_SJ_SK_SL_EUlSY_E1_NS1_11comp_targetILNS1_3genE8ELNS1_11target_archE1030ELNS1_3gpuE2ELNS1_3repE0EEENS1_36merge_oddeven_config_static_selectorELNS0_4arch9wavefront6targetE0EEEvSK_.uses_vcc, 1
	.set _ZN7rocprim17ROCPRIM_400000_NS6detail17trampoline_kernelINS0_14default_configENS1_38merge_sort_block_merge_config_selectorIyNS0_10empty_typeEEEZZNS1_27merge_sort_block_merge_implIS3_N6thrust23THRUST_200600_302600_NS6detail15normal_iteratorINS9_10device_ptrIyEEEEPS5_m9comp_mod3IyEEE10hipError_tT0_T1_T2_jT3_P12ihipStream_tbPNSt15iterator_traitsISJ_E10value_typeEPNSP_ISK_E10value_typeEPSL_NS1_7vsmem_tEENKUlT_SJ_SK_SL_E_clISE_PySF_SF_EESI_SY_SJ_SK_SL_EUlSY_E1_NS1_11comp_targetILNS1_3genE8ELNS1_11target_archE1030ELNS1_3gpuE2ELNS1_3repE0EEENS1_36merge_oddeven_config_static_selectorELNS0_4arch9wavefront6targetE0EEEvSK_.uses_flat_scratch, 0
	.set _ZN7rocprim17ROCPRIM_400000_NS6detail17trampoline_kernelINS0_14default_configENS1_38merge_sort_block_merge_config_selectorIyNS0_10empty_typeEEEZZNS1_27merge_sort_block_merge_implIS3_N6thrust23THRUST_200600_302600_NS6detail15normal_iteratorINS9_10device_ptrIyEEEEPS5_m9comp_mod3IyEEE10hipError_tT0_T1_T2_jT3_P12ihipStream_tbPNSt15iterator_traitsISJ_E10value_typeEPNSP_ISK_E10value_typeEPSL_NS1_7vsmem_tEENKUlT_SJ_SK_SL_E_clISE_PySF_SF_EESI_SY_SJ_SK_SL_EUlSY_E1_NS1_11comp_targetILNS1_3genE8ELNS1_11target_archE1030ELNS1_3gpuE2ELNS1_3repE0EEENS1_36merge_oddeven_config_static_selectorELNS0_4arch9wavefront6targetE0EEEvSK_.has_dyn_sized_stack, 0
	.set _ZN7rocprim17ROCPRIM_400000_NS6detail17trampoline_kernelINS0_14default_configENS1_38merge_sort_block_merge_config_selectorIyNS0_10empty_typeEEEZZNS1_27merge_sort_block_merge_implIS3_N6thrust23THRUST_200600_302600_NS6detail15normal_iteratorINS9_10device_ptrIyEEEEPS5_m9comp_mod3IyEEE10hipError_tT0_T1_T2_jT3_P12ihipStream_tbPNSt15iterator_traitsISJ_E10value_typeEPNSP_ISK_E10value_typeEPSL_NS1_7vsmem_tEENKUlT_SJ_SK_SL_E_clISE_PySF_SF_EESI_SY_SJ_SK_SL_EUlSY_E1_NS1_11comp_targetILNS1_3genE8ELNS1_11target_archE1030ELNS1_3gpuE2ELNS1_3repE0EEENS1_36merge_oddeven_config_static_selectorELNS0_4arch9wavefront6targetE0EEEvSK_.has_recursion, 0
	.set _ZN7rocprim17ROCPRIM_400000_NS6detail17trampoline_kernelINS0_14default_configENS1_38merge_sort_block_merge_config_selectorIyNS0_10empty_typeEEEZZNS1_27merge_sort_block_merge_implIS3_N6thrust23THRUST_200600_302600_NS6detail15normal_iteratorINS9_10device_ptrIyEEEEPS5_m9comp_mod3IyEEE10hipError_tT0_T1_T2_jT3_P12ihipStream_tbPNSt15iterator_traitsISJ_E10value_typeEPNSP_ISK_E10value_typeEPSL_NS1_7vsmem_tEENKUlT_SJ_SK_SL_E_clISE_PySF_SF_EESI_SY_SJ_SK_SL_EUlSY_E1_NS1_11comp_targetILNS1_3genE8ELNS1_11target_archE1030ELNS1_3gpuE2ELNS1_3repE0EEENS1_36merge_oddeven_config_static_selectorELNS0_4arch9wavefront6targetE0EEEvSK_.has_indirect_call, 0
	.section	.AMDGPU.csdata,"",@progbits
; Kernel info:
; codeLenInByte = 940
; TotalNumSgprs: 20
; NumVgprs: 15
; ScratchSize: 0
; MemoryBound: 0
; FloatMode: 240
; IeeeMode: 1
; LDSByteSize: 0 bytes/workgroup (compile time only)
; SGPRBlocks: 0
; VGPRBlocks: 1
; NumSGPRsForWavesPerEU: 20
; NumVGPRsForWavesPerEU: 15
; Occupancy: 16
; WaveLimiterHint : 1
; COMPUTE_PGM_RSRC2:SCRATCH_EN: 0
; COMPUTE_PGM_RSRC2:USER_SGPR: 6
; COMPUTE_PGM_RSRC2:TRAP_HANDLER: 0
; COMPUTE_PGM_RSRC2:TGID_X_EN: 1
; COMPUTE_PGM_RSRC2:TGID_Y_EN: 0
; COMPUTE_PGM_RSRC2:TGID_Z_EN: 0
; COMPUTE_PGM_RSRC2:TIDIG_COMP_CNT: 0
	.section	.text._ZN7rocprim17ROCPRIM_400000_NS6detail17trampoline_kernelINS0_14default_configENS1_37merge_sort_block_sort_config_selectorIjNS0_10empty_typeEEEZNS1_21merge_sort_block_sortIS3_N6thrust23THRUST_200600_302600_NS6detail15normal_iteratorINS9_10device_ptrIjEEEESE_PS5_SF_9comp_mod3IjEEE10hipError_tT0_T1_T2_T3_mRjT4_P12ihipStream_tbNS1_7vsmem_tEEUlT_E_NS1_11comp_targetILNS1_3genE0ELNS1_11target_archE4294967295ELNS1_3gpuE0ELNS1_3repE0EEENS1_30default_config_static_selectorELNS0_4arch9wavefront6targetE0EEEvSK_,"axG",@progbits,_ZN7rocprim17ROCPRIM_400000_NS6detail17trampoline_kernelINS0_14default_configENS1_37merge_sort_block_sort_config_selectorIjNS0_10empty_typeEEEZNS1_21merge_sort_block_sortIS3_N6thrust23THRUST_200600_302600_NS6detail15normal_iteratorINS9_10device_ptrIjEEEESE_PS5_SF_9comp_mod3IjEEE10hipError_tT0_T1_T2_T3_mRjT4_P12ihipStream_tbNS1_7vsmem_tEEUlT_E_NS1_11comp_targetILNS1_3genE0ELNS1_11target_archE4294967295ELNS1_3gpuE0ELNS1_3repE0EEENS1_30default_config_static_selectorELNS0_4arch9wavefront6targetE0EEEvSK_,comdat
	.protected	_ZN7rocprim17ROCPRIM_400000_NS6detail17trampoline_kernelINS0_14default_configENS1_37merge_sort_block_sort_config_selectorIjNS0_10empty_typeEEEZNS1_21merge_sort_block_sortIS3_N6thrust23THRUST_200600_302600_NS6detail15normal_iteratorINS9_10device_ptrIjEEEESE_PS5_SF_9comp_mod3IjEEE10hipError_tT0_T1_T2_T3_mRjT4_P12ihipStream_tbNS1_7vsmem_tEEUlT_E_NS1_11comp_targetILNS1_3genE0ELNS1_11target_archE4294967295ELNS1_3gpuE0ELNS1_3repE0EEENS1_30default_config_static_selectorELNS0_4arch9wavefront6targetE0EEEvSK_ ; -- Begin function _ZN7rocprim17ROCPRIM_400000_NS6detail17trampoline_kernelINS0_14default_configENS1_37merge_sort_block_sort_config_selectorIjNS0_10empty_typeEEEZNS1_21merge_sort_block_sortIS3_N6thrust23THRUST_200600_302600_NS6detail15normal_iteratorINS9_10device_ptrIjEEEESE_PS5_SF_9comp_mod3IjEEE10hipError_tT0_T1_T2_T3_mRjT4_P12ihipStream_tbNS1_7vsmem_tEEUlT_E_NS1_11comp_targetILNS1_3genE0ELNS1_11target_archE4294967295ELNS1_3gpuE0ELNS1_3repE0EEENS1_30default_config_static_selectorELNS0_4arch9wavefront6targetE0EEEvSK_
	.globl	_ZN7rocprim17ROCPRIM_400000_NS6detail17trampoline_kernelINS0_14default_configENS1_37merge_sort_block_sort_config_selectorIjNS0_10empty_typeEEEZNS1_21merge_sort_block_sortIS3_N6thrust23THRUST_200600_302600_NS6detail15normal_iteratorINS9_10device_ptrIjEEEESE_PS5_SF_9comp_mod3IjEEE10hipError_tT0_T1_T2_T3_mRjT4_P12ihipStream_tbNS1_7vsmem_tEEUlT_E_NS1_11comp_targetILNS1_3genE0ELNS1_11target_archE4294967295ELNS1_3gpuE0ELNS1_3repE0EEENS1_30default_config_static_selectorELNS0_4arch9wavefront6targetE0EEEvSK_
	.p2align	8
	.type	_ZN7rocprim17ROCPRIM_400000_NS6detail17trampoline_kernelINS0_14default_configENS1_37merge_sort_block_sort_config_selectorIjNS0_10empty_typeEEEZNS1_21merge_sort_block_sortIS3_N6thrust23THRUST_200600_302600_NS6detail15normal_iteratorINS9_10device_ptrIjEEEESE_PS5_SF_9comp_mod3IjEEE10hipError_tT0_T1_T2_T3_mRjT4_P12ihipStream_tbNS1_7vsmem_tEEUlT_E_NS1_11comp_targetILNS1_3genE0ELNS1_11target_archE4294967295ELNS1_3gpuE0ELNS1_3repE0EEENS1_30default_config_static_selectorELNS0_4arch9wavefront6targetE0EEEvSK_,@function
_ZN7rocprim17ROCPRIM_400000_NS6detail17trampoline_kernelINS0_14default_configENS1_37merge_sort_block_sort_config_selectorIjNS0_10empty_typeEEEZNS1_21merge_sort_block_sortIS3_N6thrust23THRUST_200600_302600_NS6detail15normal_iteratorINS9_10device_ptrIjEEEESE_PS5_SF_9comp_mod3IjEEE10hipError_tT0_T1_T2_T3_mRjT4_P12ihipStream_tbNS1_7vsmem_tEEUlT_E_NS1_11comp_targetILNS1_3genE0ELNS1_11target_archE4294967295ELNS1_3gpuE0ELNS1_3repE0EEENS1_30default_config_static_selectorELNS0_4arch9wavefront6targetE0EEEvSK_: ; @_ZN7rocprim17ROCPRIM_400000_NS6detail17trampoline_kernelINS0_14default_configENS1_37merge_sort_block_sort_config_selectorIjNS0_10empty_typeEEEZNS1_21merge_sort_block_sortIS3_N6thrust23THRUST_200600_302600_NS6detail15normal_iteratorINS9_10device_ptrIjEEEESE_PS5_SF_9comp_mod3IjEEE10hipError_tT0_T1_T2_T3_mRjT4_P12ihipStream_tbNS1_7vsmem_tEEUlT_E_NS1_11comp_targetILNS1_3genE0ELNS1_11target_archE4294967295ELNS1_3gpuE0ELNS1_3repE0EEENS1_30default_config_static_selectorELNS0_4arch9wavefront6targetE0EEEvSK_
; %bb.0:
	.section	.rodata,"a",@progbits
	.p2align	6, 0x0
	.amdhsa_kernel _ZN7rocprim17ROCPRIM_400000_NS6detail17trampoline_kernelINS0_14default_configENS1_37merge_sort_block_sort_config_selectorIjNS0_10empty_typeEEEZNS1_21merge_sort_block_sortIS3_N6thrust23THRUST_200600_302600_NS6detail15normal_iteratorINS9_10device_ptrIjEEEESE_PS5_SF_9comp_mod3IjEEE10hipError_tT0_T1_T2_T3_mRjT4_P12ihipStream_tbNS1_7vsmem_tEEUlT_E_NS1_11comp_targetILNS1_3genE0ELNS1_11target_archE4294967295ELNS1_3gpuE0ELNS1_3repE0EEENS1_30default_config_static_selectorELNS0_4arch9wavefront6targetE0EEEvSK_
		.amdhsa_group_segment_fixed_size 0
		.amdhsa_private_segment_fixed_size 0
		.amdhsa_kernarg_size 64
		.amdhsa_user_sgpr_count 6
		.amdhsa_user_sgpr_private_segment_buffer 1
		.amdhsa_user_sgpr_dispatch_ptr 0
		.amdhsa_user_sgpr_queue_ptr 0
		.amdhsa_user_sgpr_kernarg_segment_ptr 1
		.amdhsa_user_sgpr_dispatch_id 0
		.amdhsa_user_sgpr_flat_scratch_init 0
		.amdhsa_user_sgpr_private_segment_size 0
		.amdhsa_wavefront_size32 1
		.amdhsa_uses_dynamic_stack 0
		.amdhsa_system_sgpr_private_segment_wavefront_offset 0
		.amdhsa_system_sgpr_workgroup_id_x 1
		.amdhsa_system_sgpr_workgroup_id_y 0
		.amdhsa_system_sgpr_workgroup_id_z 0
		.amdhsa_system_sgpr_workgroup_info 0
		.amdhsa_system_vgpr_workitem_id 0
		.amdhsa_next_free_vgpr 1
		.amdhsa_next_free_sgpr 1
		.amdhsa_reserve_vcc 0
		.amdhsa_reserve_flat_scratch 0
		.amdhsa_float_round_mode_32 0
		.amdhsa_float_round_mode_16_64 0
		.amdhsa_float_denorm_mode_32 3
		.amdhsa_float_denorm_mode_16_64 3
		.amdhsa_dx10_clamp 1
		.amdhsa_ieee_mode 1
		.amdhsa_fp16_overflow 0
		.amdhsa_workgroup_processor_mode 1
		.amdhsa_memory_ordered 1
		.amdhsa_forward_progress 1
		.amdhsa_shared_vgpr_count 0
		.amdhsa_exception_fp_ieee_invalid_op 0
		.amdhsa_exception_fp_denorm_src 0
		.amdhsa_exception_fp_ieee_div_zero 0
		.amdhsa_exception_fp_ieee_overflow 0
		.amdhsa_exception_fp_ieee_underflow 0
		.amdhsa_exception_fp_ieee_inexact 0
		.amdhsa_exception_int_div_zero 0
	.end_amdhsa_kernel
	.section	.text._ZN7rocprim17ROCPRIM_400000_NS6detail17trampoline_kernelINS0_14default_configENS1_37merge_sort_block_sort_config_selectorIjNS0_10empty_typeEEEZNS1_21merge_sort_block_sortIS3_N6thrust23THRUST_200600_302600_NS6detail15normal_iteratorINS9_10device_ptrIjEEEESE_PS5_SF_9comp_mod3IjEEE10hipError_tT0_T1_T2_T3_mRjT4_P12ihipStream_tbNS1_7vsmem_tEEUlT_E_NS1_11comp_targetILNS1_3genE0ELNS1_11target_archE4294967295ELNS1_3gpuE0ELNS1_3repE0EEENS1_30default_config_static_selectorELNS0_4arch9wavefront6targetE0EEEvSK_,"axG",@progbits,_ZN7rocprim17ROCPRIM_400000_NS6detail17trampoline_kernelINS0_14default_configENS1_37merge_sort_block_sort_config_selectorIjNS0_10empty_typeEEEZNS1_21merge_sort_block_sortIS3_N6thrust23THRUST_200600_302600_NS6detail15normal_iteratorINS9_10device_ptrIjEEEESE_PS5_SF_9comp_mod3IjEEE10hipError_tT0_T1_T2_T3_mRjT4_P12ihipStream_tbNS1_7vsmem_tEEUlT_E_NS1_11comp_targetILNS1_3genE0ELNS1_11target_archE4294967295ELNS1_3gpuE0ELNS1_3repE0EEENS1_30default_config_static_selectorELNS0_4arch9wavefront6targetE0EEEvSK_,comdat
.Lfunc_end807:
	.size	_ZN7rocprim17ROCPRIM_400000_NS6detail17trampoline_kernelINS0_14default_configENS1_37merge_sort_block_sort_config_selectorIjNS0_10empty_typeEEEZNS1_21merge_sort_block_sortIS3_N6thrust23THRUST_200600_302600_NS6detail15normal_iteratorINS9_10device_ptrIjEEEESE_PS5_SF_9comp_mod3IjEEE10hipError_tT0_T1_T2_T3_mRjT4_P12ihipStream_tbNS1_7vsmem_tEEUlT_E_NS1_11comp_targetILNS1_3genE0ELNS1_11target_archE4294967295ELNS1_3gpuE0ELNS1_3repE0EEENS1_30default_config_static_selectorELNS0_4arch9wavefront6targetE0EEEvSK_, .Lfunc_end807-_ZN7rocprim17ROCPRIM_400000_NS6detail17trampoline_kernelINS0_14default_configENS1_37merge_sort_block_sort_config_selectorIjNS0_10empty_typeEEEZNS1_21merge_sort_block_sortIS3_N6thrust23THRUST_200600_302600_NS6detail15normal_iteratorINS9_10device_ptrIjEEEESE_PS5_SF_9comp_mod3IjEEE10hipError_tT0_T1_T2_T3_mRjT4_P12ihipStream_tbNS1_7vsmem_tEEUlT_E_NS1_11comp_targetILNS1_3genE0ELNS1_11target_archE4294967295ELNS1_3gpuE0ELNS1_3repE0EEENS1_30default_config_static_selectorELNS0_4arch9wavefront6targetE0EEEvSK_
                                        ; -- End function
	.set _ZN7rocprim17ROCPRIM_400000_NS6detail17trampoline_kernelINS0_14default_configENS1_37merge_sort_block_sort_config_selectorIjNS0_10empty_typeEEEZNS1_21merge_sort_block_sortIS3_N6thrust23THRUST_200600_302600_NS6detail15normal_iteratorINS9_10device_ptrIjEEEESE_PS5_SF_9comp_mod3IjEEE10hipError_tT0_T1_T2_T3_mRjT4_P12ihipStream_tbNS1_7vsmem_tEEUlT_E_NS1_11comp_targetILNS1_3genE0ELNS1_11target_archE4294967295ELNS1_3gpuE0ELNS1_3repE0EEENS1_30default_config_static_selectorELNS0_4arch9wavefront6targetE0EEEvSK_.num_vgpr, 0
	.set _ZN7rocprim17ROCPRIM_400000_NS6detail17trampoline_kernelINS0_14default_configENS1_37merge_sort_block_sort_config_selectorIjNS0_10empty_typeEEEZNS1_21merge_sort_block_sortIS3_N6thrust23THRUST_200600_302600_NS6detail15normal_iteratorINS9_10device_ptrIjEEEESE_PS5_SF_9comp_mod3IjEEE10hipError_tT0_T1_T2_T3_mRjT4_P12ihipStream_tbNS1_7vsmem_tEEUlT_E_NS1_11comp_targetILNS1_3genE0ELNS1_11target_archE4294967295ELNS1_3gpuE0ELNS1_3repE0EEENS1_30default_config_static_selectorELNS0_4arch9wavefront6targetE0EEEvSK_.num_agpr, 0
	.set _ZN7rocprim17ROCPRIM_400000_NS6detail17trampoline_kernelINS0_14default_configENS1_37merge_sort_block_sort_config_selectorIjNS0_10empty_typeEEEZNS1_21merge_sort_block_sortIS3_N6thrust23THRUST_200600_302600_NS6detail15normal_iteratorINS9_10device_ptrIjEEEESE_PS5_SF_9comp_mod3IjEEE10hipError_tT0_T1_T2_T3_mRjT4_P12ihipStream_tbNS1_7vsmem_tEEUlT_E_NS1_11comp_targetILNS1_3genE0ELNS1_11target_archE4294967295ELNS1_3gpuE0ELNS1_3repE0EEENS1_30default_config_static_selectorELNS0_4arch9wavefront6targetE0EEEvSK_.numbered_sgpr, 0
	.set _ZN7rocprim17ROCPRIM_400000_NS6detail17trampoline_kernelINS0_14default_configENS1_37merge_sort_block_sort_config_selectorIjNS0_10empty_typeEEEZNS1_21merge_sort_block_sortIS3_N6thrust23THRUST_200600_302600_NS6detail15normal_iteratorINS9_10device_ptrIjEEEESE_PS5_SF_9comp_mod3IjEEE10hipError_tT0_T1_T2_T3_mRjT4_P12ihipStream_tbNS1_7vsmem_tEEUlT_E_NS1_11comp_targetILNS1_3genE0ELNS1_11target_archE4294967295ELNS1_3gpuE0ELNS1_3repE0EEENS1_30default_config_static_selectorELNS0_4arch9wavefront6targetE0EEEvSK_.num_named_barrier, 0
	.set _ZN7rocprim17ROCPRIM_400000_NS6detail17trampoline_kernelINS0_14default_configENS1_37merge_sort_block_sort_config_selectorIjNS0_10empty_typeEEEZNS1_21merge_sort_block_sortIS3_N6thrust23THRUST_200600_302600_NS6detail15normal_iteratorINS9_10device_ptrIjEEEESE_PS5_SF_9comp_mod3IjEEE10hipError_tT0_T1_T2_T3_mRjT4_P12ihipStream_tbNS1_7vsmem_tEEUlT_E_NS1_11comp_targetILNS1_3genE0ELNS1_11target_archE4294967295ELNS1_3gpuE0ELNS1_3repE0EEENS1_30default_config_static_selectorELNS0_4arch9wavefront6targetE0EEEvSK_.private_seg_size, 0
	.set _ZN7rocprim17ROCPRIM_400000_NS6detail17trampoline_kernelINS0_14default_configENS1_37merge_sort_block_sort_config_selectorIjNS0_10empty_typeEEEZNS1_21merge_sort_block_sortIS3_N6thrust23THRUST_200600_302600_NS6detail15normal_iteratorINS9_10device_ptrIjEEEESE_PS5_SF_9comp_mod3IjEEE10hipError_tT0_T1_T2_T3_mRjT4_P12ihipStream_tbNS1_7vsmem_tEEUlT_E_NS1_11comp_targetILNS1_3genE0ELNS1_11target_archE4294967295ELNS1_3gpuE0ELNS1_3repE0EEENS1_30default_config_static_selectorELNS0_4arch9wavefront6targetE0EEEvSK_.uses_vcc, 0
	.set _ZN7rocprim17ROCPRIM_400000_NS6detail17trampoline_kernelINS0_14default_configENS1_37merge_sort_block_sort_config_selectorIjNS0_10empty_typeEEEZNS1_21merge_sort_block_sortIS3_N6thrust23THRUST_200600_302600_NS6detail15normal_iteratorINS9_10device_ptrIjEEEESE_PS5_SF_9comp_mod3IjEEE10hipError_tT0_T1_T2_T3_mRjT4_P12ihipStream_tbNS1_7vsmem_tEEUlT_E_NS1_11comp_targetILNS1_3genE0ELNS1_11target_archE4294967295ELNS1_3gpuE0ELNS1_3repE0EEENS1_30default_config_static_selectorELNS0_4arch9wavefront6targetE0EEEvSK_.uses_flat_scratch, 0
	.set _ZN7rocprim17ROCPRIM_400000_NS6detail17trampoline_kernelINS0_14default_configENS1_37merge_sort_block_sort_config_selectorIjNS0_10empty_typeEEEZNS1_21merge_sort_block_sortIS3_N6thrust23THRUST_200600_302600_NS6detail15normal_iteratorINS9_10device_ptrIjEEEESE_PS5_SF_9comp_mod3IjEEE10hipError_tT0_T1_T2_T3_mRjT4_P12ihipStream_tbNS1_7vsmem_tEEUlT_E_NS1_11comp_targetILNS1_3genE0ELNS1_11target_archE4294967295ELNS1_3gpuE0ELNS1_3repE0EEENS1_30default_config_static_selectorELNS0_4arch9wavefront6targetE0EEEvSK_.has_dyn_sized_stack, 0
	.set _ZN7rocprim17ROCPRIM_400000_NS6detail17trampoline_kernelINS0_14default_configENS1_37merge_sort_block_sort_config_selectorIjNS0_10empty_typeEEEZNS1_21merge_sort_block_sortIS3_N6thrust23THRUST_200600_302600_NS6detail15normal_iteratorINS9_10device_ptrIjEEEESE_PS5_SF_9comp_mod3IjEEE10hipError_tT0_T1_T2_T3_mRjT4_P12ihipStream_tbNS1_7vsmem_tEEUlT_E_NS1_11comp_targetILNS1_3genE0ELNS1_11target_archE4294967295ELNS1_3gpuE0ELNS1_3repE0EEENS1_30default_config_static_selectorELNS0_4arch9wavefront6targetE0EEEvSK_.has_recursion, 0
	.set _ZN7rocprim17ROCPRIM_400000_NS6detail17trampoline_kernelINS0_14default_configENS1_37merge_sort_block_sort_config_selectorIjNS0_10empty_typeEEEZNS1_21merge_sort_block_sortIS3_N6thrust23THRUST_200600_302600_NS6detail15normal_iteratorINS9_10device_ptrIjEEEESE_PS5_SF_9comp_mod3IjEEE10hipError_tT0_T1_T2_T3_mRjT4_P12ihipStream_tbNS1_7vsmem_tEEUlT_E_NS1_11comp_targetILNS1_3genE0ELNS1_11target_archE4294967295ELNS1_3gpuE0ELNS1_3repE0EEENS1_30default_config_static_selectorELNS0_4arch9wavefront6targetE0EEEvSK_.has_indirect_call, 0
	.section	.AMDGPU.csdata,"",@progbits
; Kernel info:
; codeLenInByte = 0
; TotalNumSgprs: 0
; NumVgprs: 0
; ScratchSize: 0
; MemoryBound: 0
; FloatMode: 240
; IeeeMode: 1
; LDSByteSize: 0 bytes/workgroup (compile time only)
; SGPRBlocks: 0
; VGPRBlocks: 0
; NumSGPRsForWavesPerEU: 1
; NumVGPRsForWavesPerEU: 1
; Occupancy: 16
; WaveLimiterHint : 0
; COMPUTE_PGM_RSRC2:SCRATCH_EN: 0
; COMPUTE_PGM_RSRC2:USER_SGPR: 6
; COMPUTE_PGM_RSRC2:TRAP_HANDLER: 0
; COMPUTE_PGM_RSRC2:TGID_X_EN: 1
; COMPUTE_PGM_RSRC2:TGID_Y_EN: 0
; COMPUTE_PGM_RSRC2:TGID_Z_EN: 0
; COMPUTE_PGM_RSRC2:TIDIG_COMP_CNT: 0
	.section	.text._ZN7rocprim17ROCPRIM_400000_NS6detail17trampoline_kernelINS0_14default_configENS1_37merge_sort_block_sort_config_selectorIjNS0_10empty_typeEEEZNS1_21merge_sort_block_sortIS3_N6thrust23THRUST_200600_302600_NS6detail15normal_iteratorINS9_10device_ptrIjEEEESE_PS5_SF_9comp_mod3IjEEE10hipError_tT0_T1_T2_T3_mRjT4_P12ihipStream_tbNS1_7vsmem_tEEUlT_E_NS1_11comp_targetILNS1_3genE5ELNS1_11target_archE942ELNS1_3gpuE9ELNS1_3repE0EEENS1_30default_config_static_selectorELNS0_4arch9wavefront6targetE0EEEvSK_,"axG",@progbits,_ZN7rocprim17ROCPRIM_400000_NS6detail17trampoline_kernelINS0_14default_configENS1_37merge_sort_block_sort_config_selectorIjNS0_10empty_typeEEEZNS1_21merge_sort_block_sortIS3_N6thrust23THRUST_200600_302600_NS6detail15normal_iteratorINS9_10device_ptrIjEEEESE_PS5_SF_9comp_mod3IjEEE10hipError_tT0_T1_T2_T3_mRjT4_P12ihipStream_tbNS1_7vsmem_tEEUlT_E_NS1_11comp_targetILNS1_3genE5ELNS1_11target_archE942ELNS1_3gpuE9ELNS1_3repE0EEENS1_30default_config_static_selectorELNS0_4arch9wavefront6targetE0EEEvSK_,comdat
	.protected	_ZN7rocprim17ROCPRIM_400000_NS6detail17trampoline_kernelINS0_14default_configENS1_37merge_sort_block_sort_config_selectorIjNS0_10empty_typeEEEZNS1_21merge_sort_block_sortIS3_N6thrust23THRUST_200600_302600_NS6detail15normal_iteratorINS9_10device_ptrIjEEEESE_PS5_SF_9comp_mod3IjEEE10hipError_tT0_T1_T2_T3_mRjT4_P12ihipStream_tbNS1_7vsmem_tEEUlT_E_NS1_11comp_targetILNS1_3genE5ELNS1_11target_archE942ELNS1_3gpuE9ELNS1_3repE0EEENS1_30default_config_static_selectorELNS0_4arch9wavefront6targetE0EEEvSK_ ; -- Begin function _ZN7rocprim17ROCPRIM_400000_NS6detail17trampoline_kernelINS0_14default_configENS1_37merge_sort_block_sort_config_selectorIjNS0_10empty_typeEEEZNS1_21merge_sort_block_sortIS3_N6thrust23THRUST_200600_302600_NS6detail15normal_iteratorINS9_10device_ptrIjEEEESE_PS5_SF_9comp_mod3IjEEE10hipError_tT0_T1_T2_T3_mRjT4_P12ihipStream_tbNS1_7vsmem_tEEUlT_E_NS1_11comp_targetILNS1_3genE5ELNS1_11target_archE942ELNS1_3gpuE9ELNS1_3repE0EEENS1_30default_config_static_selectorELNS0_4arch9wavefront6targetE0EEEvSK_
	.globl	_ZN7rocprim17ROCPRIM_400000_NS6detail17trampoline_kernelINS0_14default_configENS1_37merge_sort_block_sort_config_selectorIjNS0_10empty_typeEEEZNS1_21merge_sort_block_sortIS3_N6thrust23THRUST_200600_302600_NS6detail15normal_iteratorINS9_10device_ptrIjEEEESE_PS5_SF_9comp_mod3IjEEE10hipError_tT0_T1_T2_T3_mRjT4_P12ihipStream_tbNS1_7vsmem_tEEUlT_E_NS1_11comp_targetILNS1_3genE5ELNS1_11target_archE942ELNS1_3gpuE9ELNS1_3repE0EEENS1_30default_config_static_selectorELNS0_4arch9wavefront6targetE0EEEvSK_
	.p2align	8
	.type	_ZN7rocprim17ROCPRIM_400000_NS6detail17trampoline_kernelINS0_14default_configENS1_37merge_sort_block_sort_config_selectorIjNS0_10empty_typeEEEZNS1_21merge_sort_block_sortIS3_N6thrust23THRUST_200600_302600_NS6detail15normal_iteratorINS9_10device_ptrIjEEEESE_PS5_SF_9comp_mod3IjEEE10hipError_tT0_T1_T2_T3_mRjT4_P12ihipStream_tbNS1_7vsmem_tEEUlT_E_NS1_11comp_targetILNS1_3genE5ELNS1_11target_archE942ELNS1_3gpuE9ELNS1_3repE0EEENS1_30default_config_static_selectorELNS0_4arch9wavefront6targetE0EEEvSK_,@function
_ZN7rocprim17ROCPRIM_400000_NS6detail17trampoline_kernelINS0_14default_configENS1_37merge_sort_block_sort_config_selectorIjNS0_10empty_typeEEEZNS1_21merge_sort_block_sortIS3_N6thrust23THRUST_200600_302600_NS6detail15normal_iteratorINS9_10device_ptrIjEEEESE_PS5_SF_9comp_mod3IjEEE10hipError_tT0_T1_T2_T3_mRjT4_P12ihipStream_tbNS1_7vsmem_tEEUlT_E_NS1_11comp_targetILNS1_3genE5ELNS1_11target_archE942ELNS1_3gpuE9ELNS1_3repE0EEENS1_30default_config_static_selectorELNS0_4arch9wavefront6targetE0EEEvSK_: ; @_ZN7rocprim17ROCPRIM_400000_NS6detail17trampoline_kernelINS0_14default_configENS1_37merge_sort_block_sort_config_selectorIjNS0_10empty_typeEEEZNS1_21merge_sort_block_sortIS3_N6thrust23THRUST_200600_302600_NS6detail15normal_iteratorINS9_10device_ptrIjEEEESE_PS5_SF_9comp_mod3IjEEE10hipError_tT0_T1_T2_T3_mRjT4_P12ihipStream_tbNS1_7vsmem_tEEUlT_E_NS1_11comp_targetILNS1_3genE5ELNS1_11target_archE942ELNS1_3gpuE9ELNS1_3repE0EEENS1_30default_config_static_selectorELNS0_4arch9wavefront6targetE0EEEvSK_
; %bb.0:
	.section	.rodata,"a",@progbits
	.p2align	6, 0x0
	.amdhsa_kernel _ZN7rocprim17ROCPRIM_400000_NS6detail17trampoline_kernelINS0_14default_configENS1_37merge_sort_block_sort_config_selectorIjNS0_10empty_typeEEEZNS1_21merge_sort_block_sortIS3_N6thrust23THRUST_200600_302600_NS6detail15normal_iteratorINS9_10device_ptrIjEEEESE_PS5_SF_9comp_mod3IjEEE10hipError_tT0_T1_T2_T3_mRjT4_P12ihipStream_tbNS1_7vsmem_tEEUlT_E_NS1_11comp_targetILNS1_3genE5ELNS1_11target_archE942ELNS1_3gpuE9ELNS1_3repE0EEENS1_30default_config_static_selectorELNS0_4arch9wavefront6targetE0EEEvSK_
		.amdhsa_group_segment_fixed_size 0
		.amdhsa_private_segment_fixed_size 0
		.amdhsa_kernarg_size 64
		.amdhsa_user_sgpr_count 6
		.amdhsa_user_sgpr_private_segment_buffer 1
		.amdhsa_user_sgpr_dispatch_ptr 0
		.amdhsa_user_sgpr_queue_ptr 0
		.amdhsa_user_sgpr_kernarg_segment_ptr 1
		.amdhsa_user_sgpr_dispatch_id 0
		.amdhsa_user_sgpr_flat_scratch_init 0
		.amdhsa_user_sgpr_private_segment_size 0
		.amdhsa_wavefront_size32 1
		.amdhsa_uses_dynamic_stack 0
		.amdhsa_system_sgpr_private_segment_wavefront_offset 0
		.amdhsa_system_sgpr_workgroup_id_x 1
		.amdhsa_system_sgpr_workgroup_id_y 0
		.amdhsa_system_sgpr_workgroup_id_z 0
		.amdhsa_system_sgpr_workgroup_info 0
		.amdhsa_system_vgpr_workitem_id 0
		.amdhsa_next_free_vgpr 1
		.amdhsa_next_free_sgpr 1
		.amdhsa_reserve_vcc 0
		.amdhsa_reserve_flat_scratch 0
		.amdhsa_float_round_mode_32 0
		.amdhsa_float_round_mode_16_64 0
		.amdhsa_float_denorm_mode_32 3
		.amdhsa_float_denorm_mode_16_64 3
		.amdhsa_dx10_clamp 1
		.amdhsa_ieee_mode 1
		.amdhsa_fp16_overflow 0
		.amdhsa_workgroup_processor_mode 1
		.amdhsa_memory_ordered 1
		.amdhsa_forward_progress 1
		.amdhsa_shared_vgpr_count 0
		.amdhsa_exception_fp_ieee_invalid_op 0
		.amdhsa_exception_fp_denorm_src 0
		.amdhsa_exception_fp_ieee_div_zero 0
		.amdhsa_exception_fp_ieee_overflow 0
		.amdhsa_exception_fp_ieee_underflow 0
		.amdhsa_exception_fp_ieee_inexact 0
		.amdhsa_exception_int_div_zero 0
	.end_amdhsa_kernel
	.section	.text._ZN7rocprim17ROCPRIM_400000_NS6detail17trampoline_kernelINS0_14default_configENS1_37merge_sort_block_sort_config_selectorIjNS0_10empty_typeEEEZNS1_21merge_sort_block_sortIS3_N6thrust23THRUST_200600_302600_NS6detail15normal_iteratorINS9_10device_ptrIjEEEESE_PS5_SF_9comp_mod3IjEEE10hipError_tT0_T1_T2_T3_mRjT4_P12ihipStream_tbNS1_7vsmem_tEEUlT_E_NS1_11comp_targetILNS1_3genE5ELNS1_11target_archE942ELNS1_3gpuE9ELNS1_3repE0EEENS1_30default_config_static_selectorELNS0_4arch9wavefront6targetE0EEEvSK_,"axG",@progbits,_ZN7rocprim17ROCPRIM_400000_NS6detail17trampoline_kernelINS0_14default_configENS1_37merge_sort_block_sort_config_selectorIjNS0_10empty_typeEEEZNS1_21merge_sort_block_sortIS3_N6thrust23THRUST_200600_302600_NS6detail15normal_iteratorINS9_10device_ptrIjEEEESE_PS5_SF_9comp_mod3IjEEE10hipError_tT0_T1_T2_T3_mRjT4_P12ihipStream_tbNS1_7vsmem_tEEUlT_E_NS1_11comp_targetILNS1_3genE5ELNS1_11target_archE942ELNS1_3gpuE9ELNS1_3repE0EEENS1_30default_config_static_selectorELNS0_4arch9wavefront6targetE0EEEvSK_,comdat
.Lfunc_end808:
	.size	_ZN7rocprim17ROCPRIM_400000_NS6detail17trampoline_kernelINS0_14default_configENS1_37merge_sort_block_sort_config_selectorIjNS0_10empty_typeEEEZNS1_21merge_sort_block_sortIS3_N6thrust23THRUST_200600_302600_NS6detail15normal_iteratorINS9_10device_ptrIjEEEESE_PS5_SF_9comp_mod3IjEEE10hipError_tT0_T1_T2_T3_mRjT4_P12ihipStream_tbNS1_7vsmem_tEEUlT_E_NS1_11comp_targetILNS1_3genE5ELNS1_11target_archE942ELNS1_3gpuE9ELNS1_3repE0EEENS1_30default_config_static_selectorELNS0_4arch9wavefront6targetE0EEEvSK_, .Lfunc_end808-_ZN7rocprim17ROCPRIM_400000_NS6detail17trampoline_kernelINS0_14default_configENS1_37merge_sort_block_sort_config_selectorIjNS0_10empty_typeEEEZNS1_21merge_sort_block_sortIS3_N6thrust23THRUST_200600_302600_NS6detail15normal_iteratorINS9_10device_ptrIjEEEESE_PS5_SF_9comp_mod3IjEEE10hipError_tT0_T1_T2_T3_mRjT4_P12ihipStream_tbNS1_7vsmem_tEEUlT_E_NS1_11comp_targetILNS1_3genE5ELNS1_11target_archE942ELNS1_3gpuE9ELNS1_3repE0EEENS1_30default_config_static_selectorELNS0_4arch9wavefront6targetE0EEEvSK_
                                        ; -- End function
	.set _ZN7rocprim17ROCPRIM_400000_NS6detail17trampoline_kernelINS0_14default_configENS1_37merge_sort_block_sort_config_selectorIjNS0_10empty_typeEEEZNS1_21merge_sort_block_sortIS3_N6thrust23THRUST_200600_302600_NS6detail15normal_iteratorINS9_10device_ptrIjEEEESE_PS5_SF_9comp_mod3IjEEE10hipError_tT0_T1_T2_T3_mRjT4_P12ihipStream_tbNS1_7vsmem_tEEUlT_E_NS1_11comp_targetILNS1_3genE5ELNS1_11target_archE942ELNS1_3gpuE9ELNS1_3repE0EEENS1_30default_config_static_selectorELNS0_4arch9wavefront6targetE0EEEvSK_.num_vgpr, 0
	.set _ZN7rocprim17ROCPRIM_400000_NS6detail17trampoline_kernelINS0_14default_configENS1_37merge_sort_block_sort_config_selectorIjNS0_10empty_typeEEEZNS1_21merge_sort_block_sortIS3_N6thrust23THRUST_200600_302600_NS6detail15normal_iteratorINS9_10device_ptrIjEEEESE_PS5_SF_9comp_mod3IjEEE10hipError_tT0_T1_T2_T3_mRjT4_P12ihipStream_tbNS1_7vsmem_tEEUlT_E_NS1_11comp_targetILNS1_3genE5ELNS1_11target_archE942ELNS1_3gpuE9ELNS1_3repE0EEENS1_30default_config_static_selectorELNS0_4arch9wavefront6targetE0EEEvSK_.num_agpr, 0
	.set _ZN7rocprim17ROCPRIM_400000_NS6detail17trampoline_kernelINS0_14default_configENS1_37merge_sort_block_sort_config_selectorIjNS0_10empty_typeEEEZNS1_21merge_sort_block_sortIS3_N6thrust23THRUST_200600_302600_NS6detail15normal_iteratorINS9_10device_ptrIjEEEESE_PS5_SF_9comp_mod3IjEEE10hipError_tT0_T1_T2_T3_mRjT4_P12ihipStream_tbNS1_7vsmem_tEEUlT_E_NS1_11comp_targetILNS1_3genE5ELNS1_11target_archE942ELNS1_3gpuE9ELNS1_3repE0EEENS1_30default_config_static_selectorELNS0_4arch9wavefront6targetE0EEEvSK_.numbered_sgpr, 0
	.set _ZN7rocprim17ROCPRIM_400000_NS6detail17trampoline_kernelINS0_14default_configENS1_37merge_sort_block_sort_config_selectorIjNS0_10empty_typeEEEZNS1_21merge_sort_block_sortIS3_N6thrust23THRUST_200600_302600_NS6detail15normal_iteratorINS9_10device_ptrIjEEEESE_PS5_SF_9comp_mod3IjEEE10hipError_tT0_T1_T2_T3_mRjT4_P12ihipStream_tbNS1_7vsmem_tEEUlT_E_NS1_11comp_targetILNS1_3genE5ELNS1_11target_archE942ELNS1_3gpuE9ELNS1_3repE0EEENS1_30default_config_static_selectorELNS0_4arch9wavefront6targetE0EEEvSK_.num_named_barrier, 0
	.set _ZN7rocprim17ROCPRIM_400000_NS6detail17trampoline_kernelINS0_14default_configENS1_37merge_sort_block_sort_config_selectorIjNS0_10empty_typeEEEZNS1_21merge_sort_block_sortIS3_N6thrust23THRUST_200600_302600_NS6detail15normal_iteratorINS9_10device_ptrIjEEEESE_PS5_SF_9comp_mod3IjEEE10hipError_tT0_T1_T2_T3_mRjT4_P12ihipStream_tbNS1_7vsmem_tEEUlT_E_NS1_11comp_targetILNS1_3genE5ELNS1_11target_archE942ELNS1_3gpuE9ELNS1_3repE0EEENS1_30default_config_static_selectorELNS0_4arch9wavefront6targetE0EEEvSK_.private_seg_size, 0
	.set _ZN7rocprim17ROCPRIM_400000_NS6detail17trampoline_kernelINS0_14default_configENS1_37merge_sort_block_sort_config_selectorIjNS0_10empty_typeEEEZNS1_21merge_sort_block_sortIS3_N6thrust23THRUST_200600_302600_NS6detail15normal_iteratorINS9_10device_ptrIjEEEESE_PS5_SF_9comp_mod3IjEEE10hipError_tT0_T1_T2_T3_mRjT4_P12ihipStream_tbNS1_7vsmem_tEEUlT_E_NS1_11comp_targetILNS1_3genE5ELNS1_11target_archE942ELNS1_3gpuE9ELNS1_3repE0EEENS1_30default_config_static_selectorELNS0_4arch9wavefront6targetE0EEEvSK_.uses_vcc, 0
	.set _ZN7rocprim17ROCPRIM_400000_NS6detail17trampoline_kernelINS0_14default_configENS1_37merge_sort_block_sort_config_selectorIjNS0_10empty_typeEEEZNS1_21merge_sort_block_sortIS3_N6thrust23THRUST_200600_302600_NS6detail15normal_iteratorINS9_10device_ptrIjEEEESE_PS5_SF_9comp_mod3IjEEE10hipError_tT0_T1_T2_T3_mRjT4_P12ihipStream_tbNS1_7vsmem_tEEUlT_E_NS1_11comp_targetILNS1_3genE5ELNS1_11target_archE942ELNS1_3gpuE9ELNS1_3repE0EEENS1_30default_config_static_selectorELNS0_4arch9wavefront6targetE0EEEvSK_.uses_flat_scratch, 0
	.set _ZN7rocprim17ROCPRIM_400000_NS6detail17trampoline_kernelINS0_14default_configENS1_37merge_sort_block_sort_config_selectorIjNS0_10empty_typeEEEZNS1_21merge_sort_block_sortIS3_N6thrust23THRUST_200600_302600_NS6detail15normal_iteratorINS9_10device_ptrIjEEEESE_PS5_SF_9comp_mod3IjEEE10hipError_tT0_T1_T2_T3_mRjT4_P12ihipStream_tbNS1_7vsmem_tEEUlT_E_NS1_11comp_targetILNS1_3genE5ELNS1_11target_archE942ELNS1_3gpuE9ELNS1_3repE0EEENS1_30default_config_static_selectorELNS0_4arch9wavefront6targetE0EEEvSK_.has_dyn_sized_stack, 0
	.set _ZN7rocprim17ROCPRIM_400000_NS6detail17trampoline_kernelINS0_14default_configENS1_37merge_sort_block_sort_config_selectorIjNS0_10empty_typeEEEZNS1_21merge_sort_block_sortIS3_N6thrust23THRUST_200600_302600_NS6detail15normal_iteratorINS9_10device_ptrIjEEEESE_PS5_SF_9comp_mod3IjEEE10hipError_tT0_T1_T2_T3_mRjT4_P12ihipStream_tbNS1_7vsmem_tEEUlT_E_NS1_11comp_targetILNS1_3genE5ELNS1_11target_archE942ELNS1_3gpuE9ELNS1_3repE0EEENS1_30default_config_static_selectorELNS0_4arch9wavefront6targetE0EEEvSK_.has_recursion, 0
	.set _ZN7rocprim17ROCPRIM_400000_NS6detail17trampoline_kernelINS0_14default_configENS1_37merge_sort_block_sort_config_selectorIjNS0_10empty_typeEEEZNS1_21merge_sort_block_sortIS3_N6thrust23THRUST_200600_302600_NS6detail15normal_iteratorINS9_10device_ptrIjEEEESE_PS5_SF_9comp_mod3IjEEE10hipError_tT0_T1_T2_T3_mRjT4_P12ihipStream_tbNS1_7vsmem_tEEUlT_E_NS1_11comp_targetILNS1_3genE5ELNS1_11target_archE942ELNS1_3gpuE9ELNS1_3repE0EEENS1_30default_config_static_selectorELNS0_4arch9wavefront6targetE0EEEvSK_.has_indirect_call, 0
	.section	.AMDGPU.csdata,"",@progbits
; Kernel info:
; codeLenInByte = 0
; TotalNumSgprs: 0
; NumVgprs: 0
; ScratchSize: 0
; MemoryBound: 0
; FloatMode: 240
; IeeeMode: 1
; LDSByteSize: 0 bytes/workgroup (compile time only)
; SGPRBlocks: 0
; VGPRBlocks: 0
; NumSGPRsForWavesPerEU: 1
; NumVGPRsForWavesPerEU: 1
; Occupancy: 16
; WaveLimiterHint : 0
; COMPUTE_PGM_RSRC2:SCRATCH_EN: 0
; COMPUTE_PGM_RSRC2:USER_SGPR: 6
; COMPUTE_PGM_RSRC2:TRAP_HANDLER: 0
; COMPUTE_PGM_RSRC2:TGID_X_EN: 1
; COMPUTE_PGM_RSRC2:TGID_Y_EN: 0
; COMPUTE_PGM_RSRC2:TGID_Z_EN: 0
; COMPUTE_PGM_RSRC2:TIDIG_COMP_CNT: 0
	.section	.text._ZN7rocprim17ROCPRIM_400000_NS6detail17trampoline_kernelINS0_14default_configENS1_37merge_sort_block_sort_config_selectorIjNS0_10empty_typeEEEZNS1_21merge_sort_block_sortIS3_N6thrust23THRUST_200600_302600_NS6detail15normal_iteratorINS9_10device_ptrIjEEEESE_PS5_SF_9comp_mod3IjEEE10hipError_tT0_T1_T2_T3_mRjT4_P12ihipStream_tbNS1_7vsmem_tEEUlT_E_NS1_11comp_targetILNS1_3genE4ELNS1_11target_archE910ELNS1_3gpuE8ELNS1_3repE0EEENS1_30default_config_static_selectorELNS0_4arch9wavefront6targetE0EEEvSK_,"axG",@progbits,_ZN7rocprim17ROCPRIM_400000_NS6detail17trampoline_kernelINS0_14default_configENS1_37merge_sort_block_sort_config_selectorIjNS0_10empty_typeEEEZNS1_21merge_sort_block_sortIS3_N6thrust23THRUST_200600_302600_NS6detail15normal_iteratorINS9_10device_ptrIjEEEESE_PS5_SF_9comp_mod3IjEEE10hipError_tT0_T1_T2_T3_mRjT4_P12ihipStream_tbNS1_7vsmem_tEEUlT_E_NS1_11comp_targetILNS1_3genE4ELNS1_11target_archE910ELNS1_3gpuE8ELNS1_3repE0EEENS1_30default_config_static_selectorELNS0_4arch9wavefront6targetE0EEEvSK_,comdat
	.protected	_ZN7rocprim17ROCPRIM_400000_NS6detail17trampoline_kernelINS0_14default_configENS1_37merge_sort_block_sort_config_selectorIjNS0_10empty_typeEEEZNS1_21merge_sort_block_sortIS3_N6thrust23THRUST_200600_302600_NS6detail15normal_iteratorINS9_10device_ptrIjEEEESE_PS5_SF_9comp_mod3IjEEE10hipError_tT0_T1_T2_T3_mRjT4_P12ihipStream_tbNS1_7vsmem_tEEUlT_E_NS1_11comp_targetILNS1_3genE4ELNS1_11target_archE910ELNS1_3gpuE8ELNS1_3repE0EEENS1_30default_config_static_selectorELNS0_4arch9wavefront6targetE0EEEvSK_ ; -- Begin function _ZN7rocprim17ROCPRIM_400000_NS6detail17trampoline_kernelINS0_14default_configENS1_37merge_sort_block_sort_config_selectorIjNS0_10empty_typeEEEZNS1_21merge_sort_block_sortIS3_N6thrust23THRUST_200600_302600_NS6detail15normal_iteratorINS9_10device_ptrIjEEEESE_PS5_SF_9comp_mod3IjEEE10hipError_tT0_T1_T2_T3_mRjT4_P12ihipStream_tbNS1_7vsmem_tEEUlT_E_NS1_11comp_targetILNS1_3genE4ELNS1_11target_archE910ELNS1_3gpuE8ELNS1_3repE0EEENS1_30default_config_static_selectorELNS0_4arch9wavefront6targetE0EEEvSK_
	.globl	_ZN7rocprim17ROCPRIM_400000_NS6detail17trampoline_kernelINS0_14default_configENS1_37merge_sort_block_sort_config_selectorIjNS0_10empty_typeEEEZNS1_21merge_sort_block_sortIS3_N6thrust23THRUST_200600_302600_NS6detail15normal_iteratorINS9_10device_ptrIjEEEESE_PS5_SF_9comp_mod3IjEEE10hipError_tT0_T1_T2_T3_mRjT4_P12ihipStream_tbNS1_7vsmem_tEEUlT_E_NS1_11comp_targetILNS1_3genE4ELNS1_11target_archE910ELNS1_3gpuE8ELNS1_3repE0EEENS1_30default_config_static_selectorELNS0_4arch9wavefront6targetE0EEEvSK_
	.p2align	8
	.type	_ZN7rocprim17ROCPRIM_400000_NS6detail17trampoline_kernelINS0_14default_configENS1_37merge_sort_block_sort_config_selectorIjNS0_10empty_typeEEEZNS1_21merge_sort_block_sortIS3_N6thrust23THRUST_200600_302600_NS6detail15normal_iteratorINS9_10device_ptrIjEEEESE_PS5_SF_9comp_mod3IjEEE10hipError_tT0_T1_T2_T3_mRjT4_P12ihipStream_tbNS1_7vsmem_tEEUlT_E_NS1_11comp_targetILNS1_3genE4ELNS1_11target_archE910ELNS1_3gpuE8ELNS1_3repE0EEENS1_30default_config_static_selectorELNS0_4arch9wavefront6targetE0EEEvSK_,@function
_ZN7rocprim17ROCPRIM_400000_NS6detail17trampoline_kernelINS0_14default_configENS1_37merge_sort_block_sort_config_selectorIjNS0_10empty_typeEEEZNS1_21merge_sort_block_sortIS3_N6thrust23THRUST_200600_302600_NS6detail15normal_iteratorINS9_10device_ptrIjEEEESE_PS5_SF_9comp_mod3IjEEE10hipError_tT0_T1_T2_T3_mRjT4_P12ihipStream_tbNS1_7vsmem_tEEUlT_E_NS1_11comp_targetILNS1_3genE4ELNS1_11target_archE910ELNS1_3gpuE8ELNS1_3repE0EEENS1_30default_config_static_selectorELNS0_4arch9wavefront6targetE0EEEvSK_: ; @_ZN7rocprim17ROCPRIM_400000_NS6detail17trampoline_kernelINS0_14default_configENS1_37merge_sort_block_sort_config_selectorIjNS0_10empty_typeEEEZNS1_21merge_sort_block_sortIS3_N6thrust23THRUST_200600_302600_NS6detail15normal_iteratorINS9_10device_ptrIjEEEESE_PS5_SF_9comp_mod3IjEEE10hipError_tT0_T1_T2_T3_mRjT4_P12ihipStream_tbNS1_7vsmem_tEEUlT_E_NS1_11comp_targetILNS1_3genE4ELNS1_11target_archE910ELNS1_3gpuE8ELNS1_3repE0EEENS1_30default_config_static_selectorELNS0_4arch9wavefront6targetE0EEEvSK_
; %bb.0:
	.section	.rodata,"a",@progbits
	.p2align	6, 0x0
	.amdhsa_kernel _ZN7rocprim17ROCPRIM_400000_NS6detail17trampoline_kernelINS0_14default_configENS1_37merge_sort_block_sort_config_selectorIjNS0_10empty_typeEEEZNS1_21merge_sort_block_sortIS3_N6thrust23THRUST_200600_302600_NS6detail15normal_iteratorINS9_10device_ptrIjEEEESE_PS5_SF_9comp_mod3IjEEE10hipError_tT0_T1_T2_T3_mRjT4_P12ihipStream_tbNS1_7vsmem_tEEUlT_E_NS1_11comp_targetILNS1_3genE4ELNS1_11target_archE910ELNS1_3gpuE8ELNS1_3repE0EEENS1_30default_config_static_selectorELNS0_4arch9wavefront6targetE0EEEvSK_
		.amdhsa_group_segment_fixed_size 0
		.amdhsa_private_segment_fixed_size 0
		.amdhsa_kernarg_size 64
		.amdhsa_user_sgpr_count 6
		.amdhsa_user_sgpr_private_segment_buffer 1
		.amdhsa_user_sgpr_dispatch_ptr 0
		.amdhsa_user_sgpr_queue_ptr 0
		.amdhsa_user_sgpr_kernarg_segment_ptr 1
		.amdhsa_user_sgpr_dispatch_id 0
		.amdhsa_user_sgpr_flat_scratch_init 0
		.amdhsa_user_sgpr_private_segment_size 0
		.amdhsa_wavefront_size32 1
		.amdhsa_uses_dynamic_stack 0
		.amdhsa_system_sgpr_private_segment_wavefront_offset 0
		.amdhsa_system_sgpr_workgroup_id_x 1
		.amdhsa_system_sgpr_workgroup_id_y 0
		.amdhsa_system_sgpr_workgroup_id_z 0
		.amdhsa_system_sgpr_workgroup_info 0
		.amdhsa_system_vgpr_workitem_id 0
		.amdhsa_next_free_vgpr 1
		.amdhsa_next_free_sgpr 1
		.amdhsa_reserve_vcc 0
		.amdhsa_reserve_flat_scratch 0
		.amdhsa_float_round_mode_32 0
		.amdhsa_float_round_mode_16_64 0
		.amdhsa_float_denorm_mode_32 3
		.amdhsa_float_denorm_mode_16_64 3
		.amdhsa_dx10_clamp 1
		.amdhsa_ieee_mode 1
		.amdhsa_fp16_overflow 0
		.amdhsa_workgroup_processor_mode 1
		.amdhsa_memory_ordered 1
		.amdhsa_forward_progress 1
		.amdhsa_shared_vgpr_count 0
		.amdhsa_exception_fp_ieee_invalid_op 0
		.amdhsa_exception_fp_denorm_src 0
		.amdhsa_exception_fp_ieee_div_zero 0
		.amdhsa_exception_fp_ieee_overflow 0
		.amdhsa_exception_fp_ieee_underflow 0
		.amdhsa_exception_fp_ieee_inexact 0
		.amdhsa_exception_int_div_zero 0
	.end_amdhsa_kernel
	.section	.text._ZN7rocprim17ROCPRIM_400000_NS6detail17trampoline_kernelINS0_14default_configENS1_37merge_sort_block_sort_config_selectorIjNS0_10empty_typeEEEZNS1_21merge_sort_block_sortIS3_N6thrust23THRUST_200600_302600_NS6detail15normal_iteratorINS9_10device_ptrIjEEEESE_PS5_SF_9comp_mod3IjEEE10hipError_tT0_T1_T2_T3_mRjT4_P12ihipStream_tbNS1_7vsmem_tEEUlT_E_NS1_11comp_targetILNS1_3genE4ELNS1_11target_archE910ELNS1_3gpuE8ELNS1_3repE0EEENS1_30default_config_static_selectorELNS0_4arch9wavefront6targetE0EEEvSK_,"axG",@progbits,_ZN7rocprim17ROCPRIM_400000_NS6detail17trampoline_kernelINS0_14default_configENS1_37merge_sort_block_sort_config_selectorIjNS0_10empty_typeEEEZNS1_21merge_sort_block_sortIS3_N6thrust23THRUST_200600_302600_NS6detail15normal_iteratorINS9_10device_ptrIjEEEESE_PS5_SF_9comp_mod3IjEEE10hipError_tT0_T1_T2_T3_mRjT4_P12ihipStream_tbNS1_7vsmem_tEEUlT_E_NS1_11comp_targetILNS1_3genE4ELNS1_11target_archE910ELNS1_3gpuE8ELNS1_3repE0EEENS1_30default_config_static_selectorELNS0_4arch9wavefront6targetE0EEEvSK_,comdat
.Lfunc_end809:
	.size	_ZN7rocprim17ROCPRIM_400000_NS6detail17trampoline_kernelINS0_14default_configENS1_37merge_sort_block_sort_config_selectorIjNS0_10empty_typeEEEZNS1_21merge_sort_block_sortIS3_N6thrust23THRUST_200600_302600_NS6detail15normal_iteratorINS9_10device_ptrIjEEEESE_PS5_SF_9comp_mod3IjEEE10hipError_tT0_T1_T2_T3_mRjT4_P12ihipStream_tbNS1_7vsmem_tEEUlT_E_NS1_11comp_targetILNS1_3genE4ELNS1_11target_archE910ELNS1_3gpuE8ELNS1_3repE0EEENS1_30default_config_static_selectorELNS0_4arch9wavefront6targetE0EEEvSK_, .Lfunc_end809-_ZN7rocprim17ROCPRIM_400000_NS6detail17trampoline_kernelINS0_14default_configENS1_37merge_sort_block_sort_config_selectorIjNS0_10empty_typeEEEZNS1_21merge_sort_block_sortIS3_N6thrust23THRUST_200600_302600_NS6detail15normal_iteratorINS9_10device_ptrIjEEEESE_PS5_SF_9comp_mod3IjEEE10hipError_tT0_T1_T2_T3_mRjT4_P12ihipStream_tbNS1_7vsmem_tEEUlT_E_NS1_11comp_targetILNS1_3genE4ELNS1_11target_archE910ELNS1_3gpuE8ELNS1_3repE0EEENS1_30default_config_static_selectorELNS0_4arch9wavefront6targetE0EEEvSK_
                                        ; -- End function
	.set _ZN7rocprim17ROCPRIM_400000_NS6detail17trampoline_kernelINS0_14default_configENS1_37merge_sort_block_sort_config_selectorIjNS0_10empty_typeEEEZNS1_21merge_sort_block_sortIS3_N6thrust23THRUST_200600_302600_NS6detail15normal_iteratorINS9_10device_ptrIjEEEESE_PS5_SF_9comp_mod3IjEEE10hipError_tT0_T1_T2_T3_mRjT4_P12ihipStream_tbNS1_7vsmem_tEEUlT_E_NS1_11comp_targetILNS1_3genE4ELNS1_11target_archE910ELNS1_3gpuE8ELNS1_3repE0EEENS1_30default_config_static_selectorELNS0_4arch9wavefront6targetE0EEEvSK_.num_vgpr, 0
	.set _ZN7rocprim17ROCPRIM_400000_NS6detail17trampoline_kernelINS0_14default_configENS1_37merge_sort_block_sort_config_selectorIjNS0_10empty_typeEEEZNS1_21merge_sort_block_sortIS3_N6thrust23THRUST_200600_302600_NS6detail15normal_iteratorINS9_10device_ptrIjEEEESE_PS5_SF_9comp_mod3IjEEE10hipError_tT0_T1_T2_T3_mRjT4_P12ihipStream_tbNS1_7vsmem_tEEUlT_E_NS1_11comp_targetILNS1_3genE4ELNS1_11target_archE910ELNS1_3gpuE8ELNS1_3repE0EEENS1_30default_config_static_selectorELNS0_4arch9wavefront6targetE0EEEvSK_.num_agpr, 0
	.set _ZN7rocprim17ROCPRIM_400000_NS6detail17trampoline_kernelINS0_14default_configENS1_37merge_sort_block_sort_config_selectorIjNS0_10empty_typeEEEZNS1_21merge_sort_block_sortIS3_N6thrust23THRUST_200600_302600_NS6detail15normal_iteratorINS9_10device_ptrIjEEEESE_PS5_SF_9comp_mod3IjEEE10hipError_tT0_T1_T2_T3_mRjT4_P12ihipStream_tbNS1_7vsmem_tEEUlT_E_NS1_11comp_targetILNS1_3genE4ELNS1_11target_archE910ELNS1_3gpuE8ELNS1_3repE0EEENS1_30default_config_static_selectorELNS0_4arch9wavefront6targetE0EEEvSK_.numbered_sgpr, 0
	.set _ZN7rocprim17ROCPRIM_400000_NS6detail17trampoline_kernelINS0_14default_configENS1_37merge_sort_block_sort_config_selectorIjNS0_10empty_typeEEEZNS1_21merge_sort_block_sortIS3_N6thrust23THRUST_200600_302600_NS6detail15normal_iteratorINS9_10device_ptrIjEEEESE_PS5_SF_9comp_mod3IjEEE10hipError_tT0_T1_T2_T3_mRjT4_P12ihipStream_tbNS1_7vsmem_tEEUlT_E_NS1_11comp_targetILNS1_3genE4ELNS1_11target_archE910ELNS1_3gpuE8ELNS1_3repE0EEENS1_30default_config_static_selectorELNS0_4arch9wavefront6targetE0EEEvSK_.num_named_barrier, 0
	.set _ZN7rocprim17ROCPRIM_400000_NS6detail17trampoline_kernelINS0_14default_configENS1_37merge_sort_block_sort_config_selectorIjNS0_10empty_typeEEEZNS1_21merge_sort_block_sortIS3_N6thrust23THRUST_200600_302600_NS6detail15normal_iteratorINS9_10device_ptrIjEEEESE_PS5_SF_9comp_mod3IjEEE10hipError_tT0_T1_T2_T3_mRjT4_P12ihipStream_tbNS1_7vsmem_tEEUlT_E_NS1_11comp_targetILNS1_3genE4ELNS1_11target_archE910ELNS1_3gpuE8ELNS1_3repE0EEENS1_30default_config_static_selectorELNS0_4arch9wavefront6targetE0EEEvSK_.private_seg_size, 0
	.set _ZN7rocprim17ROCPRIM_400000_NS6detail17trampoline_kernelINS0_14default_configENS1_37merge_sort_block_sort_config_selectorIjNS0_10empty_typeEEEZNS1_21merge_sort_block_sortIS3_N6thrust23THRUST_200600_302600_NS6detail15normal_iteratorINS9_10device_ptrIjEEEESE_PS5_SF_9comp_mod3IjEEE10hipError_tT0_T1_T2_T3_mRjT4_P12ihipStream_tbNS1_7vsmem_tEEUlT_E_NS1_11comp_targetILNS1_3genE4ELNS1_11target_archE910ELNS1_3gpuE8ELNS1_3repE0EEENS1_30default_config_static_selectorELNS0_4arch9wavefront6targetE0EEEvSK_.uses_vcc, 0
	.set _ZN7rocprim17ROCPRIM_400000_NS6detail17trampoline_kernelINS0_14default_configENS1_37merge_sort_block_sort_config_selectorIjNS0_10empty_typeEEEZNS1_21merge_sort_block_sortIS3_N6thrust23THRUST_200600_302600_NS6detail15normal_iteratorINS9_10device_ptrIjEEEESE_PS5_SF_9comp_mod3IjEEE10hipError_tT0_T1_T2_T3_mRjT4_P12ihipStream_tbNS1_7vsmem_tEEUlT_E_NS1_11comp_targetILNS1_3genE4ELNS1_11target_archE910ELNS1_3gpuE8ELNS1_3repE0EEENS1_30default_config_static_selectorELNS0_4arch9wavefront6targetE0EEEvSK_.uses_flat_scratch, 0
	.set _ZN7rocprim17ROCPRIM_400000_NS6detail17trampoline_kernelINS0_14default_configENS1_37merge_sort_block_sort_config_selectorIjNS0_10empty_typeEEEZNS1_21merge_sort_block_sortIS3_N6thrust23THRUST_200600_302600_NS6detail15normal_iteratorINS9_10device_ptrIjEEEESE_PS5_SF_9comp_mod3IjEEE10hipError_tT0_T1_T2_T3_mRjT4_P12ihipStream_tbNS1_7vsmem_tEEUlT_E_NS1_11comp_targetILNS1_3genE4ELNS1_11target_archE910ELNS1_3gpuE8ELNS1_3repE0EEENS1_30default_config_static_selectorELNS0_4arch9wavefront6targetE0EEEvSK_.has_dyn_sized_stack, 0
	.set _ZN7rocprim17ROCPRIM_400000_NS6detail17trampoline_kernelINS0_14default_configENS1_37merge_sort_block_sort_config_selectorIjNS0_10empty_typeEEEZNS1_21merge_sort_block_sortIS3_N6thrust23THRUST_200600_302600_NS6detail15normal_iteratorINS9_10device_ptrIjEEEESE_PS5_SF_9comp_mod3IjEEE10hipError_tT0_T1_T2_T3_mRjT4_P12ihipStream_tbNS1_7vsmem_tEEUlT_E_NS1_11comp_targetILNS1_3genE4ELNS1_11target_archE910ELNS1_3gpuE8ELNS1_3repE0EEENS1_30default_config_static_selectorELNS0_4arch9wavefront6targetE0EEEvSK_.has_recursion, 0
	.set _ZN7rocprim17ROCPRIM_400000_NS6detail17trampoline_kernelINS0_14default_configENS1_37merge_sort_block_sort_config_selectorIjNS0_10empty_typeEEEZNS1_21merge_sort_block_sortIS3_N6thrust23THRUST_200600_302600_NS6detail15normal_iteratorINS9_10device_ptrIjEEEESE_PS5_SF_9comp_mod3IjEEE10hipError_tT0_T1_T2_T3_mRjT4_P12ihipStream_tbNS1_7vsmem_tEEUlT_E_NS1_11comp_targetILNS1_3genE4ELNS1_11target_archE910ELNS1_3gpuE8ELNS1_3repE0EEENS1_30default_config_static_selectorELNS0_4arch9wavefront6targetE0EEEvSK_.has_indirect_call, 0
	.section	.AMDGPU.csdata,"",@progbits
; Kernel info:
; codeLenInByte = 0
; TotalNumSgprs: 0
; NumVgprs: 0
; ScratchSize: 0
; MemoryBound: 0
; FloatMode: 240
; IeeeMode: 1
; LDSByteSize: 0 bytes/workgroup (compile time only)
; SGPRBlocks: 0
; VGPRBlocks: 0
; NumSGPRsForWavesPerEU: 1
; NumVGPRsForWavesPerEU: 1
; Occupancy: 16
; WaveLimiterHint : 0
; COMPUTE_PGM_RSRC2:SCRATCH_EN: 0
; COMPUTE_PGM_RSRC2:USER_SGPR: 6
; COMPUTE_PGM_RSRC2:TRAP_HANDLER: 0
; COMPUTE_PGM_RSRC2:TGID_X_EN: 1
; COMPUTE_PGM_RSRC2:TGID_Y_EN: 0
; COMPUTE_PGM_RSRC2:TGID_Z_EN: 0
; COMPUTE_PGM_RSRC2:TIDIG_COMP_CNT: 0
	.section	.text._ZN7rocprim17ROCPRIM_400000_NS6detail17trampoline_kernelINS0_14default_configENS1_37merge_sort_block_sort_config_selectorIjNS0_10empty_typeEEEZNS1_21merge_sort_block_sortIS3_N6thrust23THRUST_200600_302600_NS6detail15normal_iteratorINS9_10device_ptrIjEEEESE_PS5_SF_9comp_mod3IjEEE10hipError_tT0_T1_T2_T3_mRjT4_P12ihipStream_tbNS1_7vsmem_tEEUlT_E_NS1_11comp_targetILNS1_3genE3ELNS1_11target_archE908ELNS1_3gpuE7ELNS1_3repE0EEENS1_30default_config_static_selectorELNS0_4arch9wavefront6targetE0EEEvSK_,"axG",@progbits,_ZN7rocprim17ROCPRIM_400000_NS6detail17trampoline_kernelINS0_14default_configENS1_37merge_sort_block_sort_config_selectorIjNS0_10empty_typeEEEZNS1_21merge_sort_block_sortIS3_N6thrust23THRUST_200600_302600_NS6detail15normal_iteratorINS9_10device_ptrIjEEEESE_PS5_SF_9comp_mod3IjEEE10hipError_tT0_T1_T2_T3_mRjT4_P12ihipStream_tbNS1_7vsmem_tEEUlT_E_NS1_11comp_targetILNS1_3genE3ELNS1_11target_archE908ELNS1_3gpuE7ELNS1_3repE0EEENS1_30default_config_static_selectorELNS0_4arch9wavefront6targetE0EEEvSK_,comdat
	.protected	_ZN7rocprim17ROCPRIM_400000_NS6detail17trampoline_kernelINS0_14default_configENS1_37merge_sort_block_sort_config_selectorIjNS0_10empty_typeEEEZNS1_21merge_sort_block_sortIS3_N6thrust23THRUST_200600_302600_NS6detail15normal_iteratorINS9_10device_ptrIjEEEESE_PS5_SF_9comp_mod3IjEEE10hipError_tT0_T1_T2_T3_mRjT4_P12ihipStream_tbNS1_7vsmem_tEEUlT_E_NS1_11comp_targetILNS1_3genE3ELNS1_11target_archE908ELNS1_3gpuE7ELNS1_3repE0EEENS1_30default_config_static_selectorELNS0_4arch9wavefront6targetE0EEEvSK_ ; -- Begin function _ZN7rocprim17ROCPRIM_400000_NS6detail17trampoline_kernelINS0_14default_configENS1_37merge_sort_block_sort_config_selectorIjNS0_10empty_typeEEEZNS1_21merge_sort_block_sortIS3_N6thrust23THRUST_200600_302600_NS6detail15normal_iteratorINS9_10device_ptrIjEEEESE_PS5_SF_9comp_mod3IjEEE10hipError_tT0_T1_T2_T3_mRjT4_P12ihipStream_tbNS1_7vsmem_tEEUlT_E_NS1_11comp_targetILNS1_3genE3ELNS1_11target_archE908ELNS1_3gpuE7ELNS1_3repE0EEENS1_30default_config_static_selectorELNS0_4arch9wavefront6targetE0EEEvSK_
	.globl	_ZN7rocprim17ROCPRIM_400000_NS6detail17trampoline_kernelINS0_14default_configENS1_37merge_sort_block_sort_config_selectorIjNS0_10empty_typeEEEZNS1_21merge_sort_block_sortIS3_N6thrust23THRUST_200600_302600_NS6detail15normal_iteratorINS9_10device_ptrIjEEEESE_PS5_SF_9comp_mod3IjEEE10hipError_tT0_T1_T2_T3_mRjT4_P12ihipStream_tbNS1_7vsmem_tEEUlT_E_NS1_11comp_targetILNS1_3genE3ELNS1_11target_archE908ELNS1_3gpuE7ELNS1_3repE0EEENS1_30default_config_static_selectorELNS0_4arch9wavefront6targetE0EEEvSK_
	.p2align	8
	.type	_ZN7rocprim17ROCPRIM_400000_NS6detail17trampoline_kernelINS0_14default_configENS1_37merge_sort_block_sort_config_selectorIjNS0_10empty_typeEEEZNS1_21merge_sort_block_sortIS3_N6thrust23THRUST_200600_302600_NS6detail15normal_iteratorINS9_10device_ptrIjEEEESE_PS5_SF_9comp_mod3IjEEE10hipError_tT0_T1_T2_T3_mRjT4_P12ihipStream_tbNS1_7vsmem_tEEUlT_E_NS1_11comp_targetILNS1_3genE3ELNS1_11target_archE908ELNS1_3gpuE7ELNS1_3repE0EEENS1_30default_config_static_selectorELNS0_4arch9wavefront6targetE0EEEvSK_,@function
_ZN7rocprim17ROCPRIM_400000_NS6detail17trampoline_kernelINS0_14default_configENS1_37merge_sort_block_sort_config_selectorIjNS0_10empty_typeEEEZNS1_21merge_sort_block_sortIS3_N6thrust23THRUST_200600_302600_NS6detail15normal_iteratorINS9_10device_ptrIjEEEESE_PS5_SF_9comp_mod3IjEEE10hipError_tT0_T1_T2_T3_mRjT4_P12ihipStream_tbNS1_7vsmem_tEEUlT_E_NS1_11comp_targetILNS1_3genE3ELNS1_11target_archE908ELNS1_3gpuE7ELNS1_3repE0EEENS1_30default_config_static_selectorELNS0_4arch9wavefront6targetE0EEEvSK_: ; @_ZN7rocprim17ROCPRIM_400000_NS6detail17trampoline_kernelINS0_14default_configENS1_37merge_sort_block_sort_config_selectorIjNS0_10empty_typeEEEZNS1_21merge_sort_block_sortIS3_N6thrust23THRUST_200600_302600_NS6detail15normal_iteratorINS9_10device_ptrIjEEEESE_PS5_SF_9comp_mod3IjEEE10hipError_tT0_T1_T2_T3_mRjT4_P12ihipStream_tbNS1_7vsmem_tEEUlT_E_NS1_11comp_targetILNS1_3genE3ELNS1_11target_archE908ELNS1_3gpuE7ELNS1_3repE0EEENS1_30default_config_static_selectorELNS0_4arch9wavefront6targetE0EEEvSK_
; %bb.0:
	.section	.rodata,"a",@progbits
	.p2align	6, 0x0
	.amdhsa_kernel _ZN7rocprim17ROCPRIM_400000_NS6detail17trampoline_kernelINS0_14default_configENS1_37merge_sort_block_sort_config_selectorIjNS0_10empty_typeEEEZNS1_21merge_sort_block_sortIS3_N6thrust23THRUST_200600_302600_NS6detail15normal_iteratorINS9_10device_ptrIjEEEESE_PS5_SF_9comp_mod3IjEEE10hipError_tT0_T1_T2_T3_mRjT4_P12ihipStream_tbNS1_7vsmem_tEEUlT_E_NS1_11comp_targetILNS1_3genE3ELNS1_11target_archE908ELNS1_3gpuE7ELNS1_3repE0EEENS1_30default_config_static_selectorELNS0_4arch9wavefront6targetE0EEEvSK_
		.amdhsa_group_segment_fixed_size 0
		.amdhsa_private_segment_fixed_size 0
		.amdhsa_kernarg_size 64
		.amdhsa_user_sgpr_count 6
		.amdhsa_user_sgpr_private_segment_buffer 1
		.amdhsa_user_sgpr_dispatch_ptr 0
		.amdhsa_user_sgpr_queue_ptr 0
		.amdhsa_user_sgpr_kernarg_segment_ptr 1
		.amdhsa_user_sgpr_dispatch_id 0
		.amdhsa_user_sgpr_flat_scratch_init 0
		.amdhsa_user_sgpr_private_segment_size 0
		.amdhsa_wavefront_size32 1
		.amdhsa_uses_dynamic_stack 0
		.amdhsa_system_sgpr_private_segment_wavefront_offset 0
		.amdhsa_system_sgpr_workgroup_id_x 1
		.amdhsa_system_sgpr_workgroup_id_y 0
		.amdhsa_system_sgpr_workgroup_id_z 0
		.amdhsa_system_sgpr_workgroup_info 0
		.amdhsa_system_vgpr_workitem_id 0
		.amdhsa_next_free_vgpr 1
		.amdhsa_next_free_sgpr 1
		.amdhsa_reserve_vcc 0
		.amdhsa_reserve_flat_scratch 0
		.amdhsa_float_round_mode_32 0
		.amdhsa_float_round_mode_16_64 0
		.amdhsa_float_denorm_mode_32 3
		.amdhsa_float_denorm_mode_16_64 3
		.amdhsa_dx10_clamp 1
		.amdhsa_ieee_mode 1
		.amdhsa_fp16_overflow 0
		.amdhsa_workgroup_processor_mode 1
		.amdhsa_memory_ordered 1
		.amdhsa_forward_progress 1
		.amdhsa_shared_vgpr_count 0
		.amdhsa_exception_fp_ieee_invalid_op 0
		.amdhsa_exception_fp_denorm_src 0
		.amdhsa_exception_fp_ieee_div_zero 0
		.amdhsa_exception_fp_ieee_overflow 0
		.amdhsa_exception_fp_ieee_underflow 0
		.amdhsa_exception_fp_ieee_inexact 0
		.amdhsa_exception_int_div_zero 0
	.end_amdhsa_kernel
	.section	.text._ZN7rocprim17ROCPRIM_400000_NS6detail17trampoline_kernelINS0_14default_configENS1_37merge_sort_block_sort_config_selectorIjNS0_10empty_typeEEEZNS1_21merge_sort_block_sortIS3_N6thrust23THRUST_200600_302600_NS6detail15normal_iteratorINS9_10device_ptrIjEEEESE_PS5_SF_9comp_mod3IjEEE10hipError_tT0_T1_T2_T3_mRjT4_P12ihipStream_tbNS1_7vsmem_tEEUlT_E_NS1_11comp_targetILNS1_3genE3ELNS1_11target_archE908ELNS1_3gpuE7ELNS1_3repE0EEENS1_30default_config_static_selectorELNS0_4arch9wavefront6targetE0EEEvSK_,"axG",@progbits,_ZN7rocprim17ROCPRIM_400000_NS6detail17trampoline_kernelINS0_14default_configENS1_37merge_sort_block_sort_config_selectorIjNS0_10empty_typeEEEZNS1_21merge_sort_block_sortIS3_N6thrust23THRUST_200600_302600_NS6detail15normal_iteratorINS9_10device_ptrIjEEEESE_PS5_SF_9comp_mod3IjEEE10hipError_tT0_T1_T2_T3_mRjT4_P12ihipStream_tbNS1_7vsmem_tEEUlT_E_NS1_11comp_targetILNS1_3genE3ELNS1_11target_archE908ELNS1_3gpuE7ELNS1_3repE0EEENS1_30default_config_static_selectorELNS0_4arch9wavefront6targetE0EEEvSK_,comdat
.Lfunc_end810:
	.size	_ZN7rocprim17ROCPRIM_400000_NS6detail17trampoline_kernelINS0_14default_configENS1_37merge_sort_block_sort_config_selectorIjNS0_10empty_typeEEEZNS1_21merge_sort_block_sortIS3_N6thrust23THRUST_200600_302600_NS6detail15normal_iteratorINS9_10device_ptrIjEEEESE_PS5_SF_9comp_mod3IjEEE10hipError_tT0_T1_T2_T3_mRjT4_P12ihipStream_tbNS1_7vsmem_tEEUlT_E_NS1_11comp_targetILNS1_3genE3ELNS1_11target_archE908ELNS1_3gpuE7ELNS1_3repE0EEENS1_30default_config_static_selectorELNS0_4arch9wavefront6targetE0EEEvSK_, .Lfunc_end810-_ZN7rocprim17ROCPRIM_400000_NS6detail17trampoline_kernelINS0_14default_configENS1_37merge_sort_block_sort_config_selectorIjNS0_10empty_typeEEEZNS1_21merge_sort_block_sortIS3_N6thrust23THRUST_200600_302600_NS6detail15normal_iteratorINS9_10device_ptrIjEEEESE_PS5_SF_9comp_mod3IjEEE10hipError_tT0_T1_T2_T3_mRjT4_P12ihipStream_tbNS1_7vsmem_tEEUlT_E_NS1_11comp_targetILNS1_3genE3ELNS1_11target_archE908ELNS1_3gpuE7ELNS1_3repE0EEENS1_30default_config_static_selectorELNS0_4arch9wavefront6targetE0EEEvSK_
                                        ; -- End function
	.set _ZN7rocprim17ROCPRIM_400000_NS6detail17trampoline_kernelINS0_14default_configENS1_37merge_sort_block_sort_config_selectorIjNS0_10empty_typeEEEZNS1_21merge_sort_block_sortIS3_N6thrust23THRUST_200600_302600_NS6detail15normal_iteratorINS9_10device_ptrIjEEEESE_PS5_SF_9comp_mod3IjEEE10hipError_tT0_T1_T2_T3_mRjT4_P12ihipStream_tbNS1_7vsmem_tEEUlT_E_NS1_11comp_targetILNS1_3genE3ELNS1_11target_archE908ELNS1_3gpuE7ELNS1_3repE0EEENS1_30default_config_static_selectorELNS0_4arch9wavefront6targetE0EEEvSK_.num_vgpr, 0
	.set _ZN7rocprim17ROCPRIM_400000_NS6detail17trampoline_kernelINS0_14default_configENS1_37merge_sort_block_sort_config_selectorIjNS0_10empty_typeEEEZNS1_21merge_sort_block_sortIS3_N6thrust23THRUST_200600_302600_NS6detail15normal_iteratorINS9_10device_ptrIjEEEESE_PS5_SF_9comp_mod3IjEEE10hipError_tT0_T1_T2_T3_mRjT4_P12ihipStream_tbNS1_7vsmem_tEEUlT_E_NS1_11comp_targetILNS1_3genE3ELNS1_11target_archE908ELNS1_3gpuE7ELNS1_3repE0EEENS1_30default_config_static_selectorELNS0_4arch9wavefront6targetE0EEEvSK_.num_agpr, 0
	.set _ZN7rocprim17ROCPRIM_400000_NS6detail17trampoline_kernelINS0_14default_configENS1_37merge_sort_block_sort_config_selectorIjNS0_10empty_typeEEEZNS1_21merge_sort_block_sortIS3_N6thrust23THRUST_200600_302600_NS6detail15normal_iteratorINS9_10device_ptrIjEEEESE_PS5_SF_9comp_mod3IjEEE10hipError_tT0_T1_T2_T3_mRjT4_P12ihipStream_tbNS1_7vsmem_tEEUlT_E_NS1_11comp_targetILNS1_3genE3ELNS1_11target_archE908ELNS1_3gpuE7ELNS1_3repE0EEENS1_30default_config_static_selectorELNS0_4arch9wavefront6targetE0EEEvSK_.numbered_sgpr, 0
	.set _ZN7rocprim17ROCPRIM_400000_NS6detail17trampoline_kernelINS0_14default_configENS1_37merge_sort_block_sort_config_selectorIjNS0_10empty_typeEEEZNS1_21merge_sort_block_sortIS3_N6thrust23THRUST_200600_302600_NS6detail15normal_iteratorINS9_10device_ptrIjEEEESE_PS5_SF_9comp_mod3IjEEE10hipError_tT0_T1_T2_T3_mRjT4_P12ihipStream_tbNS1_7vsmem_tEEUlT_E_NS1_11comp_targetILNS1_3genE3ELNS1_11target_archE908ELNS1_3gpuE7ELNS1_3repE0EEENS1_30default_config_static_selectorELNS0_4arch9wavefront6targetE0EEEvSK_.num_named_barrier, 0
	.set _ZN7rocprim17ROCPRIM_400000_NS6detail17trampoline_kernelINS0_14default_configENS1_37merge_sort_block_sort_config_selectorIjNS0_10empty_typeEEEZNS1_21merge_sort_block_sortIS3_N6thrust23THRUST_200600_302600_NS6detail15normal_iteratorINS9_10device_ptrIjEEEESE_PS5_SF_9comp_mod3IjEEE10hipError_tT0_T1_T2_T3_mRjT4_P12ihipStream_tbNS1_7vsmem_tEEUlT_E_NS1_11comp_targetILNS1_3genE3ELNS1_11target_archE908ELNS1_3gpuE7ELNS1_3repE0EEENS1_30default_config_static_selectorELNS0_4arch9wavefront6targetE0EEEvSK_.private_seg_size, 0
	.set _ZN7rocprim17ROCPRIM_400000_NS6detail17trampoline_kernelINS0_14default_configENS1_37merge_sort_block_sort_config_selectorIjNS0_10empty_typeEEEZNS1_21merge_sort_block_sortIS3_N6thrust23THRUST_200600_302600_NS6detail15normal_iteratorINS9_10device_ptrIjEEEESE_PS5_SF_9comp_mod3IjEEE10hipError_tT0_T1_T2_T3_mRjT4_P12ihipStream_tbNS1_7vsmem_tEEUlT_E_NS1_11comp_targetILNS1_3genE3ELNS1_11target_archE908ELNS1_3gpuE7ELNS1_3repE0EEENS1_30default_config_static_selectorELNS0_4arch9wavefront6targetE0EEEvSK_.uses_vcc, 0
	.set _ZN7rocprim17ROCPRIM_400000_NS6detail17trampoline_kernelINS0_14default_configENS1_37merge_sort_block_sort_config_selectorIjNS0_10empty_typeEEEZNS1_21merge_sort_block_sortIS3_N6thrust23THRUST_200600_302600_NS6detail15normal_iteratorINS9_10device_ptrIjEEEESE_PS5_SF_9comp_mod3IjEEE10hipError_tT0_T1_T2_T3_mRjT4_P12ihipStream_tbNS1_7vsmem_tEEUlT_E_NS1_11comp_targetILNS1_3genE3ELNS1_11target_archE908ELNS1_3gpuE7ELNS1_3repE0EEENS1_30default_config_static_selectorELNS0_4arch9wavefront6targetE0EEEvSK_.uses_flat_scratch, 0
	.set _ZN7rocprim17ROCPRIM_400000_NS6detail17trampoline_kernelINS0_14default_configENS1_37merge_sort_block_sort_config_selectorIjNS0_10empty_typeEEEZNS1_21merge_sort_block_sortIS3_N6thrust23THRUST_200600_302600_NS6detail15normal_iteratorINS9_10device_ptrIjEEEESE_PS5_SF_9comp_mod3IjEEE10hipError_tT0_T1_T2_T3_mRjT4_P12ihipStream_tbNS1_7vsmem_tEEUlT_E_NS1_11comp_targetILNS1_3genE3ELNS1_11target_archE908ELNS1_3gpuE7ELNS1_3repE0EEENS1_30default_config_static_selectorELNS0_4arch9wavefront6targetE0EEEvSK_.has_dyn_sized_stack, 0
	.set _ZN7rocprim17ROCPRIM_400000_NS6detail17trampoline_kernelINS0_14default_configENS1_37merge_sort_block_sort_config_selectorIjNS0_10empty_typeEEEZNS1_21merge_sort_block_sortIS3_N6thrust23THRUST_200600_302600_NS6detail15normal_iteratorINS9_10device_ptrIjEEEESE_PS5_SF_9comp_mod3IjEEE10hipError_tT0_T1_T2_T3_mRjT4_P12ihipStream_tbNS1_7vsmem_tEEUlT_E_NS1_11comp_targetILNS1_3genE3ELNS1_11target_archE908ELNS1_3gpuE7ELNS1_3repE0EEENS1_30default_config_static_selectorELNS0_4arch9wavefront6targetE0EEEvSK_.has_recursion, 0
	.set _ZN7rocprim17ROCPRIM_400000_NS6detail17trampoline_kernelINS0_14default_configENS1_37merge_sort_block_sort_config_selectorIjNS0_10empty_typeEEEZNS1_21merge_sort_block_sortIS3_N6thrust23THRUST_200600_302600_NS6detail15normal_iteratorINS9_10device_ptrIjEEEESE_PS5_SF_9comp_mod3IjEEE10hipError_tT0_T1_T2_T3_mRjT4_P12ihipStream_tbNS1_7vsmem_tEEUlT_E_NS1_11comp_targetILNS1_3genE3ELNS1_11target_archE908ELNS1_3gpuE7ELNS1_3repE0EEENS1_30default_config_static_selectorELNS0_4arch9wavefront6targetE0EEEvSK_.has_indirect_call, 0
	.section	.AMDGPU.csdata,"",@progbits
; Kernel info:
; codeLenInByte = 0
; TotalNumSgprs: 0
; NumVgprs: 0
; ScratchSize: 0
; MemoryBound: 0
; FloatMode: 240
; IeeeMode: 1
; LDSByteSize: 0 bytes/workgroup (compile time only)
; SGPRBlocks: 0
; VGPRBlocks: 0
; NumSGPRsForWavesPerEU: 1
; NumVGPRsForWavesPerEU: 1
; Occupancy: 16
; WaveLimiterHint : 0
; COMPUTE_PGM_RSRC2:SCRATCH_EN: 0
; COMPUTE_PGM_RSRC2:USER_SGPR: 6
; COMPUTE_PGM_RSRC2:TRAP_HANDLER: 0
; COMPUTE_PGM_RSRC2:TGID_X_EN: 1
; COMPUTE_PGM_RSRC2:TGID_Y_EN: 0
; COMPUTE_PGM_RSRC2:TGID_Z_EN: 0
; COMPUTE_PGM_RSRC2:TIDIG_COMP_CNT: 0
	.section	.text._ZN7rocprim17ROCPRIM_400000_NS6detail17trampoline_kernelINS0_14default_configENS1_37merge_sort_block_sort_config_selectorIjNS0_10empty_typeEEEZNS1_21merge_sort_block_sortIS3_N6thrust23THRUST_200600_302600_NS6detail15normal_iteratorINS9_10device_ptrIjEEEESE_PS5_SF_9comp_mod3IjEEE10hipError_tT0_T1_T2_T3_mRjT4_P12ihipStream_tbNS1_7vsmem_tEEUlT_E_NS1_11comp_targetILNS1_3genE2ELNS1_11target_archE906ELNS1_3gpuE6ELNS1_3repE0EEENS1_30default_config_static_selectorELNS0_4arch9wavefront6targetE0EEEvSK_,"axG",@progbits,_ZN7rocprim17ROCPRIM_400000_NS6detail17trampoline_kernelINS0_14default_configENS1_37merge_sort_block_sort_config_selectorIjNS0_10empty_typeEEEZNS1_21merge_sort_block_sortIS3_N6thrust23THRUST_200600_302600_NS6detail15normal_iteratorINS9_10device_ptrIjEEEESE_PS5_SF_9comp_mod3IjEEE10hipError_tT0_T1_T2_T3_mRjT4_P12ihipStream_tbNS1_7vsmem_tEEUlT_E_NS1_11comp_targetILNS1_3genE2ELNS1_11target_archE906ELNS1_3gpuE6ELNS1_3repE0EEENS1_30default_config_static_selectorELNS0_4arch9wavefront6targetE0EEEvSK_,comdat
	.protected	_ZN7rocprim17ROCPRIM_400000_NS6detail17trampoline_kernelINS0_14default_configENS1_37merge_sort_block_sort_config_selectorIjNS0_10empty_typeEEEZNS1_21merge_sort_block_sortIS3_N6thrust23THRUST_200600_302600_NS6detail15normal_iteratorINS9_10device_ptrIjEEEESE_PS5_SF_9comp_mod3IjEEE10hipError_tT0_T1_T2_T3_mRjT4_P12ihipStream_tbNS1_7vsmem_tEEUlT_E_NS1_11comp_targetILNS1_3genE2ELNS1_11target_archE906ELNS1_3gpuE6ELNS1_3repE0EEENS1_30default_config_static_selectorELNS0_4arch9wavefront6targetE0EEEvSK_ ; -- Begin function _ZN7rocprim17ROCPRIM_400000_NS6detail17trampoline_kernelINS0_14default_configENS1_37merge_sort_block_sort_config_selectorIjNS0_10empty_typeEEEZNS1_21merge_sort_block_sortIS3_N6thrust23THRUST_200600_302600_NS6detail15normal_iteratorINS9_10device_ptrIjEEEESE_PS5_SF_9comp_mod3IjEEE10hipError_tT0_T1_T2_T3_mRjT4_P12ihipStream_tbNS1_7vsmem_tEEUlT_E_NS1_11comp_targetILNS1_3genE2ELNS1_11target_archE906ELNS1_3gpuE6ELNS1_3repE0EEENS1_30default_config_static_selectorELNS0_4arch9wavefront6targetE0EEEvSK_
	.globl	_ZN7rocprim17ROCPRIM_400000_NS6detail17trampoline_kernelINS0_14default_configENS1_37merge_sort_block_sort_config_selectorIjNS0_10empty_typeEEEZNS1_21merge_sort_block_sortIS3_N6thrust23THRUST_200600_302600_NS6detail15normal_iteratorINS9_10device_ptrIjEEEESE_PS5_SF_9comp_mod3IjEEE10hipError_tT0_T1_T2_T3_mRjT4_P12ihipStream_tbNS1_7vsmem_tEEUlT_E_NS1_11comp_targetILNS1_3genE2ELNS1_11target_archE906ELNS1_3gpuE6ELNS1_3repE0EEENS1_30default_config_static_selectorELNS0_4arch9wavefront6targetE0EEEvSK_
	.p2align	8
	.type	_ZN7rocprim17ROCPRIM_400000_NS6detail17trampoline_kernelINS0_14default_configENS1_37merge_sort_block_sort_config_selectorIjNS0_10empty_typeEEEZNS1_21merge_sort_block_sortIS3_N6thrust23THRUST_200600_302600_NS6detail15normal_iteratorINS9_10device_ptrIjEEEESE_PS5_SF_9comp_mod3IjEEE10hipError_tT0_T1_T2_T3_mRjT4_P12ihipStream_tbNS1_7vsmem_tEEUlT_E_NS1_11comp_targetILNS1_3genE2ELNS1_11target_archE906ELNS1_3gpuE6ELNS1_3repE0EEENS1_30default_config_static_selectorELNS0_4arch9wavefront6targetE0EEEvSK_,@function
_ZN7rocprim17ROCPRIM_400000_NS6detail17trampoline_kernelINS0_14default_configENS1_37merge_sort_block_sort_config_selectorIjNS0_10empty_typeEEEZNS1_21merge_sort_block_sortIS3_N6thrust23THRUST_200600_302600_NS6detail15normal_iteratorINS9_10device_ptrIjEEEESE_PS5_SF_9comp_mod3IjEEE10hipError_tT0_T1_T2_T3_mRjT4_P12ihipStream_tbNS1_7vsmem_tEEUlT_E_NS1_11comp_targetILNS1_3genE2ELNS1_11target_archE906ELNS1_3gpuE6ELNS1_3repE0EEENS1_30default_config_static_selectorELNS0_4arch9wavefront6targetE0EEEvSK_: ; @_ZN7rocprim17ROCPRIM_400000_NS6detail17trampoline_kernelINS0_14default_configENS1_37merge_sort_block_sort_config_selectorIjNS0_10empty_typeEEEZNS1_21merge_sort_block_sortIS3_N6thrust23THRUST_200600_302600_NS6detail15normal_iteratorINS9_10device_ptrIjEEEESE_PS5_SF_9comp_mod3IjEEE10hipError_tT0_T1_T2_T3_mRjT4_P12ihipStream_tbNS1_7vsmem_tEEUlT_E_NS1_11comp_targetILNS1_3genE2ELNS1_11target_archE906ELNS1_3gpuE6ELNS1_3repE0EEENS1_30default_config_static_selectorELNS0_4arch9wavefront6targetE0EEEvSK_
; %bb.0:
	.section	.rodata,"a",@progbits
	.p2align	6, 0x0
	.amdhsa_kernel _ZN7rocprim17ROCPRIM_400000_NS6detail17trampoline_kernelINS0_14default_configENS1_37merge_sort_block_sort_config_selectorIjNS0_10empty_typeEEEZNS1_21merge_sort_block_sortIS3_N6thrust23THRUST_200600_302600_NS6detail15normal_iteratorINS9_10device_ptrIjEEEESE_PS5_SF_9comp_mod3IjEEE10hipError_tT0_T1_T2_T3_mRjT4_P12ihipStream_tbNS1_7vsmem_tEEUlT_E_NS1_11comp_targetILNS1_3genE2ELNS1_11target_archE906ELNS1_3gpuE6ELNS1_3repE0EEENS1_30default_config_static_selectorELNS0_4arch9wavefront6targetE0EEEvSK_
		.amdhsa_group_segment_fixed_size 0
		.amdhsa_private_segment_fixed_size 0
		.amdhsa_kernarg_size 64
		.amdhsa_user_sgpr_count 6
		.amdhsa_user_sgpr_private_segment_buffer 1
		.amdhsa_user_sgpr_dispatch_ptr 0
		.amdhsa_user_sgpr_queue_ptr 0
		.amdhsa_user_sgpr_kernarg_segment_ptr 1
		.amdhsa_user_sgpr_dispatch_id 0
		.amdhsa_user_sgpr_flat_scratch_init 0
		.amdhsa_user_sgpr_private_segment_size 0
		.amdhsa_wavefront_size32 1
		.amdhsa_uses_dynamic_stack 0
		.amdhsa_system_sgpr_private_segment_wavefront_offset 0
		.amdhsa_system_sgpr_workgroup_id_x 1
		.amdhsa_system_sgpr_workgroup_id_y 0
		.amdhsa_system_sgpr_workgroup_id_z 0
		.amdhsa_system_sgpr_workgroup_info 0
		.amdhsa_system_vgpr_workitem_id 0
		.amdhsa_next_free_vgpr 1
		.amdhsa_next_free_sgpr 1
		.amdhsa_reserve_vcc 0
		.amdhsa_reserve_flat_scratch 0
		.amdhsa_float_round_mode_32 0
		.amdhsa_float_round_mode_16_64 0
		.amdhsa_float_denorm_mode_32 3
		.amdhsa_float_denorm_mode_16_64 3
		.amdhsa_dx10_clamp 1
		.amdhsa_ieee_mode 1
		.amdhsa_fp16_overflow 0
		.amdhsa_workgroup_processor_mode 1
		.amdhsa_memory_ordered 1
		.amdhsa_forward_progress 1
		.amdhsa_shared_vgpr_count 0
		.amdhsa_exception_fp_ieee_invalid_op 0
		.amdhsa_exception_fp_denorm_src 0
		.amdhsa_exception_fp_ieee_div_zero 0
		.amdhsa_exception_fp_ieee_overflow 0
		.amdhsa_exception_fp_ieee_underflow 0
		.amdhsa_exception_fp_ieee_inexact 0
		.amdhsa_exception_int_div_zero 0
	.end_amdhsa_kernel
	.section	.text._ZN7rocprim17ROCPRIM_400000_NS6detail17trampoline_kernelINS0_14default_configENS1_37merge_sort_block_sort_config_selectorIjNS0_10empty_typeEEEZNS1_21merge_sort_block_sortIS3_N6thrust23THRUST_200600_302600_NS6detail15normal_iteratorINS9_10device_ptrIjEEEESE_PS5_SF_9comp_mod3IjEEE10hipError_tT0_T1_T2_T3_mRjT4_P12ihipStream_tbNS1_7vsmem_tEEUlT_E_NS1_11comp_targetILNS1_3genE2ELNS1_11target_archE906ELNS1_3gpuE6ELNS1_3repE0EEENS1_30default_config_static_selectorELNS0_4arch9wavefront6targetE0EEEvSK_,"axG",@progbits,_ZN7rocprim17ROCPRIM_400000_NS6detail17trampoline_kernelINS0_14default_configENS1_37merge_sort_block_sort_config_selectorIjNS0_10empty_typeEEEZNS1_21merge_sort_block_sortIS3_N6thrust23THRUST_200600_302600_NS6detail15normal_iteratorINS9_10device_ptrIjEEEESE_PS5_SF_9comp_mod3IjEEE10hipError_tT0_T1_T2_T3_mRjT4_P12ihipStream_tbNS1_7vsmem_tEEUlT_E_NS1_11comp_targetILNS1_3genE2ELNS1_11target_archE906ELNS1_3gpuE6ELNS1_3repE0EEENS1_30default_config_static_selectorELNS0_4arch9wavefront6targetE0EEEvSK_,comdat
.Lfunc_end811:
	.size	_ZN7rocprim17ROCPRIM_400000_NS6detail17trampoline_kernelINS0_14default_configENS1_37merge_sort_block_sort_config_selectorIjNS0_10empty_typeEEEZNS1_21merge_sort_block_sortIS3_N6thrust23THRUST_200600_302600_NS6detail15normal_iteratorINS9_10device_ptrIjEEEESE_PS5_SF_9comp_mod3IjEEE10hipError_tT0_T1_T2_T3_mRjT4_P12ihipStream_tbNS1_7vsmem_tEEUlT_E_NS1_11comp_targetILNS1_3genE2ELNS1_11target_archE906ELNS1_3gpuE6ELNS1_3repE0EEENS1_30default_config_static_selectorELNS0_4arch9wavefront6targetE0EEEvSK_, .Lfunc_end811-_ZN7rocprim17ROCPRIM_400000_NS6detail17trampoline_kernelINS0_14default_configENS1_37merge_sort_block_sort_config_selectorIjNS0_10empty_typeEEEZNS1_21merge_sort_block_sortIS3_N6thrust23THRUST_200600_302600_NS6detail15normal_iteratorINS9_10device_ptrIjEEEESE_PS5_SF_9comp_mod3IjEEE10hipError_tT0_T1_T2_T3_mRjT4_P12ihipStream_tbNS1_7vsmem_tEEUlT_E_NS1_11comp_targetILNS1_3genE2ELNS1_11target_archE906ELNS1_3gpuE6ELNS1_3repE0EEENS1_30default_config_static_selectorELNS0_4arch9wavefront6targetE0EEEvSK_
                                        ; -- End function
	.set _ZN7rocprim17ROCPRIM_400000_NS6detail17trampoline_kernelINS0_14default_configENS1_37merge_sort_block_sort_config_selectorIjNS0_10empty_typeEEEZNS1_21merge_sort_block_sortIS3_N6thrust23THRUST_200600_302600_NS6detail15normal_iteratorINS9_10device_ptrIjEEEESE_PS5_SF_9comp_mod3IjEEE10hipError_tT0_T1_T2_T3_mRjT4_P12ihipStream_tbNS1_7vsmem_tEEUlT_E_NS1_11comp_targetILNS1_3genE2ELNS1_11target_archE906ELNS1_3gpuE6ELNS1_3repE0EEENS1_30default_config_static_selectorELNS0_4arch9wavefront6targetE0EEEvSK_.num_vgpr, 0
	.set _ZN7rocprim17ROCPRIM_400000_NS6detail17trampoline_kernelINS0_14default_configENS1_37merge_sort_block_sort_config_selectorIjNS0_10empty_typeEEEZNS1_21merge_sort_block_sortIS3_N6thrust23THRUST_200600_302600_NS6detail15normal_iteratorINS9_10device_ptrIjEEEESE_PS5_SF_9comp_mod3IjEEE10hipError_tT0_T1_T2_T3_mRjT4_P12ihipStream_tbNS1_7vsmem_tEEUlT_E_NS1_11comp_targetILNS1_3genE2ELNS1_11target_archE906ELNS1_3gpuE6ELNS1_3repE0EEENS1_30default_config_static_selectorELNS0_4arch9wavefront6targetE0EEEvSK_.num_agpr, 0
	.set _ZN7rocprim17ROCPRIM_400000_NS6detail17trampoline_kernelINS0_14default_configENS1_37merge_sort_block_sort_config_selectorIjNS0_10empty_typeEEEZNS1_21merge_sort_block_sortIS3_N6thrust23THRUST_200600_302600_NS6detail15normal_iteratorINS9_10device_ptrIjEEEESE_PS5_SF_9comp_mod3IjEEE10hipError_tT0_T1_T2_T3_mRjT4_P12ihipStream_tbNS1_7vsmem_tEEUlT_E_NS1_11comp_targetILNS1_3genE2ELNS1_11target_archE906ELNS1_3gpuE6ELNS1_3repE0EEENS1_30default_config_static_selectorELNS0_4arch9wavefront6targetE0EEEvSK_.numbered_sgpr, 0
	.set _ZN7rocprim17ROCPRIM_400000_NS6detail17trampoline_kernelINS0_14default_configENS1_37merge_sort_block_sort_config_selectorIjNS0_10empty_typeEEEZNS1_21merge_sort_block_sortIS3_N6thrust23THRUST_200600_302600_NS6detail15normal_iteratorINS9_10device_ptrIjEEEESE_PS5_SF_9comp_mod3IjEEE10hipError_tT0_T1_T2_T3_mRjT4_P12ihipStream_tbNS1_7vsmem_tEEUlT_E_NS1_11comp_targetILNS1_3genE2ELNS1_11target_archE906ELNS1_3gpuE6ELNS1_3repE0EEENS1_30default_config_static_selectorELNS0_4arch9wavefront6targetE0EEEvSK_.num_named_barrier, 0
	.set _ZN7rocprim17ROCPRIM_400000_NS6detail17trampoline_kernelINS0_14default_configENS1_37merge_sort_block_sort_config_selectorIjNS0_10empty_typeEEEZNS1_21merge_sort_block_sortIS3_N6thrust23THRUST_200600_302600_NS6detail15normal_iteratorINS9_10device_ptrIjEEEESE_PS5_SF_9comp_mod3IjEEE10hipError_tT0_T1_T2_T3_mRjT4_P12ihipStream_tbNS1_7vsmem_tEEUlT_E_NS1_11comp_targetILNS1_3genE2ELNS1_11target_archE906ELNS1_3gpuE6ELNS1_3repE0EEENS1_30default_config_static_selectorELNS0_4arch9wavefront6targetE0EEEvSK_.private_seg_size, 0
	.set _ZN7rocprim17ROCPRIM_400000_NS6detail17trampoline_kernelINS0_14default_configENS1_37merge_sort_block_sort_config_selectorIjNS0_10empty_typeEEEZNS1_21merge_sort_block_sortIS3_N6thrust23THRUST_200600_302600_NS6detail15normal_iteratorINS9_10device_ptrIjEEEESE_PS5_SF_9comp_mod3IjEEE10hipError_tT0_T1_T2_T3_mRjT4_P12ihipStream_tbNS1_7vsmem_tEEUlT_E_NS1_11comp_targetILNS1_3genE2ELNS1_11target_archE906ELNS1_3gpuE6ELNS1_3repE0EEENS1_30default_config_static_selectorELNS0_4arch9wavefront6targetE0EEEvSK_.uses_vcc, 0
	.set _ZN7rocprim17ROCPRIM_400000_NS6detail17trampoline_kernelINS0_14default_configENS1_37merge_sort_block_sort_config_selectorIjNS0_10empty_typeEEEZNS1_21merge_sort_block_sortIS3_N6thrust23THRUST_200600_302600_NS6detail15normal_iteratorINS9_10device_ptrIjEEEESE_PS5_SF_9comp_mod3IjEEE10hipError_tT0_T1_T2_T3_mRjT4_P12ihipStream_tbNS1_7vsmem_tEEUlT_E_NS1_11comp_targetILNS1_3genE2ELNS1_11target_archE906ELNS1_3gpuE6ELNS1_3repE0EEENS1_30default_config_static_selectorELNS0_4arch9wavefront6targetE0EEEvSK_.uses_flat_scratch, 0
	.set _ZN7rocprim17ROCPRIM_400000_NS6detail17trampoline_kernelINS0_14default_configENS1_37merge_sort_block_sort_config_selectorIjNS0_10empty_typeEEEZNS1_21merge_sort_block_sortIS3_N6thrust23THRUST_200600_302600_NS6detail15normal_iteratorINS9_10device_ptrIjEEEESE_PS5_SF_9comp_mod3IjEEE10hipError_tT0_T1_T2_T3_mRjT4_P12ihipStream_tbNS1_7vsmem_tEEUlT_E_NS1_11comp_targetILNS1_3genE2ELNS1_11target_archE906ELNS1_3gpuE6ELNS1_3repE0EEENS1_30default_config_static_selectorELNS0_4arch9wavefront6targetE0EEEvSK_.has_dyn_sized_stack, 0
	.set _ZN7rocprim17ROCPRIM_400000_NS6detail17trampoline_kernelINS0_14default_configENS1_37merge_sort_block_sort_config_selectorIjNS0_10empty_typeEEEZNS1_21merge_sort_block_sortIS3_N6thrust23THRUST_200600_302600_NS6detail15normal_iteratorINS9_10device_ptrIjEEEESE_PS5_SF_9comp_mod3IjEEE10hipError_tT0_T1_T2_T3_mRjT4_P12ihipStream_tbNS1_7vsmem_tEEUlT_E_NS1_11comp_targetILNS1_3genE2ELNS1_11target_archE906ELNS1_3gpuE6ELNS1_3repE0EEENS1_30default_config_static_selectorELNS0_4arch9wavefront6targetE0EEEvSK_.has_recursion, 0
	.set _ZN7rocprim17ROCPRIM_400000_NS6detail17trampoline_kernelINS0_14default_configENS1_37merge_sort_block_sort_config_selectorIjNS0_10empty_typeEEEZNS1_21merge_sort_block_sortIS3_N6thrust23THRUST_200600_302600_NS6detail15normal_iteratorINS9_10device_ptrIjEEEESE_PS5_SF_9comp_mod3IjEEE10hipError_tT0_T1_T2_T3_mRjT4_P12ihipStream_tbNS1_7vsmem_tEEUlT_E_NS1_11comp_targetILNS1_3genE2ELNS1_11target_archE906ELNS1_3gpuE6ELNS1_3repE0EEENS1_30default_config_static_selectorELNS0_4arch9wavefront6targetE0EEEvSK_.has_indirect_call, 0
	.section	.AMDGPU.csdata,"",@progbits
; Kernel info:
; codeLenInByte = 0
; TotalNumSgprs: 0
; NumVgprs: 0
; ScratchSize: 0
; MemoryBound: 0
; FloatMode: 240
; IeeeMode: 1
; LDSByteSize: 0 bytes/workgroup (compile time only)
; SGPRBlocks: 0
; VGPRBlocks: 0
; NumSGPRsForWavesPerEU: 1
; NumVGPRsForWavesPerEU: 1
; Occupancy: 16
; WaveLimiterHint : 0
; COMPUTE_PGM_RSRC2:SCRATCH_EN: 0
; COMPUTE_PGM_RSRC2:USER_SGPR: 6
; COMPUTE_PGM_RSRC2:TRAP_HANDLER: 0
; COMPUTE_PGM_RSRC2:TGID_X_EN: 1
; COMPUTE_PGM_RSRC2:TGID_Y_EN: 0
; COMPUTE_PGM_RSRC2:TGID_Z_EN: 0
; COMPUTE_PGM_RSRC2:TIDIG_COMP_CNT: 0
	.section	.text._ZN7rocprim17ROCPRIM_400000_NS6detail17trampoline_kernelINS0_14default_configENS1_37merge_sort_block_sort_config_selectorIjNS0_10empty_typeEEEZNS1_21merge_sort_block_sortIS3_N6thrust23THRUST_200600_302600_NS6detail15normal_iteratorINS9_10device_ptrIjEEEESE_PS5_SF_9comp_mod3IjEEE10hipError_tT0_T1_T2_T3_mRjT4_P12ihipStream_tbNS1_7vsmem_tEEUlT_E_NS1_11comp_targetILNS1_3genE10ELNS1_11target_archE1201ELNS1_3gpuE5ELNS1_3repE0EEENS1_30default_config_static_selectorELNS0_4arch9wavefront6targetE0EEEvSK_,"axG",@progbits,_ZN7rocprim17ROCPRIM_400000_NS6detail17trampoline_kernelINS0_14default_configENS1_37merge_sort_block_sort_config_selectorIjNS0_10empty_typeEEEZNS1_21merge_sort_block_sortIS3_N6thrust23THRUST_200600_302600_NS6detail15normal_iteratorINS9_10device_ptrIjEEEESE_PS5_SF_9comp_mod3IjEEE10hipError_tT0_T1_T2_T3_mRjT4_P12ihipStream_tbNS1_7vsmem_tEEUlT_E_NS1_11comp_targetILNS1_3genE10ELNS1_11target_archE1201ELNS1_3gpuE5ELNS1_3repE0EEENS1_30default_config_static_selectorELNS0_4arch9wavefront6targetE0EEEvSK_,comdat
	.protected	_ZN7rocprim17ROCPRIM_400000_NS6detail17trampoline_kernelINS0_14default_configENS1_37merge_sort_block_sort_config_selectorIjNS0_10empty_typeEEEZNS1_21merge_sort_block_sortIS3_N6thrust23THRUST_200600_302600_NS6detail15normal_iteratorINS9_10device_ptrIjEEEESE_PS5_SF_9comp_mod3IjEEE10hipError_tT0_T1_T2_T3_mRjT4_P12ihipStream_tbNS1_7vsmem_tEEUlT_E_NS1_11comp_targetILNS1_3genE10ELNS1_11target_archE1201ELNS1_3gpuE5ELNS1_3repE0EEENS1_30default_config_static_selectorELNS0_4arch9wavefront6targetE0EEEvSK_ ; -- Begin function _ZN7rocprim17ROCPRIM_400000_NS6detail17trampoline_kernelINS0_14default_configENS1_37merge_sort_block_sort_config_selectorIjNS0_10empty_typeEEEZNS1_21merge_sort_block_sortIS3_N6thrust23THRUST_200600_302600_NS6detail15normal_iteratorINS9_10device_ptrIjEEEESE_PS5_SF_9comp_mod3IjEEE10hipError_tT0_T1_T2_T3_mRjT4_P12ihipStream_tbNS1_7vsmem_tEEUlT_E_NS1_11comp_targetILNS1_3genE10ELNS1_11target_archE1201ELNS1_3gpuE5ELNS1_3repE0EEENS1_30default_config_static_selectorELNS0_4arch9wavefront6targetE0EEEvSK_
	.globl	_ZN7rocprim17ROCPRIM_400000_NS6detail17trampoline_kernelINS0_14default_configENS1_37merge_sort_block_sort_config_selectorIjNS0_10empty_typeEEEZNS1_21merge_sort_block_sortIS3_N6thrust23THRUST_200600_302600_NS6detail15normal_iteratorINS9_10device_ptrIjEEEESE_PS5_SF_9comp_mod3IjEEE10hipError_tT0_T1_T2_T3_mRjT4_P12ihipStream_tbNS1_7vsmem_tEEUlT_E_NS1_11comp_targetILNS1_3genE10ELNS1_11target_archE1201ELNS1_3gpuE5ELNS1_3repE0EEENS1_30default_config_static_selectorELNS0_4arch9wavefront6targetE0EEEvSK_
	.p2align	8
	.type	_ZN7rocprim17ROCPRIM_400000_NS6detail17trampoline_kernelINS0_14default_configENS1_37merge_sort_block_sort_config_selectorIjNS0_10empty_typeEEEZNS1_21merge_sort_block_sortIS3_N6thrust23THRUST_200600_302600_NS6detail15normal_iteratorINS9_10device_ptrIjEEEESE_PS5_SF_9comp_mod3IjEEE10hipError_tT0_T1_T2_T3_mRjT4_P12ihipStream_tbNS1_7vsmem_tEEUlT_E_NS1_11comp_targetILNS1_3genE10ELNS1_11target_archE1201ELNS1_3gpuE5ELNS1_3repE0EEENS1_30default_config_static_selectorELNS0_4arch9wavefront6targetE0EEEvSK_,@function
_ZN7rocprim17ROCPRIM_400000_NS6detail17trampoline_kernelINS0_14default_configENS1_37merge_sort_block_sort_config_selectorIjNS0_10empty_typeEEEZNS1_21merge_sort_block_sortIS3_N6thrust23THRUST_200600_302600_NS6detail15normal_iteratorINS9_10device_ptrIjEEEESE_PS5_SF_9comp_mod3IjEEE10hipError_tT0_T1_T2_T3_mRjT4_P12ihipStream_tbNS1_7vsmem_tEEUlT_E_NS1_11comp_targetILNS1_3genE10ELNS1_11target_archE1201ELNS1_3gpuE5ELNS1_3repE0EEENS1_30default_config_static_selectorELNS0_4arch9wavefront6targetE0EEEvSK_: ; @_ZN7rocprim17ROCPRIM_400000_NS6detail17trampoline_kernelINS0_14default_configENS1_37merge_sort_block_sort_config_selectorIjNS0_10empty_typeEEEZNS1_21merge_sort_block_sortIS3_N6thrust23THRUST_200600_302600_NS6detail15normal_iteratorINS9_10device_ptrIjEEEESE_PS5_SF_9comp_mod3IjEEE10hipError_tT0_T1_T2_T3_mRjT4_P12ihipStream_tbNS1_7vsmem_tEEUlT_E_NS1_11comp_targetILNS1_3genE10ELNS1_11target_archE1201ELNS1_3gpuE5ELNS1_3repE0EEENS1_30default_config_static_selectorELNS0_4arch9wavefront6targetE0EEEvSK_
; %bb.0:
	.section	.rodata,"a",@progbits
	.p2align	6, 0x0
	.amdhsa_kernel _ZN7rocprim17ROCPRIM_400000_NS6detail17trampoline_kernelINS0_14default_configENS1_37merge_sort_block_sort_config_selectorIjNS0_10empty_typeEEEZNS1_21merge_sort_block_sortIS3_N6thrust23THRUST_200600_302600_NS6detail15normal_iteratorINS9_10device_ptrIjEEEESE_PS5_SF_9comp_mod3IjEEE10hipError_tT0_T1_T2_T3_mRjT4_P12ihipStream_tbNS1_7vsmem_tEEUlT_E_NS1_11comp_targetILNS1_3genE10ELNS1_11target_archE1201ELNS1_3gpuE5ELNS1_3repE0EEENS1_30default_config_static_selectorELNS0_4arch9wavefront6targetE0EEEvSK_
		.amdhsa_group_segment_fixed_size 0
		.amdhsa_private_segment_fixed_size 0
		.amdhsa_kernarg_size 64
		.amdhsa_user_sgpr_count 6
		.amdhsa_user_sgpr_private_segment_buffer 1
		.amdhsa_user_sgpr_dispatch_ptr 0
		.amdhsa_user_sgpr_queue_ptr 0
		.amdhsa_user_sgpr_kernarg_segment_ptr 1
		.amdhsa_user_sgpr_dispatch_id 0
		.amdhsa_user_sgpr_flat_scratch_init 0
		.amdhsa_user_sgpr_private_segment_size 0
		.amdhsa_wavefront_size32 1
		.amdhsa_uses_dynamic_stack 0
		.amdhsa_system_sgpr_private_segment_wavefront_offset 0
		.amdhsa_system_sgpr_workgroup_id_x 1
		.amdhsa_system_sgpr_workgroup_id_y 0
		.amdhsa_system_sgpr_workgroup_id_z 0
		.amdhsa_system_sgpr_workgroup_info 0
		.amdhsa_system_vgpr_workitem_id 0
		.amdhsa_next_free_vgpr 1
		.amdhsa_next_free_sgpr 1
		.amdhsa_reserve_vcc 0
		.amdhsa_reserve_flat_scratch 0
		.amdhsa_float_round_mode_32 0
		.amdhsa_float_round_mode_16_64 0
		.amdhsa_float_denorm_mode_32 3
		.amdhsa_float_denorm_mode_16_64 3
		.amdhsa_dx10_clamp 1
		.amdhsa_ieee_mode 1
		.amdhsa_fp16_overflow 0
		.amdhsa_workgroup_processor_mode 1
		.amdhsa_memory_ordered 1
		.amdhsa_forward_progress 1
		.amdhsa_shared_vgpr_count 0
		.amdhsa_exception_fp_ieee_invalid_op 0
		.amdhsa_exception_fp_denorm_src 0
		.amdhsa_exception_fp_ieee_div_zero 0
		.amdhsa_exception_fp_ieee_overflow 0
		.amdhsa_exception_fp_ieee_underflow 0
		.amdhsa_exception_fp_ieee_inexact 0
		.amdhsa_exception_int_div_zero 0
	.end_amdhsa_kernel
	.section	.text._ZN7rocprim17ROCPRIM_400000_NS6detail17trampoline_kernelINS0_14default_configENS1_37merge_sort_block_sort_config_selectorIjNS0_10empty_typeEEEZNS1_21merge_sort_block_sortIS3_N6thrust23THRUST_200600_302600_NS6detail15normal_iteratorINS9_10device_ptrIjEEEESE_PS5_SF_9comp_mod3IjEEE10hipError_tT0_T1_T2_T3_mRjT4_P12ihipStream_tbNS1_7vsmem_tEEUlT_E_NS1_11comp_targetILNS1_3genE10ELNS1_11target_archE1201ELNS1_3gpuE5ELNS1_3repE0EEENS1_30default_config_static_selectorELNS0_4arch9wavefront6targetE0EEEvSK_,"axG",@progbits,_ZN7rocprim17ROCPRIM_400000_NS6detail17trampoline_kernelINS0_14default_configENS1_37merge_sort_block_sort_config_selectorIjNS0_10empty_typeEEEZNS1_21merge_sort_block_sortIS3_N6thrust23THRUST_200600_302600_NS6detail15normal_iteratorINS9_10device_ptrIjEEEESE_PS5_SF_9comp_mod3IjEEE10hipError_tT0_T1_T2_T3_mRjT4_P12ihipStream_tbNS1_7vsmem_tEEUlT_E_NS1_11comp_targetILNS1_3genE10ELNS1_11target_archE1201ELNS1_3gpuE5ELNS1_3repE0EEENS1_30default_config_static_selectorELNS0_4arch9wavefront6targetE0EEEvSK_,comdat
.Lfunc_end812:
	.size	_ZN7rocprim17ROCPRIM_400000_NS6detail17trampoline_kernelINS0_14default_configENS1_37merge_sort_block_sort_config_selectorIjNS0_10empty_typeEEEZNS1_21merge_sort_block_sortIS3_N6thrust23THRUST_200600_302600_NS6detail15normal_iteratorINS9_10device_ptrIjEEEESE_PS5_SF_9comp_mod3IjEEE10hipError_tT0_T1_T2_T3_mRjT4_P12ihipStream_tbNS1_7vsmem_tEEUlT_E_NS1_11comp_targetILNS1_3genE10ELNS1_11target_archE1201ELNS1_3gpuE5ELNS1_3repE0EEENS1_30default_config_static_selectorELNS0_4arch9wavefront6targetE0EEEvSK_, .Lfunc_end812-_ZN7rocprim17ROCPRIM_400000_NS6detail17trampoline_kernelINS0_14default_configENS1_37merge_sort_block_sort_config_selectorIjNS0_10empty_typeEEEZNS1_21merge_sort_block_sortIS3_N6thrust23THRUST_200600_302600_NS6detail15normal_iteratorINS9_10device_ptrIjEEEESE_PS5_SF_9comp_mod3IjEEE10hipError_tT0_T1_T2_T3_mRjT4_P12ihipStream_tbNS1_7vsmem_tEEUlT_E_NS1_11comp_targetILNS1_3genE10ELNS1_11target_archE1201ELNS1_3gpuE5ELNS1_3repE0EEENS1_30default_config_static_selectorELNS0_4arch9wavefront6targetE0EEEvSK_
                                        ; -- End function
	.set _ZN7rocprim17ROCPRIM_400000_NS6detail17trampoline_kernelINS0_14default_configENS1_37merge_sort_block_sort_config_selectorIjNS0_10empty_typeEEEZNS1_21merge_sort_block_sortIS3_N6thrust23THRUST_200600_302600_NS6detail15normal_iteratorINS9_10device_ptrIjEEEESE_PS5_SF_9comp_mod3IjEEE10hipError_tT0_T1_T2_T3_mRjT4_P12ihipStream_tbNS1_7vsmem_tEEUlT_E_NS1_11comp_targetILNS1_3genE10ELNS1_11target_archE1201ELNS1_3gpuE5ELNS1_3repE0EEENS1_30default_config_static_selectorELNS0_4arch9wavefront6targetE0EEEvSK_.num_vgpr, 0
	.set _ZN7rocprim17ROCPRIM_400000_NS6detail17trampoline_kernelINS0_14default_configENS1_37merge_sort_block_sort_config_selectorIjNS0_10empty_typeEEEZNS1_21merge_sort_block_sortIS3_N6thrust23THRUST_200600_302600_NS6detail15normal_iteratorINS9_10device_ptrIjEEEESE_PS5_SF_9comp_mod3IjEEE10hipError_tT0_T1_T2_T3_mRjT4_P12ihipStream_tbNS1_7vsmem_tEEUlT_E_NS1_11comp_targetILNS1_3genE10ELNS1_11target_archE1201ELNS1_3gpuE5ELNS1_3repE0EEENS1_30default_config_static_selectorELNS0_4arch9wavefront6targetE0EEEvSK_.num_agpr, 0
	.set _ZN7rocprim17ROCPRIM_400000_NS6detail17trampoline_kernelINS0_14default_configENS1_37merge_sort_block_sort_config_selectorIjNS0_10empty_typeEEEZNS1_21merge_sort_block_sortIS3_N6thrust23THRUST_200600_302600_NS6detail15normal_iteratorINS9_10device_ptrIjEEEESE_PS5_SF_9comp_mod3IjEEE10hipError_tT0_T1_T2_T3_mRjT4_P12ihipStream_tbNS1_7vsmem_tEEUlT_E_NS1_11comp_targetILNS1_3genE10ELNS1_11target_archE1201ELNS1_3gpuE5ELNS1_3repE0EEENS1_30default_config_static_selectorELNS0_4arch9wavefront6targetE0EEEvSK_.numbered_sgpr, 0
	.set _ZN7rocprim17ROCPRIM_400000_NS6detail17trampoline_kernelINS0_14default_configENS1_37merge_sort_block_sort_config_selectorIjNS0_10empty_typeEEEZNS1_21merge_sort_block_sortIS3_N6thrust23THRUST_200600_302600_NS6detail15normal_iteratorINS9_10device_ptrIjEEEESE_PS5_SF_9comp_mod3IjEEE10hipError_tT0_T1_T2_T3_mRjT4_P12ihipStream_tbNS1_7vsmem_tEEUlT_E_NS1_11comp_targetILNS1_3genE10ELNS1_11target_archE1201ELNS1_3gpuE5ELNS1_3repE0EEENS1_30default_config_static_selectorELNS0_4arch9wavefront6targetE0EEEvSK_.num_named_barrier, 0
	.set _ZN7rocprim17ROCPRIM_400000_NS6detail17trampoline_kernelINS0_14default_configENS1_37merge_sort_block_sort_config_selectorIjNS0_10empty_typeEEEZNS1_21merge_sort_block_sortIS3_N6thrust23THRUST_200600_302600_NS6detail15normal_iteratorINS9_10device_ptrIjEEEESE_PS5_SF_9comp_mod3IjEEE10hipError_tT0_T1_T2_T3_mRjT4_P12ihipStream_tbNS1_7vsmem_tEEUlT_E_NS1_11comp_targetILNS1_3genE10ELNS1_11target_archE1201ELNS1_3gpuE5ELNS1_3repE0EEENS1_30default_config_static_selectorELNS0_4arch9wavefront6targetE0EEEvSK_.private_seg_size, 0
	.set _ZN7rocprim17ROCPRIM_400000_NS6detail17trampoline_kernelINS0_14default_configENS1_37merge_sort_block_sort_config_selectorIjNS0_10empty_typeEEEZNS1_21merge_sort_block_sortIS3_N6thrust23THRUST_200600_302600_NS6detail15normal_iteratorINS9_10device_ptrIjEEEESE_PS5_SF_9comp_mod3IjEEE10hipError_tT0_T1_T2_T3_mRjT4_P12ihipStream_tbNS1_7vsmem_tEEUlT_E_NS1_11comp_targetILNS1_3genE10ELNS1_11target_archE1201ELNS1_3gpuE5ELNS1_3repE0EEENS1_30default_config_static_selectorELNS0_4arch9wavefront6targetE0EEEvSK_.uses_vcc, 0
	.set _ZN7rocprim17ROCPRIM_400000_NS6detail17trampoline_kernelINS0_14default_configENS1_37merge_sort_block_sort_config_selectorIjNS0_10empty_typeEEEZNS1_21merge_sort_block_sortIS3_N6thrust23THRUST_200600_302600_NS6detail15normal_iteratorINS9_10device_ptrIjEEEESE_PS5_SF_9comp_mod3IjEEE10hipError_tT0_T1_T2_T3_mRjT4_P12ihipStream_tbNS1_7vsmem_tEEUlT_E_NS1_11comp_targetILNS1_3genE10ELNS1_11target_archE1201ELNS1_3gpuE5ELNS1_3repE0EEENS1_30default_config_static_selectorELNS0_4arch9wavefront6targetE0EEEvSK_.uses_flat_scratch, 0
	.set _ZN7rocprim17ROCPRIM_400000_NS6detail17trampoline_kernelINS0_14default_configENS1_37merge_sort_block_sort_config_selectorIjNS0_10empty_typeEEEZNS1_21merge_sort_block_sortIS3_N6thrust23THRUST_200600_302600_NS6detail15normal_iteratorINS9_10device_ptrIjEEEESE_PS5_SF_9comp_mod3IjEEE10hipError_tT0_T1_T2_T3_mRjT4_P12ihipStream_tbNS1_7vsmem_tEEUlT_E_NS1_11comp_targetILNS1_3genE10ELNS1_11target_archE1201ELNS1_3gpuE5ELNS1_3repE0EEENS1_30default_config_static_selectorELNS0_4arch9wavefront6targetE0EEEvSK_.has_dyn_sized_stack, 0
	.set _ZN7rocprim17ROCPRIM_400000_NS6detail17trampoline_kernelINS0_14default_configENS1_37merge_sort_block_sort_config_selectorIjNS0_10empty_typeEEEZNS1_21merge_sort_block_sortIS3_N6thrust23THRUST_200600_302600_NS6detail15normal_iteratorINS9_10device_ptrIjEEEESE_PS5_SF_9comp_mod3IjEEE10hipError_tT0_T1_T2_T3_mRjT4_P12ihipStream_tbNS1_7vsmem_tEEUlT_E_NS1_11comp_targetILNS1_3genE10ELNS1_11target_archE1201ELNS1_3gpuE5ELNS1_3repE0EEENS1_30default_config_static_selectorELNS0_4arch9wavefront6targetE0EEEvSK_.has_recursion, 0
	.set _ZN7rocprim17ROCPRIM_400000_NS6detail17trampoline_kernelINS0_14default_configENS1_37merge_sort_block_sort_config_selectorIjNS0_10empty_typeEEEZNS1_21merge_sort_block_sortIS3_N6thrust23THRUST_200600_302600_NS6detail15normal_iteratorINS9_10device_ptrIjEEEESE_PS5_SF_9comp_mod3IjEEE10hipError_tT0_T1_T2_T3_mRjT4_P12ihipStream_tbNS1_7vsmem_tEEUlT_E_NS1_11comp_targetILNS1_3genE10ELNS1_11target_archE1201ELNS1_3gpuE5ELNS1_3repE0EEENS1_30default_config_static_selectorELNS0_4arch9wavefront6targetE0EEEvSK_.has_indirect_call, 0
	.section	.AMDGPU.csdata,"",@progbits
; Kernel info:
; codeLenInByte = 0
; TotalNumSgprs: 0
; NumVgprs: 0
; ScratchSize: 0
; MemoryBound: 0
; FloatMode: 240
; IeeeMode: 1
; LDSByteSize: 0 bytes/workgroup (compile time only)
; SGPRBlocks: 0
; VGPRBlocks: 0
; NumSGPRsForWavesPerEU: 1
; NumVGPRsForWavesPerEU: 1
; Occupancy: 16
; WaveLimiterHint : 0
; COMPUTE_PGM_RSRC2:SCRATCH_EN: 0
; COMPUTE_PGM_RSRC2:USER_SGPR: 6
; COMPUTE_PGM_RSRC2:TRAP_HANDLER: 0
; COMPUTE_PGM_RSRC2:TGID_X_EN: 1
; COMPUTE_PGM_RSRC2:TGID_Y_EN: 0
; COMPUTE_PGM_RSRC2:TGID_Z_EN: 0
; COMPUTE_PGM_RSRC2:TIDIG_COMP_CNT: 0
	.section	.text._ZN7rocprim17ROCPRIM_400000_NS6detail17trampoline_kernelINS0_14default_configENS1_37merge_sort_block_sort_config_selectorIjNS0_10empty_typeEEEZNS1_21merge_sort_block_sortIS3_N6thrust23THRUST_200600_302600_NS6detail15normal_iteratorINS9_10device_ptrIjEEEESE_PS5_SF_9comp_mod3IjEEE10hipError_tT0_T1_T2_T3_mRjT4_P12ihipStream_tbNS1_7vsmem_tEEUlT_E_NS1_11comp_targetILNS1_3genE10ELNS1_11target_archE1200ELNS1_3gpuE4ELNS1_3repE0EEENS1_30default_config_static_selectorELNS0_4arch9wavefront6targetE0EEEvSK_,"axG",@progbits,_ZN7rocprim17ROCPRIM_400000_NS6detail17trampoline_kernelINS0_14default_configENS1_37merge_sort_block_sort_config_selectorIjNS0_10empty_typeEEEZNS1_21merge_sort_block_sortIS3_N6thrust23THRUST_200600_302600_NS6detail15normal_iteratorINS9_10device_ptrIjEEEESE_PS5_SF_9comp_mod3IjEEE10hipError_tT0_T1_T2_T3_mRjT4_P12ihipStream_tbNS1_7vsmem_tEEUlT_E_NS1_11comp_targetILNS1_3genE10ELNS1_11target_archE1200ELNS1_3gpuE4ELNS1_3repE0EEENS1_30default_config_static_selectorELNS0_4arch9wavefront6targetE0EEEvSK_,comdat
	.protected	_ZN7rocprim17ROCPRIM_400000_NS6detail17trampoline_kernelINS0_14default_configENS1_37merge_sort_block_sort_config_selectorIjNS0_10empty_typeEEEZNS1_21merge_sort_block_sortIS3_N6thrust23THRUST_200600_302600_NS6detail15normal_iteratorINS9_10device_ptrIjEEEESE_PS5_SF_9comp_mod3IjEEE10hipError_tT0_T1_T2_T3_mRjT4_P12ihipStream_tbNS1_7vsmem_tEEUlT_E_NS1_11comp_targetILNS1_3genE10ELNS1_11target_archE1200ELNS1_3gpuE4ELNS1_3repE0EEENS1_30default_config_static_selectorELNS0_4arch9wavefront6targetE0EEEvSK_ ; -- Begin function _ZN7rocprim17ROCPRIM_400000_NS6detail17trampoline_kernelINS0_14default_configENS1_37merge_sort_block_sort_config_selectorIjNS0_10empty_typeEEEZNS1_21merge_sort_block_sortIS3_N6thrust23THRUST_200600_302600_NS6detail15normal_iteratorINS9_10device_ptrIjEEEESE_PS5_SF_9comp_mod3IjEEE10hipError_tT0_T1_T2_T3_mRjT4_P12ihipStream_tbNS1_7vsmem_tEEUlT_E_NS1_11comp_targetILNS1_3genE10ELNS1_11target_archE1200ELNS1_3gpuE4ELNS1_3repE0EEENS1_30default_config_static_selectorELNS0_4arch9wavefront6targetE0EEEvSK_
	.globl	_ZN7rocprim17ROCPRIM_400000_NS6detail17trampoline_kernelINS0_14default_configENS1_37merge_sort_block_sort_config_selectorIjNS0_10empty_typeEEEZNS1_21merge_sort_block_sortIS3_N6thrust23THRUST_200600_302600_NS6detail15normal_iteratorINS9_10device_ptrIjEEEESE_PS5_SF_9comp_mod3IjEEE10hipError_tT0_T1_T2_T3_mRjT4_P12ihipStream_tbNS1_7vsmem_tEEUlT_E_NS1_11comp_targetILNS1_3genE10ELNS1_11target_archE1200ELNS1_3gpuE4ELNS1_3repE0EEENS1_30default_config_static_selectorELNS0_4arch9wavefront6targetE0EEEvSK_
	.p2align	8
	.type	_ZN7rocprim17ROCPRIM_400000_NS6detail17trampoline_kernelINS0_14default_configENS1_37merge_sort_block_sort_config_selectorIjNS0_10empty_typeEEEZNS1_21merge_sort_block_sortIS3_N6thrust23THRUST_200600_302600_NS6detail15normal_iteratorINS9_10device_ptrIjEEEESE_PS5_SF_9comp_mod3IjEEE10hipError_tT0_T1_T2_T3_mRjT4_P12ihipStream_tbNS1_7vsmem_tEEUlT_E_NS1_11comp_targetILNS1_3genE10ELNS1_11target_archE1200ELNS1_3gpuE4ELNS1_3repE0EEENS1_30default_config_static_selectorELNS0_4arch9wavefront6targetE0EEEvSK_,@function
_ZN7rocprim17ROCPRIM_400000_NS6detail17trampoline_kernelINS0_14default_configENS1_37merge_sort_block_sort_config_selectorIjNS0_10empty_typeEEEZNS1_21merge_sort_block_sortIS3_N6thrust23THRUST_200600_302600_NS6detail15normal_iteratorINS9_10device_ptrIjEEEESE_PS5_SF_9comp_mod3IjEEE10hipError_tT0_T1_T2_T3_mRjT4_P12ihipStream_tbNS1_7vsmem_tEEUlT_E_NS1_11comp_targetILNS1_3genE10ELNS1_11target_archE1200ELNS1_3gpuE4ELNS1_3repE0EEENS1_30default_config_static_selectorELNS0_4arch9wavefront6targetE0EEEvSK_: ; @_ZN7rocprim17ROCPRIM_400000_NS6detail17trampoline_kernelINS0_14default_configENS1_37merge_sort_block_sort_config_selectorIjNS0_10empty_typeEEEZNS1_21merge_sort_block_sortIS3_N6thrust23THRUST_200600_302600_NS6detail15normal_iteratorINS9_10device_ptrIjEEEESE_PS5_SF_9comp_mod3IjEEE10hipError_tT0_T1_T2_T3_mRjT4_P12ihipStream_tbNS1_7vsmem_tEEUlT_E_NS1_11comp_targetILNS1_3genE10ELNS1_11target_archE1200ELNS1_3gpuE4ELNS1_3repE0EEENS1_30default_config_static_selectorELNS0_4arch9wavefront6targetE0EEEvSK_
; %bb.0:
	.section	.rodata,"a",@progbits
	.p2align	6, 0x0
	.amdhsa_kernel _ZN7rocprim17ROCPRIM_400000_NS6detail17trampoline_kernelINS0_14default_configENS1_37merge_sort_block_sort_config_selectorIjNS0_10empty_typeEEEZNS1_21merge_sort_block_sortIS3_N6thrust23THRUST_200600_302600_NS6detail15normal_iteratorINS9_10device_ptrIjEEEESE_PS5_SF_9comp_mod3IjEEE10hipError_tT0_T1_T2_T3_mRjT4_P12ihipStream_tbNS1_7vsmem_tEEUlT_E_NS1_11comp_targetILNS1_3genE10ELNS1_11target_archE1200ELNS1_3gpuE4ELNS1_3repE0EEENS1_30default_config_static_selectorELNS0_4arch9wavefront6targetE0EEEvSK_
		.amdhsa_group_segment_fixed_size 0
		.amdhsa_private_segment_fixed_size 0
		.amdhsa_kernarg_size 64
		.amdhsa_user_sgpr_count 6
		.amdhsa_user_sgpr_private_segment_buffer 1
		.amdhsa_user_sgpr_dispatch_ptr 0
		.amdhsa_user_sgpr_queue_ptr 0
		.amdhsa_user_sgpr_kernarg_segment_ptr 1
		.amdhsa_user_sgpr_dispatch_id 0
		.amdhsa_user_sgpr_flat_scratch_init 0
		.amdhsa_user_sgpr_private_segment_size 0
		.amdhsa_wavefront_size32 1
		.amdhsa_uses_dynamic_stack 0
		.amdhsa_system_sgpr_private_segment_wavefront_offset 0
		.amdhsa_system_sgpr_workgroup_id_x 1
		.amdhsa_system_sgpr_workgroup_id_y 0
		.amdhsa_system_sgpr_workgroup_id_z 0
		.amdhsa_system_sgpr_workgroup_info 0
		.amdhsa_system_vgpr_workitem_id 0
		.amdhsa_next_free_vgpr 1
		.amdhsa_next_free_sgpr 1
		.amdhsa_reserve_vcc 0
		.amdhsa_reserve_flat_scratch 0
		.amdhsa_float_round_mode_32 0
		.amdhsa_float_round_mode_16_64 0
		.amdhsa_float_denorm_mode_32 3
		.amdhsa_float_denorm_mode_16_64 3
		.amdhsa_dx10_clamp 1
		.amdhsa_ieee_mode 1
		.amdhsa_fp16_overflow 0
		.amdhsa_workgroup_processor_mode 1
		.amdhsa_memory_ordered 1
		.amdhsa_forward_progress 1
		.amdhsa_shared_vgpr_count 0
		.amdhsa_exception_fp_ieee_invalid_op 0
		.amdhsa_exception_fp_denorm_src 0
		.amdhsa_exception_fp_ieee_div_zero 0
		.amdhsa_exception_fp_ieee_overflow 0
		.amdhsa_exception_fp_ieee_underflow 0
		.amdhsa_exception_fp_ieee_inexact 0
		.amdhsa_exception_int_div_zero 0
	.end_amdhsa_kernel
	.section	.text._ZN7rocprim17ROCPRIM_400000_NS6detail17trampoline_kernelINS0_14default_configENS1_37merge_sort_block_sort_config_selectorIjNS0_10empty_typeEEEZNS1_21merge_sort_block_sortIS3_N6thrust23THRUST_200600_302600_NS6detail15normal_iteratorINS9_10device_ptrIjEEEESE_PS5_SF_9comp_mod3IjEEE10hipError_tT0_T1_T2_T3_mRjT4_P12ihipStream_tbNS1_7vsmem_tEEUlT_E_NS1_11comp_targetILNS1_3genE10ELNS1_11target_archE1200ELNS1_3gpuE4ELNS1_3repE0EEENS1_30default_config_static_selectorELNS0_4arch9wavefront6targetE0EEEvSK_,"axG",@progbits,_ZN7rocprim17ROCPRIM_400000_NS6detail17trampoline_kernelINS0_14default_configENS1_37merge_sort_block_sort_config_selectorIjNS0_10empty_typeEEEZNS1_21merge_sort_block_sortIS3_N6thrust23THRUST_200600_302600_NS6detail15normal_iteratorINS9_10device_ptrIjEEEESE_PS5_SF_9comp_mod3IjEEE10hipError_tT0_T1_T2_T3_mRjT4_P12ihipStream_tbNS1_7vsmem_tEEUlT_E_NS1_11comp_targetILNS1_3genE10ELNS1_11target_archE1200ELNS1_3gpuE4ELNS1_3repE0EEENS1_30default_config_static_selectorELNS0_4arch9wavefront6targetE0EEEvSK_,comdat
.Lfunc_end813:
	.size	_ZN7rocprim17ROCPRIM_400000_NS6detail17trampoline_kernelINS0_14default_configENS1_37merge_sort_block_sort_config_selectorIjNS0_10empty_typeEEEZNS1_21merge_sort_block_sortIS3_N6thrust23THRUST_200600_302600_NS6detail15normal_iteratorINS9_10device_ptrIjEEEESE_PS5_SF_9comp_mod3IjEEE10hipError_tT0_T1_T2_T3_mRjT4_P12ihipStream_tbNS1_7vsmem_tEEUlT_E_NS1_11comp_targetILNS1_3genE10ELNS1_11target_archE1200ELNS1_3gpuE4ELNS1_3repE0EEENS1_30default_config_static_selectorELNS0_4arch9wavefront6targetE0EEEvSK_, .Lfunc_end813-_ZN7rocprim17ROCPRIM_400000_NS6detail17trampoline_kernelINS0_14default_configENS1_37merge_sort_block_sort_config_selectorIjNS0_10empty_typeEEEZNS1_21merge_sort_block_sortIS3_N6thrust23THRUST_200600_302600_NS6detail15normal_iteratorINS9_10device_ptrIjEEEESE_PS5_SF_9comp_mod3IjEEE10hipError_tT0_T1_T2_T3_mRjT4_P12ihipStream_tbNS1_7vsmem_tEEUlT_E_NS1_11comp_targetILNS1_3genE10ELNS1_11target_archE1200ELNS1_3gpuE4ELNS1_3repE0EEENS1_30default_config_static_selectorELNS0_4arch9wavefront6targetE0EEEvSK_
                                        ; -- End function
	.set _ZN7rocprim17ROCPRIM_400000_NS6detail17trampoline_kernelINS0_14default_configENS1_37merge_sort_block_sort_config_selectorIjNS0_10empty_typeEEEZNS1_21merge_sort_block_sortIS3_N6thrust23THRUST_200600_302600_NS6detail15normal_iteratorINS9_10device_ptrIjEEEESE_PS5_SF_9comp_mod3IjEEE10hipError_tT0_T1_T2_T3_mRjT4_P12ihipStream_tbNS1_7vsmem_tEEUlT_E_NS1_11comp_targetILNS1_3genE10ELNS1_11target_archE1200ELNS1_3gpuE4ELNS1_3repE0EEENS1_30default_config_static_selectorELNS0_4arch9wavefront6targetE0EEEvSK_.num_vgpr, 0
	.set _ZN7rocprim17ROCPRIM_400000_NS6detail17trampoline_kernelINS0_14default_configENS1_37merge_sort_block_sort_config_selectorIjNS0_10empty_typeEEEZNS1_21merge_sort_block_sortIS3_N6thrust23THRUST_200600_302600_NS6detail15normal_iteratorINS9_10device_ptrIjEEEESE_PS5_SF_9comp_mod3IjEEE10hipError_tT0_T1_T2_T3_mRjT4_P12ihipStream_tbNS1_7vsmem_tEEUlT_E_NS1_11comp_targetILNS1_3genE10ELNS1_11target_archE1200ELNS1_3gpuE4ELNS1_3repE0EEENS1_30default_config_static_selectorELNS0_4arch9wavefront6targetE0EEEvSK_.num_agpr, 0
	.set _ZN7rocprim17ROCPRIM_400000_NS6detail17trampoline_kernelINS0_14default_configENS1_37merge_sort_block_sort_config_selectorIjNS0_10empty_typeEEEZNS1_21merge_sort_block_sortIS3_N6thrust23THRUST_200600_302600_NS6detail15normal_iteratorINS9_10device_ptrIjEEEESE_PS5_SF_9comp_mod3IjEEE10hipError_tT0_T1_T2_T3_mRjT4_P12ihipStream_tbNS1_7vsmem_tEEUlT_E_NS1_11comp_targetILNS1_3genE10ELNS1_11target_archE1200ELNS1_3gpuE4ELNS1_3repE0EEENS1_30default_config_static_selectorELNS0_4arch9wavefront6targetE0EEEvSK_.numbered_sgpr, 0
	.set _ZN7rocprim17ROCPRIM_400000_NS6detail17trampoline_kernelINS0_14default_configENS1_37merge_sort_block_sort_config_selectorIjNS0_10empty_typeEEEZNS1_21merge_sort_block_sortIS3_N6thrust23THRUST_200600_302600_NS6detail15normal_iteratorINS9_10device_ptrIjEEEESE_PS5_SF_9comp_mod3IjEEE10hipError_tT0_T1_T2_T3_mRjT4_P12ihipStream_tbNS1_7vsmem_tEEUlT_E_NS1_11comp_targetILNS1_3genE10ELNS1_11target_archE1200ELNS1_3gpuE4ELNS1_3repE0EEENS1_30default_config_static_selectorELNS0_4arch9wavefront6targetE0EEEvSK_.num_named_barrier, 0
	.set _ZN7rocprim17ROCPRIM_400000_NS6detail17trampoline_kernelINS0_14default_configENS1_37merge_sort_block_sort_config_selectorIjNS0_10empty_typeEEEZNS1_21merge_sort_block_sortIS3_N6thrust23THRUST_200600_302600_NS6detail15normal_iteratorINS9_10device_ptrIjEEEESE_PS5_SF_9comp_mod3IjEEE10hipError_tT0_T1_T2_T3_mRjT4_P12ihipStream_tbNS1_7vsmem_tEEUlT_E_NS1_11comp_targetILNS1_3genE10ELNS1_11target_archE1200ELNS1_3gpuE4ELNS1_3repE0EEENS1_30default_config_static_selectorELNS0_4arch9wavefront6targetE0EEEvSK_.private_seg_size, 0
	.set _ZN7rocprim17ROCPRIM_400000_NS6detail17trampoline_kernelINS0_14default_configENS1_37merge_sort_block_sort_config_selectorIjNS0_10empty_typeEEEZNS1_21merge_sort_block_sortIS3_N6thrust23THRUST_200600_302600_NS6detail15normal_iteratorINS9_10device_ptrIjEEEESE_PS5_SF_9comp_mod3IjEEE10hipError_tT0_T1_T2_T3_mRjT4_P12ihipStream_tbNS1_7vsmem_tEEUlT_E_NS1_11comp_targetILNS1_3genE10ELNS1_11target_archE1200ELNS1_3gpuE4ELNS1_3repE0EEENS1_30default_config_static_selectorELNS0_4arch9wavefront6targetE0EEEvSK_.uses_vcc, 0
	.set _ZN7rocprim17ROCPRIM_400000_NS6detail17trampoline_kernelINS0_14default_configENS1_37merge_sort_block_sort_config_selectorIjNS0_10empty_typeEEEZNS1_21merge_sort_block_sortIS3_N6thrust23THRUST_200600_302600_NS6detail15normal_iteratorINS9_10device_ptrIjEEEESE_PS5_SF_9comp_mod3IjEEE10hipError_tT0_T1_T2_T3_mRjT4_P12ihipStream_tbNS1_7vsmem_tEEUlT_E_NS1_11comp_targetILNS1_3genE10ELNS1_11target_archE1200ELNS1_3gpuE4ELNS1_3repE0EEENS1_30default_config_static_selectorELNS0_4arch9wavefront6targetE0EEEvSK_.uses_flat_scratch, 0
	.set _ZN7rocprim17ROCPRIM_400000_NS6detail17trampoline_kernelINS0_14default_configENS1_37merge_sort_block_sort_config_selectorIjNS0_10empty_typeEEEZNS1_21merge_sort_block_sortIS3_N6thrust23THRUST_200600_302600_NS6detail15normal_iteratorINS9_10device_ptrIjEEEESE_PS5_SF_9comp_mod3IjEEE10hipError_tT0_T1_T2_T3_mRjT4_P12ihipStream_tbNS1_7vsmem_tEEUlT_E_NS1_11comp_targetILNS1_3genE10ELNS1_11target_archE1200ELNS1_3gpuE4ELNS1_3repE0EEENS1_30default_config_static_selectorELNS0_4arch9wavefront6targetE0EEEvSK_.has_dyn_sized_stack, 0
	.set _ZN7rocprim17ROCPRIM_400000_NS6detail17trampoline_kernelINS0_14default_configENS1_37merge_sort_block_sort_config_selectorIjNS0_10empty_typeEEEZNS1_21merge_sort_block_sortIS3_N6thrust23THRUST_200600_302600_NS6detail15normal_iteratorINS9_10device_ptrIjEEEESE_PS5_SF_9comp_mod3IjEEE10hipError_tT0_T1_T2_T3_mRjT4_P12ihipStream_tbNS1_7vsmem_tEEUlT_E_NS1_11comp_targetILNS1_3genE10ELNS1_11target_archE1200ELNS1_3gpuE4ELNS1_3repE0EEENS1_30default_config_static_selectorELNS0_4arch9wavefront6targetE0EEEvSK_.has_recursion, 0
	.set _ZN7rocprim17ROCPRIM_400000_NS6detail17trampoline_kernelINS0_14default_configENS1_37merge_sort_block_sort_config_selectorIjNS0_10empty_typeEEEZNS1_21merge_sort_block_sortIS3_N6thrust23THRUST_200600_302600_NS6detail15normal_iteratorINS9_10device_ptrIjEEEESE_PS5_SF_9comp_mod3IjEEE10hipError_tT0_T1_T2_T3_mRjT4_P12ihipStream_tbNS1_7vsmem_tEEUlT_E_NS1_11comp_targetILNS1_3genE10ELNS1_11target_archE1200ELNS1_3gpuE4ELNS1_3repE0EEENS1_30default_config_static_selectorELNS0_4arch9wavefront6targetE0EEEvSK_.has_indirect_call, 0
	.section	.AMDGPU.csdata,"",@progbits
; Kernel info:
; codeLenInByte = 0
; TotalNumSgprs: 0
; NumVgprs: 0
; ScratchSize: 0
; MemoryBound: 0
; FloatMode: 240
; IeeeMode: 1
; LDSByteSize: 0 bytes/workgroup (compile time only)
; SGPRBlocks: 0
; VGPRBlocks: 0
; NumSGPRsForWavesPerEU: 1
; NumVGPRsForWavesPerEU: 1
; Occupancy: 16
; WaveLimiterHint : 0
; COMPUTE_PGM_RSRC2:SCRATCH_EN: 0
; COMPUTE_PGM_RSRC2:USER_SGPR: 6
; COMPUTE_PGM_RSRC2:TRAP_HANDLER: 0
; COMPUTE_PGM_RSRC2:TGID_X_EN: 1
; COMPUTE_PGM_RSRC2:TGID_Y_EN: 0
; COMPUTE_PGM_RSRC2:TGID_Z_EN: 0
; COMPUTE_PGM_RSRC2:TIDIG_COMP_CNT: 0
	.section	.text._ZN7rocprim17ROCPRIM_400000_NS6detail17trampoline_kernelINS0_14default_configENS1_37merge_sort_block_sort_config_selectorIjNS0_10empty_typeEEEZNS1_21merge_sort_block_sortIS3_N6thrust23THRUST_200600_302600_NS6detail15normal_iteratorINS9_10device_ptrIjEEEESE_PS5_SF_9comp_mod3IjEEE10hipError_tT0_T1_T2_T3_mRjT4_P12ihipStream_tbNS1_7vsmem_tEEUlT_E_NS1_11comp_targetILNS1_3genE9ELNS1_11target_archE1100ELNS1_3gpuE3ELNS1_3repE0EEENS1_30default_config_static_selectorELNS0_4arch9wavefront6targetE0EEEvSK_,"axG",@progbits,_ZN7rocprim17ROCPRIM_400000_NS6detail17trampoline_kernelINS0_14default_configENS1_37merge_sort_block_sort_config_selectorIjNS0_10empty_typeEEEZNS1_21merge_sort_block_sortIS3_N6thrust23THRUST_200600_302600_NS6detail15normal_iteratorINS9_10device_ptrIjEEEESE_PS5_SF_9comp_mod3IjEEE10hipError_tT0_T1_T2_T3_mRjT4_P12ihipStream_tbNS1_7vsmem_tEEUlT_E_NS1_11comp_targetILNS1_3genE9ELNS1_11target_archE1100ELNS1_3gpuE3ELNS1_3repE0EEENS1_30default_config_static_selectorELNS0_4arch9wavefront6targetE0EEEvSK_,comdat
	.protected	_ZN7rocprim17ROCPRIM_400000_NS6detail17trampoline_kernelINS0_14default_configENS1_37merge_sort_block_sort_config_selectorIjNS0_10empty_typeEEEZNS1_21merge_sort_block_sortIS3_N6thrust23THRUST_200600_302600_NS6detail15normal_iteratorINS9_10device_ptrIjEEEESE_PS5_SF_9comp_mod3IjEEE10hipError_tT0_T1_T2_T3_mRjT4_P12ihipStream_tbNS1_7vsmem_tEEUlT_E_NS1_11comp_targetILNS1_3genE9ELNS1_11target_archE1100ELNS1_3gpuE3ELNS1_3repE0EEENS1_30default_config_static_selectorELNS0_4arch9wavefront6targetE0EEEvSK_ ; -- Begin function _ZN7rocprim17ROCPRIM_400000_NS6detail17trampoline_kernelINS0_14default_configENS1_37merge_sort_block_sort_config_selectorIjNS0_10empty_typeEEEZNS1_21merge_sort_block_sortIS3_N6thrust23THRUST_200600_302600_NS6detail15normal_iteratorINS9_10device_ptrIjEEEESE_PS5_SF_9comp_mod3IjEEE10hipError_tT0_T1_T2_T3_mRjT4_P12ihipStream_tbNS1_7vsmem_tEEUlT_E_NS1_11comp_targetILNS1_3genE9ELNS1_11target_archE1100ELNS1_3gpuE3ELNS1_3repE0EEENS1_30default_config_static_selectorELNS0_4arch9wavefront6targetE0EEEvSK_
	.globl	_ZN7rocprim17ROCPRIM_400000_NS6detail17trampoline_kernelINS0_14default_configENS1_37merge_sort_block_sort_config_selectorIjNS0_10empty_typeEEEZNS1_21merge_sort_block_sortIS3_N6thrust23THRUST_200600_302600_NS6detail15normal_iteratorINS9_10device_ptrIjEEEESE_PS5_SF_9comp_mod3IjEEE10hipError_tT0_T1_T2_T3_mRjT4_P12ihipStream_tbNS1_7vsmem_tEEUlT_E_NS1_11comp_targetILNS1_3genE9ELNS1_11target_archE1100ELNS1_3gpuE3ELNS1_3repE0EEENS1_30default_config_static_selectorELNS0_4arch9wavefront6targetE0EEEvSK_
	.p2align	8
	.type	_ZN7rocprim17ROCPRIM_400000_NS6detail17trampoline_kernelINS0_14default_configENS1_37merge_sort_block_sort_config_selectorIjNS0_10empty_typeEEEZNS1_21merge_sort_block_sortIS3_N6thrust23THRUST_200600_302600_NS6detail15normal_iteratorINS9_10device_ptrIjEEEESE_PS5_SF_9comp_mod3IjEEE10hipError_tT0_T1_T2_T3_mRjT4_P12ihipStream_tbNS1_7vsmem_tEEUlT_E_NS1_11comp_targetILNS1_3genE9ELNS1_11target_archE1100ELNS1_3gpuE3ELNS1_3repE0EEENS1_30default_config_static_selectorELNS0_4arch9wavefront6targetE0EEEvSK_,@function
_ZN7rocprim17ROCPRIM_400000_NS6detail17trampoline_kernelINS0_14default_configENS1_37merge_sort_block_sort_config_selectorIjNS0_10empty_typeEEEZNS1_21merge_sort_block_sortIS3_N6thrust23THRUST_200600_302600_NS6detail15normal_iteratorINS9_10device_ptrIjEEEESE_PS5_SF_9comp_mod3IjEEE10hipError_tT0_T1_T2_T3_mRjT4_P12ihipStream_tbNS1_7vsmem_tEEUlT_E_NS1_11comp_targetILNS1_3genE9ELNS1_11target_archE1100ELNS1_3gpuE3ELNS1_3repE0EEENS1_30default_config_static_selectorELNS0_4arch9wavefront6targetE0EEEvSK_: ; @_ZN7rocprim17ROCPRIM_400000_NS6detail17trampoline_kernelINS0_14default_configENS1_37merge_sort_block_sort_config_selectorIjNS0_10empty_typeEEEZNS1_21merge_sort_block_sortIS3_N6thrust23THRUST_200600_302600_NS6detail15normal_iteratorINS9_10device_ptrIjEEEESE_PS5_SF_9comp_mod3IjEEE10hipError_tT0_T1_T2_T3_mRjT4_P12ihipStream_tbNS1_7vsmem_tEEUlT_E_NS1_11comp_targetILNS1_3genE9ELNS1_11target_archE1100ELNS1_3gpuE3ELNS1_3repE0EEENS1_30default_config_static_selectorELNS0_4arch9wavefront6targetE0EEEvSK_
; %bb.0:
	.section	.rodata,"a",@progbits
	.p2align	6, 0x0
	.amdhsa_kernel _ZN7rocprim17ROCPRIM_400000_NS6detail17trampoline_kernelINS0_14default_configENS1_37merge_sort_block_sort_config_selectorIjNS0_10empty_typeEEEZNS1_21merge_sort_block_sortIS3_N6thrust23THRUST_200600_302600_NS6detail15normal_iteratorINS9_10device_ptrIjEEEESE_PS5_SF_9comp_mod3IjEEE10hipError_tT0_T1_T2_T3_mRjT4_P12ihipStream_tbNS1_7vsmem_tEEUlT_E_NS1_11comp_targetILNS1_3genE9ELNS1_11target_archE1100ELNS1_3gpuE3ELNS1_3repE0EEENS1_30default_config_static_selectorELNS0_4arch9wavefront6targetE0EEEvSK_
		.amdhsa_group_segment_fixed_size 0
		.amdhsa_private_segment_fixed_size 0
		.amdhsa_kernarg_size 64
		.amdhsa_user_sgpr_count 6
		.amdhsa_user_sgpr_private_segment_buffer 1
		.amdhsa_user_sgpr_dispatch_ptr 0
		.amdhsa_user_sgpr_queue_ptr 0
		.amdhsa_user_sgpr_kernarg_segment_ptr 1
		.amdhsa_user_sgpr_dispatch_id 0
		.amdhsa_user_sgpr_flat_scratch_init 0
		.amdhsa_user_sgpr_private_segment_size 0
		.amdhsa_wavefront_size32 1
		.amdhsa_uses_dynamic_stack 0
		.amdhsa_system_sgpr_private_segment_wavefront_offset 0
		.amdhsa_system_sgpr_workgroup_id_x 1
		.amdhsa_system_sgpr_workgroup_id_y 0
		.amdhsa_system_sgpr_workgroup_id_z 0
		.amdhsa_system_sgpr_workgroup_info 0
		.amdhsa_system_vgpr_workitem_id 0
		.amdhsa_next_free_vgpr 1
		.amdhsa_next_free_sgpr 1
		.amdhsa_reserve_vcc 0
		.amdhsa_reserve_flat_scratch 0
		.amdhsa_float_round_mode_32 0
		.amdhsa_float_round_mode_16_64 0
		.amdhsa_float_denorm_mode_32 3
		.amdhsa_float_denorm_mode_16_64 3
		.amdhsa_dx10_clamp 1
		.amdhsa_ieee_mode 1
		.amdhsa_fp16_overflow 0
		.amdhsa_workgroup_processor_mode 1
		.amdhsa_memory_ordered 1
		.amdhsa_forward_progress 1
		.amdhsa_shared_vgpr_count 0
		.amdhsa_exception_fp_ieee_invalid_op 0
		.amdhsa_exception_fp_denorm_src 0
		.amdhsa_exception_fp_ieee_div_zero 0
		.amdhsa_exception_fp_ieee_overflow 0
		.amdhsa_exception_fp_ieee_underflow 0
		.amdhsa_exception_fp_ieee_inexact 0
		.amdhsa_exception_int_div_zero 0
	.end_amdhsa_kernel
	.section	.text._ZN7rocprim17ROCPRIM_400000_NS6detail17trampoline_kernelINS0_14default_configENS1_37merge_sort_block_sort_config_selectorIjNS0_10empty_typeEEEZNS1_21merge_sort_block_sortIS3_N6thrust23THRUST_200600_302600_NS6detail15normal_iteratorINS9_10device_ptrIjEEEESE_PS5_SF_9comp_mod3IjEEE10hipError_tT0_T1_T2_T3_mRjT4_P12ihipStream_tbNS1_7vsmem_tEEUlT_E_NS1_11comp_targetILNS1_3genE9ELNS1_11target_archE1100ELNS1_3gpuE3ELNS1_3repE0EEENS1_30default_config_static_selectorELNS0_4arch9wavefront6targetE0EEEvSK_,"axG",@progbits,_ZN7rocprim17ROCPRIM_400000_NS6detail17trampoline_kernelINS0_14default_configENS1_37merge_sort_block_sort_config_selectorIjNS0_10empty_typeEEEZNS1_21merge_sort_block_sortIS3_N6thrust23THRUST_200600_302600_NS6detail15normal_iteratorINS9_10device_ptrIjEEEESE_PS5_SF_9comp_mod3IjEEE10hipError_tT0_T1_T2_T3_mRjT4_P12ihipStream_tbNS1_7vsmem_tEEUlT_E_NS1_11comp_targetILNS1_3genE9ELNS1_11target_archE1100ELNS1_3gpuE3ELNS1_3repE0EEENS1_30default_config_static_selectorELNS0_4arch9wavefront6targetE0EEEvSK_,comdat
.Lfunc_end814:
	.size	_ZN7rocprim17ROCPRIM_400000_NS6detail17trampoline_kernelINS0_14default_configENS1_37merge_sort_block_sort_config_selectorIjNS0_10empty_typeEEEZNS1_21merge_sort_block_sortIS3_N6thrust23THRUST_200600_302600_NS6detail15normal_iteratorINS9_10device_ptrIjEEEESE_PS5_SF_9comp_mod3IjEEE10hipError_tT0_T1_T2_T3_mRjT4_P12ihipStream_tbNS1_7vsmem_tEEUlT_E_NS1_11comp_targetILNS1_3genE9ELNS1_11target_archE1100ELNS1_3gpuE3ELNS1_3repE0EEENS1_30default_config_static_selectorELNS0_4arch9wavefront6targetE0EEEvSK_, .Lfunc_end814-_ZN7rocprim17ROCPRIM_400000_NS6detail17trampoline_kernelINS0_14default_configENS1_37merge_sort_block_sort_config_selectorIjNS0_10empty_typeEEEZNS1_21merge_sort_block_sortIS3_N6thrust23THRUST_200600_302600_NS6detail15normal_iteratorINS9_10device_ptrIjEEEESE_PS5_SF_9comp_mod3IjEEE10hipError_tT0_T1_T2_T3_mRjT4_P12ihipStream_tbNS1_7vsmem_tEEUlT_E_NS1_11comp_targetILNS1_3genE9ELNS1_11target_archE1100ELNS1_3gpuE3ELNS1_3repE0EEENS1_30default_config_static_selectorELNS0_4arch9wavefront6targetE0EEEvSK_
                                        ; -- End function
	.set _ZN7rocprim17ROCPRIM_400000_NS6detail17trampoline_kernelINS0_14default_configENS1_37merge_sort_block_sort_config_selectorIjNS0_10empty_typeEEEZNS1_21merge_sort_block_sortIS3_N6thrust23THRUST_200600_302600_NS6detail15normal_iteratorINS9_10device_ptrIjEEEESE_PS5_SF_9comp_mod3IjEEE10hipError_tT0_T1_T2_T3_mRjT4_P12ihipStream_tbNS1_7vsmem_tEEUlT_E_NS1_11comp_targetILNS1_3genE9ELNS1_11target_archE1100ELNS1_3gpuE3ELNS1_3repE0EEENS1_30default_config_static_selectorELNS0_4arch9wavefront6targetE0EEEvSK_.num_vgpr, 0
	.set _ZN7rocprim17ROCPRIM_400000_NS6detail17trampoline_kernelINS0_14default_configENS1_37merge_sort_block_sort_config_selectorIjNS0_10empty_typeEEEZNS1_21merge_sort_block_sortIS3_N6thrust23THRUST_200600_302600_NS6detail15normal_iteratorINS9_10device_ptrIjEEEESE_PS5_SF_9comp_mod3IjEEE10hipError_tT0_T1_T2_T3_mRjT4_P12ihipStream_tbNS1_7vsmem_tEEUlT_E_NS1_11comp_targetILNS1_3genE9ELNS1_11target_archE1100ELNS1_3gpuE3ELNS1_3repE0EEENS1_30default_config_static_selectorELNS0_4arch9wavefront6targetE0EEEvSK_.num_agpr, 0
	.set _ZN7rocprim17ROCPRIM_400000_NS6detail17trampoline_kernelINS0_14default_configENS1_37merge_sort_block_sort_config_selectorIjNS0_10empty_typeEEEZNS1_21merge_sort_block_sortIS3_N6thrust23THRUST_200600_302600_NS6detail15normal_iteratorINS9_10device_ptrIjEEEESE_PS5_SF_9comp_mod3IjEEE10hipError_tT0_T1_T2_T3_mRjT4_P12ihipStream_tbNS1_7vsmem_tEEUlT_E_NS1_11comp_targetILNS1_3genE9ELNS1_11target_archE1100ELNS1_3gpuE3ELNS1_3repE0EEENS1_30default_config_static_selectorELNS0_4arch9wavefront6targetE0EEEvSK_.numbered_sgpr, 0
	.set _ZN7rocprim17ROCPRIM_400000_NS6detail17trampoline_kernelINS0_14default_configENS1_37merge_sort_block_sort_config_selectorIjNS0_10empty_typeEEEZNS1_21merge_sort_block_sortIS3_N6thrust23THRUST_200600_302600_NS6detail15normal_iteratorINS9_10device_ptrIjEEEESE_PS5_SF_9comp_mod3IjEEE10hipError_tT0_T1_T2_T3_mRjT4_P12ihipStream_tbNS1_7vsmem_tEEUlT_E_NS1_11comp_targetILNS1_3genE9ELNS1_11target_archE1100ELNS1_3gpuE3ELNS1_3repE0EEENS1_30default_config_static_selectorELNS0_4arch9wavefront6targetE0EEEvSK_.num_named_barrier, 0
	.set _ZN7rocprim17ROCPRIM_400000_NS6detail17trampoline_kernelINS0_14default_configENS1_37merge_sort_block_sort_config_selectorIjNS0_10empty_typeEEEZNS1_21merge_sort_block_sortIS3_N6thrust23THRUST_200600_302600_NS6detail15normal_iteratorINS9_10device_ptrIjEEEESE_PS5_SF_9comp_mod3IjEEE10hipError_tT0_T1_T2_T3_mRjT4_P12ihipStream_tbNS1_7vsmem_tEEUlT_E_NS1_11comp_targetILNS1_3genE9ELNS1_11target_archE1100ELNS1_3gpuE3ELNS1_3repE0EEENS1_30default_config_static_selectorELNS0_4arch9wavefront6targetE0EEEvSK_.private_seg_size, 0
	.set _ZN7rocprim17ROCPRIM_400000_NS6detail17trampoline_kernelINS0_14default_configENS1_37merge_sort_block_sort_config_selectorIjNS0_10empty_typeEEEZNS1_21merge_sort_block_sortIS3_N6thrust23THRUST_200600_302600_NS6detail15normal_iteratorINS9_10device_ptrIjEEEESE_PS5_SF_9comp_mod3IjEEE10hipError_tT0_T1_T2_T3_mRjT4_P12ihipStream_tbNS1_7vsmem_tEEUlT_E_NS1_11comp_targetILNS1_3genE9ELNS1_11target_archE1100ELNS1_3gpuE3ELNS1_3repE0EEENS1_30default_config_static_selectorELNS0_4arch9wavefront6targetE0EEEvSK_.uses_vcc, 0
	.set _ZN7rocprim17ROCPRIM_400000_NS6detail17trampoline_kernelINS0_14default_configENS1_37merge_sort_block_sort_config_selectorIjNS0_10empty_typeEEEZNS1_21merge_sort_block_sortIS3_N6thrust23THRUST_200600_302600_NS6detail15normal_iteratorINS9_10device_ptrIjEEEESE_PS5_SF_9comp_mod3IjEEE10hipError_tT0_T1_T2_T3_mRjT4_P12ihipStream_tbNS1_7vsmem_tEEUlT_E_NS1_11comp_targetILNS1_3genE9ELNS1_11target_archE1100ELNS1_3gpuE3ELNS1_3repE0EEENS1_30default_config_static_selectorELNS0_4arch9wavefront6targetE0EEEvSK_.uses_flat_scratch, 0
	.set _ZN7rocprim17ROCPRIM_400000_NS6detail17trampoline_kernelINS0_14default_configENS1_37merge_sort_block_sort_config_selectorIjNS0_10empty_typeEEEZNS1_21merge_sort_block_sortIS3_N6thrust23THRUST_200600_302600_NS6detail15normal_iteratorINS9_10device_ptrIjEEEESE_PS5_SF_9comp_mod3IjEEE10hipError_tT0_T1_T2_T3_mRjT4_P12ihipStream_tbNS1_7vsmem_tEEUlT_E_NS1_11comp_targetILNS1_3genE9ELNS1_11target_archE1100ELNS1_3gpuE3ELNS1_3repE0EEENS1_30default_config_static_selectorELNS0_4arch9wavefront6targetE0EEEvSK_.has_dyn_sized_stack, 0
	.set _ZN7rocprim17ROCPRIM_400000_NS6detail17trampoline_kernelINS0_14default_configENS1_37merge_sort_block_sort_config_selectorIjNS0_10empty_typeEEEZNS1_21merge_sort_block_sortIS3_N6thrust23THRUST_200600_302600_NS6detail15normal_iteratorINS9_10device_ptrIjEEEESE_PS5_SF_9comp_mod3IjEEE10hipError_tT0_T1_T2_T3_mRjT4_P12ihipStream_tbNS1_7vsmem_tEEUlT_E_NS1_11comp_targetILNS1_3genE9ELNS1_11target_archE1100ELNS1_3gpuE3ELNS1_3repE0EEENS1_30default_config_static_selectorELNS0_4arch9wavefront6targetE0EEEvSK_.has_recursion, 0
	.set _ZN7rocprim17ROCPRIM_400000_NS6detail17trampoline_kernelINS0_14default_configENS1_37merge_sort_block_sort_config_selectorIjNS0_10empty_typeEEEZNS1_21merge_sort_block_sortIS3_N6thrust23THRUST_200600_302600_NS6detail15normal_iteratorINS9_10device_ptrIjEEEESE_PS5_SF_9comp_mod3IjEEE10hipError_tT0_T1_T2_T3_mRjT4_P12ihipStream_tbNS1_7vsmem_tEEUlT_E_NS1_11comp_targetILNS1_3genE9ELNS1_11target_archE1100ELNS1_3gpuE3ELNS1_3repE0EEENS1_30default_config_static_selectorELNS0_4arch9wavefront6targetE0EEEvSK_.has_indirect_call, 0
	.section	.AMDGPU.csdata,"",@progbits
; Kernel info:
; codeLenInByte = 0
; TotalNumSgprs: 0
; NumVgprs: 0
; ScratchSize: 0
; MemoryBound: 0
; FloatMode: 240
; IeeeMode: 1
; LDSByteSize: 0 bytes/workgroup (compile time only)
; SGPRBlocks: 0
; VGPRBlocks: 0
; NumSGPRsForWavesPerEU: 1
; NumVGPRsForWavesPerEU: 1
; Occupancy: 16
; WaveLimiterHint : 0
; COMPUTE_PGM_RSRC2:SCRATCH_EN: 0
; COMPUTE_PGM_RSRC2:USER_SGPR: 6
; COMPUTE_PGM_RSRC2:TRAP_HANDLER: 0
; COMPUTE_PGM_RSRC2:TGID_X_EN: 1
; COMPUTE_PGM_RSRC2:TGID_Y_EN: 0
; COMPUTE_PGM_RSRC2:TGID_Z_EN: 0
; COMPUTE_PGM_RSRC2:TIDIG_COMP_CNT: 0
	.section	.text._ZN7rocprim17ROCPRIM_400000_NS6detail17trampoline_kernelINS0_14default_configENS1_37merge_sort_block_sort_config_selectorIjNS0_10empty_typeEEEZNS1_21merge_sort_block_sortIS3_N6thrust23THRUST_200600_302600_NS6detail15normal_iteratorINS9_10device_ptrIjEEEESE_PS5_SF_9comp_mod3IjEEE10hipError_tT0_T1_T2_T3_mRjT4_P12ihipStream_tbNS1_7vsmem_tEEUlT_E_NS1_11comp_targetILNS1_3genE8ELNS1_11target_archE1030ELNS1_3gpuE2ELNS1_3repE0EEENS1_30default_config_static_selectorELNS0_4arch9wavefront6targetE0EEEvSK_,"axG",@progbits,_ZN7rocprim17ROCPRIM_400000_NS6detail17trampoline_kernelINS0_14default_configENS1_37merge_sort_block_sort_config_selectorIjNS0_10empty_typeEEEZNS1_21merge_sort_block_sortIS3_N6thrust23THRUST_200600_302600_NS6detail15normal_iteratorINS9_10device_ptrIjEEEESE_PS5_SF_9comp_mod3IjEEE10hipError_tT0_T1_T2_T3_mRjT4_P12ihipStream_tbNS1_7vsmem_tEEUlT_E_NS1_11comp_targetILNS1_3genE8ELNS1_11target_archE1030ELNS1_3gpuE2ELNS1_3repE0EEENS1_30default_config_static_selectorELNS0_4arch9wavefront6targetE0EEEvSK_,comdat
	.protected	_ZN7rocprim17ROCPRIM_400000_NS6detail17trampoline_kernelINS0_14default_configENS1_37merge_sort_block_sort_config_selectorIjNS0_10empty_typeEEEZNS1_21merge_sort_block_sortIS3_N6thrust23THRUST_200600_302600_NS6detail15normal_iteratorINS9_10device_ptrIjEEEESE_PS5_SF_9comp_mod3IjEEE10hipError_tT0_T1_T2_T3_mRjT4_P12ihipStream_tbNS1_7vsmem_tEEUlT_E_NS1_11comp_targetILNS1_3genE8ELNS1_11target_archE1030ELNS1_3gpuE2ELNS1_3repE0EEENS1_30default_config_static_selectorELNS0_4arch9wavefront6targetE0EEEvSK_ ; -- Begin function _ZN7rocprim17ROCPRIM_400000_NS6detail17trampoline_kernelINS0_14default_configENS1_37merge_sort_block_sort_config_selectorIjNS0_10empty_typeEEEZNS1_21merge_sort_block_sortIS3_N6thrust23THRUST_200600_302600_NS6detail15normal_iteratorINS9_10device_ptrIjEEEESE_PS5_SF_9comp_mod3IjEEE10hipError_tT0_T1_T2_T3_mRjT4_P12ihipStream_tbNS1_7vsmem_tEEUlT_E_NS1_11comp_targetILNS1_3genE8ELNS1_11target_archE1030ELNS1_3gpuE2ELNS1_3repE0EEENS1_30default_config_static_selectorELNS0_4arch9wavefront6targetE0EEEvSK_
	.globl	_ZN7rocprim17ROCPRIM_400000_NS6detail17trampoline_kernelINS0_14default_configENS1_37merge_sort_block_sort_config_selectorIjNS0_10empty_typeEEEZNS1_21merge_sort_block_sortIS3_N6thrust23THRUST_200600_302600_NS6detail15normal_iteratorINS9_10device_ptrIjEEEESE_PS5_SF_9comp_mod3IjEEE10hipError_tT0_T1_T2_T3_mRjT4_P12ihipStream_tbNS1_7vsmem_tEEUlT_E_NS1_11comp_targetILNS1_3genE8ELNS1_11target_archE1030ELNS1_3gpuE2ELNS1_3repE0EEENS1_30default_config_static_selectorELNS0_4arch9wavefront6targetE0EEEvSK_
	.p2align	8
	.type	_ZN7rocprim17ROCPRIM_400000_NS6detail17trampoline_kernelINS0_14default_configENS1_37merge_sort_block_sort_config_selectorIjNS0_10empty_typeEEEZNS1_21merge_sort_block_sortIS3_N6thrust23THRUST_200600_302600_NS6detail15normal_iteratorINS9_10device_ptrIjEEEESE_PS5_SF_9comp_mod3IjEEE10hipError_tT0_T1_T2_T3_mRjT4_P12ihipStream_tbNS1_7vsmem_tEEUlT_E_NS1_11comp_targetILNS1_3genE8ELNS1_11target_archE1030ELNS1_3gpuE2ELNS1_3repE0EEENS1_30default_config_static_selectorELNS0_4arch9wavefront6targetE0EEEvSK_,@function
_ZN7rocprim17ROCPRIM_400000_NS6detail17trampoline_kernelINS0_14default_configENS1_37merge_sort_block_sort_config_selectorIjNS0_10empty_typeEEEZNS1_21merge_sort_block_sortIS3_N6thrust23THRUST_200600_302600_NS6detail15normal_iteratorINS9_10device_ptrIjEEEESE_PS5_SF_9comp_mod3IjEEE10hipError_tT0_T1_T2_T3_mRjT4_P12ihipStream_tbNS1_7vsmem_tEEUlT_E_NS1_11comp_targetILNS1_3genE8ELNS1_11target_archE1030ELNS1_3gpuE2ELNS1_3repE0EEENS1_30default_config_static_selectorELNS0_4arch9wavefront6targetE0EEEvSK_: ; @_ZN7rocprim17ROCPRIM_400000_NS6detail17trampoline_kernelINS0_14default_configENS1_37merge_sort_block_sort_config_selectorIjNS0_10empty_typeEEEZNS1_21merge_sort_block_sortIS3_N6thrust23THRUST_200600_302600_NS6detail15normal_iteratorINS9_10device_ptrIjEEEESE_PS5_SF_9comp_mod3IjEEE10hipError_tT0_T1_T2_T3_mRjT4_P12ihipStream_tbNS1_7vsmem_tEEUlT_E_NS1_11comp_targetILNS1_3genE8ELNS1_11target_archE1030ELNS1_3gpuE2ELNS1_3repE0EEENS1_30default_config_static_selectorELNS0_4arch9wavefront6targetE0EEEvSK_
; %bb.0:
	s_clause 0x1
	s_load_dwordx2 s[12:13], s[4:5], 0x40
	s_load_dword s0, s[4:5], 0x0
	s_add_u32 s10, s4, 64
	s_addc_u32 s11, s5, 0
	s_waitcnt lgkmcnt(0)
	s_mul_i32 s1, s13, s8
	s_add_i32 s1, s1, s7
	s_mul_i32 s1, s1, s12
	s_add_i32 s8, s1, s6
	s_cmp_ge_u32 s8, s0
	s_cbranch_scc1 .LBB815_670
; %bb.1:
	s_clause 0x2
	s_load_dwordx2 s[16:17], s[4:5], 0x8
	s_load_dwordx4 s[0:3], s[4:5], 0x18
	s_load_dwordx2 s[14:15], s[4:5], 0x38
	s_mov_b32 s9, 0
	v_mov_b32_e32 v3, v1
	s_lshl_b64 s[4:5], s[8:9], 13
	v_lshlrev_b32_e32 v27, 2, v0
	v_lshrrev_b32_e32 v34, 3, v0
	v_or_b32_e32 v36, 0x100, v0
	v_or_b32_e32 v35, 0x200, v0
	;; [unrolled: 1-line block ×7, first 2 shown]
	v_and_b32_e32 v28, 0xfc, v0
	s_waitcnt lgkmcnt(0)
	s_lshr_b64 s[20:21], s[16:17], 11
	s_add_u32 s7, s0, s4
	s_addc_u32 s13, s1, s5
	s_add_u32 s17, s2, s4
	s_addc_u32 s18, s3, s5
	s_cmp_lg_u64 s[20:21], s[8:9]
	s_cbranch_scc0 .LBB815_327
; %bb.2:
	v_add_co_u32 v4, s0, s7, v27
	v_add_co_ci_u32_e64 v5, null, s13, 0, s0
	v_lshrrev_b32_e32 v12, 3, v36
	v_add_co_u32 v6, vcc_lo, 0x800, v4
	v_add_co_ci_u32_e64 v7, null, 0, v5, vcc_lo
	v_add_co_u32 v8, vcc_lo, 0x1000, v4
	v_add_co_ci_u32_e64 v9, null, 0, v5, vcc_lo
	;; [unrolled: 2-line block ×3, first 2 shown]
	s_clause 0x7
	flat_load_dword v1, v[4:5]
	flat_load_dword v4, v[4:5] offset:1024
	flat_load_dword v5, v[6:7]
	flat_load_dword v6, v[6:7] offset:1024
	;; [unrolled: 2-line block ×4, first 2 shown]
	v_and_b32_e32 v11, 28, v34
	v_lshrrev_b32_e32 v13, 3, v35
	v_lshrrev_b32_e32 v14, 3, v33
	;; [unrolled: 1-line block ×6, first 2 shown]
	v_add_nc_u32_e32 v37, v11, v27
	v_and_b32_e32 v11, 60, v12
	v_and_b32_e32 v12, 0x5c, v13
	;; [unrolled: 1-line block ×4, first 2 shown]
	v_lshl_add_u32 v43, v0, 5, v28
	v_and_b32_e32 v15, 0xbc, v16
	v_and_b32_e32 v16, 0xdc, v17
	;; [unrolled: 1-line block ×3, first 2 shown]
	v_add_nc_u32_e32 v44, v11, v27
	v_add_nc_u32_e32 v45, v12, v27
	v_add_nc_u32_e32 v38, v13, v27
	v_add_nc_u32_e32 v39, v14, v27
	v_add_nc_u32_e32 v40, v15, v27
	v_add_nc_u32_e32 v41, v16, v27
	v_add_nc_u32_e32 v42, v17, v27
	s_mov_b32 s3, exec_lo
	s_waitcnt vmcnt(7) lgkmcnt(7)
	ds_write_b32 v37, v1
	s_waitcnt vmcnt(6) lgkmcnt(7)
	ds_write_b32 v44, v4 offset:1024
	s_waitcnt vmcnt(5) lgkmcnt(7)
	ds_write_b32 v45, v5 offset:2048
	;; [unrolled: 2-line block ×7, first 2 shown]
	s_waitcnt lgkmcnt(0)
	s_barrier
	buffer_gl0_inv
	ds_read2_b32 v[4:5], v43 offset1:1
	ds_read2_b32 v[6:7], v43 offset0:2 offset1:3
	ds_read2_b32 v[8:9], v43 offset0:4 offset1:5
	;; [unrolled: 1-line block ×3, first 2 shown]
	s_waitcnt lgkmcnt(0)
	s_barrier
	buffer_gl0_inv
	s_load_dword s0, s[10:11], 0xc
	v_mov_b32_e32 v1, 0
	s_waitcnt lgkmcnt(0)
	s_lshr_b32 s2, s0, 16
	s_cmp_lt_u32 s6, s12
	v_mad_u32_u24 v13, v2, s2, v3
	s_cselect_b32 s0, 12, 18
	s_add_u32 s0, s10, s0
	s_addc_u32 s1, s11, 0
	global_load_ushort v12, v1, s[0:1]
	s_waitcnt vmcnt(0)
	v_mul_lo_u32 v12, v13, v12
	v_add_lshl_u32 v20, v12, v0, 3
	v_mov_b32_e32 v12, v4
	v_cmpx_gt_u32_e32 0x800, v20
	s_cbranch_execz .LBB815_6
; %bb.3:
	v_ashrrev_i32_e32 v13, 31, v5
	v_mov_b32_e32 v12, v5
	v_ashrrev_i32_e32 v15, 31, v4
	v_mov_b32_e32 v14, v4
	v_ashrrev_i32_e32 v17, 31, v7
	v_mov_b32_e32 v16, v7
	v_lshlrev_b64 v[12:13], 2, v[12:13]
	v_ashrrev_i32_e32 v19, 31, v6
	v_mov_b32_e32 v18, v6
	v_lshlrev_b64 v[14:15], 2, v[14:15]
	v_ashrrev_i32_e32 v22, 31, v9
	v_mov_b32_e32 v21, v9
	;; [unrolled: 3-line block ×3, first 2 shown]
	v_add_co_u32 v12, vcc_lo, s14, v12
	v_lshlrev_b64 v[18:19], 2, v[18:19]
	v_ashrrev_i32_e32 v26, 31, v11
	v_mov_b32_e32 v25, v11
	v_add_co_ci_u32_e64 v13, null, s15, v13, vcc_lo
	v_add_co_u32 v14, vcc_lo, s14, v14
	v_lshlrev_b64 v[21:22], 2, v[21:22]
	v_ashrrev_i32_e32 v47, 31, v10
	v_mov_b32_e32 v46, v10
	v_add_co_ci_u32_e64 v15, null, s15, v15, vcc_lo
	v_add_co_u32 v16, vcc_lo, s14, v16
	v_lshlrev_b64 v[23:24], 2, v[23:24]
	v_add_co_ci_u32_e64 v17, null, s15, v17, vcc_lo
	v_add_co_u32 v18, vcc_lo, s14, v18
	v_lshlrev_b64 v[25:26], 2, v[25:26]
	;; [unrolled: 3-line block ×3, first 2 shown]
	v_add_co_ci_u32_e64 v22, null, s15, v22, vcc_lo
	v_add_co_u32 v23, vcc_lo, s14, v23
	v_add_co_ci_u32_e64 v24, null, s15, v24, vcc_lo
	v_add_co_u32 v25, vcc_lo, s14, v25
	;; [unrolled: 2-line block ×3, first 2 shown]
	v_add_co_ci_u32_e64 v47, null, s15, v47, vcc_lo
	s_clause 0x7
	global_load_dword v12, v[12:13], off
	global_load_dword v13, v[14:15], off
	;; [unrolled: 1-line block ×8, first 2 shown]
	s_waitcnt vmcnt(6)
	v_cmp_lt_u32_e32 vcc_lo, v12, v13
	s_waitcnt vmcnt(4)
	v_cmp_lt_u32_e64 s0, v14, v15
	s_waitcnt vmcnt(2)
	v_cmp_lt_u32_e64 s1, v16, v17
	v_cndmask_b32_e32 v12, v4, v5, vcc_lo
	s_waitcnt vmcnt(0)
	v_cmp_lt_u32_e64 s2, v18, v19
	v_cndmask_b32_e64 v14, v7, v6, s0
	v_cndmask_b32_e64 v6, v6, v7, s0
	;; [unrolled: 1-line block ×3, first 2 shown]
	v_cndmask_b32_e32 v4, v5, v4, vcc_lo
	v_cndmask_b32_e64 v8, v8, v9, s1
	v_ashrrev_i32_e32 v15, 31, v14
	v_ashrrev_i32_e32 v7, 31, v6
	;; [unrolled: 1-line block ×3, first 2 shown]
	v_cndmask_b32_e64 v18, v11, v10, s2
	v_cndmask_b32_e64 v10, v10, v11, s2
	v_lshlrev_b64 v[21:22], 2, v[14:15]
	v_ashrrev_i32_e32 v5, 31, v4
	v_lshlrev_b64 v[23:24], 2, v[16:17]
	v_ashrrev_i32_e32 v9, 31, v8
	;; [unrolled: 2-line block ×3, first 2 shown]
	v_lshlrev_b64 v[46:47], 2, v[4:5]
	v_add_co_u32 v21, vcc_lo, s14, v21
	v_lshlrev_b64 v[48:49], 2, v[8:9]
	v_add_co_ci_u32_e64 v22, null, s15, v22, vcc_lo
	v_add_co_u32 v23, vcc_lo, s14, v23
	v_lshlrev_b64 v[50:51], 2, v[10:11]
	v_add_co_ci_u32_e64 v24, null, s15, v24, vcc_lo
	v_add_co_u32 v25, vcc_lo, s14, v25
	v_add_co_ci_u32_e64 v26, null, s15, v26, vcc_lo
	v_add_co_u32 v46, vcc_lo, s14, v46
	;; [unrolled: 2-line block ×4, first 2 shown]
	v_add_co_ci_u32_e64 v51, null, s15, v51, vcc_lo
	s_clause 0x5
	global_load_dword v5, v[25:26], off
	global_load_dword v7, v[46:47], off
	;; [unrolled: 1-line block ×6, first 2 shown]
	v_ashrrev_i32_e32 v13, 31, v12
	v_ashrrev_i32_e32 v19, 31, v18
	v_lshlrev_b64 v[21:22], 2, v[12:13]
	v_lshlrev_b64 v[23:24], 2, v[18:19]
	v_add_co_u32 v21, vcc_lo, s14, v21
	v_add_co_ci_u32_e64 v22, null, s15, v22, vcc_lo
	v_add_co_u32 v23, vcc_lo, s14, v23
	v_add_co_ci_u32_e64 v24, null, s15, v24, vcc_lo
	s_clause 0x1
	global_load_dword v19, v[21:22], off
	global_load_dword v50, v[23:24], off
	s_waitcnt vmcnt(6)
	v_cmp_lt_u32_e32 vcc_lo, v5, v7
	s_waitcnt vmcnt(4)
	v_cmp_lt_u32_e64 s0, v9, v11
	s_waitcnt vmcnt(2)
	v_cmp_lt_u32_e64 s1, v15, v17
	v_cndmask_b32_e32 v5, v6, v4, vcc_lo
	v_cndmask_b32_e32 v13, v4, v6, vcc_lo
	v_cndmask_b32_e64 v7, v8, v14, s0
	v_cndmask_b32_e64 v15, v14, v8, s0
	v_cndmask_b32_e64 v21, v16, v10, s1
	v_ashrrev_i32_e32 v6, 31, v5
	v_ashrrev_i32_e32 v14, 31, v13
	;; [unrolled: 1-line block ×3, first 2 shown]
	v_cndmask_b32_e64 v9, v10, v16, s1
	v_ashrrev_i32_e32 v16, 31, v15
	v_lshlrev_b64 v[23:24], 2, v[5:6]
	v_ashrrev_i32_e32 v22, 31, v21
	v_lshlrev_b64 v[25:26], 2, v[7:8]
	v_lshlrev_b64 v[46:47], 2, v[13:14]
	v_ashrrev_i32_e32 v10, 31, v9
	v_lshlrev_b64 v[16:17], 2, v[15:16]
	v_lshlrev_b64 v[48:49], 2, v[21:22]
	v_add_co_u32 v22, vcc_lo, s14, v23
	v_add_co_ci_u32_e64 v23, null, s15, v24, vcc_lo
	v_add_co_u32 v24, vcc_lo, s14, v25
	v_lshlrev_b64 v[10:11], 2, v[9:10]
	v_add_co_ci_u32_e64 v25, null, s15, v26, vcc_lo
	v_add_co_u32 v46, vcc_lo, s14, v46
	v_add_co_ci_u32_e64 v47, null, s15, v47, vcc_lo
	v_add_co_u32 v16, vcc_lo, s14, v16
	;; [unrolled: 2-line block ×4, first 2 shown]
	v_add_co_ci_u32_e64 v11, null, s15, v11, vcc_lo
	s_clause 0x5
	global_load_dword v4, v[46:47], off
	global_load_dword v6, v[16:17], off
	;; [unrolled: 1-line block ×6, first 2 shown]
	s_waitcnt vmcnt(5)
	v_cmp_lt_u32_e32 vcc_lo, v4, v19
	s_waitcnt vmcnt(3)
	v_cmp_lt_u32_e64 s0, v6, v8
	s_waitcnt vmcnt(1)
	v_cmp_lt_u32_e64 s1, v14, v16
	s_waitcnt vmcnt(0)
	v_cmp_lt_u32_e64 s2, v50, v10
	v_cndmask_b32_e32 v4, v12, v13, vcc_lo
	v_cndmask_b32_e64 v6, v15, v5, s0
	v_cndmask_b32_e64 v14, v5, v15, s0
	;; [unrolled: 1-line block ×4, first 2 shown]
	v_cndmask_b32_e32 v12, v13, v12, vcc_lo
	v_ashrrev_i32_e32 v7, 31, v6
	v_cndmask_b32_e64 v10, v18, v9, s2
	v_cndmask_b32_e64 v18, v9, v18, s2
	v_ashrrev_i32_e32 v9, 31, v8
	v_ashrrev_i32_e32 v15, 31, v14
	v_lshlrev_b64 v[21:22], 2, v[6:7]
	v_ashrrev_i32_e32 v13, 31, v12
	v_ashrrev_i32_e32 v17, 31, v16
	v_lshlrev_b64 v[23:24], 2, v[8:9]
	v_lshlrev_b64 v[25:26], 2, v[14:15]
	v_ashrrev_i32_e32 v19, 31, v18
	v_lshlrev_b64 v[46:47], 2, v[12:13]
	v_add_co_u32 v21, vcc_lo, s14, v21
	v_lshlrev_b64 v[48:49], 2, v[16:17]
	v_add_co_ci_u32_e64 v22, null, s15, v22, vcc_lo
	v_add_co_u32 v23, vcc_lo, s14, v23
	v_lshlrev_b64 v[50:51], 2, v[18:19]
	v_add_co_ci_u32_e64 v24, null, s15, v24, vcc_lo
	v_add_co_u32 v25, vcc_lo, s14, v25
	v_add_co_ci_u32_e64 v26, null, s15, v26, vcc_lo
	v_add_co_u32 v46, vcc_lo, s14, v46
	;; [unrolled: 2-line block ×4, first 2 shown]
	v_add_co_ci_u32_e64 v51, null, s15, v51, vcc_lo
	s_clause 0x5
	global_load_dword v7, v[25:26], off
	global_load_dword v9, v[46:47], off
	;; [unrolled: 1-line block ×6, first 2 shown]
	v_ashrrev_i32_e32 v5, 31, v4
	v_ashrrev_i32_e32 v11, 31, v10
	v_lshlrev_b64 v[21:22], 2, v[4:5]
	v_lshlrev_b64 v[23:24], 2, v[10:11]
	v_add_co_u32 v21, vcc_lo, s14, v21
	v_add_co_ci_u32_e64 v22, null, s15, v22, vcc_lo
	v_add_co_u32 v23, vcc_lo, s14, v23
	v_add_co_ci_u32_e64 v24, null, s15, v24, vcc_lo
	s_clause 0x1
	global_load_dword v48, v[21:22], off
	global_load_dword v49, v[23:24], off
	s_waitcnt vmcnt(6)
	v_cmp_lt_u32_e32 vcc_lo, v7, v9
	s_waitcnt vmcnt(4)
	v_cmp_lt_u32_e64 s0, v13, v15
	s_waitcnt vmcnt(2)
	v_cmp_lt_u32_e64 s1, v17, v19
	v_cndmask_b32_e32 v5, v14, v12, vcc_lo
	v_cndmask_b32_e32 v13, v12, v14, vcc_lo
	v_cndmask_b32_e64 v7, v16, v6, s0
	v_cndmask_b32_e64 v15, v6, v16, s0
	;; [unrolled: 1-line block ×3, first 2 shown]
	v_ashrrev_i32_e32 v6, 31, v5
	v_cndmask_b32_e64 v17, v8, v18, s1
	v_ashrrev_i32_e32 v8, 31, v7
	v_ashrrev_i32_e32 v14, 31, v13
	v_ashrrev_i32_e32 v16, 31, v15
	v_lshlrev_b64 v[21:22], 2, v[5:6]
	v_ashrrev_i32_e32 v18, 31, v17
	v_lshlrev_b64 v[8:9], 2, v[7:8]
	v_lshlrev_b64 v[25:26], 2, v[13:14]
	v_ashrrev_i32_e32 v12, 31, v11
	v_lshlrev_b64 v[46:47], 2, v[15:16]
	v_add_co_u32 v21, vcc_lo, s14, v21
	v_lshlrev_b64 v[18:19], 2, v[17:18]
	v_add_co_ci_u32_e64 v22, null, s15, v22, vcc_lo
	v_add_co_u32 v8, vcc_lo, s14, v8
	v_lshlrev_b64 v[23:24], 2, v[11:12]
	v_add_co_ci_u32_e64 v9, null, s15, v9, vcc_lo
	v_add_co_u32 v25, vcc_lo, s14, v25
	v_add_co_ci_u32_e64 v26, null, s15, v26, vcc_lo
	v_add_co_u32 v46, vcc_lo, s14, v46
	;; [unrolled: 2-line block ×4, first 2 shown]
	v_add_co_ci_u32_e64 v24, null, s15, v24, vcc_lo
	s_clause 0x5
	global_load_dword v6, v[25:26], off
	global_load_dword v12, v[46:47], off
	;; [unrolled: 1-line block ×6, first 2 shown]
	s_waitcnt vmcnt(5)
	v_cmp_lt_u32_e32 vcc_lo, v6, v48
	s_waitcnt vmcnt(3)
	v_cmp_lt_u32_e64 s0, v12, v14
	s_waitcnt vmcnt(1)
	v_cmp_lt_u32_e64 s1, v16, v9
	;; [unrolled: 2-line block ×3, first 2 shown]
	v_cndmask_b32_e32 v6, v4, v13, vcc_lo
	v_cndmask_b32_e64 v8, v15, v5, s0
	v_cndmask_b32_e64 v16, v5, v15, s0
	;; [unrolled: 1-line block ×3, first 2 shown]
	v_cndmask_b32_e32 v4, v13, v4, vcc_lo
	v_cndmask_b32_e64 v18, v7, v17, s1
	v_ashrrev_i32_e32 v9, 31, v8
	v_ashrrev_i32_e32 v17, 31, v16
	;; [unrolled: 1-line block ×3, first 2 shown]
	v_cndmask_b32_e64 v14, v10, v11, s2
	v_cndmask_b32_e64 v10, v11, v10, s2
	v_lshlrev_b64 v[21:22], 2, v[8:9]
	v_ashrrev_i32_e32 v5, 31, v4
	v_lshlrev_b64 v[23:24], 2, v[12:13]
	v_ashrrev_i32_e32 v19, 31, v18
	;; [unrolled: 2-line block ×3, first 2 shown]
	v_lshlrev_b64 v[46:47], 2, v[4:5]
	v_add_co_u32 v21, vcc_lo, s14, v21
	v_lshlrev_b64 v[48:49], 2, v[18:19]
	v_add_co_ci_u32_e64 v22, null, s15, v22, vcc_lo
	v_add_co_u32 v23, vcc_lo, s14, v23
	v_lshlrev_b64 v[50:51], 2, v[10:11]
	v_add_co_ci_u32_e64 v24, null, s15, v24, vcc_lo
	v_add_co_u32 v25, vcc_lo, s14, v25
	v_add_co_ci_u32_e64 v26, null, s15, v26, vcc_lo
	v_add_co_u32 v46, vcc_lo, s14, v46
	;; [unrolled: 2-line block ×4, first 2 shown]
	v_add_co_ci_u32_e64 v51, null, s15, v51, vcc_lo
	s_clause 0x5
	global_load_dword v5, v[25:26], off
	global_load_dword v9, v[46:47], off
	;; [unrolled: 1-line block ×6, first 2 shown]
	v_ashrrev_i32_e32 v7, 31, v6
	v_ashrrev_i32_e32 v15, 31, v14
	v_lshlrev_b64 v[21:22], 2, v[6:7]
	v_lshlrev_b64 v[23:24], 2, v[14:15]
	v_add_co_u32 v21, vcc_lo, s14, v21
	v_add_co_ci_u32_e64 v22, null, s15, v22, vcc_lo
	v_add_co_u32 v23, vcc_lo, s14, v23
	v_add_co_ci_u32_e64 v24, null, s15, v24, vcc_lo
	s_clause 0x1
	global_load_dword v50, v[21:22], off
	global_load_dword v51, v[23:24], off
	s_waitcnt vmcnt(6)
	v_cmp_lt_u32_e32 vcc_lo, v5, v9
	s_waitcnt vmcnt(4)
	v_cmp_lt_u32_e64 s0, v11, v13
	s_waitcnt vmcnt(2)
	v_cmp_lt_u32_e64 s1, v17, v19
	v_cndmask_b32_e32 v7, v16, v4, vcc_lo
	v_cndmask_b32_e32 v4, v4, v16, vcc_lo
	v_cndmask_b32_e64 v9, v18, v8, s0
	v_cndmask_b32_e64 v15, v8, v18, s0
	;; [unrolled: 1-line block ×3, first 2 shown]
	v_ashrrev_i32_e32 v8, 31, v7
	v_cndmask_b32_e64 v21, v12, v10, s1
	v_ashrrev_i32_e32 v10, 31, v9
	v_ashrrev_i32_e32 v5, 31, v4
	;; [unrolled: 1-line block ×3, first 2 shown]
	v_lshlrev_b64 v[17:18], 2, v[7:8]
	v_ashrrev_i32_e32 v22, 31, v21
	v_lshlrev_b64 v[23:24], 2, v[9:10]
	v_lshlrev_b64 v[25:26], 2, v[4:5]
	v_ashrrev_i32_e32 v12, 31, v11
	v_lshlrev_b64 v[46:47], 2, v[15:16]
	v_add_co_u32 v16, vcc_lo, s14, v17
	v_lshlrev_b64 v[48:49], 2, v[21:22]
	v_add_co_ci_u32_e64 v17, null, s15, v18, vcc_lo
	v_add_co_u32 v18, vcc_lo, s14, v23
	v_lshlrev_b64 v[12:13], 2, v[11:12]
	v_add_co_ci_u32_e64 v19, null, s15, v24, vcc_lo
	v_add_co_u32 v22, vcc_lo, s14, v25
	v_add_co_ci_u32_e64 v23, null, s15, v26, vcc_lo
	v_add_co_u32 v24, vcc_lo, s14, v46
	;; [unrolled: 2-line block ×4, first 2 shown]
	v_add_co_ci_u32_e64 v13, null, s15, v13, vcc_lo
	s_clause 0x5
	global_load_dword v5, v[22:23], off
	global_load_dword v8, v[24:25], off
	;; [unrolled: 1-line block ×6, first 2 shown]
	s_waitcnt vmcnt(5)
	v_cmp_lt_u32_e32 vcc_lo, v5, v50
	s_waitcnt vmcnt(3)
	v_cmp_lt_u32_e64 s0, v8, v10
	s_waitcnt vmcnt(1)
	v_cmp_lt_u32_e64 s1, v16, v17
	v_cndmask_b32_e32 v8, v4, v6, vcc_lo
	v_cndmask_b32_e32 v12, v6, v4, vcc_lo
	v_cndmask_b32_e64 v5, v15, v7, s0
	v_cndmask_b32_e64 v15, v7, v15, s0
	;; [unrolled: 1-line block ×4, first 2 shown]
	s_waitcnt vmcnt(0)
	v_cmp_lt_u32_e64 s2, v51, v13
	v_ashrrev_i32_e32 v6, 31, v5
	v_ashrrev_i32_e32 v16, 31, v15
	;; [unrolled: 1-line block ×4, first 2 shown]
	v_cndmask_b32_e64 v18, v11, v14, s2
	v_lshlrev_b64 v[6:7], 2, v[5:6]
	v_lshlrev_b64 v[46:47], 2, v[15:16]
	;; [unrolled: 1-line block ×4, first 2 shown]
	v_ashrrev_i32_e32 v24, 31, v18
	v_mov_b32_e32 v23, v18
	v_add_co_u32 v6, vcc_lo, s14, v6
	v_add_co_ci_u32_e64 v7, null, s15, v7, vcc_lo
	v_add_co_u32 v46, vcc_lo, s14, v46
	v_ashrrev_i32_e32 v26, 31, v17
	v_mov_b32_e32 v25, v17
	v_add_co_ci_u32_e64 v47, null, s15, v47, vcc_lo
	v_add_co_u32 v9, vcc_lo, s14, v9
	v_lshlrev_b64 v[23:24], 2, v[23:24]
	v_add_co_ci_u32_e64 v10, null, s15, v10, vcc_lo
	v_add_co_u32 v48, vcc_lo, s14, v48
	v_lshlrev_b64 v[25:26], 2, v[25:26]
	v_add_co_ci_u32_e64 v49, null, s15, v49, vcc_lo
	s_clause 0x3
	global_load_dword v4, v[46:47], off
	global_load_dword v9, v[9:10], off
	;; [unrolled: 1-line block ×4, first 2 shown]
	v_add_co_u32 v22, vcc_lo, s14, v23
	v_add_co_ci_u32_e64 v23, null, s15, v24, vcc_lo
	v_add_co_u32 v6, vcc_lo, s14, v25
	v_add_co_ci_u32_e64 v7, null, s15, v26, vcc_lo
	s_clause 0x1
	global_load_dword v22, v[22:23], off
	global_load_dword v6, v[6:7], off
	v_cndmask_b32_e64 v19, v14, v11, s2
	s_waitcnt vmcnt(4)
	v_cmp_lt_u32_e32 vcc_lo, v4, v9
	s_waitcnt vmcnt(2)
	v_cmp_lt_u32_e64 s0, v10, v13
	v_cndmask_b32_e32 v14, v15, v8, vcc_lo
	v_cndmask_b32_e32 v13, v8, v15, vcc_lo
	v_cndmask_b32_e64 v16, v21, v5, s0
	v_cndmask_b32_e64 v15, v5, v21, s0
	s_waitcnt vmcnt(0)
	v_cmp_lt_u32_e32 vcc_lo, v22, v6
	v_mov_b32_e32 v4, v12
	v_mov_b32_e32 v5, v13
	;; [unrolled: 1-line block ×8, first 2 shown]
	s_and_saveexec_b32 s0, vcc_lo
	s_cbranch_execz .LBB815_5
; %bb.4:
	v_mov_b32_e32 v4, v12
	v_mov_b32_e32 v9, v17
	;; [unrolled: 1-line block ×10, first 2 shown]
.LBB815_5:
	s_or_b32 exec_lo, exec_lo, s0
.LBB815_6:
	s_or_b32 exec_lo, exec_lo, s3
	v_mbcnt_lo_u32_b32 v15, -1, 0
	v_and_b32_e32 v13, 0xffffff00, v20
	s_mov_b32 s0, exec_lo
	v_lshlrev_b32_e32 v49, 3, v15
	v_sub_nc_u32_e64 v48, 0x800, v13 clamp
	v_lshlrev_b32_e32 v47, 2, v13
	v_mov_b32_e32 v13, v5
	v_or_b32_e32 v14, 8, v49
	v_and_b32_e32 v16, 8, v49
	v_and_b32_e32 v18, 0xf0, v49
	v_lshl_or_b32 v50, v15, 5, v47
	v_mov_b32_e32 v15, v7
	v_min_u32_e32 v26, v48, v14
	v_min_u32_e32 v19, v48, v16
	v_add_nc_u32_e32 v14, 8, v26
	v_sub_nc_u32_e32 v17, v26, v18
	v_min_u32_e32 v51, v48, v14
	v_mov_b32_e32 v14, v6
	v_min_u32_e32 v20, v19, v17
	v_lshl_or_b32 v17, v18, 2, v47
	ds_write_b128 v50, v[12:15]
	ds_write_b128 v50, v[8:11] offset:16
	v_sub_nc_u32_e32 v16, v51, v26
	; wave barrier
	v_sub_nc_u32_e64 v16, v19, v16 clamp
	v_cmpx_lt_u32_e64 v16, v20
	s_cbranch_execz .LBB815_10
; %bb.7:
	v_lshlrev_b32_e32 v12, 2, v26
	v_lshlrev_b32_e32 v13, 2, v19
	s_mov_b32 s1, 0
	v_add3_u32 v12, v47, v12, v13
	s_inst_prefetch 0x1
	.p2align	6
.LBB815_8:                              ; =>This Inner Loop Header: Depth=1
	v_add_nc_u32_e32 v13, v20, v16
	v_lshrrev_b32_e32 v15, 1, v13
	v_not_b32_e32 v13, v15
	v_lshl_add_u32 v14, v15, 2, v17
	v_lshl_add_u32 v21, v13, 2, v12
	ds_read_b32 v13, v14
	ds_read_b32 v21, v21
	s_waitcnt lgkmcnt(1)
	v_ashrrev_i32_e32 v14, 31, v13
	s_waitcnt lgkmcnt(0)
	v_ashrrev_i32_e32 v22, 31, v21
	v_lshlrev_b64 v[13:14], 2, v[13:14]
	v_lshlrev_b64 v[21:22], 2, v[21:22]
	v_add_co_u32 v13, vcc_lo, s14, v13
	v_add_co_ci_u32_e64 v14, null, s15, v14, vcc_lo
	v_add_co_u32 v21, vcc_lo, s14, v21
	v_add_co_ci_u32_e64 v22, null, s15, v22, vcc_lo
	s_clause 0x1
	global_load_dword v21, v[21:22], off
	global_load_dword v13, v[13:14], off
	v_add_nc_u32_e32 v14, 1, v15
	s_waitcnt vmcnt(0)
	v_cmp_lt_u32_e32 vcc_lo, v21, v13
	v_cndmask_b32_e32 v20, v20, v15, vcc_lo
	v_cndmask_b32_e32 v16, v14, v16, vcc_lo
	v_cmp_ge_u32_e32 vcc_lo, v16, v20
	s_or_b32 s1, vcc_lo, s1
	s_andn2_b32 exec_lo, exec_lo, s1
	s_cbranch_execnz .LBB815_8
; %bb.9:
	s_inst_prefetch 0x2
	s_or_b32 exec_lo, exec_lo, s1
.LBB815_10:
	s_or_b32 exec_lo, exec_lo, s0
	v_add_nc_u32_e32 v13, v26, v19
	v_add_nc_u32_e32 v12, v16, v18
	v_lshlrev_b32_e32 v46, 3, v0
	v_sub_nc_u32_e32 v13, v13, v16
	v_cmp_le_u32_e32 vcc_lo, v12, v26
	v_cmp_le_u32_e64 s0, v13, v51
	s_or_b32 s0, vcc_lo, s0
	s_and_saveexec_b32 s1, s0
	s_cbranch_execz .LBB815_46
; %bb.11:
	s_mov_b32 s2, exec_lo
	v_cmp_ge_u32_e32 vcc_lo, v12, v26
                                        ; implicit-def: $vgpr4
	v_cmpx_lt_u32_e64 v12, v26
; %bb.12:
	v_lshl_add_u32 v4, v16, 2, v17
	ds_read_b32 v4, v4
; %bb.13:
	s_or_b32 exec_lo, exec_lo, s2
	v_cmp_ge_u32_e64 s2, v13, v51
	s_mov_b32 s3, exec_lo
                                        ; implicit-def: $vgpr6
	v_cmpx_lt_u32_e64 v13, v51
; %bb.14:
	v_lshl_add_u32 v5, v13, 2, v47
	ds_read_b32 v6, v5
; %bb.15:
	s_or_b32 exec_lo, exec_lo, s3
	s_nor_b32 s3, vcc_lo, s2
	s_and_saveexec_b32 s0, s3
	s_cbranch_execz .LBB815_17
; %bb.16:
	s_waitcnt lgkmcnt(0)
	v_ashrrev_i32_e32 v7, 31, v6
	v_ashrrev_i32_e32 v5, 31, v4
	s_andn2_b32 s2, s2, exec_lo
	v_lshlrev_b64 v[7:8], 2, v[6:7]
	v_lshlrev_b64 v[9:10], 2, v[4:5]
	v_add_co_u32 v7, vcc_lo, s14, v7
	v_add_co_ci_u32_e64 v8, null, s15, v8, vcc_lo
	v_add_co_u32 v9, vcc_lo, s14, v9
	v_add_co_ci_u32_e64 v10, null, s15, v10, vcc_lo
	s_clause 0x1
	global_load_dword v5, v[7:8], off
	global_load_dword v7, v[9:10], off
	s_waitcnt vmcnt(0)
	v_cmp_ge_u32_e32 vcc_lo, v5, v7
	s_and_b32 s3, vcc_lo, exec_lo
	s_or_b32 s2, s2, s3
.LBB815_17:
	s_or_b32 exec_lo, exec_lo, s0
	v_cndmask_b32_e64 v5, v13, v12, s2
	v_cndmask_b32_e64 v7, v51, v26, s2
	s_mov_b32 s0, -1
	s_mov_b32 s3, -1
	s_mov_b32 s4, exec_lo
	v_add_nc_u32_e32 v8, 1, v5
	v_add_nc_u32_e32 v5, -1, v7
	v_cndmask_b32_e64 v11, v12, v8, s2
	v_min_u32_e32 v5, v8, v5
	v_lshl_add_u32 v5, v5, 2, v47
	ds_read_b32 v9, v5
	v_cndmask_b32_e64 v5, v8, v13, s2
	s_waitcnt lgkmcnt(0)
	v_cndmask_b32_e64 v7, v9, v6, s2
	v_cndmask_b32_e64 v9, v4, v9, s2
	v_cmpx_lt_u32_e64 v5, v51
	s_cbranch_execz .LBB815_21
; %bb.18:
	s_mov_b32 s5, 0
	s_mov_b32 s3, exec_lo
	v_cmpx_lt_u32_e64 v11, v26
	s_cbranch_execz .LBB815_20
; %bb.19:
	v_ashrrev_i32_e32 v8, 31, v7
	v_ashrrev_i32_e32 v10, 31, v9
	v_lshlrev_b64 v[12:13], 2, v[7:8]
	v_lshlrev_b64 v[14:15], 2, v[9:10]
	v_add_co_u32 v12, vcc_lo, s14, v12
	v_add_co_ci_u32_e64 v13, null, s15, v13, vcc_lo
	v_add_co_u32 v14, vcc_lo, s14, v14
	v_add_co_ci_u32_e64 v15, null, s15, v15, vcc_lo
	s_clause 0x1
	global_load_dword v8, v[12:13], off
	global_load_dword v10, v[14:15], off
	s_waitcnt vmcnt(0)
	v_cmp_ge_u32_e32 vcc_lo, v8, v10
	s_and_b32 s5, vcc_lo, exec_lo
.LBB815_20:
	s_or_b32 exec_lo, exec_lo, s3
	s_orn2_b32 s3, s5, exec_lo
.LBB815_21:
	s_or_b32 exec_lo, exec_lo, s4
	v_cndmask_b32_e64 v8, v5, v11, s3
	v_cndmask_b32_e64 v10, v51, v26, s3
	s_mov_b32 s4, exec_lo
	v_add_nc_u32_e32 v8, 1, v8
	v_add_nc_u32_e32 v10, -1, v10
	v_cndmask_b32_e64 v5, v8, v5, s3
	v_min_u32_e32 v10, v8, v10
	v_cndmask_b32_e64 v8, v11, v8, s3
	v_lshl_add_u32 v10, v10, 2, v47
	ds_read_b32 v12, v10
	s_waitcnt lgkmcnt(0)
	v_cndmask_b32_e64 v10, v12, v7, s3
	v_cndmask_b32_e64 v12, v9, v12, s3
	v_cmpx_lt_u32_e64 v5, v51
	s_cbranch_execz .LBB815_25
; %bb.22:
	s_mov_b32 s5, 0
	s_mov_b32 s0, exec_lo
	v_cmpx_lt_u32_e64 v8, v26
	s_cbranch_execz .LBB815_24
; %bb.23:
	v_ashrrev_i32_e32 v11, 31, v10
	v_ashrrev_i32_e32 v13, 31, v12
	v_lshlrev_b64 v[14:15], 2, v[10:11]
	v_lshlrev_b64 v[16:17], 2, v[12:13]
	v_add_co_u32 v13, vcc_lo, s14, v14
	v_add_co_ci_u32_e64 v14, null, s15, v15, vcc_lo
	v_add_co_u32 v15, vcc_lo, s14, v16
	v_add_co_ci_u32_e64 v16, null, s15, v17, vcc_lo
	s_clause 0x1
	global_load_dword v11, v[13:14], off
	global_load_dword v13, v[15:16], off
	s_waitcnt vmcnt(0)
	v_cmp_ge_u32_e32 vcc_lo, v11, v13
	s_and_b32 s5, vcc_lo, exec_lo
.LBB815_24:
	s_or_b32 exec_lo, exec_lo, s0
	s_orn2_b32 s0, s5, exec_lo
.LBB815_25:
	s_or_b32 exec_lo, exec_lo, s4
	v_cndmask_b32_e64 v11, v5, v8, s0
	v_cndmask_b32_e64 v13, v51, v26, s0
	s_mov_b32 s4, -1
	s_mov_b32 s5, -1
	s_mov_b32 s19, exec_lo
	v_add_nc_u32_e32 v11, 1, v11
	v_add_nc_u32_e32 v13, -1, v13
	v_cndmask_b32_e64 v5, v11, v5, s0
	v_min_u32_e32 v13, v11, v13
	v_cndmask_b32_e64 v8, v8, v11, s0
	v_lshl_add_u32 v13, v13, 2, v47
	ds_read_b32 v14, v13
	s_waitcnt lgkmcnt(0)
	v_cndmask_b32_e64 v13, v14, v10, s0
	v_cndmask_b32_e64 v15, v12, v14, s0
	v_cmpx_lt_u32_e64 v5, v51
	s_cbranch_execz .LBB815_29
; %bb.26:
	s_mov_b32 s20, 0
	s_mov_b32 s5, exec_lo
	v_cmpx_lt_u32_e64 v8, v26
	s_cbranch_execz .LBB815_28
; %bb.27:
	v_ashrrev_i32_e32 v14, 31, v13
	v_ashrrev_i32_e32 v16, 31, v15
	v_lshlrev_b64 v[17:18], 2, v[13:14]
	v_lshlrev_b64 v[19:20], 2, v[15:16]
	v_add_co_u32 v16, vcc_lo, s14, v17
	v_add_co_ci_u32_e64 v17, null, s15, v18, vcc_lo
	v_add_co_u32 v18, vcc_lo, s14, v19
	v_add_co_ci_u32_e64 v19, null, s15, v20, vcc_lo
	s_clause 0x1
	global_load_dword v11, v[16:17], off
	global_load_dword v14, v[18:19], off
	s_waitcnt vmcnt(0)
	v_cmp_ge_u32_e32 vcc_lo, v11, v14
	s_and_b32 s20, vcc_lo, exec_lo
.LBB815_28:
	s_or_b32 exec_lo, exec_lo, s5
	s_orn2_b32 s5, s20, exec_lo
.LBB815_29:
	s_or_b32 exec_lo, exec_lo, s19
	v_cndmask_b32_e64 v11, v5, v8, s5
	v_cndmask_b32_e64 v14, v51, v26, s5
	s_mov_b32 s19, exec_lo
	v_add_nc_u32_e32 v11, 1, v11
	v_add_nc_u32_e32 v14, -1, v14
	v_cndmask_b32_e64 v5, v11, v5, s5
	v_min_u32_e32 v14, v11, v14
	v_cndmask_b32_e64 v8, v8, v11, s5
	v_lshl_add_u32 v14, v14, 2, v47
	ds_read_b32 v14, v14
	s_waitcnt lgkmcnt(0)
	v_cndmask_b32_e64 v16, v14, v13, s5
	v_cndmask_b32_e64 v18, v15, v14, s5
	v_cmpx_lt_u32_e64 v5, v51
	s_cbranch_execz .LBB815_33
; %bb.30:
	s_mov_b32 s20, 0
	s_mov_b32 s4, exec_lo
	v_cmpx_lt_u32_e64 v8, v26
	s_cbranch_execz .LBB815_32
; %bb.31:
	v_ashrrev_i32_e32 v17, 31, v16
	v_ashrrev_i32_e32 v19, 31, v18
	v_lshlrev_b64 v[20:21], 2, v[16:17]
	v_lshlrev_b64 v[22:23], 2, v[18:19]
	v_add_co_u32 v19, vcc_lo, s14, v20
	v_add_co_ci_u32_e64 v20, null, s15, v21, vcc_lo
	v_add_co_u32 v21, vcc_lo, s14, v22
	v_add_co_ci_u32_e64 v22, null, s15, v23, vcc_lo
	s_clause 0x1
	global_load_dword v11, v[19:20], off
	global_load_dword v14, v[21:22], off
	s_waitcnt vmcnt(0)
	v_cmp_ge_u32_e32 vcc_lo, v11, v14
	s_and_b32 s20, vcc_lo, exec_lo
.LBB815_32:
	s_or_b32 exec_lo, exec_lo, s4
	s_orn2_b32 s4, s20, exec_lo
.LBB815_33:
	s_or_b32 exec_lo, exec_lo, s19
	v_cndmask_b32_e64 v11, v5, v8, s4
	v_cndmask_b32_e64 v14, v51, v26, s4
	s_mov_b32 s19, -1
	s_mov_b32 s20, -1
	s_mov_b32 s21, exec_lo
	v_add_nc_u32_e32 v11, 1, v11
	v_add_nc_u32_e32 v14, -1, v14
	v_cndmask_b32_e64 v5, v11, v5, s4
	v_min_u32_e32 v14, v11, v14
	v_cndmask_b32_e64 v8, v8, v11, s4
	v_lshl_add_u32 v14, v14, 2, v47
	ds_read_b32 v14, v14
	s_waitcnt lgkmcnt(0)
	v_cndmask_b32_e64 v19, v14, v16, s4
	v_cndmask_b32_e64 v21, v18, v14, s4
	v_cmpx_lt_u32_e64 v5, v51
	s_cbranch_execz .LBB815_37
; %bb.34:
	s_mov_b32 s22, 0
	s_mov_b32 s20, exec_lo
	v_cmpx_lt_u32_e64 v8, v26
	s_cbranch_execz .LBB815_36
; %bb.35:
	v_ashrrev_i32_e32 v20, 31, v19
	v_ashrrev_i32_e32 v22, 31, v21
	v_lshlrev_b64 v[23:24], 2, v[19:20]
	v_lshlrev_b64 v[52:53], 2, v[21:22]
	v_add_co_u32 v22, vcc_lo, s14, v23
	v_add_co_ci_u32_e64 v23, null, s15, v24, vcc_lo
	v_add_co_u32 v24, vcc_lo, s14, v52
	v_add_co_ci_u32_e64 v25, null, s15, v53, vcc_lo
	s_clause 0x1
	global_load_dword v11, v[22:23], off
	global_load_dword v14, v[24:25], off
	s_waitcnt vmcnt(0)
	v_cmp_ge_u32_e32 vcc_lo, v11, v14
	s_and_b32 s22, vcc_lo, exec_lo
.LBB815_36:
	s_or_b32 exec_lo, exec_lo, s20
	s_orn2_b32 s20, s22, exec_lo
.LBB815_37:
	s_or_b32 exec_lo, exec_lo, s21
	v_cndmask_b32_e64 v11, v5, v8, s20
	v_cndmask_b32_e64 v14, v51, v26, s20
	s_mov_b32 s21, exec_lo
	v_add_nc_u32_e32 v17, 1, v11
	v_add_nc_u32_e32 v11, -1, v14
	v_min_u32_e32 v11, v17, v11
	v_lshl_add_u32 v11, v11, 2, v47
	ds_read_b32 v14, v11
	v_cndmask_b32_e64 v11, v17, v5, s20
	v_cndmask_b32_e64 v5, v8, v17, s20
	s_waitcnt lgkmcnt(0)
	v_cndmask_b32_e64 v22, v14, v19, s20
	v_cndmask_b32_e64 v24, v21, v14, s20
	v_cmpx_lt_u32_e64 v11, v51
	s_cbranch_execz .LBB815_41
; %bb.38:
	s_mov_b32 s22, 0
	s_mov_b32 s19, exec_lo
	v_cmpx_lt_u32_e64 v5, v26
	s_cbranch_execz .LBB815_40
; %bb.39:
	v_ashrrev_i32_e32 v23, 31, v22
	v_ashrrev_i32_e32 v25, 31, v24
	v_lshlrev_b64 v[52:53], 2, v[22:23]
	v_lshlrev_b64 v[54:55], 2, v[24:25]
	v_add_co_u32 v52, vcc_lo, s14, v52
	v_add_co_ci_u32_e64 v53, null, s15, v53, vcc_lo
	v_add_co_u32 v54, vcc_lo, s14, v54
	v_add_co_ci_u32_e64 v55, null, s15, v55, vcc_lo
	s_clause 0x1
	global_load_dword v8, v[52:53], off
	global_load_dword v14, v[54:55], off
	s_waitcnt vmcnt(0)
	v_cmp_ge_u32_e32 vcc_lo, v8, v14
	s_and_b32 s22, vcc_lo, exec_lo
.LBB815_40:
	s_or_b32 exec_lo, exec_lo, s19
	s_orn2_b32 s19, s22, exec_lo
.LBB815_41:
	s_or_b32 exec_lo, exec_lo, s21
	v_cndmask_b32_e64 v8, v11, v5, s19
	v_cndmask_b32_e64 v14, v51, v26, s19
	s_mov_b32 s21, exec_lo
	v_add_nc_u32_e32 v8, 1, v8
	v_add_nc_u32_e32 v14, -1, v14
	v_cndmask_b32_e64 v17, v8, v11, s19
	v_min_u32_e32 v14, v8, v14
	v_lshl_add_u32 v14, v14, 2, v47
	ds_read_b32 v14, v14
	s_waitcnt lgkmcnt(0)
	v_cndmask_b32_e64 v11, v24, v14, s19
	v_cmpx_lt_u32_e64 v17, v51
	s_cbranch_execz .LBB815_45
; %bb.42:
	v_cndmask_b32_e64 v5, v5, v8, s19
	v_cndmask_b32_e64 v25, v14, v22, s19
	s_mov_b32 s22, exec_lo
	v_cmpx_lt_u32_e64 v5, v26
	s_cbranch_execz .LBB815_44
; %bb.43:
	v_ashrrev_i32_e32 v26, 31, v25
	v_ashrrev_i32_e32 v52, 31, v11
	v_mov_b32_e32 v51, v11
	v_lshlrev_b64 v[53:54], 2, v[25:26]
	v_lshlrev_b64 v[51:52], 2, v[51:52]
	v_add_co_u32 v53, vcc_lo, s14, v53
	v_add_co_ci_u32_e64 v54, null, s15, v54, vcc_lo
	v_add_co_u32 v51, vcc_lo, s14, v51
	v_add_co_ci_u32_e64 v52, null, s15, v52, vcc_lo
	s_clause 0x1
	global_load_dword v5, v[53:54], off
	global_load_dword v8, v[51:52], off
	s_waitcnt vmcnt(0)
	v_cmp_lt_u32_e32 vcc_lo, v5, v8
	v_cndmask_b32_e32 v25, v11, v25, vcc_lo
.LBB815_44:
	s_or_b32 exec_lo, exec_lo, s22
	v_mov_b32_e32 v11, v25
.LBB815_45:
	s_or_b32 exec_lo, exec_lo, s21
	v_cndmask_b32_e64 v4, v6, v4, s2
	v_cndmask_b32_e64 v5, v7, v9, s3
	;; [unrolled: 1-line block ×7, first 2 shown]
.LBB815_46:
	s_or_b32 exec_lo, exec_lo, s1
	v_and_b32_e32 v14, 0xe0, v49
	v_and_b32_e32 v13, 24, v49
	s_mov_b32 s0, exec_lo
	; wave barrier
	v_or_b32_e32 v12, 16, v14
	v_min_u32_e32 v15, v48, v13
	ds_write_b128 v50, v[4:7]
	ds_write_b128 v50, v[8:11] offset:16
	; wave barrier
	v_min_u32_e32 v23, v48, v12
	v_add_nc_u32_e32 v12, 16, v23
	v_sub_nc_u32_e32 v13, v23, v14
	v_min_u32_e32 v24, v48, v12
	v_min_u32_e32 v16, v15, v13
	v_lshl_add_u32 v13, v14, 2, v47
	v_sub_nc_u32_e32 v12, v24, v23
	v_sub_nc_u32_e64 v12, v15, v12 clamp
	v_cmpx_lt_u32_e64 v12, v16
	s_cbranch_execz .LBB815_50
; %bb.47:
	v_lshlrev_b32_e32 v17, 2, v23
	v_lshlrev_b32_e32 v18, 2, v15
	s_mov_b32 s1, 0
	v_add3_u32 v17, v47, v17, v18
	s_inst_prefetch 0x1
	.p2align	6
.LBB815_48:                             ; =>This Inner Loop Header: Depth=1
	v_add_nc_u32_e32 v18, v16, v12
	v_lshrrev_b32_e32 v22, 1, v18
	v_not_b32_e32 v18, v22
	v_lshl_add_u32 v19, v22, 2, v13
	v_lshl_add_u32 v20, v18, 2, v17
	ds_read_b32 v18, v19
	ds_read_b32 v20, v20
	s_waitcnt lgkmcnt(1)
	v_ashrrev_i32_e32 v19, 31, v18
	s_waitcnt lgkmcnt(0)
	v_ashrrev_i32_e32 v21, 31, v20
	v_lshlrev_b64 v[18:19], 2, v[18:19]
	v_lshlrev_b64 v[20:21], 2, v[20:21]
	v_add_co_u32 v18, vcc_lo, s14, v18
	v_add_co_ci_u32_e64 v19, null, s15, v19, vcc_lo
	v_add_co_u32 v20, vcc_lo, s14, v20
	v_add_co_ci_u32_e64 v21, null, s15, v21, vcc_lo
	s_clause 0x1
	global_load_dword v20, v[20:21], off
	global_load_dword v18, v[18:19], off
	v_add_nc_u32_e32 v19, 1, v22
	s_waitcnt vmcnt(0)
	v_cmp_lt_u32_e32 vcc_lo, v20, v18
	v_cndmask_b32_e32 v16, v16, v22, vcc_lo
	v_cndmask_b32_e32 v12, v19, v12, vcc_lo
	v_cmp_ge_u32_e32 vcc_lo, v12, v16
	s_or_b32 s1, vcc_lo, s1
	s_andn2_b32 exec_lo, exec_lo, s1
	s_cbranch_execnz .LBB815_48
; %bb.49:
	s_inst_prefetch 0x2
	s_or_b32 exec_lo, exec_lo, s1
.LBB815_50:
	s_or_b32 exec_lo, exec_lo, s0
	v_add_nc_u32_e32 v15, v23, v15
	v_add_nc_u32_e32 v14, v12, v14
	v_sub_nc_u32_e32 v15, v15, v12
	v_cmp_le_u32_e32 vcc_lo, v14, v23
	v_cmp_le_u32_e64 s0, v15, v24
	s_or_b32 s0, vcc_lo, s0
	s_and_saveexec_b32 s1, s0
	s_cbranch_execz .LBB815_86
; %bb.51:
	s_mov_b32 s2, exec_lo
	v_cmp_ge_u32_e32 vcc_lo, v14, v23
                                        ; implicit-def: $vgpr4
	v_cmpx_lt_u32_e64 v14, v23
; %bb.52:
	v_lshl_add_u32 v4, v12, 2, v13
	ds_read_b32 v4, v4
; %bb.53:
	s_or_b32 exec_lo, exec_lo, s2
	v_cmp_ge_u32_e64 s2, v15, v24
	s_mov_b32 s3, exec_lo
                                        ; implicit-def: $vgpr10
	v_cmpx_lt_u32_e64 v15, v24
; %bb.54:
	v_lshl_add_u32 v5, v15, 2, v47
	ds_read_b32 v10, v5
; %bb.55:
	s_or_b32 exec_lo, exec_lo, s3
	s_nor_b32 s3, vcc_lo, s2
	s_and_saveexec_b32 s0, s3
	s_cbranch_execz .LBB815_57
; %bb.56:
	s_waitcnt lgkmcnt(0)
	v_ashrrev_i32_e32 v11, 31, v10
	v_ashrrev_i32_e32 v5, 31, v4
	s_andn2_b32 s2, s2, exec_lo
	v_lshlrev_b64 v[6:7], 2, v[10:11]
	v_lshlrev_b64 v[8:9], 2, v[4:5]
	v_add_co_u32 v5, vcc_lo, s14, v6
	v_add_co_ci_u32_e64 v6, null, s15, v7, vcc_lo
	v_add_co_u32 v7, vcc_lo, s14, v8
	v_add_co_ci_u32_e64 v8, null, s15, v9, vcc_lo
	s_clause 0x1
	global_load_dword v5, v[5:6], off
	global_load_dword v6, v[7:8], off
	s_waitcnt vmcnt(0)
	v_cmp_ge_u32_e32 vcc_lo, v5, v6
	s_and_b32 s3, vcc_lo, exec_lo
	s_or_b32 s2, s2, s3
.LBB815_57:
	s_or_b32 exec_lo, exec_lo, s0
	v_cndmask_b32_e64 v5, v15, v14, s2
	v_cndmask_b32_e64 v6, v24, v23, s2
	s_mov_b32 s3, -1
	s_mov_b32 s0, -1
	s_mov_b32 s4, exec_lo
	v_add_nc_u32_e32 v5, 1, v5
	v_add_nc_u32_e32 v6, -1, v6
	v_cndmask_b32_e64 v7, v5, v15, s2
	v_min_u32_e32 v6, v5, v6
	v_cndmask_b32_e64 v8, v14, v5, s2
	v_lshl_add_u32 v6, v6, 2, v47
	ds_read_b32 v6, v6
	s_waitcnt lgkmcnt(0)
	v_cndmask_b32_e64 v5, v6, v10, s2
	v_cndmask_b32_e64 v12, v4, v6, s2
	v_cmpx_lt_u32_e64 v7, v24
	s_cbranch_execz .LBB815_61
; %bb.58:
	s_mov_b32 s5, 0
	s_mov_b32 s0, exec_lo
	v_cmpx_lt_u32_e64 v8, v23
	s_cbranch_execz .LBB815_60
; %bb.59:
	v_ashrrev_i32_e32 v6, 31, v5
	v_ashrrev_i32_e32 v13, 31, v12
	v_lshlrev_b64 v[14:15], 2, v[5:6]
	v_lshlrev_b64 v[16:17], 2, v[12:13]
	v_add_co_u32 v13, vcc_lo, s14, v14
	v_add_co_ci_u32_e64 v14, null, s15, v15, vcc_lo
	v_add_co_u32 v15, vcc_lo, s14, v16
	v_add_co_ci_u32_e64 v16, null, s15, v17, vcc_lo
	s_clause 0x1
	global_load_dword v6, v[13:14], off
	global_load_dword v9, v[15:16], off
	s_waitcnt vmcnt(0)
	v_cmp_ge_u32_e32 vcc_lo, v6, v9
	s_and_b32 s5, vcc_lo, exec_lo
.LBB815_60:
	s_or_b32 exec_lo, exec_lo, s0
	s_orn2_b32 s0, s5, exec_lo
.LBB815_61:
	s_or_b32 exec_lo, exec_lo, s4
	v_cndmask_b32_e64 v6, v7, v8, s0
	v_cndmask_b32_e64 v9, v24, v23, s0
	s_mov_b32 s4, exec_lo
	v_add_nc_u32_e32 v6, 1, v6
	v_add_nc_u32_e32 v9, -1, v9
	v_cndmask_b32_e64 v8, v8, v6, s0
	v_min_u32_e32 v9, v6, v9
	v_lshl_add_u32 v9, v9, 2, v47
	ds_read_b32 v11, v9
	v_cndmask_b32_e64 v9, v6, v7, s0
	s_waitcnt lgkmcnt(0)
	v_cndmask_b32_e64 v6, v11, v5, s0
	v_cndmask_b32_e64 v13, v12, v11, s0
	v_cmpx_lt_u32_e64 v9, v24
	s_cbranch_execz .LBB815_65
; %bb.62:
	s_mov_b32 s5, 0
	s_mov_b32 s3, exec_lo
	v_cmpx_lt_u32_e64 v8, v23
	s_cbranch_execz .LBB815_64
; %bb.63:
	v_ashrrev_i32_e32 v7, 31, v6
	v_ashrrev_i32_e32 v14, 31, v13
	v_lshlrev_b64 v[15:16], 2, v[6:7]
	v_lshlrev_b64 v[17:18], 2, v[13:14]
	v_add_co_u32 v14, vcc_lo, s14, v15
	v_add_co_ci_u32_e64 v15, null, s15, v16, vcc_lo
	v_add_co_u32 v16, vcc_lo, s14, v17
	v_add_co_ci_u32_e64 v17, null, s15, v18, vcc_lo
	s_clause 0x1
	global_load_dword v7, v[14:15], off
	global_load_dword v11, v[16:17], off
	s_waitcnt vmcnt(0)
	v_cmp_ge_u32_e32 vcc_lo, v7, v11
	s_and_b32 s5, vcc_lo, exec_lo
.LBB815_64:
	s_or_b32 exec_lo, exec_lo, s3
	s_orn2_b32 s3, s5, exec_lo
.LBB815_65:
	s_or_b32 exec_lo, exec_lo, s4
	v_cndmask_b32_e64 v7, v9, v8, s3
	v_cndmask_b32_e64 v11, v24, v23, s3
	s_mov_b32 s5, -1
	s_mov_b32 s4, -1
	s_mov_b32 s19, exec_lo
	v_add_nc_u32_e32 v7, 1, v7
	v_add_nc_u32_e32 v11, -1, v11
	v_cndmask_b32_e64 v9, v7, v9, s3
	v_min_u32_e32 v11, v7, v11
	v_lshl_add_u32 v11, v11, 2, v47
	ds_read_b32 v14, v11
	v_cndmask_b32_e64 v11, v8, v7, s3
	s_waitcnt lgkmcnt(0)
	v_cndmask_b32_e64 v7, v14, v6, s3
	v_cndmask_b32_e64 v14, v13, v14, s3
	v_cmpx_lt_u32_e64 v9, v24
	s_cbranch_execz .LBB815_69
; %bb.66:
	s_mov_b32 s20, 0
	s_mov_b32 s4, exec_lo
	v_cmpx_lt_u32_e64 v11, v23
	s_cbranch_execz .LBB815_68
; %bb.67:
	v_ashrrev_i32_e32 v8, 31, v7
	v_ashrrev_i32_e32 v15, 31, v14
	v_lshlrev_b64 v[16:17], 2, v[7:8]
	v_lshlrev_b64 v[18:19], 2, v[14:15]
	v_add_co_u32 v15, vcc_lo, s14, v16
	v_add_co_ci_u32_e64 v16, null, s15, v17, vcc_lo
	v_add_co_u32 v17, vcc_lo, s14, v18
	v_add_co_ci_u32_e64 v18, null, s15, v19, vcc_lo
	s_clause 0x1
	global_load_dword v8, v[15:16], off
	global_load_dword v15, v[17:18], off
	s_waitcnt vmcnt(0)
	v_cmp_ge_u32_e32 vcc_lo, v8, v15
	s_and_b32 s20, vcc_lo, exec_lo
.LBB815_68:
	s_or_b32 exec_lo, exec_lo, s4
	s_orn2_b32 s4, s20, exec_lo
.LBB815_69:
	s_or_b32 exec_lo, exec_lo, s19
	v_cndmask_b32_e64 v8, v9, v11, s4
	v_cndmask_b32_e64 v15, v24, v23, s4
	s_mov_b32 s19, exec_lo
	v_add_nc_u32_e32 v8, 1, v8
	v_add_nc_u32_e32 v15, -1, v15
	v_cndmask_b32_e64 v17, v8, v9, s4
	v_min_u32_e32 v15, v8, v15
	v_cndmask_b32_e64 v11, v11, v8, s4
	v_lshl_add_u32 v15, v15, 2, v47
	ds_read_b32 v15, v15
	s_waitcnt lgkmcnt(0)
	v_cndmask_b32_e64 v8, v15, v7, s4
	v_cndmask_b32_e64 v15, v14, v15, s4
	v_cmpx_lt_u32_e64 v17, v24
	s_cbranch_execz .LBB815_73
; %bb.70:
	s_mov_b32 s20, 0
	s_mov_b32 s5, exec_lo
	v_cmpx_lt_u32_e64 v11, v23
	s_cbranch_execz .LBB815_72
; %bb.71:
	v_ashrrev_i32_e32 v9, 31, v8
	v_ashrrev_i32_e32 v16, 31, v15
	v_lshlrev_b64 v[18:19], 2, v[8:9]
	v_lshlrev_b64 v[20:21], 2, v[15:16]
	v_add_co_u32 v18, vcc_lo, s14, v18
	v_add_co_ci_u32_e64 v19, null, s15, v19, vcc_lo
	v_add_co_u32 v20, vcc_lo, s14, v20
	v_add_co_ci_u32_e64 v21, null, s15, v21, vcc_lo
	s_clause 0x1
	global_load_dword v9, v[18:19], off
	global_load_dword v16, v[20:21], off
	s_waitcnt vmcnt(0)
	v_cmp_ge_u32_e32 vcc_lo, v9, v16
	s_and_b32 s20, vcc_lo, exec_lo
.LBB815_72:
	s_or_b32 exec_lo, exec_lo, s5
	s_orn2_b32 s5, s20, exec_lo
.LBB815_73:
	s_or_b32 exec_lo, exec_lo, s19
	v_cndmask_b32_e64 v9, v17, v11, s5
	v_cndmask_b32_e64 v16, v24, v23, s5
	s_mov_b32 s19, -1
	s_mov_b32 s20, -1
	s_mov_b32 s21, exec_lo
	v_add_nc_u32_e32 v18, 1, v9
	v_add_nc_u32_e32 v9, -1, v16
	v_cndmask_b32_e64 v11, v11, v18, s5
	v_min_u32_e32 v9, v18, v9
	v_lshl_add_u32 v9, v9, 2, v47
	ds_read_b32 v19, v9
	v_cndmask_b32_e64 v9, v18, v17, s5
	s_waitcnt lgkmcnt(0)
	v_cndmask_b32_e64 v16, v19, v8, s5
	v_cndmask_b32_e64 v18, v15, v19, s5
	v_cmpx_lt_u32_e64 v9, v24
	s_cbranch_execz .LBB815_77
; %bb.74:
	s_mov_b32 s22, 0
	s_mov_b32 s20, exec_lo
	v_cmpx_lt_u32_e64 v11, v23
	s_cbranch_execz .LBB815_76
; %bb.75:
	v_ashrrev_i32_e32 v17, 31, v16
	v_ashrrev_i32_e32 v19, 31, v18
	v_lshlrev_b64 v[20:21], 2, v[16:17]
	v_lshlrev_b64 v[25:26], 2, v[18:19]
	v_add_co_u32 v19, vcc_lo, s14, v20
	v_add_co_ci_u32_e64 v20, null, s15, v21, vcc_lo
	v_add_co_u32 v21, vcc_lo, s14, v25
	v_add_co_ci_u32_e64 v22, null, s15, v26, vcc_lo
	s_clause 0x1
	global_load_dword v17, v[19:20], off
	global_load_dword v19, v[21:22], off
	s_waitcnt vmcnt(0)
	v_cmp_ge_u32_e32 vcc_lo, v17, v19
	s_and_b32 s22, vcc_lo, exec_lo
.LBB815_76:
	s_or_b32 exec_lo, exec_lo, s20
	s_orn2_b32 s20, s22, exec_lo
.LBB815_77:
	s_or_b32 exec_lo, exec_lo, s21
	v_cndmask_b32_e64 v17, v9, v11, s20
	v_cndmask_b32_e64 v19, v24, v23, s20
	s_mov_b32 s21, exec_lo
	v_add_nc_u32_e32 v20, 1, v17
	v_add_nc_u32_e32 v17, -1, v19
	v_min_u32_e32 v17, v20, v17
	v_lshl_add_u32 v17, v17, 2, v47
	ds_read_b32 v21, v17
	v_cndmask_b32_e64 v17, v20, v9, s20
	v_cndmask_b32_e64 v9, v11, v20, s20
	s_waitcnt lgkmcnt(0)
	v_cndmask_b32_e64 v19, v21, v16, s20
	v_cndmask_b32_e64 v21, v18, v21, s20
	v_cmpx_lt_u32_e64 v17, v24
	s_cbranch_execz .LBB815_81
; %bb.78:
	s_mov_b32 s22, 0
	s_mov_b32 s19, exec_lo
	v_cmpx_lt_u32_e64 v9, v23
	s_cbranch_execz .LBB815_80
; %bb.79:
	v_ashrrev_i32_e32 v20, 31, v19
	v_ashrrev_i32_e32 v22, 31, v21
	v_lshlrev_b64 v[25:26], 2, v[19:20]
	v_lshlrev_b64 v[51:52], 2, v[21:22]
	v_add_co_u32 v25, vcc_lo, s14, v25
	v_add_co_ci_u32_e64 v26, null, s15, v26, vcc_lo
	v_add_co_u32 v51, vcc_lo, s14, v51
	v_add_co_ci_u32_e64 v52, null, s15, v52, vcc_lo
	s_clause 0x1
	global_load_dword v11, v[25:26], off
	global_load_dword v20, v[51:52], off
	s_waitcnt vmcnt(0)
	v_cmp_ge_u32_e32 vcc_lo, v11, v20
	s_and_b32 s22, vcc_lo, exec_lo
.LBB815_80:
	s_or_b32 exec_lo, exec_lo, s19
	s_orn2_b32 s19, s22, exec_lo
.LBB815_81:
	s_or_b32 exec_lo, exec_lo, s21
	v_cndmask_b32_e64 v11, v17, v9, s19
	v_cndmask_b32_e64 v22, v24, v23, s19
	s_mov_b32 s21, exec_lo
	v_add_nc_u32_e32 v20, 1, v11
	v_add_nc_u32_e32 v11, -1, v22
	v_cndmask_b32_e64 v17, v20, v17, s19
	v_min_u32_e32 v11, v20, v11
	v_lshl_add_u32 v11, v11, 2, v47
	ds_read_b32 v22, v11
	s_waitcnt lgkmcnt(0)
	v_cndmask_b32_e64 v11, v21, v22, s19
	v_cmpx_lt_u32_e64 v17, v24
	s_cbranch_execz .LBB815_85
; %bb.82:
	v_cndmask_b32_e64 v9, v9, v20, s19
	v_cndmask_b32_e64 v22, v22, v19, s19
	s_mov_b32 s22, exec_lo
	v_cmpx_lt_u32_e64 v9, v23
	s_cbranch_execz .LBB815_84
; %bb.83:
	v_ashrrev_i32_e32 v23, 31, v22
	v_ashrrev_i32_e32 v25, 31, v11
	v_mov_b32_e32 v24, v11
	v_lshlrev_b64 v[51:52], 2, v[22:23]
	v_lshlrev_b64 v[23:24], 2, v[24:25]
	v_add_co_u32 v25, vcc_lo, s14, v51
	v_add_co_ci_u32_e64 v26, null, s15, v52, vcc_lo
	v_add_co_u32 v23, vcc_lo, s14, v23
	v_add_co_ci_u32_e64 v24, null, s15, v24, vcc_lo
	s_clause 0x1
	global_load_dword v9, v[25:26], off
	global_load_dword v17, v[23:24], off
	s_waitcnt vmcnt(0)
	v_cmp_lt_u32_e32 vcc_lo, v9, v17
	v_cndmask_b32_e32 v22, v11, v22, vcc_lo
.LBB815_84:
	s_or_b32 exec_lo, exec_lo, s22
	v_mov_b32_e32 v11, v22
.LBB815_85:
	s_or_b32 exec_lo, exec_lo, s21
	v_cndmask_b32_e64 v9, v16, v18, s20
	v_cndmask_b32_e64 v8, v8, v15, s5
	;; [unrolled: 1-line block ×7, first 2 shown]
.LBB815_86:
	s_or_b32 exec_lo, exec_lo, s1
	v_and_b32_e32 v14, 0xc0, v49
	v_and_b32_e32 v13, 56, v49
	s_mov_b32 s0, exec_lo
	; wave barrier
	v_or_b32_e32 v12, 32, v14
	v_min_u32_e32 v15, v48, v13
	ds_write_b128 v50, v[4:7]
	ds_write_b128 v50, v[8:11] offset:16
	; wave barrier
	v_min_u32_e32 v23, v48, v12
	v_add_nc_u32_e32 v12, 32, v23
	v_sub_nc_u32_e32 v13, v23, v14
	v_min_u32_e32 v24, v48, v12
	v_min_u32_e32 v16, v15, v13
	v_lshl_add_u32 v13, v14, 2, v47
	v_sub_nc_u32_e32 v12, v24, v23
	v_sub_nc_u32_e64 v12, v15, v12 clamp
	v_cmpx_lt_u32_e64 v12, v16
	s_cbranch_execz .LBB815_90
; %bb.87:
	v_lshlrev_b32_e32 v17, 2, v23
	v_lshlrev_b32_e32 v18, 2, v15
	s_mov_b32 s1, 0
	v_add3_u32 v17, v47, v17, v18
	s_inst_prefetch 0x1
	.p2align	6
.LBB815_88:                             ; =>This Inner Loop Header: Depth=1
	v_add_nc_u32_e32 v18, v16, v12
	v_lshrrev_b32_e32 v22, 1, v18
	v_not_b32_e32 v18, v22
	v_lshl_add_u32 v19, v22, 2, v13
	v_lshl_add_u32 v20, v18, 2, v17
	ds_read_b32 v18, v19
	ds_read_b32 v20, v20
	s_waitcnt lgkmcnt(1)
	v_ashrrev_i32_e32 v19, 31, v18
	s_waitcnt lgkmcnt(0)
	v_ashrrev_i32_e32 v21, 31, v20
	v_lshlrev_b64 v[18:19], 2, v[18:19]
	v_lshlrev_b64 v[20:21], 2, v[20:21]
	v_add_co_u32 v18, vcc_lo, s14, v18
	v_add_co_ci_u32_e64 v19, null, s15, v19, vcc_lo
	v_add_co_u32 v20, vcc_lo, s14, v20
	v_add_co_ci_u32_e64 v21, null, s15, v21, vcc_lo
	s_clause 0x1
	global_load_dword v20, v[20:21], off
	global_load_dword v18, v[18:19], off
	v_add_nc_u32_e32 v19, 1, v22
	s_waitcnt vmcnt(0)
	v_cmp_lt_u32_e32 vcc_lo, v20, v18
	v_cndmask_b32_e32 v16, v16, v22, vcc_lo
	v_cndmask_b32_e32 v12, v19, v12, vcc_lo
	v_cmp_ge_u32_e32 vcc_lo, v12, v16
	s_or_b32 s1, vcc_lo, s1
	s_andn2_b32 exec_lo, exec_lo, s1
	s_cbranch_execnz .LBB815_88
; %bb.89:
	s_inst_prefetch 0x2
	s_or_b32 exec_lo, exec_lo, s1
.LBB815_90:
	s_or_b32 exec_lo, exec_lo, s0
	v_add_nc_u32_e32 v15, v23, v15
	v_add_nc_u32_e32 v14, v12, v14
	v_sub_nc_u32_e32 v15, v15, v12
	v_cmp_le_u32_e32 vcc_lo, v14, v23
	v_cmp_le_u32_e64 s0, v15, v24
	s_or_b32 s0, vcc_lo, s0
	s_and_saveexec_b32 s1, s0
	s_cbranch_execz .LBB815_126
; %bb.91:
	s_mov_b32 s2, exec_lo
	v_cmp_ge_u32_e32 vcc_lo, v14, v23
                                        ; implicit-def: $vgpr4
	v_cmpx_lt_u32_e64 v14, v23
; %bb.92:
	v_lshl_add_u32 v4, v12, 2, v13
	ds_read_b32 v4, v4
; %bb.93:
	s_or_b32 exec_lo, exec_lo, s2
	v_cmp_ge_u32_e64 s2, v15, v24
	s_mov_b32 s3, exec_lo
                                        ; implicit-def: $vgpr10
	v_cmpx_lt_u32_e64 v15, v24
; %bb.94:
	v_lshl_add_u32 v5, v15, 2, v47
	ds_read_b32 v10, v5
; %bb.95:
	s_or_b32 exec_lo, exec_lo, s3
	s_nor_b32 s3, vcc_lo, s2
	s_and_saveexec_b32 s0, s3
	s_cbranch_execz .LBB815_97
; %bb.96:
	s_waitcnt lgkmcnt(0)
	v_ashrrev_i32_e32 v11, 31, v10
	v_ashrrev_i32_e32 v5, 31, v4
	s_andn2_b32 s2, s2, exec_lo
	v_lshlrev_b64 v[6:7], 2, v[10:11]
	v_lshlrev_b64 v[8:9], 2, v[4:5]
	v_add_co_u32 v5, vcc_lo, s14, v6
	v_add_co_ci_u32_e64 v6, null, s15, v7, vcc_lo
	v_add_co_u32 v7, vcc_lo, s14, v8
	v_add_co_ci_u32_e64 v8, null, s15, v9, vcc_lo
	s_clause 0x1
	global_load_dword v5, v[5:6], off
	global_load_dword v6, v[7:8], off
	s_waitcnt vmcnt(0)
	v_cmp_ge_u32_e32 vcc_lo, v5, v6
	s_and_b32 s3, vcc_lo, exec_lo
	s_or_b32 s2, s2, s3
.LBB815_97:
	s_or_b32 exec_lo, exec_lo, s0
	v_cndmask_b32_e64 v5, v15, v14, s2
	v_cndmask_b32_e64 v6, v24, v23, s2
	s_mov_b32 s3, -1
	s_mov_b32 s0, -1
	s_mov_b32 s4, exec_lo
	v_add_nc_u32_e32 v5, 1, v5
	v_add_nc_u32_e32 v6, -1, v6
	v_cndmask_b32_e64 v7, v5, v15, s2
	v_min_u32_e32 v6, v5, v6
	v_cndmask_b32_e64 v8, v14, v5, s2
	v_lshl_add_u32 v6, v6, 2, v47
	ds_read_b32 v6, v6
	s_waitcnt lgkmcnt(0)
	v_cndmask_b32_e64 v5, v6, v10, s2
	v_cndmask_b32_e64 v12, v4, v6, s2
	v_cmpx_lt_u32_e64 v7, v24
	s_cbranch_execz .LBB815_101
; %bb.98:
	s_mov_b32 s5, 0
	s_mov_b32 s0, exec_lo
	v_cmpx_lt_u32_e64 v8, v23
	s_cbranch_execz .LBB815_100
; %bb.99:
	v_ashrrev_i32_e32 v6, 31, v5
	v_ashrrev_i32_e32 v13, 31, v12
	v_lshlrev_b64 v[14:15], 2, v[5:6]
	v_lshlrev_b64 v[16:17], 2, v[12:13]
	v_add_co_u32 v13, vcc_lo, s14, v14
	v_add_co_ci_u32_e64 v14, null, s15, v15, vcc_lo
	v_add_co_u32 v15, vcc_lo, s14, v16
	v_add_co_ci_u32_e64 v16, null, s15, v17, vcc_lo
	s_clause 0x1
	global_load_dword v6, v[13:14], off
	global_load_dword v9, v[15:16], off
	s_waitcnt vmcnt(0)
	v_cmp_ge_u32_e32 vcc_lo, v6, v9
	s_and_b32 s5, vcc_lo, exec_lo
.LBB815_100:
	s_or_b32 exec_lo, exec_lo, s0
	s_orn2_b32 s0, s5, exec_lo
.LBB815_101:
	s_or_b32 exec_lo, exec_lo, s4
	v_cndmask_b32_e64 v6, v7, v8, s0
	v_cndmask_b32_e64 v9, v24, v23, s0
	s_mov_b32 s4, exec_lo
	v_add_nc_u32_e32 v6, 1, v6
	v_add_nc_u32_e32 v9, -1, v9
	v_cndmask_b32_e64 v8, v8, v6, s0
	v_min_u32_e32 v9, v6, v9
	v_lshl_add_u32 v9, v9, 2, v47
	ds_read_b32 v11, v9
	v_cndmask_b32_e64 v9, v6, v7, s0
	s_waitcnt lgkmcnt(0)
	v_cndmask_b32_e64 v6, v11, v5, s0
	v_cndmask_b32_e64 v13, v12, v11, s0
	v_cmpx_lt_u32_e64 v9, v24
	s_cbranch_execz .LBB815_105
; %bb.102:
	s_mov_b32 s5, 0
	s_mov_b32 s3, exec_lo
	v_cmpx_lt_u32_e64 v8, v23
	s_cbranch_execz .LBB815_104
; %bb.103:
	v_ashrrev_i32_e32 v7, 31, v6
	v_ashrrev_i32_e32 v14, 31, v13
	v_lshlrev_b64 v[15:16], 2, v[6:7]
	v_lshlrev_b64 v[17:18], 2, v[13:14]
	v_add_co_u32 v14, vcc_lo, s14, v15
	v_add_co_ci_u32_e64 v15, null, s15, v16, vcc_lo
	v_add_co_u32 v16, vcc_lo, s14, v17
	v_add_co_ci_u32_e64 v17, null, s15, v18, vcc_lo
	s_clause 0x1
	global_load_dword v7, v[14:15], off
	global_load_dword v11, v[16:17], off
	s_waitcnt vmcnt(0)
	v_cmp_ge_u32_e32 vcc_lo, v7, v11
	s_and_b32 s5, vcc_lo, exec_lo
.LBB815_104:
	s_or_b32 exec_lo, exec_lo, s3
	s_orn2_b32 s3, s5, exec_lo
.LBB815_105:
	s_or_b32 exec_lo, exec_lo, s4
	v_cndmask_b32_e64 v7, v9, v8, s3
	v_cndmask_b32_e64 v11, v24, v23, s3
	s_mov_b32 s5, -1
	s_mov_b32 s4, -1
	s_mov_b32 s19, exec_lo
	v_add_nc_u32_e32 v7, 1, v7
	v_add_nc_u32_e32 v11, -1, v11
	v_cndmask_b32_e64 v9, v7, v9, s3
	v_min_u32_e32 v11, v7, v11
	v_lshl_add_u32 v11, v11, 2, v47
	ds_read_b32 v14, v11
	v_cndmask_b32_e64 v11, v8, v7, s3
	s_waitcnt lgkmcnt(0)
	v_cndmask_b32_e64 v7, v14, v6, s3
	v_cndmask_b32_e64 v14, v13, v14, s3
	v_cmpx_lt_u32_e64 v9, v24
	s_cbranch_execz .LBB815_109
; %bb.106:
	s_mov_b32 s20, 0
	s_mov_b32 s4, exec_lo
	v_cmpx_lt_u32_e64 v11, v23
	s_cbranch_execz .LBB815_108
; %bb.107:
	v_ashrrev_i32_e32 v8, 31, v7
	v_ashrrev_i32_e32 v15, 31, v14
	v_lshlrev_b64 v[16:17], 2, v[7:8]
	v_lshlrev_b64 v[18:19], 2, v[14:15]
	v_add_co_u32 v15, vcc_lo, s14, v16
	v_add_co_ci_u32_e64 v16, null, s15, v17, vcc_lo
	v_add_co_u32 v17, vcc_lo, s14, v18
	v_add_co_ci_u32_e64 v18, null, s15, v19, vcc_lo
	s_clause 0x1
	global_load_dword v8, v[15:16], off
	global_load_dword v15, v[17:18], off
	s_waitcnt vmcnt(0)
	v_cmp_ge_u32_e32 vcc_lo, v8, v15
	s_and_b32 s20, vcc_lo, exec_lo
.LBB815_108:
	s_or_b32 exec_lo, exec_lo, s4
	s_orn2_b32 s4, s20, exec_lo
.LBB815_109:
	s_or_b32 exec_lo, exec_lo, s19
	v_cndmask_b32_e64 v8, v9, v11, s4
	v_cndmask_b32_e64 v15, v24, v23, s4
	s_mov_b32 s19, exec_lo
	v_add_nc_u32_e32 v8, 1, v8
	v_add_nc_u32_e32 v15, -1, v15
	v_cndmask_b32_e64 v17, v8, v9, s4
	v_min_u32_e32 v15, v8, v15
	v_cndmask_b32_e64 v11, v11, v8, s4
	v_lshl_add_u32 v15, v15, 2, v47
	ds_read_b32 v15, v15
	s_waitcnt lgkmcnt(0)
	v_cndmask_b32_e64 v8, v15, v7, s4
	v_cndmask_b32_e64 v15, v14, v15, s4
	v_cmpx_lt_u32_e64 v17, v24
	s_cbranch_execz .LBB815_113
; %bb.110:
	s_mov_b32 s20, 0
	s_mov_b32 s5, exec_lo
	v_cmpx_lt_u32_e64 v11, v23
	s_cbranch_execz .LBB815_112
; %bb.111:
	v_ashrrev_i32_e32 v9, 31, v8
	v_ashrrev_i32_e32 v16, 31, v15
	v_lshlrev_b64 v[18:19], 2, v[8:9]
	v_lshlrev_b64 v[20:21], 2, v[15:16]
	v_add_co_u32 v18, vcc_lo, s14, v18
	v_add_co_ci_u32_e64 v19, null, s15, v19, vcc_lo
	v_add_co_u32 v20, vcc_lo, s14, v20
	v_add_co_ci_u32_e64 v21, null, s15, v21, vcc_lo
	s_clause 0x1
	global_load_dword v9, v[18:19], off
	global_load_dword v16, v[20:21], off
	s_waitcnt vmcnt(0)
	v_cmp_ge_u32_e32 vcc_lo, v9, v16
	s_and_b32 s20, vcc_lo, exec_lo
.LBB815_112:
	s_or_b32 exec_lo, exec_lo, s5
	s_orn2_b32 s5, s20, exec_lo
.LBB815_113:
	s_or_b32 exec_lo, exec_lo, s19
	v_cndmask_b32_e64 v9, v17, v11, s5
	v_cndmask_b32_e64 v16, v24, v23, s5
	s_mov_b32 s19, -1
	s_mov_b32 s20, -1
	s_mov_b32 s21, exec_lo
	v_add_nc_u32_e32 v18, 1, v9
	v_add_nc_u32_e32 v9, -1, v16
	v_cndmask_b32_e64 v11, v11, v18, s5
	v_min_u32_e32 v9, v18, v9
	v_lshl_add_u32 v9, v9, 2, v47
	ds_read_b32 v19, v9
	v_cndmask_b32_e64 v9, v18, v17, s5
	s_waitcnt lgkmcnt(0)
	v_cndmask_b32_e64 v16, v19, v8, s5
	v_cndmask_b32_e64 v18, v15, v19, s5
	v_cmpx_lt_u32_e64 v9, v24
	s_cbranch_execz .LBB815_117
; %bb.114:
	s_mov_b32 s22, 0
	s_mov_b32 s20, exec_lo
	v_cmpx_lt_u32_e64 v11, v23
	s_cbranch_execz .LBB815_116
; %bb.115:
	v_ashrrev_i32_e32 v17, 31, v16
	v_ashrrev_i32_e32 v19, 31, v18
	v_lshlrev_b64 v[20:21], 2, v[16:17]
	v_lshlrev_b64 v[25:26], 2, v[18:19]
	v_add_co_u32 v19, vcc_lo, s14, v20
	v_add_co_ci_u32_e64 v20, null, s15, v21, vcc_lo
	v_add_co_u32 v21, vcc_lo, s14, v25
	v_add_co_ci_u32_e64 v22, null, s15, v26, vcc_lo
	s_clause 0x1
	global_load_dword v17, v[19:20], off
	global_load_dword v19, v[21:22], off
	s_waitcnt vmcnt(0)
	v_cmp_ge_u32_e32 vcc_lo, v17, v19
	s_and_b32 s22, vcc_lo, exec_lo
.LBB815_116:
	s_or_b32 exec_lo, exec_lo, s20
	s_orn2_b32 s20, s22, exec_lo
.LBB815_117:
	s_or_b32 exec_lo, exec_lo, s21
	v_cndmask_b32_e64 v17, v9, v11, s20
	v_cndmask_b32_e64 v19, v24, v23, s20
	s_mov_b32 s21, exec_lo
	v_add_nc_u32_e32 v20, 1, v17
	v_add_nc_u32_e32 v17, -1, v19
	v_min_u32_e32 v17, v20, v17
	v_lshl_add_u32 v17, v17, 2, v47
	ds_read_b32 v21, v17
	v_cndmask_b32_e64 v17, v20, v9, s20
	v_cndmask_b32_e64 v9, v11, v20, s20
	s_waitcnt lgkmcnt(0)
	v_cndmask_b32_e64 v19, v21, v16, s20
	v_cndmask_b32_e64 v21, v18, v21, s20
	v_cmpx_lt_u32_e64 v17, v24
	s_cbranch_execz .LBB815_121
; %bb.118:
	s_mov_b32 s22, 0
	s_mov_b32 s19, exec_lo
	v_cmpx_lt_u32_e64 v9, v23
	s_cbranch_execz .LBB815_120
; %bb.119:
	v_ashrrev_i32_e32 v20, 31, v19
	v_ashrrev_i32_e32 v22, 31, v21
	v_lshlrev_b64 v[25:26], 2, v[19:20]
	v_lshlrev_b64 v[51:52], 2, v[21:22]
	v_add_co_u32 v25, vcc_lo, s14, v25
	v_add_co_ci_u32_e64 v26, null, s15, v26, vcc_lo
	v_add_co_u32 v51, vcc_lo, s14, v51
	v_add_co_ci_u32_e64 v52, null, s15, v52, vcc_lo
	s_clause 0x1
	global_load_dword v11, v[25:26], off
	global_load_dword v20, v[51:52], off
	s_waitcnt vmcnt(0)
	v_cmp_ge_u32_e32 vcc_lo, v11, v20
	s_and_b32 s22, vcc_lo, exec_lo
.LBB815_120:
	s_or_b32 exec_lo, exec_lo, s19
	s_orn2_b32 s19, s22, exec_lo
.LBB815_121:
	s_or_b32 exec_lo, exec_lo, s21
	v_cndmask_b32_e64 v11, v17, v9, s19
	v_cndmask_b32_e64 v22, v24, v23, s19
	s_mov_b32 s21, exec_lo
	v_add_nc_u32_e32 v20, 1, v11
	v_add_nc_u32_e32 v11, -1, v22
	v_cndmask_b32_e64 v17, v20, v17, s19
	v_min_u32_e32 v11, v20, v11
	v_lshl_add_u32 v11, v11, 2, v47
	ds_read_b32 v22, v11
	s_waitcnt lgkmcnt(0)
	v_cndmask_b32_e64 v11, v21, v22, s19
	v_cmpx_lt_u32_e64 v17, v24
	s_cbranch_execz .LBB815_125
; %bb.122:
	v_cndmask_b32_e64 v9, v9, v20, s19
	v_cndmask_b32_e64 v22, v22, v19, s19
	s_mov_b32 s22, exec_lo
	v_cmpx_lt_u32_e64 v9, v23
	s_cbranch_execz .LBB815_124
; %bb.123:
	v_ashrrev_i32_e32 v23, 31, v22
	v_ashrrev_i32_e32 v25, 31, v11
	v_mov_b32_e32 v24, v11
	v_lshlrev_b64 v[51:52], 2, v[22:23]
	v_lshlrev_b64 v[23:24], 2, v[24:25]
	v_add_co_u32 v25, vcc_lo, s14, v51
	v_add_co_ci_u32_e64 v26, null, s15, v52, vcc_lo
	v_add_co_u32 v23, vcc_lo, s14, v23
	v_add_co_ci_u32_e64 v24, null, s15, v24, vcc_lo
	s_clause 0x1
	global_load_dword v9, v[25:26], off
	global_load_dword v17, v[23:24], off
	s_waitcnt vmcnt(0)
	v_cmp_lt_u32_e32 vcc_lo, v9, v17
	v_cndmask_b32_e32 v22, v11, v22, vcc_lo
.LBB815_124:
	s_or_b32 exec_lo, exec_lo, s22
	v_mov_b32_e32 v11, v22
.LBB815_125:
	s_or_b32 exec_lo, exec_lo, s21
	v_cndmask_b32_e64 v9, v16, v18, s20
	v_cndmask_b32_e64 v8, v8, v15, s5
	;; [unrolled: 1-line block ×7, first 2 shown]
.LBB815_126:
	s_or_b32 exec_lo, exec_lo, s1
	v_and_b32_e32 v14, 0x80, v49
	v_and_b32_e32 v13, 0x78, v49
	s_mov_b32 s0, exec_lo
	; wave barrier
	v_or_b32_e32 v12, 64, v14
	v_min_u32_e32 v15, v48, v13
	ds_write_b128 v50, v[4:7]
	ds_write_b128 v50, v[8:11] offset:16
	; wave barrier
	v_min_u32_e32 v23, v48, v12
	v_add_nc_u32_e32 v12, 64, v23
	v_sub_nc_u32_e32 v13, v23, v14
	v_min_u32_e32 v24, v48, v12
	v_min_u32_e32 v16, v15, v13
	v_lshl_add_u32 v13, v14, 2, v47
	v_sub_nc_u32_e32 v12, v24, v23
	v_sub_nc_u32_e64 v12, v15, v12 clamp
	v_cmpx_lt_u32_e64 v12, v16
	s_cbranch_execz .LBB815_130
; %bb.127:
	v_lshlrev_b32_e32 v17, 2, v23
	v_lshlrev_b32_e32 v18, 2, v15
	s_mov_b32 s1, 0
	v_add3_u32 v17, v47, v17, v18
	s_inst_prefetch 0x1
	.p2align	6
.LBB815_128:                            ; =>This Inner Loop Header: Depth=1
	v_add_nc_u32_e32 v18, v16, v12
	v_lshrrev_b32_e32 v22, 1, v18
	v_not_b32_e32 v18, v22
	v_lshl_add_u32 v19, v22, 2, v13
	v_lshl_add_u32 v20, v18, 2, v17
	ds_read_b32 v18, v19
	ds_read_b32 v20, v20
	s_waitcnt lgkmcnt(1)
	v_ashrrev_i32_e32 v19, 31, v18
	s_waitcnt lgkmcnt(0)
	v_ashrrev_i32_e32 v21, 31, v20
	v_lshlrev_b64 v[18:19], 2, v[18:19]
	v_lshlrev_b64 v[20:21], 2, v[20:21]
	v_add_co_u32 v18, vcc_lo, s14, v18
	v_add_co_ci_u32_e64 v19, null, s15, v19, vcc_lo
	v_add_co_u32 v20, vcc_lo, s14, v20
	v_add_co_ci_u32_e64 v21, null, s15, v21, vcc_lo
	s_clause 0x1
	global_load_dword v20, v[20:21], off
	global_load_dword v18, v[18:19], off
	v_add_nc_u32_e32 v19, 1, v22
	s_waitcnt vmcnt(0)
	v_cmp_lt_u32_e32 vcc_lo, v20, v18
	v_cndmask_b32_e32 v16, v16, v22, vcc_lo
	v_cndmask_b32_e32 v12, v19, v12, vcc_lo
	v_cmp_ge_u32_e32 vcc_lo, v12, v16
	s_or_b32 s1, vcc_lo, s1
	s_andn2_b32 exec_lo, exec_lo, s1
	s_cbranch_execnz .LBB815_128
; %bb.129:
	s_inst_prefetch 0x2
	s_or_b32 exec_lo, exec_lo, s1
.LBB815_130:
	s_or_b32 exec_lo, exec_lo, s0
	v_add_nc_u32_e32 v15, v23, v15
	v_add_nc_u32_e32 v14, v12, v14
	v_sub_nc_u32_e32 v15, v15, v12
	v_cmp_le_u32_e32 vcc_lo, v14, v23
	v_cmp_le_u32_e64 s0, v15, v24
	s_or_b32 s0, vcc_lo, s0
	s_and_saveexec_b32 s1, s0
	s_cbranch_execz .LBB815_166
; %bb.131:
	s_mov_b32 s2, exec_lo
	v_cmp_ge_u32_e32 vcc_lo, v14, v23
                                        ; implicit-def: $vgpr4
	v_cmpx_lt_u32_e64 v14, v23
; %bb.132:
	v_lshl_add_u32 v4, v12, 2, v13
	ds_read_b32 v4, v4
; %bb.133:
	s_or_b32 exec_lo, exec_lo, s2
	v_cmp_ge_u32_e64 s2, v15, v24
	s_mov_b32 s3, exec_lo
                                        ; implicit-def: $vgpr10
	v_cmpx_lt_u32_e64 v15, v24
; %bb.134:
	v_lshl_add_u32 v5, v15, 2, v47
	ds_read_b32 v10, v5
; %bb.135:
	s_or_b32 exec_lo, exec_lo, s3
	s_nor_b32 s3, vcc_lo, s2
	s_and_saveexec_b32 s0, s3
	s_cbranch_execz .LBB815_137
; %bb.136:
	s_waitcnt lgkmcnt(0)
	v_ashrrev_i32_e32 v11, 31, v10
	v_ashrrev_i32_e32 v5, 31, v4
	s_andn2_b32 s2, s2, exec_lo
	v_lshlrev_b64 v[6:7], 2, v[10:11]
	v_lshlrev_b64 v[8:9], 2, v[4:5]
	v_add_co_u32 v5, vcc_lo, s14, v6
	v_add_co_ci_u32_e64 v6, null, s15, v7, vcc_lo
	v_add_co_u32 v7, vcc_lo, s14, v8
	v_add_co_ci_u32_e64 v8, null, s15, v9, vcc_lo
	s_clause 0x1
	global_load_dword v5, v[5:6], off
	global_load_dword v6, v[7:8], off
	s_waitcnt vmcnt(0)
	v_cmp_ge_u32_e32 vcc_lo, v5, v6
	s_and_b32 s3, vcc_lo, exec_lo
	s_or_b32 s2, s2, s3
.LBB815_137:
	s_or_b32 exec_lo, exec_lo, s0
	v_cndmask_b32_e64 v5, v15, v14, s2
	v_cndmask_b32_e64 v6, v24, v23, s2
	s_mov_b32 s3, -1
	s_mov_b32 s0, -1
	s_mov_b32 s4, exec_lo
	v_add_nc_u32_e32 v5, 1, v5
	v_add_nc_u32_e32 v6, -1, v6
	v_cndmask_b32_e64 v7, v5, v15, s2
	v_min_u32_e32 v6, v5, v6
	v_cndmask_b32_e64 v8, v14, v5, s2
	v_lshl_add_u32 v6, v6, 2, v47
	ds_read_b32 v6, v6
	s_waitcnt lgkmcnt(0)
	v_cndmask_b32_e64 v5, v6, v10, s2
	v_cndmask_b32_e64 v12, v4, v6, s2
	v_cmpx_lt_u32_e64 v7, v24
	s_cbranch_execz .LBB815_141
; %bb.138:
	s_mov_b32 s5, 0
	s_mov_b32 s0, exec_lo
	v_cmpx_lt_u32_e64 v8, v23
	s_cbranch_execz .LBB815_140
; %bb.139:
	v_ashrrev_i32_e32 v6, 31, v5
	v_ashrrev_i32_e32 v13, 31, v12
	v_lshlrev_b64 v[14:15], 2, v[5:6]
	v_lshlrev_b64 v[16:17], 2, v[12:13]
	v_add_co_u32 v13, vcc_lo, s14, v14
	v_add_co_ci_u32_e64 v14, null, s15, v15, vcc_lo
	v_add_co_u32 v15, vcc_lo, s14, v16
	v_add_co_ci_u32_e64 v16, null, s15, v17, vcc_lo
	s_clause 0x1
	global_load_dword v6, v[13:14], off
	global_load_dword v9, v[15:16], off
	s_waitcnt vmcnt(0)
	v_cmp_ge_u32_e32 vcc_lo, v6, v9
	s_and_b32 s5, vcc_lo, exec_lo
.LBB815_140:
	s_or_b32 exec_lo, exec_lo, s0
	s_orn2_b32 s0, s5, exec_lo
.LBB815_141:
	s_or_b32 exec_lo, exec_lo, s4
	v_cndmask_b32_e64 v6, v7, v8, s0
	v_cndmask_b32_e64 v9, v24, v23, s0
	s_mov_b32 s4, exec_lo
	v_add_nc_u32_e32 v6, 1, v6
	v_add_nc_u32_e32 v9, -1, v9
	v_cndmask_b32_e64 v8, v8, v6, s0
	v_min_u32_e32 v9, v6, v9
	v_lshl_add_u32 v9, v9, 2, v47
	ds_read_b32 v11, v9
	v_cndmask_b32_e64 v9, v6, v7, s0
	s_waitcnt lgkmcnt(0)
	v_cndmask_b32_e64 v6, v11, v5, s0
	v_cndmask_b32_e64 v13, v12, v11, s0
	v_cmpx_lt_u32_e64 v9, v24
	s_cbranch_execz .LBB815_145
; %bb.142:
	s_mov_b32 s5, 0
	s_mov_b32 s3, exec_lo
	v_cmpx_lt_u32_e64 v8, v23
	s_cbranch_execz .LBB815_144
; %bb.143:
	v_ashrrev_i32_e32 v7, 31, v6
	v_ashrrev_i32_e32 v14, 31, v13
	v_lshlrev_b64 v[15:16], 2, v[6:7]
	v_lshlrev_b64 v[17:18], 2, v[13:14]
	v_add_co_u32 v14, vcc_lo, s14, v15
	v_add_co_ci_u32_e64 v15, null, s15, v16, vcc_lo
	v_add_co_u32 v16, vcc_lo, s14, v17
	v_add_co_ci_u32_e64 v17, null, s15, v18, vcc_lo
	s_clause 0x1
	global_load_dword v7, v[14:15], off
	global_load_dword v11, v[16:17], off
	s_waitcnt vmcnt(0)
	v_cmp_ge_u32_e32 vcc_lo, v7, v11
	s_and_b32 s5, vcc_lo, exec_lo
.LBB815_144:
	s_or_b32 exec_lo, exec_lo, s3
	s_orn2_b32 s3, s5, exec_lo
.LBB815_145:
	s_or_b32 exec_lo, exec_lo, s4
	v_cndmask_b32_e64 v7, v9, v8, s3
	v_cndmask_b32_e64 v11, v24, v23, s3
	s_mov_b32 s5, -1
	s_mov_b32 s4, -1
	s_mov_b32 s19, exec_lo
	v_add_nc_u32_e32 v7, 1, v7
	v_add_nc_u32_e32 v11, -1, v11
	v_cndmask_b32_e64 v9, v7, v9, s3
	v_min_u32_e32 v11, v7, v11
	v_lshl_add_u32 v11, v11, 2, v47
	ds_read_b32 v14, v11
	v_cndmask_b32_e64 v11, v8, v7, s3
	s_waitcnt lgkmcnt(0)
	v_cndmask_b32_e64 v7, v14, v6, s3
	v_cndmask_b32_e64 v14, v13, v14, s3
	v_cmpx_lt_u32_e64 v9, v24
	s_cbranch_execz .LBB815_149
; %bb.146:
	s_mov_b32 s20, 0
	s_mov_b32 s4, exec_lo
	v_cmpx_lt_u32_e64 v11, v23
	s_cbranch_execz .LBB815_148
; %bb.147:
	v_ashrrev_i32_e32 v8, 31, v7
	v_ashrrev_i32_e32 v15, 31, v14
	v_lshlrev_b64 v[16:17], 2, v[7:8]
	v_lshlrev_b64 v[18:19], 2, v[14:15]
	v_add_co_u32 v15, vcc_lo, s14, v16
	v_add_co_ci_u32_e64 v16, null, s15, v17, vcc_lo
	v_add_co_u32 v17, vcc_lo, s14, v18
	v_add_co_ci_u32_e64 v18, null, s15, v19, vcc_lo
	s_clause 0x1
	global_load_dword v8, v[15:16], off
	global_load_dword v15, v[17:18], off
	s_waitcnt vmcnt(0)
	v_cmp_ge_u32_e32 vcc_lo, v8, v15
	s_and_b32 s20, vcc_lo, exec_lo
.LBB815_148:
	s_or_b32 exec_lo, exec_lo, s4
	s_orn2_b32 s4, s20, exec_lo
.LBB815_149:
	s_or_b32 exec_lo, exec_lo, s19
	v_cndmask_b32_e64 v8, v9, v11, s4
	v_cndmask_b32_e64 v15, v24, v23, s4
	s_mov_b32 s19, exec_lo
	v_add_nc_u32_e32 v8, 1, v8
	v_add_nc_u32_e32 v15, -1, v15
	v_cndmask_b32_e64 v17, v8, v9, s4
	v_min_u32_e32 v15, v8, v15
	v_cndmask_b32_e64 v11, v11, v8, s4
	v_lshl_add_u32 v15, v15, 2, v47
	ds_read_b32 v15, v15
	s_waitcnt lgkmcnt(0)
	v_cndmask_b32_e64 v8, v15, v7, s4
	v_cndmask_b32_e64 v15, v14, v15, s4
	v_cmpx_lt_u32_e64 v17, v24
	s_cbranch_execz .LBB815_153
; %bb.150:
	s_mov_b32 s20, 0
	s_mov_b32 s5, exec_lo
	v_cmpx_lt_u32_e64 v11, v23
	s_cbranch_execz .LBB815_152
; %bb.151:
	v_ashrrev_i32_e32 v9, 31, v8
	v_ashrrev_i32_e32 v16, 31, v15
	v_lshlrev_b64 v[18:19], 2, v[8:9]
	v_lshlrev_b64 v[20:21], 2, v[15:16]
	v_add_co_u32 v18, vcc_lo, s14, v18
	v_add_co_ci_u32_e64 v19, null, s15, v19, vcc_lo
	v_add_co_u32 v20, vcc_lo, s14, v20
	v_add_co_ci_u32_e64 v21, null, s15, v21, vcc_lo
	s_clause 0x1
	global_load_dword v9, v[18:19], off
	global_load_dword v16, v[20:21], off
	s_waitcnt vmcnt(0)
	v_cmp_ge_u32_e32 vcc_lo, v9, v16
	s_and_b32 s20, vcc_lo, exec_lo
.LBB815_152:
	s_or_b32 exec_lo, exec_lo, s5
	s_orn2_b32 s5, s20, exec_lo
.LBB815_153:
	s_or_b32 exec_lo, exec_lo, s19
	v_cndmask_b32_e64 v9, v17, v11, s5
	v_cndmask_b32_e64 v16, v24, v23, s5
	s_mov_b32 s19, -1
	s_mov_b32 s20, -1
	s_mov_b32 s21, exec_lo
	v_add_nc_u32_e32 v18, 1, v9
	v_add_nc_u32_e32 v9, -1, v16
	v_cndmask_b32_e64 v11, v11, v18, s5
	v_min_u32_e32 v9, v18, v9
	v_lshl_add_u32 v9, v9, 2, v47
	ds_read_b32 v19, v9
	v_cndmask_b32_e64 v9, v18, v17, s5
	s_waitcnt lgkmcnt(0)
	v_cndmask_b32_e64 v16, v19, v8, s5
	v_cndmask_b32_e64 v18, v15, v19, s5
	v_cmpx_lt_u32_e64 v9, v24
	s_cbranch_execz .LBB815_157
; %bb.154:
	s_mov_b32 s22, 0
	s_mov_b32 s20, exec_lo
	v_cmpx_lt_u32_e64 v11, v23
	s_cbranch_execz .LBB815_156
; %bb.155:
	v_ashrrev_i32_e32 v17, 31, v16
	v_ashrrev_i32_e32 v19, 31, v18
	v_lshlrev_b64 v[20:21], 2, v[16:17]
	v_lshlrev_b64 v[25:26], 2, v[18:19]
	v_add_co_u32 v19, vcc_lo, s14, v20
	v_add_co_ci_u32_e64 v20, null, s15, v21, vcc_lo
	v_add_co_u32 v21, vcc_lo, s14, v25
	v_add_co_ci_u32_e64 v22, null, s15, v26, vcc_lo
	s_clause 0x1
	global_load_dword v17, v[19:20], off
	global_load_dword v19, v[21:22], off
	s_waitcnt vmcnt(0)
	v_cmp_ge_u32_e32 vcc_lo, v17, v19
	s_and_b32 s22, vcc_lo, exec_lo
.LBB815_156:
	s_or_b32 exec_lo, exec_lo, s20
	s_orn2_b32 s20, s22, exec_lo
.LBB815_157:
	s_or_b32 exec_lo, exec_lo, s21
	v_cndmask_b32_e64 v17, v9, v11, s20
	v_cndmask_b32_e64 v19, v24, v23, s20
	s_mov_b32 s21, exec_lo
	v_add_nc_u32_e32 v20, 1, v17
	v_add_nc_u32_e32 v17, -1, v19
	v_min_u32_e32 v17, v20, v17
	v_lshl_add_u32 v17, v17, 2, v47
	ds_read_b32 v21, v17
	v_cndmask_b32_e64 v17, v20, v9, s20
	v_cndmask_b32_e64 v9, v11, v20, s20
	s_waitcnt lgkmcnt(0)
	v_cndmask_b32_e64 v19, v21, v16, s20
	v_cndmask_b32_e64 v21, v18, v21, s20
	v_cmpx_lt_u32_e64 v17, v24
	s_cbranch_execz .LBB815_161
; %bb.158:
	s_mov_b32 s22, 0
	s_mov_b32 s19, exec_lo
	v_cmpx_lt_u32_e64 v9, v23
	s_cbranch_execz .LBB815_160
; %bb.159:
	v_ashrrev_i32_e32 v20, 31, v19
	v_ashrrev_i32_e32 v22, 31, v21
	v_lshlrev_b64 v[25:26], 2, v[19:20]
	v_lshlrev_b64 v[48:49], 2, v[21:22]
	v_add_co_u32 v25, vcc_lo, s14, v25
	v_add_co_ci_u32_e64 v26, null, s15, v26, vcc_lo
	v_add_co_u32 v48, vcc_lo, s14, v48
	v_add_co_ci_u32_e64 v49, null, s15, v49, vcc_lo
	s_clause 0x1
	global_load_dword v11, v[25:26], off
	global_load_dword v20, v[48:49], off
	s_waitcnt vmcnt(0)
	v_cmp_ge_u32_e32 vcc_lo, v11, v20
	s_and_b32 s22, vcc_lo, exec_lo
.LBB815_160:
	s_or_b32 exec_lo, exec_lo, s19
	s_orn2_b32 s19, s22, exec_lo
.LBB815_161:
	s_or_b32 exec_lo, exec_lo, s21
	v_cndmask_b32_e64 v11, v17, v9, s19
	v_cndmask_b32_e64 v22, v24, v23, s19
	s_mov_b32 s21, exec_lo
	v_add_nc_u32_e32 v20, 1, v11
	v_add_nc_u32_e32 v11, -1, v22
	v_cndmask_b32_e64 v17, v20, v17, s19
	v_min_u32_e32 v11, v20, v11
	v_lshl_add_u32 v11, v11, 2, v47
	ds_read_b32 v22, v11
	s_waitcnt lgkmcnt(0)
	v_cndmask_b32_e64 v11, v21, v22, s19
	v_cmpx_lt_u32_e64 v17, v24
	s_cbranch_execz .LBB815_165
; %bb.162:
	v_cndmask_b32_e64 v9, v9, v20, s19
	v_cndmask_b32_e64 v22, v22, v19, s19
	s_mov_b32 s22, exec_lo
	v_cmpx_lt_u32_e64 v9, v23
	s_cbranch_execz .LBB815_164
; %bb.163:
	v_ashrrev_i32_e32 v23, 31, v22
	v_ashrrev_i32_e32 v25, 31, v11
	v_mov_b32_e32 v24, v11
	v_lshlrev_b64 v[47:48], 2, v[22:23]
	v_lshlrev_b64 v[23:24], 2, v[24:25]
	v_add_co_u32 v25, vcc_lo, s14, v47
	v_add_co_ci_u32_e64 v26, null, s15, v48, vcc_lo
	v_add_co_u32 v23, vcc_lo, s14, v23
	v_add_co_ci_u32_e64 v24, null, s15, v24, vcc_lo
	s_clause 0x1
	global_load_dword v9, v[25:26], off
	global_load_dword v17, v[23:24], off
	s_waitcnt vmcnt(0)
	v_cmp_lt_u32_e32 vcc_lo, v9, v17
	v_cndmask_b32_e32 v22, v11, v22, vcc_lo
.LBB815_164:
	s_or_b32 exec_lo, exec_lo, s22
	v_mov_b32_e32 v11, v22
.LBB815_165:
	s_or_b32 exec_lo, exec_lo, s21
	v_cndmask_b32_e64 v9, v16, v18, s20
	v_cndmask_b32_e64 v8, v8, v15, s5
	;; [unrolled: 1-line block ×7, first 2 shown]
.LBB815_166:
	s_or_b32 exec_lo, exec_lo, s1
	v_and_b32_e32 v14, 0x700, v46
	v_and_b32_e32 v15, 0xf8, v46
	v_lshlrev_b32_e32 v24, 2, v46
	s_mov_b32 s0, exec_lo
	v_or_b32_e32 v23, 0x80, v14
	v_add_nc_u32_e32 v25, 0x100, v14
	; wave barrier
	s_waitcnt lgkmcnt(0)
	s_barrier
	v_sub_nc_u32_e32 v13, v23, v14
	v_sub_nc_u32_e32 v12, v25, v23
	buffer_gl0_inv
	ds_write_b128 v24, v[4:7]
	ds_write_b128 v24, v[8:11] offset:16
	v_min_u32_e32 v16, v15, v13
	v_sub_nc_u32_e64 v12, v15, v12 clamp
	v_lshlrev_b32_e32 v13, 2, v14
	s_waitcnt lgkmcnt(0)
	s_barrier
	buffer_gl0_inv
	v_cmpx_lt_u32_e64 v12, v16
	s_cbranch_execz .LBB815_170
; %bb.167:
	v_lshlrev_b32_e32 v17, 2, v15
	s_mov_b32 s1, 0
	v_lshl_add_u32 v17, v23, 2, v17
	s_inst_prefetch 0x1
	.p2align	6
.LBB815_168:                            ; =>This Inner Loop Header: Depth=1
	v_add_nc_u32_e32 v18, v16, v12
	v_lshrrev_b32_e32 v22, 1, v18
	v_not_b32_e32 v18, v22
	v_lshl_add_u32 v19, v22, 2, v13
	v_lshl_add_u32 v20, v18, 2, v17
	ds_read_b32 v18, v19
	ds_read_b32 v20, v20
	s_waitcnt lgkmcnt(1)
	v_ashrrev_i32_e32 v19, 31, v18
	s_waitcnt lgkmcnt(0)
	v_ashrrev_i32_e32 v21, 31, v20
	v_lshlrev_b64 v[18:19], 2, v[18:19]
	v_lshlrev_b64 v[20:21], 2, v[20:21]
	v_add_co_u32 v18, vcc_lo, s14, v18
	v_add_co_ci_u32_e64 v19, null, s15, v19, vcc_lo
	v_add_co_u32 v20, vcc_lo, s14, v20
	v_add_co_ci_u32_e64 v21, null, s15, v21, vcc_lo
	s_clause 0x1
	global_load_dword v20, v[20:21], off
	global_load_dword v18, v[18:19], off
	v_add_nc_u32_e32 v19, 1, v22
	s_waitcnt vmcnt(0)
	v_cmp_lt_u32_e32 vcc_lo, v20, v18
	v_cndmask_b32_e32 v16, v16, v22, vcc_lo
	v_cndmask_b32_e32 v12, v19, v12, vcc_lo
	v_cmp_ge_u32_e32 vcc_lo, v12, v16
	s_or_b32 s1, vcc_lo, s1
	s_andn2_b32 exec_lo, exec_lo, s1
	s_cbranch_execnz .LBB815_168
; %bb.169:
	s_inst_prefetch 0x2
	s_or_b32 exec_lo, exec_lo, s1
.LBB815_170:
	s_or_b32 exec_lo, exec_lo, s0
	v_sub_nc_u32_e32 v15, v15, v12
	v_add_nc_u32_e32 v14, v12, v14
	v_add_nc_u32_e32 v15, v15, v23
	v_cmp_le_u32_e32 vcc_lo, v14, v23
	v_cmp_le_u32_e64 s0, v15, v25
	s_or_b32 s0, vcc_lo, s0
	s_and_saveexec_b32 s1, s0
	s_cbranch_execz .LBB815_206
; %bb.171:
	s_mov_b32 s2, exec_lo
	v_cmp_ge_u32_e32 vcc_lo, v14, v23
                                        ; implicit-def: $vgpr4
	v_cmpx_lt_u32_e64 v14, v23
; %bb.172:
	v_lshl_add_u32 v4, v12, 2, v13
	ds_read_b32 v4, v4
; %bb.173:
	s_or_b32 exec_lo, exec_lo, s2
	v_cmp_ge_u32_e64 s2, v15, v25
	s_mov_b32 s3, exec_lo
                                        ; implicit-def: $vgpr10
	v_cmpx_lt_u32_e64 v15, v25
; %bb.174:
	v_lshlrev_b32_e32 v5, 2, v15
	ds_read_b32 v10, v5
; %bb.175:
	s_or_b32 exec_lo, exec_lo, s3
	s_nor_b32 s3, vcc_lo, s2
	s_and_saveexec_b32 s0, s3
	s_cbranch_execz .LBB815_177
; %bb.176:
	s_waitcnt lgkmcnt(0)
	v_ashrrev_i32_e32 v11, 31, v10
	v_ashrrev_i32_e32 v5, 31, v4
	s_andn2_b32 s2, s2, exec_lo
	v_lshlrev_b64 v[6:7], 2, v[10:11]
	v_lshlrev_b64 v[8:9], 2, v[4:5]
	v_add_co_u32 v5, vcc_lo, s14, v6
	v_add_co_ci_u32_e64 v6, null, s15, v7, vcc_lo
	v_add_co_u32 v7, vcc_lo, s14, v8
	v_add_co_ci_u32_e64 v8, null, s15, v9, vcc_lo
	s_clause 0x1
	global_load_dword v5, v[5:6], off
	global_load_dword v6, v[7:8], off
	s_waitcnt vmcnt(0)
	v_cmp_ge_u32_e32 vcc_lo, v5, v6
	s_and_b32 s3, vcc_lo, exec_lo
	s_or_b32 s2, s2, s3
.LBB815_177:
	s_or_b32 exec_lo, exec_lo, s0
	v_cndmask_b32_e64 v5, v15, v14, s2
	v_cndmask_b32_e64 v6, v25, v23, s2
	s_mov_b32 s3, -1
	s_mov_b32 s0, -1
	s_mov_b32 s4, exec_lo
	v_add_nc_u32_e32 v5, 1, v5
	v_add_nc_u32_e32 v6, -1, v6
	v_cndmask_b32_e64 v7, v5, v15, s2
	v_min_u32_e32 v6, v5, v6
	v_cndmask_b32_e64 v8, v14, v5, s2
	v_lshlrev_b32_e32 v6, 2, v6
	ds_read_b32 v6, v6
	s_waitcnt lgkmcnt(0)
	v_cndmask_b32_e64 v5, v6, v10, s2
	v_cndmask_b32_e64 v12, v4, v6, s2
	v_cmpx_lt_u32_e64 v7, v25
	s_cbranch_execz .LBB815_181
; %bb.178:
	s_mov_b32 s5, 0
	s_mov_b32 s0, exec_lo
	v_cmpx_lt_u32_e64 v8, v23
	s_cbranch_execz .LBB815_180
; %bb.179:
	v_ashrrev_i32_e32 v6, 31, v5
	v_ashrrev_i32_e32 v13, 31, v12
	v_lshlrev_b64 v[14:15], 2, v[5:6]
	v_lshlrev_b64 v[16:17], 2, v[12:13]
	v_add_co_u32 v13, vcc_lo, s14, v14
	v_add_co_ci_u32_e64 v14, null, s15, v15, vcc_lo
	v_add_co_u32 v15, vcc_lo, s14, v16
	v_add_co_ci_u32_e64 v16, null, s15, v17, vcc_lo
	s_clause 0x1
	global_load_dword v6, v[13:14], off
	global_load_dword v9, v[15:16], off
	s_waitcnt vmcnt(0)
	v_cmp_ge_u32_e32 vcc_lo, v6, v9
	s_and_b32 s5, vcc_lo, exec_lo
.LBB815_180:
	s_or_b32 exec_lo, exec_lo, s0
	s_orn2_b32 s0, s5, exec_lo
.LBB815_181:
	s_or_b32 exec_lo, exec_lo, s4
	v_cndmask_b32_e64 v6, v7, v8, s0
	v_cndmask_b32_e64 v9, v25, v23, s0
	s_mov_b32 s4, exec_lo
	v_add_nc_u32_e32 v6, 1, v6
	v_add_nc_u32_e32 v9, -1, v9
	v_cndmask_b32_e64 v8, v8, v6, s0
	v_min_u32_e32 v9, v6, v9
	v_lshlrev_b32_e32 v9, 2, v9
	ds_read_b32 v11, v9
	v_cndmask_b32_e64 v9, v6, v7, s0
	s_waitcnt lgkmcnt(0)
	v_cndmask_b32_e64 v6, v11, v5, s0
	v_cndmask_b32_e64 v13, v12, v11, s0
	v_cmpx_lt_u32_e64 v9, v25
	s_cbranch_execz .LBB815_185
; %bb.182:
	s_mov_b32 s5, 0
	s_mov_b32 s3, exec_lo
	v_cmpx_lt_u32_e64 v8, v23
	s_cbranch_execz .LBB815_184
; %bb.183:
	v_ashrrev_i32_e32 v7, 31, v6
	v_ashrrev_i32_e32 v14, 31, v13
	v_lshlrev_b64 v[15:16], 2, v[6:7]
	v_lshlrev_b64 v[17:18], 2, v[13:14]
	v_add_co_u32 v14, vcc_lo, s14, v15
	v_add_co_ci_u32_e64 v15, null, s15, v16, vcc_lo
	v_add_co_u32 v16, vcc_lo, s14, v17
	v_add_co_ci_u32_e64 v17, null, s15, v18, vcc_lo
	s_clause 0x1
	global_load_dword v7, v[14:15], off
	global_load_dword v11, v[16:17], off
	s_waitcnt vmcnt(0)
	v_cmp_ge_u32_e32 vcc_lo, v7, v11
	s_and_b32 s5, vcc_lo, exec_lo
.LBB815_184:
	s_or_b32 exec_lo, exec_lo, s3
	s_orn2_b32 s3, s5, exec_lo
.LBB815_185:
	s_or_b32 exec_lo, exec_lo, s4
	v_cndmask_b32_e64 v7, v9, v8, s3
	v_cndmask_b32_e64 v11, v25, v23, s3
	s_mov_b32 s5, -1
	s_mov_b32 s4, -1
	s_mov_b32 s19, exec_lo
	v_add_nc_u32_e32 v7, 1, v7
	v_add_nc_u32_e32 v11, -1, v11
	v_cndmask_b32_e64 v9, v7, v9, s3
	v_min_u32_e32 v11, v7, v11
	v_lshlrev_b32_e32 v11, 2, v11
	ds_read_b32 v14, v11
	v_cndmask_b32_e64 v11, v8, v7, s3
	s_waitcnt lgkmcnt(0)
	v_cndmask_b32_e64 v7, v14, v6, s3
	v_cndmask_b32_e64 v14, v13, v14, s3
	v_cmpx_lt_u32_e64 v9, v25
	s_cbranch_execz .LBB815_189
; %bb.186:
	s_mov_b32 s20, 0
	s_mov_b32 s4, exec_lo
	v_cmpx_lt_u32_e64 v11, v23
	s_cbranch_execz .LBB815_188
; %bb.187:
	v_ashrrev_i32_e32 v8, 31, v7
	v_ashrrev_i32_e32 v15, 31, v14
	v_lshlrev_b64 v[16:17], 2, v[7:8]
	v_lshlrev_b64 v[18:19], 2, v[14:15]
	v_add_co_u32 v15, vcc_lo, s14, v16
	v_add_co_ci_u32_e64 v16, null, s15, v17, vcc_lo
	v_add_co_u32 v17, vcc_lo, s14, v18
	v_add_co_ci_u32_e64 v18, null, s15, v19, vcc_lo
	s_clause 0x1
	global_load_dword v8, v[15:16], off
	global_load_dword v15, v[17:18], off
	s_waitcnt vmcnt(0)
	v_cmp_ge_u32_e32 vcc_lo, v8, v15
	s_and_b32 s20, vcc_lo, exec_lo
.LBB815_188:
	s_or_b32 exec_lo, exec_lo, s4
	s_orn2_b32 s4, s20, exec_lo
.LBB815_189:
	s_or_b32 exec_lo, exec_lo, s19
	v_cndmask_b32_e64 v8, v9, v11, s4
	v_cndmask_b32_e64 v15, v25, v23, s4
	s_mov_b32 s19, exec_lo
	v_add_nc_u32_e32 v8, 1, v8
	v_add_nc_u32_e32 v15, -1, v15
	v_cndmask_b32_e64 v17, v8, v9, s4
	v_min_u32_e32 v15, v8, v15
	v_cndmask_b32_e64 v11, v11, v8, s4
	v_lshlrev_b32_e32 v15, 2, v15
	ds_read_b32 v15, v15
	s_waitcnt lgkmcnt(0)
	v_cndmask_b32_e64 v8, v15, v7, s4
	v_cndmask_b32_e64 v15, v14, v15, s4
	v_cmpx_lt_u32_e64 v17, v25
	s_cbranch_execz .LBB815_193
; %bb.190:
	s_mov_b32 s20, 0
	s_mov_b32 s5, exec_lo
	v_cmpx_lt_u32_e64 v11, v23
	s_cbranch_execz .LBB815_192
; %bb.191:
	v_ashrrev_i32_e32 v9, 31, v8
	v_ashrrev_i32_e32 v16, 31, v15
	v_lshlrev_b64 v[18:19], 2, v[8:9]
	v_lshlrev_b64 v[20:21], 2, v[15:16]
	v_add_co_u32 v18, vcc_lo, s14, v18
	v_add_co_ci_u32_e64 v19, null, s15, v19, vcc_lo
	v_add_co_u32 v20, vcc_lo, s14, v20
	v_add_co_ci_u32_e64 v21, null, s15, v21, vcc_lo
	s_clause 0x1
	global_load_dword v9, v[18:19], off
	global_load_dword v16, v[20:21], off
	s_waitcnt vmcnt(0)
	v_cmp_ge_u32_e32 vcc_lo, v9, v16
	s_and_b32 s20, vcc_lo, exec_lo
.LBB815_192:
	s_or_b32 exec_lo, exec_lo, s5
	s_orn2_b32 s5, s20, exec_lo
.LBB815_193:
	s_or_b32 exec_lo, exec_lo, s19
	v_cndmask_b32_e64 v9, v17, v11, s5
	v_cndmask_b32_e64 v16, v25, v23, s5
	s_mov_b32 s19, -1
	s_mov_b32 s20, -1
	s_mov_b32 s21, exec_lo
	v_add_nc_u32_e32 v18, 1, v9
	v_add_nc_u32_e32 v9, -1, v16
	v_cndmask_b32_e64 v11, v11, v18, s5
	v_min_u32_e32 v9, v18, v9
	v_lshlrev_b32_e32 v9, 2, v9
	ds_read_b32 v19, v9
	v_cndmask_b32_e64 v9, v18, v17, s5
	s_waitcnt lgkmcnt(0)
	v_cndmask_b32_e64 v16, v19, v8, s5
	v_cndmask_b32_e64 v18, v15, v19, s5
	v_cmpx_lt_u32_e64 v9, v25
	s_cbranch_execz .LBB815_197
; %bb.194:
	s_mov_b32 s22, 0
	s_mov_b32 s20, exec_lo
	v_cmpx_lt_u32_e64 v11, v23
	s_cbranch_execz .LBB815_196
; %bb.195:
	v_ashrrev_i32_e32 v17, 31, v16
	v_ashrrev_i32_e32 v19, 31, v18
	v_lshlrev_b64 v[20:21], 2, v[16:17]
	v_lshlrev_b64 v[47:48], 2, v[18:19]
	v_add_co_u32 v19, vcc_lo, s14, v20
	v_add_co_ci_u32_e64 v20, null, s15, v21, vcc_lo
	v_add_co_u32 v21, vcc_lo, s14, v47
	v_add_co_ci_u32_e64 v22, null, s15, v48, vcc_lo
	s_clause 0x1
	global_load_dword v17, v[19:20], off
	global_load_dword v19, v[21:22], off
	s_waitcnt vmcnt(0)
	v_cmp_ge_u32_e32 vcc_lo, v17, v19
	s_and_b32 s22, vcc_lo, exec_lo
.LBB815_196:
	s_or_b32 exec_lo, exec_lo, s20
	s_orn2_b32 s20, s22, exec_lo
.LBB815_197:
	s_or_b32 exec_lo, exec_lo, s21
	v_cndmask_b32_e64 v17, v9, v11, s20
	v_cndmask_b32_e64 v19, v25, v23, s20
	s_mov_b32 s21, exec_lo
	v_add_nc_u32_e32 v20, 1, v17
	v_add_nc_u32_e32 v17, -1, v19
	v_min_u32_e32 v17, v20, v17
	v_lshlrev_b32_e32 v17, 2, v17
	ds_read_b32 v21, v17
	v_cndmask_b32_e64 v17, v20, v9, s20
	v_cndmask_b32_e64 v9, v11, v20, s20
	s_waitcnt lgkmcnt(0)
	v_cndmask_b32_e64 v19, v21, v16, s20
	v_cndmask_b32_e64 v21, v18, v21, s20
	v_cmpx_lt_u32_e64 v17, v25
	s_cbranch_execz .LBB815_201
; %bb.198:
	s_mov_b32 s22, 0
	s_mov_b32 s19, exec_lo
	v_cmpx_lt_u32_e64 v9, v23
	s_cbranch_execz .LBB815_200
; %bb.199:
	v_ashrrev_i32_e32 v20, 31, v19
	v_ashrrev_i32_e32 v22, 31, v21
	v_lshlrev_b64 v[47:48], 2, v[19:20]
	v_lshlrev_b64 v[49:50], 2, v[21:22]
	v_add_co_u32 v47, vcc_lo, s14, v47
	v_add_co_ci_u32_e64 v48, null, s15, v48, vcc_lo
	v_add_co_u32 v49, vcc_lo, s14, v49
	v_add_co_ci_u32_e64 v50, null, s15, v50, vcc_lo
	s_clause 0x1
	global_load_dword v11, v[47:48], off
	global_load_dword v20, v[49:50], off
	s_waitcnt vmcnt(0)
	v_cmp_ge_u32_e32 vcc_lo, v11, v20
	s_and_b32 s22, vcc_lo, exec_lo
.LBB815_200:
	s_or_b32 exec_lo, exec_lo, s19
	s_orn2_b32 s19, s22, exec_lo
.LBB815_201:
	s_or_b32 exec_lo, exec_lo, s21
	v_cndmask_b32_e64 v11, v17, v9, s19
	v_cndmask_b32_e64 v22, v25, v23, s19
	s_mov_b32 s21, exec_lo
	v_add_nc_u32_e32 v20, 1, v11
	v_add_nc_u32_e32 v11, -1, v22
	v_cndmask_b32_e64 v17, v20, v17, s19
	v_min_u32_e32 v11, v20, v11
	v_lshlrev_b32_e32 v11, 2, v11
	ds_read_b32 v22, v11
	s_waitcnt lgkmcnt(0)
	v_cndmask_b32_e64 v11, v21, v22, s19
	v_cmpx_lt_u32_e64 v17, v25
	s_cbranch_execz .LBB815_205
; %bb.202:
	v_cndmask_b32_e64 v9, v9, v20, s19
	v_cndmask_b32_e64 v22, v22, v19, s19
	s_mov_b32 s22, exec_lo
	v_cmpx_lt_u32_e64 v9, v23
	s_cbranch_execz .LBB815_204
; %bb.203:
	v_ashrrev_i32_e32 v23, 31, v22
	v_ashrrev_i32_e32 v26, 31, v11
	v_mov_b32_e32 v25, v11
	v_lshlrev_b64 v[47:48], 2, v[22:23]
	v_lshlrev_b64 v[25:26], 2, v[25:26]
	v_add_co_u32 v47, vcc_lo, s14, v47
	v_add_co_ci_u32_e64 v48, null, s15, v48, vcc_lo
	v_add_co_u32 v25, vcc_lo, s14, v25
	v_add_co_ci_u32_e64 v26, null, s15, v26, vcc_lo
	s_clause 0x1
	global_load_dword v9, v[47:48], off
	global_load_dword v17, v[25:26], off
	s_waitcnt vmcnt(0)
	v_cmp_lt_u32_e32 vcc_lo, v9, v17
	v_cndmask_b32_e32 v22, v11, v22, vcc_lo
.LBB815_204:
	s_or_b32 exec_lo, exec_lo, s22
	v_mov_b32_e32 v11, v22
.LBB815_205:
	s_or_b32 exec_lo, exec_lo, s21
	v_cndmask_b32_e64 v9, v16, v18, s20
	v_cndmask_b32_e64 v8, v8, v15, s5
	;; [unrolled: 1-line block ×7, first 2 shown]
.LBB815_206:
	s_or_b32 exec_lo, exec_lo, s1
	v_and_b32_e32 v14, 0x600, v46
	v_and_b32_e32 v15, 0x1f8, v46
	s_mov_b32 s0, exec_lo
	s_barrier
	v_or_b32_e32 v23, 0x100, v14
	v_add_nc_u32_e32 v25, 0x200, v14
	buffer_gl0_inv
	ds_write_b128 v24, v[4:7]
	ds_write_b128 v24, v[8:11] offset:16
	v_sub_nc_u32_e32 v13, v23, v14
	v_sub_nc_u32_e32 v12, v25, v23
	s_waitcnt lgkmcnt(0)
	s_barrier
	buffer_gl0_inv
	v_min_u32_e32 v16, v15, v13
	v_sub_nc_u32_e64 v12, v15, v12 clamp
	v_lshlrev_b32_e32 v13, 2, v14
	v_cmpx_lt_u32_e64 v12, v16
	s_cbranch_execz .LBB815_210
; %bb.207:
	v_lshlrev_b32_e32 v17, 2, v15
	s_mov_b32 s1, 0
	v_lshl_add_u32 v17, v23, 2, v17
	s_inst_prefetch 0x1
	.p2align	6
.LBB815_208:                            ; =>This Inner Loop Header: Depth=1
	v_add_nc_u32_e32 v18, v16, v12
	v_lshrrev_b32_e32 v22, 1, v18
	v_not_b32_e32 v18, v22
	v_lshl_add_u32 v19, v22, 2, v13
	v_lshl_add_u32 v20, v18, 2, v17
	ds_read_b32 v18, v19
	ds_read_b32 v20, v20
	s_waitcnt lgkmcnt(1)
	v_ashrrev_i32_e32 v19, 31, v18
	s_waitcnt lgkmcnt(0)
	v_ashrrev_i32_e32 v21, 31, v20
	v_lshlrev_b64 v[18:19], 2, v[18:19]
	v_lshlrev_b64 v[20:21], 2, v[20:21]
	v_add_co_u32 v18, vcc_lo, s14, v18
	v_add_co_ci_u32_e64 v19, null, s15, v19, vcc_lo
	v_add_co_u32 v20, vcc_lo, s14, v20
	v_add_co_ci_u32_e64 v21, null, s15, v21, vcc_lo
	s_clause 0x1
	global_load_dword v20, v[20:21], off
	global_load_dword v18, v[18:19], off
	v_add_nc_u32_e32 v19, 1, v22
	s_waitcnt vmcnt(0)
	v_cmp_lt_u32_e32 vcc_lo, v20, v18
	v_cndmask_b32_e32 v16, v16, v22, vcc_lo
	v_cndmask_b32_e32 v12, v19, v12, vcc_lo
	v_cmp_ge_u32_e32 vcc_lo, v12, v16
	s_or_b32 s1, vcc_lo, s1
	s_andn2_b32 exec_lo, exec_lo, s1
	s_cbranch_execnz .LBB815_208
; %bb.209:
	s_inst_prefetch 0x2
	s_or_b32 exec_lo, exec_lo, s1
.LBB815_210:
	s_or_b32 exec_lo, exec_lo, s0
	v_sub_nc_u32_e32 v15, v15, v12
	v_add_nc_u32_e32 v14, v12, v14
	v_add_nc_u32_e32 v15, v15, v23
	v_cmp_le_u32_e32 vcc_lo, v14, v23
	v_cmp_le_u32_e64 s0, v15, v25
	s_or_b32 s0, vcc_lo, s0
	s_and_saveexec_b32 s1, s0
	s_cbranch_execz .LBB815_246
; %bb.211:
	s_mov_b32 s2, exec_lo
	v_cmp_ge_u32_e32 vcc_lo, v14, v23
                                        ; implicit-def: $vgpr4
	v_cmpx_lt_u32_e64 v14, v23
; %bb.212:
	v_lshl_add_u32 v4, v12, 2, v13
	ds_read_b32 v4, v4
; %bb.213:
	s_or_b32 exec_lo, exec_lo, s2
	v_cmp_ge_u32_e64 s2, v15, v25
	s_mov_b32 s3, exec_lo
                                        ; implicit-def: $vgpr10
	v_cmpx_lt_u32_e64 v15, v25
; %bb.214:
	v_lshlrev_b32_e32 v5, 2, v15
	ds_read_b32 v10, v5
; %bb.215:
	s_or_b32 exec_lo, exec_lo, s3
	s_nor_b32 s3, vcc_lo, s2
	s_and_saveexec_b32 s0, s3
	s_cbranch_execz .LBB815_217
; %bb.216:
	s_waitcnt lgkmcnt(0)
	v_ashrrev_i32_e32 v11, 31, v10
	v_ashrrev_i32_e32 v5, 31, v4
	s_andn2_b32 s2, s2, exec_lo
	v_lshlrev_b64 v[6:7], 2, v[10:11]
	v_lshlrev_b64 v[8:9], 2, v[4:5]
	v_add_co_u32 v5, vcc_lo, s14, v6
	v_add_co_ci_u32_e64 v6, null, s15, v7, vcc_lo
	v_add_co_u32 v7, vcc_lo, s14, v8
	v_add_co_ci_u32_e64 v8, null, s15, v9, vcc_lo
	s_clause 0x1
	global_load_dword v5, v[5:6], off
	global_load_dword v6, v[7:8], off
	s_waitcnt vmcnt(0)
	v_cmp_ge_u32_e32 vcc_lo, v5, v6
	s_and_b32 s3, vcc_lo, exec_lo
	s_or_b32 s2, s2, s3
.LBB815_217:
	s_or_b32 exec_lo, exec_lo, s0
	v_cndmask_b32_e64 v5, v15, v14, s2
	v_cndmask_b32_e64 v6, v25, v23, s2
	s_mov_b32 s3, -1
	s_mov_b32 s0, -1
	s_mov_b32 s4, exec_lo
	v_add_nc_u32_e32 v5, 1, v5
	v_add_nc_u32_e32 v6, -1, v6
	v_cndmask_b32_e64 v7, v5, v15, s2
	v_min_u32_e32 v6, v5, v6
	v_cndmask_b32_e64 v8, v14, v5, s2
	v_lshlrev_b32_e32 v6, 2, v6
	ds_read_b32 v6, v6
	s_waitcnt lgkmcnt(0)
	v_cndmask_b32_e64 v5, v6, v10, s2
	v_cndmask_b32_e64 v12, v4, v6, s2
	v_cmpx_lt_u32_e64 v7, v25
	s_cbranch_execz .LBB815_221
; %bb.218:
	s_mov_b32 s5, 0
	s_mov_b32 s0, exec_lo
	v_cmpx_lt_u32_e64 v8, v23
	s_cbranch_execz .LBB815_220
; %bb.219:
	v_ashrrev_i32_e32 v6, 31, v5
	v_ashrrev_i32_e32 v13, 31, v12
	v_lshlrev_b64 v[14:15], 2, v[5:6]
	v_lshlrev_b64 v[16:17], 2, v[12:13]
	v_add_co_u32 v13, vcc_lo, s14, v14
	v_add_co_ci_u32_e64 v14, null, s15, v15, vcc_lo
	v_add_co_u32 v15, vcc_lo, s14, v16
	v_add_co_ci_u32_e64 v16, null, s15, v17, vcc_lo
	s_clause 0x1
	global_load_dword v6, v[13:14], off
	global_load_dword v9, v[15:16], off
	s_waitcnt vmcnt(0)
	v_cmp_ge_u32_e32 vcc_lo, v6, v9
	s_and_b32 s5, vcc_lo, exec_lo
.LBB815_220:
	s_or_b32 exec_lo, exec_lo, s0
	s_orn2_b32 s0, s5, exec_lo
.LBB815_221:
	s_or_b32 exec_lo, exec_lo, s4
	v_cndmask_b32_e64 v6, v7, v8, s0
	v_cndmask_b32_e64 v9, v25, v23, s0
	s_mov_b32 s4, exec_lo
	v_add_nc_u32_e32 v6, 1, v6
	v_add_nc_u32_e32 v9, -1, v9
	v_cndmask_b32_e64 v8, v8, v6, s0
	v_min_u32_e32 v9, v6, v9
	v_lshlrev_b32_e32 v9, 2, v9
	ds_read_b32 v11, v9
	v_cndmask_b32_e64 v9, v6, v7, s0
	s_waitcnt lgkmcnt(0)
	v_cndmask_b32_e64 v6, v11, v5, s0
	v_cndmask_b32_e64 v13, v12, v11, s0
	v_cmpx_lt_u32_e64 v9, v25
	s_cbranch_execz .LBB815_225
; %bb.222:
	s_mov_b32 s5, 0
	s_mov_b32 s3, exec_lo
	v_cmpx_lt_u32_e64 v8, v23
	s_cbranch_execz .LBB815_224
; %bb.223:
	v_ashrrev_i32_e32 v7, 31, v6
	v_ashrrev_i32_e32 v14, 31, v13
	v_lshlrev_b64 v[15:16], 2, v[6:7]
	v_lshlrev_b64 v[17:18], 2, v[13:14]
	v_add_co_u32 v14, vcc_lo, s14, v15
	v_add_co_ci_u32_e64 v15, null, s15, v16, vcc_lo
	v_add_co_u32 v16, vcc_lo, s14, v17
	v_add_co_ci_u32_e64 v17, null, s15, v18, vcc_lo
	s_clause 0x1
	global_load_dword v7, v[14:15], off
	global_load_dword v11, v[16:17], off
	s_waitcnt vmcnt(0)
	v_cmp_ge_u32_e32 vcc_lo, v7, v11
	s_and_b32 s5, vcc_lo, exec_lo
.LBB815_224:
	s_or_b32 exec_lo, exec_lo, s3
	s_orn2_b32 s3, s5, exec_lo
.LBB815_225:
	s_or_b32 exec_lo, exec_lo, s4
	v_cndmask_b32_e64 v7, v9, v8, s3
	v_cndmask_b32_e64 v11, v25, v23, s3
	s_mov_b32 s5, -1
	s_mov_b32 s4, -1
	s_mov_b32 s19, exec_lo
	v_add_nc_u32_e32 v7, 1, v7
	v_add_nc_u32_e32 v11, -1, v11
	v_cndmask_b32_e64 v9, v7, v9, s3
	v_min_u32_e32 v11, v7, v11
	v_lshlrev_b32_e32 v11, 2, v11
	ds_read_b32 v14, v11
	v_cndmask_b32_e64 v11, v8, v7, s3
	s_waitcnt lgkmcnt(0)
	v_cndmask_b32_e64 v7, v14, v6, s3
	v_cndmask_b32_e64 v14, v13, v14, s3
	v_cmpx_lt_u32_e64 v9, v25
	s_cbranch_execz .LBB815_229
; %bb.226:
	s_mov_b32 s20, 0
	s_mov_b32 s4, exec_lo
	v_cmpx_lt_u32_e64 v11, v23
	s_cbranch_execz .LBB815_228
; %bb.227:
	v_ashrrev_i32_e32 v8, 31, v7
	v_ashrrev_i32_e32 v15, 31, v14
	v_lshlrev_b64 v[16:17], 2, v[7:8]
	v_lshlrev_b64 v[18:19], 2, v[14:15]
	v_add_co_u32 v15, vcc_lo, s14, v16
	v_add_co_ci_u32_e64 v16, null, s15, v17, vcc_lo
	v_add_co_u32 v17, vcc_lo, s14, v18
	v_add_co_ci_u32_e64 v18, null, s15, v19, vcc_lo
	s_clause 0x1
	global_load_dword v8, v[15:16], off
	global_load_dword v15, v[17:18], off
	s_waitcnt vmcnt(0)
	v_cmp_ge_u32_e32 vcc_lo, v8, v15
	s_and_b32 s20, vcc_lo, exec_lo
.LBB815_228:
	s_or_b32 exec_lo, exec_lo, s4
	s_orn2_b32 s4, s20, exec_lo
.LBB815_229:
	s_or_b32 exec_lo, exec_lo, s19
	v_cndmask_b32_e64 v8, v9, v11, s4
	v_cndmask_b32_e64 v15, v25, v23, s4
	s_mov_b32 s19, exec_lo
	v_add_nc_u32_e32 v8, 1, v8
	v_add_nc_u32_e32 v15, -1, v15
	v_cndmask_b32_e64 v17, v8, v9, s4
	v_min_u32_e32 v15, v8, v15
	v_cndmask_b32_e64 v11, v11, v8, s4
	v_lshlrev_b32_e32 v15, 2, v15
	ds_read_b32 v15, v15
	s_waitcnt lgkmcnt(0)
	v_cndmask_b32_e64 v8, v15, v7, s4
	v_cndmask_b32_e64 v15, v14, v15, s4
	v_cmpx_lt_u32_e64 v17, v25
	s_cbranch_execz .LBB815_233
; %bb.230:
	s_mov_b32 s20, 0
	s_mov_b32 s5, exec_lo
	v_cmpx_lt_u32_e64 v11, v23
	s_cbranch_execz .LBB815_232
; %bb.231:
	v_ashrrev_i32_e32 v9, 31, v8
	v_ashrrev_i32_e32 v16, 31, v15
	v_lshlrev_b64 v[18:19], 2, v[8:9]
	v_lshlrev_b64 v[20:21], 2, v[15:16]
	v_add_co_u32 v18, vcc_lo, s14, v18
	v_add_co_ci_u32_e64 v19, null, s15, v19, vcc_lo
	v_add_co_u32 v20, vcc_lo, s14, v20
	v_add_co_ci_u32_e64 v21, null, s15, v21, vcc_lo
	s_clause 0x1
	global_load_dword v9, v[18:19], off
	global_load_dword v16, v[20:21], off
	s_waitcnt vmcnt(0)
	v_cmp_ge_u32_e32 vcc_lo, v9, v16
	s_and_b32 s20, vcc_lo, exec_lo
.LBB815_232:
	s_or_b32 exec_lo, exec_lo, s5
	s_orn2_b32 s5, s20, exec_lo
.LBB815_233:
	s_or_b32 exec_lo, exec_lo, s19
	v_cndmask_b32_e64 v9, v17, v11, s5
	v_cndmask_b32_e64 v16, v25, v23, s5
	s_mov_b32 s19, -1
	s_mov_b32 s20, -1
	s_mov_b32 s21, exec_lo
	v_add_nc_u32_e32 v18, 1, v9
	v_add_nc_u32_e32 v9, -1, v16
	v_cndmask_b32_e64 v11, v11, v18, s5
	v_min_u32_e32 v9, v18, v9
	v_lshlrev_b32_e32 v9, 2, v9
	ds_read_b32 v19, v9
	v_cndmask_b32_e64 v9, v18, v17, s5
	s_waitcnt lgkmcnt(0)
	v_cndmask_b32_e64 v16, v19, v8, s5
	v_cndmask_b32_e64 v18, v15, v19, s5
	v_cmpx_lt_u32_e64 v9, v25
	s_cbranch_execz .LBB815_237
; %bb.234:
	s_mov_b32 s22, 0
	s_mov_b32 s20, exec_lo
	v_cmpx_lt_u32_e64 v11, v23
	s_cbranch_execz .LBB815_236
; %bb.235:
	v_ashrrev_i32_e32 v17, 31, v16
	v_ashrrev_i32_e32 v19, 31, v18
	v_lshlrev_b64 v[20:21], 2, v[16:17]
	v_lshlrev_b64 v[47:48], 2, v[18:19]
	v_add_co_u32 v19, vcc_lo, s14, v20
	v_add_co_ci_u32_e64 v20, null, s15, v21, vcc_lo
	v_add_co_u32 v21, vcc_lo, s14, v47
	v_add_co_ci_u32_e64 v22, null, s15, v48, vcc_lo
	s_clause 0x1
	global_load_dword v17, v[19:20], off
	global_load_dword v19, v[21:22], off
	s_waitcnt vmcnt(0)
	v_cmp_ge_u32_e32 vcc_lo, v17, v19
	s_and_b32 s22, vcc_lo, exec_lo
.LBB815_236:
	s_or_b32 exec_lo, exec_lo, s20
	s_orn2_b32 s20, s22, exec_lo
.LBB815_237:
	s_or_b32 exec_lo, exec_lo, s21
	v_cndmask_b32_e64 v17, v9, v11, s20
	v_cndmask_b32_e64 v19, v25, v23, s20
	s_mov_b32 s21, exec_lo
	v_add_nc_u32_e32 v20, 1, v17
	v_add_nc_u32_e32 v17, -1, v19
	v_min_u32_e32 v17, v20, v17
	v_lshlrev_b32_e32 v17, 2, v17
	ds_read_b32 v21, v17
	v_cndmask_b32_e64 v17, v20, v9, s20
	v_cndmask_b32_e64 v9, v11, v20, s20
	s_waitcnt lgkmcnt(0)
	v_cndmask_b32_e64 v19, v21, v16, s20
	v_cndmask_b32_e64 v21, v18, v21, s20
	v_cmpx_lt_u32_e64 v17, v25
	s_cbranch_execz .LBB815_241
; %bb.238:
	s_mov_b32 s22, 0
	s_mov_b32 s19, exec_lo
	v_cmpx_lt_u32_e64 v9, v23
	s_cbranch_execz .LBB815_240
; %bb.239:
	v_ashrrev_i32_e32 v20, 31, v19
	v_ashrrev_i32_e32 v22, 31, v21
	v_lshlrev_b64 v[47:48], 2, v[19:20]
	v_lshlrev_b64 v[49:50], 2, v[21:22]
	v_add_co_u32 v47, vcc_lo, s14, v47
	v_add_co_ci_u32_e64 v48, null, s15, v48, vcc_lo
	v_add_co_u32 v49, vcc_lo, s14, v49
	v_add_co_ci_u32_e64 v50, null, s15, v50, vcc_lo
	s_clause 0x1
	global_load_dword v11, v[47:48], off
	global_load_dword v20, v[49:50], off
	s_waitcnt vmcnt(0)
	v_cmp_ge_u32_e32 vcc_lo, v11, v20
	s_and_b32 s22, vcc_lo, exec_lo
.LBB815_240:
	s_or_b32 exec_lo, exec_lo, s19
	s_orn2_b32 s19, s22, exec_lo
.LBB815_241:
	s_or_b32 exec_lo, exec_lo, s21
	v_cndmask_b32_e64 v11, v17, v9, s19
	v_cndmask_b32_e64 v22, v25, v23, s19
	s_mov_b32 s21, exec_lo
	v_add_nc_u32_e32 v20, 1, v11
	v_add_nc_u32_e32 v11, -1, v22
	v_cndmask_b32_e64 v17, v20, v17, s19
	v_min_u32_e32 v11, v20, v11
	v_lshlrev_b32_e32 v11, 2, v11
	ds_read_b32 v22, v11
	s_waitcnt lgkmcnt(0)
	v_cndmask_b32_e64 v11, v21, v22, s19
	v_cmpx_lt_u32_e64 v17, v25
	s_cbranch_execz .LBB815_245
; %bb.242:
	v_cndmask_b32_e64 v9, v9, v20, s19
	v_cndmask_b32_e64 v22, v22, v19, s19
	s_mov_b32 s22, exec_lo
	v_cmpx_lt_u32_e64 v9, v23
	s_cbranch_execz .LBB815_244
; %bb.243:
	v_ashrrev_i32_e32 v23, 31, v22
	v_ashrrev_i32_e32 v26, 31, v11
	v_mov_b32_e32 v25, v11
	v_lshlrev_b64 v[47:48], 2, v[22:23]
	v_lshlrev_b64 v[25:26], 2, v[25:26]
	v_add_co_u32 v47, vcc_lo, s14, v47
	v_add_co_ci_u32_e64 v48, null, s15, v48, vcc_lo
	v_add_co_u32 v25, vcc_lo, s14, v25
	v_add_co_ci_u32_e64 v26, null, s15, v26, vcc_lo
	s_clause 0x1
	global_load_dword v9, v[47:48], off
	global_load_dword v17, v[25:26], off
	s_waitcnt vmcnt(0)
	v_cmp_lt_u32_e32 vcc_lo, v9, v17
	v_cndmask_b32_e32 v22, v11, v22, vcc_lo
.LBB815_244:
	s_or_b32 exec_lo, exec_lo, s22
	v_mov_b32_e32 v11, v22
.LBB815_245:
	s_or_b32 exec_lo, exec_lo, s21
	v_cndmask_b32_e64 v9, v16, v18, s20
	v_cndmask_b32_e64 v8, v8, v15, s5
	;; [unrolled: 1-line block ×7, first 2 shown]
.LBB815_246:
	s_or_b32 exec_lo, exec_lo, s1
	v_and_b32_e32 v14, 0x400, v46
	v_and_b32_e32 v15, 0x3f8, v46
	s_mov_b32 s0, exec_lo
	s_barrier
	v_or_b32_e32 v23, 0x200, v14
	v_add_nc_u32_e32 v25, 0x400, v14
	buffer_gl0_inv
	ds_write_b128 v24, v[4:7]
	ds_write_b128 v24, v[8:11] offset:16
	v_sub_nc_u32_e32 v13, v23, v14
	v_sub_nc_u32_e32 v12, v25, v23
	s_waitcnt lgkmcnt(0)
	s_barrier
	buffer_gl0_inv
	v_min_u32_e32 v16, v15, v13
	v_sub_nc_u32_e64 v12, v15, v12 clamp
	v_lshlrev_b32_e32 v13, 2, v14
	v_cmpx_lt_u32_e64 v12, v16
	s_cbranch_execz .LBB815_250
; %bb.247:
	v_lshlrev_b32_e32 v17, 2, v15
	s_mov_b32 s1, 0
	v_lshl_add_u32 v17, v23, 2, v17
	s_inst_prefetch 0x1
	.p2align	6
.LBB815_248:                            ; =>This Inner Loop Header: Depth=1
	v_add_nc_u32_e32 v18, v16, v12
	v_lshrrev_b32_e32 v22, 1, v18
	v_not_b32_e32 v18, v22
	v_lshl_add_u32 v19, v22, 2, v13
	v_lshl_add_u32 v20, v18, 2, v17
	ds_read_b32 v18, v19
	ds_read_b32 v20, v20
	s_waitcnt lgkmcnt(1)
	v_ashrrev_i32_e32 v19, 31, v18
	s_waitcnt lgkmcnt(0)
	v_ashrrev_i32_e32 v21, 31, v20
	v_lshlrev_b64 v[18:19], 2, v[18:19]
	v_lshlrev_b64 v[20:21], 2, v[20:21]
	v_add_co_u32 v18, vcc_lo, s14, v18
	v_add_co_ci_u32_e64 v19, null, s15, v19, vcc_lo
	v_add_co_u32 v20, vcc_lo, s14, v20
	v_add_co_ci_u32_e64 v21, null, s15, v21, vcc_lo
	s_clause 0x1
	global_load_dword v20, v[20:21], off
	global_load_dword v18, v[18:19], off
	v_add_nc_u32_e32 v19, 1, v22
	s_waitcnt vmcnt(0)
	v_cmp_lt_u32_e32 vcc_lo, v20, v18
	v_cndmask_b32_e32 v16, v16, v22, vcc_lo
	v_cndmask_b32_e32 v12, v19, v12, vcc_lo
	v_cmp_ge_u32_e32 vcc_lo, v12, v16
	s_or_b32 s1, vcc_lo, s1
	s_andn2_b32 exec_lo, exec_lo, s1
	s_cbranch_execnz .LBB815_248
; %bb.249:
	s_inst_prefetch 0x2
	s_or_b32 exec_lo, exec_lo, s1
.LBB815_250:
	s_or_b32 exec_lo, exec_lo, s0
	v_sub_nc_u32_e32 v15, v15, v12
	v_add_nc_u32_e32 v14, v12, v14
	v_add_nc_u32_e32 v15, v15, v23
	v_cmp_le_u32_e32 vcc_lo, v14, v23
	v_cmp_le_u32_e64 s0, v15, v25
	s_or_b32 s0, vcc_lo, s0
	s_and_saveexec_b32 s1, s0
	s_cbranch_execz .LBB815_286
; %bb.251:
	s_mov_b32 s2, exec_lo
	v_cmp_ge_u32_e32 vcc_lo, v14, v23
                                        ; implicit-def: $vgpr4
	v_cmpx_lt_u32_e64 v14, v23
; %bb.252:
	v_lshl_add_u32 v4, v12, 2, v13
	ds_read_b32 v4, v4
; %bb.253:
	s_or_b32 exec_lo, exec_lo, s2
	v_cmp_ge_u32_e64 s2, v15, v25
	s_mov_b32 s3, exec_lo
                                        ; implicit-def: $vgpr10
	v_cmpx_lt_u32_e64 v15, v25
; %bb.254:
	v_lshlrev_b32_e32 v5, 2, v15
	ds_read_b32 v10, v5
; %bb.255:
	s_or_b32 exec_lo, exec_lo, s3
	s_nor_b32 s3, vcc_lo, s2
	s_and_saveexec_b32 s0, s3
	s_cbranch_execz .LBB815_257
; %bb.256:
	s_waitcnt lgkmcnt(0)
	v_ashrrev_i32_e32 v11, 31, v10
	v_ashrrev_i32_e32 v5, 31, v4
	s_andn2_b32 s2, s2, exec_lo
	v_lshlrev_b64 v[6:7], 2, v[10:11]
	v_lshlrev_b64 v[8:9], 2, v[4:5]
	v_add_co_u32 v5, vcc_lo, s14, v6
	v_add_co_ci_u32_e64 v6, null, s15, v7, vcc_lo
	v_add_co_u32 v7, vcc_lo, s14, v8
	v_add_co_ci_u32_e64 v8, null, s15, v9, vcc_lo
	s_clause 0x1
	global_load_dword v5, v[5:6], off
	global_load_dword v6, v[7:8], off
	s_waitcnt vmcnt(0)
	v_cmp_ge_u32_e32 vcc_lo, v5, v6
	s_and_b32 s3, vcc_lo, exec_lo
	s_or_b32 s2, s2, s3
.LBB815_257:
	s_or_b32 exec_lo, exec_lo, s0
	v_cndmask_b32_e64 v5, v15, v14, s2
	v_cndmask_b32_e64 v6, v25, v23, s2
	s_mov_b32 s3, -1
	s_mov_b32 s0, -1
	s_mov_b32 s4, exec_lo
	v_add_nc_u32_e32 v5, 1, v5
	v_add_nc_u32_e32 v6, -1, v6
	v_cndmask_b32_e64 v7, v5, v15, s2
	v_min_u32_e32 v6, v5, v6
	v_cndmask_b32_e64 v8, v14, v5, s2
	v_lshlrev_b32_e32 v6, 2, v6
	ds_read_b32 v6, v6
	s_waitcnt lgkmcnt(0)
	v_cndmask_b32_e64 v5, v6, v10, s2
	v_cndmask_b32_e64 v12, v4, v6, s2
	v_cmpx_lt_u32_e64 v7, v25
	s_cbranch_execz .LBB815_261
; %bb.258:
	s_mov_b32 s5, 0
	s_mov_b32 s0, exec_lo
	v_cmpx_lt_u32_e64 v8, v23
	s_cbranch_execz .LBB815_260
; %bb.259:
	v_ashrrev_i32_e32 v6, 31, v5
	v_ashrrev_i32_e32 v13, 31, v12
	v_lshlrev_b64 v[14:15], 2, v[5:6]
	v_lshlrev_b64 v[16:17], 2, v[12:13]
	v_add_co_u32 v13, vcc_lo, s14, v14
	v_add_co_ci_u32_e64 v14, null, s15, v15, vcc_lo
	v_add_co_u32 v15, vcc_lo, s14, v16
	v_add_co_ci_u32_e64 v16, null, s15, v17, vcc_lo
	s_clause 0x1
	global_load_dword v6, v[13:14], off
	global_load_dword v9, v[15:16], off
	s_waitcnt vmcnt(0)
	v_cmp_ge_u32_e32 vcc_lo, v6, v9
	s_and_b32 s5, vcc_lo, exec_lo
.LBB815_260:
	s_or_b32 exec_lo, exec_lo, s0
	s_orn2_b32 s0, s5, exec_lo
.LBB815_261:
	s_or_b32 exec_lo, exec_lo, s4
	v_cndmask_b32_e64 v6, v7, v8, s0
	v_cndmask_b32_e64 v9, v25, v23, s0
	s_mov_b32 s4, exec_lo
	v_add_nc_u32_e32 v6, 1, v6
	v_add_nc_u32_e32 v9, -1, v9
	v_cndmask_b32_e64 v8, v8, v6, s0
	v_min_u32_e32 v9, v6, v9
	v_lshlrev_b32_e32 v9, 2, v9
	ds_read_b32 v11, v9
	v_cndmask_b32_e64 v9, v6, v7, s0
	s_waitcnt lgkmcnt(0)
	v_cndmask_b32_e64 v6, v11, v5, s0
	v_cndmask_b32_e64 v13, v12, v11, s0
	v_cmpx_lt_u32_e64 v9, v25
	s_cbranch_execz .LBB815_265
; %bb.262:
	s_mov_b32 s5, 0
	s_mov_b32 s3, exec_lo
	v_cmpx_lt_u32_e64 v8, v23
	s_cbranch_execz .LBB815_264
; %bb.263:
	v_ashrrev_i32_e32 v7, 31, v6
	v_ashrrev_i32_e32 v14, 31, v13
	v_lshlrev_b64 v[15:16], 2, v[6:7]
	v_lshlrev_b64 v[17:18], 2, v[13:14]
	v_add_co_u32 v14, vcc_lo, s14, v15
	v_add_co_ci_u32_e64 v15, null, s15, v16, vcc_lo
	v_add_co_u32 v16, vcc_lo, s14, v17
	v_add_co_ci_u32_e64 v17, null, s15, v18, vcc_lo
	s_clause 0x1
	global_load_dword v7, v[14:15], off
	global_load_dword v11, v[16:17], off
	s_waitcnt vmcnt(0)
	v_cmp_ge_u32_e32 vcc_lo, v7, v11
	s_and_b32 s5, vcc_lo, exec_lo
.LBB815_264:
	s_or_b32 exec_lo, exec_lo, s3
	s_orn2_b32 s3, s5, exec_lo
.LBB815_265:
	s_or_b32 exec_lo, exec_lo, s4
	v_cndmask_b32_e64 v7, v9, v8, s3
	v_cndmask_b32_e64 v11, v25, v23, s3
	s_mov_b32 s5, -1
	s_mov_b32 s4, -1
	s_mov_b32 s19, exec_lo
	v_add_nc_u32_e32 v7, 1, v7
	v_add_nc_u32_e32 v11, -1, v11
	v_cndmask_b32_e64 v9, v7, v9, s3
	v_min_u32_e32 v11, v7, v11
	v_lshlrev_b32_e32 v11, 2, v11
	ds_read_b32 v14, v11
	v_cndmask_b32_e64 v11, v8, v7, s3
	s_waitcnt lgkmcnt(0)
	v_cndmask_b32_e64 v7, v14, v6, s3
	v_cndmask_b32_e64 v14, v13, v14, s3
	v_cmpx_lt_u32_e64 v9, v25
	s_cbranch_execz .LBB815_269
; %bb.266:
	s_mov_b32 s20, 0
	s_mov_b32 s4, exec_lo
	v_cmpx_lt_u32_e64 v11, v23
	s_cbranch_execz .LBB815_268
; %bb.267:
	v_ashrrev_i32_e32 v8, 31, v7
	v_ashrrev_i32_e32 v15, 31, v14
	v_lshlrev_b64 v[16:17], 2, v[7:8]
	v_lshlrev_b64 v[18:19], 2, v[14:15]
	v_add_co_u32 v15, vcc_lo, s14, v16
	v_add_co_ci_u32_e64 v16, null, s15, v17, vcc_lo
	v_add_co_u32 v17, vcc_lo, s14, v18
	v_add_co_ci_u32_e64 v18, null, s15, v19, vcc_lo
	s_clause 0x1
	global_load_dword v8, v[15:16], off
	global_load_dword v15, v[17:18], off
	s_waitcnt vmcnt(0)
	v_cmp_ge_u32_e32 vcc_lo, v8, v15
	s_and_b32 s20, vcc_lo, exec_lo
.LBB815_268:
	s_or_b32 exec_lo, exec_lo, s4
	s_orn2_b32 s4, s20, exec_lo
.LBB815_269:
	s_or_b32 exec_lo, exec_lo, s19
	v_cndmask_b32_e64 v8, v9, v11, s4
	v_cndmask_b32_e64 v15, v25, v23, s4
	s_mov_b32 s19, exec_lo
	v_add_nc_u32_e32 v8, 1, v8
	v_add_nc_u32_e32 v15, -1, v15
	v_cndmask_b32_e64 v17, v8, v9, s4
	v_min_u32_e32 v15, v8, v15
	v_cndmask_b32_e64 v11, v11, v8, s4
	v_lshlrev_b32_e32 v15, 2, v15
	ds_read_b32 v15, v15
	s_waitcnt lgkmcnt(0)
	v_cndmask_b32_e64 v8, v15, v7, s4
	v_cndmask_b32_e64 v15, v14, v15, s4
	v_cmpx_lt_u32_e64 v17, v25
	s_cbranch_execz .LBB815_273
; %bb.270:
	s_mov_b32 s20, 0
	s_mov_b32 s5, exec_lo
	v_cmpx_lt_u32_e64 v11, v23
	s_cbranch_execz .LBB815_272
; %bb.271:
	v_ashrrev_i32_e32 v9, 31, v8
	v_ashrrev_i32_e32 v16, 31, v15
	v_lshlrev_b64 v[18:19], 2, v[8:9]
	v_lshlrev_b64 v[20:21], 2, v[15:16]
	v_add_co_u32 v18, vcc_lo, s14, v18
	v_add_co_ci_u32_e64 v19, null, s15, v19, vcc_lo
	v_add_co_u32 v20, vcc_lo, s14, v20
	v_add_co_ci_u32_e64 v21, null, s15, v21, vcc_lo
	s_clause 0x1
	global_load_dword v9, v[18:19], off
	global_load_dword v16, v[20:21], off
	s_waitcnt vmcnt(0)
	v_cmp_ge_u32_e32 vcc_lo, v9, v16
	s_and_b32 s20, vcc_lo, exec_lo
.LBB815_272:
	s_or_b32 exec_lo, exec_lo, s5
	s_orn2_b32 s5, s20, exec_lo
.LBB815_273:
	s_or_b32 exec_lo, exec_lo, s19
	v_cndmask_b32_e64 v9, v17, v11, s5
	v_cndmask_b32_e64 v16, v25, v23, s5
	s_mov_b32 s19, -1
	s_mov_b32 s20, -1
	s_mov_b32 s21, exec_lo
	v_add_nc_u32_e32 v18, 1, v9
	v_add_nc_u32_e32 v9, -1, v16
	v_cndmask_b32_e64 v11, v11, v18, s5
	v_min_u32_e32 v9, v18, v9
	v_lshlrev_b32_e32 v9, 2, v9
	ds_read_b32 v19, v9
	v_cndmask_b32_e64 v9, v18, v17, s5
	s_waitcnt lgkmcnt(0)
	v_cndmask_b32_e64 v16, v19, v8, s5
	v_cndmask_b32_e64 v18, v15, v19, s5
	v_cmpx_lt_u32_e64 v9, v25
	s_cbranch_execz .LBB815_277
; %bb.274:
	s_mov_b32 s22, 0
	s_mov_b32 s20, exec_lo
	v_cmpx_lt_u32_e64 v11, v23
	s_cbranch_execz .LBB815_276
; %bb.275:
	v_ashrrev_i32_e32 v17, 31, v16
	v_ashrrev_i32_e32 v19, 31, v18
	v_lshlrev_b64 v[20:21], 2, v[16:17]
	v_lshlrev_b64 v[47:48], 2, v[18:19]
	v_add_co_u32 v19, vcc_lo, s14, v20
	v_add_co_ci_u32_e64 v20, null, s15, v21, vcc_lo
	v_add_co_u32 v21, vcc_lo, s14, v47
	v_add_co_ci_u32_e64 v22, null, s15, v48, vcc_lo
	s_clause 0x1
	global_load_dword v17, v[19:20], off
	global_load_dword v19, v[21:22], off
	s_waitcnt vmcnt(0)
	v_cmp_ge_u32_e32 vcc_lo, v17, v19
	s_and_b32 s22, vcc_lo, exec_lo
.LBB815_276:
	s_or_b32 exec_lo, exec_lo, s20
	s_orn2_b32 s20, s22, exec_lo
.LBB815_277:
	s_or_b32 exec_lo, exec_lo, s21
	v_cndmask_b32_e64 v17, v9, v11, s20
	v_cndmask_b32_e64 v19, v25, v23, s20
	s_mov_b32 s21, exec_lo
	v_add_nc_u32_e32 v20, 1, v17
	v_add_nc_u32_e32 v17, -1, v19
	v_min_u32_e32 v17, v20, v17
	v_lshlrev_b32_e32 v17, 2, v17
	ds_read_b32 v21, v17
	v_cndmask_b32_e64 v17, v20, v9, s20
	v_cndmask_b32_e64 v9, v11, v20, s20
	s_waitcnt lgkmcnt(0)
	v_cndmask_b32_e64 v19, v21, v16, s20
	v_cndmask_b32_e64 v21, v18, v21, s20
	v_cmpx_lt_u32_e64 v17, v25
	s_cbranch_execz .LBB815_281
; %bb.278:
	s_mov_b32 s22, 0
	s_mov_b32 s19, exec_lo
	v_cmpx_lt_u32_e64 v9, v23
	s_cbranch_execz .LBB815_280
; %bb.279:
	v_ashrrev_i32_e32 v20, 31, v19
	v_ashrrev_i32_e32 v22, 31, v21
	v_lshlrev_b64 v[47:48], 2, v[19:20]
	v_lshlrev_b64 v[49:50], 2, v[21:22]
	v_add_co_u32 v47, vcc_lo, s14, v47
	v_add_co_ci_u32_e64 v48, null, s15, v48, vcc_lo
	v_add_co_u32 v49, vcc_lo, s14, v49
	v_add_co_ci_u32_e64 v50, null, s15, v50, vcc_lo
	s_clause 0x1
	global_load_dword v11, v[47:48], off
	global_load_dword v20, v[49:50], off
	s_waitcnt vmcnt(0)
	v_cmp_ge_u32_e32 vcc_lo, v11, v20
	s_and_b32 s22, vcc_lo, exec_lo
.LBB815_280:
	s_or_b32 exec_lo, exec_lo, s19
	s_orn2_b32 s19, s22, exec_lo
.LBB815_281:
	s_or_b32 exec_lo, exec_lo, s21
	v_cndmask_b32_e64 v11, v17, v9, s19
	v_cndmask_b32_e64 v22, v25, v23, s19
	s_mov_b32 s21, exec_lo
	v_add_nc_u32_e32 v20, 1, v11
	v_add_nc_u32_e32 v11, -1, v22
	v_cndmask_b32_e64 v17, v20, v17, s19
	v_min_u32_e32 v11, v20, v11
	v_lshlrev_b32_e32 v11, 2, v11
	ds_read_b32 v22, v11
	s_waitcnt lgkmcnt(0)
	v_cndmask_b32_e64 v11, v21, v22, s19
	v_cmpx_lt_u32_e64 v17, v25
	s_cbranch_execz .LBB815_285
; %bb.282:
	v_cndmask_b32_e64 v9, v9, v20, s19
	v_cndmask_b32_e64 v22, v22, v19, s19
	s_mov_b32 s22, exec_lo
	v_cmpx_lt_u32_e64 v9, v23
	s_cbranch_execz .LBB815_284
; %bb.283:
	v_ashrrev_i32_e32 v23, 31, v22
	v_ashrrev_i32_e32 v26, 31, v11
	v_mov_b32_e32 v25, v11
	v_lshlrev_b64 v[47:48], 2, v[22:23]
	v_lshlrev_b64 v[25:26], 2, v[25:26]
	v_add_co_u32 v47, vcc_lo, s14, v47
	v_add_co_ci_u32_e64 v48, null, s15, v48, vcc_lo
	v_add_co_u32 v25, vcc_lo, s14, v25
	v_add_co_ci_u32_e64 v26, null, s15, v26, vcc_lo
	s_clause 0x1
	global_load_dword v9, v[47:48], off
	global_load_dword v17, v[25:26], off
	s_waitcnt vmcnt(0)
	v_cmp_lt_u32_e32 vcc_lo, v9, v17
	v_cndmask_b32_e32 v22, v11, v22, vcc_lo
.LBB815_284:
	s_or_b32 exec_lo, exec_lo, s22
	v_mov_b32_e32 v11, v22
.LBB815_285:
	s_or_b32 exec_lo, exec_lo, s21
	v_cndmask_b32_e64 v9, v16, v18, s20
	v_cndmask_b32_e64 v8, v8, v15, s5
	;; [unrolled: 1-line block ×7, first 2 shown]
.LBB815_286:
	s_or_b32 exec_lo, exec_lo, s1
	v_and_b32_e32 v13, 0x7f8, v46
	s_mov_b32 s0, exec_lo
	s_barrier
	buffer_gl0_inv
	v_subrev_nc_u32_e64 v12, 0x400, v13 clamp
	v_min_u32_e32 v14, 0x400, v13
	ds_write_b128 v24, v[4:7]
	ds_write_b128 v24, v[8:11] offset:16
	s_waitcnt lgkmcnt(0)
	s_barrier
	buffer_gl0_inv
	v_cmpx_lt_u32_e64 v12, v14
	s_cbranch_execz .LBB815_290
; %bb.287:
	v_lshlrev_b32_e32 v15, 2, v13
	s_mov_b32 s1, 0
	v_lshl_add_u32 v15, 0x400, 2, v15
	s_inst_prefetch 0x1
	.p2align	6
.LBB815_288:                            ; =>This Inner Loop Header: Depth=1
	v_add_nc_u32_e32 v16, v14, v12
	v_lshrrev_b32_e32 v20, 1, v16
	v_not_b32_e32 v16, v20
	v_lshlrev_b32_e32 v17, 2, v20
	v_lshl_add_u32 v18, v16, 2, v15
	ds_read_b32 v16, v17
	ds_read_b32 v18, v18
	s_waitcnt lgkmcnt(1)
	v_ashrrev_i32_e32 v17, 31, v16
	s_waitcnt lgkmcnt(0)
	v_ashrrev_i32_e32 v19, 31, v18
	v_lshlrev_b64 v[16:17], 2, v[16:17]
	v_lshlrev_b64 v[18:19], 2, v[18:19]
	v_add_co_u32 v16, vcc_lo, s14, v16
	v_add_co_ci_u32_e64 v17, null, s15, v17, vcc_lo
	v_add_co_u32 v18, vcc_lo, s14, v18
	v_add_co_ci_u32_e64 v19, null, s15, v19, vcc_lo
	s_clause 0x1
	global_load_dword v18, v[18:19], off
	global_load_dword v16, v[16:17], off
	v_add_nc_u32_e32 v17, 1, v20
	s_waitcnt vmcnt(0)
	v_cmp_lt_u32_e32 vcc_lo, v18, v16
	v_cndmask_b32_e32 v14, v14, v20, vcc_lo
	v_cndmask_b32_e32 v12, v17, v12, vcc_lo
	v_cmp_ge_u32_e32 vcc_lo, v12, v14
	s_or_b32 s1, vcc_lo, s1
	s_andn2_b32 exec_lo, exec_lo, s1
	s_cbranch_execnz .LBB815_288
; %bb.289:
	s_inst_prefetch 0x2
	s_or_b32 exec_lo, exec_lo, s1
.LBB815_290:
	s_or_b32 exec_lo, exec_lo, s0
	v_sub_nc_u32_e32 v13, v13, v12
	v_cmp_ge_u32_e32 vcc_lo, 0x400, v12
	v_add_nc_u32_e32 v13, 0x400, v13
	v_cmp_gt_u32_e64 s0, 0x801, v13
	s_or_b32 s0, vcc_lo, s0
	s_and_saveexec_b32 s1, s0
	s_cbranch_execz .LBB815_326
; %bb.291:
	s_mov_b32 s2, exec_lo
	v_cmp_le_u32_e32 vcc_lo, 0x400, v12
                                        ; implicit-def: $vgpr4
	v_cmpx_gt_u32_e32 0x400, v12
; %bb.292:
	v_lshlrev_b32_e32 v4, 2, v12
	ds_read_b32 v4, v4
; %bb.293:
	s_or_b32 exec_lo, exec_lo, s2
	v_cmp_lt_u32_e64 s2, 0x7ff, v13
	s_mov_b32 s3, exec_lo
                                        ; implicit-def: $vgpr10
	v_cmpx_gt_u32_e32 0x800, v13
; %bb.294:
	v_lshlrev_b32_e32 v5, 2, v13
	ds_read_b32 v10, v5
; %bb.295:
	s_or_b32 exec_lo, exec_lo, s3
	s_nor_b32 s3, vcc_lo, s2
	s_and_saveexec_b32 s0, s3
	s_cbranch_execz .LBB815_297
; %bb.296:
	s_waitcnt lgkmcnt(0)
	v_ashrrev_i32_e32 v11, 31, v10
	v_ashrrev_i32_e32 v5, 31, v4
	s_andn2_b32 s2, s2, exec_lo
	v_lshlrev_b64 v[6:7], 2, v[10:11]
	v_lshlrev_b64 v[8:9], 2, v[4:5]
	v_add_co_u32 v5, vcc_lo, s14, v6
	v_add_co_ci_u32_e64 v6, null, s15, v7, vcc_lo
	v_add_co_u32 v7, vcc_lo, s14, v8
	v_add_co_ci_u32_e64 v8, null, s15, v9, vcc_lo
	s_clause 0x1
	global_load_dword v5, v[5:6], off
	global_load_dword v6, v[7:8], off
	s_waitcnt vmcnt(0)
	v_cmp_ge_u32_e32 vcc_lo, v5, v6
	s_and_b32 s3, vcc_lo, exec_lo
	s_or_b32 s2, s2, s3
.LBB815_297:
	s_or_b32 exec_lo, exec_lo, s0
	v_cndmask_b32_e64 v5, v13, v12, s2
	v_add_nc_u32_e64 v11, 0x400, -1
	s_mov_b32 s3, -1
	s_mov_b32 s0, -1
	s_mov_b32 s4, exec_lo
	v_add_nc_u32_e32 v5, 1, v5
	v_cndmask_b32_e64 v6, 0x7ff, v11, s2
	v_cndmask_b32_e64 v7, v5, v13, s2
	v_min_u32_e32 v6, v5, v6
	v_cndmask_b32_e64 v8, v12, v5, s2
	v_lshlrev_b32_e32 v6, 2, v6
	ds_read_b32 v6, v6
	s_waitcnt lgkmcnt(0)
	v_cndmask_b32_e64 v5, v6, v10, s2
	v_cndmask_b32_e64 v12, v4, v6, s2
	v_cmpx_gt_u32_e32 0x800, v7
	s_cbranch_execz .LBB815_301
; %bb.298:
	s_mov_b32 s5, 0
	s_mov_b32 s0, exec_lo
	v_cmpx_gt_u32_e32 0x400, v8
	s_cbranch_execz .LBB815_300
; %bb.299:
	v_ashrrev_i32_e32 v6, 31, v5
	v_ashrrev_i32_e32 v13, 31, v12
	v_lshlrev_b64 v[14:15], 2, v[5:6]
	v_lshlrev_b64 v[16:17], 2, v[12:13]
	v_add_co_u32 v13, vcc_lo, s14, v14
	v_add_co_ci_u32_e64 v14, null, s15, v15, vcc_lo
	v_add_co_u32 v15, vcc_lo, s14, v16
	v_add_co_ci_u32_e64 v16, null, s15, v17, vcc_lo
	s_clause 0x1
	global_load_dword v6, v[13:14], off
	global_load_dword v9, v[15:16], off
	s_waitcnt vmcnt(0)
	v_cmp_ge_u32_e32 vcc_lo, v6, v9
	s_and_b32 s5, vcc_lo, exec_lo
.LBB815_300:
	s_or_b32 exec_lo, exec_lo, s0
	s_orn2_b32 s0, s5, exec_lo
.LBB815_301:
	s_or_b32 exec_lo, exec_lo, s4
	v_cndmask_b32_e64 v6, v7, v8, s0
	v_cndmask_b32_e64 v9, 0x7ff, v11, s0
	s_mov_b32 s4, exec_lo
	v_add_nc_u32_e32 v6, 1, v6
	v_min_u32_e32 v9, v6, v9
	v_cndmask_b32_e64 v8, v8, v6, s0
	v_lshlrev_b32_e32 v9, 2, v9
	ds_read_b32 v13, v9
	v_cndmask_b32_e64 v9, v6, v7, s0
	s_waitcnt lgkmcnt(0)
	v_cndmask_b32_e64 v6, v13, v5, s0
	v_cndmask_b32_e64 v13, v12, v13, s0
	v_cmpx_gt_u32_e32 0x800, v9
	s_cbranch_execz .LBB815_305
; %bb.302:
	s_mov_b32 s5, 0
	s_mov_b32 s3, exec_lo
	v_cmpx_gt_u32_e32 0x400, v8
	s_cbranch_execz .LBB815_304
; %bb.303:
	v_ashrrev_i32_e32 v7, 31, v6
	v_ashrrev_i32_e32 v14, 31, v13
	v_lshlrev_b64 v[15:16], 2, v[6:7]
	v_lshlrev_b64 v[17:18], 2, v[13:14]
	v_add_co_u32 v14, vcc_lo, s14, v15
	v_add_co_ci_u32_e64 v15, null, s15, v16, vcc_lo
	v_add_co_u32 v16, vcc_lo, s14, v17
	v_add_co_ci_u32_e64 v17, null, s15, v18, vcc_lo
	s_clause 0x1
	global_load_dword v7, v[14:15], off
	global_load_dword v14, v[16:17], off
	s_waitcnt vmcnt(0)
	v_cmp_ge_u32_e32 vcc_lo, v7, v14
	s_and_b32 s5, vcc_lo, exec_lo
.LBB815_304:
	s_or_b32 exec_lo, exec_lo, s3
	s_orn2_b32 s3, s5, exec_lo
.LBB815_305:
	s_or_b32 exec_lo, exec_lo, s4
	v_cndmask_b32_e64 v7, v9, v8, s3
	v_cndmask_b32_e64 v14, 0x7ff, v11, s3
	s_mov_b32 s5, -1
	s_mov_b32 s4, -1
	s_mov_b32 s19, exec_lo
	v_add_nc_u32_e32 v7, 1, v7
	v_min_u32_e32 v14, v7, v14
	v_cndmask_b32_e64 v9, v7, v9, s3
	v_cndmask_b32_e64 v16, v8, v7, s3
	v_lshlrev_b32_e32 v14, 2, v14
	ds_read_b32 v14, v14
	s_waitcnt lgkmcnt(0)
	v_cndmask_b32_e64 v7, v14, v6, s3
	v_cndmask_b32_e64 v14, v13, v14, s3
	v_cmpx_gt_u32_e32 0x800, v9
	s_cbranch_execz .LBB815_309
; %bb.306:
	s_mov_b32 s20, 0
	s_mov_b32 s4, exec_lo
	v_cmpx_gt_u32_e32 0x400, v16
	s_cbranch_execz .LBB815_308
; %bb.307:
	v_ashrrev_i32_e32 v8, 31, v7
	v_ashrrev_i32_e32 v15, 31, v14
	v_lshlrev_b64 v[17:18], 2, v[7:8]
	v_lshlrev_b64 v[19:20], 2, v[14:15]
	v_add_co_u32 v17, vcc_lo, s14, v17
	v_add_co_ci_u32_e64 v18, null, s15, v18, vcc_lo
	v_add_co_u32 v19, vcc_lo, s14, v19
	v_add_co_ci_u32_e64 v20, null, s15, v20, vcc_lo
	s_clause 0x1
	global_load_dword v8, v[17:18], off
	global_load_dword v15, v[19:20], off
	s_waitcnt vmcnt(0)
	v_cmp_ge_u32_e32 vcc_lo, v8, v15
	s_and_b32 s20, vcc_lo, exec_lo
.LBB815_308:
	s_or_b32 exec_lo, exec_lo, s4
	s_orn2_b32 s4, s20, exec_lo
.LBB815_309:
	s_or_b32 exec_lo, exec_lo, s19
	v_cndmask_b32_e64 v8, v9, v16, s4
	v_cndmask_b32_e64 v15, 0x7ff, v11, s4
	s_mov_b32 s19, exec_lo
	v_add_nc_u32_e32 v8, 1, v8
	v_min_u32_e32 v15, v8, v15
	v_cndmask_b32_e64 v17, v8, v9, s4
	v_cndmask_b32_e64 v18, v16, v8, s4
	v_lshlrev_b32_e32 v15, 2, v15
	ds_read_b32 v15, v15
	s_waitcnt lgkmcnt(0)
	v_cndmask_b32_e64 v8, v15, v7, s4
	v_cndmask_b32_e64 v15, v14, v15, s4
	v_cmpx_gt_u32_e32 0x800, v17
	s_cbranch_execz .LBB815_313
; %bb.310:
	s_mov_b32 s20, 0
	s_mov_b32 s5, exec_lo
	v_cmpx_gt_u32_e32 0x400, v18
	s_cbranch_execz .LBB815_312
; %bb.311:
	v_ashrrev_i32_e32 v9, 31, v8
	v_ashrrev_i32_e32 v16, 31, v15
	v_lshlrev_b64 v[19:20], 2, v[8:9]
	v_lshlrev_b64 v[21:22], 2, v[15:16]
	v_add_co_u32 v19, vcc_lo, s14, v19
	v_add_co_ci_u32_e64 v20, null, s15, v20, vcc_lo
	v_add_co_u32 v21, vcc_lo, s14, v21
	v_add_co_ci_u32_e64 v22, null, s15, v22, vcc_lo
	s_clause 0x1
	global_load_dword v9, v[19:20], off
	global_load_dword v16, v[21:22], off
	s_waitcnt vmcnt(0)
	v_cmp_ge_u32_e32 vcc_lo, v9, v16
	s_and_b32 s20, vcc_lo, exec_lo
.LBB815_312:
	s_or_b32 exec_lo, exec_lo, s5
	s_orn2_b32 s5, s20, exec_lo
.LBB815_313:
	s_or_b32 exec_lo, exec_lo, s19
	v_cndmask_b32_e64 v9, v17, v18, s5
	v_cndmask_b32_e64 v16, 0x7ff, v11, s5
	s_mov_b32 s19, -1
	s_mov_b32 s20, -1
	s_mov_b32 s21, exec_lo
	v_add_nc_u32_e32 v19, 1, v9
	v_min_u32_e32 v9, v19, v16
	v_cndmask_b32_e64 v20, v18, v19, s5
	v_lshlrev_b32_e32 v9, 2, v9
	ds_read_b32 v21, v9
	v_cndmask_b32_e64 v9, v19, v17, s5
	s_waitcnt lgkmcnt(0)
	v_cndmask_b32_e64 v16, v21, v8, s5
	v_cndmask_b32_e64 v18, v15, v21, s5
	v_cmpx_gt_u32_e32 0x800, v9
	s_cbranch_execz .LBB815_317
; %bb.314:
	s_mov_b32 s22, 0
	s_mov_b32 s20, exec_lo
	v_cmpx_gt_u32_e32 0x400, v20
	s_cbranch_execz .LBB815_316
; %bb.315:
	v_ashrrev_i32_e32 v17, 31, v16
	v_ashrrev_i32_e32 v19, 31, v18
	v_lshlrev_b64 v[21:22], 2, v[16:17]
	v_lshlrev_b64 v[23:24], 2, v[18:19]
	v_add_co_u32 v21, vcc_lo, s14, v21
	v_add_co_ci_u32_e64 v22, null, s15, v22, vcc_lo
	v_add_co_u32 v23, vcc_lo, s14, v23
	v_add_co_ci_u32_e64 v24, null, s15, v24, vcc_lo
	s_clause 0x1
	global_load_dword v17, v[21:22], off
	global_load_dword v19, v[23:24], off
	s_waitcnt vmcnt(0)
	v_cmp_ge_u32_e32 vcc_lo, v17, v19
	s_and_b32 s22, vcc_lo, exec_lo
.LBB815_316:
	s_or_b32 exec_lo, exec_lo, s20
	s_orn2_b32 s20, s22, exec_lo
.LBB815_317:
	s_or_b32 exec_lo, exec_lo, s21
	v_cndmask_b32_e64 v17, v9, v20, s20
	v_cndmask_b32_e64 v19, 0x7ff, v11, s20
	s_mov_b32 s21, exec_lo
	v_add_nc_u32_e32 v21, 1, v17
	v_min_u32_e32 v17, v21, v19
	v_lshlrev_b32_e32 v17, 2, v17
	ds_read_b32 v22, v17
	v_cndmask_b32_e64 v17, v21, v9, s20
	v_cndmask_b32_e64 v9, v20, v21, s20
	s_waitcnt lgkmcnt(0)
	v_cndmask_b32_e64 v19, v22, v16, s20
	v_cndmask_b32_e64 v21, v18, v22, s20
	v_cmpx_gt_u32_e32 0x800, v17
	s_cbranch_execz .LBB815_321
; %bb.318:
	s_mov_b32 s22, 0
	s_mov_b32 s19, exec_lo
	v_cmpx_gt_u32_e32 0x400, v9
	s_cbranch_execz .LBB815_320
; %bb.319:
	v_ashrrev_i32_e32 v20, 31, v19
	v_ashrrev_i32_e32 v22, 31, v21
	v_lshlrev_b64 v[23:24], 2, v[19:20]
	v_lshlrev_b64 v[25:26], 2, v[21:22]
	v_add_co_u32 v22, vcc_lo, s14, v23
	v_add_co_ci_u32_e64 v23, null, s15, v24, vcc_lo
	v_add_co_u32 v24, vcc_lo, s14, v25
	v_add_co_ci_u32_e64 v25, null, s15, v26, vcc_lo
	s_clause 0x1
	global_load_dword v20, v[22:23], off
	global_load_dword v22, v[24:25], off
	s_waitcnt vmcnt(0)
	v_cmp_ge_u32_e32 vcc_lo, v20, v22
	s_and_b32 s22, vcc_lo, exec_lo
.LBB815_320:
	s_or_b32 exec_lo, exec_lo, s19
	s_orn2_b32 s19, s22, exec_lo
.LBB815_321:
	s_or_b32 exec_lo, exec_lo, s21
	v_cndmask_b32_e64 v20, v17, v9, s19
	v_cndmask_b32_e64 v11, 0x7ff, v11, s19
	s_mov_b32 s21, exec_lo
	v_add_nc_u32_e32 v20, 1, v20
	v_min_u32_e32 v11, v20, v11
	v_cndmask_b32_e64 v17, v20, v17, s19
	v_lshlrev_b32_e32 v11, 2, v11
	ds_read_b32 v22, v11
	s_waitcnt lgkmcnt(0)
	v_cndmask_b32_e64 v11, v21, v22, s19
	v_cmpx_gt_u32_e32 0x800, v17
	s_cbranch_execz .LBB815_325
; %bb.322:
	v_cndmask_b32_e64 v9, v9, v20, s19
	v_cndmask_b32_e64 v22, v22, v19, s19
	s_mov_b32 s22, exec_lo
	v_cmpx_gt_u32_e32 0x400, v9
	s_cbranch_execz .LBB815_324
; %bb.323:
	v_ashrrev_i32_e32 v23, 31, v22
	v_ashrrev_i32_e32 v25, 31, v11
	v_mov_b32_e32 v24, v11
	v_lshlrev_b64 v[46:47], 2, v[22:23]
	v_lshlrev_b64 v[23:24], 2, v[24:25]
	v_add_co_u32 v25, vcc_lo, s14, v46
	v_add_co_ci_u32_e64 v26, null, s15, v47, vcc_lo
	v_add_co_u32 v23, vcc_lo, s14, v23
	v_add_co_ci_u32_e64 v24, null, s15, v24, vcc_lo
	s_clause 0x1
	global_load_dword v9, v[25:26], off
	global_load_dword v17, v[23:24], off
	s_waitcnt vmcnt(0)
	v_cmp_lt_u32_e32 vcc_lo, v9, v17
	v_cndmask_b32_e32 v22, v11, v22, vcc_lo
.LBB815_324:
	s_or_b32 exec_lo, exec_lo, s22
	v_mov_b32_e32 v11, v22
.LBB815_325:
	s_or_b32 exec_lo, exec_lo, s21
	v_cndmask_b32_e64 v9, v16, v18, s20
	v_cndmask_b32_e64 v8, v8, v15, s5
	;; [unrolled: 1-line block ×7, first 2 shown]
.LBB815_326:
	s_or_b32 exec_lo, exec_lo, s1
	s_barrier
	buffer_gl0_inv
	s_barrier
	buffer_gl0_inv
	ds_write2_b32 v43, v4, v5 offset1:1
	ds_write2_b32 v43, v6, v7 offset0:2 offset1:3
	ds_write2_b32 v43, v8, v9 offset0:4 offset1:5
	;; [unrolled: 1-line block ×3, first 2 shown]
	s_waitcnt lgkmcnt(0)
	s_barrier
	buffer_gl0_inv
	ds_read_b32 v9, v37
	ds_read_b32 v10, v44 offset:1024
	ds_read_b32 v11, v45 offset:2048
	;; [unrolled: 1-line block ×7, first 2 shown]
	v_add_co_u32 v5, s0, s17, v27
	v_add_co_ci_u32_e64 v6, null, s18, 0, s0
	v_add_co_u32 v7, vcc_lo, 0x800, v5
	v_add_co_ci_u32_e64 v8, null, 0, v6, vcc_lo
	s_waitcnt lgkmcnt(7)
	flat_store_dword v[5:6], v9
	s_waitcnt lgkmcnt(7)
	flat_store_dword v[5:6], v10 offset:1024
	v_add_co_u32 v9, vcc_lo, 0x1000, v5
	v_add_co_ci_u32_e64 v10, null, 0, v6, vcc_lo
	v_add_co_u32 v5, vcc_lo, 0x1800, v5
	v_add_co_ci_u32_e64 v6, null, 0, v6, vcc_lo
	s_waitcnt lgkmcnt(7)
	flat_store_dword v[7:8], v11
	s_waitcnt lgkmcnt(7)
	flat_store_dword v[7:8], v12 offset:1024
	s_waitcnt lgkmcnt(7)
	flat_store_dword v[9:10], v13
	s_waitcnt lgkmcnt(7)
	flat_store_dword v[9:10], v14 offset:1024
	s_mov_b32 s19, -1
	s_waitcnt lgkmcnt(7)
	flat_store_dword v[5:6], v15
	s_branch .LBB815_668
.LBB815_327:
	s_mov_b32 s19, s9
                                        ; implicit-def: $vgpr4
	s_cbranch_execz .LBB815_668
; %bb.328:
	s_waitcnt lgkmcnt(7)
	v_mov_b32_e32 v4, 0
	s_lshl_b64 s[0:1], s[8:9], 11
	s_sub_i32 s16, s16, s0
	v_cmp_gt_u32_e32 vcc_lo, s16, v0
	v_mov_b32_e32 v5, v4
	v_mov_b32_e32 v6, v4
	;; [unrolled: 1-line block ×7, first 2 shown]
	s_and_saveexec_b32 s0, vcc_lo
	s_cbranch_execz .LBB815_336
; %bb.329:
	v_add_co_u32 v5, s1, s7, v27
	v_add_co_ci_u32_e64 v6, null, s13, 0, s1
	v_mov_b32_e32 v12, v4
	v_mov_b32_e32 v7, v4
	v_mov_b32_e32 v8, v4
	flat_load_dword v5, v[5:6]
	v_mov_b32_e32 v6, v4
	v_mov_b32_e32 v9, v4
	;; [unrolled: 1-line block ×4, first 2 shown]
	s_waitcnt vmcnt(0) lgkmcnt(0)
	v_mov_b32_e32 v4, v5
	v_mov_b32_e32 v5, v6
	;; [unrolled: 1-line block ×8, first 2 shown]
	s_or_b32 exec_lo, exec_lo, s0
	v_cmp_gt_u32_e64 s0, s16, v36
	s_and_saveexec_b32 s1, s0
	s_cbranch_execnz .LBB815_337
.LBB815_330:
	s_or_b32 exec_lo, exec_lo, s1
	v_cmp_gt_u32_e64 s1, s16, v35
	s_and_saveexec_b32 s2, s1
	s_cbranch_execz .LBB815_338
.LBB815_331:
	v_lshlrev_b32_e32 v1, 2, v35
	v_add_co_u32 v12, s3, s7, v1
	v_add_co_ci_u32_e64 v13, null, s13, 0, s3
	flat_load_dword v6, v[12:13]
	s_or_b32 exec_lo, exec_lo, s2
	v_cmp_gt_u32_e64 s2, s16, v33
	s_and_saveexec_b32 s3, s2
	s_cbranch_execnz .LBB815_339
.LBB815_332:
	s_or_b32 exec_lo, exec_lo, s3
	v_cmp_gt_u32_e64 s3, s16, v32
	s_and_saveexec_b32 s4, s3
	s_cbranch_execz .LBB815_340
.LBB815_333:
	v_lshlrev_b32_e32 v1, 2, v32
	v_add_co_u32 v12, s5, s7, v1
	v_add_co_ci_u32_e64 v13, null, s13, 0, s5
	flat_load_dword v8, v[12:13]
	s_or_b32 exec_lo, exec_lo, s4
	v_cmp_gt_u32_e64 s4, s16, v31
	s_and_saveexec_b32 s5, s4
	s_cbranch_execnz .LBB815_341
.LBB815_334:
	s_or_b32 exec_lo, exec_lo, s5
	v_cmp_gt_u32_e64 s5, s16, v30
	s_and_saveexec_b32 s8, s5
	s_cbranch_execz .LBB815_342
.LBB815_335:
	v_lshlrev_b32_e32 v1, 2, v30
	v_add_co_u32 v12, s9, s7, v1
	v_add_co_ci_u32_e64 v13, null, s13, 0, s9
	flat_load_dword v10, v[12:13]
	s_or_b32 exec_lo, exec_lo, s8
	v_cmp_gt_u32_e64 s19, s16, v29
	s_and_saveexec_b32 s8, s19
	s_cbranch_execnz .LBB815_343
	s_branch .LBB815_344
.LBB815_336:
	s_or_b32 exec_lo, exec_lo, s0
	v_cmp_gt_u32_e64 s0, s16, v36
	s_and_saveexec_b32 s1, s0
	s_cbranch_execz .LBB815_330
.LBB815_337:
	v_add_co_u32 v12, s2, s7, v27
	v_add_co_ci_u32_e64 v13, null, s13, 0, s2
	flat_load_dword v5, v[12:13] offset:1024
	s_or_b32 exec_lo, exec_lo, s1
	v_cmp_gt_u32_e64 s1, s16, v35
	s_and_saveexec_b32 s2, s1
	s_cbranch_execnz .LBB815_331
.LBB815_338:
	s_or_b32 exec_lo, exec_lo, s2
	v_cmp_gt_u32_e64 s2, s16, v33
	s_and_saveexec_b32 s3, s2
	s_cbranch_execz .LBB815_332
.LBB815_339:
	v_lshlrev_b32_e32 v1, 2, v33
	v_add_co_u32 v12, s4, s7, v1
	v_add_co_ci_u32_e64 v13, null, s13, 0, s4
	flat_load_dword v7, v[12:13]
	s_or_b32 exec_lo, exec_lo, s3
	v_cmp_gt_u32_e64 s3, s16, v32
	s_and_saveexec_b32 s4, s3
	s_cbranch_execnz .LBB815_333
.LBB815_340:
	s_or_b32 exec_lo, exec_lo, s4
	v_cmp_gt_u32_e64 s4, s16, v31
	s_and_saveexec_b32 s5, s4
	s_cbranch_execz .LBB815_334
.LBB815_341:
	v_lshlrev_b32_e32 v1, 2, v31
	v_add_co_u32 v12, s8, s7, v1
	v_add_co_ci_u32_e64 v13, null, s13, 0, s8
	flat_load_dword v9, v[12:13]
	s_or_b32 exec_lo, exec_lo, s5
	v_cmp_gt_u32_e64 s5, s16, v30
	s_and_saveexec_b32 s8, s5
	s_cbranch_execnz .LBB815_335
.LBB815_342:
	s_or_b32 exec_lo, exec_lo, s8
	v_cmp_gt_u32_e64 s19, s16, v29
	s_and_saveexec_b32 s8, s19
	s_cbranch_execz .LBB815_344
.LBB815_343:
	v_lshlrev_b32_e32 v1, 2, v29
	v_add_co_u32 v11, s7, s7, v1
	v_add_co_ci_u32_e64 v12, null, s13, 0, s7
	flat_load_dword v11, v[11:12]
.LBB815_344:
	s_or_b32 exec_lo, exec_lo, s8
	v_lshrrev_b32_e32 v1, 3, v36
	v_lshrrev_b32_e32 v12, 3, v35
	v_and_b32_e32 v13, 28, v34
	v_lshrrev_b32_e32 v14, 3, v33
	v_lshrrev_b32_e32 v15, 3, v32
	v_and_b32_e32 v1, 60, v1
	v_and_b32_e32 v12, 0x7c, v12
	v_add_nc_u32_e32 v23, v13, v27
	v_lshrrev_b32_e32 v16, 3, v31
	v_lshl_add_u32 v28, v0, 5, v28
	v_add_nc_u32_e32 v24, v1, v27
	v_add_nc_u32_e32 v25, v12, v27
	v_lshrrev_b32_e32 v1, 3, v30
	v_and_b32_e32 v12, 0x7c, v14
	ds_write_b32 v23, v4
	s_waitcnt vmcnt(0) lgkmcnt(1)
	ds_write_b32 v24, v5 offset:1024
	ds_write_b32 v25, v6 offset:2048
	v_lshrrev_b32_e32 v4, 3, v29
	v_and_b32_e32 v5, 0xfc, v15
	v_and_b32_e32 v6, 0xfc, v16
	;; [unrolled: 1-line block ×3, first 2 shown]
	v_add_nc_u32_e32 v26, v12, v27
	v_and_b32_e32 v4, 0xfc, v4
	v_add_nc_u32_e32 v29, v5, v27
	v_add_nc_u32_e32 v30, v6, v27
	;; [unrolled: 1-line block ×3, first 2 shown]
	ds_write_b32 v26, v7 offset:3072
	v_add_nc_u32_e32 v32, v4, v27
	ds_write_b32 v29, v8 offset:4096
	ds_write_b32 v30, v9 offset:5120
	;; [unrolled: 1-line block ×3, first 2 shown]
	v_mov_b32_e32 v1, 0
	ds_write_b32 v32, v11 offset:7168
	s_waitcnt lgkmcnt(0)
	s_waitcnt_vscnt null, 0x0
	s_barrier
	buffer_gl0_inv
	ds_read2_b32 v[8:9], v28 offset1:1
	ds_read2_b32 v[10:11], v28 offset0:2 offset1:3
	ds_read2_b32 v[4:5], v28 offset0:4 offset1:5
	;; [unrolled: 1-line block ×3, first 2 shown]
	s_waitcnt lgkmcnt(0)
	s_barrier
	buffer_gl0_inv
	s_load_dword s7, s[10:11], 0xc
	s_waitcnt lgkmcnt(0)
	s_lshr_b32 s8, s7, 16
	s_cmp_lt_u32 s6, s12
	v_mad_u32_u24 v2, v2, s8, v3
	s_cselect_b32 s6, 12, 18
	s_add_u32 s6, s10, s6
	s_addc_u32 s7, s11, 0
	global_load_ushort v1, v1, s[6:7]
	s_waitcnt vmcnt(0)
	v_mul_lo_u32 v1, v2, v1
	v_add_lshl_u32 v1, v1, v0, 3
	v_sub_nc_u32_e64 v2, s16, v1 clamp
	v_cmp_lt_u32_e64 s6, 1, v2
	s_and_saveexec_b32 s8, s6
	s_cbranch_execz .LBB815_352
; %bb.345:
	v_ashrrev_i32_e32 v13, 31, v9
	v_mov_b32_e32 v12, v9
	v_ashrrev_i32_e32 v15, 31, v8
	v_mov_b32_e32 v14, v8
	v_lshlrev_b64 v[12:13], 2, v[12:13]
	v_lshlrev_b64 v[14:15], 2, v[14:15]
	v_add_co_u32 v12, s7, s14, v12
	v_add_co_ci_u32_e64 v13, null, s15, v13, s7
	v_add_co_u32 v14, s7, s14, v14
	v_add_co_ci_u32_e64 v15, null, s15, v15, s7
	s_clause 0x1
	global_load_dword v3, v[12:13], off
	global_load_dword v12, v[14:15], off
	s_waitcnt vmcnt(0)
	v_cmp_lt_u32_e64 s7, v3, v12
	v_mov_b32_e32 v3, v9
	s_and_saveexec_b32 s9, s7
; %bb.346:
	v_mov_b32_e32 v3, v8
	v_mov_b32_e32 v8, v9
; %bb.347:
	s_or_b32 exec_lo, exec_lo, s9
	v_mov_b32_e32 v9, v3
	s_or_b32 exec_lo, exec_lo, s8
	v_cmp_lt_u32_e64 s7, 3, v2
	s_and_saveexec_b32 s9, s7
	s_cbranch_execnz .LBB815_353
.LBB815_348:
	s_or_b32 exec_lo, exec_lo, s9
	v_cmp_lt_u32_e64 s8, 5, v2
	s_and_saveexec_b32 s10, s8
	s_cbranch_execz .LBB815_356
.LBB815_349:
	v_ashrrev_i32_e32 v13, 31, v5
	v_mov_b32_e32 v12, v5
	v_ashrrev_i32_e32 v15, 31, v4
	v_mov_b32_e32 v14, v4
	v_lshlrev_b64 v[12:13], 2, v[12:13]
	v_lshlrev_b64 v[14:15], 2, v[14:15]
	v_add_co_u32 v12, s9, s14, v12
	v_add_co_ci_u32_e64 v13, null, s15, v13, s9
	v_add_co_u32 v14, s9, s14, v14
	v_add_co_ci_u32_e64 v15, null, s15, v15, s9
	s_clause 0x1
	global_load_dword v3, v[12:13], off
	global_load_dword v12, v[14:15], off
	s_waitcnt vmcnt(0)
	v_cmp_lt_u32_e64 s9, v3, v12
	v_mov_b32_e32 v3, v5
	s_and_saveexec_b32 s11, s9
; %bb.350:
	v_mov_b32_e32 v3, v4
	v_mov_b32_e32 v4, v5
; %bb.351:
	s_or_b32 exec_lo, exec_lo, s11
	v_mov_b32_e32 v5, v3
	s_or_b32 exec_lo, exec_lo, s10
	v_cmp_lt_u32_e64 s9, 7, v2
	s_and_saveexec_b32 s11, s9
	s_cbranch_execz .LBB815_360
	s_branch .LBB815_357
.LBB815_352:
	s_or_b32 exec_lo, exec_lo, s8
	v_cmp_lt_u32_e64 s7, 3, v2
	s_and_saveexec_b32 s9, s7
	s_cbranch_execz .LBB815_348
.LBB815_353:
	v_ashrrev_i32_e32 v13, 31, v11
	v_mov_b32_e32 v12, v11
	v_ashrrev_i32_e32 v15, 31, v10
	v_mov_b32_e32 v14, v10
	v_lshlrev_b64 v[12:13], 2, v[12:13]
	v_lshlrev_b64 v[14:15], 2, v[14:15]
	v_add_co_u32 v12, s8, s14, v12
	v_add_co_ci_u32_e64 v13, null, s15, v13, s8
	v_add_co_u32 v14, s8, s14, v14
	v_add_co_ci_u32_e64 v15, null, s15, v15, s8
	s_clause 0x1
	global_load_dword v3, v[12:13], off
	global_load_dword v12, v[14:15], off
	s_waitcnt vmcnt(0)
	v_cmp_lt_u32_e64 s8, v3, v12
	v_mov_b32_e32 v3, v11
	s_and_saveexec_b32 s10, s8
; %bb.354:
	v_mov_b32_e32 v3, v10
	v_mov_b32_e32 v10, v11
; %bb.355:
	s_or_b32 exec_lo, exec_lo, s10
	v_mov_b32_e32 v11, v3
	s_or_b32 exec_lo, exec_lo, s9
	v_cmp_lt_u32_e64 s8, 5, v2
	s_and_saveexec_b32 s10, s8
	s_cbranch_execnz .LBB815_349
.LBB815_356:
	s_or_b32 exec_lo, exec_lo, s10
	v_cmp_lt_u32_e64 s9, 7, v2
	s_and_saveexec_b32 s11, s9
	s_cbranch_execz .LBB815_360
.LBB815_357:
	v_ashrrev_i32_e32 v13, 31, v7
	v_mov_b32_e32 v12, v7
	v_ashrrev_i32_e32 v15, 31, v6
	v_mov_b32_e32 v14, v6
	v_lshlrev_b64 v[12:13], 2, v[12:13]
	v_lshlrev_b64 v[14:15], 2, v[14:15]
	v_add_co_u32 v12, s10, s14, v12
	v_add_co_ci_u32_e64 v13, null, s15, v13, s10
	v_add_co_u32 v14, s10, s14, v14
	v_add_co_ci_u32_e64 v15, null, s15, v15, s10
	s_clause 0x1
	global_load_dword v3, v[12:13], off
	global_load_dword v12, v[14:15], off
	s_waitcnt vmcnt(0)
	v_cmp_lt_u32_e64 s10, v3, v12
	v_mov_b32_e32 v3, v7
	s_and_saveexec_b32 s12, s10
; %bb.358:
	v_mov_b32_e32 v3, v6
	v_mov_b32_e32 v6, v7
; %bb.359:
	s_or_b32 exec_lo, exec_lo, s12
	v_mov_b32_e32 v7, v3
.LBB815_360:
	s_or_b32 exec_lo, exec_lo, s11
	v_cmp_lt_u32_e64 s10, 2, v2
	s_and_saveexec_b32 s11, s10
	s_xor_b32 s12, exec_lo, s11
	s_cbranch_execz .LBB815_408
; %bb.361:
	v_ashrrev_i32_e32 v13, 31, v10
	v_mov_b32_e32 v12, v10
	v_ashrrev_i32_e32 v15, 31, v9
	v_mov_b32_e32 v14, v9
	v_lshlrev_b64 v[12:13], 2, v[12:13]
	v_lshlrev_b64 v[14:15], 2, v[14:15]
	v_add_co_u32 v12, s11, s14, v12
	v_add_co_ci_u32_e64 v13, null, s15, v13, s11
	v_add_co_u32 v14, s11, s14, v14
	v_add_co_ci_u32_e64 v15, null, s15, v15, s11
	s_clause 0x1
	global_load_dword v3, v[12:13], off
	global_load_dword v12, v[14:15], off
	s_waitcnt vmcnt(0)
	v_cmp_lt_u32_e64 s11, v3, v12
	v_mov_b32_e32 v3, v10
	s_and_saveexec_b32 s13, s11
; %bb.362:
	v_mov_b32_e32 v3, v9
	v_mov_b32_e32 v9, v10
; %bb.363:
	s_or_b32 exec_lo, exec_lo, s13
	v_mov_b32_e32 v10, v3
	s_or_b32 exec_lo, exec_lo, s12
	v_cmp_lt_u32_e64 s11, 4, v2
	s_and_saveexec_b32 s13, s11
	s_cbranch_execnz .LBB815_409
.LBB815_364:
	s_or_b32 exec_lo, exec_lo, s13
	v_cmp_lt_u32_e64 s12, 6, v2
	s_and_saveexec_b32 s20, s12
	s_cbranch_execz .LBB815_412
.LBB815_365:
	v_ashrrev_i32_e32 v3, 31, v6
	v_mov_b32_e32 v2, v6
	v_ashrrev_i32_e32 v13, 31, v5
	v_mov_b32_e32 v12, v5
	v_lshlrev_b64 v[2:3], 2, v[2:3]
	v_lshlrev_b64 v[12:13], 2, v[12:13]
	v_add_co_u32 v2, s13, s14, v2
	v_add_co_ci_u32_e64 v3, null, s15, v3, s13
	v_add_co_u32 v12, s13, s14, v12
	v_add_co_ci_u32_e64 v13, null, s15, v13, s13
	s_clause 0x1
	global_load_dword v2, v[2:3], off
	global_load_dword v3, v[12:13], off
	s_waitcnt vmcnt(0)
	v_cmp_lt_u32_e64 s13, v2, v3
	v_mov_b32_e32 v2, v6
	s_and_saveexec_b32 s21, s13
; %bb.366:
	v_mov_b32_e32 v2, v5
	v_mov_b32_e32 v5, v6
; %bb.367:
	s_or_b32 exec_lo, exec_lo, s21
	v_mov_b32_e32 v6, v2
	s_or_b32 exec_lo, exec_lo, s20
	s_and_saveexec_b32 s20, s6
	s_cbranch_execnz .LBB815_413
.LBB815_368:
	s_or_b32 exec_lo, exec_lo, s20
	s_and_saveexec_b32 s20, s7
	s_cbranch_execz .LBB815_416
.LBB815_369:
	v_ashrrev_i32_e32 v3, 31, v11
	v_mov_b32_e32 v2, v11
	v_ashrrev_i32_e32 v13, 31, v10
	v_mov_b32_e32 v12, v10
	v_lshlrev_b64 v[2:3], 2, v[2:3]
	v_lshlrev_b64 v[12:13], 2, v[12:13]
	v_add_co_u32 v2, s13, s14, v2
	v_add_co_ci_u32_e64 v3, null, s15, v3, s13
	v_add_co_u32 v12, s13, s14, v12
	v_add_co_ci_u32_e64 v13, null, s15, v13, s13
	s_clause 0x1
	global_load_dword v2, v[2:3], off
	global_load_dword v3, v[12:13], off
	s_waitcnt vmcnt(0)
	v_cmp_lt_u32_e64 s13, v2, v3
	v_mov_b32_e32 v2, v11
	s_and_saveexec_b32 s21, s13
; %bb.370:
	v_mov_b32_e32 v2, v10
	v_mov_b32_e32 v10, v11
; %bb.371:
	s_or_b32 exec_lo, exec_lo, s21
	v_mov_b32_e32 v11, v2
	s_or_b32 exec_lo, exec_lo, s20
	s_and_saveexec_b32 s20, s8
	s_cbranch_execnz .LBB815_417
.LBB815_372:
	s_or_b32 exec_lo, exec_lo, s20
	s_and_saveexec_b32 s20, s9
	s_cbranch_execz .LBB815_420
.LBB815_373:
	v_ashrrev_i32_e32 v3, 31, v7
	v_mov_b32_e32 v2, v7
	v_ashrrev_i32_e32 v13, 31, v6
	v_mov_b32_e32 v12, v6
	v_lshlrev_b64 v[2:3], 2, v[2:3]
	v_lshlrev_b64 v[12:13], 2, v[12:13]
	v_add_co_u32 v2, s13, s14, v2
	v_add_co_ci_u32_e64 v3, null, s15, v3, s13
	v_add_co_u32 v12, s13, s14, v12
	v_add_co_ci_u32_e64 v13, null, s15, v13, s13
	s_clause 0x1
	global_load_dword v2, v[2:3], off
	global_load_dword v3, v[12:13], off
	s_waitcnt vmcnt(0)
	v_cmp_lt_u32_e64 s13, v2, v3
	v_mov_b32_e32 v2, v7
	s_and_saveexec_b32 s21, s13
; %bb.374:
	v_mov_b32_e32 v2, v6
	v_mov_b32_e32 v6, v7
; %bb.375:
	s_or_b32 exec_lo, exec_lo, s21
	v_mov_b32_e32 v7, v2
	s_or_b32 exec_lo, exec_lo, s20
	s_and_saveexec_b32 s20, s10
	s_cbranch_execnz .LBB815_421
.LBB815_376:
	s_or_b32 exec_lo, exec_lo, s20
	s_and_saveexec_b32 s20, s11
	s_cbranch_execz .LBB815_424
.LBB815_377:
	v_ashrrev_i32_e32 v3, 31, v4
	v_mov_b32_e32 v2, v4
	v_ashrrev_i32_e32 v13, 31, v11
	v_mov_b32_e32 v12, v11
	v_lshlrev_b64 v[2:3], 2, v[2:3]
	v_lshlrev_b64 v[12:13], 2, v[12:13]
	v_add_co_u32 v2, s13, s14, v2
	v_add_co_ci_u32_e64 v3, null, s15, v3, s13
	v_add_co_u32 v12, s13, s14, v12
	v_add_co_ci_u32_e64 v13, null, s15, v13, s13
	s_clause 0x1
	global_load_dword v2, v[2:3], off
	global_load_dword v3, v[12:13], off
	s_waitcnt vmcnt(0)
	v_cmp_lt_u32_e64 s13, v2, v3
	v_mov_b32_e32 v2, v4
	s_and_saveexec_b32 s21, s13
; %bb.378:
	v_mov_b32_e32 v2, v11
	v_mov_b32_e32 v11, v4
; %bb.379:
	s_or_b32 exec_lo, exec_lo, s21
	v_mov_b32_e32 v4, v2
	s_or_b32 exec_lo, exec_lo, s20
	s_and_saveexec_b32 s20, s12
	s_cbranch_execnz .LBB815_425
.LBB815_380:
	s_or_b32 exec_lo, exec_lo, s20
	s_and_saveexec_b32 s20, s6
	s_cbranch_execz .LBB815_428
.LBB815_381:
	v_ashrrev_i32_e32 v3, 31, v9
	v_mov_b32_e32 v2, v9
	v_ashrrev_i32_e32 v13, 31, v8
	v_mov_b32_e32 v12, v8
	v_lshlrev_b64 v[2:3], 2, v[2:3]
	v_lshlrev_b64 v[12:13], 2, v[12:13]
	v_add_co_u32 v2, s13, s14, v2
	v_add_co_ci_u32_e64 v3, null, s15, v3, s13
	v_add_co_u32 v12, s13, s14, v12
	v_add_co_ci_u32_e64 v13, null, s15, v13, s13
	s_clause 0x1
	global_load_dword v2, v[2:3], off
	global_load_dword v3, v[12:13], off
	s_waitcnt vmcnt(0)
	v_cmp_lt_u32_e64 s13, v2, v3
	v_mov_b32_e32 v2, v9
	s_and_saveexec_b32 s21, s13
; %bb.382:
	v_mov_b32_e32 v2, v8
	v_mov_b32_e32 v8, v9
; %bb.383:
	s_or_b32 exec_lo, exec_lo, s21
	v_mov_b32_e32 v9, v2
	s_or_b32 exec_lo, exec_lo, s20
	s_and_saveexec_b32 s20, s7
	s_cbranch_execnz .LBB815_429
.LBB815_384:
	s_or_b32 exec_lo, exec_lo, s20
	s_and_saveexec_b32 s20, s8
	s_cbranch_execz .LBB815_432
.LBB815_385:
	v_ashrrev_i32_e32 v3, 31, v5
	v_mov_b32_e32 v2, v5
	v_ashrrev_i32_e32 v13, 31, v4
	v_mov_b32_e32 v12, v4
	v_lshlrev_b64 v[2:3], 2, v[2:3]
	v_lshlrev_b64 v[12:13], 2, v[12:13]
	v_add_co_u32 v2, s13, s14, v2
	v_add_co_ci_u32_e64 v3, null, s15, v3, s13
	v_add_co_u32 v12, s13, s14, v12
	v_add_co_ci_u32_e64 v13, null, s15, v13, s13
	s_clause 0x1
	global_load_dword v2, v[2:3], off
	global_load_dword v3, v[12:13], off
	s_waitcnt vmcnt(0)
	v_cmp_lt_u32_e64 s13, v2, v3
	v_mov_b32_e32 v2, v5
	s_and_saveexec_b32 s21, s13
; %bb.386:
	v_mov_b32_e32 v2, v4
	v_mov_b32_e32 v4, v5
; %bb.387:
	s_or_b32 exec_lo, exec_lo, s21
	v_mov_b32_e32 v5, v2
	s_or_b32 exec_lo, exec_lo, s20
	s_and_saveexec_b32 s20, s9
	s_cbranch_execnz .LBB815_433
.LBB815_388:
	s_or_b32 exec_lo, exec_lo, s20
	s_and_saveexec_b32 s20, s10
	s_cbranch_execz .LBB815_436
.LBB815_389:
	v_ashrrev_i32_e32 v3, 31, v10
	v_mov_b32_e32 v2, v10
	v_ashrrev_i32_e32 v13, 31, v9
	v_mov_b32_e32 v12, v9
	v_lshlrev_b64 v[2:3], 2, v[2:3]
	v_lshlrev_b64 v[12:13], 2, v[12:13]
	v_add_co_u32 v2, s13, s14, v2
	v_add_co_ci_u32_e64 v3, null, s15, v3, s13
	v_add_co_u32 v12, s13, s14, v12
	v_add_co_ci_u32_e64 v13, null, s15, v13, s13
	s_clause 0x1
	global_load_dword v2, v[2:3], off
	global_load_dword v3, v[12:13], off
	s_waitcnt vmcnt(0)
	v_cmp_lt_u32_e64 s13, v2, v3
	v_mov_b32_e32 v2, v10
	s_and_saveexec_b32 s21, s13
; %bb.390:
	v_mov_b32_e32 v2, v9
	v_mov_b32_e32 v9, v10
; %bb.391:
	s_or_b32 exec_lo, exec_lo, s21
	v_mov_b32_e32 v10, v2
	s_or_b32 exec_lo, exec_lo, s20
	s_and_saveexec_b32 s20, s11
	s_cbranch_execnz .LBB815_437
.LBB815_392:
	s_or_b32 exec_lo, exec_lo, s20
	s_and_saveexec_b32 s20, s12
	s_cbranch_execz .LBB815_440
.LBB815_393:
	v_ashrrev_i32_e32 v3, 31, v6
	v_mov_b32_e32 v2, v6
	v_ashrrev_i32_e32 v13, 31, v5
	v_mov_b32_e32 v12, v5
	v_lshlrev_b64 v[2:3], 2, v[2:3]
	v_lshlrev_b64 v[12:13], 2, v[12:13]
	v_add_co_u32 v2, s13, s14, v2
	v_add_co_ci_u32_e64 v3, null, s15, v3, s13
	v_add_co_u32 v12, s13, s14, v12
	v_add_co_ci_u32_e64 v13, null, s15, v13, s13
	s_clause 0x1
	global_load_dword v2, v[2:3], off
	global_load_dword v3, v[12:13], off
	s_waitcnt vmcnt(0)
	v_cmp_lt_u32_e64 s13, v2, v3
	v_mov_b32_e32 v2, v6
	s_and_saveexec_b32 s21, s13
; %bb.394:
	v_mov_b32_e32 v2, v5
	v_mov_b32_e32 v5, v6
; %bb.395:
	s_or_b32 exec_lo, exec_lo, s21
	v_mov_b32_e32 v6, v2
	s_or_b32 exec_lo, exec_lo, s20
	s_and_saveexec_b32 s13, s6
	s_cbranch_execnz .LBB815_441
.LBB815_396:
	s_or_b32 exec_lo, exec_lo, s13
	s_and_saveexec_b32 s13, s7
	s_cbranch_execz .LBB815_444
.LBB815_397:
	v_ashrrev_i32_e32 v3, 31, v11
	v_mov_b32_e32 v2, v11
	v_ashrrev_i32_e32 v13, 31, v10
	v_mov_b32_e32 v12, v10
	v_lshlrev_b64 v[2:3], 2, v[2:3]
	v_lshlrev_b64 v[12:13], 2, v[12:13]
	v_add_co_u32 v2, s6, s14, v2
	v_add_co_ci_u32_e64 v3, null, s15, v3, s6
	v_add_co_u32 v12, s6, s14, v12
	v_add_co_ci_u32_e64 v13, null, s15, v13, s6
	s_clause 0x1
	global_load_dword v2, v[2:3], off
	global_load_dword v3, v[12:13], off
	s_waitcnt vmcnt(0)
	v_cmp_lt_u32_e64 s6, v2, v3
	v_mov_b32_e32 v2, v11
	s_and_saveexec_b32 s7, s6
; %bb.398:
	v_mov_b32_e32 v2, v10
	v_mov_b32_e32 v10, v11
; %bb.399:
	s_or_b32 exec_lo, exec_lo, s7
	v_mov_b32_e32 v11, v2
	s_or_b32 exec_lo, exec_lo, s13
	s_and_saveexec_b32 s7, s8
	s_cbranch_execnz .LBB815_445
.LBB815_400:
	s_or_b32 exec_lo, exec_lo, s7
	s_and_saveexec_b32 s7, s9
	s_cbranch_execz .LBB815_448
.LBB815_401:
	v_ashrrev_i32_e32 v3, 31, v7
	v_mov_b32_e32 v2, v7
	v_ashrrev_i32_e32 v13, 31, v6
	v_mov_b32_e32 v12, v6
	v_lshlrev_b64 v[2:3], 2, v[2:3]
	v_lshlrev_b64 v[12:13], 2, v[12:13]
	v_add_co_u32 v2, s6, s14, v2
	v_add_co_ci_u32_e64 v3, null, s15, v3, s6
	v_add_co_u32 v12, s6, s14, v12
	v_add_co_ci_u32_e64 v13, null, s15, v13, s6
	s_clause 0x1
	global_load_dword v2, v[2:3], off
	global_load_dword v3, v[12:13], off
	s_waitcnt vmcnt(0)
	v_cmp_lt_u32_e64 s6, v2, v3
	v_mov_b32_e32 v2, v7
	s_and_saveexec_b32 s8, s6
; %bb.402:
	v_mov_b32_e32 v2, v6
	v_mov_b32_e32 v6, v7
; %bb.403:
	s_or_b32 exec_lo, exec_lo, s8
	v_mov_b32_e32 v7, v2
	s_or_b32 exec_lo, exec_lo, s7
	s_and_saveexec_b32 s7, s10
	s_cbranch_execnz .LBB815_449
.LBB815_404:
	s_or_b32 exec_lo, exec_lo, s7
	s_and_saveexec_b32 s7, s11
	s_cbranch_execz .LBB815_452
.LBB815_405:
	v_ashrrev_i32_e32 v3, 31, v4
	v_mov_b32_e32 v2, v4
	v_ashrrev_i32_e32 v13, 31, v11
	v_mov_b32_e32 v12, v11
	v_lshlrev_b64 v[2:3], 2, v[2:3]
	v_lshlrev_b64 v[12:13], 2, v[12:13]
	v_add_co_u32 v2, s6, s14, v2
	v_add_co_ci_u32_e64 v3, null, s15, v3, s6
	v_add_co_u32 v12, s6, s14, v12
	v_add_co_ci_u32_e64 v13, null, s15, v13, s6
	s_clause 0x1
	global_load_dword v2, v[2:3], off
	global_load_dword v3, v[12:13], off
	s_waitcnt vmcnt(0)
	v_cmp_lt_u32_e64 s6, v2, v3
	v_mov_b32_e32 v2, v4
	s_and_saveexec_b32 s8, s6
; %bb.406:
	v_mov_b32_e32 v2, v11
	v_mov_b32_e32 v11, v4
; %bb.407:
	s_or_b32 exec_lo, exec_lo, s8
	v_mov_b32_e32 v4, v2
	s_or_b32 exec_lo, exec_lo, s7
	s_and_saveexec_b32 s7, s12
	s_cbranch_execz .LBB815_456
	s_branch .LBB815_453
.LBB815_408:
	s_or_b32 exec_lo, exec_lo, s12
	v_cmp_lt_u32_e64 s11, 4, v2
	s_and_saveexec_b32 s13, s11
	s_cbranch_execz .LBB815_364
.LBB815_409:
	v_ashrrev_i32_e32 v13, 31, v4
	v_mov_b32_e32 v12, v4
	v_ashrrev_i32_e32 v15, 31, v11
	v_mov_b32_e32 v14, v11
	v_lshlrev_b64 v[12:13], 2, v[12:13]
	v_lshlrev_b64 v[14:15], 2, v[14:15]
	v_add_co_u32 v12, s12, s14, v12
	v_add_co_ci_u32_e64 v13, null, s15, v13, s12
	v_add_co_u32 v14, s12, s14, v14
	v_add_co_ci_u32_e64 v15, null, s15, v15, s12
	s_clause 0x1
	global_load_dword v3, v[12:13], off
	global_load_dword v12, v[14:15], off
	s_waitcnt vmcnt(0)
	v_cmp_lt_u32_e64 s12, v3, v12
	v_mov_b32_e32 v3, v4
	s_and_saveexec_b32 s20, s12
; %bb.410:
	v_mov_b32_e32 v3, v11
	v_mov_b32_e32 v11, v4
; %bb.411:
	s_or_b32 exec_lo, exec_lo, s20
	v_mov_b32_e32 v4, v3
	s_or_b32 exec_lo, exec_lo, s13
	v_cmp_lt_u32_e64 s12, 6, v2
	s_and_saveexec_b32 s20, s12
	s_cbranch_execnz .LBB815_365
.LBB815_412:
	s_or_b32 exec_lo, exec_lo, s20
	s_and_saveexec_b32 s20, s6
	s_cbranch_execz .LBB815_368
.LBB815_413:
	v_ashrrev_i32_e32 v3, 31, v9
	v_mov_b32_e32 v2, v9
	v_ashrrev_i32_e32 v13, 31, v8
	v_mov_b32_e32 v12, v8
	v_lshlrev_b64 v[2:3], 2, v[2:3]
	v_lshlrev_b64 v[12:13], 2, v[12:13]
	v_add_co_u32 v2, s13, s14, v2
	v_add_co_ci_u32_e64 v3, null, s15, v3, s13
	v_add_co_u32 v12, s13, s14, v12
	v_add_co_ci_u32_e64 v13, null, s15, v13, s13
	s_clause 0x1
	global_load_dword v2, v[2:3], off
	global_load_dword v3, v[12:13], off
	s_waitcnt vmcnt(0)
	v_cmp_lt_u32_e64 s13, v2, v3
	v_mov_b32_e32 v2, v9
	s_and_saveexec_b32 s21, s13
; %bb.414:
	v_mov_b32_e32 v2, v8
	v_mov_b32_e32 v8, v9
; %bb.415:
	s_or_b32 exec_lo, exec_lo, s21
	v_mov_b32_e32 v9, v2
	s_or_b32 exec_lo, exec_lo, s20
	s_and_saveexec_b32 s20, s7
	s_cbranch_execnz .LBB815_369
.LBB815_416:
	s_or_b32 exec_lo, exec_lo, s20
	s_and_saveexec_b32 s20, s8
	s_cbranch_execz .LBB815_372
.LBB815_417:
	v_ashrrev_i32_e32 v3, 31, v5
	v_mov_b32_e32 v2, v5
	v_ashrrev_i32_e32 v13, 31, v4
	v_mov_b32_e32 v12, v4
	v_lshlrev_b64 v[2:3], 2, v[2:3]
	v_lshlrev_b64 v[12:13], 2, v[12:13]
	v_add_co_u32 v2, s13, s14, v2
	v_add_co_ci_u32_e64 v3, null, s15, v3, s13
	v_add_co_u32 v12, s13, s14, v12
	v_add_co_ci_u32_e64 v13, null, s15, v13, s13
	s_clause 0x1
	global_load_dword v2, v[2:3], off
	global_load_dword v3, v[12:13], off
	s_waitcnt vmcnt(0)
	v_cmp_lt_u32_e64 s13, v2, v3
	v_mov_b32_e32 v2, v5
	s_and_saveexec_b32 s21, s13
; %bb.418:
	v_mov_b32_e32 v2, v4
	v_mov_b32_e32 v4, v5
; %bb.419:
	s_or_b32 exec_lo, exec_lo, s21
	v_mov_b32_e32 v5, v2
	s_or_b32 exec_lo, exec_lo, s20
	s_and_saveexec_b32 s20, s9
	s_cbranch_execnz .LBB815_373
.LBB815_420:
	s_or_b32 exec_lo, exec_lo, s20
	s_and_saveexec_b32 s20, s10
	s_cbranch_execz .LBB815_376
.LBB815_421:
	v_ashrrev_i32_e32 v3, 31, v10
	v_mov_b32_e32 v2, v10
	v_ashrrev_i32_e32 v13, 31, v9
	v_mov_b32_e32 v12, v9
	v_lshlrev_b64 v[2:3], 2, v[2:3]
	v_lshlrev_b64 v[12:13], 2, v[12:13]
	v_add_co_u32 v2, s13, s14, v2
	v_add_co_ci_u32_e64 v3, null, s15, v3, s13
	v_add_co_u32 v12, s13, s14, v12
	v_add_co_ci_u32_e64 v13, null, s15, v13, s13
	s_clause 0x1
	global_load_dword v2, v[2:3], off
	global_load_dword v3, v[12:13], off
	s_waitcnt vmcnt(0)
	v_cmp_lt_u32_e64 s13, v2, v3
	v_mov_b32_e32 v2, v10
	s_and_saveexec_b32 s21, s13
; %bb.422:
	v_mov_b32_e32 v2, v9
	v_mov_b32_e32 v9, v10
; %bb.423:
	s_or_b32 exec_lo, exec_lo, s21
	v_mov_b32_e32 v10, v2
	s_or_b32 exec_lo, exec_lo, s20
	s_and_saveexec_b32 s20, s11
	s_cbranch_execnz .LBB815_377
.LBB815_424:
	s_or_b32 exec_lo, exec_lo, s20
	s_and_saveexec_b32 s20, s12
	s_cbranch_execz .LBB815_380
.LBB815_425:
	v_ashrrev_i32_e32 v3, 31, v6
	v_mov_b32_e32 v2, v6
	v_ashrrev_i32_e32 v13, 31, v5
	v_mov_b32_e32 v12, v5
	v_lshlrev_b64 v[2:3], 2, v[2:3]
	v_lshlrev_b64 v[12:13], 2, v[12:13]
	v_add_co_u32 v2, s13, s14, v2
	v_add_co_ci_u32_e64 v3, null, s15, v3, s13
	v_add_co_u32 v12, s13, s14, v12
	v_add_co_ci_u32_e64 v13, null, s15, v13, s13
	s_clause 0x1
	global_load_dword v2, v[2:3], off
	global_load_dword v3, v[12:13], off
	s_waitcnt vmcnt(0)
	v_cmp_lt_u32_e64 s13, v2, v3
	v_mov_b32_e32 v2, v6
	s_and_saveexec_b32 s21, s13
; %bb.426:
	v_mov_b32_e32 v2, v5
	v_mov_b32_e32 v5, v6
; %bb.427:
	s_or_b32 exec_lo, exec_lo, s21
	v_mov_b32_e32 v6, v2
	s_or_b32 exec_lo, exec_lo, s20
	s_and_saveexec_b32 s20, s6
	s_cbranch_execnz .LBB815_381
.LBB815_428:
	s_or_b32 exec_lo, exec_lo, s20
	s_and_saveexec_b32 s20, s7
	s_cbranch_execz .LBB815_384
.LBB815_429:
	v_ashrrev_i32_e32 v3, 31, v11
	v_mov_b32_e32 v2, v11
	v_ashrrev_i32_e32 v13, 31, v10
	v_mov_b32_e32 v12, v10
	v_lshlrev_b64 v[2:3], 2, v[2:3]
	v_lshlrev_b64 v[12:13], 2, v[12:13]
	v_add_co_u32 v2, s13, s14, v2
	v_add_co_ci_u32_e64 v3, null, s15, v3, s13
	v_add_co_u32 v12, s13, s14, v12
	v_add_co_ci_u32_e64 v13, null, s15, v13, s13
	s_clause 0x1
	global_load_dword v2, v[2:3], off
	global_load_dword v3, v[12:13], off
	s_waitcnt vmcnt(0)
	v_cmp_lt_u32_e64 s13, v2, v3
	v_mov_b32_e32 v2, v11
	s_and_saveexec_b32 s21, s13
; %bb.430:
	v_mov_b32_e32 v2, v10
	v_mov_b32_e32 v10, v11
; %bb.431:
	s_or_b32 exec_lo, exec_lo, s21
	v_mov_b32_e32 v11, v2
	s_or_b32 exec_lo, exec_lo, s20
	s_and_saveexec_b32 s20, s8
	s_cbranch_execnz .LBB815_385
.LBB815_432:
	s_or_b32 exec_lo, exec_lo, s20
	s_and_saveexec_b32 s20, s9
	s_cbranch_execz .LBB815_388
.LBB815_433:
	v_ashrrev_i32_e32 v3, 31, v7
	v_mov_b32_e32 v2, v7
	v_ashrrev_i32_e32 v13, 31, v6
	v_mov_b32_e32 v12, v6
	v_lshlrev_b64 v[2:3], 2, v[2:3]
	v_lshlrev_b64 v[12:13], 2, v[12:13]
	v_add_co_u32 v2, s13, s14, v2
	v_add_co_ci_u32_e64 v3, null, s15, v3, s13
	v_add_co_u32 v12, s13, s14, v12
	v_add_co_ci_u32_e64 v13, null, s15, v13, s13
	s_clause 0x1
	global_load_dword v2, v[2:3], off
	global_load_dword v3, v[12:13], off
	s_waitcnt vmcnt(0)
	v_cmp_lt_u32_e64 s13, v2, v3
	v_mov_b32_e32 v2, v7
	s_and_saveexec_b32 s21, s13
; %bb.434:
	v_mov_b32_e32 v2, v6
	v_mov_b32_e32 v6, v7
; %bb.435:
	s_or_b32 exec_lo, exec_lo, s21
	v_mov_b32_e32 v7, v2
	s_or_b32 exec_lo, exec_lo, s20
	s_and_saveexec_b32 s20, s10
	s_cbranch_execnz .LBB815_389
.LBB815_436:
	s_or_b32 exec_lo, exec_lo, s20
	s_and_saveexec_b32 s20, s11
	s_cbranch_execz .LBB815_392
.LBB815_437:
	v_ashrrev_i32_e32 v3, 31, v4
	v_mov_b32_e32 v2, v4
	v_ashrrev_i32_e32 v13, 31, v11
	v_mov_b32_e32 v12, v11
	v_lshlrev_b64 v[2:3], 2, v[2:3]
	v_lshlrev_b64 v[12:13], 2, v[12:13]
	v_add_co_u32 v2, s13, s14, v2
	v_add_co_ci_u32_e64 v3, null, s15, v3, s13
	v_add_co_u32 v12, s13, s14, v12
	v_add_co_ci_u32_e64 v13, null, s15, v13, s13
	s_clause 0x1
	global_load_dword v2, v[2:3], off
	global_load_dword v3, v[12:13], off
	s_waitcnt vmcnt(0)
	v_cmp_lt_u32_e64 s13, v2, v3
	v_mov_b32_e32 v2, v4
	s_and_saveexec_b32 s21, s13
; %bb.438:
	v_mov_b32_e32 v2, v11
	v_mov_b32_e32 v11, v4
; %bb.439:
	s_or_b32 exec_lo, exec_lo, s21
	v_mov_b32_e32 v4, v2
	s_or_b32 exec_lo, exec_lo, s20
	s_and_saveexec_b32 s20, s12
	s_cbranch_execnz .LBB815_393
.LBB815_440:
	s_or_b32 exec_lo, exec_lo, s20
	s_and_saveexec_b32 s13, s6
	s_cbranch_execz .LBB815_396
.LBB815_441:
	v_ashrrev_i32_e32 v3, 31, v9
	v_mov_b32_e32 v2, v9
	v_ashrrev_i32_e32 v13, 31, v8
	v_mov_b32_e32 v12, v8
	v_lshlrev_b64 v[2:3], 2, v[2:3]
	v_lshlrev_b64 v[12:13], 2, v[12:13]
	v_add_co_u32 v2, s6, s14, v2
	v_add_co_ci_u32_e64 v3, null, s15, v3, s6
	v_add_co_u32 v12, s6, s14, v12
	v_add_co_ci_u32_e64 v13, null, s15, v13, s6
	s_clause 0x1
	global_load_dword v2, v[2:3], off
	global_load_dword v3, v[12:13], off
	s_waitcnt vmcnt(0)
	v_cmp_lt_u32_e64 s6, v2, v3
	v_mov_b32_e32 v2, v9
	s_and_saveexec_b32 s20, s6
; %bb.442:
	v_mov_b32_e32 v2, v8
	v_mov_b32_e32 v8, v9
; %bb.443:
	s_or_b32 exec_lo, exec_lo, s20
	v_mov_b32_e32 v9, v2
	s_or_b32 exec_lo, exec_lo, s13
	s_and_saveexec_b32 s13, s7
	s_cbranch_execnz .LBB815_397
.LBB815_444:
	s_or_b32 exec_lo, exec_lo, s13
	s_and_saveexec_b32 s7, s8
	s_cbranch_execz .LBB815_400
.LBB815_445:
	v_ashrrev_i32_e32 v3, 31, v5
	v_mov_b32_e32 v2, v5
	v_ashrrev_i32_e32 v13, 31, v4
	v_mov_b32_e32 v12, v4
	v_lshlrev_b64 v[2:3], 2, v[2:3]
	v_lshlrev_b64 v[12:13], 2, v[12:13]
	v_add_co_u32 v2, s6, s14, v2
	v_add_co_ci_u32_e64 v3, null, s15, v3, s6
	v_add_co_u32 v12, s6, s14, v12
	v_add_co_ci_u32_e64 v13, null, s15, v13, s6
	s_clause 0x1
	global_load_dword v2, v[2:3], off
	global_load_dword v3, v[12:13], off
	s_waitcnt vmcnt(0)
	v_cmp_lt_u32_e64 s6, v2, v3
	v_mov_b32_e32 v2, v5
	s_and_saveexec_b32 s8, s6
; %bb.446:
	v_mov_b32_e32 v2, v4
	v_mov_b32_e32 v4, v5
; %bb.447:
	s_or_b32 exec_lo, exec_lo, s8
	v_mov_b32_e32 v5, v2
	s_or_b32 exec_lo, exec_lo, s7
	s_and_saveexec_b32 s7, s9
	s_cbranch_execnz .LBB815_401
.LBB815_448:
	s_or_b32 exec_lo, exec_lo, s7
	s_and_saveexec_b32 s7, s10
	s_cbranch_execz .LBB815_404
.LBB815_449:
	v_ashrrev_i32_e32 v3, 31, v10
	v_mov_b32_e32 v2, v10
	v_ashrrev_i32_e32 v13, 31, v9
	v_mov_b32_e32 v12, v9
	v_lshlrev_b64 v[2:3], 2, v[2:3]
	v_lshlrev_b64 v[12:13], 2, v[12:13]
	v_add_co_u32 v2, s6, s14, v2
	v_add_co_ci_u32_e64 v3, null, s15, v3, s6
	v_add_co_u32 v12, s6, s14, v12
	v_add_co_ci_u32_e64 v13, null, s15, v13, s6
	s_clause 0x1
	global_load_dword v2, v[2:3], off
	global_load_dword v3, v[12:13], off
	s_waitcnt vmcnt(0)
	v_cmp_lt_u32_e64 s6, v2, v3
	v_mov_b32_e32 v2, v10
	s_and_saveexec_b32 s8, s6
; %bb.450:
	v_mov_b32_e32 v2, v9
	v_mov_b32_e32 v9, v10
; %bb.451:
	s_or_b32 exec_lo, exec_lo, s8
	v_mov_b32_e32 v10, v2
	s_or_b32 exec_lo, exec_lo, s7
	s_and_saveexec_b32 s7, s11
	s_cbranch_execnz .LBB815_405
.LBB815_452:
	s_or_b32 exec_lo, exec_lo, s7
	s_and_saveexec_b32 s7, s12
	s_cbranch_execz .LBB815_456
.LBB815_453:
	v_ashrrev_i32_e32 v3, 31, v6
	v_mov_b32_e32 v2, v6
	v_ashrrev_i32_e32 v13, 31, v5
	v_mov_b32_e32 v12, v5
	v_lshlrev_b64 v[2:3], 2, v[2:3]
	v_lshlrev_b64 v[12:13], 2, v[12:13]
	v_add_co_u32 v2, s6, s14, v2
	v_add_co_ci_u32_e64 v3, null, s15, v3, s6
	v_add_co_u32 v12, s6, s14, v12
	v_add_co_ci_u32_e64 v13, null, s15, v13, s6
	s_clause 0x1
	global_load_dword v2, v[2:3], off
	global_load_dword v3, v[12:13], off
	s_waitcnt vmcnt(0)
	v_cmp_lt_u32_e64 s6, v2, v3
	v_mov_b32_e32 v2, v6
	s_and_saveexec_b32 s8, s6
; %bb.454:
	v_mov_b32_e32 v2, v5
	v_mov_b32_e32 v5, v6
; %bb.455:
	s_or_b32 exec_lo, exec_lo, s8
	v_mov_b32_e32 v6, v2
.LBB815_456:
	s_or_b32 exec_lo, exec_lo, s7
	v_mbcnt_lo_u32_b32 v3, -1, 0
	v_and_b32_e32 v2, 0xffffff00, v1
	s_mov_b32 s7, 0
	s_mov_b32 s8, exec_lo
	v_lshlrev_b32_e32 v36, 3, v3
	v_sub_nc_u32_e64 v35, s16, v2 clamp
	v_lshlrev_b32_e32 v34, 2, v2
	v_or_b32_e32 v1, 8, v36
	v_and_b32_e32 v12, 8, v36
	v_lshl_or_b32 v37, v3, 5, v34
	ds_write_b128 v37, v[8:11]
	ds_write_b128 v37, v[4:7] offset:16
	v_min_u32_e32 v22, v35, v1
	v_min_u32_e32 v12, v35, v12
	; wave barrier
	v_add_nc_u32_e32 v1, 8, v22
	v_min_u32_e32 v38, v35, v1
	v_and_b32_e32 v1, 0xf0, v36
	v_sub_nc_u32_e32 v13, v38, v22
	v_sub_nc_u32_e32 v14, v22, v1
	v_lshl_or_b32 v3, v1, 2, v34
	v_sub_nc_u32_e64 v2, v12, v13 clamp
	v_min_u32_e32 v13, v12, v14
	v_cmpx_lt_u32_e64 v2, v13
	s_cbranch_execz .LBB815_460
; %bb.457:
	v_lshlrev_b32_e32 v14, 2, v22
	v_lshlrev_b32_e32 v15, 2, v12
	v_add3_u32 v14, v34, v14, v15
	s_inst_prefetch 0x1
	.p2align	6
.LBB815_458:                            ; =>This Inner Loop Header: Depth=1
	v_add_nc_u32_e32 v15, v13, v2
	v_lshrrev_b32_e32 v19, 1, v15
	v_not_b32_e32 v15, v19
	v_lshl_add_u32 v16, v19, 2, v3
	v_lshl_add_u32 v17, v15, 2, v14
	ds_read_b32 v15, v16
	ds_read_b32 v17, v17
	s_waitcnt lgkmcnt(1)
	v_ashrrev_i32_e32 v16, 31, v15
	s_waitcnt lgkmcnt(0)
	v_ashrrev_i32_e32 v18, 31, v17
	v_lshlrev_b64 v[15:16], 2, v[15:16]
	v_lshlrev_b64 v[17:18], 2, v[17:18]
	v_add_co_u32 v15, s6, s14, v15
	v_add_co_ci_u32_e64 v16, null, s15, v16, s6
	v_add_co_u32 v17, s6, s14, v17
	v_add_co_ci_u32_e64 v18, null, s15, v18, s6
	s_clause 0x1
	global_load_dword v17, v[17:18], off
	global_load_dword v15, v[15:16], off
	v_add_nc_u32_e32 v16, 1, v19
	s_waitcnt vmcnt(0)
	v_cmp_lt_u32_e64 s6, v17, v15
	v_cndmask_b32_e64 v13, v13, v19, s6
	v_cndmask_b32_e64 v2, v16, v2, s6
	v_cmp_ge_u32_e64 s6, v2, v13
	s_or_b32 s7, s6, s7
	s_andn2_b32 exec_lo, exec_lo, s7
	s_cbranch_execnz .LBB815_458
; %bb.459:
	s_inst_prefetch 0x2
	s_or_b32 exec_lo, exec_lo, s7
.LBB815_460:
	s_or_b32 exec_lo, exec_lo, s8
	v_add_nc_u32_e32 v13, v22, v12
	v_add_nc_u32_e32 v12, v2, v1
	v_lshlrev_b32_e32 v33, 3, v0
	v_sub_nc_u32_e32 v13, v13, v2
	v_cmp_le_u32_e64 s6, v12, v22
	v_cmp_le_u32_e64 s7, v13, v38
	s_or_b32 s6, s6, s7
	s_and_saveexec_b32 s8, s6
	s_cbranch_execz .LBB815_496
; %bb.461:
	v_cmp_ge_u32_e64 s6, v12, v22
	s_mov_b32 s9, exec_lo
                                        ; implicit-def: $vgpr1
	v_cmpx_lt_u32_e64 v12, v22
; %bb.462:
	v_lshl_add_u32 v1, v2, 2, v3
	ds_read_b32 v1, v1
; %bb.463:
	s_or_b32 exec_lo, exec_lo, s9
	v_cmp_ge_u32_e64 s9, v13, v38
	s_mov_b32 s10, exec_lo
                                        ; implicit-def: $vgpr3
	v_cmpx_lt_u32_e64 v13, v38
; %bb.464:
	v_lshl_add_u32 v2, v13, 2, v34
	ds_read_b32 v3, v2
; %bb.465:
	s_or_b32 exec_lo, exec_lo, s10
	s_nor_b32 s6, s6, s9
	s_and_saveexec_b32 s7, s6
	s_cbranch_execz .LBB815_467
; %bb.466:
	s_waitcnt lgkmcnt(0)
	v_ashrrev_i32_e32 v4, 31, v3
	v_ashrrev_i32_e32 v2, 31, v1
	s_andn2_b32 s9, s9, exec_lo
	v_lshlrev_b64 v[4:5], 2, v[3:4]
	v_lshlrev_b64 v[6:7], 2, v[1:2]
	v_add_co_u32 v4, s6, s14, v4
	v_add_co_ci_u32_e64 v5, null, s15, v5, s6
	v_add_co_u32 v6, s6, s14, v6
	v_add_co_ci_u32_e64 v7, null, s15, v7, s6
	s_clause 0x1
	global_load_dword v2, v[4:5], off
	global_load_dword v4, v[6:7], off
	s_waitcnt vmcnt(0)
	v_cmp_ge_u32_e64 s6, v2, v4
	s_and_b32 s6, s6, exec_lo
	s_or_b32 s9, s9, s6
.LBB815_467:
	s_or_b32 exec_lo, exec_lo, s7
	v_cndmask_b32_e64 v2, v13, v12, s9
	v_cndmask_b32_e64 v4, v38, v22, s9
	s_mov_b32 s10, -1
	s_mov_b32 s7, -1
	s_mov_b32 s11, exec_lo
	v_add_nc_u32_e32 v5, 1, v2
	v_add_nc_u32_e32 v2, -1, v4
	v_cndmask_b32_e64 v4, v12, v5, s9
	v_min_u32_e32 v2, v5, v2
	v_lshl_add_u32 v2, v2, 2, v34
	ds_read_b32 v7, v2
	v_cndmask_b32_e64 v2, v5, v13, s9
	s_waitcnt lgkmcnt(0)
	v_cndmask_b32_e64 v6, v7, v3, s9
	v_cndmask_b32_e64 v8, v1, v7, s9
	v_cmpx_lt_u32_e64 v2, v38
	s_cbranch_execz .LBB815_471
; %bb.468:
	s_mov_b32 s12, 0
	s_mov_b32 s7, exec_lo
	v_cmpx_lt_u32_e64 v4, v22
	s_cbranch_execz .LBB815_470
; %bb.469:
	v_ashrrev_i32_e32 v7, 31, v6
	v_ashrrev_i32_e32 v9, 31, v8
	v_lshlrev_b64 v[10:11], 2, v[6:7]
	v_lshlrev_b64 v[12:13], 2, v[8:9]
	v_add_co_u32 v9, s6, s14, v10
	v_add_co_ci_u32_e64 v10, null, s15, v11, s6
	v_add_co_u32 v11, s6, s14, v12
	v_add_co_ci_u32_e64 v12, null, s15, v13, s6
	s_clause 0x1
	global_load_dword v5, v[9:10], off
	global_load_dword v7, v[11:12], off
	s_waitcnt vmcnt(0)
	v_cmp_ge_u32_e64 s6, v5, v7
	s_and_b32 s12, s6, exec_lo
.LBB815_470:
	s_or_b32 exec_lo, exec_lo, s7
	s_orn2_b32 s7, s12, exec_lo
.LBB815_471:
	s_or_b32 exec_lo, exec_lo, s11
	v_cndmask_b32_e64 v5, v2, v4, s7
	v_cndmask_b32_e64 v7, v38, v22, s7
	s_mov_b32 s11, exec_lo
	v_add_nc_u32_e32 v5, 1, v5
	v_add_nc_u32_e32 v7, -1, v7
	v_cndmask_b32_e64 v2, v5, v2, s7
	v_min_u32_e32 v7, v5, v7
	v_cndmask_b32_e64 v4, v4, v5, s7
	v_lshl_add_u32 v7, v7, 2, v34
	ds_read_b32 v7, v7
	s_waitcnt lgkmcnt(0)
	v_cndmask_b32_e64 v9, v7, v6, s7
	v_cndmask_b32_e64 v12, v8, v7, s7
	v_cmpx_lt_u32_e64 v2, v38
	s_cbranch_execz .LBB815_475
; %bb.472:
	s_mov_b32 s12, 0
	s_mov_b32 s10, exec_lo
	v_cmpx_lt_u32_e64 v4, v22
	s_cbranch_execz .LBB815_474
; %bb.473:
	v_ashrrev_i32_e32 v10, 31, v9
	v_ashrrev_i32_e32 v13, 31, v12
	v_lshlrev_b64 v[10:11], 2, v[9:10]
	v_lshlrev_b64 v[13:14], 2, v[12:13]
	v_add_co_u32 v10, s6, s14, v10
	v_add_co_ci_u32_e64 v11, null, s15, v11, s6
	v_add_co_u32 v13, s6, s14, v13
	v_add_co_ci_u32_e64 v14, null, s15, v14, s6
	s_clause 0x1
	global_load_dword v5, v[10:11], off
	global_load_dword v7, v[13:14], off
	s_waitcnt vmcnt(0)
	v_cmp_ge_u32_e64 s6, v5, v7
	s_and_b32 s12, s6, exec_lo
.LBB815_474:
	s_or_b32 exec_lo, exec_lo, s10
	s_orn2_b32 s10, s12, exec_lo
.LBB815_475:
	s_or_b32 exec_lo, exec_lo, s11
	v_cndmask_b32_e64 v5, v2, v4, s10
	v_cndmask_b32_e64 v7, v38, v22, s10
	s_mov_b32 s12, -1
	s_mov_b32 s11, -1
	s_mov_b32 s13, exec_lo
	v_add_nc_u32_e32 v5, 1, v5
	v_add_nc_u32_e32 v7, -1, v7
	v_cndmask_b32_e64 v2, v5, v2, s10
	v_min_u32_e32 v7, v5, v7
	v_cndmask_b32_e64 v4, v4, v5, s10
	v_lshl_add_u32 v7, v7, 2, v34
	ds_read_b32 v7, v7
	s_waitcnt lgkmcnt(0)
	v_cndmask_b32_e64 v10, v7, v9, s10
	v_cndmask_b32_e64 v13, v12, v7, s10
	v_cmpx_lt_u32_e64 v2, v38
	s_cbranch_execz .LBB815_479
; %bb.476:
	s_mov_b32 s20, 0
	s_mov_b32 s11, exec_lo
	v_cmpx_lt_u32_e64 v4, v22
	s_cbranch_execz .LBB815_478
; %bb.477:
	v_ashrrev_i32_e32 v11, 31, v10
	v_ashrrev_i32_e32 v14, 31, v13
	v_lshlrev_b64 v[15:16], 2, v[10:11]
	v_lshlrev_b64 v[17:18], 2, v[13:14]
	v_add_co_u32 v14, s6, s14, v15
	v_add_co_ci_u32_e64 v15, null, s15, v16, s6
	v_add_co_u32 v16, s6, s14, v17
	v_add_co_ci_u32_e64 v17, null, s15, v18, s6
	s_clause 0x1
	global_load_dword v5, v[14:15], off
	global_load_dword v7, v[16:17], off
	s_waitcnt vmcnt(0)
	v_cmp_ge_u32_e64 s6, v5, v7
	s_and_b32 s20, s6, exec_lo
.LBB815_478:
	s_or_b32 exec_lo, exec_lo, s11
	s_orn2_b32 s11, s20, exec_lo
.LBB815_479:
	s_or_b32 exec_lo, exec_lo, s13
	v_cndmask_b32_e64 v5, v2, v4, s11
	v_cndmask_b32_e64 v7, v38, v22, s11
	s_mov_b32 s13, exec_lo
	v_add_nc_u32_e32 v5, 1, v5
	v_add_nc_u32_e32 v7, -1, v7
	v_cndmask_b32_e64 v2, v5, v2, s11
	v_min_u32_e32 v7, v5, v7
	v_lshl_add_u32 v7, v7, 2, v34
	ds_read_b32 v11, v7
	v_cndmask_b32_e64 v7, v4, v5, s11
	s_waitcnt lgkmcnt(0)
	v_cndmask_b32_e64 v4, v11, v10, s11
	v_cndmask_b32_e64 v14, v13, v11, s11
	v_cmpx_lt_u32_e64 v2, v38
	s_cbranch_execz .LBB815_483
; %bb.480:
	s_mov_b32 s20, 0
	s_mov_b32 s12, exec_lo
	v_cmpx_lt_u32_e64 v7, v22
	s_cbranch_execz .LBB815_482
; %bb.481:
	v_ashrrev_i32_e32 v5, 31, v4
	v_ashrrev_i32_e32 v15, 31, v14
	v_lshlrev_b64 v[16:17], 2, v[4:5]
	v_lshlrev_b64 v[18:19], 2, v[14:15]
	v_add_co_u32 v15, s6, s14, v16
	v_add_co_ci_u32_e64 v16, null, s15, v17, s6
	v_add_co_u32 v17, s6, s14, v18
	v_add_co_ci_u32_e64 v18, null, s15, v19, s6
	s_clause 0x1
	global_load_dword v5, v[15:16], off
	global_load_dword v11, v[17:18], off
	s_waitcnt vmcnt(0)
	v_cmp_ge_u32_e64 s6, v5, v11
	s_and_b32 s20, s6, exec_lo
.LBB815_482:
	s_or_b32 exec_lo, exec_lo, s12
	s_orn2_b32 s12, s20, exec_lo
.LBB815_483:
	s_or_b32 exec_lo, exec_lo, s13
	v_cndmask_b32_e64 v5, v2, v7, s12
	v_cndmask_b32_e64 v11, v38, v22, s12
	s_mov_b32 s13, -1
	s_mov_b32 s20, -1
	s_mov_b32 s21, exec_lo
	v_add_nc_u32_e32 v5, 1, v5
	v_add_nc_u32_e32 v11, -1, v11
	v_cndmask_b32_e64 v2, v5, v2, s12
	v_min_u32_e32 v11, v5, v11
	v_cndmask_b32_e64 v5, v7, v5, s12
	v_lshl_add_u32 v11, v11, 2, v34
	ds_read_b32 v11, v11
	s_waitcnt lgkmcnt(0)
	v_cndmask_b32_e64 v15, v11, v4, s12
	v_cndmask_b32_e64 v17, v14, v11, s12
	v_cmpx_lt_u32_e64 v2, v38
	s_cbranch_execz .LBB815_487
; %bb.484:
	s_mov_b32 s22, 0
	s_mov_b32 s20, exec_lo
	v_cmpx_lt_u32_e64 v5, v22
	s_cbranch_execz .LBB815_486
; %bb.485:
	v_ashrrev_i32_e32 v16, 31, v15
	v_ashrrev_i32_e32 v18, 31, v17
	v_lshlrev_b64 v[19:20], 2, v[15:16]
	v_lshlrev_b64 v[39:40], 2, v[17:18]
	v_add_co_u32 v18, s6, s14, v19
	v_add_co_ci_u32_e64 v19, null, s15, v20, s6
	v_add_co_u32 v20, s6, s14, v39
	v_add_co_ci_u32_e64 v21, null, s15, v40, s6
	s_clause 0x1
	global_load_dword v7, v[18:19], off
	global_load_dword v11, v[20:21], off
	s_waitcnt vmcnt(0)
	v_cmp_ge_u32_e64 s6, v7, v11
	s_and_b32 s22, s6, exec_lo
.LBB815_486:
	s_or_b32 exec_lo, exec_lo, s20
	s_orn2_b32 s20, s22, exec_lo
.LBB815_487:
	s_or_b32 exec_lo, exec_lo, s21
	v_cndmask_b32_e64 v7, v2, v5, s20
	v_cndmask_b32_e64 v11, v38, v22, s20
	s_mov_b32 s21, exec_lo
	v_add_nc_u32_e32 v16, 1, v7
	v_add_nc_u32_e32 v7, -1, v11
	v_min_u32_e32 v7, v16, v7
	v_lshl_add_u32 v7, v7, 2, v34
	ds_read_b32 v11, v7
	v_cndmask_b32_e64 v7, v16, v2, s20
	v_cndmask_b32_e64 v2, v5, v16, s20
	s_waitcnt lgkmcnt(0)
	v_cndmask_b32_e64 v18, v11, v15, s20
	v_cndmask_b32_e64 v20, v17, v11, s20
	v_cmpx_lt_u32_e64 v7, v38
	s_cbranch_execz .LBB815_491
; %bb.488:
	s_mov_b32 s22, 0
	s_mov_b32 s13, exec_lo
	v_cmpx_lt_u32_e64 v2, v22
	s_cbranch_execz .LBB815_490
; %bb.489:
	v_ashrrev_i32_e32 v19, 31, v18
	v_ashrrev_i32_e32 v21, 31, v20
	v_lshlrev_b64 v[39:40], 2, v[18:19]
	v_lshlrev_b64 v[41:42], 2, v[20:21]
	v_add_co_u32 v39, s6, s14, v39
	v_add_co_ci_u32_e64 v40, null, s15, v40, s6
	v_add_co_u32 v41, s6, s14, v41
	v_add_co_ci_u32_e64 v42, null, s15, v42, s6
	s_clause 0x1
	global_load_dword v5, v[39:40], off
	global_load_dword v11, v[41:42], off
	s_waitcnt vmcnt(0)
	v_cmp_ge_u32_e64 s6, v5, v11
	s_and_b32 s22, s6, exec_lo
.LBB815_490:
	s_or_b32 exec_lo, exec_lo, s13
	s_orn2_b32 s13, s22, exec_lo
.LBB815_491:
	s_or_b32 exec_lo, exec_lo, s21
	v_cndmask_b32_e64 v5, v7, v2, s13
	v_cndmask_b32_e64 v11, v38, v22, s13
	s_mov_b32 s21, exec_lo
	v_add_nc_u32_e32 v5, 1, v5
	v_add_nc_u32_e32 v11, -1, v11
	v_cndmask_b32_e64 v16, v5, v7, s13
	v_min_u32_e32 v11, v5, v11
	v_lshl_add_u32 v11, v11, 2, v34
	ds_read_b32 v11, v11
	s_waitcnt lgkmcnt(0)
	v_cndmask_b32_e64 v7, v20, v11, s13
	v_cmpx_lt_u32_e64 v16, v38
	s_cbranch_execz .LBB815_495
; %bb.492:
	v_cndmask_b32_e64 v2, v2, v5, s13
	v_cndmask_b32_e64 v21, v11, v18, s13
	s_mov_b32 s22, exec_lo
	v_cmpx_lt_u32_e64 v2, v22
	s_cbranch_execz .LBB815_494
; %bb.493:
	v_ashrrev_i32_e32 v22, 31, v21
	v_ashrrev_i32_e32 v39, 31, v7
	v_mov_b32_e32 v38, v7
	v_lshlrev_b64 v[40:41], 2, v[21:22]
	v_lshlrev_b64 v[38:39], 2, v[38:39]
	v_add_co_u32 v40, s6, s14, v40
	v_add_co_ci_u32_e64 v41, null, s15, v41, s6
	v_add_co_u32 v38, s6, s14, v38
	v_add_co_ci_u32_e64 v39, null, s15, v39, s6
	s_clause 0x1
	global_load_dword v2, v[40:41], off
	global_load_dword v5, v[38:39], off
	s_waitcnt vmcnt(0)
	v_cmp_lt_u32_e64 s6, v2, v5
	v_cndmask_b32_e64 v21, v7, v21, s6
.LBB815_494:
	s_or_b32 exec_lo, exec_lo, s22
	v_mov_b32_e32 v7, v21
.LBB815_495:
	s_or_b32 exec_lo, exec_lo, s21
	v_cndmask_b32_e64 v5, v15, v17, s20
	v_cndmask_b32_e64 v4, v4, v14, s12
	;; [unrolled: 1-line block ×7, first 2 shown]
.LBB815_496:
	s_or_b32 exec_lo, exec_lo, s8
	v_and_b32_e32 v1, 0xe0, v36
	v_and_b32_e32 v3, 24, v36
	s_mov_b32 s7, exec_lo
	; wave barrier
	v_or_b32_e32 v2, 16, v1
	v_min_u32_e32 v12, v35, v3
	ds_write_b128 v37, v[8:11]
	ds_write_b128 v37, v[4:7] offset:16
	; wave barrier
	v_min_u32_e32 v22, v35, v2
	v_add_nc_u32_e32 v2, 16, v22
	v_sub_nc_u32_e32 v3, v22, v1
	v_min_u32_e32 v38, v35, v2
	v_min_u32_e32 v13, v12, v3
	v_lshl_add_u32 v3, v1, 2, v34
	v_sub_nc_u32_e32 v2, v38, v22
	v_sub_nc_u32_e64 v2, v12, v2 clamp
	v_cmpx_lt_u32_e64 v2, v13
	s_cbranch_execz .LBB815_500
; %bb.497:
	v_lshlrev_b32_e32 v14, 2, v22
	v_lshlrev_b32_e32 v15, 2, v12
	s_mov_b32 s8, 0
	v_add3_u32 v14, v34, v14, v15
	s_inst_prefetch 0x1
	.p2align	6
.LBB815_498:                            ; =>This Inner Loop Header: Depth=1
	v_add_nc_u32_e32 v15, v13, v2
	v_lshrrev_b32_e32 v19, 1, v15
	v_not_b32_e32 v15, v19
	v_lshl_add_u32 v16, v19, 2, v3
	v_lshl_add_u32 v17, v15, 2, v14
	ds_read_b32 v15, v16
	ds_read_b32 v17, v17
	s_waitcnt lgkmcnt(1)
	v_ashrrev_i32_e32 v16, 31, v15
	s_waitcnt lgkmcnt(0)
	v_ashrrev_i32_e32 v18, 31, v17
	v_lshlrev_b64 v[15:16], 2, v[15:16]
	v_lshlrev_b64 v[17:18], 2, v[17:18]
	v_add_co_u32 v15, s6, s14, v15
	v_add_co_ci_u32_e64 v16, null, s15, v16, s6
	v_add_co_u32 v17, s6, s14, v17
	v_add_co_ci_u32_e64 v18, null, s15, v18, s6
	s_clause 0x1
	global_load_dword v17, v[17:18], off
	global_load_dword v15, v[15:16], off
	v_add_nc_u32_e32 v16, 1, v19
	s_waitcnt vmcnt(0)
	v_cmp_lt_u32_e64 s6, v17, v15
	v_cndmask_b32_e64 v13, v13, v19, s6
	v_cndmask_b32_e64 v2, v16, v2, s6
	v_cmp_ge_u32_e64 s6, v2, v13
	s_or_b32 s8, s6, s8
	s_andn2_b32 exec_lo, exec_lo, s8
	s_cbranch_execnz .LBB815_498
; %bb.499:
	s_inst_prefetch 0x2
	s_or_b32 exec_lo, exec_lo, s8
.LBB815_500:
	s_or_b32 exec_lo, exec_lo, s7
	v_add_nc_u32_e32 v13, v22, v12
	v_add_nc_u32_e32 v12, v2, v1
	v_sub_nc_u32_e32 v13, v13, v2
	v_cmp_le_u32_e64 s6, v12, v22
	v_cmp_le_u32_e64 s7, v13, v38
	s_or_b32 s6, s6, s7
	s_and_saveexec_b32 s8, s6
	s_cbranch_execz .LBB815_536
; %bb.501:
	v_cmp_ge_u32_e64 s6, v12, v22
	s_mov_b32 s9, exec_lo
                                        ; implicit-def: $vgpr1
	v_cmpx_lt_u32_e64 v12, v22
; %bb.502:
	v_lshl_add_u32 v1, v2, 2, v3
	ds_read_b32 v1, v1
; %bb.503:
	s_or_b32 exec_lo, exec_lo, s9
	v_cmp_ge_u32_e64 s9, v13, v38
	s_mov_b32 s10, exec_lo
                                        ; implicit-def: $vgpr3
	v_cmpx_lt_u32_e64 v13, v38
; %bb.504:
	v_lshl_add_u32 v2, v13, 2, v34
	ds_read_b32 v3, v2
; %bb.505:
	s_or_b32 exec_lo, exec_lo, s10
	s_nor_b32 s6, s6, s9
	s_and_saveexec_b32 s7, s6
	s_cbranch_execz .LBB815_507
; %bb.506:
	s_waitcnt lgkmcnt(0)
	v_ashrrev_i32_e32 v4, 31, v3
	v_ashrrev_i32_e32 v2, 31, v1
	s_andn2_b32 s9, s9, exec_lo
	v_lshlrev_b64 v[4:5], 2, v[3:4]
	v_lshlrev_b64 v[6:7], 2, v[1:2]
	v_add_co_u32 v4, s6, s14, v4
	v_add_co_ci_u32_e64 v5, null, s15, v5, s6
	v_add_co_u32 v6, s6, s14, v6
	v_add_co_ci_u32_e64 v7, null, s15, v7, s6
	s_clause 0x1
	global_load_dword v2, v[4:5], off
	global_load_dword v4, v[6:7], off
	s_waitcnt vmcnt(0)
	v_cmp_ge_u32_e64 s6, v2, v4
	s_and_b32 s6, s6, exec_lo
	s_or_b32 s9, s9, s6
.LBB815_507:
	s_or_b32 exec_lo, exec_lo, s7
	v_cndmask_b32_e64 v2, v13, v12, s9
	v_cndmask_b32_e64 v4, v38, v22, s9
	s_mov_b32 s10, -1
	s_mov_b32 s7, -1
	s_mov_b32 s11, exec_lo
	v_add_nc_u32_e32 v5, 1, v2
	v_add_nc_u32_e32 v2, -1, v4
	v_cndmask_b32_e64 v4, v12, v5, s9
	v_min_u32_e32 v2, v5, v2
	v_lshl_add_u32 v2, v2, 2, v34
	ds_read_b32 v7, v2
	v_cndmask_b32_e64 v2, v5, v13, s9
	s_waitcnt lgkmcnt(0)
	v_cndmask_b32_e64 v6, v7, v3, s9
	v_cndmask_b32_e64 v8, v1, v7, s9
	v_cmpx_lt_u32_e64 v2, v38
	s_cbranch_execz .LBB815_511
; %bb.508:
	s_mov_b32 s12, 0
	s_mov_b32 s7, exec_lo
	v_cmpx_lt_u32_e64 v4, v22
	s_cbranch_execz .LBB815_510
; %bb.509:
	v_ashrrev_i32_e32 v7, 31, v6
	v_ashrrev_i32_e32 v9, 31, v8
	v_lshlrev_b64 v[10:11], 2, v[6:7]
	v_lshlrev_b64 v[12:13], 2, v[8:9]
	v_add_co_u32 v9, s6, s14, v10
	v_add_co_ci_u32_e64 v10, null, s15, v11, s6
	v_add_co_u32 v11, s6, s14, v12
	v_add_co_ci_u32_e64 v12, null, s15, v13, s6
	s_clause 0x1
	global_load_dword v5, v[9:10], off
	global_load_dword v7, v[11:12], off
	s_waitcnt vmcnt(0)
	v_cmp_ge_u32_e64 s6, v5, v7
	s_and_b32 s12, s6, exec_lo
.LBB815_510:
	s_or_b32 exec_lo, exec_lo, s7
	s_orn2_b32 s7, s12, exec_lo
.LBB815_511:
	s_or_b32 exec_lo, exec_lo, s11
	v_cndmask_b32_e64 v5, v2, v4, s7
	v_cndmask_b32_e64 v7, v38, v22, s7
	s_mov_b32 s11, exec_lo
	v_add_nc_u32_e32 v5, 1, v5
	v_add_nc_u32_e32 v7, -1, v7
	v_cndmask_b32_e64 v2, v5, v2, s7
	v_min_u32_e32 v7, v5, v7
	v_cndmask_b32_e64 v4, v4, v5, s7
	v_lshl_add_u32 v7, v7, 2, v34
	ds_read_b32 v7, v7
	s_waitcnt lgkmcnt(0)
	v_cndmask_b32_e64 v9, v7, v6, s7
	v_cndmask_b32_e64 v12, v8, v7, s7
	v_cmpx_lt_u32_e64 v2, v38
	s_cbranch_execz .LBB815_515
; %bb.512:
	s_mov_b32 s12, 0
	s_mov_b32 s10, exec_lo
	v_cmpx_lt_u32_e64 v4, v22
	s_cbranch_execz .LBB815_514
; %bb.513:
	v_ashrrev_i32_e32 v10, 31, v9
	v_ashrrev_i32_e32 v13, 31, v12
	v_lshlrev_b64 v[10:11], 2, v[9:10]
	v_lshlrev_b64 v[13:14], 2, v[12:13]
	v_add_co_u32 v10, s6, s14, v10
	v_add_co_ci_u32_e64 v11, null, s15, v11, s6
	v_add_co_u32 v13, s6, s14, v13
	v_add_co_ci_u32_e64 v14, null, s15, v14, s6
	s_clause 0x1
	global_load_dword v5, v[10:11], off
	global_load_dword v7, v[13:14], off
	s_waitcnt vmcnt(0)
	v_cmp_ge_u32_e64 s6, v5, v7
	s_and_b32 s12, s6, exec_lo
.LBB815_514:
	s_or_b32 exec_lo, exec_lo, s10
	s_orn2_b32 s10, s12, exec_lo
.LBB815_515:
	s_or_b32 exec_lo, exec_lo, s11
	v_cndmask_b32_e64 v5, v2, v4, s10
	v_cndmask_b32_e64 v7, v38, v22, s10
	s_mov_b32 s12, -1
	s_mov_b32 s11, -1
	s_mov_b32 s13, exec_lo
	v_add_nc_u32_e32 v5, 1, v5
	v_add_nc_u32_e32 v7, -1, v7
	v_cndmask_b32_e64 v2, v5, v2, s10
	v_min_u32_e32 v7, v5, v7
	v_cndmask_b32_e64 v4, v4, v5, s10
	v_lshl_add_u32 v7, v7, 2, v34
	ds_read_b32 v7, v7
	s_waitcnt lgkmcnt(0)
	v_cndmask_b32_e64 v10, v7, v9, s10
	v_cndmask_b32_e64 v13, v12, v7, s10
	v_cmpx_lt_u32_e64 v2, v38
	s_cbranch_execz .LBB815_519
; %bb.516:
	s_mov_b32 s20, 0
	s_mov_b32 s11, exec_lo
	v_cmpx_lt_u32_e64 v4, v22
	s_cbranch_execz .LBB815_518
; %bb.517:
	v_ashrrev_i32_e32 v11, 31, v10
	v_ashrrev_i32_e32 v14, 31, v13
	v_lshlrev_b64 v[15:16], 2, v[10:11]
	v_lshlrev_b64 v[17:18], 2, v[13:14]
	v_add_co_u32 v14, s6, s14, v15
	v_add_co_ci_u32_e64 v15, null, s15, v16, s6
	v_add_co_u32 v16, s6, s14, v17
	v_add_co_ci_u32_e64 v17, null, s15, v18, s6
	s_clause 0x1
	global_load_dword v5, v[14:15], off
	global_load_dword v7, v[16:17], off
	s_waitcnt vmcnt(0)
	v_cmp_ge_u32_e64 s6, v5, v7
	s_and_b32 s20, s6, exec_lo
.LBB815_518:
	s_or_b32 exec_lo, exec_lo, s11
	s_orn2_b32 s11, s20, exec_lo
.LBB815_519:
	s_or_b32 exec_lo, exec_lo, s13
	v_cndmask_b32_e64 v5, v2, v4, s11
	v_cndmask_b32_e64 v7, v38, v22, s11
	s_mov_b32 s13, exec_lo
	v_add_nc_u32_e32 v5, 1, v5
	v_add_nc_u32_e32 v7, -1, v7
	v_cndmask_b32_e64 v2, v5, v2, s11
	v_min_u32_e32 v7, v5, v7
	v_lshl_add_u32 v7, v7, 2, v34
	ds_read_b32 v11, v7
	v_cndmask_b32_e64 v7, v4, v5, s11
	s_waitcnt lgkmcnt(0)
	v_cndmask_b32_e64 v4, v11, v10, s11
	v_cndmask_b32_e64 v14, v13, v11, s11
	v_cmpx_lt_u32_e64 v2, v38
	s_cbranch_execz .LBB815_523
; %bb.520:
	s_mov_b32 s20, 0
	s_mov_b32 s12, exec_lo
	v_cmpx_lt_u32_e64 v7, v22
	s_cbranch_execz .LBB815_522
; %bb.521:
	v_ashrrev_i32_e32 v5, 31, v4
	v_ashrrev_i32_e32 v15, 31, v14
	v_lshlrev_b64 v[16:17], 2, v[4:5]
	v_lshlrev_b64 v[18:19], 2, v[14:15]
	v_add_co_u32 v15, s6, s14, v16
	v_add_co_ci_u32_e64 v16, null, s15, v17, s6
	v_add_co_u32 v17, s6, s14, v18
	v_add_co_ci_u32_e64 v18, null, s15, v19, s6
	s_clause 0x1
	global_load_dword v5, v[15:16], off
	global_load_dword v11, v[17:18], off
	s_waitcnt vmcnt(0)
	v_cmp_ge_u32_e64 s6, v5, v11
	s_and_b32 s20, s6, exec_lo
.LBB815_522:
	s_or_b32 exec_lo, exec_lo, s12
	s_orn2_b32 s12, s20, exec_lo
.LBB815_523:
	s_or_b32 exec_lo, exec_lo, s13
	v_cndmask_b32_e64 v5, v2, v7, s12
	v_cndmask_b32_e64 v11, v38, v22, s12
	s_mov_b32 s13, -1
	s_mov_b32 s20, -1
	s_mov_b32 s21, exec_lo
	v_add_nc_u32_e32 v5, 1, v5
	v_add_nc_u32_e32 v11, -1, v11
	v_cndmask_b32_e64 v2, v5, v2, s12
	v_min_u32_e32 v11, v5, v11
	v_cndmask_b32_e64 v5, v7, v5, s12
	v_lshl_add_u32 v11, v11, 2, v34
	ds_read_b32 v11, v11
	s_waitcnt lgkmcnt(0)
	v_cndmask_b32_e64 v15, v11, v4, s12
	v_cndmask_b32_e64 v17, v14, v11, s12
	v_cmpx_lt_u32_e64 v2, v38
	s_cbranch_execz .LBB815_527
; %bb.524:
	s_mov_b32 s22, 0
	s_mov_b32 s20, exec_lo
	v_cmpx_lt_u32_e64 v5, v22
	s_cbranch_execz .LBB815_526
; %bb.525:
	v_ashrrev_i32_e32 v16, 31, v15
	v_ashrrev_i32_e32 v18, 31, v17
	v_lshlrev_b64 v[19:20], 2, v[15:16]
	v_lshlrev_b64 v[39:40], 2, v[17:18]
	v_add_co_u32 v18, s6, s14, v19
	v_add_co_ci_u32_e64 v19, null, s15, v20, s6
	v_add_co_u32 v20, s6, s14, v39
	v_add_co_ci_u32_e64 v21, null, s15, v40, s6
	s_clause 0x1
	global_load_dword v7, v[18:19], off
	global_load_dword v11, v[20:21], off
	s_waitcnt vmcnt(0)
	v_cmp_ge_u32_e64 s6, v7, v11
	s_and_b32 s22, s6, exec_lo
.LBB815_526:
	s_or_b32 exec_lo, exec_lo, s20
	s_orn2_b32 s20, s22, exec_lo
.LBB815_527:
	s_or_b32 exec_lo, exec_lo, s21
	v_cndmask_b32_e64 v7, v2, v5, s20
	v_cndmask_b32_e64 v11, v38, v22, s20
	s_mov_b32 s21, exec_lo
	v_add_nc_u32_e32 v16, 1, v7
	v_add_nc_u32_e32 v7, -1, v11
	v_min_u32_e32 v7, v16, v7
	v_lshl_add_u32 v7, v7, 2, v34
	ds_read_b32 v11, v7
	v_cndmask_b32_e64 v7, v16, v2, s20
	v_cndmask_b32_e64 v2, v5, v16, s20
	s_waitcnt lgkmcnt(0)
	v_cndmask_b32_e64 v18, v11, v15, s20
	v_cndmask_b32_e64 v20, v17, v11, s20
	v_cmpx_lt_u32_e64 v7, v38
	s_cbranch_execz .LBB815_531
; %bb.528:
	s_mov_b32 s22, 0
	s_mov_b32 s13, exec_lo
	v_cmpx_lt_u32_e64 v2, v22
	s_cbranch_execz .LBB815_530
; %bb.529:
	v_ashrrev_i32_e32 v19, 31, v18
	v_ashrrev_i32_e32 v21, 31, v20
	v_lshlrev_b64 v[39:40], 2, v[18:19]
	v_lshlrev_b64 v[41:42], 2, v[20:21]
	v_add_co_u32 v39, s6, s14, v39
	v_add_co_ci_u32_e64 v40, null, s15, v40, s6
	v_add_co_u32 v41, s6, s14, v41
	v_add_co_ci_u32_e64 v42, null, s15, v42, s6
	s_clause 0x1
	global_load_dword v5, v[39:40], off
	global_load_dword v11, v[41:42], off
	s_waitcnt vmcnt(0)
	v_cmp_ge_u32_e64 s6, v5, v11
	s_and_b32 s22, s6, exec_lo
.LBB815_530:
	s_or_b32 exec_lo, exec_lo, s13
	s_orn2_b32 s13, s22, exec_lo
.LBB815_531:
	s_or_b32 exec_lo, exec_lo, s21
	v_cndmask_b32_e64 v5, v7, v2, s13
	v_cndmask_b32_e64 v11, v38, v22, s13
	s_mov_b32 s21, exec_lo
	v_add_nc_u32_e32 v5, 1, v5
	v_add_nc_u32_e32 v11, -1, v11
	v_cndmask_b32_e64 v16, v5, v7, s13
	v_min_u32_e32 v11, v5, v11
	v_lshl_add_u32 v11, v11, 2, v34
	ds_read_b32 v11, v11
	s_waitcnt lgkmcnt(0)
	v_cndmask_b32_e64 v7, v20, v11, s13
	v_cmpx_lt_u32_e64 v16, v38
	s_cbranch_execz .LBB815_535
; %bb.532:
	v_cndmask_b32_e64 v2, v2, v5, s13
	v_cndmask_b32_e64 v21, v11, v18, s13
	s_mov_b32 s22, exec_lo
	v_cmpx_lt_u32_e64 v2, v22
	s_cbranch_execz .LBB815_534
; %bb.533:
	v_ashrrev_i32_e32 v22, 31, v21
	v_ashrrev_i32_e32 v39, 31, v7
	v_mov_b32_e32 v38, v7
	v_lshlrev_b64 v[40:41], 2, v[21:22]
	v_lshlrev_b64 v[38:39], 2, v[38:39]
	v_add_co_u32 v40, s6, s14, v40
	v_add_co_ci_u32_e64 v41, null, s15, v41, s6
	v_add_co_u32 v38, s6, s14, v38
	v_add_co_ci_u32_e64 v39, null, s15, v39, s6
	s_clause 0x1
	global_load_dword v2, v[40:41], off
	global_load_dword v5, v[38:39], off
	s_waitcnt vmcnt(0)
	v_cmp_lt_u32_e64 s6, v2, v5
	v_cndmask_b32_e64 v21, v7, v21, s6
.LBB815_534:
	s_or_b32 exec_lo, exec_lo, s22
	v_mov_b32_e32 v7, v21
.LBB815_535:
	s_or_b32 exec_lo, exec_lo, s21
	v_cndmask_b32_e64 v5, v15, v17, s20
	v_cndmask_b32_e64 v4, v4, v14, s12
	;; [unrolled: 1-line block ×7, first 2 shown]
.LBB815_536:
	s_or_b32 exec_lo, exec_lo, s8
	v_and_b32_e32 v1, 0xc0, v36
	v_and_b32_e32 v3, 56, v36
	s_mov_b32 s7, exec_lo
	; wave barrier
	v_or_b32_e32 v2, 32, v1
	v_min_u32_e32 v12, v35, v3
	ds_write_b128 v37, v[8:11]
	ds_write_b128 v37, v[4:7] offset:16
	; wave barrier
	v_min_u32_e32 v22, v35, v2
	v_add_nc_u32_e32 v2, 32, v22
	v_sub_nc_u32_e32 v3, v22, v1
	v_min_u32_e32 v38, v35, v2
	v_min_u32_e32 v13, v12, v3
	v_lshl_add_u32 v3, v1, 2, v34
	v_sub_nc_u32_e32 v2, v38, v22
	v_sub_nc_u32_e64 v2, v12, v2 clamp
	v_cmpx_lt_u32_e64 v2, v13
	s_cbranch_execz .LBB815_540
; %bb.537:
	v_lshlrev_b32_e32 v14, 2, v22
	v_lshlrev_b32_e32 v15, 2, v12
	s_mov_b32 s8, 0
	v_add3_u32 v14, v34, v14, v15
	s_inst_prefetch 0x1
	.p2align	6
.LBB815_538:                            ; =>This Inner Loop Header: Depth=1
	v_add_nc_u32_e32 v15, v13, v2
	v_lshrrev_b32_e32 v19, 1, v15
	v_not_b32_e32 v15, v19
	v_lshl_add_u32 v16, v19, 2, v3
	v_lshl_add_u32 v17, v15, 2, v14
	ds_read_b32 v15, v16
	ds_read_b32 v17, v17
	s_waitcnt lgkmcnt(1)
	v_ashrrev_i32_e32 v16, 31, v15
	s_waitcnt lgkmcnt(0)
	v_ashrrev_i32_e32 v18, 31, v17
	v_lshlrev_b64 v[15:16], 2, v[15:16]
	v_lshlrev_b64 v[17:18], 2, v[17:18]
	v_add_co_u32 v15, s6, s14, v15
	v_add_co_ci_u32_e64 v16, null, s15, v16, s6
	v_add_co_u32 v17, s6, s14, v17
	v_add_co_ci_u32_e64 v18, null, s15, v18, s6
	s_clause 0x1
	global_load_dword v17, v[17:18], off
	global_load_dword v15, v[15:16], off
	v_add_nc_u32_e32 v16, 1, v19
	s_waitcnt vmcnt(0)
	v_cmp_lt_u32_e64 s6, v17, v15
	v_cndmask_b32_e64 v13, v13, v19, s6
	v_cndmask_b32_e64 v2, v16, v2, s6
	v_cmp_ge_u32_e64 s6, v2, v13
	s_or_b32 s8, s6, s8
	s_andn2_b32 exec_lo, exec_lo, s8
	s_cbranch_execnz .LBB815_538
; %bb.539:
	s_inst_prefetch 0x2
	s_or_b32 exec_lo, exec_lo, s8
.LBB815_540:
	s_or_b32 exec_lo, exec_lo, s7
	v_add_nc_u32_e32 v13, v22, v12
	v_add_nc_u32_e32 v12, v2, v1
	v_sub_nc_u32_e32 v13, v13, v2
	v_cmp_le_u32_e64 s6, v12, v22
	v_cmp_le_u32_e64 s7, v13, v38
	s_or_b32 s6, s6, s7
	s_and_saveexec_b32 s8, s6
	s_cbranch_execz .LBB815_576
; %bb.541:
	v_cmp_ge_u32_e64 s6, v12, v22
	s_mov_b32 s9, exec_lo
                                        ; implicit-def: $vgpr1
	v_cmpx_lt_u32_e64 v12, v22
; %bb.542:
	v_lshl_add_u32 v1, v2, 2, v3
	ds_read_b32 v1, v1
; %bb.543:
	s_or_b32 exec_lo, exec_lo, s9
	v_cmp_ge_u32_e64 s9, v13, v38
	s_mov_b32 s10, exec_lo
                                        ; implicit-def: $vgpr3
	v_cmpx_lt_u32_e64 v13, v38
; %bb.544:
	v_lshl_add_u32 v2, v13, 2, v34
	ds_read_b32 v3, v2
; %bb.545:
	s_or_b32 exec_lo, exec_lo, s10
	s_nor_b32 s6, s6, s9
	s_and_saveexec_b32 s7, s6
	s_cbranch_execz .LBB815_547
; %bb.546:
	s_waitcnt lgkmcnt(0)
	v_ashrrev_i32_e32 v4, 31, v3
	v_ashrrev_i32_e32 v2, 31, v1
	s_andn2_b32 s9, s9, exec_lo
	v_lshlrev_b64 v[4:5], 2, v[3:4]
	v_lshlrev_b64 v[6:7], 2, v[1:2]
	v_add_co_u32 v4, s6, s14, v4
	v_add_co_ci_u32_e64 v5, null, s15, v5, s6
	v_add_co_u32 v6, s6, s14, v6
	v_add_co_ci_u32_e64 v7, null, s15, v7, s6
	s_clause 0x1
	global_load_dword v2, v[4:5], off
	global_load_dword v4, v[6:7], off
	s_waitcnt vmcnt(0)
	v_cmp_ge_u32_e64 s6, v2, v4
	s_and_b32 s6, s6, exec_lo
	s_or_b32 s9, s9, s6
.LBB815_547:
	s_or_b32 exec_lo, exec_lo, s7
	v_cndmask_b32_e64 v2, v13, v12, s9
	v_cndmask_b32_e64 v4, v38, v22, s9
	s_mov_b32 s10, -1
	s_mov_b32 s7, -1
	s_mov_b32 s11, exec_lo
	v_add_nc_u32_e32 v5, 1, v2
	v_add_nc_u32_e32 v2, -1, v4
	v_cndmask_b32_e64 v4, v12, v5, s9
	v_min_u32_e32 v2, v5, v2
	v_lshl_add_u32 v2, v2, 2, v34
	ds_read_b32 v7, v2
	v_cndmask_b32_e64 v2, v5, v13, s9
	s_waitcnt lgkmcnt(0)
	v_cndmask_b32_e64 v6, v7, v3, s9
	v_cndmask_b32_e64 v8, v1, v7, s9
	v_cmpx_lt_u32_e64 v2, v38
	s_cbranch_execz .LBB815_551
; %bb.548:
	s_mov_b32 s12, 0
	s_mov_b32 s7, exec_lo
	v_cmpx_lt_u32_e64 v4, v22
	s_cbranch_execz .LBB815_550
; %bb.549:
	v_ashrrev_i32_e32 v7, 31, v6
	v_ashrrev_i32_e32 v9, 31, v8
	v_lshlrev_b64 v[10:11], 2, v[6:7]
	v_lshlrev_b64 v[12:13], 2, v[8:9]
	v_add_co_u32 v9, s6, s14, v10
	v_add_co_ci_u32_e64 v10, null, s15, v11, s6
	v_add_co_u32 v11, s6, s14, v12
	v_add_co_ci_u32_e64 v12, null, s15, v13, s6
	s_clause 0x1
	global_load_dword v5, v[9:10], off
	global_load_dword v7, v[11:12], off
	s_waitcnt vmcnt(0)
	v_cmp_ge_u32_e64 s6, v5, v7
	s_and_b32 s12, s6, exec_lo
.LBB815_550:
	s_or_b32 exec_lo, exec_lo, s7
	s_orn2_b32 s7, s12, exec_lo
.LBB815_551:
	s_or_b32 exec_lo, exec_lo, s11
	v_cndmask_b32_e64 v5, v2, v4, s7
	v_cndmask_b32_e64 v7, v38, v22, s7
	s_mov_b32 s11, exec_lo
	v_add_nc_u32_e32 v5, 1, v5
	v_add_nc_u32_e32 v7, -1, v7
	v_cndmask_b32_e64 v2, v5, v2, s7
	v_min_u32_e32 v7, v5, v7
	v_cndmask_b32_e64 v4, v4, v5, s7
	v_lshl_add_u32 v7, v7, 2, v34
	ds_read_b32 v7, v7
	s_waitcnt lgkmcnt(0)
	v_cndmask_b32_e64 v9, v7, v6, s7
	v_cndmask_b32_e64 v12, v8, v7, s7
	v_cmpx_lt_u32_e64 v2, v38
	s_cbranch_execz .LBB815_555
; %bb.552:
	s_mov_b32 s12, 0
	s_mov_b32 s10, exec_lo
	v_cmpx_lt_u32_e64 v4, v22
	s_cbranch_execz .LBB815_554
; %bb.553:
	v_ashrrev_i32_e32 v10, 31, v9
	v_ashrrev_i32_e32 v13, 31, v12
	v_lshlrev_b64 v[10:11], 2, v[9:10]
	v_lshlrev_b64 v[13:14], 2, v[12:13]
	v_add_co_u32 v10, s6, s14, v10
	v_add_co_ci_u32_e64 v11, null, s15, v11, s6
	v_add_co_u32 v13, s6, s14, v13
	v_add_co_ci_u32_e64 v14, null, s15, v14, s6
	s_clause 0x1
	global_load_dword v5, v[10:11], off
	global_load_dword v7, v[13:14], off
	s_waitcnt vmcnt(0)
	v_cmp_ge_u32_e64 s6, v5, v7
	s_and_b32 s12, s6, exec_lo
.LBB815_554:
	s_or_b32 exec_lo, exec_lo, s10
	s_orn2_b32 s10, s12, exec_lo
.LBB815_555:
	s_or_b32 exec_lo, exec_lo, s11
	v_cndmask_b32_e64 v5, v2, v4, s10
	v_cndmask_b32_e64 v7, v38, v22, s10
	s_mov_b32 s12, -1
	s_mov_b32 s11, -1
	s_mov_b32 s13, exec_lo
	v_add_nc_u32_e32 v5, 1, v5
	v_add_nc_u32_e32 v7, -1, v7
	v_cndmask_b32_e64 v2, v5, v2, s10
	v_min_u32_e32 v7, v5, v7
	v_cndmask_b32_e64 v4, v4, v5, s10
	v_lshl_add_u32 v7, v7, 2, v34
	ds_read_b32 v7, v7
	s_waitcnt lgkmcnt(0)
	v_cndmask_b32_e64 v10, v7, v9, s10
	v_cndmask_b32_e64 v13, v12, v7, s10
	v_cmpx_lt_u32_e64 v2, v38
	s_cbranch_execz .LBB815_559
; %bb.556:
	s_mov_b32 s20, 0
	s_mov_b32 s11, exec_lo
	v_cmpx_lt_u32_e64 v4, v22
	s_cbranch_execz .LBB815_558
; %bb.557:
	v_ashrrev_i32_e32 v11, 31, v10
	v_ashrrev_i32_e32 v14, 31, v13
	v_lshlrev_b64 v[15:16], 2, v[10:11]
	v_lshlrev_b64 v[17:18], 2, v[13:14]
	v_add_co_u32 v14, s6, s14, v15
	v_add_co_ci_u32_e64 v15, null, s15, v16, s6
	v_add_co_u32 v16, s6, s14, v17
	v_add_co_ci_u32_e64 v17, null, s15, v18, s6
	s_clause 0x1
	global_load_dword v5, v[14:15], off
	global_load_dword v7, v[16:17], off
	s_waitcnt vmcnt(0)
	v_cmp_ge_u32_e64 s6, v5, v7
	s_and_b32 s20, s6, exec_lo
.LBB815_558:
	s_or_b32 exec_lo, exec_lo, s11
	s_orn2_b32 s11, s20, exec_lo
.LBB815_559:
	s_or_b32 exec_lo, exec_lo, s13
	v_cndmask_b32_e64 v5, v2, v4, s11
	v_cndmask_b32_e64 v7, v38, v22, s11
	s_mov_b32 s13, exec_lo
	v_add_nc_u32_e32 v5, 1, v5
	v_add_nc_u32_e32 v7, -1, v7
	v_cndmask_b32_e64 v2, v5, v2, s11
	v_min_u32_e32 v7, v5, v7
	v_lshl_add_u32 v7, v7, 2, v34
	ds_read_b32 v11, v7
	v_cndmask_b32_e64 v7, v4, v5, s11
	s_waitcnt lgkmcnt(0)
	v_cndmask_b32_e64 v4, v11, v10, s11
	v_cndmask_b32_e64 v14, v13, v11, s11
	v_cmpx_lt_u32_e64 v2, v38
	s_cbranch_execz .LBB815_563
; %bb.560:
	s_mov_b32 s20, 0
	s_mov_b32 s12, exec_lo
	v_cmpx_lt_u32_e64 v7, v22
	s_cbranch_execz .LBB815_562
; %bb.561:
	v_ashrrev_i32_e32 v5, 31, v4
	v_ashrrev_i32_e32 v15, 31, v14
	v_lshlrev_b64 v[16:17], 2, v[4:5]
	v_lshlrev_b64 v[18:19], 2, v[14:15]
	v_add_co_u32 v15, s6, s14, v16
	v_add_co_ci_u32_e64 v16, null, s15, v17, s6
	v_add_co_u32 v17, s6, s14, v18
	v_add_co_ci_u32_e64 v18, null, s15, v19, s6
	s_clause 0x1
	global_load_dword v5, v[15:16], off
	global_load_dword v11, v[17:18], off
	s_waitcnt vmcnt(0)
	v_cmp_ge_u32_e64 s6, v5, v11
	s_and_b32 s20, s6, exec_lo
.LBB815_562:
	s_or_b32 exec_lo, exec_lo, s12
	s_orn2_b32 s12, s20, exec_lo
.LBB815_563:
	s_or_b32 exec_lo, exec_lo, s13
	v_cndmask_b32_e64 v5, v2, v7, s12
	v_cndmask_b32_e64 v11, v38, v22, s12
	s_mov_b32 s13, -1
	s_mov_b32 s20, -1
	s_mov_b32 s21, exec_lo
	v_add_nc_u32_e32 v5, 1, v5
	v_add_nc_u32_e32 v11, -1, v11
	v_cndmask_b32_e64 v2, v5, v2, s12
	v_min_u32_e32 v11, v5, v11
	v_cndmask_b32_e64 v5, v7, v5, s12
	v_lshl_add_u32 v11, v11, 2, v34
	ds_read_b32 v11, v11
	s_waitcnt lgkmcnt(0)
	v_cndmask_b32_e64 v15, v11, v4, s12
	v_cndmask_b32_e64 v17, v14, v11, s12
	v_cmpx_lt_u32_e64 v2, v38
	s_cbranch_execz .LBB815_567
; %bb.564:
	s_mov_b32 s22, 0
	s_mov_b32 s20, exec_lo
	v_cmpx_lt_u32_e64 v5, v22
	s_cbranch_execz .LBB815_566
; %bb.565:
	v_ashrrev_i32_e32 v16, 31, v15
	v_ashrrev_i32_e32 v18, 31, v17
	v_lshlrev_b64 v[19:20], 2, v[15:16]
	v_lshlrev_b64 v[39:40], 2, v[17:18]
	v_add_co_u32 v18, s6, s14, v19
	v_add_co_ci_u32_e64 v19, null, s15, v20, s6
	v_add_co_u32 v20, s6, s14, v39
	v_add_co_ci_u32_e64 v21, null, s15, v40, s6
	s_clause 0x1
	global_load_dword v7, v[18:19], off
	global_load_dword v11, v[20:21], off
	s_waitcnt vmcnt(0)
	v_cmp_ge_u32_e64 s6, v7, v11
	s_and_b32 s22, s6, exec_lo
.LBB815_566:
	s_or_b32 exec_lo, exec_lo, s20
	s_orn2_b32 s20, s22, exec_lo
.LBB815_567:
	s_or_b32 exec_lo, exec_lo, s21
	v_cndmask_b32_e64 v7, v2, v5, s20
	v_cndmask_b32_e64 v11, v38, v22, s20
	s_mov_b32 s21, exec_lo
	v_add_nc_u32_e32 v16, 1, v7
	v_add_nc_u32_e32 v7, -1, v11
	v_min_u32_e32 v7, v16, v7
	v_lshl_add_u32 v7, v7, 2, v34
	ds_read_b32 v11, v7
	v_cndmask_b32_e64 v7, v16, v2, s20
	v_cndmask_b32_e64 v2, v5, v16, s20
	s_waitcnt lgkmcnt(0)
	v_cndmask_b32_e64 v18, v11, v15, s20
	v_cndmask_b32_e64 v20, v17, v11, s20
	v_cmpx_lt_u32_e64 v7, v38
	s_cbranch_execz .LBB815_571
; %bb.568:
	s_mov_b32 s22, 0
	s_mov_b32 s13, exec_lo
	v_cmpx_lt_u32_e64 v2, v22
	s_cbranch_execz .LBB815_570
; %bb.569:
	v_ashrrev_i32_e32 v19, 31, v18
	v_ashrrev_i32_e32 v21, 31, v20
	v_lshlrev_b64 v[39:40], 2, v[18:19]
	v_lshlrev_b64 v[41:42], 2, v[20:21]
	v_add_co_u32 v39, s6, s14, v39
	v_add_co_ci_u32_e64 v40, null, s15, v40, s6
	v_add_co_u32 v41, s6, s14, v41
	v_add_co_ci_u32_e64 v42, null, s15, v42, s6
	s_clause 0x1
	global_load_dword v5, v[39:40], off
	global_load_dword v11, v[41:42], off
	s_waitcnt vmcnt(0)
	v_cmp_ge_u32_e64 s6, v5, v11
	s_and_b32 s22, s6, exec_lo
.LBB815_570:
	s_or_b32 exec_lo, exec_lo, s13
	s_orn2_b32 s13, s22, exec_lo
.LBB815_571:
	s_or_b32 exec_lo, exec_lo, s21
	v_cndmask_b32_e64 v5, v7, v2, s13
	v_cndmask_b32_e64 v11, v38, v22, s13
	s_mov_b32 s21, exec_lo
	v_add_nc_u32_e32 v5, 1, v5
	v_add_nc_u32_e32 v11, -1, v11
	v_cndmask_b32_e64 v16, v5, v7, s13
	v_min_u32_e32 v11, v5, v11
	v_lshl_add_u32 v11, v11, 2, v34
	ds_read_b32 v11, v11
	s_waitcnt lgkmcnt(0)
	v_cndmask_b32_e64 v7, v20, v11, s13
	v_cmpx_lt_u32_e64 v16, v38
	s_cbranch_execz .LBB815_575
; %bb.572:
	v_cndmask_b32_e64 v2, v2, v5, s13
	v_cndmask_b32_e64 v21, v11, v18, s13
	s_mov_b32 s22, exec_lo
	v_cmpx_lt_u32_e64 v2, v22
	s_cbranch_execz .LBB815_574
; %bb.573:
	v_ashrrev_i32_e32 v22, 31, v21
	v_ashrrev_i32_e32 v39, 31, v7
	v_mov_b32_e32 v38, v7
	v_lshlrev_b64 v[40:41], 2, v[21:22]
	v_lshlrev_b64 v[38:39], 2, v[38:39]
	v_add_co_u32 v40, s6, s14, v40
	v_add_co_ci_u32_e64 v41, null, s15, v41, s6
	v_add_co_u32 v38, s6, s14, v38
	v_add_co_ci_u32_e64 v39, null, s15, v39, s6
	s_clause 0x1
	global_load_dword v2, v[40:41], off
	global_load_dword v5, v[38:39], off
	s_waitcnt vmcnt(0)
	v_cmp_lt_u32_e64 s6, v2, v5
	v_cndmask_b32_e64 v21, v7, v21, s6
.LBB815_574:
	s_or_b32 exec_lo, exec_lo, s22
	v_mov_b32_e32 v7, v21
.LBB815_575:
	s_or_b32 exec_lo, exec_lo, s21
	v_cndmask_b32_e64 v5, v15, v17, s20
	v_cndmask_b32_e64 v4, v4, v14, s12
	;; [unrolled: 1-line block ×7, first 2 shown]
.LBB815_576:
	s_or_b32 exec_lo, exec_lo, s8
	v_and_b32_e32 v1, 0x80, v36
	v_and_b32_e32 v3, 0x78, v36
	s_mov_b32 s7, exec_lo
	; wave barrier
	v_or_b32_e32 v2, 64, v1
	v_min_u32_e32 v12, v35, v3
	ds_write_b128 v37, v[8:11]
	ds_write_b128 v37, v[4:7] offset:16
	; wave barrier
	v_min_u32_e32 v22, v35, v2
	v_add_nc_u32_e32 v2, 64, v22
	v_sub_nc_u32_e32 v3, v22, v1
	v_min_u32_e32 v36, v35, v2
	v_min_u32_e32 v13, v12, v3
	v_lshl_add_u32 v3, v1, 2, v34
	v_sub_nc_u32_e32 v2, v36, v22
	v_sub_nc_u32_e64 v2, v12, v2 clamp
	v_cmpx_lt_u32_e64 v2, v13
	s_cbranch_execz .LBB815_580
; %bb.577:
	v_lshlrev_b32_e32 v14, 2, v22
	v_lshlrev_b32_e32 v15, 2, v12
	s_mov_b32 s8, 0
	v_add3_u32 v14, v34, v14, v15
	s_inst_prefetch 0x1
	.p2align	6
.LBB815_578:                            ; =>This Inner Loop Header: Depth=1
	v_add_nc_u32_e32 v15, v13, v2
	v_lshrrev_b32_e32 v19, 1, v15
	v_not_b32_e32 v15, v19
	v_lshl_add_u32 v16, v19, 2, v3
	v_lshl_add_u32 v17, v15, 2, v14
	ds_read_b32 v15, v16
	ds_read_b32 v17, v17
	s_waitcnt lgkmcnt(1)
	v_ashrrev_i32_e32 v16, 31, v15
	s_waitcnt lgkmcnt(0)
	v_ashrrev_i32_e32 v18, 31, v17
	v_lshlrev_b64 v[15:16], 2, v[15:16]
	v_lshlrev_b64 v[17:18], 2, v[17:18]
	v_add_co_u32 v15, s6, s14, v15
	v_add_co_ci_u32_e64 v16, null, s15, v16, s6
	v_add_co_u32 v17, s6, s14, v17
	v_add_co_ci_u32_e64 v18, null, s15, v18, s6
	s_clause 0x1
	global_load_dword v17, v[17:18], off
	global_load_dword v15, v[15:16], off
	v_add_nc_u32_e32 v16, 1, v19
	s_waitcnt vmcnt(0)
	v_cmp_lt_u32_e64 s6, v17, v15
	v_cndmask_b32_e64 v13, v13, v19, s6
	v_cndmask_b32_e64 v2, v16, v2, s6
	v_cmp_ge_u32_e64 s6, v2, v13
	s_or_b32 s8, s6, s8
	s_andn2_b32 exec_lo, exec_lo, s8
	s_cbranch_execnz .LBB815_578
; %bb.579:
	s_inst_prefetch 0x2
	s_or_b32 exec_lo, exec_lo, s8
.LBB815_580:
	s_or_b32 exec_lo, exec_lo, s7
	v_add_nc_u32_e32 v13, v22, v12
	v_add_nc_u32_e32 v12, v2, v1
	v_sub_nc_u32_e32 v13, v13, v2
	v_cmp_le_u32_e64 s6, v12, v22
	v_cmp_le_u32_e64 s7, v13, v36
	s_or_b32 s6, s6, s7
	s_and_saveexec_b32 s8, s6
	s_cbranch_execz .LBB815_616
; %bb.581:
	v_cmp_ge_u32_e64 s6, v12, v22
	s_mov_b32 s9, exec_lo
                                        ; implicit-def: $vgpr1
	v_cmpx_lt_u32_e64 v12, v22
; %bb.582:
	v_lshl_add_u32 v1, v2, 2, v3
	ds_read_b32 v1, v1
; %bb.583:
	s_or_b32 exec_lo, exec_lo, s9
	v_cmp_ge_u32_e64 s9, v13, v36
	s_mov_b32 s10, exec_lo
                                        ; implicit-def: $vgpr3
	v_cmpx_lt_u32_e64 v13, v36
; %bb.584:
	v_lshl_add_u32 v2, v13, 2, v34
	ds_read_b32 v3, v2
; %bb.585:
	s_or_b32 exec_lo, exec_lo, s10
	s_nor_b32 s6, s6, s9
	s_and_saveexec_b32 s7, s6
	s_cbranch_execz .LBB815_587
; %bb.586:
	s_waitcnt lgkmcnt(0)
	v_ashrrev_i32_e32 v4, 31, v3
	v_ashrrev_i32_e32 v2, 31, v1
	s_andn2_b32 s9, s9, exec_lo
	v_lshlrev_b64 v[4:5], 2, v[3:4]
	v_lshlrev_b64 v[6:7], 2, v[1:2]
	v_add_co_u32 v4, s6, s14, v4
	v_add_co_ci_u32_e64 v5, null, s15, v5, s6
	v_add_co_u32 v6, s6, s14, v6
	v_add_co_ci_u32_e64 v7, null, s15, v7, s6
	s_clause 0x1
	global_load_dword v2, v[4:5], off
	global_load_dword v4, v[6:7], off
	s_waitcnt vmcnt(0)
	v_cmp_ge_u32_e64 s6, v2, v4
	s_and_b32 s6, s6, exec_lo
	s_or_b32 s9, s9, s6
.LBB815_587:
	s_or_b32 exec_lo, exec_lo, s7
	v_cndmask_b32_e64 v2, v13, v12, s9
	v_cndmask_b32_e64 v4, v36, v22, s9
	s_mov_b32 s10, -1
	s_mov_b32 s7, -1
	s_mov_b32 s11, exec_lo
	v_add_nc_u32_e32 v5, 1, v2
	v_add_nc_u32_e32 v2, -1, v4
	v_cndmask_b32_e64 v4, v12, v5, s9
	v_min_u32_e32 v2, v5, v2
	v_lshl_add_u32 v2, v2, 2, v34
	ds_read_b32 v7, v2
	v_cndmask_b32_e64 v2, v5, v13, s9
	s_waitcnt lgkmcnt(0)
	v_cndmask_b32_e64 v6, v7, v3, s9
	v_cndmask_b32_e64 v8, v1, v7, s9
	v_cmpx_lt_u32_e64 v2, v36
	s_cbranch_execz .LBB815_591
; %bb.588:
	s_mov_b32 s12, 0
	s_mov_b32 s7, exec_lo
	v_cmpx_lt_u32_e64 v4, v22
	s_cbranch_execz .LBB815_590
; %bb.589:
	v_ashrrev_i32_e32 v7, 31, v6
	v_ashrrev_i32_e32 v9, 31, v8
	v_lshlrev_b64 v[10:11], 2, v[6:7]
	v_lshlrev_b64 v[12:13], 2, v[8:9]
	v_add_co_u32 v9, s6, s14, v10
	v_add_co_ci_u32_e64 v10, null, s15, v11, s6
	v_add_co_u32 v11, s6, s14, v12
	v_add_co_ci_u32_e64 v12, null, s15, v13, s6
	s_clause 0x1
	global_load_dword v5, v[9:10], off
	global_load_dword v7, v[11:12], off
	s_waitcnt vmcnt(0)
	v_cmp_ge_u32_e64 s6, v5, v7
	s_and_b32 s12, s6, exec_lo
.LBB815_590:
	s_or_b32 exec_lo, exec_lo, s7
	s_orn2_b32 s7, s12, exec_lo
.LBB815_591:
	s_or_b32 exec_lo, exec_lo, s11
	v_cndmask_b32_e64 v5, v2, v4, s7
	v_cndmask_b32_e64 v7, v36, v22, s7
	s_mov_b32 s11, exec_lo
	v_add_nc_u32_e32 v5, 1, v5
	v_add_nc_u32_e32 v7, -1, v7
	v_cndmask_b32_e64 v2, v5, v2, s7
	v_min_u32_e32 v7, v5, v7
	v_cndmask_b32_e64 v4, v4, v5, s7
	v_lshl_add_u32 v7, v7, 2, v34
	ds_read_b32 v7, v7
	s_waitcnt lgkmcnt(0)
	v_cndmask_b32_e64 v9, v7, v6, s7
	v_cndmask_b32_e64 v12, v8, v7, s7
	v_cmpx_lt_u32_e64 v2, v36
	s_cbranch_execz .LBB815_595
; %bb.592:
	s_mov_b32 s12, 0
	s_mov_b32 s10, exec_lo
	v_cmpx_lt_u32_e64 v4, v22
	s_cbranch_execz .LBB815_594
; %bb.593:
	v_ashrrev_i32_e32 v10, 31, v9
	v_ashrrev_i32_e32 v13, 31, v12
	v_lshlrev_b64 v[10:11], 2, v[9:10]
	v_lshlrev_b64 v[13:14], 2, v[12:13]
	v_add_co_u32 v10, s6, s14, v10
	v_add_co_ci_u32_e64 v11, null, s15, v11, s6
	v_add_co_u32 v13, s6, s14, v13
	v_add_co_ci_u32_e64 v14, null, s15, v14, s6
	s_clause 0x1
	global_load_dword v5, v[10:11], off
	global_load_dword v7, v[13:14], off
	s_waitcnt vmcnt(0)
	v_cmp_ge_u32_e64 s6, v5, v7
	s_and_b32 s12, s6, exec_lo
.LBB815_594:
	s_or_b32 exec_lo, exec_lo, s10
	s_orn2_b32 s10, s12, exec_lo
.LBB815_595:
	s_or_b32 exec_lo, exec_lo, s11
	v_cndmask_b32_e64 v5, v2, v4, s10
	v_cndmask_b32_e64 v7, v36, v22, s10
	s_mov_b32 s12, -1
	s_mov_b32 s11, -1
	s_mov_b32 s13, exec_lo
	v_add_nc_u32_e32 v5, 1, v5
	v_add_nc_u32_e32 v7, -1, v7
	v_cndmask_b32_e64 v2, v5, v2, s10
	v_min_u32_e32 v7, v5, v7
	v_cndmask_b32_e64 v4, v4, v5, s10
	v_lshl_add_u32 v7, v7, 2, v34
	ds_read_b32 v7, v7
	s_waitcnt lgkmcnt(0)
	v_cndmask_b32_e64 v10, v7, v9, s10
	v_cndmask_b32_e64 v13, v12, v7, s10
	v_cmpx_lt_u32_e64 v2, v36
	s_cbranch_execz .LBB815_599
; %bb.596:
	s_mov_b32 s20, 0
	s_mov_b32 s11, exec_lo
	v_cmpx_lt_u32_e64 v4, v22
	s_cbranch_execz .LBB815_598
; %bb.597:
	v_ashrrev_i32_e32 v11, 31, v10
	v_ashrrev_i32_e32 v14, 31, v13
	v_lshlrev_b64 v[15:16], 2, v[10:11]
	v_lshlrev_b64 v[17:18], 2, v[13:14]
	v_add_co_u32 v14, s6, s14, v15
	v_add_co_ci_u32_e64 v15, null, s15, v16, s6
	v_add_co_u32 v16, s6, s14, v17
	v_add_co_ci_u32_e64 v17, null, s15, v18, s6
	s_clause 0x1
	global_load_dword v5, v[14:15], off
	global_load_dword v7, v[16:17], off
	s_waitcnt vmcnt(0)
	v_cmp_ge_u32_e64 s6, v5, v7
	s_and_b32 s20, s6, exec_lo
.LBB815_598:
	s_or_b32 exec_lo, exec_lo, s11
	s_orn2_b32 s11, s20, exec_lo
.LBB815_599:
	s_or_b32 exec_lo, exec_lo, s13
	v_cndmask_b32_e64 v5, v2, v4, s11
	v_cndmask_b32_e64 v7, v36, v22, s11
	s_mov_b32 s13, exec_lo
	v_add_nc_u32_e32 v5, 1, v5
	v_add_nc_u32_e32 v7, -1, v7
	v_cndmask_b32_e64 v2, v5, v2, s11
	v_min_u32_e32 v7, v5, v7
	v_lshl_add_u32 v7, v7, 2, v34
	ds_read_b32 v11, v7
	v_cndmask_b32_e64 v7, v4, v5, s11
	s_waitcnt lgkmcnt(0)
	v_cndmask_b32_e64 v4, v11, v10, s11
	v_cndmask_b32_e64 v14, v13, v11, s11
	v_cmpx_lt_u32_e64 v2, v36
	s_cbranch_execz .LBB815_603
; %bb.600:
	s_mov_b32 s20, 0
	s_mov_b32 s12, exec_lo
	v_cmpx_lt_u32_e64 v7, v22
	s_cbranch_execz .LBB815_602
; %bb.601:
	v_ashrrev_i32_e32 v5, 31, v4
	v_ashrrev_i32_e32 v15, 31, v14
	v_lshlrev_b64 v[16:17], 2, v[4:5]
	v_lshlrev_b64 v[18:19], 2, v[14:15]
	v_add_co_u32 v15, s6, s14, v16
	v_add_co_ci_u32_e64 v16, null, s15, v17, s6
	v_add_co_u32 v17, s6, s14, v18
	v_add_co_ci_u32_e64 v18, null, s15, v19, s6
	s_clause 0x1
	global_load_dword v5, v[15:16], off
	global_load_dword v11, v[17:18], off
	s_waitcnt vmcnt(0)
	v_cmp_ge_u32_e64 s6, v5, v11
	s_and_b32 s20, s6, exec_lo
.LBB815_602:
	s_or_b32 exec_lo, exec_lo, s12
	s_orn2_b32 s12, s20, exec_lo
.LBB815_603:
	s_or_b32 exec_lo, exec_lo, s13
	v_cndmask_b32_e64 v5, v2, v7, s12
	v_cndmask_b32_e64 v11, v36, v22, s12
	s_mov_b32 s13, -1
	s_mov_b32 s20, -1
	s_mov_b32 s21, exec_lo
	v_add_nc_u32_e32 v5, 1, v5
	v_add_nc_u32_e32 v11, -1, v11
	v_cndmask_b32_e64 v2, v5, v2, s12
	v_min_u32_e32 v11, v5, v11
	v_cndmask_b32_e64 v5, v7, v5, s12
	v_lshl_add_u32 v11, v11, 2, v34
	ds_read_b32 v11, v11
	s_waitcnt lgkmcnt(0)
	v_cndmask_b32_e64 v15, v11, v4, s12
	v_cndmask_b32_e64 v17, v14, v11, s12
	v_cmpx_lt_u32_e64 v2, v36
	s_cbranch_execz .LBB815_607
; %bb.604:
	s_mov_b32 s22, 0
	s_mov_b32 s20, exec_lo
	v_cmpx_lt_u32_e64 v5, v22
	s_cbranch_execz .LBB815_606
; %bb.605:
	v_ashrrev_i32_e32 v16, 31, v15
	v_ashrrev_i32_e32 v18, 31, v17
	v_lshlrev_b64 v[19:20], 2, v[15:16]
	v_lshlrev_b64 v[37:38], 2, v[17:18]
	v_add_co_u32 v18, s6, s14, v19
	v_add_co_ci_u32_e64 v19, null, s15, v20, s6
	v_add_co_u32 v20, s6, s14, v37
	v_add_co_ci_u32_e64 v21, null, s15, v38, s6
	s_clause 0x1
	global_load_dword v7, v[18:19], off
	global_load_dword v11, v[20:21], off
	s_waitcnt vmcnt(0)
	v_cmp_ge_u32_e64 s6, v7, v11
	s_and_b32 s22, s6, exec_lo
.LBB815_606:
	s_or_b32 exec_lo, exec_lo, s20
	s_orn2_b32 s20, s22, exec_lo
.LBB815_607:
	s_or_b32 exec_lo, exec_lo, s21
	v_cndmask_b32_e64 v7, v2, v5, s20
	v_cndmask_b32_e64 v11, v36, v22, s20
	s_mov_b32 s21, exec_lo
	v_add_nc_u32_e32 v16, 1, v7
	v_add_nc_u32_e32 v7, -1, v11
	v_min_u32_e32 v7, v16, v7
	v_lshl_add_u32 v7, v7, 2, v34
	ds_read_b32 v11, v7
	v_cndmask_b32_e64 v7, v16, v2, s20
	v_cndmask_b32_e64 v2, v5, v16, s20
	s_waitcnt lgkmcnt(0)
	v_cndmask_b32_e64 v18, v11, v15, s20
	v_cndmask_b32_e64 v20, v17, v11, s20
	v_cmpx_lt_u32_e64 v7, v36
	s_cbranch_execz .LBB815_611
; %bb.608:
	s_mov_b32 s22, 0
	s_mov_b32 s13, exec_lo
	v_cmpx_lt_u32_e64 v2, v22
	s_cbranch_execz .LBB815_610
; %bb.609:
	v_ashrrev_i32_e32 v19, 31, v18
	v_ashrrev_i32_e32 v21, 31, v20
	v_lshlrev_b64 v[37:38], 2, v[18:19]
	v_lshlrev_b64 v[39:40], 2, v[20:21]
	v_add_co_u32 v37, s6, s14, v37
	v_add_co_ci_u32_e64 v38, null, s15, v38, s6
	v_add_co_u32 v39, s6, s14, v39
	v_add_co_ci_u32_e64 v40, null, s15, v40, s6
	s_clause 0x1
	global_load_dword v5, v[37:38], off
	global_load_dword v11, v[39:40], off
	s_waitcnt vmcnt(0)
	v_cmp_ge_u32_e64 s6, v5, v11
	s_and_b32 s22, s6, exec_lo
.LBB815_610:
	s_or_b32 exec_lo, exec_lo, s13
	s_orn2_b32 s13, s22, exec_lo
.LBB815_611:
	s_or_b32 exec_lo, exec_lo, s21
	v_cndmask_b32_e64 v5, v7, v2, s13
	v_cndmask_b32_e64 v11, v36, v22, s13
	s_mov_b32 s21, exec_lo
	v_add_nc_u32_e32 v5, 1, v5
	v_add_nc_u32_e32 v11, -1, v11
	v_cndmask_b32_e64 v16, v5, v7, s13
	v_min_u32_e32 v11, v5, v11
	v_lshl_add_u32 v11, v11, 2, v34
	ds_read_b32 v11, v11
	s_waitcnt lgkmcnt(0)
	v_cndmask_b32_e64 v7, v20, v11, s13
	v_cmpx_lt_u32_e64 v16, v36
	s_cbranch_execz .LBB815_615
; %bb.612:
	v_cndmask_b32_e64 v2, v2, v5, s13
	v_cndmask_b32_e64 v21, v11, v18, s13
	s_mov_b32 s22, exec_lo
	v_cmpx_lt_u32_e64 v2, v22
	s_cbranch_execz .LBB815_614
; %bb.613:
	v_ashrrev_i32_e32 v22, 31, v21
	v_ashrrev_i32_e32 v35, 31, v7
	v_mov_b32_e32 v34, v7
	v_lshlrev_b64 v[36:37], 2, v[21:22]
	v_lshlrev_b64 v[34:35], 2, v[34:35]
	v_add_co_u32 v36, s6, s14, v36
	v_add_co_ci_u32_e64 v37, null, s15, v37, s6
	v_add_co_u32 v34, s6, s14, v34
	v_add_co_ci_u32_e64 v35, null, s15, v35, s6
	s_clause 0x1
	global_load_dword v2, v[36:37], off
	global_load_dword v5, v[34:35], off
	s_waitcnt vmcnt(0)
	v_cmp_lt_u32_e64 s6, v2, v5
	v_cndmask_b32_e64 v21, v7, v21, s6
.LBB815_614:
	s_or_b32 exec_lo, exec_lo, s22
	v_mov_b32_e32 v7, v21
.LBB815_615:
	s_or_b32 exec_lo, exec_lo, s21
	v_cndmask_b32_e64 v5, v15, v17, s20
	v_cndmask_b32_e64 v4, v4, v14, s12
	;; [unrolled: 1-line block ×7, first 2 shown]
.LBB815_616:
	s_or_b32 exec_lo, exec_lo, s8
	s_cmpk_lt_u32 s16, 0x81
	; wave barrier
	s_waitcnt lgkmcnt(0)
	s_barrier
	buffer_gl0_inv
	s_cbranch_scc1 .LBB815_659
; %bb.617:
	v_lshlrev_b32_e32 v34, 2, v33
	s_movk_i32 s8, 0x80
	s_branch .LBB815_621
.LBB815_618:                            ;   in Loop: Header=BB815_621 Depth=1
	s_or_b32 exec_lo, exec_lo, s23
	v_mov_b32_e32 v7, v21
.LBB815_619:                            ;   in Loop: Header=BB815_621 Depth=1
	s_or_b32 exec_lo, exec_lo, s22
	v_cndmask_b32_e64 v5, v15, v17, s21
	v_cndmask_b32_e64 v4, v4, v14, s13
	;; [unrolled: 1-line block ×7, first 2 shown]
.LBB815_620:                            ;   in Loop: Header=BB815_621 Depth=1
	s_or_b32 exec_lo, exec_lo, s9
	s_cmp_lt_u32 s8, s16
	s_barrier
	buffer_gl0_inv
	s_cbranch_scc0 .LBB815_659
.LBB815_621:                            ; =>This Loop Header: Depth=1
                                        ;     Child Loop BB815_623 Depth 2
	s_mov_b32 s6, s8
	s_lshl_b32 s8, s8, 1
	ds_write_b128 v34, v[8:11]
	s_sub_i32 s7, 0, s8
	ds_write_b128 v34, v[4:7] offset:16
	v_and_b32_e32 v1, s7, v33
	s_mov_b32 s7, exec_lo
	s_waitcnt lgkmcnt(0)
	s_barrier
	buffer_gl0_inv
	v_add_nc_u32_e32 v2, s6, v1
	v_min_u32_e32 v22, s16, v2
	v_add_nc_u32_e32 v2, s6, v22
	s_add_i32 s6, s8, -1
	v_and_b32_e32 v3, s6, v33
	v_min_u32_e32 v35, s16, v2
	v_min_u32_e32 v12, s16, v3
	v_sub_nc_u32_e32 v3, v22, v1
	v_sub_nc_u32_e32 v2, v35, v22
	v_min_u32_e32 v13, v12, v3
	v_sub_nc_u32_e64 v2, v12, v2 clamp
	v_lshlrev_b32_e32 v3, 2, v1
	v_cmpx_lt_u32_e64 v2, v13
	s_cbranch_execz .LBB815_625
; %bb.622:                              ;   in Loop: Header=BB815_621 Depth=1
	v_lshlrev_b32_e32 v14, 2, v12
	s_mov_b32 s9, 0
	v_lshl_add_u32 v14, v22, 2, v14
	s_inst_prefetch 0x1
	.p2align	6
.LBB815_623:                            ;   Parent Loop BB815_621 Depth=1
                                        ; =>  This Inner Loop Header: Depth=2
	v_add_nc_u32_e32 v15, v13, v2
	v_lshrrev_b32_e32 v19, 1, v15
	v_not_b32_e32 v15, v19
	v_lshl_add_u32 v16, v19, 2, v3
	v_lshl_add_u32 v17, v15, 2, v14
	ds_read_b32 v15, v16
	ds_read_b32 v17, v17
	s_waitcnt lgkmcnt(1)
	v_ashrrev_i32_e32 v16, 31, v15
	s_waitcnt lgkmcnt(0)
	v_ashrrev_i32_e32 v18, 31, v17
	v_lshlrev_b64 v[15:16], 2, v[15:16]
	v_lshlrev_b64 v[17:18], 2, v[17:18]
	v_add_co_u32 v15, s6, s14, v15
	v_add_co_ci_u32_e64 v16, null, s15, v16, s6
	v_add_co_u32 v17, s6, s14, v17
	v_add_co_ci_u32_e64 v18, null, s15, v18, s6
	s_clause 0x1
	global_load_dword v17, v[17:18], off
	global_load_dword v15, v[15:16], off
	v_add_nc_u32_e32 v16, 1, v19
	s_waitcnt vmcnt(0)
	v_cmp_lt_u32_e64 s6, v17, v15
	v_cndmask_b32_e64 v13, v13, v19, s6
	v_cndmask_b32_e64 v2, v16, v2, s6
	v_cmp_ge_u32_e64 s6, v2, v13
	s_or_b32 s9, s6, s9
	s_andn2_b32 exec_lo, exec_lo, s9
	s_cbranch_execnz .LBB815_623
; %bb.624:                              ;   in Loop: Header=BB815_621 Depth=1
	s_inst_prefetch 0x2
	s_or_b32 exec_lo, exec_lo, s9
.LBB815_625:                            ;   in Loop: Header=BB815_621 Depth=1
	s_or_b32 exec_lo, exec_lo, s7
	v_sub_nc_u32_e32 v13, v12, v2
	v_add_nc_u32_e32 v12, v2, v1
	v_add_nc_u32_e32 v13, v13, v22
	v_cmp_le_u32_e64 s6, v12, v22
	v_cmp_le_u32_e64 s7, v13, v35
	s_or_b32 s6, s6, s7
	s_and_saveexec_b32 s9, s6
	s_cbranch_execz .LBB815_620
; %bb.626:                              ;   in Loop: Header=BB815_621 Depth=1
	v_cmp_ge_u32_e64 s6, v12, v22
	s_mov_b32 s10, exec_lo
                                        ; implicit-def: $vgpr1
	v_cmpx_lt_u32_e64 v12, v22
; %bb.627:                              ;   in Loop: Header=BB815_621 Depth=1
	v_lshl_add_u32 v1, v2, 2, v3
	ds_read_b32 v1, v1
; %bb.628:                              ;   in Loop: Header=BB815_621 Depth=1
	s_or_b32 exec_lo, exec_lo, s10
	v_cmp_ge_u32_e64 s10, v13, v35
	s_mov_b32 s11, exec_lo
                                        ; implicit-def: $vgpr3
	v_cmpx_lt_u32_e64 v13, v35
; %bb.629:                              ;   in Loop: Header=BB815_621 Depth=1
	v_lshlrev_b32_e32 v2, 2, v13
	ds_read_b32 v3, v2
; %bb.630:                              ;   in Loop: Header=BB815_621 Depth=1
	s_or_b32 exec_lo, exec_lo, s11
	s_nor_b32 s6, s6, s10
	s_and_saveexec_b32 s7, s6
	s_cbranch_execz .LBB815_632
; %bb.631:                              ;   in Loop: Header=BB815_621 Depth=1
	s_waitcnt lgkmcnt(0)
	v_ashrrev_i32_e32 v4, 31, v3
	v_ashrrev_i32_e32 v2, 31, v1
	s_andn2_b32 s10, s10, exec_lo
	v_lshlrev_b64 v[4:5], 2, v[3:4]
	v_lshlrev_b64 v[6:7], 2, v[1:2]
	v_add_co_u32 v4, s6, s14, v4
	v_add_co_ci_u32_e64 v5, null, s15, v5, s6
	v_add_co_u32 v6, s6, s14, v6
	v_add_co_ci_u32_e64 v7, null, s15, v7, s6
	s_clause 0x1
	global_load_dword v2, v[4:5], off
	global_load_dword v4, v[6:7], off
	s_waitcnt vmcnt(0)
	v_cmp_ge_u32_e64 s6, v2, v4
	s_and_b32 s6, s6, exec_lo
	s_or_b32 s10, s10, s6
.LBB815_632:                            ;   in Loop: Header=BB815_621 Depth=1
	s_or_b32 exec_lo, exec_lo, s7
	v_cndmask_b32_e64 v2, v13, v12, s10
	v_cndmask_b32_e64 v4, v35, v22, s10
	s_mov_b32 s11, -1
	s_mov_b32 s7, -1
	s_mov_b32 s12, exec_lo
	v_add_nc_u32_e32 v5, 1, v2
	v_add_nc_u32_e32 v2, -1, v4
	v_cndmask_b32_e64 v4, v12, v5, s10
	v_min_u32_e32 v2, v5, v2
	v_lshlrev_b32_e32 v2, 2, v2
	ds_read_b32 v7, v2
	v_cndmask_b32_e64 v2, v5, v13, s10
	s_waitcnt lgkmcnt(0)
	v_cndmask_b32_e64 v6, v7, v3, s10
	v_cndmask_b32_e64 v8, v1, v7, s10
	v_cmpx_lt_u32_e64 v2, v35
	s_cbranch_execz .LBB815_636
; %bb.633:                              ;   in Loop: Header=BB815_621 Depth=1
	s_mov_b32 s13, 0
	s_mov_b32 s7, exec_lo
	v_cmpx_lt_u32_e64 v4, v22
	s_cbranch_execz .LBB815_635
; %bb.634:                              ;   in Loop: Header=BB815_621 Depth=1
	v_ashrrev_i32_e32 v7, 31, v6
	v_ashrrev_i32_e32 v9, 31, v8
	v_lshlrev_b64 v[10:11], 2, v[6:7]
	v_lshlrev_b64 v[12:13], 2, v[8:9]
	v_add_co_u32 v9, s6, s14, v10
	v_add_co_ci_u32_e64 v10, null, s15, v11, s6
	v_add_co_u32 v11, s6, s14, v12
	v_add_co_ci_u32_e64 v12, null, s15, v13, s6
	s_clause 0x1
	global_load_dword v5, v[9:10], off
	global_load_dword v7, v[11:12], off
	s_waitcnt vmcnt(0)
	v_cmp_ge_u32_e64 s6, v5, v7
	s_and_b32 s13, s6, exec_lo
.LBB815_635:                            ;   in Loop: Header=BB815_621 Depth=1
	s_or_b32 exec_lo, exec_lo, s7
	s_orn2_b32 s7, s13, exec_lo
.LBB815_636:                            ;   in Loop: Header=BB815_621 Depth=1
	s_or_b32 exec_lo, exec_lo, s12
	v_cndmask_b32_e64 v5, v2, v4, s7
	v_cndmask_b32_e64 v7, v35, v22, s7
	s_mov_b32 s12, exec_lo
	v_add_nc_u32_e32 v5, 1, v5
	v_add_nc_u32_e32 v7, -1, v7
	v_cndmask_b32_e64 v2, v5, v2, s7
	v_min_u32_e32 v7, v5, v7
	v_cndmask_b32_e64 v4, v4, v5, s7
	v_lshlrev_b32_e32 v7, 2, v7
	ds_read_b32 v7, v7
	s_waitcnt lgkmcnt(0)
	v_cndmask_b32_e64 v9, v7, v6, s7
	v_cndmask_b32_e64 v12, v8, v7, s7
	v_cmpx_lt_u32_e64 v2, v35
	s_cbranch_execz .LBB815_640
; %bb.637:                              ;   in Loop: Header=BB815_621 Depth=1
	s_mov_b32 s13, 0
	s_mov_b32 s11, exec_lo
	v_cmpx_lt_u32_e64 v4, v22
	s_cbranch_execz .LBB815_639
; %bb.638:                              ;   in Loop: Header=BB815_621 Depth=1
	v_ashrrev_i32_e32 v10, 31, v9
	v_ashrrev_i32_e32 v13, 31, v12
	v_lshlrev_b64 v[10:11], 2, v[9:10]
	v_lshlrev_b64 v[13:14], 2, v[12:13]
	v_add_co_u32 v10, s6, s14, v10
	v_add_co_ci_u32_e64 v11, null, s15, v11, s6
	v_add_co_u32 v13, s6, s14, v13
	v_add_co_ci_u32_e64 v14, null, s15, v14, s6
	s_clause 0x1
	global_load_dword v5, v[10:11], off
	global_load_dword v7, v[13:14], off
	s_waitcnt vmcnt(0)
	v_cmp_ge_u32_e64 s6, v5, v7
	s_and_b32 s13, s6, exec_lo
.LBB815_639:                            ;   in Loop: Header=BB815_621 Depth=1
	s_or_b32 exec_lo, exec_lo, s11
	s_orn2_b32 s11, s13, exec_lo
.LBB815_640:                            ;   in Loop: Header=BB815_621 Depth=1
	s_or_b32 exec_lo, exec_lo, s12
	v_cndmask_b32_e64 v5, v2, v4, s11
	v_cndmask_b32_e64 v7, v35, v22, s11
	s_mov_b32 s13, -1
	s_mov_b32 s12, -1
	s_mov_b32 s20, exec_lo
	v_add_nc_u32_e32 v5, 1, v5
	v_add_nc_u32_e32 v7, -1, v7
	v_cndmask_b32_e64 v2, v5, v2, s11
	v_min_u32_e32 v7, v5, v7
	v_cndmask_b32_e64 v4, v4, v5, s11
	v_lshlrev_b32_e32 v7, 2, v7
	ds_read_b32 v7, v7
	s_waitcnt lgkmcnt(0)
	v_cndmask_b32_e64 v10, v7, v9, s11
	v_cndmask_b32_e64 v13, v12, v7, s11
	v_cmpx_lt_u32_e64 v2, v35
	s_cbranch_execz .LBB815_644
; %bb.641:                              ;   in Loop: Header=BB815_621 Depth=1
	s_mov_b32 s21, 0
	s_mov_b32 s12, exec_lo
	v_cmpx_lt_u32_e64 v4, v22
	s_cbranch_execz .LBB815_643
; %bb.642:                              ;   in Loop: Header=BB815_621 Depth=1
	v_ashrrev_i32_e32 v11, 31, v10
	v_ashrrev_i32_e32 v14, 31, v13
	v_lshlrev_b64 v[15:16], 2, v[10:11]
	v_lshlrev_b64 v[17:18], 2, v[13:14]
	v_add_co_u32 v14, s6, s14, v15
	v_add_co_ci_u32_e64 v15, null, s15, v16, s6
	v_add_co_u32 v16, s6, s14, v17
	v_add_co_ci_u32_e64 v17, null, s15, v18, s6
	s_clause 0x1
	global_load_dword v5, v[14:15], off
	global_load_dword v7, v[16:17], off
	s_waitcnt vmcnt(0)
	v_cmp_ge_u32_e64 s6, v5, v7
	s_and_b32 s21, s6, exec_lo
.LBB815_643:                            ;   in Loop: Header=BB815_621 Depth=1
	s_or_b32 exec_lo, exec_lo, s12
	s_orn2_b32 s12, s21, exec_lo
.LBB815_644:                            ;   in Loop: Header=BB815_621 Depth=1
	s_or_b32 exec_lo, exec_lo, s20
	v_cndmask_b32_e64 v5, v2, v4, s12
	v_cndmask_b32_e64 v7, v35, v22, s12
	s_mov_b32 s20, exec_lo
	v_add_nc_u32_e32 v5, 1, v5
	v_add_nc_u32_e32 v7, -1, v7
	v_cndmask_b32_e64 v2, v5, v2, s12
	v_min_u32_e32 v7, v5, v7
	v_lshlrev_b32_e32 v7, 2, v7
	ds_read_b32 v11, v7
	v_cndmask_b32_e64 v7, v4, v5, s12
	s_waitcnt lgkmcnt(0)
	v_cndmask_b32_e64 v4, v11, v10, s12
	v_cndmask_b32_e64 v14, v13, v11, s12
	v_cmpx_lt_u32_e64 v2, v35
	s_cbranch_execz .LBB815_648
; %bb.645:                              ;   in Loop: Header=BB815_621 Depth=1
	s_mov_b32 s21, 0
	s_mov_b32 s13, exec_lo
	v_cmpx_lt_u32_e64 v7, v22
	s_cbranch_execz .LBB815_647
; %bb.646:                              ;   in Loop: Header=BB815_621 Depth=1
	v_ashrrev_i32_e32 v5, 31, v4
	v_ashrrev_i32_e32 v15, 31, v14
	v_lshlrev_b64 v[16:17], 2, v[4:5]
	v_lshlrev_b64 v[18:19], 2, v[14:15]
	v_add_co_u32 v15, s6, s14, v16
	v_add_co_ci_u32_e64 v16, null, s15, v17, s6
	v_add_co_u32 v17, s6, s14, v18
	v_add_co_ci_u32_e64 v18, null, s15, v19, s6
	s_clause 0x1
	global_load_dword v5, v[15:16], off
	global_load_dword v11, v[17:18], off
	s_waitcnt vmcnt(0)
	v_cmp_ge_u32_e64 s6, v5, v11
	s_and_b32 s21, s6, exec_lo
.LBB815_647:                            ;   in Loop: Header=BB815_621 Depth=1
	s_or_b32 exec_lo, exec_lo, s13
	s_orn2_b32 s13, s21, exec_lo
.LBB815_648:                            ;   in Loop: Header=BB815_621 Depth=1
	s_or_b32 exec_lo, exec_lo, s20
	v_cndmask_b32_e64 v5, v2, v7, s13
	v_cndmask_b32_e64 v11, v35, v22, s13
	s_mov_b32 s20, -1
	s_mov_b32 s21, -1
	s_mov_b32 s22, exec_lo
	v_add_nc_u32_e32 v5, 1, v5
	v_add_nc_u32_e32 v11, -1, v11
	v_cndmask_b32_e64 v2, v5, v2, s13
	v_min_u32_e32 v11, v5, v11
	v_cndmask_b32_e64 v5, v7, v5, s13
	v_lshlrev_b32_e32 v11, 2, v11
	ds_read_b32 v11, v11
	s_waitcnt lgkmcnt(0)
	v_cndmask_b32_e64 v15, v11, v4, s13
	v_cndmask_b32_e64 v17, v14, v11, s13
	v_cmpx_lt_u32_e64 v2, v35
	s_cbranch_execz .LBB815_652
; %bb.649:                              ;   in Loop: Header=BB815_621 Depth=1
	s_mov_b32 s23, 0
	s_mov_b32 s21, exec_lo
	v_cmpx_lt_u32_e64 v5, v22
	s_cbranch_execz .LBB815_651
; %bb.650:                              ;   in Loop: Header=BB815_621 Depth=1
	v_ashrrev_i32_e32 v16, 31, v15
	v_ashrrev_i32_e32 v18, 31, v17
	v_lshlrev_b64 v[19:20], 2, v[15:16]
	v_lshlrev_b64 v[36:37], 2, v[17:18]
	v_add_co_u32 v18, s6, s14, v19
	v_add_co_ci_u32_e64 v19, null, s15, v20, s6
	v_add_co_u32 v20, s6, s14, v36
	v_add_co_ci_u32_e64 v21, null, s15, v37, s6
	s_clause 0x1
	global_load_dword v7, v[18:19], off
	global_load_dword v11, v[20:21], off
	s_waitcnt vmcnt(0)
	v_cmp_ge_u32_e64 s6, v7, v11
	s_and_b32 s23, s6, exec_lo
.LBB815_651:                            ;   in Loop: Header=BB815_621 Depth=1
	s_or_b32 exec_lo, exec_lo, s21
	s_orn2_b32 s21, s23, exec_lo
.LBB815_652:                            ;   in Loop: Header=BB815_621 Depth=1
	s_or_b32 exec_lo, exec_lo, s22
	v_cndmask_b32_e64 v7, v2, v5, s21
	v_cndmask_b32_e64 v11, v35, v22, s21
	s_mov_b32 s22, exec_lo
	v_add_nc_u32_e32 v16, 1, v7
	v_add_nc_u32_e32 v7, -1, v11
	v_min_u32_e32 v7, v16, v7
	v_lshlrev_b32_e32 v7, 2, v7
	ds_read_b32 v11, v7
	v_cndmask_b32_e64 v7, v16, v2, s21
	v_cndmask_b32_e64 v2, v5, v16, s21
	s_waitcnt lgkmcnt(0)
	v_cndmask_b32_e64 v18, v11, v15, s21
	v_cndmask_b32_e64 v20, v17, v11, s21
	v_cmpx_lt_u32_e64 v7, v35
	s_cbranch_execz .LBB815_656
; %bb.653:                              ;   in Loop: Header=BB815_621 Depth=1
	s_mov_b32 s23, 0
	s_mov_b32 s20, exec_lo
	v_cmpx_lt_u32_e64 v2, v22
	s_cbranch_execz .LBB815_655
; %bb.654:                              ;   in Loop: Header=BB815_621 Depth=1
	v_ashrrev_i32_e32 v19, 31, v18
	v_ashrrev_i32_e32 v21, 31, v20
	v_lshlrev_b64 v[36:37], 2, v[18:19]
	v_lshlrev_b64 v[38:39], 2, v[20:21]
	v_add_co_u32 v36, s6, s14, v36
	v_add_co_ci_u32_e64 v37, null, s15, v37, s6
	v_add_co_u32 v38, s6, s14, v38
	v_add_co_ci_u32_e64 v39, null, s15, v39, s6
	s_clause 0x1
	global_load_dword v5, v[36:37], off
	global_load_dword v11, v[38:39], off
	s_waitcnt vmcnt(0)
	v_cmp_ge_u32_e64 s6, v5, v11
	s_and_b32 s23, s6, exec_lo
.LBB815_655:                            ;   in Loop: Header=BB815_621 Depth=1
	s_or_b32 exec_lo, exec_lo, s20
	s_orn2_b32 s20, s23, exec_lo
.LBB815_656:                            ;   in Loop: Header=BB815_621 Depth=1
	s_or_b32 exec_lo, exec_lo, s22
	v_cndmask_b32_e64 v5, v7, v2, s20
	v_cndmask_b32_e64 v11, v35, v22, s20
	s_mov_b32 s22, exec_lo
	v_add_nc_u32_e32 v5, 1, v5
	v_add_nc_u32_e32 v11, -1, v11
	v_cndmask_b32_e64 v16, v5, v7, s20
	v_min_u32_e32 v11, v5, v11
	v_lshlrev_b32_e32 v11, 2, v11
	ds_read_b32 v11, v11
	s_waitcnt lgkmcnt(0)
	v_cndmask_b32_e64 v7, v20, v11, s20
	v_cmpx_lt_u32_e64 v16, v35
	s_cbranch_execz .LBB815_619
; %bb.657:                              ;   in Loop: Header=BB815_621 Depth=1
	v_cndmask_b32_e64 v2, v2, v5, s20
	v_cndmask_b32_e64 v21, v11, v18, s20
	s_mov_b32 s23, exec_lo
	v_cmpx_lt_u32_e64 v2, v22
	s_cbranch_execz .LBB815_618
; %bb.658:                              ;   in Loop: Header=BB815_621 Depth=1
	v_ashrrev_i32_e32 v22, 31, v21
	v_ashrrev_i32_e32 v36, 31, v7
	v_mov_b32_e32 v35, v7
	v_lshlrev_b64 v[37:38], 2, v[21:22]
	v_lshlrev_b64 v[35:36], 2, v[35:36]
	v_add_co_u32 v37, s6, s14, v37
	v_add_co_ci_u32_e64 v38, null, s15, v38, s6
	v_add_co_u32 v35, s6, s14, v35
	v_add_co_ci_u32_e64 v36, null, s15, v36, s6
	s_clause 0x1
	global_load_dword v2, v[37:38], off
	global_load_dword v5, v[35:36], off
	s_waitcnt vmcnt(0)
	v_cmp_lt_u32_e64 s6, v2, v5
	v_cndmask_b32_e64 v21, v7, v21, s6
	s_branch .LBB815_618
.LBB815_659:
	s_barrier
	buffer_gl0_inv
	ds_write2_b32 v28, v8, v9 offset1:1
	ds_write2_b32 v28, v10, v11 offset0:2 offset1:3
	ds_write2_b32 v28, v4, v5 offset0:4 offset1:5
	;; [unrolled: 1-line block ×3, first 2 shown]
	s_waitcnt lgkmcnt(0)
	s_barrier
	buffer_gl0_inv
	ds_read_b32 v10, v24 offset:1024
	ds_read_b32 v9, v25 offset:2048
	;; [unrolled: 1-line block ×7, first 2 shown]
	v_add_co_u32 v2, s6, s17, v27
	v_mov_b32_e32 v1, 0
	v_add_co_ci_u32_e64 v3, null, s18, 0, s6
	s_and_saveexec_b32 s6, vcc_lo
	s_cbranch_execz .LBB815_671
; %bb.660:
	ds_read_b32 v11, v23
	s_waitcnt lgkmcnt(0)
	flat_store_dword v[2:3], v11
	s_or_b32 exec_lo, exec_lo, s6
	s_and_saveexec_b32 s6, s0
	s_cbranch_execnz .LBB815_672
.LBB815_661:
	s_or_b32 exec_lo, exec_lo, s6
	s_and_saveexec_b32 s0, s1
	s_cbranch_execz .LBB815_673
.LBB815_662:
	s_waitcnt lgkmcnt(6)
	v_add_co_u32 v10, vcc_lo, 0x800, v2
	v_add_co_ci_u32_e64 v11, null, 0, v3, vcc_lo
	s_waitcnt lgkmcnt(5)
	flat_store_dword v[10:11], v9
	s_or_b32 exec_lo, exec_lo, s0
	s_and_saveexec_b32 s0, s2
	s_cbranch_execnz .LBB815_674
.LBB815_663:
	s_or_b32 exec_lo, exec_lo, s0
	s_and_saveexec_b32 s0, s3
	s_cbranch_execz .LBB815_675
.LBB815_664:
	s_waitcnt lgkmcnt(4)
	v_add_co_u32 v8, vcc_lo, 0x1000, v2
	v_add_co_ci_u32_e64 v9, null, 0, v3, vcc_lo
	s_waitcnt lgkmcnt(3)
	flat_store_dword v[8:9], v7
	s_or_b32 exec_lo, exec_lo, s0
	s_and_saveexec_b32 s0, s4
	s_cbranch_execnz .LBB815_676
.LBB815_665:
	s_or_b32 exec_lo, exec_lo, s0
	s_and_saveexec_b32 s0, s5
	s_cbranch_execz .LBB815_667
.LBB815_666:
	v_add_co_u32 v2, vcc_lo, 0x1800, v2
	v_add_co_ci_u32_e64 v3, null, 0, v3, vcc_lo
	s_waitcnt lgkmcnt(1)
	flat_store_dword v[2:3], v5
.LBB815_667:
	s_or_b32 exec_lo, exec_lo, s0
.LBB815_668:
	s_and_saveexec_b32 s0, s19
	s_cbranch_execz .LBB815_670
; %bb.669:
	v_lshlrev_b64 v[0:1], 2, v[0:1]
	v_add_co_u32 v0, vcc_lo, s17, v0
	v_add_co_ci_u32_e64 v1, null, s18, v1, vcc_lo
	v_add_co_u32 v0, vcc_lo, 0x1800, v0
	v_add_co_ci_u32_e64 v1, null, 0, v1, vcc_lo
	s_waitcnt lgkmcnt(0)
	flat_store_dword v[0:1], v4 offset:1024
.LBB815_670:
	s_endpgm
.LBB815_671:
	s_or_b32 exec_lo, exec_lo, s6
	s_and_saveexec_b32 s6, s0
	s_cbranch_execz .LBB815_661
.LBB815_672:
	s_waitcnt lgkmcnt(6)
	flat_store_dword v[2:3], v10 offset:1024
	s_or_b32 exec_lo, exec_lo, s6
	s_and_saveexec_b32 s0, s1
	s_cbranch_execnz .LBB815_662
.LBB815_673:
	s_or_b32 exec_lo, exec_lo, s0
	s_and_saveexec_b32 s0, s2
	s_cbranch_execz .LBB815_663
.LBB815_674:
	s_waitcnt lgkmcnt(5)
	v_add_co_u32 v9, vcc_lo, 0x800, v2
	v_add_co_ci_u32_e64 v10, null, 0, v3, vcc_lo
	s_waitcnt lgkmcnt(4)
	flat_store_dword v[9:10], v8 offset:1024
	s_or_b32 exec_lo, exec_lo, s0
	s_and_saveexec_b32 s0, s3
	s_cbranch_execnz .LBB815_664
.LBB815_675:
	s_or_b32 exec_lo, exec_lo, s0
	s_and_saveexec_b32 s0, s4
	s_cbranch_execz .LBB815_665
.LBB815_676:
	s_waitcnt lgkmcnt(3)
	v_add_co_u32 v7, vcc_lo, 0x1000, v2
	v_add_co_ci_u32_e64 v8, null, 0, v3, vcc_lo
	s_waitcnt lgkmcnt(2)
	flat_store_dword v[7:8], v6 offset:1024
	s_or_b32 exec_lo, exec_lo, s0
	s_and_saveexec_b32 s0, s5
	s_cbranch_execnz .LBB815_666
	s_branch .LBB815_667
	.section	.rodata,"a",@progbits
	.p2align	6, 0x0
	.amdhsa_kernel _ZN7rocprim17ROCPRIM_400000_NS6detail17trampoline_kernelINS0_14default_configENS1_37merge_sort_block_sort_config_selectorIjNS0_10empty_typeEEEZNS1_21merge_sort_block_sortIS3_N6thrust23THRUST_200600_302600_NS6detail15normal_iteratorINS9_10device_ptrIjEEEESE_PS5_SF_9comp_mod3IjEEE10hipError_tT0_T1_T2_T3_mRjT4_P12ihipStream_tbNS1_7vsmem_tEEUlT_E_NS1_11comp_targetILNS1_3genE8ELNS1_11target_archE1030ELNS1_3gpuE2ELNS1_3repE0EEENS1_30default_config_static_selectorELNS0_4arch9wavefront6targetE0EEEvSK_
		.amdhsa_group_segment_fixed_size 8448
		.amdhsa_private_segment_fixed_size 0
		.amdhsa_kernarg_size 320
		.amdhsa_user_sgpr_count 6
		.amdhsa_user_sgpr_private_segment_buffer 1
		.amdhsa_user_sgpr_dispatch_ptr 0
		.amdhsa_user_sgpr_queue_ptr 0
		.amdhsa_user_sgpr_kernarg_segment_ptr 1
		.amdhsa_user_sgpr_dispatch_id 0
		.amdhsa_user_sgpr_flat_scratch_init 0
		.amdhsa_user_sgpr_private_segment_size 0
		.amdhsa_wavefront_size32 1
		.amdhsa_uses_dynamic_stack 0
		.amdhsa_system_sgpr_private_segment_wavefront_offset 0
		.amdhsa_system_sgpr_workgroup_id_x 1
		.amdhsa_system_sgpr_workgroup_id_y 1
		.amdhsa_system_sgpr_workgroup_id_z 1
		.amdhsa_system_sgpr_workgroup_info 0
		.amdhsa_system_vgpr_workitem_id 2
		.amdhsa_next_free_vgpr 56
		.amdhsa_next_free_sgpr 24
		.amdhsa_reserve_vcc 1
		.amdhsa_reserve_flat_scratch 1
		.amdhsa_float_round_mode_32 0
		.amdhsa_float_round_mode_16_64 0
		.amdhsa_float_denorm_mode_32 3
		.amdhsa_float_denorm_mode_16_64 3
		.amdhsa_dx10_clamp 1
		.amdhsa_ieee_mode 1
		.amdhsa_fp16_overflow 0
		.amdhsa_workgroup_processor_mode 1
		.amdhsa_memory_ordered 1
		.amdhsa_forward_progress 1
		.amdhsa_shared_vgpr_count 0
		.amdhsa_exception_fp_ieee_invalid_op 0
		.amdhsa_exception_fp_denorm_src 0
		.amdhsa_exception_fp_ieee_div_zero 0
		.amdhsa_exception_fp_ieee_overflow 0
		.amdhsa_exception_fp_ieee_underflow 0
		.amdhsa_exception_fp_ieee_inexact 0
		.amdhsa_exception_int_div_zero 0
	.end_amdhsa_kernel
	.section	.text._ZN7rocprim17ROCPRIM_400000_NS6detail17trampoline_kernelINS0_14default_configENS1_37merge_sort_block_sort_config_selectorIjNS0_10empty_typeEEEZNS1_21merge_sort_block_sortIS3_N6thrust23THRUST_200600_302600_NS6detail15normal_iteratorINS9_10device_ptrIjEEEESE_PS5_SF_9comp_mod3IjEEE10hipError_tT0_T1_T2_T3_mRjT4_P12ihipStream_tbNS1_7vsmem_tEEUlT_E_NS1_11comp_targetILNS1_3genE8ELNS1_11target_archE1030ELNS1_3gpuE2ELNS1_3repE0EEENS1_30default_config_static_selectorELNS0_4arch9wavefront6targetE0EEEvSK_,"axG",@progbits,_ZN7rocprim17ROCPRIM_400000_NS6detail17trampoline_kernelINS0_14default_configENS1_37merge_sort_block_sort_config_selectorIjNS0_10empty_typeEEEZNS1_21merge_sort_block_sortIS3_N6thrust23THRUST_200600_302600_NS6detail15normal_iteratorINS9_10device_ptrIjEEEESE_PS5_SF_9comp_mod3IjEEE10hipError_tT0_T1_T2_T3_mRjT4_P12ihipStream_tbNS1_7vsmem_tEEUlT_E_NS1_11comp_targetILNS1_3genE8ELNS1_11target_archE1030ELNS1_3gpuE2ELNS1_3repE0EEENS1_30default_config_static_selectorELNS0_4arch9wavefront6targetE0EEEvSK_,comdat
.Lfunc_end815:
	.size	_ZN7rocprim17ROCPRIM_400000_NS6detail17trampoline_kernelINS0_14default_configENS1_37merge_sort_block_sort_config_selectorIjNS0_10empty_typeEEEZNS1_21merge_sort_block_sortIS3_N6thrust23THRUST_200600_302600_NS6detail15normal_iteratorINS9_10device_ptrIjEEEESE_PS5_SF_9comp_mod3IjEEE10hipError_tT0_T1_T2_T3_mRjT4_P12ihipStream_tbNS1_7vsmem_tEEUlT_E_NS1_11comp_targetILNS1_3genE8ELNS1_11target_archE1030ELNS1_3gpuE2ELNS1_3repE0EEENS1_30default_config_static_selectorELNS0_4arch9wavefront6targetE0EEEvSK_, .Lfunc_end815-_ZN7rocprim17ROCPRIM_400000_NS6detail17trampoline_kernelINS0_14default_configENS1_37merge_sort_block_sort_config_selectorIjNS0_10empty_typeEEEZNS1_21merge_sort_block_sortIS3_N6thrust23THRUST_200600_302600_NS6detail15normal_iteratorINS9_10device_ptrIjEEEESE_PS5_SF_9comp_mod3IjEEE10hipError_tT0_T1_T2_T3_mRjT4_P12ihipStream_tbNS1_7vsmem_tEEUlT_E_NS1_11comp_targetILNS1_3genE8ELNS1_11target_archE1030ELNS1_3gpuE2ELNS1_3repE0EEENS1_30default_config_static_selectorELNS0_4arch9wavefront6targetE0EEEvSK_
                                        ; -- End function
	.set _ZN7rocprim17ROCPRIM_400000_NS6detail17trampoline_kernelINS0_14default_configENS1_37merge_sort_block_sort_config_selectorIjNS0_10empty_typeEEEZNS1_21merge_sort_block_sortIS3_N6thrust23THRUST_200600_302600_NS6detail15normal_iteratorINS9_10device_ptrIjEEEESE_PS5_SF_9comp_mod3IjEEE10hipError_tT0_T1_T2_T3_mRjT4_P12ihipStream_tbNS1_7vsmem_tEEUlT_E_NS1_11comp_targetILNS1_3genE8ELNS1_11target_archE1030ELNS1_3gpuE2ELNS1_3repE0EEENS1_30default_config_static_selectorELNS0_4arch9wavefront6targetE0EEEvSK_.num_vgpr, 56
	.set _ZN7rocprim17ROCPRIM_400000_NS6detail17trampoline_kernelINS0_14default_configENS1_37merge_sort_block_sort_config_selectorIjNS0_10empty_typeEEEZNS1_21merge_sort_block_sortIS3_N6thrust23THRUST_200600_302600_NS6detail15normal_iteratorINS9_10device_ptrIjEEEESE_PS5_SF_9comp_mod3IjEEE10hipError_tT0_T1_T2_T3_mRjT4_P12ihipStream_tbNS1_7vsmem_tEEUlT_E_NS1_11comp_targetILNS1_3genE8ELNS1_11target_archE1030ELNS1_3gpuE2ELNS1_3repE0EEENS1_30default_config_static_selectorELNS0_4arch9wavefront6targetE0EEEvSK_.num_agpr, 0
	.set _ZN7rocprim17ROCPRIM_400000_NS6detail17trampoline_kernelINS0_14default_configENS1_37merge_sort_block_sort_config_selectorIjNS0_10empty_typeEEEZNS1_21merge_sort_block_sortIS3_N6thrust23THRUST_200600_302600_NS6detail15normal_iteratorINS9_10device_ptrIjEEEESE_PS5_SF_9comp_mod3IjEEE10hipError_tT0_T1_T2_T3_mRjT4_P12ihipStream_tbNS1_7vsmem_tEEUlT_E_NS1_11comp_targetILNS1_3genE8ELNS1_11target_archE1030ELNS1_3gpuE2ELNS1_3repE0EEENS1_30default_config_static_selectorELNS0_4arch9wavefront6targetE0EEEvSK_.numbered_sgpr, 24
	.set _ZN7rocprim17ROCPRIM_400000_NS6detail17trampoline_kernelINS0_14default_configENS1_37merge_sort_block_sort_config_selectorIjNS0_10empty_typeEEEZNS1_21merge_sort_block_sortIS3_N6thrust23THRUST_200600_302600_NS6detail15normal_iteratorINS9_10device_ptrIjEEEESE_PS5_SF_9comp_mod3IjEEE10hipError_tT0_T1_T2_T3_mRjT4_P12ihipStream_tbNS1_7vsmem_tEEUlT_E_NS1_11comp_targetILNS1_3genE8ELNS1_11target_archE1030ELNS1_3gpuE2ELNS1_3repE0EEENS1_30default_config_static_selectorELNS0_4arch9wavefront6targetE0EEEvSK_.num_named_barrier, 0
	.set _ZN7rocprim17ROCPRIM_400000_NS6detail17trampoline_kernelINS0_14default_configENS1_37merge_sort_block_sort_config_selectorIjNS0_10empty_typeEEEZNS1_21merge_sort_block_sortIS3_N6thrust23THRUST_200600_302600_NS6detail15normal_iteratorINS9_10device_ptrIjEEEESE_PS5_SF_9comp_mod3IjEEE10hipError_tT0_T1_T2_T3_mRjT4_P12ihipStream_tbNS1_7vsmem_tEEUlT_E_NS1_11comp_targetILNS1_3genE8ELNS1_11target_archE1030ELNS1_3gpuE2ELNS1_3repE0EEENS1_30default_config_static_selectorELNS0_4arch9wavefront6targetE0EEEvSK_.private_seg_size, 0
	.set _ZN7rocprim17ROCPRIM_400000_NS6detail17trampoline_kernelINS0_14default_configENS1_37merge_sort_block_sort_config_selectorIjNS0_10empty_typeEEEZNS1_21merge_sort_block_sortIS3_N6thrust23THRUST_200600_302600_NS6detail15normal_iteratorINS9_10device_ptrIjEEEESE_PS5_SF_9comp_mod3IjEEE10hipError_tT0_T1_T2_T3_mRjT4_P12ihipStream_tbNS1_7vsmem_tEEUlT_E_NS1_11comp_targetILNS1_3genE8ELNS1_11target_archE1030ELNS1_3gpuE2ELNS1_3repE0EEENS1_30default_config_static_selectorELNS0_4arch9wavefront6targetE0EEEvSK_.uses_vcc, 1
	.set _ZN7rocprim17ROCPRIM_400000_NS6detail17trampoline_kernelINS0_14default_configENS1_37merge_sort_block_sort_config_selectorIjNS0_10empty_typeEEEZNS1_21merge_sort_block_sortIS3_N6thrust23THRUST_200600_302600_NS6detail15normal_iteratorINS9_10device_ptrIjEEEESE_PS5_SF_9comp_mod3IjEEE10hipError_tT0_T1_T2_T3_mRjT4_P12ihipStream_tbNS1_7vsmem_tEEUlT_E_NS1_11comp_targetILNS1_3genE8ELNS1_11target_archE1030ELNS1_3gpuE2ELNS1_3repE0EEENS1_30default_config_static_selectorELNS0_4arch9wavefront6targetE0EEEvSK_.uses_flat_scratch, 1
	.set _ZN7rocprim17ROCPRIM_400000_NS6detail17trampoline_kernelINS0_14default_configENS1_37merge_sort_block_sort_config_selectorIjNS0_10empty_typeEEEZNS1_21merge_sort_block_sortIS3_N6thrust23THRUST_200600_302600_NS6detail15normal_iteratorINS9_10device_ptrIjEEEESE_PS5_SF_9comp_mod3IjEEE10hipError_tT0_T1_T2_T3_mRjT4_P12ihipStream_tbNS1_7vsmem_tEEUlT_E_NS1_11comp_targetILNS1_3genE8ELNS1_11target_archE1030ELNS1_3gpuE2ELNS1_3repE0EEENS1_30default_config_static_selectorELNS0_4arch9wavefront6targetE0EEEvSK_.has_dyn_sized_stack, 0
	.set _ZN7rocprim17ROCPRIM_400000_NS6detail17trampoline_kernelINS0_14default_configENS1_37merge_sort_block_sort_config_selectorIjNS0_10empty_typeEEEZNS1_21merge_sort_block_sortIS3_N6thrust23THRUST_200600_302600_NS6detail15normal_iteratorINS9_10device_ptrIjEEEESE_PS5_SF_9comp_mod3IjEEE10hipError_tT0_T1_T2_T3_mRjT4_P12ihipStream_tbNS1_7vsmem_tEEUlT_E_NS1_11comp_targetILNS1_3genE8ELNS1_11target_archE1030ELNS1_3gpuE2ELNS1_3repE0EEENS1_30default_config_static_selectorELNS0_4arch9wavefront6targetE0EEEvSK_.has_recursion, 0
	.set _ZN7rocprim17ROCPRIM_400000_NS6detail17trampoline_kernelINS0_14default_configENS1_37merge_sort_block_sort_config_selectorIjNS0_10empty_typeEEEZNS1_21merge_sort_block_sortIS3_N6thrust23THRUST_200600_302600_NS6detail15normal_iteratorINS9_10device_ptrIjEEEESE_PS5_SF_9comp_mod3IjEEE10hipError_tT0_T1_T2_T3_mRjT4_P12ihipStream_tbNS1_7vsmem_tEEUlT_E_NS1_11comp_targetILNS1_3genE8ELNS1_11target_archE1030ELNS1_3gpuE2ELNS1_3repE0EEENS1_30default_config_static_selectorELNS0_4arch9wavefront6targetE0EEEvSK_.has_indirect_call, 0
	.section	.AMDGPU.csdata,"",@progbits
; Kernel info:
; codeLenInByte = 37924
; TotalNumSgprs: 26
; NumVgprs: 56
; ScratchSize: 0
; MemoryBound: 0
; FloatMode: 240
; IeeeMode: 1
; LDSByteSize: 8448 bytes/workgroup (compile time only)
; SGPRBlocks: 0
; VGPRBlocks: 6
; NumSGPRsForWavesPerEU: 26
; NumVGPRsForWavesPerEU: 56
; Occupancy: 16
; WaveLimiterHint : 1
; COMPUTE_PGM_RSRC2:SCRATCH_EN: 0
; COMPUTE_PGM_RSRC2:USER_SGPR: 6
; COMPUTE_PGM_RSRC2:TRAP_HANDLER: 0
; COMPUTE_PGM_RSRC2:TGID_X_EN: 1
; COMPUTE_PGM_RSRC2:TGID_Y_EN: 1
; COMPUTE_PGM_RSRC2:TGID_Z_EN: 1
; COMPUTE_PGM_RSRC2:TIDIG_COMP_CNT: 2
	.section	.text._ZN7rocprim17ROCPRIM_400000_NS6detail17trampoline_kernelINS0_14default_configENS1_38merge_sort_block_merge_config_selectorIjNS0_10empty_typeEEEZZNS1_27merge_sort_block_merge_implIS3_N6thrust23THRUST_200600_302600_NS6detail15normal_iteratorINS9_10device_ptrIjEEEEPS5_m9comp_mod3IjEEE10hipError_tT0_T1_T2_jT3_P12ihipStream_tbPNSt15iterator_traitsISJ_E10value_typeEPNSP_ISK_E10value_typeEPSL_NS1_7vsmem_tEENKUlT_SJ_SK_SL_E_clIPjSE_SF_SF_EESI_SY_SJ_SK_SL_EUlSY_E_NS1_11comp_targetILNS1_3genE0ELNS1_11target_archE4294967295ELNS1_3gpuE0ELNS1_3repE0EEENS1_48merge_mergepath_partition_config_static_selectorELNS0_4arch9wavefront6targetE0EEEvSK_,"axG",@progbits,_ZN7rocprim17ROCPRIM_400000_NS6detail17trampoline_kernelINS0_14default_configENS1_38merge_sort_block_merge_config_selectorIjNS0_10empty_typeEEEZZNS1_27merge_sort_block_merge_implIS3_N6thrust23THRUST_200600_302600_NS6detail15normal_iteratorINS9_10device_ptrIjEEEEPS5_m9comp_mod3IjEEE10hipError_tT0_T1_T2_jT3_P12ihipStream_tbPNSt15iterator_traitsISJ_E10value_typeEPNSP_ISK_E10value_typeEPSL_NS1_7vsmem_tEENKUlT_SJ_SK_SL_E_clIPjSE_SF_SF_EESI_SY_SJ_SK_SL_EUlSY_E_NS1_11comp_targetILNS1_3genE0ELNS1_11target_archE4294967295ELNS1_3gpuE0ELNS1_3repE0EEENS1_48merge_mergepath_partition_config_static_selectorELNS0_4arch9wavefront6targetE0EEEvSK_,comdat
	.protected	_ZN7rocprim17ROCPRIM_400000_NS6detail17trampoline_kernelINS0_14default_configENS1_38merge_sort_block_merge_config_selectorIjNS0_10empty_typeEEEZZNS1_27merge_sort_block_merge_implIS3_N6thrust23THRUST_200600_302600_NS6detail15normal_iteratorINS9_10device_ptrIjEEEEPS5_m9comp_mod3IjEEE10hipError_tT0_T1_T2_jT3_P12ihipStream_tbPNSt15iterator_traitsISJ_E10value_typeEPNSP_ISK_E10value_typeEPSL_NS1_7vsmem_tEENKUlT_SJ_SK_SL_E_clIPjSE_SF_SF_EESI_SY_SJ_SK_SL_EUlSY_E_NS1_11comp_targetILNS1_3genE0ELNS1_11target_archE4294967295ELNS1_3gpuE0ELNS1_3repE0EEENS1_48merge_mergepath_partition_config_static_selectorELNS0_4arch9wavefront6targetE0EEEvSK_ ; -- Begin function _ZN7rocprim17ROCPRIM_400000_NS6detail17trampoline_kernelINS0_14default_configENS1_38merge_sort_block_merge_config_selectorIjNS0_10empty_typeEEEZZNS1_27merge_sort_block_merge_implIS3_N6thrust23THRUST_200600_302600_NS6detail15normal_iteratorINS9_10device_ptrIjEEEEPS5_m9comp_mod3IjEEE10hipError_tT0_T1_T2_jT3_P12ihipStream_tbPNSt15iterator_traitsISJ_E10value_typeEPNSP_ISK_E10value_typeEPSL_NS1_7vsmem_tEENKUlT_SJ_SK_SL_E_clIPjSE_SF_SF_EESI_SY_SJ_SK_SL_EUlSY_E_NS1_11comp_targetILNS1_3genE0ELNS1_11target_archE4294967295ELNS1_3gpuE0ELNS1_3repE0EEENS1_48merge_mergepath_partition_config_static_selectorELNS0_4arch9wavefront6targetE0EEEvSK_
	.globl	_ZN7rocprim17ROCPRIM_400000_NS6detail17trampoline_kernelINS0_14default_configENS1_38merge_sort_block_merge_config_selectorIjNS0_10empty_typeEEEZZNS1_27merge_sort_block_merge_implIS3_N6thrust23THRUST_200600_302600_NS6detail15normal_iteratorINS9_10device_ptrIjEEEEPS5_m9comp_mod3IjEEE10hipError_tT0_T1_T2_jT3_P12ihipStream_tbPNSt15iterator_traitsISJ_E10value_typeEPNSP_ISK_E10value_typeEPSL_NS1_7vsmem_tEENKUlT_SJ_SK_SL_E_clIPjSE_SF_SF_EESI_SY_SJ_SK_SL_EUlSY_E_NS1_11comp_targetILNS1_3genE0ELNS1_11target_archE4294967295ELNS1_3gpuE0ELNS1_3repE0EEENS1_48merge_mergepath_partition_config_static_selectorELNS0_4arch9wavefront6targetE0EEEvSK_
	.p2align	8
	.type	_ZN7rocprim17ROCPRIM_400000_NS6detail17trampoline_kernelINS0_14default_configENS1_38merge_sort_block_merge_config_selectorIjNS0_10empty_typeEEEZZNS1_27merge_sort_block_merge_implIS3_N6thrust23THRUST_200600_302600_NS6detail15normal_iteratorINS9_10device_ptrIjEEEEPS5_m9comp_mod3IjEEE10hipError_tT0_T1_T2_jT3_P12ihipStream_tbPNSt15iterator_traitsISJ_E10value_typeEPNSP_ISK_E10value_typeEPSL_NS1_7vsmem_tEENKUlT_SJ_SK_SL_E_clIPjSE_SF_SF_EESI_SY_SJ_SK_SL_EUlSY_E_NS1_11comp_targetILNS1_3genE0ELNS1_11target_archE4294967295ELNS1_3gpuE0ELNS1_3repE0EEENS1_48merge_mergepath_partition_config_static_selectorELNS0_4arch9wavefront6targetE0EEEvSK_,@function
_ZN7rocprim17ROCPRIM_400000_NS6detail17trampoline_kernelINS0_14default_configENS1_38merge_sort_block_merge_config_selectorIjNS0_10empty_typeEEEZZNS1_27merge_sort_block_merge_implIS3_N6thrust23THRUST_200600_302600_NS6detail15normal_iteratorINS9_10device_ptrIjEEEEPS5_m9comp_mod3IjEEE10hipError_tT0_T1_T2_jT3_P12ihipStream_tbPNSt15iterator_traitsISJ_E10value_typeEPNSP_ISK_E10value_typeEPSL_NS1_7vsmem_tEENKUlT_SJ_SK_SL_E_clIPjSE_SF_SF_EESI_SY_SJ_SK_SL_EUlSY_E_NS1_11comp_targetILNS1_3genE0ELNS1_11target_archE4294967295ELNS1_3gpuE0ELNS1_3repE0EEENS1_48merge_mergepath_partition_config_static_selectorELNS0_4arch9wavefront6targetE0EEEvSK_: ; @_ZN7rocprim17ROCPRIM_400000_NS6detail17trampoline_kernelINS0_14default_configENS1_38merge_sort_block_merge_config_selectorIjNS0_10empty_typeEEEZZNS1_27merge_sort_block_merge_implIS3_N6thrust23THRUST_200600_302600_NS6detail15normal_iteratorINS9_10device_ptrIjEEEEPS5_m9comp_mod3IjEEE10hipError_tT0_T1_T2_jT3_P12ihipStream_tbPNSt15iterator_traitsISJ_E10value_typeEPNSP_ISK_E10value_typeEPSL_NS1_7vsmem_tEENKUlT_SJ_SK_SL_E_clIPjSE_SF_SF_EESI_SY_SJ_SK_SL_EUlSY_E_NS1_11comp_targetILNS1_3genE0ELNS1_11target_archE4294967295ELNS1_3gpuE0ELNS1_3repE0EEENS1_48merge_mergepath_partition_config_static_selectorELNS0_4arch9wavefront6targetE0EEEvSK_
; %bb.0:
	.section	.rodata,"a",@progbits
	.p2align	6, 0x0
	.amdhsa_kernel _ZN7rocprim17ROCPRIM_400000_NS6detail17trampoline_kernelINS0_14default_configENS1_38merge_sort_block_merge_config_selectorIjNS0_10empty_typeEEEZZNS1_27merge_sort_block_merge_implIS3_N6thrust23THRUST_200600_302600_NS6detail15normal_iteratorINS9_10device_ptrIjEEEEPS5_m9comp_mod3IjEEE10hipError_tT0_T1_T2_jT3_P12ihipStream_tbPNSt15iterator_traitsISJ_E10value_typeEPNSP_ISK_E10value_typeEPSL_NS1_7vsmem_tEENKUlT_SJ_SK_SL_E_clIPjSE_SF_SF_EESI_SY_SJ_SK_SL_EUlSY_E_NS1_11comp_targetILNS1_3genE0ELNS1_11target_archE4294967295ELNS1_3gpuE0ELNS1_3repE0EEENS1_48merge_mergepath_partition_config_static_selectorELNS0_4arch9wavefront6targetE0EEEvSK_
		.amdhsa_group_segment_fixed_size 0
		.amdhsa_private_segment_fixed_size 0
		.amdhsa_kernarg_size 48
		.amdhsa_user_sgpr_count 6
		.amdhsa_user_sgpr_private_segment_buffer 1
		.amdhsa_user_sgpr_dispatch_ptr 0
		.amdhsa_user_sgpr_queue_ptr 0
		.amdhsa_user_sgpr_kernarg_segment_ptr 1
		.amdhsa_user_sgpr_dispatch_id 0
		.amdhsa_user_sgpr_flat_scratch_init 0
		.amdhsa_user_sgpr_private_segment_size 0
		.amdhsa_wavefront_size32 1
		.amdhsa_uses_dynamic_stack 0
		.amdhsa_system_sgpr_private_segment_wavefront_offset 0
		.amdhsa_system_sgpr_workgroup_id_x 1
		.amdhsa_system_sgpr_workgroup_id_y 0
		.amdhsa_system_sgpr_workgroup_id_z 0
		.amdhsa_system_sgpr_workgroup_info 0
		.amdhsa_system_vgpr_workitem_id 0
		.amdhsa_next_free_vgpr 1
		.amdhsa_next_free_sgpr 1
		.amdhsa_reserve_vcc 0
		.amdhsa_reserve_flat_scratch 0
		.amdhsa_float_round_mode_32 0
		.amdhsa_float_round_mode_16_64 0
		.amdhsa_float_denorm_mode_32 3
		.amdhsa_float_denorm_mode_16_64 3
		.amdhsa_dx10_clamp 1
		.amdhsa_ieee_mode 1
		.amdhsa_fp16_overflow 0
		.amdhsa_workgroup_processor_mode 1
		.amdhsa_memory_ordered 1
		.amdhsa_forward_progress 1
		.amdhsa_shared_vgpr_count 0
		.amdhsa_exception_fp_ieee_invalid_op 0
		.amdhsa_exception_fp_denorm_src 0
		.amdhsa_exception_fp_ieee_div_zero 0
		.amdhsa_exception_fp_ieee_overflow 0
		.amdhsa_exception_fp_ieee_underflow 0
		.amdhsa_exception_fp_ieee_inexact 0
		.amdhsa_exception_int_div_zero 0
	.end_amdhsa_kernel
	.section	.text._ZN7rocprim17ROCPRIM_400000_NS6detail17trampoline_kernelINS0_14default_configENS1_38merge_sort_block_merge_config_selectorIjNS0_10empty_typeEEEZZNS1_27merge_sort_block_merge_implIS3_N6thrust23THRUST_200600_302600_NS6detail15normal_iteratorINS9_10device_ptrIjEEEEPS5_m9comp_mod3IjEEE10hipError_tT0_T1_T2_jT3_P12ihipStream_tbPNSt15iterator_traitsISJ_E10value_typeEPNSP_ISK_E10value_typeEPSL_NS1_7vsmem_tEENKUlT_SJ_SK_SL_E_clIPjSE_SF_SF_EESI_SY_SJ_SK_SL_EUlSY_E_NS1_11comp_targetILNS1_3genE0ELNS1_11target_archE4294967295ELNS1_3gpuE0ELNS1_3repE0EEENS1_48merge_mergepath_partition_config_static_selectorELNS0_4arch9wavefront6targetE0EEEvSK_,"axG",@progbits,_ZN7rocprim17ROCPRIM_400000_NS6detail17trampoline_kernelINS0_14default_configENS1_38merge_sort_block_merge_config_selectorIjNS0_10empty_typeEEEZZNS1_27merge_sort_block_merge_implIS3_N6thrust23THRUST_200600_302600_NS6detail15normal_iteratorINS9_10device_ptrIjEEEEPS5_m9comp_mod3IjEEE10hipError_tT0_T1_T2_jT3_P12ihipStream_tbPNSt15iterator_traitsISJ_E10value_typeEPNSP_ISK_E10value_typeEPSL_NS1_7vsmem_tEENKUlT_SJ_SK_SL_E_clIPjSE_SF_SF_EESI_SY_SJ_SK_SL_EUlSY_E_NS1_11comp_targetILNS1_3genE0ELNS1_11target_archE4294967295ELNS1_3gpuE0ELNS1_3repE0EEENS1_48merge_mergepath_partition_config_static_selectorELNS0_4arch9wavefront6targetE0EEEvSK_,comdat
.Lfunc_end816:
	.size	_ZN7rocprim17ROCPRIM_400000_NS6detail17trampoline_kernelINS0_14default_configENS1_38merge_sort_block_merge_config_selectorIjNS0_10empty_typeEEEZZNS1_27merge_sort_block_merge_implIS3_N6thrust23THRUST_200600_302600_NS6detail15normal_iteratorINS9_10device_ptrIjEEEEPS5_m9comp_mod3IjEEE10hipError_tT0_T1_T2_jT3_P12ihipStream_tbPNSt15iterator_traitsISJ_E10value_typeEPNSP_ISK_E10value_typeEPSL_NS1_7vsmem_tEENKUlT_SJ_SK_SL_E_clIPjSE_SF_SF_EESI_SY_SJ_SK_SL_EUlSY_E_NS1_11comp_targetILNS1_3genE0ELNS1_11target_archE4294967295ELNS1_3gpuE0ELNS1_3repE0EEENS1_48merge_mergepath_partition_config_static_selectorELNS0_4arch9wavefront6targetE0EEEvSK_, .Lfunc_end816-_ZN7rocprim17ROCPRIM_400000_NS6detail17trampoline_kernelINS0_14default_configENS1_38merge_sort_block_merge_config_selectorIjNS0_10empty_typeEEEZZNS1_27merge_sort_block_merge_implIS3_N6thrust23THRUST_200600_302600_NS6detail15normal_iteratorINS9_10device_ptrIjEEEEPS5_m9comp_mod3IjEEE10hipError_tT0_T1_T2_jT3_P12ihipStream_tbPNSt15iterator_traitsISJ_E10value_typeEPNSP_ISK_E10value_typeEPSL_NS1_7vsmem_tEENKUlT_SJ_SK_SL_E_clIPjSE_SF_SF_EESI_SY_SJ_SK_SL_EUlSY_E_NS1_11comp_targetILNS1_3genE0ELNS1_11target_archE4294967295ELNS1_3gpuE0ELNS1_3repE0EEENS1_48merge_mergepath_partition_config_static_selectorELNS0_4arch9wavefront6targetE0EEEvSK_
                                        ; -- End function
	.set _ZN7rocprim17ROCPRIM_400000_NS6detail17trampoline_kernelINS0_14default_configENS1_38merge_sort_block_merge_config_selectorIjNS0_10empty_typeEEEZZNS1_27merge_sort_block_merge_implIS3_N6thrust23THRUST_200600_302600_NS6detail15normal_iteratorINS9_10device_ptrIjEEEEPS5_m9comp_mod3IjEEE10hipError_tT0_T1_T2_jT3_P12ihipStream_tbPNSt15iterator_traitsISJ_E10value_typeEPNSP_ISK_E10value_typeEPSL_NS1_7vsmem_tEENKUlT_SJ_SK_SL_E_clIPjSE_SF_SF_EESI_SY_SJ_SK_SL_EUlSY_E_NS1_11comp_targetILNS1_3genE0ELNS1_11target_archE4294967295ELNS1_3gpuE0ELNS1_3repE0EEENS1_48merge_mergepath_partition_config_static_selectorELNS0_4arch9wavefront6targetE0EEEvSK_.num_vgpr, 0
	.set _ZN7rocprim17ROCPRIM_400000_NS6detail17trampoline_kernelINS0_14default_configENS1_38merge_sort_block_merge_config_selectorIjNS0_10empty_typeEEEZZNS1_27merge_sort_block_merge_implIS3_N6thrust23THRUST_200600_302600_NS6detail15normal_iteratorINS9_10device_ptrIjEEEEPS5_m9comp_mod3IjEEE10hipError_tT0_T1_T2_jT3_P12ihipStream_tbPNSt15iterator_traitsISJ_E10value_typeEPNSP_ISK_E10value_typeEPSL_NS1_7vsmem_tEENKUlT_SJ_SK_SL_E_clIPjSE_SF_SF_EESI_SY_SJ_SK_SL_EUlSY_E_NS1_11comp_targetILNS1_3genE0ELNS1_11target_archE4294967295ELNS1_3gpuE0ELNS1_3repE0EEENS1_48merge_mergepath_partition_config_static_selectorELNS0_4arch9wavefront6targetE0EEEvSK_.num_agpr, 0
	.set _ZN7rocprim17ROCPRIM_400000_NS6detail17trampoline_kernelINS0_14default_configENS1_38merge_sort_block_merge_config_selectorIjNS0_10empty_typeEEEZZNS1_27merge_sort_block_merge_implIS3_N6thrust23THRUST_200600_302600_NS6detail15normal_iteratorINS9_10device_ptrIjEEEEPS5_m9comp_mod3IjEEE10hipError_tT0_T1_T2_jT3_P12ihipStream_tbPNSt15iterator_traitsISJ_E10value_typeEPNSP_ISK_E10value_typeEPSL_NS1_7vsmem_tEENKUlT_SJ_SK_SL_E_clIPjSE_SF_SF_EESI_SY_SJ_SK_SL_EUlSY_E_NS1_11comp_targetILNS1_3genE0ELNS1_11target_archE4294967295ELNS1_3gpuE0ELNS1_3repE0EEENS1_48merge_mergepath_partition_config_static_selectorELNS0_4arch9wavefront6targetE0EEEvSK_.numbered_sgpr, 0
	.set _ZN7rocprim17ROCPRIM_400000_NS6detail17trampoline_kernelINS0_14default_configENS1_38merge_sort_block_merge_config_selectorIjNS0_10empty_typeEEEZZNS1_27merge_sort_block_merge_implIS3_N6thrust23THRUST_200600_302600_NS6detail15normal_iteratorINS9_10device_ptrIjEEEEPS5_m9comp_mod3IjEEE10hipError_tT0_T1_T2_jT3_P12ihipStream_tbPNSt15iterator_traitsISJ_E10value_typeEPNSP_ISK_E10value_typeEPSL_NS1_7vsmem_tEENKUlT_SJ_SK_SL_E_clIPjSE_SF_SF_EESI_SY_SJ_SK_SL_EUlSY_E_NS1_11comp_targetILNS1_3genE0ELNS1_11target_archE4294967295ELNS1_3gpuE0ELNS1_3repE0EEENS1_48merge_mergepath_partition_config_static_selectorELNS0_4arch9wavefront6targetE0EEEvSK_.num_named_barrier, 0
	.set _ZN7rocprim17ROCPRIM_400000_NS6detail17trampoline_kernelINS0_14default_configENS1_38merge_sort_block_merge_config_selectorIjNS0_10empty_typeEEEZZNS1_27merge_sort_block_merge_implIS3_N6thrust23THRUST_200600_302600_NS6detail15normal_iteratorINS9_10device_ptrIjEEEEPS5_m9comp_mod3IjEEE10hipError_tT0_T1_T2_jT3_P12ihipStream_tbPNSt15iterator_traitsISJ_E10value_typeEPNSP_ISK_E10value_typeEPSL_NS1_7vsmem_tEENKUlT_SJ_SK_SL_E_clIPjSE_SF_SF_EESI_SY_SJ_SK_SL_EUlSY_E_NS1_11comp_targetILNS1_3genE0ELNS1_11target_archE4294967295ELNS1_3gpuE0ELNS1_3repE0EEENS1_48merge_mergepath_partition_config_static_selectorELNS0_4arch9wavefront6targetE0EEEvSK_.private_seg_size, 0
	.set _ZN7rocprim17ROCPRIM_400000_NS6detail17trampoline_kernelINS0_14default_configENS1_38merge_sort_block_merge_config_selectorIjNS0_10empty_typeEEEZZNS1_27merge_sort_block_merge_implIS3_N6thrust23THRUST_200600_302600_NS6detail15normal_iteratorINS9_10device_ptrIjEEEEPS5_m9comp_mod3IjEEE10hipError_tT0_T1_T2_jT3_P12ihipStream_tbPNSt15iterator_traitsISJ_E10value_typeEPNSP_ISK_E10value_typeEPSL_NS1_7vsmem_tEENKUlT_SJ_SK_SL_E_clIPjSE_SF_SF_EESI_SY_SJ_SK_SL_EUlSY_E_NS1_11comp_targetILNS1_3genE0ELNS1_11target_archE4294967295ELNS1_3gpuE0ELNS1_3repE0EEENS1_48merge_mergepath_partition_config_static_selectorELNS0_4arch9wavefront6targetE0EEEvSK_.uses_vcc, 0
	.set _ZN7rocprim17ROCPRIM_400000_NS6detail17trampoline_kernelINS0_14default_configENS1_38merge_sort_block_merge_config_selectorIjNS0_10empty_typeEEEZZNS1_27merge_sort_block_merge_implIS3_N6thrust23THRUST_200600_302600_NS6detail15normal_iteratorINS9_10device_ptrIjEEEEPS5_m9comp_mod3IjEEE10hipError_tT0_T1_T2_jT3_P12ihipStream_tbPNSt15iterator_traitsISJ_E10value_typeEPNSP_ISK_E10value_typeEPSL_NS1_7vsmem_tEENKUlT_SJ_SK_SL_E_clIPjSE_SF_SF_EESI_SY_SJ_SK_SL_EUlSY_E_NS1_11comp_targetILNS1_3genE0ELNS1_11target_archE4294967295ELNS1_3gpuE0ELNS1_3repE0EEENS1_48merge_mergepath_partition_config_static_selectorELNS0_4arch9wavefront6targetE0EEEvSK_.uses_flat_scratch, 0
	.set _ZN7rocprim17ROCPRIM_400000_NS6detail17trampoline_kernelINS0_14default_configENS1_38merge_sort_block_merge_config_selectorIjNS0_10empty_typeEEEZZNS1_27merge_sort_block_merge_implIS3_N6thrust23THRUST_200600_302600_NS6detail15normal_iteratorINS9_10device_ptrIjEEEEPS5_m9comp_mod3IjEEE10hipError_tT0_T1_T2_jT3_P12ihipStream_tbPNSt15iterator_traitsISJ_E10value_typeEPNSP_ISK_E10value_typeEPSL_NS1_7vsmem_tEENKUlT_SJ_SK_SL_E_clIPjSE_SF_SF_EESI_SY_SJ_SK_SL_EUlSY_E_NS1_11comp_targetILNS1_3genE0ELNS1_11target_archE4294967295ELNS1_3gpuE0ELNS1_3repE0EEENS1_48merge_mergepath_partition_config_static_selectorELNS0_4arch9wavefront6targetE0EEEvSK_.has_dyn_sized_stack, 0
	.set _ZN7rocprim17ROCPRIM_400000_NS6detail17trampoline_kernelINS0_14default_configENS1_38merge_sort_block_merge_config_selectorIjNS0_10empty_typeEEEZZNS1_27merge_sort_block_merge_implIS3_N6thrust23THRUST_200600_302600_NS6detail15normal_iteratorINS9_10device_ptrIjEEEEPS5_m9comp_mod3IjEEE10hipError_tT0_T1_T2_jT3_P12ihipStream_tbPNSt15iterator_traitsISJ_E10value_typeEPNSP_ISK_E10value_typeEPSL_NS1_7vsmem_tEENKUlT_SJ_SK_SL_E_clIPjSE_SF_SF_EESI_SY_SJ_SK_SL_EUlSY_E_NS1_11comp_targetILNS1_3genE0ELNS1_11target_archE4294967295ELNS1_3gpuE0ELNS1_3repE0EEENS1_48merge_mergepath_partition_config_static_selectorELNS0_4arch9wavefront6targetE0EEEvSK_.has_recursion, 0
	.set _ZN7rocprim17ROCPRIM_400000_NS6detail17trampoline_kernelINS0_14default_configENS1_38merge_sort_block_merge_config_selectorIjNS0_10empty_typeEEEZZNS1_27merge_sort_block_merge_implIS3_N6thrust23THRUST_200600_302600_NS6detail15normal_iteratorINS9_10device_ptrIjEEEEPS5_m9comp_mod3IjEEE10hipError_tT0_T1_T2_jT3_P12ihipStream_tbPNSt15iterator_traitsISJ_E10value_typeEPNSP_ISK_E10value_typeEPSL_NS1_7vsmem_tEENKUlT_SJ_SK_SL_E_clIPjSE_SF_SF_EESI_SY_SJ_SK_SL_EUlSY_E_NS1_11comp_targetILNS1_3genE0ELNS1_11target_archE4294967295ELNS1_3gpuE0ELNS1_3repE0EEENS1_48merge_mergepath_partition_config_static_selectorELNS0_4arch9wavefront6targetE0EEEvSK_.has_indirect_call, 0
	.section	.AMDGPU.csdata,"",@progbits
; Kernel info:
; codeLenInByte = 0
; TotalNumSgprs: 0
; NumVgprs: 0
; ScratchSize: 0
; MemoryBound: 0
; FloatMode: 240
; IeeeMode: 1
; LDSByteSize: 0 bytes/workgroup (compile time only)
; SGPRBlocks: 0
; VGPRBlocks: 0
; NumSGPRsForWavesPerEU: 1
; NumVGPRsForWavesPerEU: 1
; Occupancy: 16
; WaveLimiterHint : 0
; COMPUTE_PGM_RSRC2:SCRATCH_EN: 0
; COMPUTE_PGM_RSRC2:USER_SGPR: 6
; COMPUTE_PGM_RSRC2:TRAP_HANDLER: 0
; COMPUTE_PGM_RSRC2:TGID_X_EN: 1
; COMPUTE_PGM_RSRC2:TGID_Y_EN: 0
; COMPUTE_PGM_RSRC2:TGID_Z_EN: 0
; COMPUTE_PGM_RSRC2:TIDIG_COMP_CNT: 0
	.section	.text._ZN7rocprim17ROCPRIM_400000_NS6detail17trampoline_kernelINS0_14default_configENS1_38merge_sort_block_merge_config_selectorIjNS0_10empty_typeEEEZZNS1_27merge_sort_block_merge_implIS3_N6thrust23THRUST_200600_302600_NS6detail15normal_iteratorINS9_10device_ptrIjEEEEPS5_m9comp_mod3IjEEE10hipError_tT0_T1_T2_jT3_P12ihipStream_tbPNSt15iterator_traitsISJ_E10value_typeEPNSP_ISK_E10value_typeEPSL_NS1_7vsmem_tEENKUlT_SJ_SK_SL_E_clIPjSE_SF_SF_EESI_SY_SJ_SK_SL_EUlSY_E_NS1_11comp_targetILNS1_3genE10ELNS1_11target_archE1201ELNS1_3gpuE5ELNS1_3repE0EEENS1_48merge_mergepath_partition_config_static_selectorELNS0_4arch9wavefront6targetE0EEEvSK_,"axG",@progbits,_ZN7rocprim17ROCPRIM_400000_NS6detail17trampoline_kernelINS0_14default_configENS1_38merge_sort_block_merge_config_selectorIjNS0_10empty_typeEEEZZNS1_27merge_sort_block_merge_implIS3_N6thrust23THRUST_200600_302600_NS6detail15normal_iteratorINS9_10device_ptrIjEEEEPS5_m9comp_mod3IjEEE10hipError_tT0_T1_T2_jT3_P12ihipStream_tbPNSt15iterator_traitsISJ_E10value_typeEPNSP_ISK_E10value_typeEPSL_NS1_7vsmem_tEENKUlT_SJ_SK_SL_E_clIPjSE_SF_SF_EESI_SY_SJ_SK_SL_EUlSY_E_NS1_11comp_targetILNS1_3genE10ELNS1_11target_archE1201ELNS1_3gpuE5ELNS1_3repE0EEENS1_48merge_mergepath_partition_config_static_selectorELNS0_4arch9wavefront6targetE0EEEvSK_,comdat
	.protected	_ZN7rocprim17ROCPRIM_400000_NS6detail17trampoline_kernelINS0_14default_configENS1_38merge_sort_block_merge_config_selectorIjNS0_10empty_typeEEEZZNS1_27merge_sort_block_merge_implIS3_N6thrust23THRUST_200600_302600_NS6detail15normal_iteratorINS9_10device_ptrIjEEEEPS5_m9comp_mod3IjEEE10hipError_tT0_T1_T2_jT3_P12ihipStream_tbPNSt15iterator_traitsISJ_E10value_typeEPNSP_ISK_E10value_typeEPSL_NS1_7vsmem_tEENKUlT_SJ_SK_SL_E_clIPjSE_SF_SF_EESI_SY_SJ_SK_SL_EUlSY_E_NS1_11comp_targetILNS1_3genE10ELNS1_11target_archE1201ELNS1_3gpuE5ELNS1_3repE0EEENS1_48merge_mergepath_partition_config_static_selectorELNS0_4arch9wavefront6targetE0EEEvSK_ ; -- Begin function _ZN7rocprim17ROCPRIM_400000_NS6detail17trampoline_kernelINS0_14default_configENS1_38merge_sort_block_merge_config_selectorIjNS0_10empty_typeEEEZZNS1_27merge_sort_block_merge_implIS3_N6thrust23THRUST_200600_302600_NS6detail15normal_iteratorINS9_10device_ptrIjEEEEPS5_m9comp_mod3IjEEE10hipError_tT0_T1_T2_jT3_P12ihipStream_tbPNSt15iterator_traitsISJ_E10value_typeEPNSP_ISK_E10value_typeEPSL_NS1_7vsmem_tEENKUlT_SJ_SK_SL_E_clIPjSE_SF_SF_EESI_SY_SJ_SK_SL_EUlSY_E_NS1_11comp_targetILNS1_3genE10ELNS1_11target_archE1201ELNS1_3gpuE5ELNS1_3repE0EEENS1_48merge_mergepath_partition_config_static_selectorELNS0_4arch9wavefront6targetE0EEEvSK_
	.globl	_ZN7rocprim17ROCPRIM_400000_NS6detail17trampoline_kernelINS0_14default_configENS1_38merge_sort_block_merge_config_selectorIjNS0_10empty_typeEEEZZNS1_27merge_sort_block_merge_implIS3_N6thrust23THRUST_200600_302600_NS6detail15normal_iteratorINS9_10device_ptrIjEEEEPS5_m9comp_mod3IjEEE10hipError_tT0_T1_T2_jT3_P12ihipStream_tbPNSt15iterator_traitsISJ_E10value_typeEPNSP_ISK_E10value_typeEPSL_NS1_7vsmem_tEENKUlT_SJ_SK_SL_E_clIPjSE_SF_SF_EESI_SY_SJ_SK_SL_EUlSY_E_NS1_11comp_targetILNS1_3genE10ELNS1_11target_archE1201ELNS1_3gpuE5ELNS1_3repE0EEENS1_48merge_mergepath_partition_config_static_selectorELNS0_4arch9wavefront6targetE0EEEvSK_
	.p2align	8
	.type	_ZN7rocprim17ROCPRIM_400000_NS6detail17trampoline_kernelINS0_14default_configENS1_38merge_sort_block_merge_config_selectorIjNS0_10empty_typeEEEZZNS1_27merge_sort_block_merge_implIS3_N6thrust23THRUST_200600_302600_NS6detail15normal_iteratorINS9_10device_ptrIjEEEEPS5_m9comp_mod3IjEEE10hipError_tT0_T1_T2_jT3_P12ihipStream_tbPNSt15iterator_traitsISJ_E10value_typeEPNSP_ISK_E10value_typeEPSL_NS1_7vsmem_tEENKUlT_SJ_SK_SL_E_clIPjSE_SF_SF_EESI_SY_SJ_SK_SL_EUlSY_E_NS1_11comp_targetILNS1_3genE10ELNS1_11target_archE1201ELNS1_3gpuE5ELNS1_3repE0EEENS1_48merge_mergepath_partition_config_static_selectorELNS0_4arch9wavefront6targetE0EEEvSK_,@function
_ZN7rocprim17ROCPRIM_400000_NS6detail17trampoline_kernelINS0_14default_configENS1_38merge_sort_block_merge_config_selectorIjNS0_10empty_typeEEEZZNS1_27merge_sort_block_merge_implIS3_N6thrust23THRUST_200600_302600_NS6detail15normal_iteratorINS9_10device_ptrIjEEEEPS5_m9comp_mod3IjEEE10hipError_tT0_T1_T2_jT3_P12ihipStream_tbPNSt15iterator_traitsISJ_E10value_typeEPNSP_ISK_E10value_typeEPSL_NS1_7vsmem_tEENKUlT_SJ_SK_SL_E_clIPjSE_SF_SF_EESI_SY_SJ_SK_SL_EUlSY_E_NS1_11comp_targetILNS1_3genE10ELNS1_11target_archE1201ELNS1_3gpuE5ELNS1_3repE0EEENS1_48merge_mergepath_partition_config_static_selectorELNS0_4arch9wavefront6targetE0EEEvSK_: ; @_ZN7rocprim17ROCPRIM_400000_NS6detail17trampoline_kernelINS0_14default_configENS1_38merge_sort_block_merge_config_selectorIjNS0_10empty_typeEEEZZNS1_27merge_sort_block_merge_implIS3_N6thrust23THRUST_200600_302600_NS6detail15normal_iteratorINS9_10device_ptrIjEEEEPS5_m9comp_mod3IjEEE10hipError_tT0_T1_T2_jT3_P12ihipStream_tbPNSt15iterator_traitsISJ_E10value_typeEPNSP_ISK_E10value_typeEPSL_NS1_7vsmem_tEENKUlT_SJ_SK_SL_E_clIPjSE_SF_SF_EESI_SY_SJ_SK_SL_EUlSY_E_NS1_11comp_targetILNS1_3genE10ELNS1_11target_archE1201ELNS1_3gpuE5ELNS1_3repE0EEENS1_48merge_mergepath_partition_config_static_selectorELNS0_4arch9wavefront6targetE0EEEvSK_
; %bb.0:
	.section	.rodata,"a",@progbits
	.p2align	6, 0x0
	.amdhsa_kernel _ZN7rocprim17ROCPRIM_400000_NS6detail17trampoline_kernelINS0_14default_configENS1_38merge_sort_block_merge_config_selectorIjNS0_10empty_typeEEEZZNS1_27merge_sort_block_merge_implIS3_N6thrust23THRUST_200600_302600_NS6detail15normal_iteratorINS9_10device_ptrIjEEEEPS5_m9comp_mod3IjEEE10hipError_tT0_T1_T2_jT3_P12ihipStream_tbPNSt15iterator_traitsISJ_E10value_typeEPNSP_ISK_E10value_typeEPSL_NS1_7vsmem_tEENKUlT_SJ_SK_SL_E_clIPjSE_SF_SF_EESI_SY_SJ_SK_SL_EUlSY_E_NS1_11comp_targetILNS1_3genE10ELNS1_11target_archE1201ELNS1_3gpuE5ELNS1_3repE0EEENS1_48merge_mergepath_partition_config_static_selectorELNS0_4arch9wavefront6targetE0EEEvSK_
		.amdhsa_group_segment_fixed_size 0
		.amdhsa_private_segment_fixed_size 0
		.amdhsa_kernarg_size 48
		.amdhsa_user_sgpr_count 6
		.amdhsa_user_sgpr_private_segment_buffer 1
		.amdhsa_user_sgpr_dispatch_ptr 0
		.amdhsa_user_sgpr_queue_ptr 0
		.amdhsa_user_sgpr_kernarg_segment_ptr 1
		.amdhsa_user_sgpr_dispatch_id 0
		.amdhsa_user_sgpr_flat_scratch_init 0
		.amdhsa_user_sgpr_private_segment_size 0
		.amdhsa_wavefront_size32 1
		.amdhsa_uses_dynamic_stack 0
		.amdhsa_system_sgpr_private_segment_wavefront_offset 0
		.amdhsa_system_sgpr_workgroup_id_x 1
		.amdhsa_system_sgpr_workgroup_id_y 0
		.amdhsa_system_sgpr_workgroup_id_z 0
		.amdhsa_system_sgpr_workgroup_info 0
		.amdhsa_system_vgpr_workitem_id 0
		.amdhsa_next_free_vgpr 1
		.amdhsa_next_free_sgpr 1
		.amdhsa_reserve_vcc 0
		.amdhsa_reserve_flat_scratch 0
		.amdhsa_float_round_mode_32 0
		.amdhsa_float_round_mode_16_64 0
		.amdhsa_float_denorm_mode_32 3
		.amdhsa_float_denorm_mode_16_64 3
		.amdhsa_dx10_clamp 1
		.amdhsa_ieee_mode 1
		.amdhsa_fp16_overflow 0
		.amdhsa_workgroup_processor_mode 1
		.amdhsa_memory_ordered 1
		.amdhsa_forward_progress 1
		.amdhsa_shared_vgpr_count 0
		.amdhsa_exception_fp_ieee_invalid_op 0
		.amdhsa_exception_fp_denorm_src 0
		.amdhsa_exception_fp_ieee_div_zero 0
		.amdhsa_exception_fp_ieee_overflow 0
		.amdhsa_exception_fp_ieee_underflow 0
		.amdhsa_exception_fp_ieee_inexact 0
		.amdhsa_exception_int_div_zero 0
	.end_amdhsa_kernel
	.section	.text._ZN7rocprim17ROCPRIM_400000_NS6detail17trampoline_kernelINS0_14default_configENS1_38merge_sort_block_merge_config_selectorIjNS0_10empty_typeEEEZZNS1_27merge_sort_block_merge_implIS3_N6thrust23THRUST_200600_302600_NS6detail15normal_iteratorINS9_10device_ptrIjEEEEPS5_m9comp_mod3IjEEE10hipError_tT0_T1_T2_jT3_P12ihipStream_tbPNSt15iterator_traitsISJ_E10value_typeEPNSP_ISK_E10value_typeEPSL_NS1_7vsmem_tEENKUlT_SJ_SK_SL_E_clIPjSE_SF_SF_EESI_SY_SJ_SK_SL_EUlSY_E_NS1_11comp_targetILNS1_3genE10ELNS1_11target_archE1201ELNS1_3gpuE5ELNS1_3repE0EEENS1_48merge_mergepath_partition_config_static_selectorELNS0_4arch9wavefront6targetE0EEEvSK_,"axG",@progbits,_ZN7rocprim17ROCPRIM_400000_NS6detail17trampoline_kernelINS0_14default_configENS1_38merge_sort_block_merge_config_selectorIjNS0_10empty_typeEEEZZNS1_27merge_sort_block_merge_implIS3_N6thrust23THRUST_200600_302600_NS6detail15normal_iteratorINS9_10device_ptrIjEEEEPS5_m9comp_mod3IjEEE10hipError_tT0_T1_T2_jT3_P12ihipStream_tbPNSt15iterator_traitsISJ_E10value_typeEPNSP_ISK_E10value_typeEPSL_NS1_7vsmem_tEENKUlT_SJ_SK_SL_E_clIPjSE_SF_SF_EESI_SY_SJ_SK_SL_EUlSY_E_NS1_11comp_targetILNS1_3genE10ELNS1_11target_archE1201ELNS1_3gpuE5ELNS1_3repE0EEENS1_48merge_mergepath_partition_config_static_selectorELNS0_4arch9wavefront6targetE0EEEvSK_,comdat
.Lfunc_end817:
	.size	_ZN7rocprim17ROCPRIM_400000_NS6detail17trampoline_kernelINS0_14default_configENS1_38merge_sort_block_merge_config_selectorIjNS0_10empty_typeEEEZZNS1_27merge_sort_block_merge_implIS3_N6thrust23THRUST_200600_302600_NS6detail15normal_iteratorINS9_10device_ptrIjEEEEPS5_m9comp_mod3IjEEE10hipError_tT0_T1_T2_jT3_P12ihipStream_tbPNSt15iterator_traitsISJ_E10value_typeEPNSP_ISK_E10value_typeEPSL_NS1_7vsmem_tEENKUlT_SJ_SK_SL_E_clIPjSE_SF_SF_EESI_SY_SJ_SK_SL_EUlSY_E_NS1_11comp_targetILNS1_3genE10ELNS1_11target_archE1201ELNS1_3gpuE5ELNS1_3repE0EEENS1_48merge_mergepath_partition_config_static_selectorELNS0_4arch9wavefront6targetE0EEEvSK_, .Lfunc_end817-_ZN7rocprim17ROCPRIM_400000_NS6detail17trampoline_kernelINS0_14default_configENS1_38merge_sort_block_merge_config_selectorIjNS0_10empty_typeEEEZZNS1_27merge_sort_block_merge_implIS3_N6thrust23THRUST_200600_302600_NS6detail15normal_iteratorINS9_10device_ptrIjEEEEPS5_m9comp_mod3IjEEE10hipError_tT0_T1_T2_jT3_P12ihipStream_tbPNSt15iterator_traitsISJ_E10value_typeEPNSP_ISK_E10value_typeEPSL_NS1_7vsmem_tEENKUlT_SJ_SK_SL_E_clIPjSE_SF_SF_EESI_SY_SJ_SK_SL_EUlSY_E_NS1_11comp_targetILNS1_3genE10ELNS1_11target_archE1201ELNS1_3gpuE5ELNS1_3repE0EEENS1_48merge_mergepath_partition_config_static_selectorELNS0_4arch9wavefront6targetE0EEEvSK_
                                        ; -- End function
	.set _ZN7rocprim17ROCPRIM_400000_NS6detail17trampoline_kernelINS0_14default_configENS1_38merge_sort_block_merge_config_selectorIjNS0_10empty_typeEEEZZNS1_27merge_sort_block_merge_implIS3_N6thrust23THRUST_200600_302600_NS6detail15normal_iteratorINS9_10device_ptrIjEEEEPS5_m9comp_mod3IjEEE10hipError_tT0_T1_T2_jT3_P12ihipStream_tbPNSt15iterator_traitsISJ_E10value_typeEPNSP_ISK_E10value_typeEPSL_NS1_7vsmem_tEENKUlT_SJ_SK_SL_E_clIPjSE_SF_SF_EESI_SY_SJ_SK_SL_EUlSY_E_NS1_11comp_targetILNS1_3genE10ELNS1_11target_archE1201ELNS1_3gpuE5ELNS1_3repE0EEENS1_48merge_mergepath_partition_config_static_selectorELNS0_4arch9wavefront6targetE0EEEvSK_.num_vgpr, 0
	.set _ZN7rocprim17ROCPRIM_400000_NS6detail17trampoline_kernelINS0_14default_configENS1_38merge_sort_block_merge_config_selectorIjNS0_10empty_typeEEEZZNS1_27merge_sort_block_merge_implIS3_N6thrust23THRUST_200600_302600_NS6detail15normal_iteratorINS9_10device_ptrIjEEEEPS5_m9comp_mod3IjEEE10hipError_tT0_T1_T2_jT3_P12ihipStream_tbPNSt15iterator_traitsISJ_E10value_typeEPNSP_ISK_E10value_typeEPSL_NS1_7vsmem_tEENKUlT_SJ_SK_SL_E_clIPjSE_SF_SF_EESI_SY_SJ_SK_SL_EUlSY_E_NS1_11comp_targetILNS1_3genE10ELNS1_11target_archE1201ELNS1_3gpuE5ELNS1_3repE0EEENS1_48merge_mergepath_partition_config_static_selectorELNS0_4arch9wavefront6targetE0EEEvSK_.num_agpr, 0
	.set _ZN7rocprim17ROCPRIM_400000_NS6detail17trampoline_kernelINS0_14default_configENS1_38merge_sort_block_merge_config_selectorIjNS0_10empty_typeEEEZZNS1_27merge_sort_block_merge_implIS3_N6thrust23THRUST_200600_302600_NS6detail15normal_iteratorINS9_10device_ptrIjEEEEPS5_m9comp_mod3IjEEE10hipError_tT0_T1_T2_jT3_P12ihipStream_tbPNSt15iterator_traitsISJ_E10value_typeEPNSP_ISK_E10value_typeEPSL_NS1_7vsmem_tEENKUlT_SJ_SK_SL_E_clIPjSE_SF_SF_EESI_SY_SJ_SK_SL_EUlSY_E_NS1_11comp_targetILNS1_3genE10ELNS1_11target_archE1201ELNS1_3gpuE5ELNS1_3repE0EEENS1_48merge_mergepath_partition_config_static_selectorELNS0_4arch9wavefront6targetE0EEEvSK_.numbered_sgpr, 0
	.set _ZN7rocprim17ROCPRIM_400000_NS6detail17trampoline_kernelINS0_14default_configENS1_38merge_sort_block_merge_config_selectorIjNS0_10empty_typeEEEZZNS1_27merge_sort_block_merge_implIS3_N6thrust23THRUST_200600_302600_NS6detail15normal_iteratorINS9_10device_ptrIjEEEEPS5_m9comp_mod3IjEEE10hipError_tT0_T1_T2_jT3_P12ihipStream_tbPNSt15iterator_traitsISJ_E10value_typeEPNSP_ISK_E10value_typeEPSL_NS1_7vsmem_tEENKUlT_SJ_SK_SL_E_clIPjSE_SF_SF_EESI_SY_SJ_SK_SL_EUlSY_E_NS1_11comp_targetILNS1_3genE10ELNS1_11target_archE1201ELNS1_3gpuE5ELNS1_3repE0EEENS1_48merge_mergepath_partition_config_static_selectorELNS0_4arch9wavefront6targetE0EEEvSK_.num_named_barrier, 0
	.set _ZN7rocprim17ROCPRIM_400000_NS6detail17trampoline_kernelINS0_14default_configENS1_38merge_sort_block_merge_config_selectorIjNS0_10empty_typeEEEZZNS1_27merge_sort_block_merge_implIS3_N6thrust23THRUST_200600_302600_NS6detail15normal_iteratorINS9_10device_ptrIjEEEEPS5_m9comp_mod3IjEEE10hipError_tT0_T1_T2_jT3_P12ihipStream_tbPNSt15iterator_traitsISJ_E10value_typeEPNSP_ISK_E10value_typeEPSL_NS1_7vsmem_tEENKUlT_SJ_SK_SL_E_clIPjSE_SF_SF_EESI_SY_SJ_SK_SL_EUlSY_E_NS1_11comp_targetILNS1_3genE10ELNS1_11target_archE1201ELNS1_3gpuE5ELNS1_3repE0EEENS1_48merge_mergepath_partition_config_static_selectorELNS0_4arch9wavefront6targetE0EEEvSK_.private_seg_size, 0
	.set _ZN7rocprim17ROCPRIM_400000_NS6detail17trampoline_kernelINS0_14default_configENS1_38merge_sort_block_merge_config_selectorIjNS0_10empty_typeEEEZZNS1_27merge_sort_block_merge_implIS3_N6thrust23THRUST_200600_302600_NS6detail15normal_iteratorINS9_10device_ptrIjEEEEPS5_m9comp_mod3IjEEE10hipError_tT0_T1_T2_jT3_P12ihipStream_tbPNSt15iterator_traitsISJ_E10value_typeEPNSP_ISK_E10value_typeEPSL_NS1_7vsmem_tEENKUlT_SJ_SK_SL_E_clIPjSE_SF_SF_EESI_SY_SJ_SK_SL_EUlSY_E_NS1_11comp_targetILNS1_3genE10ELNS1_11target_archE1201ELNS1_3gpuE5ELNS1_3repE0EEENS1_48merge_mergepath_partition_config_static_selectorELNS0_4arch9wavefront6targetE0EEEvSK_.uses_vcc, 0
	.set _ZN7rocprim17ROCPRIM_400000_NS6detail17trampoline_kernelINS0_14default_configENS1_38merge_sort_block_merge_config_selectorIjNS0_10empty_typeEEEZZNS1_27merge_sort_block_merge_implIS3_N6thrust23THRUST_200600_302600_NS6detail15normal_iteratorINS9_10device_ptrIjEEEEPS5_m9comp_mod3IjEEE10hipError_tT0_T1_T2_jT3_P12ihipStream_tbPNSt15iterator_traitsISJ_E10value_typeEPNSP_ISK_E10value_typeEPSL_NS1_7vsmem_tEENKUlT_SJ_SK_SL_E_clIPjSE_SF_SF_EESI_SY_SJ_SK_SL_EUlSY_E_NS1_11comp_targetILNS1_3genE10ELNS1_11target_archE1201ELNS1_3gpuE5ELNS1_3repE0EEENS1_48merge_mergepath_partition_config_static_selectorELNS0_4arch9wavefront6targetE0EEEvSK_.uses_flat_scratch, 0
	.set _ZN7rocprim17ROCPRIM_400000_NS6detail17trampoline_kernelINS0_14default_configENS1_38merge_sort_block_merge_config_selectorIjNS0_10empty_typeEEEZZNS1_27merge_sort_block_merge_implIS3_N6thrust23THRUST_200600_302600_NS6detail15normal_iteratorINS9_10device_ptrIjEEEEPS5_m9comp_mod3IjEEE10hipError_tT0_T1_T2_jT3_P12ihipStream_tbPNSt15iterator_traitsISJ_E10value_typeEPNSP_ISK_E10value_typeEPSL_NS1_7vsmem_tEENKUlT_SJ_SK_SL_E_clIPjSE_SF_SF_EESI_SY_SJ_SK_SL_EUlSY_E_NS1_11comp_targetILNS1_3genE10ELNS1_11target_archE1201ELNS1_3gpuE5ELNS1_3repE0EEENS1_48merge_mergepath_partition_config_static_selectorELNS0_4arch9wavefront6targetE0EEEvSK_.has_dyn_sized_stack, 0
	.set _ZN7rocprim17ROCPRIM_400000_NS6detail17trampoline_kernelINS0_14default_configENS1_38merge_sort_block_merge_config_selectorIjNS0_10empty_typeEEEZZNS1_27merge_sort_block_merge_implIS3_N6thrust23THRUST_200600_302600_NS6detail15normal_iteratorINS9_10device_ptrIjEEEEPS5_m9comp_mod3IjEEE10hipError_tT0_T1_T2_jT3_P12ihipStream_tbPNSt15iterator_traitsISJ_E10value_typeEPNSP_ISK_E10value_typeEPSL_NS1_7vsmem_tEENKUlT_SJ_SK_SL_E_clIPjSE_SF_SF_EESI_SY_SJ_SK_SL_EUlSY_E_NS1_11comp_targetILNS1_3genE10ELNS1_11target_archE1201ELNS1_3gpuE5ELNS1_3repE0EEENS1_48merge_mergepath_partition_config_static_selectorELNS0_4arch9wavefront6targetE0EEEvSK_.has_recursion, 0
	.set _ZN7rocprim17ROCPRIM_400000_NS6detail17trampoline_kernelINS0_14default_configENS1_38merge_sort_block_merge_config_selectorIjNS0_10empty_typeEEEZZNS1_27merge_sort_block_merge_implIS3_N6thrust23THRUST_200600_302600_NS6detail15normal_iteratorINS9_10device_ptrIjEEEEPS5_m9comp_mod3IjEEE10hipError_tT0_T1_T2_jT3_P12ihipStream_tbPNSt15iterator_traitsISJ_E10value_typeEPNSP_ISK_E10value_typeEPSL_NS1_7vsmem_tEENKUlT_SJ_SK_SL_E_clIPjSE_SF_SF_EESI_SY_SJ_SK_SL_EUlSY_E_NS1_11comp_targetILNS1_3genE10ELNS1_11target_archE1201ELNS1_3gpuE5ELNS1_3repE0EEENS1_48merge_mergepath_partition_config_static_selectorELNS0_4arch9wavefront6targetE0EEEvSK_.has_indirect_call, 0
	.section	.AMDGPU.csdata,"",@progbits
; Kernel info:
; codeLenInByte = 0
; TotalNumSgprs: 0
; NumVgprs: 0
; ScratchSize: 0
; MemoryBound: 0
; FloatMode: 240
; IeeeMode: 1
; LDSByteSize: 0 bytes/workgroup (compile time only)
; SGPRBlocks: 0
; VGPRBlocks: 0
; NumSGPRsForWavesPerEU: 1
; NumVGPRsForWavesPerEU: 1
; Occupancy: 16
; WaveLimiterHint : 0
; COMPUTE_PGM_RSRC2:SCRATCH_EN: 0
; COMPUTE_PGM_RSRC2:USER_SGPR: 6
; COMPUTE_PGM_RSRC2:TRAP_HANDLER: 0
; COMPUTE_PGM_RSRC2:TGID_X_EN: 1
; COMPUTE_PGM_RSRC2:TGID_Y_EN: 0
; COMPUTE_PGM_RSRC2:TGID_Z_EN: 0
; COMPUTE_PGM_RSRC2:TIDIG_COMP_CNT: 0
	.section	.text._ZN7rocprim17ROCPRIM_400000_NS6detail17trampoline_kernelINS0_14default_configENS1_38merge_sort_block_merge_config_selectorIjNS0_10empty_typeEEEZZNS1_27merge_sort_block_merge_implIS3_N6thrust23THRUST_200600_302600_NS6detail15normal_iteratorINS9_10device_ptrIjEEEEPS5_m9comp_mod3IjEEE10hipError_tT0_T1_T2_jT3_P12ihipStream_tbPNSt15iterator_traitsISJ_E10value_typeEPNSP_ISK_E10value_typeEPSL_NS1_7vsmem_tEENKUlT_SJ_SK_SL_E_clIPjSE_SF_SF_EESI_SY_SJ_SK_SL_EUlSY_E_NS1_11comp_targetILNS1_3genE5ELNS1_11target_archE942ELNS1_3gpuE9ELNS1_3repE0EEENS1_48merge_mergepath_partition_config_static_selectorELNS0_4arch9wavefront6targetE0EEEvSK_,"axG",@progbits,_ZN7rocprim17ROCPRIM_400000_NS6detail17trampoline_kernelINS0_14default_configENS1_38merge_sort_block_merge_config_selectorIjNS0_10empty_typeEEEZZNS1_27merge_sort_block_merge_implIS3_N6thrust23THRUST_200600_302600_NS6detail15normal_iteratorINS9_10device_ptrIjEEEEPS5_m9comp_mod3IjEEE10hipError_tT0_T1_T2_jT3_P12ihipStream_tbPNSt15iterator_traitsISJ_E10value_typeEPNSP_ISK_E10value_typeEPSL_NS1_7vsmem_tEENKUlT_SJ_SK_SL_E_clIPjSE_SF_SF_EESI_SY_SJ_SK_SL_EUlSY_E_NS1_11comp_targetILNS1_3genE5ELNS1_11target_archE942ELNS1_3gpuE9ELNS1_3repE0EEENS1_48merge_mergepath_partition_config_static_selectorELNS0_4arch9wavefront6targetE0EEEvSK_,comdat
	.protected	_ZN7rocprim17ROCPRIM_400000_NS6detail17trampoline_kernelINS0_14default_configENS1_38merge_sort_block_merge_config_selectorIjNS0_10empty_typeEEEZZNS1_27merge_sort_block_merge_implIS3_N6thrust23THRUST_200600_302600_NS6detail15normal_iteratorINS9_10device_ptrIjEEEEPS5_m9comp_mod3IjEEE10hipError_tT0_T1_T2_jT3_P12ihipStream_tbPNSt15iterator_traitsISJ_E10value_typeEPNSP_ISK_E10value_typeEPSL_NS1_7vsmem_tEENKUlT_SJ_SK_SL_E_clIPjSE_SF_SF_EESI_SY_SJ_SK_SL_EUlSY_E_NS1_11comp_targetILNS1_3genE5ELNS1_11target_archE942ELNS1_3gpuE9ELNS1_3repE0EEENS1_48merge_mergepath_partition_config_static_selectorELNS0_4arch9wavefront6targetE0EEEvSK_ ; -- Begin function _ZN7rocprim17ROCPRIM_400000_NS6detail17trampoline_kernelINS0_14default_configENS1_38merge_sort_block_merge_config_selectorIjNS0_10empty_typeEEEZZNS1_27merge_sort_block_merge_implIS3_N6thrust23THRUST_200600_302600_NS6detail15normal_iteratorINS9_10device_ptrIjEEEEPS5_m9comp_mod3IjEEE10hipError_tT0_T1_T2_jT3_P12ihipStream_tbPNSt15iterator_traitsISJ_E10value_typeEPNSP_ISK_E10value_typeEPSL_NS1_7vsmem_tEENKUlT_SJ_SK_SL_E_clIPjSE_SF_SF_EESI_SY_SJ_SK_SL_EUlSY_E_NS1_11comp_targetILNS1_3genE5ELNS1_11target_archE942ELNS1_3gpuE9ELNS1_3repE0EEENS1_48merge_mergepath_partition_config_static_selectorELNS0_4arch9wavefront6targetE0EEEvSK_
	.globl	_ZN7rocprim17ROCPRIM_400000_NS6detail17trampoline_kernelINS0_14default_configENS1_38merge_sort_block_merge_config_selectorIjNS0_10empty_typeEEEZZNS1_27merge_sort_block_merge_implIS3_N6thrust23THRUST_200600_302600_NS6detail15normal_iteratorINS9_10device_ptrIjEEEEPS5_m9comp_mod3IjEEE10hipError_tT0_T1_T2_jT3_P12ihipStream_tbPNSt15iterator_traitsISJ_E10value_typeEPNSP_ISK_E10value_typeEPSL_NS1_7vsmem_tEENKUlT_SJ_SK_SL_E_clIPjSE_SF_SF_EESI_SY_SJ_SK_SL_EUlSY_E_NS1_11comp_targetILNS1_3genE5ELNS1_11target_archE942ELNS1_3gpuE9ELNS1_3repE0EEENS1_48merge_mergepath_partition_config_static_selectorELNS0_4arch9wavefront6targetE0EEEvSK_
	.p2align	8
	.type	_ZN7rocprim17ROCPRIM_400000_NS6detail17trampoline_kernelINS0_14default_configENS1_38merge_sort_block_merge_config_selectorIjNS0_10empty_typeEEEZZNS1_27merge_sort_block_merge_implIS3_N6thrust23THRUST_200600_302600_NS6detail15normal_iteratorINS9_10device_ptrIjEEEEPS5_m9comp_mod3IjEEE10hipError_tT0_T1_T2_jT3_P12ihipStream_tbPNSt15iterator_traitsISJ_E10value_typeEPNSP_ISK_E10value_typeEPSL_NS1_7vsmem_tEENKUlT_SJ_SK_SL_E_clIPjSE_SF_SF_EESI_SY_SJ_SK_SL_EUlSY_E_NS1_11comp_targetILNS1_3genE5ELNS1_11target_archE942ELNS1_3gpuE9ELNS1_3repE0EEENS1_48merge_mergepath_partition_config_static_selectorELNS0_4arch9wavefront6targetE0EEEvSK_,@function
_ZN7rocprim17ROCPRIM_400000_NS6detail17trampoline_kernelINS0_14default_configENS1_38merge_sort_block_merge_config_selectorIjNS0_10empty_typeEEEZZNS1_27merge_sort_block_merge_implIS3_N6thrust23THRUST_200600_302600_NS6detail15normal_iteratorINS9_10device_ptrIjEEEEPS5_m9comp_mod3IjEEE10hipError_tT0_T1_T2_jT3_P12ihipStream_tbPNSt15iterator_traitsISJ_E10value_typeEPNSP_ISK_E10value_typeEPSL_NS1_7vsmem_tEENKUlT_SJ_SK_SL_E_clIPjSE_SF_SF_EESI_SY_SJ_SK_SL_EUlSY_E_NS1_11comp_targetILNS1_3genE5ELNS1_11target_archE942ELNS1_3gpuE9ELNS1_3repE0EEENS1_48merge_mergepath_partition_config_static_selectorELNS0_4arch9wavefront6targetE0EEEvSK_: ; @_ZN7rocprim17ROCPRIM_400000_NS6detail17trampoline_kernelINS0_14default_configENS1_38merge_sort_block_merge_config_selectorIjNS0_10empty_typeEEEZZNS1_27merge_sort_block_merge_implIS3_N6thrust23THRUST_200600_302600_NS6detail15normal_iteratorINS9_10device_ptrIjEEEEPS5_m9comp_mod3IjEEE10hipError_tT0_T1_T2_jT3_P12ihipStream_tbPNSt15iterator_traitsISJ_E10value_typeEPNSP_ISK_E10value_typeEPSL_NS1_7vsmem_tEENKUlT_SJ_SK_SL_E_clIPjSE_SF_SF_EESI_SY_SJ_SK_SL_EUlSY_E_NS1_11comp_targetILNS1_3genE5ELNS1_11target_archE942ELNS1_3gpuE9ELNS1_3repE0EEENS1_48merge_mergepath_partition_config_static_selectorELNS0_4arch9wavefront6targetE0EEEvSK_
; %bb.0:
	.section	.rodata,"a",@progbits
	.p2align	6, 0x0
	.amdhsa_kernel _ZN7rocprim17ROCPRIM_400000_NS6detail17trampoline_kernelINS0_14default_configENS1_38merge_sort_block_merge_config_selectorIjNS0_10empty_typeEEEZZNS1_27merge_sort_block_merge_implIS3_N6thrust23THRUST_200600_302600_NS6detail15normal_iteratorINS9_10device_ptrIjEEEEPS5_m9comp_mod3IjEEE10hipError_tT0_T1_T2_jT3_P12ihipStream_tbPNSt15iterator_traitsISJ_E10value_typeEPNSP_ISK_E10value_typeEPSL_NS1_7vsmem_tEENKUlT_SJ_SK_SL_E_clIPjSE_SF_SF_EESI_SY_SJ_SK_SL_EUlSY_E_NS1_11comp_targetILNS1_3genE5ELNS1_11target_archE942ELNS1_3gpuE9ELNS1_3repE0EEENS1_48merge_mergepath_partition_config_static_selectorELNS0_4arch9wavefront6targetE0EEEvSK_
		.amdhsa_group_segment_fixed_size 0
		.amdhsa_private_segment_fixed_size 0
		.amdhsa_kernarg_size 48
		.amdhsa_user_sgpr_count 6
		.amdhsa_user_sgpr_private_segment_buffer 1
		.amdhsa_user_sgpr_dispatch_ptr 0
		.amdhsa_user_sgpr_queue_ptr 0
		.amdhsa_user_sgpr_kernarg_segment_ptr 1
		.amdhsa_user_sgpr_dispatch_id 0
		.amdhsa_user_sgpr_flat_scratch_init 0
		.amdhsa_user_sgpr_private_segment_size 0
		.amdhsa_wavefront_size32 1
		.amdhsa_uses_dynamic_stack 0
		.amdhsa_system_sgpr_private_segment_wavefront_offset 0
		.amdhsa_system_sgpr_workgroup_id_x 1
		.amdhsa_system_sgpr_workgroup_id_y 0
		.amdhsa_system_sgpr_workgroup_id_z 0
		.amdhsa_system_sgpr_workgroup_info 0
		.amdhsa_system_vgpr_workitem_id 0
		.amdhsa_next_free_vgpr 1
		.amdhsa_next_free_sgpr 1
		.amdhsa_reserve_vcc 0
		.amdhsa_reserve_flat_scratch 0
		.amdhsa_float_round_mode_32 0
		.amdhsa_float_round_mode_16_64 0
		.amdhsa_float_denorm_mode_32 3
		.amdhsa_float_denorm_mode_16_64 3
		.amdhsa_dx10_clamp 1
		.amdhsa_ieee_mode 1
		.amdhsa_fp16_overflow 0
		.amdhsa_workgroup_processor_mode 1
		.amdhsa_memory_ordered 1
		.amdhsa_forward_progress 1
		.amdhsa_shared_vgpr_count 0
		.amdhsa_exception_fp_ieee_invalid_op 0
		.amdhsa_exception_fp_denorm_src 0
		.amdhsa_exception_fp_ieee_div_zero 0
		.amdhsa_exception_fp_ieee_overflow 0
		.amdhsa_exception_fp_ieee_underflow 0
		.amdhsa_exception_fp_ieee_inexact 0
		.amdhsa_exception_int_div_zero 0
	.end_amdhsa_kernel
	.section	.text._ZN7rocprim17ROCPRIM_400000_NS6detail17trampoline_kernelINS0_14default_configENS1_38merge_sort_block_merge_config_selectorIjNS0_10empty_typeEEEZZNS1_27merge_sort_block_merge_implIS3_N6thrust23THRUST_200600_302600_NS6detail15normal_iteratorINS9_10device_ptrIjEEEEPS5_m9comp_mod3IjEEE10hipError_tT0_T1_T2_jT3_P12ihipStream_tbPNSt15iterator_traitsISJ_E10value_typeEPNSP_ISK_E10value_typeEPSL_NS1_7vsmem_tEENKUlT_SJ_SK_SL_E_clIPjSE_SF_SF_EESI_SY_SJ_SK_SL_EUlSY_E_NS1_11comp_targetILNS1_3genE5ELNS1_11target_archE942ELNS1_3gpuE9ELNS1_3repE0EEENS1_48merge_mergepath_partition_config_static_selectorELNS0_4arch9wavefront6targetE0EEEvSK_,"axG",@progbits,_ZN7rocprim17ROCPRIM_400000_NS6detail17trampoline_kernelINS0_14default_configENS1_38merge_sort_block_merge_config_selectorIjNS0_10empty_typeEEEZZNS1_27merge_sort_block_merge_implIS3_N6thrust23THRUST_200600_302600_NS6detail15normal_iteratorINS9_10device_ptrIjEEEEPS5_m9comp_mod3IjEEE10hipError_tT0_T1_T2_jT3_P12ihipStream_tbPNSt15iterator_traitsISJ_E10value_typeEPNSP_ISK_E10value_typeEPSL_NS1_7vsmem_tEENKUlT_SJ_SK_SL_E_clIPjSE_SF_SF_EESI_SY_SJ_SK_SL_EUlSY_E_NS1_11comp_targetILNS1_3genE5ELNS1_11target_archE942ELNS1_3gpuE9ELNS1_3repE0EEENS1_48merge_mergepath_partition_config_static_selectorELNS0_4arch9wavefront6targetE0EEEvSK_,comdat
.Lfunc_end818:
	.size	_ZN7rocprim17ROCPRIM_400000_NS6detail17trampoline_kernelINS0_14default_configENS1_38merge_sort_block_merge_config_selectorIjNS0_10empty_typeEEEZZNS1_27merge_sort_block_merge_implIS3_N6thrust23THRUST_200600_302600_NS6detail15normal_iteratorINS9_10device_ptrIjEEEEPS5_m9comp_mod3IjEEE10hipError_tT0_T1_T2_jT3_P12ihipStream_tbPNSt15iterator_traitsISJ_E10value_typeEPNSP_ISK_E10value_typeEPSL_NS1_7vsmem_tEENKUlT_SJ_SK_SL_E_clIPjSE_SF_SF_EESI_SY_SJ_SK_SL_EUlSY_E_NS1_11comp_targetILNS1_3genE5ELNS1_11target_archE942ELNS1_3gpuE9ELNS1_3repE0EEENS1_48merge_mergepath_partition_config_static_selectorELNS0_4arch9wavefront6targetE0EEEvSK_, .Lfunc_end818-_ZN7rocprim17ROCPRIM_400000_NS6detail17trampoline_kernelINS0_14default_configENS1_38merge_sort_block_merge_config_selectorIjNS0_10empty_typeEEEZZNS1_27merge_sort_block_merge_implIS3_N6thrust23THRUST_200600_302600_NS6detail15normal_iteratorINS9_10device_ptrIjEEEEPS5_m9comp_mod3IjEEE10hipError_tT0_T1_T2_jT3_P12ihipStream_tbPNSt15iterator_traitsISJ_E10value_typeEPNSP_ISK_E10value_typeEPSL_NS1_7vsmem_tEENKUlT_SJ_SK_SL_E_clIPjSE_SF_SF_EESI_SY_SJ_SK_SL_EUlSY_E_NS1_11comp_targetILNS1_3genE5ELNS1_11target_archE942ELNS1_3gpuE9ELNS1_3repE0EEENS1_48merge_mergepath_partition_config_static_selectorELNS0_4arch9wavefront6targetE0EEEvSK_
                                        ; -- End function
	.set _ZN7rocprim17ROCPRIM_400000_NS6detail17trampoline_kernelINS0_14default_configENS1_38merge_sort_block_merge_config_selectorIjNS0_10empty_typeEEEZZNS1_27merge_sort_block_merge_implIS3_N6thrust23THRUST_200600_302600_NS6detail15normal_iteratorINS9_10device_ptrIjEEEEPS5_m9comp_mod3IjEEE10hipError_tT0_T1_T2_jT3_P12ihipStream_tbPNSt15iterator_traitsISJ_E10value_typeEPNSP_ISK_E10value_typeEPSL_NS1_7vsmem_tEENKUlT_SJ_SK_SL_E_clIPjSE_SF_SF_EESI_SY_SJ_SK_SL_EUlSY_E_NS1_11comp_targetILNS1_3genE5ELNS1_11target_archE942ELNS1_3gpuE9ELNS1_3repE0EEENS1_48merge_mergepath_partition_config_static_selectorELNS0_4arch9wavefront6targetE0EEEvSK_.num_vgpr, 0
	.set _ZN7rocprim17ROCPRIM_400000_NS6detail17trampoline_kernelINS0_14default_configENS1_38merge_sort_block_merge_config_selectorIjNS0_10empty_typeEEEZZNS1_27merge_sort_block_merge_implIS3_N6thrust23THRUST_200600_302600_NS6detail15normal_iteratorINS9_10device_ptrIjEEEEPS5_m9comp_mod3IjEEE10hipError_tT0_T1_T2_jT3_P12ihipStream_tbPNSt15iterator_traitsISJ_E10value_typeEPNSP_ISK_E10value_typeEPSL_NS1_7vsmem_tEENKUlT_SJ_SK_SL_E_clIPjSE_SF_SF_EESI_SY_SJ_SK_SL_EUlSY_E_NS1_11comp_targetILNS1_3genE5ELNS1_11target_archE942ELNS1_3gpuE9ELNS1_3repE0EEENS1_48merge_mergepath_partition_config_static_selectorELNS0_4arch9wavefront6targetE0EEEvSK_.num_agpr, 0
	.set _ZN7rocprim17ROCPRIM_400000_NS6detail17trampoline_kernelINS0_14default_configENS1_38merge_sort_block_merge_config_selectorIjNS0_10empty_typeEEEZZNS1_27merge_sort_block_merge_implIS3_N6thrust23THRUST_200600_302600_NS6detail15normal_iteratorINS9_10device_ptrIjEEEEPS5_m9comp_mod3IjEEE10hipError_tT0_T1_T2_jT3_P12ihipStream_tbPNSt15iterator_traitsISJ_E10value_typeEPNSP_ISK_E10value_typeEPSL_NS1_7vsmem_tEENKUlT_SJ_SK_SL_E_clIPjSE_SF_SF_EESI_SY_SJ_SK_SL_EUlSY_E_NS1_11comp_targetILNS1_3genE5ELNS1_11target_archE942ELNS1_3gpuE9ELNS1_3repE0EEENS1_48merge_mergepath_partition_config_static_selectorELNS0_4arch9wavefront6targetE0EEEvSK_.numbered_sgpr, 0
	.set _ZN7rocprim17ROCPRIM_400000_NS6detail17trampoline_kernelINS0_14default_configENS1_38merge_sort_block_merge_config_selectorIjNS0_10empty_typeEEEZZNS1_27merge_sort_block_merge_implIS3_N6thrust23THRUST_200600_302600_NS6detail15normal_iteratorINS9_10device_ptrIjEEEEPS5_m9comp_mod3IjEEE10hipError_tT0_T1_T2_jT3_P12ihipStream_tbPNSt15iterator_traitsISJ_E10value_typeEPNSP_ISK_E10value_typeEPSL_NS1_7vsmem_tEENKUlT_SJ_SK_SL_E_clIPjSE_SF_SF_EESI_SY_SJ_SK_SL_EUlSY_E_NS1_11comp_targetILNS1_3genE5ELNS1_11target_archE942ELNS1_3gpuE9ELNS1_3repE0EEENS1_48merge_mergepath_partition_config_static_selectorELNS0_4arch9wavefront6targetE0EEEvSK_.num_named_barrier, 0
	.set _ZN7rocprim17ROCPRIM_400000_NS6detail17trampoline_kernelINS0_14default_configENS1_38merge_sort_block_merge_config_selectorIjNS0_10empty_typeEEEZZNS1_27merge_sort_block_merge_implIS3_N6thrust23THRUST_200600_302600_NS6detail15normal_iteratorINS9_10device_ptrIjEEEEPS5_m9comp_mod3IjEEE10hipError_tT0_T1_T2_jT3_P12ihipStream_tbPNSt15iterator_traitsISJ_E10value_typeEPNSP_ISK_E10value_typeEPSL_NS1_7vsmem_tEENKUlT_SJ_SK_SL_E_clIPjSE_SF_SF_EESI_SY_SJ_SK_SL_EUlSY_E_NS1_11comp_targetILNS1_3genE5ELNS1_11target_archE942ELNS1_3gpuE9ELNS1_3repE0EEENS1_48merge_mergepath_partition_config_static_selectorELNS0_4arch9wavefront6targetE0EEEvSK_.private_seg_size, 0
	.set _ZN7rocprim17ROCPRIM_400000_NS6detail17trampoline_kernelINS0_14default_configENS1_38merge_sort_block_merge_config_selectorIjNS0_10empty_typeEEEZZNS1_27merge_sort_block_merge_implIS3_N6thrust23THRUST_200600_302600_NS6detail15normal_iteratorINS9_10device_ptrIjEEEEPS5_m9comp_mod3IjEEE10hipError_tT0_T1_T2_jT3_P12ihipStream_tbPNSt15iterator_traitsISJ_E10value_typeEPNSP_ISK_E10value_typeEPSL_NS1_7vsmem_tEENKUlT_SJ_SK_SL_E_clIPjSE_SF_SF_EESI_SY_SJ_SK_SL_EUlSY_E_NS1_11comp_targetILNS1_3genE5ELNS1_11target_archE942ELNS1_3gpuE9ELNS1_3repE0EEENS1_48merge_mergepath_partition_config_static_selectorELNS0_4arch9wavefront6targetE0EEEvSK_.uses_vcc, 0
	.set _ZN7rocprim17ROCPRIM_400000_NS6detail17trampoline_kernelINS0_14default_configENS1_38merge_sort_block_merge_config_selectorIjNS0_10empty_typeEEEZZNS1_27merge_sort_block_merge_implIS3_N6thrust23THRUST_200600_302600_NS6detail15normal_iteratorINS9_10device_ptrIjEEEEPS5_m9comp_mod3IjEEE10hipError_tT0_T1_T2_jT3_P12ihipStream_tbPNSt15iterator_traitsISJ_E10value_typeEPNSP_ISK_E10value_typeEPSL_NS1_7vsmem_tEENKUlT_SJ_SK_SL_E_clIPjSE_SF_SF_EESI_SY_SJ_SK_SL_EUlSY_E_NS1_11comp_targetILNS1_3genE5ELNS1_11target_archE942ELNS1_3gpuE9ELNS1_3repE0EEENS1_48merge_mergepath_partition_config_static_selectorELNS0_4arch9wavefront6targetE0EEEvSK_.uses_flat_scratch, 0
	.set _ZN7rocprim17ROCPRIM_400000_NS6detail17trampoline_kernelINS0_14default_configENS1_38merge_sort_block_merge_config_selectorIjNS0_10empty_typeEEEZZNS1_27merge_sort_block_merge_implIS3_N6thrust23THRUST_200600_302600_NS6detail15normal_iteratorINS9_10device_ptrIjEEEEPS5_m9comp_mod3IjEEE10hipError_tT0_T1_T2_jT3_P12ihipStream_tbPNSt15iterator_traitsISJ_E10value_typeEPNSP_ISK_E10value_typeEPSL_NS1_7vsmem_tEENKUlT_SJ_SK_SL_E_clIPjSE_SF_SF_EESI_SY_SJ_SK_SL_EUlSY_E_NS1_11comp_targetILNS1_3genE5ELNS1_11target_archE942ELNS1_3gpuE9ELNS1_3repE0EEENS1_48merge_mergepath_partition_config_static_selectorELNS0_4arch9wavefront6targetE0EEEvSK_.has_dyn_sized_stack, 0
	.set _ZN7rocprim17ROCPRIM_400000_NS6detail17trampoline_kernelINS0_14default_configENS1_38merge_sort_block_merge_config_selectorIjNS0_10empty_typeEEEZZNS1_27merge_sort_block_merge_implIS3_N6thrust23THRUST_200600_302600_NS6detail15normal_iteratorINS9_10device_ptrIjEEEEPS5_m9comp_mod3IjEEE10hipError_tT0_T1_T2_jT3_P12ihipStream_tbPNSt15iterator_traitsISJ_E10value_typeEPNSP_ISK_E10value_typeEPSL_NS1_7vsmem_tEENKUlT_SJ_SK_SL_E_clIPjSE_SF_SF_EESI_SY_SJ_SK_SL_EUlSY_E_NS1_11comp_targetILNS1_3genE5ELNS1_11target_archE942ELNS1_3gpuE9ELNS1_3repE0EEENS1_48merge_mergepath_partition_config_static_selectorELNS0_4arch9wavefront6targetE0EEEvSK_.has_recursion, 0
	.set _ZN7rocprim17ROCPRIM_400000_NS6detail17trampoline_kernelINS0_14default_configENS1_38merge_sort_block_merge_config_selectorIjNS0_10empty_typeEEEZZNS1_27merge_sort_block_merge_implIS3_N6thrust23THRUST_200600_302600_NS6detail15normal_iteratorINS9_10device_ptrIjEEEEPS5_m9comp_mod3IjEEE10hipError_tT0_T1_T2_jT3_P12ihipStream_tbPNSt15iterator_traitsISJ_E10value_typeEPNSP_ISK_E10value_typeEPSL_NS1_7vsmem_tEENKUlT_SJ_SK_SL_E_clIPjSE_SF_SF_EESI_SY_SJ_SK_SL_EUlSY_E_NS1_11comp_targetILNS1_3genE5ELNS1_11target_archE942ELNS1_3gpuE9ELNS1_3repE0EEENS1_48merge_mergepath_partition_config_static_selectorELNS0_4arch9wavefront6targetE0EEEvSK_.has_indirect_call, 0
	.section	.AMDGPU.csdata,"",@progbits
; Kernel info:
; codeLenInByte = 0
; TotalNumSgprs: 0
; NumVgprs: 0
; ScratchSize: 0
; MemoryBound: 0
; FloatMode: 240
; IeeeMode: 1
; LDSByteSize: 0 bytes/workgroup (compile time only)
; SGPRBlocks: 0
; VGPRBlocks: 0
; NumSGPRsForWavesPerEU: 1
; NumVGPRsForWavesPerEU: 1
; Occupancy: 16
; WaveLimiterHint : 0
; COMPUTE_PGM_RSRC2:SCRATCH_EN: 0
; COMPUTE_PGM_RSRC2:USER_SGPR: 6
; COMPUTE_PGM_RSRC2:TRAP_HANDLER: 0
; COMPUTE_PGM_RSRC2:TGID_X_EN: 1
; COMPUTE_PGM_RSRC2:TGID_Y_EN: 0
; COMPUTE_PGM_RSRC2:TGID_Z_EN: 0
; COMPUTE_PGM_RSRC2:TIDIG_COMP_CNT: 0
	.section	.text._ZN7rocprim17ROCPRIM_400000_NS6detail17trampoline_kernelINS0_14default_configENS1_38merge_sort_block_merge_config_selectorIjNS0_10empty_typeEEEZZNS1_27merge_sort_block_merge_implIS3_N6thrust23THRUST_200600_302600_NS6detail15normal_iteratorINS9_10device_ptrIjEEEEPS5_m9comp_mod3IjEEE10hipError_tT0_T1_T2_jT3_P12ihipStream_tbPNSt15iterator_traitsISJ_E10value_typeEPNSP_ISK_E10value_typeEPSL_NS1_7vsmem_tEENKUlT_SJ_SK_SL_E_clIPjSE_SF_SF_EESI_SY_SJ_SK_SL_EUlSY_E_NS1_11comp_targetILNS1_3genE4ELNS1_11target_archE910ELNS1_3gpuE8ELNS1_3repE0EEENS1_48merge_mergepath_partition_config_static_selectorELNS0_4arch9wavefront6targetE0EEEvSK_,"axG",@progbits,_ZN7rocprim17ROCPRIM_400000_NS6detail17trampoline_kernelINS0_14default_configENS1_38merge_sort_block_merge_config_selectorIjNS0_10empty_typeEEEZZNS1_27merge_sort_block_merge_implIS3_N6thrust23THRUST_200600_302600_NS6detail15normal_iteratorINS9_10device_ptrIjEEEEPS5_m9comp_mod3IjEEE10hipError_tT0_T1_T2_jT3_P12ihipStream_tbPNSt15iterator_traitsISJ_E10value_typeEPNSP_ISK_E10value_typeEPSL_NS1_7vsmem_tEENKUlT_SJ_SK_SL_E_clIPjSE_SF_SF_EESI_SY_SJ_SK_SL_EUlSY_E_NS1_11comp_targetILNS1_3genE4ELNS1_11target_archE910ELNS1_3gpuE8ELNS1_3repE0EEENS1_48merge_mergepath_partition_config_static_selectorELNS0_4arch9wavefront6targetE0EEEvSK_,comdat
	.protected	_ZN7rocprim17ROCPRIM_400000_NS6detail17trampoline_kernelINS0_14default_configENS1_38merge_sort_block_merge_config_selectorIjNS0_10empty_typeEEEZZNS1_27merge_sort_block_merge_implIS3_N6thrust23THRUST_200600_302600_NS6detail15normal_iteratorINS9_10device_ptrIjEEEEPS5_m9comp_mod3IjEEE10hipError_tT0_T1_T2_jT3_P12ihipStream_tbPNSt15iterator_traitsISJ_E10value_typeEPNSP_ISK_E10value_typeEPSL_NS1_7vsmem_tEENKUlT_SJ_SK_SL_E_clIPjSE_SF_SF_EESI_SY_SJ_SK_SL_EUlSY_E_NS1_11comp_targetILNS1_3genE4ELNS1_11target_archE910ELNS1_3gpuE8ELNS1_3repE0EEENS1_48merge_mergepath_partition_config_static_selectorELNS0_4arch9wavefront6targetE0EEEvSK_ ; -- Begin function _ZN7rocprim17ROCPRIM_400000_NS6detail17trampoline_kernelINS0_14default_configENS1_38merge_sort_block_merge_config_selectorIjNS0_10empty_typeEEEZZNS1_27merge_sort_block_merge_implIS3_N6thrust23THRUST_200600_302600_NS6detail15normal_iteratorINS9_10device_ptrIjEEEEPS5_m9comp_mod3IjEEE10hipError_tT0_T1_T2_jT3_P12ihipStream_tbPNSt15iterator_traitsISJ_E10value_typeEPNSP_ISK_E10value_typeEPSL_NS1_7vsmem_tEENKUlT_SJ_SK_SL_E_clIPjSE_SF_SF_EESI_SY_SJ_SK_SL_EUlSY_E_NS1_11comp_targetILNS1_3genE4ELNS1_11target_archE910ELNS1_3gpuE8ELNS1_3repE0EEENS1_48merge_mergepath_partition_config_static_selectorELNS0_4arch9wavefront6targetE0EEEvSK_
	.globl	_ZN7rocprim17ROCPRIM_400000_NS6detail17trampoline_kernelINS0_14default_configENS1_38merge_sort_block_merge_config_selectorIjNS0_10empty_typeEEEZZNS1_27merge_sort_block_merge_implIS3_N6thrust23THRUST_200600_302600_NS6detail15normal_iteratorINS9_10device_ptrIjEEEEPS5_m9comp_mod3IjEEE10hipError_tT0_T1_T2_jT3_P12ihipStream_tbPNSt15iterator_traitsISJ_E10value_typeEPNSP_ISK_E10value_typeEPSL_NS1_7vsmem_tEENKUlT_SJ_SK_SL_E_clIPjSE_SF_SF_EESI_SY_SJ_SK_SL_EUlSY_E_NS1_11comp_targetILNS1_3genE4ELNS1_11target_archE910ELNS1_3gpuE8ELNS1_3repE0EEENS1_48merge_mergepath_partition_config_static_selectorELNS0_4arch9wavefront6targetE0EEEvSK_
	.p2align	8
	.type	_ZN7rocprim17ROCPRIM_400000_NS6detail17trampoline_kernelINS0_14default_configENS1_38merge_sort_block_merge_config_selectorIjNS0_10empty_typeEEEZZNS1_27merge_sort_block_merge_implIS3_N6thrust23THRUST_200600_302600_NS6detail15normal_iteratorINS9_10device_ptrIjEEEEPS5_m9comp_mod3IjEEE10hipError_tT0_T1_T2_jT3_P12ihipStream_tbPNSt15iterator_traitsISJ_E10value_typeEPNSP_ISK_E10value_typeEPSL_NS1_7vsmem_tEENKUlT_SJ_SK_SL_E_clIPjSE_SF_SF_EESI_SY_SJ_SK_SL_EUlSY_E_NS1_11comp_targetILNS1_3genE4ELNS1_11target_archE910ELNS1_3gpuE8ELNS1_3repE0EEENS1_48merge_mergepath_partition_config_static_selectorELNS0_4arch9wavefront6targetE0EEEvSK_,@function
_ZN7rocprim17ROCPRIM_400000_NS6detail17trampoline_kernelINS0_14default_configENS1_38merge_sort_block_merge_config_selectorIjNS0_10empty_typeEEEZZNS1_27merge_sort_block_merge_implIS3_N6thrust23THRUST_200600_302600_NS6detail15normal_iteratorINS9_10device_ptrIjEEEEPS5_m9comp_mod3IjEEE10hipError_tT0_T1_T2_jT3_P12ihipStream_tbPNSt15iterator_traitsISJ_E10value_typeEPNSP_ISK_E10value_typeEPSL_NS1_7vsmem_tEENKUlT_SJ_SK_SL_E_clIPjSE_SF_SF_EESI_SY_SJ_SK_SL_EUlSY_E_NS1_11comp_targetILNS1_3genE4ELNS1_11target_archE910ELNS1_3gpuE8ELNS1_3repE0EEENS1_48merge_mergepath_partition_config_static_selectorELNS0_4arch9wavefront6targetE0EEEvSK_: ; @_ZN7rocprim17ROCPRIM_400000_NS6detail17trampoline_kernelINS0_14default_configENS1_38merge_sort_block_merge_config_selectorIjNS0_10empty_typeEEEZZNS1_27merge_sort_block_merge_implIS3_N6thrust23THRUST_200600_302600_NS6detail15normal_iteratorINS9_10device_ptrIjEEEEPS5_m9comp_mod3IjEEE10hipError_tT0_T1_T2_jT3_P12ihipStream_tbPNSt15iterator_traitsISJ_E10value_typeEPNSP_ISK_E10value_typeEPSL_NS1_7vsmem_tEENKUlT_SJ_SK_SL_E_clIPjSE_SF_SF_EESI_SY_SJ_SK_SL_EUlSY_E_NS1_11comp_targetILNS1_3genE4ELNS1_11target_archE910ELNS1_3gpuE8ELNS1_3repE0EEENS1_48merge_mergepath_partition_config_static_selectorELNS0_4arch9wavefront6targetE0EEEvSK_
; %bb.0:
	.section	.rodata,"a",@progbits
	.p2align	6, 0x0
	.amdhsa_kernel _ZN7rocprim17ROCPRIM_400000_NS6detail17trampoline_kernelINS0_14default_configENS1_38merge_sort_block_merge_config_selectorIjNS0_10empty_typeEEEZZNS1_27merge_sort_block_merge_implIS3_N6thrust23THRUST_200600_302600_NS6detail15normal_iteratorINS9_10device_ptrIjEEEEPS5_m9comp_mod3IjEEE10hipError_tT0_T1_T2_jT3_P12ihipStream_tbPNSt15iterator_traitsISJ_E10value_typeEPNSP_ISK_E10value_typeEPSL_NS1_7vsmem_tEENKUlT_SJ_SK_SL_E_clIPjSE_SF_SF_EESI_SY_SJ_SK_SL_EUlSY_E_NS1_11comp_targetILNS1_3genE4ELNS1_11target_archE910ELNS1_3gpuE8ELNS1_3repE0EEENS1_48merge_mergepath_partition_config_static_selectorELNS0_4arch9wavefront6targetE0EEEvSK_
		.amdhsa_group_segment_fixed_size 0
		.amdhsa_private_segment_fixed_size 0
		.amdhsa_kernarg_size 48
		.amdhsa_user_sgpr_count 6
		.amdhsa_user_sgpr_private_segment_buffer 1
		.amdhsa_user_sgpr_dispatch_ptr 0
		.amdhsa_user_sgpr_queue_ptr 0
		.amdhsa_user_sgpr_kernarg_segment_ptr 1
		.amdhsa_user_sgpr_dispatch_id 0
		.amdhsa_user_sgpr_flat_scratch_init 0
		.amdhsa_user_sgpr_private_segment_size 0
		.amdhsa_wavefront_size32 1
		.amdhsa_uses_dynamic_stack 0
		.amdhsa_system_sgpr_private_segment_wavefront_offset 0
		.amdhsa_system_sgpr_workgroup_id_x 1
		.amdhsa_system_sgpr_workgroup_id_y 0
		.amdhsa_system_sgpr_workgroup_id_z 0
		.amdhsa_system_sgpr_workgroup_info 0
		.amdhsa_system_vgpr_workitem_id 0
		.amdhsa_next_free_vgpr 1
		.amdhsa_next_free_sgpr 1
		.amdhsa_reserve_vcc 0
		.amdhsa_reserve_flat_scratch 0
		.amdhsa_float_round_mode_32 0
		.amdhsa_float_round_mode_16_64 0
		.amdhsa_float_denorm_mode_32 3
		.amdhsa_float_denorm_mode_16_64 3
		.amdhsa_dx10_clamp 1
		.amdhsa_ieee_mode 1
		.amdhsa_fp16_overflow 0
		.amdhsa_workgroup_processor_mode 1
		.amdhsa_memory_ordered 1
		.amdhsa_forward_progress 1
		.amdhsa_shared_vgpr_count 0
		.amdhsa_exception_fp_ieee_invalid_op 0
		.amdhsa_exception_fp_denorm_src 0
		.amdhsa_exception_fp_ieee_div_zero 0
		.amdhsa_exception_fp_ieee_overflow 0
		.amdhsa_exception_fp_ieee_underflow 0
		.amdhsa_exception_fp_ieee_inexact 0
		.amdhsa_exception_int_div_zero 0
	.end_amdhsa_kernel
	.section	.text._ZN7rocprim17ROCPRIM_400000_NS6detail17trampoline_kernelINS0_14default_configENS1_38merge_sort_block_merge_config_selectorIjNS0_10empty_typeEEEZZNS1_27merge_sort_block_merge_implIS3_N6thrust23THRUST_200600_302600_NS6detail15normal_iteratorINS9_10device_ptrIjEEEEPS5_m9comp_mod3IjEEE10hipError_tT0_T1_T2_jT3_P12ihipStream_tbPNSt15iterator_traitsISJ_E10value_typeEPNSP_ISK_E10value_typeEPSL_NS1_7vsmem_tEENKUlT_SJ_SK_SL_E_clIPjSE_SF_SF_EESI_SY_SJ_SK_SL_EUlSY_E_NS1_11comp_targetILNS1_3genE4ELNS1_11target_archE910ELNS1_3gpuE8ELNS1_3repE0EEENS1_48merge_mergepath_partition_config_static_selectorELNS0_4arch9wavefront6targetE0EEEvSK_,"axG",@progbits,_ZN7rocprim17ROCPRIM_400000_NS6detail17trampoline_kernelINS0_14default_configENS1_38merge_sort_block_merge_config_selectorIjNS0_10empty_typeEEEZZNS1_27merge_sort_block_merge_implIS3_N6thrust23THRUST_200600_302600_NS6detail15normal_iteratorINS9_10device_ptrIjEEEEPS5_m9comp_mod3IjEEE10hipError_tT0_T1_T2_jT3_P12ihipStream_tbPNSt15iterator_traitsISJ_E10value_typeEPNSP_ISK_E10value_typeEPSL_NS1_7vsmem_tEENKUlT_SJ_SK_SL_E_clIPjSE_SF_SF_EESI_SY_SJ_SK_SL_EUlSY_E_NS1_11comp_targetILNS1_3genE4ELNS1_11target_archE910ELNS1_3gpuE8ELNS1_3repE0EEENS1_48merge_mergepath_partition_config_static_selectorELNS0_4arch9wavefront6targetE0EEEvSK_,comdat
.Lfunc_end819:
	.size	_ZN7rocprim17ROCPRIM_400000_NS6detail17trampoline_kernelINS0_14default_configENS1_38merge_sort_block_merge_config_selectorIjNS0_10empty_typeEEEZZNS1_27merge_sort_block_merge_implIS3_N6thrust23THRUST_200600_302600_NS6detail15normal_iteratorINS9_10device_ptrIjEEEEPS5_m9comp_mod3IjEEE10hipError_tT0_T1_T2_jT3_P12ihipStream_tbPNSt15iterator_traitsISJ_E10value_typeEPNSP_ISK_E10value_typeEPSL_NS1_7vsmem_tEENKUlT_SJ_SK_SL_E_clIPjSE_SF_SF_EESI_SY_SJ_SK_SL_EUlSY_E_NS1_11comp_targetILNS1_3genE4ELNS1_11target_archE910ELNS1_3gpuE8ELNS1_3repE0EEENS1_48merge_mergepath_partition_config_static_selectorELNS0_4arch9wavefront6targetE0EEEvSK_, .Lfunc_end819-_ZN7rocprim17ROCPRIM_400000_NS6detail17trampoline_kernelINS0_14default_configENS1_38merge_sort_block_merge_config_selectorIjNS0_10empty_typeEEEZZNS1_27merge_sort_block_merge_implIS3_N6thrust23THRUST_200600_302600_NS6detail15normal_iteratorINS9_10device_ptrIjEEEEPS5_m9comp_mod3IjEEE10hipError_tT0_T1_T2_jT3_P12ihipStream_tbPNSt15iterator_traitsISJ_E10value_typeEPNSP_ISK_E10value_typeEPSL_NS1_7vsmem_tEENKUlT_SJ_SK_SL_E_clIPjSE_SF_SF_EESI_SY_SJ_SK_SL_EUlSY_E_NS1_11comp_targetILNS1_3genE4ELNS1_11target_archE910ELNS1_3gpuE8ELNS1_3repE0EEENS1_48merge_mergepath_partition_config_static_selectorELNS0_4arch9wavefront6targetE0EEEvSK_
                                        ; -- End function
	.set _ZN7rocprim17ROCPRIM_400000_NS6detail17trampoline_kernelINS0_14default_configENS1_38merge_sort_block_merge_config_selectorIjNS0_10empty_typeEEEZZNS1_27merge_sort_block_merge_implIS3_N6thrust23THRUST_200600_302600_NS6detail15normal_iteratorINS9_10device_ptrIjEEEEPS5_m9comp_mod3IjEEE10hipError_tT0_T1_T2_jT3_P12ihipStream_tbPNSt15iterator_traitsISJ_E10value_typeEPNSP_ISK_E10value_typeEPSL_NS1_7vsmem_tEENKUlT_SJ_SK_SL_E_clIPjSE_SF_SF_EESI_SY_SJ_SK_SL_EUlSY_E_NS1_11comp_targetILNS1_3genE4ELNS1_11target_archE910ELNS1_3gpuE8ELNS1_3repE0EEENS1_48merge_mergepath_partition_config_static_selectorELNS0_4arch9wavefront6targetE0EEEvSK_.num_vgpr, 0
	.set _ZN7rocprim17ROCPRIM_400000_NS6detail17trampoline_kernelINS0_14default_configENS1_38merge_sort_block_merge_config_selectorIjNS0_10empty_typeEEEZZNS1_27merge_sort_block_merge_implIS3_N6thrust23THRUST_200600_302600_NS6detail15normal_iteratorINS9_10device_ptrIjEEEEPS5_m9comp_mod3IjEEE10hipError_tT0_T1_T2_jT3_P12ihipStream_tbPNSt15iterator_traitsISJ_E10value_typeEPNSP_ISK_E10value_typeEPSL_NS1_7vsmem_tEENKUlT_SJ_SK_SL_E_clIPjSE_SF_SF_EESI_SY_SJ_SK_SL_EUlSY_E_NS1_11comp_targetILNS1_3genE4ELNS1_11target_archE910ELNS1_3gpuE8ELNS1_3repE0EEENS1_48merge_mergepath_partition_config_static_selectorELNS0_4arch9wavefront6targetE0EEEvSK_.num_agpr, 0
	.set _ZN7rocprim17ROCPRIM_400000_NS6detail17trampoline_kernelINS0_14default_configENS1_38merge_sort_block_merge_config_selectorIjNS0_10empty_typeEEEZZNS1_27merge_sort_block_merge_implIS3_N6thrust23THRUST_200600_302600_NS6detail15normal_iteratorINS9_10device_ptrIjEEEEPS5_m9comp_mod3IjEEE10hipError_tT0_T1_T2_jT3_P12ihipStream_tbPNSt15iterator_traitsISJ_E10value_typeEPNSP_ISK_E10value_typeEPSL_NS1_7vsmem_tEENKUlT_SJ_SK_SL_E_clIPjSE_SF_SF_EESI_SY_SJ_SK_SL_EUlSY_E_NS1_11comp_targetILNS1_3genE4ELNS1_11target_archE910ELNS1_3gpuE8ELNS1_3repE0EEENS1_48merge_mergepath_partition_config_static_selectorELNS0_4arch9wavefront6targetE0EEEvSK_.numbered_sgpr, 0
	.set _ZN7rocprim17ROCPRIM_400000_NS6detail17trampoline_kernelINS0_14default_configENS1_38merge_sort_block_merge_config_selectorIjNS0_10empty_typeEEEZZNS1_27merge_sort_block_merge_implIS3_N6thrust23THRUST_200600_302600_NS6detail15normal_iteratorINS9_10device_ptrIjEEEEPS5_m9comp_mod3IjEEE10hipError_tT0_T1_T2_jT3_P12ihipStream_tbPNSt15iterator_traitsISJ_E10value_typeEPNSP_ISK_E10value_typeEPSL_NS1_7vsmem_tEENKUlT_SJ_SK_SL_E_clIPjSE_SF_SF_EESI_SY_SJ_SK_SL_EUlSY_E_NS1_11comp_targetILNS1_3genE4ELNS1_11target_archE910ELNS1_3gpuE8ELNS1_3repE0EEENS1_48merge_mergepath_partition_config_static_selectorELNS0_4arch9wavefront6targetE0EEEvSK_.num_named_barrier, 0
	.set _ZN7rocprim17ROCPRIM_400000_NS6detail17trampoline_kernelINS0_14default_configENS1_38merge_sort_block_merge_config_selectorIjNS0_10empty_typeEEEZZNS1_27merge_sort_block_merge_implIS3_N6thrust23THRUST_200600_302600_NS6detail15normal_iteratorINS9_10device_ptrIjEEEEPS5_m9comp_mod3IjEEE10hipError_tT0_T1_T2_jT3_P12ihipStream_tbPNSt15iterator_traitsISJ_E10value_typeEPNSP_ISK_E10value_typeEPSL_NS1_7vsmem_tEENKUlT_SJ_SK_SL_E_clIPjSE_SF_SF_EESI_SY_SJ_SK_SL_EUlSY_E_NS1_11comp_targetILNS1_3genE4ELNS1_11target_archE910ELNS1_3gpuE8ELNS1_3repE0EEENS1_48merge_mergepath_partition_config_static_selectorELNS0_4arch9wavefront6targetE0EEEvSK_.private_seg_size, 0
	.set _ZN7rocprim17ROCPRIM_400000_NS6detail17trampoline_kernelINS0_14default_configENS1_38merge_sort_block_merge_config_selectorIjNS0_10empty_typeEEEZZNS1_27merge_sort_block_merge_implIS3_N6thrust23THRUST_200600_302600_NS6detail15normal_iteratorINS9_10device_ptrIjEEEEPS5_m9comp_mod3IjEEE10hipError_tT0_T1_T2_jT3_P12ihipStream_tbPNSt15iterator_traitsISJ_E10value_typeEPNSP_ISK_E10value_typeEPSL_NS1_7vsmem_tEENKUlT_SJ_SK_SL_E_clIPjSE_SF_SF_EESI_SY_SJ_SK_SL_EUlSY_E_NS1_11comp_targetILNS1_3genE4ELNS1_11target_archE910ELNS1_3gpuE8ELNS1_3repE0EEENS1_48merge_mergepath_partition_config_static_selectorELNS0_4arch9wavefront6targetE0EEEvSK_.uses_vcc, 0
	.set _ZN7rocprim17ROCPRIM_400000_NS6detail17trampoline_kernelINS0_14default_configENS1_38merge_sort_block_merge_config_selectorIjNS0_10empty_typeEEEZZNS1_27merge_sort_block_merge_implIS3_N6thrust23THRUST_200600_302600_NS6detail15normal_iteratorINS9_10device_ptrIjEEEEPS5_m9comp_mod3IjEEE10hipError_tT0_T1_T2_jT3_P12ihipStream_tbPNSt15iterator_traitsISJ_E10value_typeEPNSP_ISK_E10value_typeEPSL_NS1_7vsmem_tEENKUlT_SJ_SK_SL_E_clIPjSE_SF_SF_EESI_SY_SJ_SK_SL_EUlSY_E_NS1_11comp_targetILNS1_3genE4ELNS1_11target_archE910ELNS1_3gpuE8ELNS1_3repE0EEENS1_48merge_mergepath_partition_config_static_selectorELNS0_4arch9wavefront6targetE0EEEvSK_.uses_flat_scratch, 0
	.set _ZN7rocprim17ROCPRIM_400000_NS6detail17trampoline_kernelINS0_14default_configENS1_38merge_sort_block_merge_config_selectorIjNS0_10empty_typeEEEZZNS1_27merge_sort_block_merge_implIS3_N6thrust23THRUST_200600_302600_NS6detail15normal_iteratorINS9_10device_ptrIjEEEEPS5_m9comp_mod3IjEEE10hipError_tT0_T1_T2_jT3_P12ihipStream_tbPNSt15iterator_traitsISJ_E10value_typeEPNSP_ISK_E10value_typeEPSL_NS1_7vsmem_tEENKUlT_SJ_SK_SL_E_clIPjSE_SF_SF_EESI_SY_SJ_SK_SL_EUlSY_E_NS1_11comp_targetILNS1_3genE4ELNS1_11target_archE910ELNS1_3gpuE8ELNS1_3repE0EEENS1_48merge_mergepath_partition_config_static_selectorELNS0_4arch9wavefront6targetE0EEEvSK_.has_dyn_sized_stack, 0
	.set _ZN7rocprim17ROCPRIM_400000_NS6detail17trampoline_kernelINS0_14default_configENS1_38merge_sort_block_merge_config_selectorIjNS0_10empty_typeEEEZZNS1_27merge_sort_block_merge_implIS3_N6thrust23THRUST_200600_302600_NS6detail15normal_iteratorINS9_10device_ptrIjEEEEPS5_m9comp_mod3IjEEE10hipError_tT0_T1_T2_jT3_P12ihipStream_tbPNSt15iterator_traitsISJ_E10value_typeEPNSP_ISK_E10value_typeEPSL_NS1_7vsmem_tEENKUlT_SJ_SK_SL_E_clIPjSE_SF_SF_EESI_SY_SJ_SK_SL_EUlSY_E_NS1_11comp_targetILNS1_3genE4ELNS1_11target_archE910ELNS1_3gpuE8ELNS1_3repE0EEENS1_48merge_mergepath_partition_config_static_selectorELNS0_4arch9wavefront6targetE0EEEvSK_.has_recursion, 0
	.set _ZN7rocprim17ROCPRIM_400000_NS6detail17trampoline_kernelINS0_14default_configENS1_38merge_sort_block_merge_config_selectorIjNS0_10empty_typeEEEZZNS1_27merge_sort_block_merge_implIS3_N6thrust23THRUST_200600_302600_NS6detail15normal_iteratorINS9_10device_ptrIjEEEEPS5_m9comp_mod3IjEEE10hipError_tT0_T1_T2_jT3_P12ihipStream_tbPNSt15iterator_traitsISJ_E10value_typeEPNSP_ISK_E10value_typeEPSL_NS1_7vsmem_tEENKUlT_SJ_SK_SL_E_clIPjSE_SF_SF_EESI_SY_SJ_SK_SL_EUlSY_E_NS1_11comp_targetILNS1_3genE4ELNS1_11target_archE910ELNS1_3gpuE8ELNS1_3repE0EEENS1_48merge_mergepath_partition_config_static_selectorELNS0_4arch9wavefront6targetE0EEEvSK_.has_indirect_call, 0
	.section	.AMDGPU.csdata,"",@progbits
; Kernel info:
; codeLenInByte = 0
; TotalNumSgprs: 0
; NumVgprs: 0
; ScratchSize: 0
; MemoryBound: 0
; FloatMode: 240
; IeeeMode: 1
; LDSByteSize: 0 bytes/workgroup (compile time only)
; SGPRBlocks: 0
; VGPRBlocks: 0
; NumSGPRsForWavesPerEU: 1
; NumVGPRsForWavesPerEU: 1
; Occupancy: 16
; WaveLimiterHint : 0
; COMPUTE_PGM_RSRC2:SCRATCH_EN: 0
; COMPUTE_PGM_RSRC2:USER_SGPR: 6
; COMPUTE_PGM_RSRC2:TRAP_HANDLER: 0
; COMPUTE_PGM_RSRC2:TGID_X_EN: 1
; COMPUTE_PGM_RSRC2:TGID_Y_EN: 0
; COMPUTE_PGM_RSRC2:TGID_Z_EN: 0
; COMPUTE_PGM_RSRC2:TIDIG_COMP_CNT: 0
	.section	.text._ZN7rocprim17ROCPRIM_400000_NS6detail17trampoline_kernelINS0_14default_configENS1_38merge_sort_block_merge_config_selectorIjNS0_10empty_typeEEEZZNS1_27merge_sort_block_merge_implIS3_N6thrust23THRUST_200600_302600_NS6detail15normal_iteratorINS9_10device_ptrIjEEEEPS5_m9comp_mod3IjEEE10hipError_tT0_T1_T2_jT3_P12ihipStream_tbPNSt15iterator_traitsISJ_E10value_typeEPNSP_ISK_E10value_typeEPSL_NS1_7vsmem_tEENKUlT_SJ_SK_SL_E_clIPjSE_SF_SF_EESI_SY_SJ_SK_SL_EUlSY_E_NS1_11comp_targetILNS1_3genE3ELNS1_11target_archE908ELNS1_3gpuE7ELNS1_3repE0EEENS1_48merge_mergepath_partition_config_static_selectorELNS0_4arch9wavefront6targetE0EEEvSK_,"axG",@progbits,_ZN7rocprim17ROCPRIM_400000_NS6detail17trampoline_kernelINS0_14default_configENS1_38merge_sort_block_merge_config_selectorIjNS0_10empty_typeEEEZZNS1_27merge_sort_block_merge_implIS3_N6thrust23THRUST_200600_302600_NS6detail15normal_iteratorINS9_10device_ptrIjEEEEPS5_m9comp_mod3IjEEE10hipError_tT0_T1_T2_jT3_P12ihipStream_tbPNSt15iterator_traitsISJ_E10value_typeEPNSP_ISK_E10value_typeEPSL_NS1_7vsmem_tEENKUlT_SJ_SK_SL_E_clIPjSE_SF_SF_EESI_SY_SJ_SK_SL_EUlSY_E_NS1_11comp_targetILNS1_3genE3ELNS1_11target_archE908ELNS1_3gpuE7ELNS1_3repE0EEENS1_48merge_mergepath_partition_config_static_selectorELNS0_4arch9wavefront6targetE0EEEvSK_,comdat
	.protected	_ZN7rocprim17ROCPRIM_400000_NS6detail17trampoline_kernelINS0_14default_configENS1_38merge_sort_block_merge_config_selectorIjNS0_10empty_typeEEEZZNS1_27merge_sort_block_merge_implIS3_N6thrust23THRUST_200600_302600_NS6detail15normal_iteratorINS9_10device_ptrIjEEEEPS5_m9comp_mod3IjEEE10hipError_tT0_T1_T2_jT3_P12ihipStream_tbPNSt15iterator_traitsISJ_E10value_typeEPNSP_ISK_E10value_typeEPSL_NS1_7vsmem_tEENKUlT_SJ_SK_SL_E_clIPjSE_SF_SF_EESI_SY_SJ_SK_SL_EUlSY_E_NS1_11comp_targetILNS1_3genE3ELNS1_11target_archE908ELNS1_3gpuE7ELNS1_3repE0EEENS1_48merge_mergepath_partition_config_static_selectorELNS0_4arch9wavefront6targetE0EEEvSK_ ; -- Begin function _ZN7rocprim17ROCPRIM_400000_NS6detail17trampoline_kernelINS0_14default_configENS1_38merge_sort_block_merge_config_selectorIjNS0_10empty_typeEEEZZNS1_27merge_sort_block_merge_implIS3_N6thrust23THRUST_200600_302600_NS6detail15normal_iteratorINS9_10device_ptrIjEEEEPS5_m9comp_mod3IjEEE10hipError_tT0_T1_T2_jT3_P12ihipStream_tbPNSt15iterator_traitsISJ_E10value_typeEPNSP_ISK_E10value_typeEPSL_NS1_7vsmem_tEENKUlT_SJ_SK_SL_E_clIPjSE_SF_SF_EESI_SY_SJ_SK_SL_EUlSY_E_NS1_11comp_targetILNS1_3genE3ELNS1_11target_archE908ELNS1_3gpuE7ELNS1_3repE0EEENS1_48merge_mergepath_partition_config_static_selectorELNS0_4arch9wavefront6targetE0EEEvSK_
	.globl	_ZN7rocprim17ROCPRIM_400000_NS6detail17trampoline_kernelINS0_14default_configENS1_38merge_sort_block_merge_config_selectorIjNS0_10empty_typeEEEZZNS1_27merge_sort_block_merge_implIS3_N6thrust23THRUST_200600_302600_NS6detail15normal_iteratorINS9_10device_ptrIjEEEEPS5_m9comp_mod3IjEEE10hipError_tT0_T1_T2_jT3_P12ihipStream_tbPNSt15iterator_traitsISJ_E10value_typeEPNSP_ISK_E10value_typeEPSL_NS1_7vsmem_tEENKUlT_SJ_SK_SL_E_clIPjSE_SF_SF_EESI_SY_SJ_SK_SL_EUlSY_E_NS1_11comp_targetILNS1_3genE3ELNS1_11target_archE908ELNS1_3gpuE7ELNS1_3repE0EEENS1_48merge_mergepath_partition_config_static_selectorELNS0_4arch9wavefront6targetE0EEEvSK_
	.p2align	8
	.type	_ZN7rocprim17ROCPRIM_400000_NS6detail17trampoline_kernelINS0_14default_configENS1_38merge_sort_block_merge_config_selectorIjNS0_10empty_typeEEEZZNS1_27merge_sort_block_merge_implIS3_N6thrust23THRUST_200600_302600_NS6detail15normal_iteratorINS9_10device_ptrIjEEEEPS5_m9comp_mod3IjEEE10hipError_tT0_T1_T2_jT3_P12ihipStream_tbPNSt15iterator_traitsISJ_E10value_typeEPNSP_ISK_E10value_typeEPSL_NS1_7vsmem_tEENKUlT_SJ_SK_SL_E_clIPjSE_SF_SF_EESI_SY_SJ_SK_SL_EUlSY_E_NS1_11comp_targetILNS1_3genE3ELNS1_11target_archE908ELNS1_3gpuE7ELNS1_3repE0EEENS1_48merge_mergepath_partition_config_static_selectorELNS0_4arch9wavefront6targetE0EEEvSK_,@function
_ZN7rocprim17ROCPRIM_400000_NS6detail17trampoline_kernelINS0_14default_configENS1_38merge_sort_block_merge_config_selectorIjNS0_10empty_typeEEEZZNS1_27merge_sort_block_merge_implIS3_N6thrust23THRUST_200600_302600_NS6detail15normal_iteratorINS9_10device_ptrIjEEEEPS5_m9comp_mod3IjEEE10hipError_tT0_T1_T2_jT3_P12ihipStream_tbPNSt15iterator_traitsISJ_E10value_typeEPNSP_ISK_E10value_typeEPSL_NS1_7vsmem_tEENKUlT_SJ_SK_SL_E_clIPjSE_SF_SF_EESI_SY_SJ_SK_SL_EUlSY_E_NS1_11comp_targetILNS1_3genE3ELNS1_11target_archE908ELNS1_3gpuE7ELNS1_3repE0EEENS1_48merge_mergepath_partition_config_static_selectorELNS0_4arch9wavefront6targetE0EEEvSK_: ; @_ZN7rocprim17ROCPRIM_400000_NS6detail17trampoline_kernelINS0_14default_configENS1_38merge_sort_block_merge_config_selectorIjNS0_10empty_typeEEEZZNS1_27merge_sort_block_merge_implIS3_N6thrust23THRUST_200600_302600_NS6detail15normal_iteratorINS9_10device_ptrIjEEEEPS5_m9comp_mod3IjEEE10hipError_tT0_T1_T2_jT3_P12ihipStream_tbPNSt15iterator_traitsISJ_E10value_typeEPNSP_ISK_E10value_typeEPSL_NS1_7vsmem_tEENKUlT_SJ_SK_SL_E_clIPjSE_SF_SF_EESI_SY_SJ_SK_SL_EUlSY_E_NS1_11comp_targetILNS1_3genE3ELNS1_11target_archE908ELNS1_3gpuE7ELNS1_3repE0EEENS1_48merge_mergepath_partition_config_static_selectorELNS0_4arch9wavefront6targetE0EEEvSK_
; %bb.0:
	.section	.rodata,"a",@progbits
	.p2align	6, 0x0
	.amdhsa_kernel _ZN7rocprim17ROCPRIM_400000_NS6detail17trampoline_kernelINS0_14default_configENS1_38merge_sort_block_merge_config_selectorIjNS0_10empty_typeEEEZZNS1_27merge_sort_block_merge_implIS3_N6thrust23THRUST_200600_302600_NS6detail15normal_iteratorINS9_10device_ptrIjEEEEPS5_m9comp_mod3IjEEE10hipError_tT0_T1_T2_jT3_P12ihipStream_tbPNSt15iterator_traitsISJ_E10value_typeEPNSP_ISK_E10value_typeEPSL_NS1_7vsmem_tEENKUlT_SJ_SK_SL_E_clIPjSE_SF_SF_EESI_SY_SJ_SK_SL_EUlSY_E_NS1_11comp_targetILNS1_3genE3ELNS1_11target_archE908ELNS1_3gpuE7ELNS1_3repE0EEENS1_48merge_mergepath_partition_config_static_selectorELNS0_4arch9wavefront6targetE0EEEvSK_
		.amdhsa_group_segment_fixed_size 0
		.amdhsa_private_segment_fixed_size 0
		.amdhsa_kernarg_size 48
		.amdhsa_user_sgpr_count 6
		.amdhsa_user_sgpr_private_segment_buffer 1
		.amdhsa_user_sgpr_dispatch_ptr 0
		.amdhsa_user_sgpr_queue_ptr 0
		.amdhsa_user_sgpr_kernarg_segment_ptr 1
		.amdhsa_user_sgpr_dispatch_id 0
		.amdhsa_user_sgpr_flat_scratch_init 0
		.amdhsa_user_sgpr_private_segment_size 0
		.amdhsa_wavefront_size32 1
		.amdhsa_uses_dynamic_stack 0
		.amdhsa_system_sgpr_private_segment_wavefront_offset 0
		.amdhsa_system_sgpr_workgroup_id_x 1
		.amdhsa_system_sgpr_workgroup_id_y 0
		.amdhsa_system_sgpr_workgroup_id_z 0
		.amdhsa_system_sgpr_workgroup_info 0
		.amdhsa_system_vgpr_workitem_id 0
		.amdhsa_next_free_vgpr 1
		.amdhsa_next_free_sgpr 1
		.amdhsa_reserve_vcc 0
		.amdhsa_reserve_flat_scratch 0
		.amdhsa_float_round_mode_32 0
		.amdhsa_float_round_mode_16_64 0
		.amdhsa_float_denorm_mode_32 3
		.amdhsa_float_denorm_mode_16_64 3
		.amdhsa_dx10_clamp 1
		.amdhsa_ieee_mode 1
		.amdhsa_fp16_overflow 0
		.amdhsa_workgroup_processor_mode 1
		.amdhsa_memory_ordered 1
		.amdhsa_forward_progress 1
		.amdhsa_shared_vgpr_count 0
		.amdhsa_exception_fp_ieee_invalid_op 0
		.amdhsa_exception_fp_denorm_src 0
		.amdhsa_exception_fp_ieee_div_zero 0
		.amdhsa_exception_fp_ieee_overflow 0
		.amdhsa_exception_fp_ieee_underflow 0
		.amdhsa_exception_fp_ieee_inexact 0
		.amdhsa_exception_int_div_zero 0
	.end_amdhsa_kernel
	.section	.text._ZN7rocprim17ROCPRIM_400000_NS6detail17trampoline_kernelINS0_14default_configENS1_38merge_sort_block_merge_config_selectorIjNS0_10empty_typeEEEZZNS1_27merge_sort_block_merge_implIS3_N6thrust23THRUST_200600_302600_NS6detail15normal_iteratorINS9_10device_ptrIjEEEEPS5_m9comp_mod3IjEEE10hipError_tT0_T1_T2_jT3_P12ihipStream_tbPNSt15iterator_traitsISJ_E10value_typeEPNSP_ISK_E10value_typeEPSL_NS1_7vsmem_tEENKUlT_SJ_SK_SL_E_clIPjSE_SF_SF_EESI_SY_SJ_SK_SL_EUlSY_E_NS1_11comp_targetILNS1_3genE3ELNS1_11target_archE908ELNS1_3gpuE7ELNS1_3repE0EEENS1_48merge_mergepath_partition_config_static_selectorELNS0_4arch9wavefront6targetE0EEEvSK_,"axG",@progbits,_ZN7rocprim17ROCPRIM_400000_NS6detail17trampoline_kernelINS0_14default_configENS1_38merge_sort_block_merge_config_selectorIjNS0_10empty_typeEEEZZNS1_27merge_sort_block_merge_implIS3_N6thrust23THRUST_200600_302600_NS6detail15normal_iteratorINS9_10device_ptrIjEEEEPS5_m9comp_mod3IjEEE10hipError_tT0_T1_T2_jT3_P12ihipStream_tbPNSt15iterator_traitsISJ_E10value_typeEPNSP_ISK_E10value_typeEPSL_NS1_7vsmem_tEENKUlT_SJ_SK_SL_E_clIPjSE_SF_SF_EESI_SY_SJ_SK_SL_EUlSY_E_NS1_11comp_targetILNS1_3genE3ELNS1_11target_archE908ELNS1_3gpuE7ELNS1_3repE0EEENS1_48merge_mergepath_partition_config_static_selectorELNS0_4arch9wavefront6targetE0EEEvSK_,comdat
.Lfunc_end820:
	.size	_ZN7rocprim17ROCPRIM_400000_NS6detail17trampoline_kernelINS0_14default_configENS1_38merge_sort_block_merge_config_selectorIjNS0_10empty_typeEEEZZNS1_27merge_sort_block_merge_implIS3_N6thrust23THRUST_200600_302600_NS6detail15normal_iteratorINS9_10device_ptrIjEEEEPS5_m9comp_mod3IjEEE10hipError_tT0_T1_T2_jT3_P12ihipStream_tbPNSt15iterator_traitsISJ_E10value_typeEPNSP_ISK_E10value_typeEPSL_NS1_7vsmem_tEENKUlT_SJ_SK_SL_E_clIPjSE_SF_SF_EESI_SY_SJ_SK_SL_EUlSY_E_NS1_11comp_targetILNS1_3genE3ELNS1_11target_archE908ELNS1_3gpuE7ELNS1_3repE0EEENS1_48merge_mergepath_partition_config_static_selectorELNS0_4arch9wavefront6targetE0EEEvSK_, .Lfunc_end820-_ZN7rocprim17ROCPRIM_400000_NS6detail17trampoline_kernelINS0_14default_configENS1_38merge_sort_block_merge_config_selectorIjNS0_10empty_typeEEEZZNS1_27merge_sort_block_merge_implIS3_N6thrust23THRUST_200600_302600_NS6detail15normal_iteratorINS9_10device_ptrIjEEEEPS5_m9comp_mod3IjEEE10hipError_tT0_T1_T2_jT3_P12ihipStream_tbPNSt15iterator_traitsISJ_E10value_typeEPNSP_ISK_E10value_typeEPSL_NS1_7vsmem_tEENKUlT_SJ_SK_SL_E_clIPjSE_SF_SF_EESI_SY_SJ_SK_SL_EUlSY_E_NS1_11comp_targetILNS1_3genE3ELNS1_11target_archE908ELNS1_3gpuE7ELNS1_3repE0EEENS1_48merge_mergepath_partition_config_static_selectorELNS0_4arch9wavefront6targetE0EEEvSK_
                                        ; -- End function
	.set _ZN7rocprim17ROCPRIM_400000_NS6detail17trampoline_kernelINS0_14default_configENS1_38merge_sort_block_merge_config_selectorIjNS0_10empty_typeEEEZZNS1_27merge_sort_block_merge_implIS3_N6thrust23THRUST_200600_302600_NS6detail15normal_iteratorINS9_10device_ptrIjEEEEPS5_m9comp_mod3IjEEE10hipError_tT0_T1_T2_jT3_P12ihipStream_tbPNSt15iterator_traitsISJ_E10value_typeEPNSP_ISK_E10value_typeEPSL_NS1_7vsmem_tEENKUlT_SJ_SK_SL_E_clIPjSE_SF_SF_EESI_SY_SJ_SK_SL_EUlSY_E_NS1_11comp_targetILNS1_3genE3ELNS1_11target_archE908ELNS1_3gpuE7ELNS1_3repE0EEENS1_48merge_mergepath_partition_config_static_selectorELNS0_4arch9wavefront6targetE0EEEvSK_.num_vgpr, 0
	.set _ZN7rocprim17ROCPRIM_400000_NS6detail17trampoline_kernelINS0_14default_configENS1_38merge_sort_block_merge_config_selectorIjNS0_10empty_typeEEEZZNS1_27merge_sort_block_merge_implIS3_N6thrust23THRUST_200600_302600_NS6detail15normal_iteratorINS9_10device_ptrIjEEEEPS5_m9comp_mod3IjEEE10hipError_tT0_T1_T2_jT3_P12ihipStream_tbPNSt15iterator_traitsISJ_E10value_typeEPNSP_ISK_E10value_typeEPSL_NS1_7vsmem_tEENKUlT_SJ_SK_SL_E_clIPjSE_SF_SF_EESI_SY_SJ_SK_SL_EUlSY_E_NS1_11comp_targetILNS1_3genE3ELNS1_11target_archE908ELNS1_3gpuE7ELNS1_3repE0EEENS1_48merge_mergepath_partition_config_static_selectorELNS0_4arch9wavefront6targetE0EEEvSK_.num_agpr, 0
	.set _ZN7rocprim17ROCPRIM_400000_NS6detail17trampoline_kernelINS0_14default_configENS1_38merge_sort_block_merge_config_selectorIjNS0_10empty_typeEEEZZNS1_27merge_sort_block_merge_implIS3_N6thrust23THRUST_200600_302600_NS6detail15normal_iteratorINS9_10device_ptrIjEEEEPS5_m9comp_mod3IjEEE10hipError_tT0_T1_T2_jT3_P12ihipStream_tbPNSt15iterator_traitsISJ_E10value_typeEPNSP_ISK_E10value_typeEPSL_NS1_7vsmem_tEENKUlT_SJ_SK_SL_E_clIPjSE_SF_SF_EESI_SY_SJ_SK_SL_EUlSY_E_NS1_11comp_targetILNS1_3genE3ELNS1_11target_archE908ELNS1_3gpuE7ELNS1_3repE0EEENS1_48merge_mergepath_partition_config_static_selectorELNS0_4arch9wavefront6targetE0EEEvSK_.numbered_sgpr, 0
	.set _ZN7rocprim17ROCPRIM_400000_NS6detail17trampoline_kernelINS0_14default_configENS1_38merge_sort_block_merge_config_selectorIjNS0_10empty_typeEEEZZNS1_27merge_sort_block_merge_implIS3_N6thrust23THRUST_200600_302600_NS6detail15normal_iteratorINS9_10device_ptrIjEEEEPS5_m9comp_mod3IjEEE10hipError_tT0_T1_T2_jT3_P12ihipStream_tbPNSt15iterator_traitsISJ_E10value_typeEPNSP_ISK_E10value_typeEPSL_NS1_7vsmem_tEENKUlT_SJ_SK_SL_E_clIPjSE_SF_SF_EESI_SY_SJ_SK_SL_EUlSY_E_NS1_11comp_targetILNS1_3genE3ELNS1_11target_archE908ELNS1_3gpuE7ELNS1_3repE0EEENS1_48merge_mergepath_partition_config_static_selectorELNS0_4arch9wavefront6targetE0EEEvSK_.num_named_barrier, 0
	.set _ZN7rocprim17ROCPRIM_400000_NS6detail17trampoline_kernelINS0_14default_configENS1_38merge_sort_block_merge_config_selectorIjNS0_10empty_typeEEEZZNS1_27merge_sort_block_merge_implIS3_N6thrust23THRUST_200600_302600_NS6detail15normal_iteratorINS9_10device_ptrIjEEEEPS5_m9comp_mod3IjEEE10hipError_tT0_T1_T2_jT3_P12ihipStream_tbPNSt15iterator_traitsISJ_E10value_typeEPNSP_ISK_E10value_typeEPSL_NS1_7vsmem_tEENKUlT_SJ_SK_SL_E_clIPjSE_SF_SF_EESI_SY_SJ_SK_SL_EUlSY_E_NS1_11comp_targetILNS1_3genE3ELNS1_11target_archE908ELNS1_3gpuE7ELNS1_3repE0EEENS1_48merge_mergepath_partition_config_static_selectorELNS0_4arch9wavefront6targetE0EEEvSK_.private_seg_size, 0
	.set _ZN7rocprim17ROCPRIM_400000_NS6detail17trampoline_kernelINS0_14default_configENS1_38merge_sort_block_merge_config_selectorIjNS0_10empty_typeEEEZZNS1_27merge_sort_block_merge_implIS3_N6thrust23THRUST_200600_302600_NS6detail15normal_iteratorINS9_10device_ptrIjEEEEPS5_m9comp_mod3IjEEE10hipError_tT0_T1_T2_jT3_P12ihipStream_tbPNSt15iterator_traitsISJ_E10value_typeEPNSP_ISK_E10value_typeEPSL_NS1_7vsmem_tEENKUlT_SJ_SK_SL_E_clIPjSE_SF_SF_EESI_SY_SJ_SK_SL_EUlSY_E_NS1_11comp_targetILNS1_3genE3ELNS1_11target_archE908ELNS1_3gpuE7ELNS1_3repE0EEENS1_48merge_mergepath_partition_config_static_selectorELNS0_4arch9wavefront6targetE0EEEvSK_.uses_vcc, 0
	.set _ZN7rocprim17ROCPRIM_400000_NS6detail17trampoline_kernelINS0_14default_configENS1_38merge_sort_block_merge_config_selectorIjNS0_10empty_typeEEEZZNS1_27merge_sort_block_merge_implIS3_N6thrust23THRUST_200600_302600_NS6detail15normal_iteratorINS9_10device_ptrIjEEEEPS5_m9comp_mod3IjEEE10hipError_tT0_T1_T2_jT3_P12ihipStream_tbPNSt15iterator_traitsISJ_E10value_typeEPNSP_ISK_E10value_typeEPSL_NS1_7vsmem_tEENKUlT_SJ_SK_SL_E_clIPjSE_SF_SF_EESI_SY_SJ_SK_SL_EUlSY_E_NS1_11comp_targetILNS1_3genE3ELNS1_11target_archE908ELNS1_3gpuE7ELNS1_3repE0EEENS1_48merge_mergepath_partition_config_static_selectorELNS0_4arch9wavefront6targetE0EEEvSK_.uses_flat_scratch, 0
	.set _ZN7rocprim17ROCPRIM_400000_NS6detail17trampoline_kernelINS0_14default_configENS1_38merge_sort_block_merge_config_selectorIjNS0_10empty_typeEEEZZNS1_27merge_sort_block_merge_implIS3_N6thrust23THRUST_200600_302600_NS6detail15normal_iteratorINS9_10device_ptrIjEEEEPS5_m9comp_mod3IjEEE10hipError_tT0_T1_T2_jT3_P12ihipStream_tbPNSt15iterator_traitsISJ_E10value_typeEPNSP_ISK_E10value_typeEPSL_NS1_7vsmem_tEENKUlT_SJ_SK_SL_E_clIPjSE_SF_SF_EESI_SY_SJ_SK_SL_EUlSY_E_NS1_11comp_targetILNS1_3genE3ELNS1_11target_archE908ELNS1_3gpuE7ELNS1_3repE0EEENS1_48merge_mergepath_partition_config_static_selectorELNS0_4arch9wavefront6targetE0EEEvSK_.has_dyn_sized_stack, 0
	.set _ZN7rocprim17ROCPRIM_400000_NS6detail17trampoline_kernelINS0_14default_configENS1_38merge_sort_block_merge_config_selectorIjNS0_10empty_typeEEEZZNS1_27merge_sort_block_merge_implIS3_N6thrust23THRUST_200600_302600_NS6detail15normal_iteratorINS9_10device_ptrIjEEEEPS5_m9comp_mod3IjEEE10hipError_tT0_T1_T2_jT3_P12ihipStream_tbPNSt15iterator_traitsISJ_E10value_typeEPNSP_ISK_E10value_typeEPSL_NS1_7vsmem_tEENKUlT_SJ_SK_SL_E_clIPjSE_SF_SF_EESI_SY_SJ_SK_SL_EUlSY_E_NS1_11comp_targetILNS1_3genE3ELNS1_11target_archE908ELNS1_3gpuE7ELNS1_3repE0EEENS1_48merge_mergepath_partition_config_static_selectorELNS0_4arch9wavefront6targetE0EEEvSK_.has_recursion, 0
	.set _ZN7rocprim17ROCPRIM_400000_NS6detail17trampoline_kernelINS0_14default_configENS1_38merge_sort_block_merge_config_selectorIjNS0_10empty_typeEEEZZNS1_27merge_sort_block_merge_implIS3_N6thrust23THRUST_200600_302600_NS6detail15normal_iteratorINS9_10device_ptrIjEEEEPS5_m9comp_mod3IjEEE10hipError_tT0_T1_T2_jT3_P12ihipStream_tbPNSt15iterator_traitsISJ_E10value_typeEPNSP_ISK_E10value_typeEPSL_NS1_7vsmem_tEENKUlT_SJ_SK_SL_E_clIPjSE_SF_SF_EESI_SY_SJ_SK_SL_EUlSY_E_NS1_11comp_targetILNS1_3genE3ELNS1_11target_archE908ELNS1_3gpuE7ELNS1_3repE0EEENS1_48merge_mergepath_partition_config_static_selectorELNS0_4arch9wavefront6targetE0EEEvSK_.has_indirect_call, 0
	.section	.AMDGPU.csdata,"",@progbits
; Kernel info:
; codeLenInByte = 0
; TotalNumSgprs: 0
; NumVgprs: 0
; ScratchSize: 0
; MemoryBound: 0
; FloatMode: 240
; IeeeMode: 1
; LDSByteSize: 0 bytes/workgroup (compile time only)
; SGPRBlocks: 0
; VGPRBlocks: 0
; NumSGPRsForWavesPerEU: 1
; NumVGPRsForWavesPerEU: 1
; Occupancy: 16
; WaveLimiterHint : 0
; COMPUTE_PGM_RSRC2:SCRATCH_EN: 0
; COMPUTE_PGM_RSRC2:USER_SGPR: 6
; COMPUTE_PGM_RSRC2:TRAP_HANDLER: 0
; COMPUTE_PGM_RSRC2:TGID_X_EN: 1
; COMPUTE_PGM_RSRC2:TGID_Y_EN: 0
; COMPUTE_PGM_RSRC2:TGID_Z_EN: 0
; COMPUTE_PGM_RSRC2:TIDIG_COMP_CNT: 0
	.section	.text._ZN7rocprim17ROCPRIM_400000_NS6detail17trampoline_kernelINS0_14default_configENS1_38merge_sort_block_merge_config_selectorIjNS0_10empty_typeEEEZZNS1_27merge_sort_block_merge_implIS3_N6thrust23THRUST_200600_302600_NS6detail15normal_iteratorINS9_10device_ptrIjEEEEPS5_m9comp_mod3IjEEE10hipError_tT0_T1_T2_jT3_P12ihipStream_tbPNSt15iterator_traitsISJ_E10value_typeEPNSP_ISK_E10value_typeEPSL_NS1_7vsmem_tEENKUlT_SJ_SK_SL_E_clIPjSE_SF_SF_EESI_SY_SJ_SK_SL_EUlSY_E_NS1_11comp_targetILNS1_3genE2ELNS1_11target_archE906ELNS1_3gpuE6ELNS1_3repE0EEENS1_48merge_mergepath_partition_config_static_selectorELNS0_4arch9wavefront6targetE0EEEvSK_,"axG",@progbits,_ZN7rocprim17ROCPRIM_400000_NS6detail17trampoline_kernelINS0_14default_configENS1_38merge_sort_block_merge_config_selectorIjNS0_10empty_typeEEEZZNS1_27merge_sort_block_merge_implIS3_N6thrust23THRUST_200600_302600_NS6detail15normal_iteratorINS9_10device_ptrIjEEEEPS5_m9comp_mod3IjEEE10hipError_tT0_T1_T2_jT3_P12ihipStream_tbPNSt15iterator_traitsISJ_E10value_typeEPNSP_ISK_E10value_typeEPSL_NS1_7vsmem_tEENKUlT_SJ_SK_SL_E_clIPjSE_SF_SF_EESI_SY_SJ_SK_SL_EUlSY_E_NS1_11comp_targetILNS1_3genE2ELNS1_11target_archE906ELNS1_3gpuE6ELNS1_3repE0EEENS1_48merge_mergepath_partition_config_static_selectorELNS0_4arch9wavefront6targetE0EEEvSK_,comdat
	.protected	_ZN7rocprim17ROCPRIM_400000_NS6detail17trampoline_kernelINS0_14default_configENS1_38merge_sort_block_merge_config_selectorIjNS0_10empty_typeEEEZZNS1_27merge_sort_block_merge_implIS3_N6thrust23THRUST_200600_302600_NS6detail15normal_iteratorINS9_10device_ptrIjEEEEPS5_m9comp_mod3IjEEE10hipError_tT0_T1_T2_jT3_P12ihipStream_tbPNSt15iterator_traitsISJ_E10value_typeEPNSP_ISK_E10value_typeEPSL_NS1_7vsmem_tEENKUlT_SJ_SK_SL_E_clIPjSE_SF_SF_EESI_SY_SJ_SK_SL_EUlSY_E_NS1_11comp_targetILNS1_3genE2ELNS1_11target_archE906ELNS1_3gpuE6ELNS1_3repE0EEENS1_48merge_mergepath_partition_config_static_selectorELNS0_4arch9wavefront6targetE0EEEvSK_ ; -- Begin function _ZN7rocprim17ROCPRIM_400000_NS6detail17trampoline_kernelINS0_14default_configENS1_38merge_sort_block_merge_config_selectorIjNS0_10empty_typeEEEZZNS1_27merge_sort_block_merge_implIS3_N6thrust23THRUST_200600_302600_NS6detail15normal_iteratorINS9_10device_ptrIjEEEEPS5_m9comp_mod3IjEEE10hipError_tT0_T1_T2_jT3_P12ihipStream_tbPNSt15iterator_traitsISJ_E10value_typeEPNSP_ISK_E10value_typeEPSL_NS1_7vsmem_tEENKUlT_SJ_SK_SL_E_clIPjSE_SF_SF_EESI_SY_SJ_SK_SL_EUlSY_E_NS1_11comp_targetILNS1_3genE2ELNS1_11target_archE906ELNS1_3gpuE6ELNS1_3repE0EEENS1_48merge_mergepath_partition_config_static_selectorELNS0_4arch9wavefront6targetE0EEEvSK_
	.globl	_ZN7rocprim17ROCPRIM_400000_NS6detail17trampoline_kernelINS0_14default_configENS1_38merge_sort_block_merge_config_selectorIjNS0_10empty_typeEEEZZNS1_27merge_sort_block_merge_implIS3_N6thrust23THRUST_200600_302600_NS6detail15normal_iteratorINS9_10device_ptrIjEEEEPS5_m9comp_mod3IjEEE10hipError_tT0_T1_T2_jT3_P12ihipStream_tbPNSt15iterator_traitsISJ_E10value_typeEPNSP_ISK_E10value_typeEPSL_NS1_7vsmem_tEENKUlT_SJ_SK_SL_E_clIPjSE_SF_SF_EESI_SY_SJ_SK_SL_EUlSY_E_NS1_11comp_targetILNS1_3genE2ELNS1_11target_archE906ELNS1_3gpuE6ELNS1_3repE0EEENS1_48merge_mergepath_partition_config_static_selectorELNS0_4arch9wavefront6targetE0EEEvSK_
	.p2align	8
	.type	_ZN7rocprim17ROCPRIM_400000_NS6detail17trampoline_kernelINS0_14default_configENS1_38merge_sort_block_merge_config_selectorIjNS0_10empty_typeEEEZZNS1_27merge_sort_block_merge_implIS3_N6thrust23THRUST_200600_302600_NS6detail15normal_iteratorINS9_10device_ptrIjEEEEPS5_m9comp_mod3IjEEE10hipError_tT0_T1_T2_jT3_P12ihipStream_tbPNSt15iterator_traitsISJ_E10value_typeEPNSP_ISK_E10value_typeEPSL_NS1_7vsmem_tEENKUlT_SJ_SK_SL_E_clIPjSE_SF_SF_EESI_SY_SJ_SK_SL_EUlSY_E_NS1_11comp_targetILNS1_3genE2ELNS1_11target_archE906ELNS1_3gpuE6ELNS1_3repE0EEENS1_48merge_mergepath_partition_config_static_selectorELNS0_4arch9wavefront6targetE0EEEvSK_,@function
_ZN7rocprim17ROCPRIM_400000_NS6detail17trampoline_kernelINS0_14default_configENS1_38merge_sort_block_merge_config_selectorIjNS0_10empty_typeEEEZZNS1_27merge_sort_block_merge_implIS3_N6thrust23THRUST_200600_302600_NS6detail15normal_iteratorINS9_10device_ptrIjEEEEPS5_m9comp_mod3IjEEE10hipError_tT0_T1_T2_jT3_P12ihipStream_tbPNSt15iterator_traitsISJ_E10value_typeEPNSP_ISK_E10value_typeEPSL_NS1_7vsmem_tEENKUlT_SJ_SK_SL_E_clIPjSE_SF_SF_EESI_SY_SJ_SK_SL_EUlSY_E_NS1_11comp_targetILNS1_3genE2ELNS1_11target_archE906ELNS1_3gpuE6ELNS1_3repE0EEENS1_48merge_mergepath_partition_config_static_selectorELNS0_4arch9wavefront6targetE0EEEvSK_: ; @_ZN7rocprim17ROCPRIM_400000_NS6detail17trampoline_kernelINS0_14default_configENS1_38merge_sort_block_merge_config_selectorIjNS0_10empty_typeEEEZZNS1_27merge_sort_block_merge_implIS3_N6thrust23THRUST_200600_302600_NS6detail15normal_iteratorINS9_10device_ptrIjEEEEPS5_m9comp_mod3IjEEE10hipError_tT0_T1_T2_jT3_P12ihipStream_tbPNSt15iterator_traitsISJ_E10value_typeEPNSP_ISK_E10value_typeEPSL_NS1_7vsmem_tEENKUlT_SJ_SK_SL_E_clIPjSE_SF_SF_EESI_SY_SJ_SK_SL_EUlSY_E_NS1_11comp_targetILNS1_3genE2ELNS1_11target_archE906ELNS1_3gpuE6ELNS1_3repE0EEENS1_48merge_mergepath_partition_config_static_selectorELNS0_4arch9wavefront6targetE0EEEvSK_
; %bb.0:
	.section	.rodata,"a",@progbits
	.p2align	6, 0x0
	.amdhsa_kernel _ZN7rocprim17ROCPRIM_400000_NS6detail17trampoline_kernelINS0_14default_configENS1_38merge_sort_block_merge_config_selectorIjNS0_10empty_typeEEEZZNS1_27merge_sort_block_merge_implIS3_N6thrust23THRUST_200600_302600_NS6detail15normal_iteratorINS9_10device_ptrIjEEEEPS5_m9comp_mod3IjEEE10hipError_tT0_T1_T2_jT3_P12ihipStream_tbPNSt15iterator_traitsISJ_E10value_typeEPNSP_ISK_E10value_typeEPSL_NS1_7vsmem_tEENKUlT_SJ_SK_SL_E_clIPjSE_SF_SF_EESI_SY_SJ_SK_SL_EUlSY_E_NS1_11comp_targetILNS1_3genE2ELNS1_11target_archE906ELNS1_3gpuE6ELNS1_3repE0EEENS1_48merge_mergepath_partition_config_static_selectorELNS0_4arch9wavefront6targetE0EEEvSK_
		.amdhsa_group_segment_fixed_size 0
		.amdhsa_private_segment_fixed_size 0
		.amdhsa_kernarg_size 48
		.amdhsa_user_sgpr_count 6
		.amdhsa_user_sgpr_private_segment_buffer 1
		.amdhsa_user_sgpr_dispatch_ptr 0
		.amdhsa_user_sgpr_queue_ptr 0
		.amdhsa_user_sgpr_kernarg_segment_ptr 1
		.amdhsa_user_sgpr_dispatch_id 0
		.amdhsa_user_sgpr_flat_scratch_init 0
		.amdhsa_user_sgpr_private_segment_size 0
		.amdhsa_wavefront_size32 1
		.amdhsa_uses_dynamic_stack 0
		.amdhsa_system_sgpr_private_segment_wavefront_offset 0
		.amdhsa_system_sgpr_workgroup_id_x 1
		.amdhsa_system_sgpr_workgroup_id_y 0
		.amdhsa_system_sgpr_workgroup_id_z 0
		.amdhsa_system_sgpr_workgroup_info 0
		.amdhsa_system_vgpr_workitem_id 0
		.amdhsa_next_free_vgpr 1
		.amdhsa_next_free_sgpr 1
		.amdhsa_reserve_vcc 0
		.amdhsa_reserve_flat_scratch 0
		.amdhsa_float_round_mode_32 0
		.amdhsa_float_round_mode_16_64 0
		.amdhsa_float_denorm_mode_32 3
		.amdhsa_float_denorm_mode_16_64 3
		.amdhsa_dx10_clamp 1
		.amdhsa_ieee_mode 1
		.amdhsa_fp16_overflow 0
		.amdhsa_workgroup_processor_mode 1
		.amdhsa_memory_ordered 1
		.amdhsa_forward_progress 1
		.amdhsa_shared_vgpr_count 0
		.amdhsa_exception_fp_ieee_invalid_op 0
		.amdhsa_exception_fp_denorm_src 0
		.amdhsa_exception_fp_ieee_div_zero 0
		.amdhsa_exception_fp_ieee_overflow 0
		.amdhsa_exception_fp_ieee_underflow 0
		.amdhsa_exception_fp_ieee_inexact 0
		.amdhsa_exception_int_div_zero 0
	.end_amdhsa_kernel
	.section	.text._ZN7rocprim17ROCPRIM_400000_NS6detail17trampoline_kernelINS0_14default_configENS1_38merge_sort_block_merge_config_selectorIjNS0_10empty_typeEEEZZNS1_27merge_sort_block_merge_implIS3_N6thrust23THRUST_200600_302600_NS6detail15normal_iteratorINS9_10device_ptrIjEEEEPS5_m9comp_mod3IjEEE10hipError_tT0_T1_T2_jT3_P12ihipStream_tbPNSt15iterator_traitsISJ_E10value_typeEPNSP_ISK_E10value_typeEPSL_NS1_7vsmem_tEENKUlT_SJ_SK_SL_E_clIPjSE_SF_SF_EESI_SY_SJ_SK_SL_EUlSY_E_NS1_11comp_targetILNS1_3genE2ELNS1_11target_archE906ELNS1_3gpuE6ELNS1_3repE0EEENS1_48merge_mergepath_partition_config_static_selectorELNS0_4arch9wavefront6targetE0EEEvSK_,"axG",@progbits,_ZN7rocprim17ROCPRIM_400000_NS6detail17trampoline_kernelINS0_14default_configENS1_38merge_sort_block_merge_config_selectorIjNS0_10empty_typeEEEZZNS1_27merge_sort_block_merge_implIS3_N6thrust23THRUST_200600_302600_NS6detail15normal_iteratorINS9_10device_ptrIjEEEEPS5_m9comp_mod3IjEEE10hipError_tT0_T1_T2_jT3_P12ihipStream_tbPNSt15iterator_traitsISJ_E10value_typeEPNSP_ISK_E10value_typeEPSL_NS1_7vsmem_tEENKUlT_SJ_SK_SL_E_clIPjSE_SF_SF_EESI_SY_SJ_SK_SL_EUlSY_E_NS1_11comp_targetILNS1_3genE2ELNS1_11target_archE906ELNS1_3gpuE6ELNS1_3repE0EEENS1_48merge_mergepath_partition_config_static_selectorELNS0_4arch9wavefront6targetE0EEEvSK_,comdat
.Lfunc_end821:
	.size	_ZN7rocprim17ROCPRIM_400000_NS6detail17trampoline_kernelINS0_14default_configENS1_38merge_sort_block_merge_config_selectorIjNS0_10empty_typeEEEZZNS1_27merge_sort_block_merge_implIS3_N6thrust23THRUST_200600_302600_NS6detail15normal_iteratorINS9_10device_ptrIjEEEEPS5_m9comp_mod3IjEEE10hipError_tT0_T1_T2_jT3_P12ihipStream_tbPNSt15iterator_traitsISJ_E10value_typeEPNSP_ISK_E10value_typeEPSL_NS1_7vsmem_tEENKUlT_SJ_SK_SL_E_clIPjSE_SF_SF_EESI_SY_SJ_SK_SL_EUlSY_E_NS1_11comp_targetILNS1_3genE2ELNS1_11target_archE906ELNS1_3gpuE6ELNS1_3repE0EEENS1_48merge_mergepath_partition_config_static_selectorELNS0_4arch9wavefront6targetE0EEEvSK_, .Lfunc_end821-_ZN7rocprim17ROCPRIM_400000_NS6detail17trampoline_kernelINS0_14default_configENS1_38merge_sort_block_merge_config_selectorIjNS0_10empty_typeEEEZZNS1_27merge_sort_block_merge_implIS3_N6thrust23THRUST_200600_302600_NS6detail15normal_iteratorINS9_10device_ptrIjEEEEPS5_m9comp_mod3IjEEE10hipError_tT0_T1_T2_jT3_P12ihipStream_tbPNSt15iterator_traitsISJ_E10value_typeEPNSP_ISK_E10value_typeEPSL_NS1_7vsmem_tEENKUlT_SJ_SK_SL_E_clIPjSE_SF_SF_EESI_SY_SJ_SK_SL_EUlSY_E_NS1_11comp_targetILNS1_3genE2ELNS1_11target_archE906ELNS1_3gpuE6ELNS1_3repE0EEENS1_48merge_mergepath_partition_config_static_selectorELNS0_4arch9wavefront6targetE0EEEvSK_
                                        ; -- End function
	.set _ZN7rocprim17ROCPRIM_400000_NS6detail17trampoline_kernelINS0_14default_configENS1_38merge_sort_block_merge_config_selectorIjNS0_10empty_typeEEEZZNS1_27merge_sort_block_merge_implIS3_N6thrust23THRUST_200600_302600_NS6detail15normal_iteratorINS9_10device_ptrIjEEEEPS5_m9comp_mod3IjEEE10hipError_tT0_T1_T2_jT3_P12ihipStream_tbPNSt15iterator_traitsISJ_E10value_typeEPNSP_ISK_E10value_typeEPSL_NS1_7vsmem_tEENKUlT_SJ_SK_SL_E_clIPjSE_SF_SF_EESI_SY_SJ_SK_SL_EUlSY_E_NS1_11comp_targetILNS1_3genE2ELNS1_11target_archE906ELNS1_3gpuE6ELNS1_3repE0EEENS1_48merge_mergepath_partition_config_static_selectorELNS0_4arch9wavefront6targetE0EEEvSK_.num_vgpr, 0
	.set _ZN7rocprim17ROCPRIM_400000_NS6detail17trampoline_kernelINS0_14default_configENS1_38merge_sort_block_merge_config_selectorIjNS0_10empty_typeEEEZZNS1_27merge_sort_block_merge_implIS3_N6thrust23THRUST_200600_302600_NS6detail15normal_iteratorINS9_10device_ptrIjEEEEPS5_m9comp_mod3IjEEE10hipError_tT0_T1_T2_jT3_P12ihipStream_tbPNSt15iterator_traitsISJ_E10value_typeEPNSP_ISK_E10value_typeEPSL_NS1_7vsmem_tEENKUlT_SJ_SK_SL_E_clIPjSE_SF_SF_EESI_SY_SJ_SK_SL_EUlSY_E_NS1_11comp_targetILNS1_3genE2ELNS1_11target_archE906ELNS1_3gpuE6ELNS1_3repE0EEENS1_48merge_mergepath_partition_config_static_selectorELNS0_4arch9wavefront6targetE0EEEvSK_.num_agpr, 0
	.set _ZN7rocprim17ROCPRIM_400000_NS6detail17trampoline_kernelINS0_14default_configENS1_38merge_sort_block_merge_config_selectorIjNS0_10empty_typeEEEZZNS1_27merge_sort_block_merge_implIS3_N6thrust23THRUST_200600_302600_NS6detail15normal_iteratorINS9_10device_ptrIjEEEEPS5_m9comp_mod3IjEEE10hipError_tT0_T1_T2_jT3_P12ihipStream_tbPNSt15iterator_traitsISJ_E10value_typeEPNSP_ISK_E10value_typeEPSL_NS1_7vsmem_tEENKUlT_SJ_SK_SL_E_clIPjSE_SF_SF_EESI_SY_SJ_SK_SL_EUlSY_E_NS1_11comp_targetILNS1_3genE2ELNS1_11target_archE906ELNS1_3gpuE6ELNS1_3repE0EEENS1_48merge_mergepath_partition_config_static_selectorELNS0_4arch9wavefront6targetE0EEEvSK_.numbered_sgpr, 0
	.set _ZN7rocprim17ROCPRIM_400000_NS6detail17trampoline_kernelINS0_14default_configENS1_38merge_sort_block_merge_config_selectorIjNS0_10empty_typeEEEZZNS1_27merge_sort_block_merge_implIS3_N6thrust23THRUST_200600_302600_NS6detail15normal_iteratorINS9_10device_ptrIjEEEEPS5_m9comp_mod3IjEEE10hipError_tT0_T1_T2_jT3_P12ihipStream_tbPNSt15iterator_traitsISJ_E10value_typeEPNSP_ISK_E10value_typeEPSL_NS1_7vsmem_tEENKUlT_SJ_SK_SL_E_clIPjSE_SF_SF_EESI_SY_SJ_SK_SL_EUlSY_E_NS1_11comp_targetILNS1_3genE2ELNS1_11target_archE906ELNS1_3gpuE6ELNS1_3repE0EEENS1_48merge_mergepath_partition_config_static_selectorELNS0_4arch9wavefront6targetE0EEEvSK_.num_named_barrier, 0
	.set _ZN7rocprim17ROCPRIM_400000_NS6detail17trampoline_kernelINS0_14default_configENS1_38merge_sort_block_merge_config_selectorIjNS0_10empty_typeEEEZZNS1_27merge_sort_block_merge_implIS3_N6thrust23THRUST_200600_302600_NS6detail15normal_iteratorINS9_10device_ptrIjEEEEPS5_m9comp_mod3IjEEE10hipError_tT0_T1_T2_jT3_P12ihipStream_tbPNSt15iterator_traitsISJ_E10value_typeEPNSP_ISK_E10value_typeEPSL_NS1_7vsmem_tEENKUlT_SJ_SK_SL_E_clIPjSE_SF_SF_EESI_SY_SJ_SK_SL_EUlSY_E_NS1_11comp_targetILNS1_3genE2ELNS1_11target_archE906ELNS1_3gpuE6ELNS1_3repE0EEENS1_48merge_mergepath_partition_config_static_selectorELNS0_4arch9wavefront6targetE0EEEvSK_.private_seg_size, 0
	.set _ZN7rocprim17ROCPRIM_400000_NS6detail17trampoline_kernelINS0_14default_configENS1_38merge_sort_block_merge_config_selectorIjNS0_10empty_typeEEEZZNS1_27merge_sort_block_merge_implIS3_N6thrust23THRUST_200600_302600_NS6detail15normal_iteratorINS9_10device_ptrIjEEEEPS5_m9comp_mod3IjEEE10hipError_tT0_T1_T2_jT3_P12ihipStream_tbPNSt15iterator_traitsISJ_E10value_typeEPNSP_ISK_E10value_typeEPSL_NS1_7vsmem_tEENKUlT_SJ_SK_SL_E_clIPjSE_SF_SF_EESI_SY_SJ_SK_SL_EUlSY_E_NS1_11comp_targetILNS1_3genE2ELNS1_11target_archE906ELNS1_3gpuE6ELNS1_3repE0EEENS1_48merge_mergepath_partition_config_static_selectorELNS0_4arch9wavefront6targetE0EEEvSK_.uses_vcc, 0
	.set _ZN7rocprim17ROCPRIM_400000_NS6detail17trampoline_kernelINS0_14default_configENS1_38merge_sort_block_merge_config_selectorIjNS0_10empty_typeEEEZZNS1_27merge_sort_block_merge_implIS3_N6thrust23THRUST_200600_302600_NS6detail15normal_iteratorINS9_10device_ptrIjEEEEPS5_m9comp_mod3IjEEE10hipError_tT0_T1_T2_jT3_P12ihipStream_tbPNSt15iterator_traitsISJ_E10value_typeEPNSP_ISK_E10value_typeEPSL_NS1_7vsmem_tEENKUlT_SJ_SK_SL_E_clIPjSE_SF_SF_EESI_SY_SJ_SK_SL_EUlSY_E_NS1_11comp_targetILNS1_3genE2ELNS1_11target_archE906ELNS1_3gpuE6ELNS1_3repE0EEENS1_48merge_mergepath_partition_config_static_selectorELNS0_4arch9wavefront6targetE0EEEvSK_.uses_flat_scratch, 0
	.set _ZN7rocprim17ROCPRIM_400000_NS6detail17trampoline_kernelINS0_14default_configENS1_38merge_sort_block_merge_config_selectorIjNS0_10empty_typeEEEZZNS1_27merge_sort_block_merge_implIS3_N6thrust23THRUST_200600_302600_NS6detail15normal_iteratorINS9_10device_ptrIjEEEEPS5_m9comp_mod3IjEEE10hipError_tT0_T1_T2_jT3_P12ihipStream_tbPNSt15iterator_traitsISJ_E10value_typeEPNSP_ISK_E10value_typeEPSL_NS1_7vsmem_tEENKUlT_SJ_SK_SL_E_clIPjSE_SF_SF_EESI_SY_SJ_SK_SL_EUlSY_E_NS1_11comp_targetILNS1_3genE2ELNS1_11target_archE906ELNS1_3gpuE6ELNS1_3repE0EEENS1_48merge_mergepath_partition_config_static_selectorELNS0_4arch9wavefront6targetE0EEEvSK_.has_dyn_sized_stack, 0
	.set _ZN7rocprim17ROCPRIM_400000_NS6detail17trampoline_kernelINS0_14default_configENS1_38merge_sort_block_merge_config_selectorIjNS0_10empty_typeEEEZZNS1_27merge_sort_block_merge_implIS3_N6thrust23THRUST_200600_302600_NS6detail15normal_iteratorINS9_10device_ptrIjEEEEPS5_m9comp_mod3IjEEE10hipError_tT0_T1_T2_jT3_P12ihipStream_tbPNSt15iterator_traitsISJ_E10value_typeEPNSP_ISK_E10value_typeEPSL_NS1_7vsmem_tEENKUlT_SJ_SK_SL_E_clIPjSE_SF_SF_EESI_SY_SJ_SK_SL_EUlSY_E_NS1_11comp_targetILNS1_3genE2ELNS1_11target_archE906ELNS1_3gpuE6ELNS1_3repE0EEENS1_48merge_mergepath_partition_config_static_selectorELNS0_4arch9wavefront6targetE0EEEvSK_.has_recursion, 0
	.set _ZN7rocprim17ROCPRIM_400000_NS6detail17trampoline_kernelINS0_14default_configENS1_38merge_sort_block_merge_config_selectorIjNS0_10empty_typeEEEZZNS1_27merge_sort_block_merge_implIS3_N6thrust23THRUST_200600_302600_NS6detail15normal_iteratorINS9_10device_ptrIjEEEEPS5_m9comp_mod3IjEEE10hipError_tT0_T1_T2_jT3_P12ihipStream_tbPNSt15iterator_traitsISJ_E10value_typeEPNSP_ISK_E10value_typeEPSL_NS1_7vsmem_tEENKUlT_SJ_SK_SL_E_clIPjSE_SF_SF_EESI_SY_SJ_SK_SL_EUlSY_E_NS1_11comp_targetILNS1_3genE2ELNS1_11target_archE906ELNS1_3gpuE6ELNS1_3repE0EEENS1_48merge_mergepath_partition_config_static_selectorELNS0_4arch9wavefront6targetE0EEEvSK_.has_indirect_call, 0
	.section	.AMDGPU.csdata,"",@progbits
; Kernel info:
; codeLenInByte = 0
; TotalNumSgprs: 0
; NumVgprs: 0
; ScratchSize: 0
; MemoryBound: 0
; FloatMode: 240
; IeeeMode: 1
; LDSByteSize: 0 bytes/workgroup (compile time only)
; SGPRBlocks: 0
; VGPRBlocks: 0
; NumSGPRsForWavesPerEU: 1
; NumVGPRsForWavesPerEU: 1
; Occupancy: 16
; WaveLimiterHint : 0
; COMPUTE_PGM_RSRC2:SCRATCH_EN: 0
; COMPUTE_PGM_RSRC2:USER_SGPR: 6
; COMPUTE_PGM_RSRC2:TRAP_HANDLER: 0
; COMPUTE_PGM_RSRC2:TGID_X_EN: 1
; COMPUTE_PGM_RSRC2:TGID_Y_EN: 0
; COMPUTE_PGM_RSRC2:TGID_Z_EN: 0
; COMPUTE_PGM_RSRC2:TIDIG_COMP_CNT: 0
	.section	.text._ZN7rocprim17ROCPRIM_400000_NS6detail17trampoline_kernelINS0_14default_configENS1_38merge_sort_block_merge_config_selectorIjNS0_10empty_typeEEEZZNS1_27merge_sort_block_merge_implIS3_N6thrust23THRUST_200600_302600_NS6detail15normal_iteratorINS9_10device_ptrIjEEEEPS5_m9comp_mod3IjEEE10hipError_tT0_T1_T2_jT3_P12ihipStream_tbPNSt15iterator_traitsISJ_E10value_typeEPNSP_ISK_E10value_typeEPSL_NS1_7vsmem_tEENKUlT_SJ_SK_SL_E_clIPjSE_SF_SF_EESI_SY_SJ_SK_SL_EUlSY_E_NS1_11comp_targetILNS1_3genE9ELNS1_11target_archE1100ELNS1_3gpuE3ELNS1_3repE0EEENS1_48merge_mergepath_partition_config_static_selectorELNS0_4arch9wavefront6targetE0EEEvSK_,"axG",@progbits,_ZN7rocprim17ROCPRIM_400000_NS6detail17trampoline_kernelINS0_14default_configENS1_38merge_sort_block_merge_config_selectorIjNS0_10empty_typeEEEZZNS1_27merge_sort_block_merge_implIS3_N6thrust23THRUST_200600_302600_NS6detail15normal_iteratorINS9_10device_ptrIjEEEEPS5_m9comp_mod3IjEEE10hipError_tT0_T1_T2_jT3_P12ihipStream_tbPNSt15iterator_traitsISJ_E10value_typeEPNSP_ISK_E10value_typeEPSL_NS1_7vsmem_tEENKUlT_SJ_SK_SL_E_clIPjSE_SF_SF_EESI_SY_SJ_SK_SL_EUlSY_E_NS1_11comp_targetILNS1_3genE9ELNS1_11target_archE1100ELNS1_3gpuE3ELNS1_3repE0EEENS1_48merge_mergepath_partition_config_static_selectorELNS0_4arch9wavefront6targetE0EEEvSK_,comdat
	.protected	_ZN7rocprim17ROCPRIM_400000_NS6detail17trampoline_kernelINS0_14default_configENS1_38merge_sort_block_merge_config_selectorIjNS0_10empty_typeEEEZZNS1_27merge_sort_block_merge_implIS3_N6thrust23THRUST_200600_302600_NS6detail15normal_iteratorINS9_10device_ptrIjEEEEPS5_m9comp_mod3IjEEE10hipError_tT0_T1_T2_jT3_P12ihipStream_tbPNSt15iterator_traitsISJ_E10value_typeEPNSP_ISK_E10value_typeEPSL_NS1_7vsmem_tEENKUlT_SJ_SK_SL_E_clIPjSE_SF_SF_EESI_SY_SJ_SK_SL_EUlSY_E_NS1_11comp_targetILNS1_3genE9ELNS1_11target_archE1100ELNS1_3gpuE3ELNS1_3repE0EEENS1_48merge_mergepath_partition_config_static_selectorELNS0_4arch9wavefront6targetE0EEEvSK_ ; -- Begin function _ZN7rocprim17ROCPRIM_400000_NS6detail17trampoline_kernelINS0_14default_configENS1_38merge_sort_block_merge_config_selectorIjNS0_10empty_typeEEEZZNS1_27merge_sort_block_merge_implIS3_N6thrust23THRUST_200600_302600_NS6detail15normal_iteratorINS9_10device_ptrIjEEEEPS5_m9comp_mod3IjEEE10hipError_tT0_T1_T2_jT3_P12ihipStream_tbPNSt15iterator_traitsISJ_E10value_typeEPNSP_ISK_E10value_typeEPSL_NS1_7vsmem_tEENKUlT_SJ_SK_SL_E_clIPjSE_SF_SF_EESI_SY_SJ_SK_SL_EUlSY_E_NS1_11comp_targetILNS1_3genE9ELNS1_11target_archE1100ELNS1_3gpuE3ELNS1_3repE0EEENS1_48merge_mergepath_partition_config_static_selectorELNS0_4arch9wavefront6targetE0EEEvSK_
	.globl	_ZN7rocprim17ROCPRIM_400000_NS6detail17trampoline_kernelINS0_14default_configENS1_38merge_sort_block_merge_config_selectorIjNS0_10empty_typeEEEZZNS1_27merge_sort_block_merge_implIS3_N6thrust23THRUST_200600_302600_NS6detail15normal_iteratorINS9_10device_ptrIjEEEEPS5_m9comp_mod3IjEEE10hipError_tT0_T1_T2_jT3_P12ihipStream_tbPNSt15iterator_traitsISJ_E10value_typeEPNSP_ISK_E10value_typeEPSL_NS1_7vsmem_tEENKUlT_SJ_SK_SL_E_clIPjSE_SF_SF_EESI_SY_SJ_SK_SL_EUlSY_E_NS1_11comp_targetILNS1_3genE9ELNS1_11target_archE1100ELNS1_3gpuE3ELNS1_3repE0EEENS1_48merge_mergepath_partition_config_static_selectorELNS0_4arch9wavefront6targetE0EEEvSK_
	.p2align	8
	.type	_ZN7rocprim17ROCPRIM_400000_NS6detail17trampoline_kernelINS0_14default_configENS1_38merge_sort_block_merge_config_selectorIjNS0_10empty_typeEEEZZNS1_27merge_sort_block_merge_implIS3_N6thrust23THRUST_200600_302600_NS6detail15normal_iteratorINS9_10device_ptrIjEEEEPS5_m9comp_mod3IjEEE10hipError_tT0_T1_T2_jT3_P12ihipStream_tbPNSt15iterator_traitsISJ_E10value_typeEPNSP_ISK_E10value_typeEPSL_NS1_7vsmem_tEENKUlT_SJ_SK_SL_E_clIPjSE_SF_SF_EESI_SY_SJ_SK_SL_EUlSY_E_NS1_11comp_targetILNS1_3genE9ELNS1_11target_archE1100ELNS1_3gpuE3ELNS1_3repE0EEENS1_48merge_mergepath_partition_config_static_selectorELNS0_4arch9wavefront6targetE0EEEvSK_,@function
_ZN7rocprim17ROCPRIM_400000_NS6detail17trampoline_kernelINS0_14default_configENS1_38merge_sort_block_merge_config_selectorIjNS0_10empty_typeEEEZZNS1_27merge_sort_block_merge_implIS3_N6thrust23THRUST_200600_302600_NS6detail15normal_iteratorINS9_10device_ptrIjEEEEPS5_m9comp_mod3IjEEE10hipError_tT0_T1_T2_jT3_P12ihipStream_tbPNSt15iterator_traitsISJ_E10value_typeEPNSP_ISK_E10value_typeEPSL_NS1_7vsmem_tEENKUlT_SJ_SK_SL_E_clIPjSE_SF_SF_EESI_SY_SJ_SK_SL_EUlSY_E_NS1_11comp_targetILNS1_3genE9ELNS1_11target_archE1100ELNS1_3gpuE3ELNS1_3repE0EEENS1_48merge_mergepath_partition_config_static_selectorELNS0_4arch9wavefront6targetE0EEEvSK_: ; @_ZN7rocprim17ROCPRIM_400000_NS6detail17trampoline_kernelINS0_14default_configENS1_38merge_sort_block_merge_config_selectorIjNS0_10empty_typeEEEZZNS1_27merge_sort_block_merge_implIS3_N6thrust23THRUST_200600_302600_NS6detail15normal_iteratorINS9_10device_ptrIjEEEEPS5_m9comp_mod3IjEEE10hipError_tT0_T1_T2_jT3_P12ihipStream_tbPNSt15iterator_traitsISJ_E10value_typeEPNSP_ISK_E10value_typeEPSL_NS1_7vsmem_tEENKUlT_SJ_SK_SL_E_clIPjSE_SF_SF_EESI_SY_SJ_SK_SL_EUlSY_E_NS1_11comp_targetILNS1_3genE9ELNS1_11target_archE1100ELNS1_3gpuE3ELNS1_3repE0EEENS1_48merge_mergepath_partition_config_static_selectorELNS0_4arch9wavefront6targetE0EEEvSK_
; %bb.0:
	.section	.rodata,"a",@progbits
	.p2align	6, 0x0
	.amdhsa_kernel _ZN7rocprim17ROCPRIM_400000_NS6detail17trampoline_kernelINS0_14default_configENS1_38merge_sort_block_merge_config_selectorIjNS0_10empty_typeEEEZZNS1_27merge_sort_block_merge_implIS3_N6thrust23THRUST_200600_302600_NS6detail15normal_iteratorINS9_10device_ptrIjEEEEPS5_m9comp_mod3IjEEE10hipError_tT0_T1_T2_jT3_P12ihipStream_tbPNSt15iterator_traitsISJ_E10value_typeEPNSP_ISK_E10value_typeEPSL_NS1_7vsmem_tEENKUlT_SJ_SK_SL_E_clIPjSE_SF_SF_EESI_SY_SJ_SK_SL_EUlSY_E_NS1_11comp_targetILNS1_3genE9ELNS1_11target_archE1100ELNS1_3gpuE3ELNS1_3repE0EEENS1_48merge_mergepath_partition_config_static_selectorELNS0_4arch9wavefront6targetE0EEEvSK_
		.amdhsa_group_segment_fixed_size 0
		.amdhsa_private_segment_fixed_size 0
		.amdhsa_kernarg_size 48
		.amdhsa_user_sgpr_count 6
		.amdhsa_user_sgpr_private_segment_buffer 1
		.amdhsa_user_sgpr_dispatch_ptr 0
		.amdhsa_user_sgpr_queue_ptr 0
		.amdhsa_user_sgpr_kernarg_segment_ptr 1
		.amdhsa_user_sgpr_dispatch_id 0
		.amdhsa_user_sgpr_flat_scratch_init 0
		.amdhsa_user_sgpr_private_segment_size 0
		.amdhsa_wavefront_size32 1
		.amdhsa_uses_dynamic_stack 0
		.amdhsa_system_sgpr_private_segment_wavefront_offset 0
		.amdhsa_system_sgpr_workgroup_id_x 1
		.amdhsa_system_sgpr_workgroup_id_y 0
		.amdhsa_system_sgpr_workgroup_id_z 0
		.amdhsa_system_sgpr_workgroup_info 0
		.amdhsa_system_vgpr_workitem_id 0
		.amdhsa_next_free_vgpr 1
		.amdhsa_next_free_sgpr 1
		.amdhsa_reserve_vcc 0
		.amdhsa_reserve_flat_scratch 0
		.amdhsa_float_round_mode_32 0
		.amdhsa_float_round_mode_16_64 0
		.amdhsa_float_denorm_mode_32 3
		.amdhsa_float_denorm_mode_16_64 3
		.amdhsa_dx10_clamp 1
		.amdhsa_ieee_mode 1
		.amdhsa_fp16_overflow 0
		.amdhsa_workgroup_processor_mode 1
		.amdhsa_memory_ordered 1
		.amdhsa_forward_progress 1
		.amdhsa_shared_vgpr_count 0
		.amdhsa_exception_fp_ieee_invalid_op 0
		.amdhsa_exception_fp_denorm_src 0
		.amdhsa_exception_fp_ieee_div_zero 0
		.amdhsa_exception_fp_ieee_overflow 0
		.amdhsa_exception_fp_ieee_underflow 0
		.amdhsa_exception_fp_ieee_inexact 0
		.amdhsa_exception_int_div_zero 0
	.end_amdhsa_kernel
	.section	.text._ZN7rocprim17ROCPRIM_400000_NS6detail17trampoline_kernelINS0_14default_configENS1_38merge_sort_block_merge_config_selectorIjNS0_10empty_typeEEEZZNS1_27merge_sort_block_merge_implIS3_N6thrust23THRUST_200600_302600_NS6detail15normal_iteratorINS9_10device_ptrIjEEEEPS5_m9comp_mod3IjEEE10hipError_tT0_T1_T2_jT3_P12ihipStream_tbPNSt15iterator_traitsISJ_E10value_typeEPNSP_ISK_E10value_typeEPSL_NS1_7vsmem_tEENKUlT_SJ_SK_SL_E_clIPjSE_SF_SF_EESI_SY_SJ_SK_SL_EUlSY_E_NS1_11comp_targetILNS1_3genE9ELNS1_11target_archE1100ELNS1_3gpuE3ELNS1_3repE0EEENS1_48merge_mergepath_partition_config_static_selectorELNS0_4arch9wavefront6targetE0EEEvSK_,"axG",@progbits,_ZN7rocprim17ROCPRIM_400000_NS6detail17trampoline_kernelINS0_14default_configENS1_38merge_sort_block_merge_config_selectorIjNS0_10empty_typeEEEZZNS1_27merge_sort_block_merge_implIS3_N6thrust23THRUST_200600_302600_NS6detail15normal_iteratorINS9_10device_ptrIjEEEEPS5_m9comp_mod3IjEEE10hipError_tT0_T1_T2_jT3_P12ihipStream_tbPNSt15iterator_traitsISJ_E10value_typeEPNSP_ISK_E10value_typeEPSL_NS1_7vsmem_tEENKUlT_SJ_SK_SL_E_clIPjSE_SF_SF_EESI_SY_SJ_SK_SL_EUlSY_E_NS1_11comp_targetILNS1_3genE9ELNS1_11target_archE1100ELNS1_3gpuE3ELNS1_3repE0EEENS1_48merge_mergepath_partition_config_static_selectorELNS0_4arch9wavefront6targetE0EEEvSK_,comdat
.Lfunc_end822:
	.size	_ZN7rocprim17ROCPRIM_400000_NS6detail17trampoline_kernelINS0_14default_configENS1_38merge_sort_block_merge_config_selectorIjNS0_10empty_typeEEEZZNS1_27merge_sort_block_merge_implIS3_N6thrust23THRUST_200600_302600_NS6detail15normal_iteratorINS9_10device_ptrIjEEEEPS5_m9comp_mod3IjEEE10hipError_tT0_T1_T2_jT3_P12ihipStream_tbPNSt15iterator_traitsISJ_E10value_typeEPNSP_ISK_E10value_typeEPSL_NS1_7vsmem_tEENKUlT_SJ_SK_SL_E_clIPjSE_SF_SF_EESI_SY_SJ_SK_SL_EUlSY_E_NS1_11comp_targetILNS1_3genE9ELNS1_11target_archE1100ELNS1_3gpuE3ELNS1_3repE0EEENS1_48merge_mergepath_partition_config_static_selectorELNS0_4arch9wavefront6targetE0EEEvSK_, .Lfunc_end822-_ZN7rocprim17ROCPRIM_400000_NS6detail17trampoline_kernelINS0_14default_configENS1_38merge_sort_block_merge_config_selectorIjNS0_10empty_typeEEEZZNS1_27merge_sort_block_merge_implIS3_N6thrust23THRUST_200600_302600_NS6detail15normal_iteratorINS9_10device_ptrIjEEEEPS5_m9comp_mod3IjEEE10hipError_tT0_T1_T2_jT3_P12ihipStream_tbPNSt15iterator_traitsISJ_E10value_typeEPNSP_ISK_E10value_typeEPSL_NS1_7vsmem_tEENKUlT_SJ_SK_SL_E_clIPjSE_SF_SF_EESI_SY_SJ_SK_SL_EUlSY_E_NS1_11comp_targetILNS1_3genE9ELNS1_11target_archE1100ELNS1_3gpuE3ELNS1_3repE0EEENS1_48merge_mergepath_partition_config_static_selectorELNS0_4arch9wavefront6targetE0EEEvSK_
                                        ; -- End function
	.set _ZN7rocprim17ROCPRIM_400000_NS6detail17trampoline_kernelINS0_14default_configENS1_38merge_sort_block_merge_config_selectorIjNS0_10empty_typeEEEZZNS1_27merge_sort_block_merge_implIS3_N6thrust23THRUST_200600_302600_NS6detail15normal_iteratorINS9_10device_ptrIjEEEEPS5_m9comp_mod3IjEEE10hipError_tT0_T1_T2_jT3_P12ihipStream_tbPNSt15iterator_traitsISJ_E10value_typeEPNSP_ISK_E10value_typeEPSL_NS1_7vsmem_tEENKUlT_SJ_SK_SL_E_clIPjSE_SF_SF_EESI_SY_SJ_SK_SL_EUlSY_E_NS1_11comp_targetILNS1_3genE9ELNS1_11target_archE1100ELNS1_3gpuE3ELNS1_3repE0EEENS1_48merge_mergepath_partition_config_static_selectorELNS0_4arch9wavefront6targetE0EEEvSK_.num_vgpr, 0
	.set _ZN7rocprim17ROCPRIM_400000_NS6detail17trampoline_kernelINS0_14default_configENS1_38merge_sort_block_merge_config_selectorIjNS0_10empty_typeEEEZZNS1_27merge_sort_block_merge_implIS3_N6thrust23THRUST_200600_302600_NS6detail15normal_iteratorINS9_10device_ptrIjEEEEPS5_m9comp_mod3IjEEE10hipError_tT0_T1_T2_jT3_P12ihipStream_tbPNSt15iterator_traitsISJ_E10value_typeEPNSP_ISK_E10value_typeEPSL_NS1_7vsmem_tEENKUlT_SJ_SK_SL_E_clIPjSE_SF_SF_EESI_SY_SJ_SK_SL_EUlSY_E_NS1_11comp_targetILNS1_3genE9ELNS1_11target_archE1100ELNS1_3gpuE3ELNS1_3repE0EEENS1_48merge_mergepath_partition_config_static_selectorELNS0_4arch9wavefront6targetE0EEEvSK_.num_agpr, 0
	.set _ZN7rocprim17ROCPRIM_400000_NS6detail17trampoline_kernelINS0_14default_configENS1_38merge_sort_block_merge_config_selectorIjNS0_10empty_typeEEEZZNS1_27merge_sort_block_merge_implIS3_N6thrust23THRUST_200600_302600_NS6detail15normal_iteratorINS9_10device_ptrIjEEEEPS5_m9comp_mod3IjEEE10hipError_tT0_T1_T2_jT3_P12ihipStream_tbPNSt15iterator_traitsISJ_E10value_typeEPNSP_ISK_E10value_typeEPSL_NS1_7vsmem_tEENKUlT_SJ_SK_SL_E_clIPjSE_SF_SF_EESI_SY_SJ_SK_SL_EUlSY_E_NS1_11comp_targetILNS1_3genE9ELNS1_11target_archE1100ELNS1_3gpuE3ELNS1_3repE0EEENS1_48merge_mergepath_partition_config_static_selectorELNS0_4arch9wavefront6targetE0EEEvSK_.numbered_sgpr, 0
	.set _ZN7rocprim17ROCPRIM_400000_NS6detail17trampoline_kernelINS0_14default_configENS1_38merge_sort_block_merge_config_selectorIjNS0_10empty_typeEEEZZNS1_27merge_sort_block_merge_implIS3_N6thrust23THRUST_200600_302600_NS6detail15normal_iteratorINS9_10device_ptrIjEEEEPS5_m9comp_mod3IjEEE10hipError_tT0_T1_T2_jT3_P12ihipStream_tbPNSt15iterator_traitsISJ_E10value_typeEPNSP_ISK_E10value_typeEPSL_NS1_7vsmem_tEENKUlT_SJ_SK_SL_E_clIPjSE_SF_SF_EESI_SY_SJ_SK_SL_EUlSY_E_NS1_11comp_targetILNS1_3genE9ELNS1_11target_archE1100ELNS1_3gpuE3ELNS1_3repE0EEENS1_48merge_mergepath_partition_config_static_selectorELNS0_4arch9wavefront6targetE0EEEvSK_.num_named_barrier, 0
	.set _ZN7rocprim17ROCPRIM_400000_NS6detail17trampoline_kernelINS0_14default_configENS1_38merge_sort_block_merge_config_selectorIjNS0_10empty_typeEEEZZNS1_27merge_sort_block_merge_implIS3_N6thrust23THRUST_200600_302600_NS6detail15normal_iteratorINS9_10device_ptrIjEEEEPS5_m9comp_mod3IjEEE10hipError_tT0_T1_T2_jT3_P12ihipStream_tbPNSt15iterator_traitsISJ_E10value_typeEPNSP_ISK_E10value_typeEPSL_NS1_7vsmem_tEENKUlT_SJ_SK_SL_E_clIPjSE_SF_SF_EESI_SY_SJ_SK_SL_EUlSY_E_NS1_11comp_targetILNS1_3genE9ELNS1_11target_archE1100ELNS1_3gpuE3ELNS1_3repE0EEENS1_48merge_mergepath_partition_config_static_selectorELNS0_4arch9wavefront6targetE0EEEvSK_.private_seg_size, 0
	.set _ZN7rocprim17ROCPRIM_400000_NS6detail17trampoline_kernelINS0_14default_configENS1_38merge_sort_block_merge_config_selectorIjNS0_10empty_typeEEEZZNS1_27merge_sort_block_merge_implIS3_N6thrust23THRUST_200600_302600_NS6detail15normal_iteratorINS9_10device_ptrIjEEEEPS5_m9comp_mod3IjEEE10hipError_tT0_T1_T2_jT3_P12ihipStream_tbPNSt15iterator_traitsISJ_E10value_typeEPNSP_ISK_E10value_typeEPSL_NS1_7vsmem_tEENKUlT_SJ_SK_SL_E_clIPjSE_SF_SF_EESI_SY_SJ_SK_SL_EUlSY_E_NS1_11comp_targetILNS1_3genE9ELNS1_11target_archE1100ELNS1_3gpuE3ELNS1_3repE0EEENS1_48merge_mergepath_partition_config_static_selectorELNS0_4arch9wavefront6targetE0EEEvSK_.uses_vcc, 0
	.set _ZN7rocprim17ROCPRIM_400000_NS6detail17trampoline_kernelINS0_14default_configENS1_38merge_sort_block_merge_config_selectorIjNS0_10empty_typeEEEZZNS1_27merge_sort_block_merge_implIS3_N6thrust23THRUST_200600_302600_NS6detail15normal_iteratorINS9_10device_ptrIjEEEEPS5_m9comp_mod3IjEEE10hipError_tT0_T1_T2_jT3_P12ihipStream_tbPNSt15iterator_traitsISJ_E10value_typeEPNSP_ISK_E10value_typeEPSL_NS1_7vsmem_tEENKUlT_SJ_SK_SL_E_clIPjSE_SF_SF_EESI_SY_SJ_SK_SL_EUlSY_E_NS1_11comp_targetILNS1_3genE9ELNS1_11target_archE1100ELNS1_3gpuE3ELNS1_3repE0EEENS1_48merge_mergepath_partition_config_static_selectorELNS0_4arch9wavefront6targetE0EEEvSK_.uses_flat_scratch, 0
	.set _ZN7rocprim17ROCPRIM_400000_NS6detail17trampoline_kernelINS0_14default_configENS1_38merge_sort_block_merge_config_selectorIjNS0_10empty_typeEEEZZNS1_27merge_sort_block_merge_implIS3_N6thrust23THRUST_200600_302600_NS6detail15normal_iteratorINS9_10device_ptrIjEEEEPS5_m9comp_mod3IjEEE10hipError_tT0_T1_T2_jT3_P12ihipStream_tbPNSt15iterator_traitsISJ_E10value_typeEPNSP_ISK_E10value_typeEPSL_NS1_7vsmem_tEENKUlT_SJ_SK_SL_E_clIPjSE_SF_SF_EESI_SY_SJ_SK_SL_EUlSY_E_NS1_11comp_targetILNS1_3genE9ELNS1_11target_archE1100ELNS1_3gpuE3ELNS1_3repE0EEENS1_48merge_mergepath_partition_config_static_selectorELNS0_4arch9wavefront6targetE0EEEvSK_.has_dyn_sized_stack, 0
	.set _ZN7rocprim17ROCPRIM_400000_NS6detail17trampoline_kernelINS0_14default_configENS1_38merge_sort_block_merge_config_selectorIjNS0_10empty_typeEEEZZNS1_27merge_sort_block_merge_implIS3_N6thrust23THRUST_200600_302600_NS6detail15normal_iteratorINS9_10device_ptrIjEEEEPS5_m9comp_mod3IjEEE10hipError_tT0_T1_T2_jT3_P12ihipStream_tbPNSt15iterator_traitsISJ_E10value_typeEPNSP_ISK_E10value_typeEPSL_NS1_7vsmem_tEENKUlT_SJ_SK_SL_E_clIPjSE_SF_SF_EESI_SY_SJ_SK_SL_EUlSY_E_NS1_11comp_targetILNS1_3genE9ELNS1_11target_archE1100ELNS1_3gpuE3ELNS1_3repE0EEENS1_48merge_mergepath_partition_config_static_selectorELNS0_4arch9wavefront6targetE0EEEvSK_.has_recursion, 0
	.set _ZN7rocprim17ROCPRIM_400000_NS6detail17trampoline_kernelINS0_14default_configENS1_38merge_sort_block_merge_config_selectorIjNS0_10empty_typeEEEZZNS1_27merge_sort_block_merge_implIS3_N6thrust23THRUST_200600_302600_NS6detail15normal_iteratorINS9_10device_ptrIjEEEEPS5_m9comp_mod3IjEEE10hipError_tT0_T1_T2_jT3_P12ihipStream_tbPNSt15iterator_traitsISJ_E10value_typeEPNSP_ISK_E10value_typeEPSL_NS1_7vsmem_tEENKUlT_SJ_SK_SL_E_clIPjSE_SF_SF_EESI_SY_SJ_SK_SL_EUlSY_E_NS1_11comp_targetILNS1_3genE9ELNS1_11target_archE1100ELNS1_3gpuE3ELNS1_3repE0EEENS1_48merge_mergepath_partition_config_static_selectorELNS0_4arch9wavefront6targetE0EEEvSK_.has_indirect_call, 0
	.section	.AMDGPU.csdata,"",@progbits
; Kernel info:
; codeLenInByte = 0
; TotalNumSgprs: 0
; NumVgprs: 0
; ScratchSize: 0
; MemoryBound: 0
; FloatMode: 240
; IeeeMode: 1
; LDSByteSize: 0 bytes/workgroup (compile time only)
; SGPRBlocks: 0
; VGPRBlocks: 0
; NumSGPRsForWavesPerEU: 1
; NumVGPRsForWavesPerEU: 1
; Occupancy: 16
; WaveLimiterHint : 0
; COMPUTE_PGM_RSRC2:SCRATCH_EN: 0
; COMPUTE_PGM_RSRC2:USER_SGPR: 6
; COMPUTE_PGM_RSRC2:TRAP_HANDLER: 0
; COMPUTE_PGM_RSRC2:TGID_X_EN: 1
; COMPUTE_PGM_RSRC2:TGID_Y_EN: 0
; COMPUTE_PGM_RSRC2:TGID_Z_EN: 0
; COMPUTE_PGM_RSRC2:TIDIG_COMP_CNT: 0
	.section	.text._ZN7rocprim17ROCPRIM_400000_NS6detail17trampoline_kernelINS0_14default_configENS1_38merge_sort_block_merge_config_selectorIjNS0_10empty_typeEEEZZNS1_27merge_sort_block_merge_implIS3_N6thrust23THRUST_200600_302600_NS6detail15normal_iteratorINS9_10device_ptrIjEEEEPS5_m9comp_mod3IjEEE10hipError_tT0_T1_T2_jT3_P12ihipStream_tbPNSt15iterator_traitsISJ_E10value_typeEPNSP_ISK_E10value_typeEPSL_NS1_7vsmem_tEENKUlT_SJ_SK_SL_E_clIPjSE_SF_SF_EESI_SY_SJ_SK_SL_EUlSY_E_NS1_11comp_targetILNS1_3genE8ELNS1_11target_archE1030ELNS1_3gpuE2ELNS1_3repE0EEENS1_48merge_mergepath_partition_config_static_selectorELNS0_4arch9wavefront6targetE0EEEvSK_,"axG",@progbits,_ZN7rocprim17ROCPRIM_400000_NS6detail17trampoline_kernelINS0_14default_configENS1_38merge_sort_block_merge_config_selectorIjNS0_10empty_typeEEEZZNS1_27merge_sort_block_merge_implIS3_N6thrust23THRUST_200600_302600_NS6detail15normal_iteratorINS9_10device_ptrIjEEEEPS5_m9comp_mod3IjEEE10hipError_tT0_T1_T2_jT3_P12ihipStream_tbPNSt15iterator_traitsISJ_E10value_typeEPNSP_ISK_E10value_typeEPSL_NS1_7vsmem_tEENKUlT_SJ_SK_SL_E_clIPjSE_SF_SF_EESI_SY_SJ_SK_SL_EUlSY_E_NS1_11comp_targetILNS1_3genE8ELNS1_11target_archE1030ELNS1_3gpuE2ELNS1_3repE0EEENS1_48merge_mergepath_partition_config_static_selectorELNS0_4arch9wavefront6targetE0EEEvSK_,comdat
	.protected	_ZN7rocprim17ROCPRIM_400000_NS6detail17trampoline_kernelINS0_14default_configENS1_38merge_sort_block_merge_config_selectorIjNS0_10empty_typeEEEZZNS1_27merge_sort_block_merge_implIS3_N6thrust23THRUST_200600_302600_NS6detail15normal_iteratorINS9_10device_ptrIjEEEEPS5_m9comp_mod3IjEEE10hipError_tT0_T1_T2_jT3_P12ihipStream_tbPNSt15iterator_traitsISJ_E10value_typeEPNSP_ISK_E10value_typeEPSL_NS1_7vsmem_tEENKUlT_SJ_SK_SL_E_clIPjSE_SF_SF_EESI_SY_SJ_SK_SL_EUlSY_E_NS1_11comp_targetILNS1_3genE8ELNS1_11target_archE1030ELNS1_3gpuE2ELNS1_3repE0EEENS1_48merge_mergepath_partition_config_static_selectorELNS0_4arch9wavefront6targetE0EEEvSK_ ; -- Begin function _ZN7rocprim17ROCPRIM_400000_NS6detail17trampoline_kernelINS0_14default_configENS1_38merge_sort_block_merge_config_selectorIjNS0_10empty_typeEEEZZNS1_27merge_sort_block_merge_implIS3_N6thrust23THRUST_200600_302600_NS6detail15normal_iteratorINS9_10device_ptrIjEEEEPS5_m9comp_mod3IjEEE10hipError_tT0_T1_T2_jT3_P12ihipStream_tbPNSt15iterator_traitsISJ_E10value_typeEPNSP_ISK_E10value_typeEPSL_NS1_7vsmem_tEENKUlT_SJ_SK_SL_E_clIPjSE_SF_SF_EESI_SY_SJ_SK_SL_EUlSY_E_NS1_11comp_targetILNS1_3genE8ELNS1_11target_archE1030ELNS1_3gpuE2ELNS1_3repE0EEENS1_48merge_mergepath_partition_config_static_selectorELNS0_4arch9wavefront6targetE0EEEvSK_
	.globl	_ZN7rocprim17ROCPRIM_400000_NS6detail17trampoline_kernelINS0_14default_configENS1_38merge_sort_block_merge_config_selectorIjNS0_10empty_typeEEEZZNS1_27merge_sort_block_merge_implIS3_N6thrust23THRUST_200600_302600_NS6detail15normal_iteratorINS9_10device_ptrIjEEEEPS5_m9comp_mod3IjEEE10hipError_tT0_T1_T2_jT3_P12ihipStream_tbPNSt15iterator_traitsISJ_E10value_typeEPNSP_ISK_E10value_typeEPSL_NS1_7vsmem_tEENKUlT_SJ_SK_SL_E_clIPjSE_SF_SF_EESI_SY_SJ_SK_SL_EUlSY_E_NS1_11comp_targetILNS1_3genE8ELNS1_11target_archE1030ELNS1_3gpuE2ELNS1_3repE0EEENS1_48merge_mergepath_partition_config_static_selectorELNS0_4arch9wavefront6targetE0EEEvSK_
	.p2align	8
	.type	_ZN7rocprim17ROCPRIM_400000_NS6detail17trampoline_kernelINS0_14default_configENS1_38merge_sort_block_merge_config_selectorIjNS0_10empty_typeEEEZZNS1_27merge_sort_block_merge_implIS3_N6thrust23THRUST_200600_302600_NS6detail15normal_iteratorINS9_10device_ptrIjEEEEPS5_m9comp_mod3IjEEE10hipError_tT0_T1_T2_jT3_P12ihipStream_tbPNSt15iterator_traitsISJ_E10value_typeEPNSP_ISK_E10value_typeEPSL_NS1_7vsmem_tEENKUlT_SJ_SK_SL_E_clIPjSE_SF_SF_EESI_SY_SJ_SK_SL_EUlSY_E_NS1_11comp_targetILNS1_3genE8ELNS1_11target_archE1030ELNS1_3gpuE2ELNS1_3repE0EEENS1_48merge_mergepath_partition_config_static_selectorELNS0_4arch9wavefront6targetE0EEEvSK_,@function
_ZN7rocprim17ROCPRIM_400000_NS6detail17trampoline_kernelINS0_14default_configENS1_38merge_sort_block_merge_config_selectorIjNS0_10empty_typeEEEZZNS1_27merge_sort_block_merge_implIS3_N6thrust23THRUST_200600_302600_NS6detail15normal_iteratorINS9_10device_ptrIjEEEEPS5_m9comp_mod3IjEEE10hipError_tT0_T1_T2_jT3_P12ihipStream_tbPNSt15iterator_traitsISJ_E10value_typeEPNSP_ISK_E10value_typeEPSL_NS1_7vsmem_tEENKUlT_SJ_SK_SL_E_clIPjSE_SF_SF_EESI_SY_SJ_SK_SL_EUlSY_E_NS1_11comp_targetILNS1_3genE8ELNS1_11target_archE1030ELNS1_3gpuE2ELNS1_3repE0EEENS1_48merge_mergepath_partition_config_static_selectorELNS0_4arch9wavefront6targetE0EEEvSK_: ; @_ZN7rocprim17ROCPRIM_400000_NS6detail17trampoline_kernelINS0_14default_configENS1_38merge_sort_block_merge_config_selectorIjNS0_10empty_typeEEEZZNS1_27merge_sort_block_merge_implIS3_N6thrust23THRUST_200600_302600_NS6detail15normal_iteratorINS9_10device_ptrIjEEEEPS5_m9comp_mod3IjEEE10hipError_tT0_T1_T2_jT3_P12ihipStream_tbPNSt15iterator_traitsISJ_E10value_typeEPNSP_ISK_E10value_typeEPSL_NS1_7vsmem_tEENKUlT_SJ_SK_SL_E_clIPjSE_SF_SF_EESI_SY_SJ_SK_SL_EUlSY_E_NS1_11comp_targetILNS1_3genE8ELNS1_11target_archE1030ELNS1_3gpuE2ELNS1_3repE0EEENS1_48merge_mergepath_partition_config_static_selectorELNS0_4arch9wavefront6targetE0EEEvSK_
; %bb.0:
	s_load_dword s0, s[4:5], 0x0
	v_lshl_or_b32 v0, s6, 7, v0
	s_waitcnt lgkmcnt(0)
	v_cmp_gt_u32_e32 vcc_lo, s0, v0
	s_and_saveexec_b32 s0, vcc_lo
	s_cbranch_execz .LBB823_6
; %bb.1:
	s_load_dwordx8 s[8:15], s[4:5], 0x8
	v_mov_b32_e32 v2, 0
	s_load_dwordx2 s[2:3], s[4:5], 0x28
	v_mov_b32_e32 v11, v2
	s_waitcnt lgkmcnt(0)
	s_lshr_b64 s[0:1], s[8:9], 9
	s_and_b32 s0, s0, -2
	s_sub_i32 s1, 0, s0
	v_and_b32_e32 v1, s1, v0
	s_add_i32 s1, s0, -1
	v_and_b32_e32 v10, s1, v0
	s_mov_b32 s1, 0
	v_lshlrev_b64 v[4:5], 10, v[1:2]
	v_add_co_u32 v6, vcc_lo, v4, s8
	v_add_co_ci_u32_e64 v7, null, s9, v5, vcc_lo
	v_cmp_lt_u64_e32 vcc_lo, s[10:11], v[6:7]
	v_cndmask_b32_e64 v8, v6, s10, vcc_lo
	v_cndmask_b32_e64 v9, v7, s11, vcc_lo
	v_add_co_u32 v6, vcc_lo, v8, s8
	v_add_co_ci_u32_e64 v7, null, s9, v9, vcc_lo
	v_cmp_lt_u64_e32 vcc_lo, s[10:11], v[4:5]
	v_cmp_lt_u64_e64 s0, s[10:11], v[6:7]
	v_cndmask_b32_e64 v2, v4, s10, vcc_lo
	v_cndmask_b32_e64 v3, v5, s11, vcc_lo
	v_lshlrev_b64 v[4:5], 10, v[10:11]
	v_cndmask_b32_e64 v12, v6, s10, s0
	v_cndmask_b32_e64 v1, v7, s11, s0
	v_sub_co_u32 v6, vcc_lo, v12, v2
	v_sub_co_ci_u32_e64 v7, null, v1, v3, vcc_lo
	v_cmp_lt_u64_e32 vcc_lo, v[6:7], v[4:5]
	v_cndmask_b32_e32 v11, v5, v7, vcc_lo
	v_cndmask_b32_e32 v10, v4, v6, vcc_lo
	v_sub_co_u32 v4, vcc_lo, v8, v12
	v_sub_co_ci_u32_e64 v1, null, v9, v1, vcc_lo
	v_add_co_u32 v4, vcc_lo, v10, v4
	v_add_co_ci_u32_e64 v5, null, v11, v1, vcc_lo
	v_sub_co_u32 v6, vcc_lo, v8, v2
	v_sub_co_ci_u32_e64 v7, null, v9, v3, vcc_lo
	v_cmp_gt_u64_e32 vcc_lo, v[4:5], v[10:11]
	v_cmp_lt_u64_e64 s0, v[10:11], v[6:7]
	v_cndmask_b32_e64 v5, v5, 0, vcc_lo
	v_cndmask_b32_e64 v4, v4, 0, vcc_lo
	v_cndmask_b32_e64 v7, v7, v11, s0
	v_cndmask_b32_e64 v6, v6, v10, s0
	s_mov_b32 s0, exec_lo
	v_cmpx_lt_u64_e64 v[4:5], v[6:7]
	s_cbranch_execz .LBB823_5
; %bb.2:
	v_lshlrev_b64 v[8:9], 2, v[8:9]
	v_lshlrev_b64 v[12:13], 2, v[2:3]
	;; [unrolled: 1-line block ×3, first 2 shown]
	v_add_co_u32 v14, vcc_lo, s12, v8
	v_add_co_ci_u32_e64 v15, null, s13, v9, vcc_lo
	v_add_co_u32 v1, vcc_lo, s12, v12
	v_add_co_ci_u32_e64 v8, null, s13, v13, vcc_lo
	;; [unrolled: 2-line block ×3, first 2 shown]
.LBB823_3:                              ; =>This Inner Loop Header: Depth=1
	v_add_co_u32 v11, vcc_lo, v6, v4
	v_add_co_ci_u32_e64 v12, null, v7, v5, vcc_lo
	v_lshrrev_b64 v[11:12], 1, v[11:12]
	v_lshlrev_b64 v[13:14], 2, v[11:12]
	v_xor_b32_e32 v15, -4, v13
	v_xor_b32_e32 v16, -1, v14
	v_add_co_u32 v13, vcc_lo, v1, v13
	v_add_co_ci_u32_e64 v14, null, v8, v14, vcc_lo
	v_add_co_u32 v15, vcc_lo, v9, v15
	v_add_co_ci_u32_e64 v16, null, v10, v16, vcc_lo
	s_clause 0x1
	global_load_dword v13, v[13:14], off
	global_load_dword v15, v[15:16], off
	s_waitcnt vmcnt(1)
	v_ashrrev_i32_e32 v14, 31, v13
	s_waitcnt vmcnt(0)
	v_ashrrev_i32_e32 v16, 31, v15
	v_lshlrev_b64 v[13:14], 2, v[13:14]
	v_lshlrev_b64 v[15:16], 2, v[15:16]
	v_add_co_u32 v13, vcc_lo, s14, v13
	v_add_co_ci_u32_e64 v14, null, s15, v14, vcc_lo
	v_add_co_u32 v15, vcc_lo, s14, v15
	v_add_co_ci_u32_e64 v16, null, s15, v16, vcc_lo
	s_clause 0x1
	global_load_dword v15, v[15:16], off
	global_load_dword v13, v[13:14], off
	v_add_co_u32 v14, vcc_lo, v11, 1
	v_add_co_ci_u32_e64 v16, null, 0, v12, vcc_lo
	s_waitcnt vmcnt(0)
	v_cmp_lt_u32_e32 vcc_lo, v15, v13
	v_cndmask_b32_e32 v7, v7, v12, vcc_lo
	v_cndmask_b32_e32 v6, v6, v11, vcc_lo
	;; [unrolled: 1-line block ×4, first 2 shown]
	v_cmp_ge_u64_e32 vcc_lo, v[4:5], v[6:7]
	s_or_b32 s1, vcc_lo, s1
	s_andn2_b32 exec_lo, exec_lo, s1
	s_cbranch_execnz .LBB823_3
; %bb.4:
	s_or_b32 exec_lo, exec_lo, s1
.LBB823_5:
	s_or_b32 exec_lo, exec_lo, s0
	v_mov_b32_e32 v1, 0
	v_add_co_u32 v2, vcc_lo, v4, v2
	v_add_co_ci_u32_e64 v3, null, v5, v3, vcc_lo
	v_lshlrev_b64 v[0:1], 3, v[0:1]
	v_add_co_u32 v0, vcc_lo, s2, v0
	v_add_co_ci_u32_e64 v1, null, s3, v1, vcc_lo
	global_store_dwordx2 v[0:1], v[2:3], off
.LBB823_6:
	s_endpgm
	.section	.rodata,"a",@progbits
	.p2align	6, 0x0
	.amdhsa_kernel _ZN7rocprim17ROCPRIM_400000_NS6detail17trampoline_kernelINS0_14default_configENS1_38merge_sort_block_merge_config_selectorIjNS0_10empty_typeEEEZZNS1_27merge_sort_block_merge_implIS3_N6thrust23THRUST_200600_302600_NS6detail15normal_iteratorINS9_10device_ptrIjEEEEPS5_m9comp_mod3IjEEE10hipError_tT0_T1_T2_jT3_P12ihipStream_tbPNSt15iterator_traitsISJ_E10value_typeEPNSP_ISK_E10value_typeEPSL_NS1_7vsmem_tEENKUlT_SJ_SK_SL_E_clIPjSE_SF_SF_EESI_SY_SJ_SK_SL_EUlSY_E_NS1_11comp_targetILNS1_3genE8ELNS1_11target_archE1030ELNS1_3gpuE2ELNS1_3repE0EEENS1_48merge_mergepath_partition_config_static_selectorELNS0_4arch9wavefront6targetE0EEEvSK_
		.amdhsa_group_segment_fixed_size 0
		.amdhsa_private_segment_fixed_size 0
		.amdhsa_kernarg_size 48
		.amdhsa_user_sgpr_count 6
		.amdhsa_user_sgpr_private_segment_buffer 1
		.amdhsa_user_sgpr_dispatch_ptr 0
		.amdhsa_user_sgpr_queue_ptr 0
		.amdhsa_user_sgpr_kernarg_segment_ptr 1
		.amdhsa_user_sgpr_dispatch_id 0
		.amdhsa_user_sgpr_flat_scratch_init 0
		.amdhsa_user_sgpr_private_segment_size 0
		.amdhsa_wavefront_size32 1
		.amdhsa_uses_dynamic_stack 0
		.amdhsa_system_sgpr_private_segment_wavefront_offset 0
		.amdhsa_system_sgpr_workgroup_id_x 1
		.amdhsa_system_sgpr_workgroup_id_y 0
		.amdhsa_system_sgpr_workgroup_id_z 0
		.amdhsa_system_sgpr_workgroup_info 0
		.amdhsa_system_vgpr_workitem_id 0
		.amdhsa_next_free_vgpr 17
		.amdhsa_next_free_sgpr 16
		.amdhsa_reserve_vcc 1
		.amdhsa_reserve_flat_scratch 0
		.amdhsa_float_round_mode_32 0
		.amdhsa_float_round_mode_16_64 0
		.amdhsa_float_denorm_mode_32 3
		.amdhsa_float_denorm_mode_16_64 3
		.amdhsa_dx10_clamp 1
		.amdhsa_ieee_mode 1
		.amdhsa_fp16_overflow 0
		.amdhsa_workgroup_processor_mode 1
		.amdhsa_memory_ordered 1
		.amdhsa_forward_progress 1
		.amdhsa_shared_vgpr_count 0
		.amdhsa_exception_fp_ieee_invalid_op 0
		.amdhsa_exception_fp_denorm_src 0
		.amdhsa_exception_fp_ieee_div_zero 0
		.amdhsa_exception_fp_ieee_overflow 0
		.amdhsa_exception_fp_ieee_underflow 0
		.amdhsa_exception_fp_ieee_inexact 0
		.amdhsa_exception_int_div_zero 0
	.end_amdhsa_kernel
	.section	.text._ZN7rocprim17ROCPRIM_400000_NS6detail17trampoline_kernelINS0_14default_configENS1_38merge_sort_block_merge_config_selectorIjNS0_10empty_typeEEEZZNS1_27merge_sort_block_merge_implIS3_N6thrust23THRUST_200600_302600_NS6detail15normal_iteratorINS9_10device_ptrIjEEEEPS5_m9comp_mod3IjEEE10hipError_tT0_T1_T2_jT3_P12ihipStream_tbPNSt15iterator_traitsISJ_E10value_typeEPNSP_ISK_E10value_typeEPSL_NS1_7vsmem_tEENKUlT_SJ_SK_SL_E_clIPjSE_SF_SF_EESI_SY_SJ_SK_SL_EUlSY_E_NS1_11comp_targetILNS1_3genE8ELNS1_11target_archE1030ELNS1_3gpuE2ELNS1_3repE0EEENS1_48merge_mergepath_partition_config_static_selectorELNS0_4arch9wavefront6targetE0EEEvSK_,"axG",@progbits,_ZN7rocprim17ROCPRIM_400000_NS6detail17trampoline_kernelINS0_14default_configENS1_38merge_sort_block_merge_config_selectorIjNS0_10empty_typeEEEZZNS1_27merge_sort_block_merge_implIS3_N6thrust23THRUST_200600_302600_NS6detail15normal_iteratorINS9_10device_ptrIjEEEEPS5_m9comp_mod3IjEEE10hipError_tT0_T1_T2_jT3_P12ihipStream_tbPNSt15iterator_traitsISJ_E10value_typeEPNSP_ISK_E10value_typeEPSL_NS1_7vsmem_tEENKUlT_SJ_SK_SL_E_clIPjSE_SF_SF_EESI_SY_SJ_SK_SL_EUlSY_E_NS1_11comp_targetILNS1_3genE8ELNS1_11target_archE1030ELNS1_3gpuE2ELNS1_3repE0EEENS1_48merge_mergepath_partition_config_static_selectorELNS0_4arch9wavefront6targetE0EEEvSK_,comdat
.Lfunc_end823:
	.size	_ZN7rocprim17ROCPRIM_400000_NS6detail17trampoline_kernelINS0_14default_configENS1_38merge_sort_block_merge_config_selectorIjNS0_10empty_typeEEEZZNS1_27merge_sort_block_merge_implIS3_N6thrust23THRUST_200600_302600_NS6detail15normal_iteratorINS9_10device_ptrIjEEEEPS5_m9comp_mod3IjEEE10hipError_tT0_T1_T2_jT3_P12ihipStream_tbPNSt15iterator_traitsISJ_E10value_typeEPNSP_ISK_E10value_typeEPSL_NS1_7vsmem_tEENKUlT_SJ_SK_SL_E_clIPjSE_SF_SF_EESI_SY_SJ_SK_SL_EUlSY_E_NS1_11comp_targetILNS1_3genE8ELNS1_11target_archE1030ELNS1_3gpuE2ELNS1_3repE0EEENS1_48merge_mergepath_partition_config_static_selectorELNS0_4arch9wavefront6targetE0EEEvSK_, .Lfunc_end823-_ZN7rocprim17ROCPRIM_400000_NS6detail17trampoline_kernelINS0_14default_configENS1_38merge_sort_block_merge_config_selectorIjNS0_10empty_typeEEEZZNS1_27merge_sort_block_merge_implIS3_N6thrust23THRUST_200600_302600_NS6detail15normal_iteratorINS9_10device_ptrIjEEEEPS5_m9comp_mod3IjEEE10hipError_tT0_T1_T2_jT3_P12ihipStream_tbPNSt15iterator_traitsISJ_E10value_typeEPNSP_ISK_E10value_typeEPSL_NS1_7vsmem_tEENKUlT_SJ_SK_SL_E_clIPjSE_SF_SF_EESI_SY_SJ_SK_SL_EUlSY_E_NS1_11comp_targetILNS1_3genE8ELNS1_11target_archE1030ELNS1_3gpuE2ELNS1_3repE0EEENS1_48merge_mergepath_partition_config_static_selectorELNS0_4arch9wavefront6targetE0EEEvSK_
                                        ; -- End function
	.set _ZN7rocprim17ROCPRIM_400000_NS6detail17trampoline_kernelINS0_14default_configENS1_38merge_sort_block_merge_config_selectorIjNS0_10empty_typeEEEZZNS1_27merge_sort_block_merge_implIS3_N6thrust23THRUST_200600_302600_NS6detail15normal_iteratorINS9_10device_ptrIjEEEEPS5_m9comp_mod3IjEEE10hipError_tT0_T1_T2_jT3_P12ihipStream_tbPNSt15iterator_traitsISJ_E10value_typeEPNSP_ISK_E10value_typeEPSL_NS1_7vsmem_tEENKUlT_SJ_SK_SL_E_clIPjSE_SF_SF_EESI_SY_SJ_SK_SL_EUlSY_E_NS1_11comp_targetILNS1_3genE8ELNS1_11target_archE1030ELNS1_3gpuE2ELNS1_3repE0EEENS1_48merge_mergepath_partition_config_static_selectorELNS0_4arch9wavefront6targetE0EEEvSK_.num_vgpr, 17
	.set _ZN7rocprim17ROCPRIM_400000_NS6detail17trampoline_kernelINS0_14default_configENS1_38merge_sort_block_merge_config_selectorIjNS0_10empty_typeEEEZZNS1_27merge_sort_block_merge_implIS3_N6thrust23THRUST_200600_302600_NS6detail15normal_iteratorINS9_10device_ptrIjEEEEPS5_m9comp_mod3IjEEE10hipError_tT0_T1_T2_jT3_P12ihipStream_tbPNSt15iterator_traitsISJ_E10value_typeEPNSP_ISK_E10value_typeEPSL_NS1_7vsmem_tEENKUlT_SJ_SK_SL_E_clIPjSE_SF_SF_EESI_SY_SJ_SK_SL_EUlSY_E_NS1_11comp_targetILNS1_3genE8ELNS1_11target_archE1030ELNS1_3gpuE2ELNS1_3repE0EEENS1_48merge_mergepath_partition_config_static_selectorELNS0_4arch9wavefront6targetE0EEEvSK_.num_agpr, 0
	.set _ZN7rocprim17ROCPRIM_400000_NS6detail17trampoline_kernelINS0_14default_configENS1_38merge_sort_block_merge_config_selectorIjNS0_10empty_typeEEEZZNS1_27merge_sort_block_merge_implIS3_N6thrust23THRUST_200600_302600_NS6detail15normal_iteratorINS9_10device_ptrIjEEEEPS5_m9comp_mod3IjEEE10hipError_tT0_T1_T2_jT3_P12ihipStream_tbPNSt15iterator_traitsISJ_E10value_typeEPNSP_ISK_E10value_typeEPSL_NS1_7vsmem_tEENKUlT_SJ_SK_SL_E_clIPjSE_SF_SF_EESI_SY_SJ_SK_SL_EUlSY_E_NS1_11comp_targetILNS1_3genE8ELNS1_11target_archE1030ELNS1_3gpuE2ELNS1_3repE0EEENS1_48merge_mergepath_partition_config_static_selectorELNS0_4arch9wavefront6targetE0EEEvSK_.numbered_sgpr, 16
	.set _ZN7rocprim17ROCPRIM_400000_NS6detail17trampoline_kernelINS0_14default_configENS1_38merge_sort_block_merge_config_selectorIjNS0_10empty_typeEEEZZNS1_27merge_sort_block_merge_implIS3_N6thrust23THRUST_200600_302600_NS6detail15normal_iteratorINS9_10device_ptrIjEEEEPS5_m9comp_mod3IjEEE10hipError_tT0_T1_T2_jT3_P12ihipStream_tbPNSt15iterator_traitsISJ_E10value_typeEPNSP_ISK_E10value_typeEPSL_NS1_7vsmem_tEENKUlT_SJ_SK_SL_E_clIPjSE_SF_SF_EESI_SY_SJ_SK_SL_EUlSY_E_NS1_11comp_targetILNS1_3genE8ELNS1_11target_archE1030ELNS1_3gpuE2ELNS1_3repE0EEENS1_48merge_mergepath_partition_config_static_selectorELNS0_4arch9wavefront6targetE0EEEvSK_.num_named_barrier, 0
	.set _ZN7rocprim17ROCPRIM_400000_NS6detail17trampoline_kernelINS0_14default_configENS1_38merge_sort_block_merge_config_selectorIjNS0_10empty_typeEEEZZNS1_27merge_sort_block_merge_implIS3_N6thrust23THRUST_200600_302600_NS6detail15normal_iteratorINS9_10device_ptrIjEEEEPS5_m9comp_mod3IjEEE10hipError_tT0_T1_T2_jT3_P12ihipStream_tbPNSt15iterator_traitsISJ_E10value_typeEPNSP_ISK_E10value_typeEPSL_NS1_7vsmem_tEENKUlT_SJ_SK_SL_E_clIPjSE_SF_SF_EESI_SY_SJ_SK_SL_EUlSY_E_NS1_11comp_targetILNS1_3genE8ELNS1_11target_archE1030ELNS1_3gpuE2ELNS1_3repE0EEENS1_48merge_mergepath_partition_config_static_selectorELNS0_4arch9wavefront6targetE0EEEvSK_.private_seg_size, 0
	.set _ZN7rocprim17ROCPRIM_400000_NS6detail17trampoline_kernelINS0_14default_configENS1_38merge_sort_block_merge_config_selectorIjNS0_10empty_typeEEEZZNS1_27merge_sort_block_merge_implIS3_N6thrust23THRUST_200600_302600_NS6detail15normal_iteratorINS9_10device_ptrIjEEEEPS5_m9comp_mod3IjEEE10hipError_tT0_T1_T2_jT3_P12ihipStream_tbPNSt15iterator_traitsISJ_E10value_typeEPNSP_ISK_E10value_typeEPSL_NS1_7vsmem_tEENKUlT_SJ_SK_SL_E_clIPjSE_SF_SF_EESI_SY_SJ_SK_SL_EUlSY_E_NS1_11comp_targetILNS1_3genE8ELNS1_11target_archE1030ELNS1_3gpuE2ELNS1_3repE0EEENS1_48merge_mergepath_partition_config_static_selectorELNS0_4arch9wavefront6targetE0EEEvSK_.uses_vcc, 1
	.set _ZN7rocprim17ROCPRIM_400000_NS6detail17trampoline_kernelINS0_14default_configENS1_38merge_sort_block_merge_config_selectorIjNS0_10empty_typeEEEZZNS1_27merge_sort_block_merge_implIS3_N6thrust23THRUST_200600_302600_NS6detail15normal_iteratorINS9_10device_ptrIjEEEEPS5_m9comp_mod3IjEEE10hipError_tT0_T1_T2_jT3_P12ihipStream_tbPNSt15iterator_traitsISJ_E10value_typeEPNSP_ISK_E10value_typeEPSL_NS1_7vsmem_tEENKUlT_SJ_SK_SL_E_clIPjSE_SF_SF_EESI_SY_SJ_SK_SL_EUlSY_E_NS1_11comp_targetILNS1_3genE8ELNS1_11target_archE1030ELNS1_3gpuE2ELNS1_3repE0EEENS1_48merge_mergepath_partition_config_static_selectorELNS0_4arch9wavefront6targetE0EEEvSK_.uses_flat_scratch, 0
	.set _ZN7rocprim17ROCPRIM_400000_NS6detail17trampoline_kernelINS0_14default_configENS1_38merge_sort_block_merge_config_selectorIjNS0_10empty_typeEEEZZNS1_27merge_sort_block_merge_implIS3_N6thrust23THRUST_200600_302600_NS6detail15normal_iteratorINS9_10device_ptrIjEEEEPS5_m9comp_mod3IjEEE10hipError_tT0_T1_T2_jT3_P12ihipStream_tbPNSt15iterator_traitsISJ_E10value_typeEPNSP_ISK_E10value_typeEPSL_NS1_7vsmem_tEENKUlT_SJ_SK_SL_E_clIPjSE_SF_SF_EESI_SY_SJ_SK_SL_EUlSY_E_NS1_11comp_targetILNS1_3genE8ELNS1_11target_archE1030ELNS1_3gpuE2ELNS1_3repE0EEENS1_48merge_mergepath_partition_config_static_selectorELNS0_4arch9wavefront6targetE0EEEvSK_.has_dyn_sized_stack, 0
	.set _ZN7rocprim17ROCPRIM_400000_NS6detail17trampoline_kernelINS0_14default_configENS1_38merge_sort_block_merge_config_selectorIjNS0_10empty_typeEEEZZNS1_27merge_sort_block_merge_implIS3_N6thrust23THRUST_200600_302600_NS6detail15normal_iteratorINS9_10device_ptrIjEEEEPS5_m9comp_mod3IjEEE10hipError_tT0_T1_T2_jT3_P12ihipStream_tbPNSt15iterator_traitsISJ_E10value_typeEPNSP_ISK_E10value_typeEPSL_NS1_7vsmem_tEENKUlT_SJ_SK_SL_E_clIPjSE_SF_SF_EESI_SY_SJ_SK_SL_EUlSY_E_NS1_11comp_targetILNS1_3genE8ELNS1_11target_archE1030ELNS1_3gpuE2ELNS1_3repE0EEENS1_48merge_mergepath_partition_config_static_selectorELNS0_4arch9wavefront6targetE0EEEvSK_.has_recursion, 0
	.set _ZN7rocprim17ROCPRIM_400000_NS6detail17trampoline_kernelINS0_14default_configENS1_38merge_sort_block_merge_config_selectorIjNS0_10empty_typeEEEZZNS1_27merge_sort_block_merge_implIS3_N6thrust23THRUST_200600_302600_NS6detail15normal_iteratorINS9_10device_ptrIjEEEEPS5_m9comp_mod3IjEEE10hipError_tT0_T1_T2_jT3_P12ihipStream_tbPNSt15iterator_traitsISJ_E10value_typeEPNSP_ISK_E10value_typeEPSL_NS1_7vsmem_tEENKUlT_SJ_SK_SL_E_clIPjSE_SF_SF_EESI_SY_SJ_SK_SL_EUlSY_E_NS1_11comp_targetILNS1_3genE8ELNS1_11target_archE1030ELNS1_3gpuE2ELNS1_3repE0EEENS1_48merge_mergepath_partition_config_static_selectorELNS0_4arch9wavefront6targetE0EEEvSK_.has_indirect_call, 0
	.section	.AMDGPU.csdata,"",@progbits
; Kernel info:
; codeLenInByte = 704
; TotalNumSgprs: 18
; NumVgprs: 17
; ScratchSize: 0
; MemoryBound: 0
; FloatMode: 240
; IeeeMode: 1
; LDSByteSize: 0 bytes/workgroup (compile time only)
; SGPRBlocks: 0
; VGPRBlocks: 2
; NumSGPRsForWavesPerEU: 18
; NumVGPRsForWavesPerEU: 17
; Occupancy: 16
; WaveLimiterHint : 1
; COMPUTE_PGM_RSRC2:SCRATCH_EN: 0
; COMPUTE_PGM_RSRC2:USER_SGPR: 6
; COMPUTE_PGM_RSRC2:TRAP_HANDLER: 0
; COMPUTE_PGM_RSRC2:TGID_X_EN: 1
; COMPUTE_PGM_RSRC2:TGID_Y_EN: 0
; COMPUTE_PGM_RSRC2:TGID_Z_EN: 0
; COMPUTE_PGM_RSRC2:TIDIG_COMP_CNT: 0
	.section	.text._ZN7rocprim17ROCPRIM_400000_NS6detail17trampoline_kernelINS0_14default_configENS1_38merge_sort_block_merge_config_selectorIjNS0_10empty_typeEEEZZNS1_27merge_sort_block_merge_implIS3_N6thrust23THRUST_200600_302600_NS6detail15normal_iteratorINS9_10device_ptrIjEEEEPS5_m9comp_mod3IjEEE10hipError_tT0_T1_T2_jT3_P12ihipStream_tbPNSt15iterator_traitsISJ_E10value_typeEPNSP_ISK_E10value_typeEPSL_NS1_7vsmem_tEENKUlT_SJ_SK_SL_E_clIPjSE_SF_SF_EESI_SY_SJ_SK_SL_EUlSY_E0_NS1_11comp_targetILNS1_3genE0ELNS1_11target_archE4294967295ELNS1_3gpuE0ELNS1_3repE0EEENS1_38merge_mergepath_config_static_selectorELNS0_4arch9wavefront6targetE0EEEvSK_,"axG",@progbits,_ZN7rocprim17ROCPRIM_400000_NS6detail17trampoline_kernelINS0_14default_configENS1_38merge_sort_block_merge_config_selectorIjNS0_10empty_typeEEEZZNS1_27merge_sort_block_merge_implIS3_N6thrust23THRUST_200600_302600_NS6detail15normal_iteratorINS9_10device_ptrIjEEEEPS5_m9comp_mod3IjEEE10hipError_tT0_T1_T2_jT3_P12ihipStream_tbPNSt15iterator_traitsISJ_E10value_typeEPNSP_ISK_E10value_typeEPSL_NS1_7vsmem_tEENKUlT_SJ_SK_SL_E_clIPjSE_SF_SF_EESI_SY_SJ_SK_SL_EUlSY_E0_NS1_11comp_targetILNS1_3genE0ELNS1_11target_archE4294967295ELNS1_3gpuE0ELNS1_3repE0EEENS1_38merge_mergepath_config_static_selectorELNS0_4arch9wavefront6targetE0EEEvSK_,comdat
	.protected	_ZN7rocprim17ROCPRIM_400000_NS6detail17trampoline_kernelINS0_14default_configENS1_38merge_sort_block_merge_config_selectorIjNS0_10empty_typeEEEZZNS1_27merge_sort_block_merge_implIS3_N6thrust23THRUST_200600_302600_NS6detail15normal_iteratorINS9_10device_ptrIjEEEEPS5_m9comp_mod3IjEEE10hipError_tT0_T1_T2_jT3_P12ihipStream_tbPNSt15iterator_traitsISJ_E10value_typeEPNSP_ISK_E10value_typeEPSL_NS1_7vsmem_tEENKUlT_SJ_SK_SL_E_clIPjSE_SF_SF_EESI_SY_SJ_SK_SL_EUlSY_E0_NS1_11comp_targetILNS1_3genE0ELNS1_11target_archE4294967295ELNS1_3gpuE0ELNS1_3repE0EEENS1_38merge_mergepath_config_static_selectorELNS0_4arch9wavefront6targetE0EEEvSK_ ; -- Begin function _ZN7rocprim17ROCPRIM_400000_NS6detail17trampoline_kernelINS0_14default_configENS1_38merge_sort_block_merge_config_selectorIjNS0_10empty_typeEEEZZNS1_27merge_sort_block_merge_implIS3_N6thrust23THRUST_200600_302600_NS6detail15normal_iteratorINS9_10device_ptrIjEEEEPS5_m9comp_mod3IjEEE10hipError_tT0_T1_T2_jT3_P12ihipStream_tbPNSt15iterator_traitsISJ_E10value_typeEPNSP_ISK_E10value_typeEPSL_NS1_7vsmem_tEENKUlT_SJ_SK_SL_E_clIPjSE_SF_SF_EESI_SY_SJ_SK_SL_EUlSY_E0_NS1_11comp_targetILNS1_3genE0ELNS1_11target_archE4294967295ELNS1_3gpuE0ELNS1_3repE0EEENS1_38merge_mergepath_config_static_selectorELNS0_4arch9wavefront6targetE0EEEvSK_
	.globl	_ZN7rocprim17ROCPRIM_400000_NS6detail17trampoline_kernelINS0_14default_configENS1_38merge_sort_block_merge_config_selectorIjNS0_10empty_typeEEEZZNS1_27merge_sort_block_merge_implIS3_N6thrust23THRUST_200600_302600_NS6detail15normal_iteratorINS9_10device_ptrIjEEEEPS5_m9comp_mod3IjEEE10hipError_tT0_T1_T2_jT3_P12ihipStream_tbPNSt15iterator_traitsISJ_E10value_typeEPNSP_ISK_E10value_typeEPSL_NS1_7vsmem_tEENKUlT_SJ_SK_SL_E_clIPjSE_SF_SF_EESI_SY_SJ_SK_SL_EUlSY_E0_NS1_11comp_targetILNS1_3genE0ELNS1_11target_archE4294967295ELNS1_3gpuE0ELNS1_3repE0EEENS1_38merge_mergepath_config_static_selectorELNS0_4arch9wavefront6targetE0EEEvSK_
	.p2align	8
	.type	_ZN7rocprim17ROCPRIM_400000_NS6detail17trampoline_kernelINS0_14default_configENS1_38merge_sort_block_merge_config_selectorIjNS0_10empty_typeEEEZZNS1_27merge_sort_block_merge_implIS3_N6thrust23THRUST_200600_302600_NS6detail15normal_iteratorINS9_10device_ptrIjEEEEPS5_m9comp_mod3IjEEE10hipError_tT0_T1_T2_jT3_P12ihipStream_tbPNSt15iterator_traitsISJ_E10value_typeEPNSP_ISK_E10value_typeEPSL_NS1_7vsmem_tEENKUlT_SJ_SK_SL_E_clIPjSE_SF_SF_EESI_SY_SJ_SK_SL_EUlSY_E0_NS1_11comp_targetILNS1_3genE0ELNS1_11target_archE4294967295ELNS1_3gpuE0ELNS1_3repE0EEENS1_38merge_mergepath_config_static_selectorELNS0_4arch9wavefront6targetE0EEEvSK_,@function
_ZN7rocprim17ROCPRIM_400000_NS6detail17trampoline_kernelINS0_14default_configENS1_38merge_sort_block_merge_config_selectorIjNS0_10empty_typeEEEZZNS1_27merge_sort_block_merge_implIS3_N6thrust23THRUST_200600_302600_NS6detail15normal_iteratorINS9_10device_ptrIjEEEEPS5_m9comp_mod3IjEEE10hipError_tT0_T1_T2_jT3_P12ihipStream_tbPNSt15iterator_traitsISJ_E10value_typeEPNSP_ISK_E10value_typeEPSL_NS1_7vsmem_tEENKUlT_SJ_SK_SL_E_clIPjSE_SF_SF_EESI_SY_SJ_SK_SL_EUlSY_E0_NS1_11comp_targetILNS1_3genE0ELNS1_11target_archE4294967295ELNS1_3gpuE0ELNS1_3repE0EEENS1_38merge_mergepath_config_static_selectorELNS0_4arch9wavefront6targetE0EEEvSK_: ; @_ZN7rocprim17ROCPRIM_400000_NS6detail17trampoline_kernelINS0_14default_configENS1_38merge_sort_block_merge_config_selectorIjNS0_10empty_typeEEEZZNS1_27merge_sort_block_merge_implIS3_N6thrust23THRUST_200600_302600_NS6detail15normal_iteratorINS9_10device_ptrIjEEEEPS5_m9comp_mod3IjEEE10hipError_tT0_T1_T2_jT3_P12ihipStream_tbPNSt15iterator_traitsISJ_E10value_typeEPNSP_ISK_E10value_typeEPSL_NS1_7vsmem_tEENKUlT_SJ_SK_SL_E_clIPjSE_SF_SF_EESI_SY_SJ_SK_SL_EUlSY_E0_NS1_11comp_targetILNS1_3genE0ELNS1_11target_archE4294967295ELNS1_3gpuE0ELNS1_3repE0EEENS1_38merge_mergepath_config_static_selectorELNS0_4arch9wavefront6targetE0EEEvSK_
; %bb.0:
	.section	.rodata,"a",@progbits
	.p2align	6, 0x0
	.amdhsa_kernel _ZN7rocprim17ROCPRIM_400000_NS6detail17trampoline_kernelINS0_14default_configENS1_38merge_sort_block_merge_config_selectorIjNS0_10empty_typeEEEZZNS1_27merge_sort_block_merge_implIS3_N6thrust23THRUST_200600_302600_NS6detail15normal_iteratorINS9_10device_ptrIjEEEEPS5_m9comp_mod3IjEEE10hipError_tT0_T1_T2_jT3_P12ihipStream_tbPNSt15iterator_traitsISJ_E10value_typeEPNSP_ISK_E10value_typeEPSL_NS1_7vsmem_tEENKUlT_SJ_SK_SL_E_clIPjSE_SF_SF_EESI_SY_SJ_SK_SL_EUlSY_E0_NS1_11comp_targetILNS1_3genE0ELNS1_11target_archE4294967295ELNS1_3gpuE0ELNS1_3repE0EEENS1_38merge_mergepath_config_static_selectorELNS0_4arch9wavefront6targetE0EEEvSK_
		.amdhsa_group_segment_fixed_size 0
		.amdhsa_private_segment_fixed_size 0
		.amdhsa_kernarg_size 80
		.amdhsa_user_sgpr_count 6
		.amdhsa_user_sgpr_private_segment_buffer 1
		.amdhsa_user_sgpr_dispatch_ptr 0
		.amdhsa_user_sgpr_queue_ptr 0
		.amdhsa_user_sgpr_kernarg_segment_ptr 1
		.amdhsa_user_sgpr_dispatch_id 0
		.amdhsa_user_sgpr_flat_scratch_init 0
		.amdhsa_user_sgpr_private_segment_size 0
		.amdhsa_wavefront_size32 1
		.amdhsa_uses_dynamic_stack 0
		.amdhsa_system_sgpr_private_segment_wavefront_offset 0
		.amdhsa_system_sgpr_workgroup_id_x 1
		.amdhsa_system_sgpr_workgroup_id_y 0
		.amdhsa_system_sgpr_workgroup_id_z 0
		.amdhsa_system_sgpr_workgroup_info 0
		.amdhsa_system_vgpr_workitem_id 0
		.amdhsa_next_free_vgpr 1
		.amdhsa_next_free_sgpr 1
		.amdhsa_reserve_vcc 0
		.amdhsa_reserve_flat_scratch 0
		.amdhsa_float_round_mode_32 0
		.amdhsa_float_round_mode_16_64 0
		.amdhsa_float_denorm_mode_32 3
		.amdhsa_float_denorm_mode_16_64 3
		.amdhsa_dx10_clamp 1
		.amdhsa_ieee_mode 1
		.amdhsa_fp16_overflow 0
		.amdhsa_workgroup_processor_mode 1
		.amdhsa_memory_ordered 1
		.amdhsa_forward_progress 1
		.amdhsa_shared_vgpr_count 0
		.amdhsa_exception_fp_ieee_invalid_op 0
		.amdhsa_exception_fp_denorm_src 0
		.amdhsa_exception_fp_ieee_div_zero 0
		.amdhsa_exception_fp_ieee_overflow 0
		.amdhsa_exception_fp_ieee_underflow 0
		.amdhsa_exception_fp_ieee_inexact 0
		.amdhsa_exception_int_div_zero 0
	.end_amdhsa_kernel
	.section	.text._ZN7rocprim17ROCPRIM_400000_NS6detail17trampoline_kernelINS0_14default_configENS1_38merge_sort_block_merge_config_selectorIjNS0_10empty_typeEEEZZNS1_27merge_sort_block_merge_implIS3_N6thrust23THRUST_200600_302600_NS6detail15normal_iteratorINS9_10device_ptrIjEEEEPS5_m9comp_mod3IjEEE10hipError_tT0_T1_T2_jT3_P12ihipStream_tbPNSt15iterator_traitsISJ_E10value_typeEPNSP_ISK_E10value_typeEPSL_NS1_7vsmem_tEENKUlT_SJ_SK_SL_E_clIPjSE_SF_SF_EESI_SY_SJ_SK_SL_EUlSY_E0_NS1_11comp_targetILNS1_3genE0ELNS1_11target_archE4294967295ELNS1_3gpuE0ELNS1_3repE0EEENS1_38merge_mergepath_config_static_selectorELNS0_4arch9wavefront6targetE0EEEvSK_,"axG",@progbits,_ZN7rocprim17ROCPRIM_400000_NS6detail17trampoline_kernelINS0_14default_configENS1_38merge_sort_block_merge_config_selectorIjNS0_10empty_typeEEEZZNS1_27merge_sort_block_merge_implIS3_N6thrust23THRUST_200600_302600_NS6detail15normal_iteratorINS9_10device_ptrIjEEEEPS5_m9comp_mod3IjEEE10hipError_tT0_T1_T2_jT3_P12ihipStream_tbPNSt15iterator_traitsISJ_E10value_typeEPNSP_ISK_E10value_typeEPSL_NS1_7vsmem_tEENKUlT_SJ_SK_SL_E_clIPjSE_SF_SF_EESI_SY_SJ_SK_SL_EUlSY_E0_NS1_11comp_targetILNS1_3genE0ELNS1_11target_archE4294967295ELNS1_3gpuE0ELNS1_3repE0EEENS1_38merge_mergepath_config_static_selectorELNS0_4arch9wavefront6targetE0EEEvSK_,comdat
.Lfunc_end824:
	.size	_ZN7rocprim17ROCPRIM_400000_NS6detail17trampoline_kernelINS0_14default_configENS1_38merge_sort_block_merge_config_selectorIjNS0_10empty_typeEEEZZNS1_27merge_sort_block_merge_implIS3_N6thrust23THRUST_200600_302600_NS6detail15normal_iteratorINS9_10device_ptrIjEEEEPS5_m9comp_mod3IjEEE10hipError_tT0_T1_T2_jT3_P12ihipStream_tbPNSt15iterator_traitsISJ_E10value_typeEPNSP_ISK_E10value_typeEPSL_NS1_7vsmem_tEENKUlT_SJ_SK_SL_E_clIPjSE_SF_SF_EESI_SY_SJ_SK_SL_EUlSY_E0_NS1_11comp_targetILNS1_3genE0ELNS1_11target_archE4294967295ELNS1_3gpuE0ELNS1_3repE0EEENS1_38merge_mergepath_config_static_selectorELNS0_4arch9wavefront6targetE0EEEvSK_, .Lfunc_end824-_ZN7rocprim17ROCPRIM_400000_NS6detail17trampoline_kernelINS0_14default_configENS1_38merge_sort_block_merge_config_selectorIjNS0_10empty_typeEEEZZNS1_27merge_sort_block_merge_implIS3_N6thrust23THRUST_200600_302600_NS6detail15normal_iteratorINS9_10device_ptrIjEEEEPS5_m9comp_mod3IjEEE10hipError_tT0_T1_T2_jT3_P12ihipStream_tbPNSt15iterator_traitsISJ_E10value_typeEPNSP_ISK_E10value_typeEPSL_NS1_7vsmem_tEENKUlT_SJ_SK_SL_E_clIPjSE_SF_SF_EESI_SY_SJ_SK_SL_EUlSY_E0_NS1_11comp_targetILNS1_3genE0ELNS1_11target_archE4294967295ELNS1_3gpuE0ELNS1_3repE0EEENS1_38merge_mergepath_config_static_selectorELNS0_4arch9wavefront6targetE0EEEvSK_
                                        ; -- End function
	.set _ZN7rocprim17ROCPRIM_400000_NS6detail17trampoline_kernelINS0_14default_configENS1_38merge_sort_block_merge_config_selectorIjNS0_10empty_typeEEEZZNS1_27merge_sort_block_merge_implIS3_N6thrust23THRUST_200600_302600_NS6detail15normal_iteratorINS9_10device_ptrIjEEEEPS5_m9comp_mod3IjEEE10hipError_tT0_T1_T2_jT3_P12ihipStream_tbPNSt15iterator_traitsISJ_E10value_typeEPNSP_ISK_E10value_typeEPSL_NS1_7vsmem_tEENKUlT_SJ_SK_SL_E_clIPjSE_SF_SF_EESI_SY_SJ_SK_SL_EUlSY_E0_NS1_11comp_targetILNS1_3genE0ELNS1_11target_archE4294967295ELNS1_3gpuE0ELNS1_3repE0EEENS1_38merge_mergepath_config_static_selectorELNS0_4arch9wavefront6targetE0EEEvSK_.num_vgpr, 0
	.set _ZN7rocprim17ROCPRIM_400000_NS6detail17trampoline_kernelINS0_14default_configENS1_38merge_sort_block_merge_config_selectorIjNS0_10empty_typeEEEZZNS1_27merge_sort_block_merge_implIS3_N6thrust23THRUST_200600_302600_NS6detail15normal_iteratorINS9_10device_ptrIjEEEEPS5_m9comp_mod3IjEEE10hipError_tT0_T1_T2_jT3_P12ihipStream_tbPNSt15iterator_traitsISJ_E10value_typeEPNSP_ISK_E10value_typeEPSL_NS1_7vsmem_tEENKUlT_SJ_SK_SL_E_clIPjSE_SF_SF_EESI_SY_SJ_SK_SL_EUlSY_E0_NS1_11comp_targetILNS1_3genE0ELNS1_11target_archE4294967295ELNS1_3gpuE0ELNS1_3repE0EEENS1_38merge_mergepath_config_static_selectorELNS0_4arch9wavefront6targetE0EEEvSK_.num_agpr, 0
	.set _ZN7rocprim17ROCPRIM_400000_NS6detail17trampoline_kernelINS0_14default_configENS1_38merge_sort_block_merge_config_selectorIjNS0_10empty_typeEEEZZNS1_27merge_sort_block_merge_implIS3_N6thrust23THRUST_200600_302600_NS6detail15normal_iteratorINS9_10device_ptrIjEEEEPS5_m9comp_mod3IjEEE10hipError_tT0_T1_T2_jT3_P12ihipStream_tbPNSt15iterator_traitsISJ_E10value_typeEPNSP_ISK_E10value_typeEPSL_NS1_7vsmem_tEENKUlT_SJ_SK_SL_E_clIPjSE_SF_SF_EESI_SY_SJ_SK_SL_EUlSY_E0_NS1_11comp_targetILNS1_3genE0ELNS1_11target_archE4294967295ELNS1_3gpuE0ELNS1_3repE0EEENS1_38merge_mergepath_config_static_selectorELNS0_4arch9wavefront6targetE0EEEvSK_.numbered_sgpr, 0
	.set _ZN7rocprim17ROCPRIM_400000_NS6detail17trampoline_kernelINS0_14default_configENS1_38merge_sort_block_merge_config_selectorIjNS0_10empty_typeEEEZZNS1_27merge_sort_block_merge_implIS3_N6thrust23THRUST_200600_302600_NS6detail15normal_iteratorINS9_10device_ptrIjEEEEPS5_m9comp_mod3IjEEE10hipError_tT0_T1_T2_jT3_P12ihipStream_tbPNSt15iterator_traitsISJ_E10value_typeEPNSP_ISK_E10value_typeEPSL_NS1_7vsmem_tEENKUlT_SJ_SK_SL_E_clIPjSE_SF_SF_EESI_SY_SJ_SK_SL_EUlSY_E0_NS1_11comp_targetILNS1_3genE0ELNS1_11target_archE4294967295ELNS1_3gpuE0ELNS1_3repE0EEENS1_38merge_mergepath_config_static_selectorELNS0_4arch9wavefront6targetE0EEEvSK_.num_named_barrier, 0
	.set _ZN7rocprim17ROCPRIM_400000_NS6detail17trampoline_kernelINS0_14default_configENS1_38merge_sort_block_merge_config_selectorIjNS0_10empty_typeEEEZZNS1_27merge_sort_block_merge_implIS3_N6thrust23THRUST_200600_302600_NS6detail15normal_iteratorINS9_10device_ptrIjEEEEPS5_m9comp_mod3IjEEE10hipError_tT0_T1_T2_jT3_P12ihipStream_tbPNSt15iterator_traitsISJ_E10value_typeEPNSP_ISK_E10value_typeEPSL_NS1_7vsmem_tEENKUlT_SJ_SK_SL_E_clIPjSE_SF_SF_EESI_SY_SJ_SK_SL_EUlSY_E0_NS1_11comp_targetILNS1_3genE0ELNS1_11target_archE4294967295ELNS1_3gpuE0ELNS1_3repE0EEENS1_38merge_mergepath_config_static_selectorELNS0_4arch9wavefront6targetE0EEEvSK_.private_seg_size, 0
	.set _ZN7rocprim17ROCPRIM_400000_NS6detail17trampoline_kernelINS0_14default_configENS1_38merge_sort_block_merge_config_selectorIjNS0_10empty_typeEEEZZNS1_27merge_sort_block_merge_implIS3_N6thrust23THRUST_200600_302600_NS6detail15normal_iteratorINS9_10device_ptrIjEEEEPS5_m9comp_mod3IjEEE10hipError_tT0_T1_T2_jT3_P12ihipStream_tbPNSt15iterator_traitsISJ_E10value_typeEPNSP_ISK_E10value_typeEPSL_NS1_7vsmem_tEENKUlT_SJ_SK_SL_E_clIPjSE_SF_SF_EESI_SY_SJ_SK_SL_EUlSY_E0_NS1_11comp_targetILNS1_3genE0ELNS1_11target_archE4294967295ELNS1_3gpuE0ELNS1_3repE0EEENS1_38merge_mergepath_config_static_selectorELNS0_4arch9wavefront6targetE0EEEvSK_.uses_vcc, 0
	.set _ZN7rocprim17ROCPRIM_400000_NS6detail17trampoline_kernelINS0_14default_configENS1_38merge_sort_block_merge_config_selectorIjNS0_10empty_typeEEEZZNS1_27merge_sort_block_merge_implIS3_N6thrust23THRUST_200600_302600_NS6detail15normal_iteratorINS9_10device_ptrIjEEEEPS5_m9comp_mod3IjEEE10hipError_tT0_T1_T2_jT3_P12ihipStream_tbPNSt15iterator_traitsISJ_E10value_typeEPNSP_ISK_E10value_typeEPSL_NS1_7vsmem_tEENKUlT_SJ_SK_SL_E_clIPjSE_SF_SF_EESI_SY_SJ_SK_SL_EUlSY_E0_NS1_11comp_targetILNS1_3genE0ELNS1_11target_archE4294967295ELNS1_3gpuE0ELNS1_3repE0EEENS1_38merge_mergepath_config_static_selectorELNS0_4arch9wavefront6targetE0EEEvSK_.uses_flat_scratch, 0
	.set _ZN7rocprim17ROCPRIM_400000_NS6detail17trampoline_kernelINS0_14default_configENS1_38merge_sort_block_merge_config_selectorIjNS0_10empty_typeEEEZZNS1_27merge_sort_block_merge_implIS3_N6thrust23THRUST_200600_302600_NS6detail15normal_iteratorINS9_10device_ptrIjEEEEPS5_m9comp_mod3IjEEE10hipError_tT0_T1_T2_jT3_P12ihipStream_tbPNSt15iterator_traitsISJ_E10value_typeEPNSP_ISK_E10value_typeEPSL_NS1_7vsmem_tEENKUlT_SJ_SK_SL_E_clIPjSE_SF_SF_EESI_SY_SJ_SK_SL_EUlSY_E0_NS1_11comp_targetILNS1_3genE0ELNS1_11target_archE4294967295ELNS1_3gpuE0ELNS1_3repE0EEENS1_38merge_mergepath_config_static_selectorELNS0_4arch9wavefront6targetE0EEEvSK_.has_dyn_sized_stack, 0
	.set _ZN7rocprim17ROCPRIM_400000_NS6detail17trampoline_kernelINS0_14default_configENS1_38merge_sort_block_merge_config_selectorIjNS0_10empty_typeEEEZZNS1_27merge_sort_block_merge_implIS3_N6thrust23THRUST_200600_302600_NS6detail15normal_iteratorINS9_10device_ptrIjEEEEPS5_m9comp_mod3IjEEE10hipError_tT0_T1_T2_jT3_P12ihipStream_tbPNSt15iterator_traitsISJ_E10value_typeEPNSP_ISK_E10value_typeEPSL_NS1_7vsmem_tEENKUlT_SJ_SK_SL_E_clIPjSE_SF_SF_EESI_SY_SJ_SK_SL_EUlSY_E0_NS1_11comp_targetILNS1_3genE0ELNS1_11target_archE4294967295ELNS1_3gpuE0ELNS1_3repE0EEENS1_38merge_mergepath_config_static_selectorELNS0_4arch9wavefront6targetE0EEEvSK_.has_recursion, 0
	.set _ZN7rocprim17ROCPRIM_400000_NS6detail17trampoline_kernelINS0_14default_configENS1_38merge_sort_block_merge_config_selectorIjNS0_10empty_typeEEEZZNS1_27merge_sort_block_merge_implIS3_N6thrust23THRUST_200600_302600_NS6detail15normal_iteratorINS9_10device_ptrIjEEEEPS5_m9comp_mod3IjEEE10hipError_tT0_T1_T2_jT3_P12ihipStream_tbPNSt15iterator_traitsISJ_E10value_typeEPNSP_ISK_E10value_typeEPSL_NS1_7vsmem_tEENKUlT_SJ_SK_SL_E_clIPjSE_SF_SF_EESI_SY_SJ_SK_SL_EUlSY_E0_NS1_11comp_targetILNS1_3genE0ELNS1_11target_archE4294967295ELNS1_3gpuE0ELNS1_3repE0EEENS1_38merge_mergepath_config_static_selectorELNS0_4arch9wavefront6targetE0EEEvSK_.has_indirect_call, 0
	.section	.AMDGPU.csdata,"",@progbits
; Kernel info:
; codeLenInByte = 0
; TotalNumSgprs: 0
; NumVgprs: 0
; ScratchSize: 0
; MemoryBound: 0
; FloatMode: 240
; IeeeMode: 1
; LDSByteSize: 0 bytes/workgroup (compile time only)
; SGPRBlocks: 0
; VGPRBlocks: 0
; NumSGPRsForWavesPerEU: 1
; NumVGPRsForWavesPerEU: 1
; Occupancy: 16
; WaveLimiterHint : 0
; COMPUTE_PGM_RSRC2:SCRATCH_EN: 0
; COMPUTE_PGM_RSRC2:USER_SGPR: 6
; COMPUTE_PGM_RSRC2:TRAP_HANDLER: 0
; COMPUTE_PGM_RSRC2:TGID_X_EN: 1
; COMPUTE_PGM_RSRC2:TGID_Y_EN: 0
; COMPUTE_PGM_RSRC2:TGID_Z_EN: 0
; COMPUTE_PGM_RSRC2:TIDIG_COMP_CNT: 0
	.section	.text._ZN7rocprim17ROCPRIM_400000_NS6detail17trampoline_kernelINS0_14default_configENS1_38merge_sort_block_merge_config_selectorIjNS0_10empty_typeEEEZZNS1_27merge_sort_block_merge_implIS3_N6thrust23THRUST_200600_302600_NS6detail15normal_iteratorINS9_10device_ptrIjEEEEPS5_m9comp_mod3IjEEE10hipError_tT0_T1_T2_jT3_P12ihipStream_tbPNSt15iterator_traitsISJ_E10value_typeEPNSP_ISK_E10value_typeEPSL_NS1_7vsmem_tEENKUlT_SJ_SK_SL_E_clIPjSE_SF_SF_EESI_SY_SJ_SK_SL_EUlSY_E0_NS1_11comp_targetILNS1_3genE10ELNS1_11target_archE1201ELNS1_3gpuE5ELNS1_3repE0EEENS1_38merge_mergepath_config_static_selectorELNS0_4arch9wavefront6targetE0EEEvSK_,"axG",@progbits,_ZN7rocprim17ROCPRIM_400000_NS6detail17trampoline_kernelINS0_14default_configENS1_38merge_sort_block_merge_config_selectorIjNS0_10empty_typeEEEZZNS1_27merge_sort_block_merge_implIS3_N6thrust23THRUST_200600_302600_NS6detail15normal_iteratorINS9_10device_ptrIjEEEEPS5_m9comp_mod3IjEEE10hipError_tT0_T1_T2_jT3_P12ihipStream_tbPNSt15iterator_traitsISJ_E10value_typeEPNSP_ISK_E10value_typeEPSL_NS1_7vsmem_tEENKUlT_SJ_SK_SL_E_clIPjSE_SF_SF_EESI_SY_SJ_SK_SL_EUlSY_E0_NS1_11comp_targetILNS1_3genE10ELNS1_11target_archE1201ELNS1_3gpuE5ELNS1_3repE0EEENS1_38merge_mergepath_config_static_selectorELNS0_4arch9wavefront6targetE0EEEvSK_,comdat
	.protected	_ZN7rocprim17ROCPRIM_400000_NS6detail17trampoline_kernelINS0_14default_configENS1_38merge_sort_block_merge_config_selectorIjNS0_10empty_typeEEEZZNS1_27merge_sort_block_merge_implIS3_N6thrust23THRUST_200600_302600_NS6detail15normal_iteratorINS9_10device_ptrIjEEEEPS5_m9comp_mod3IjEEE10hipError_tT0_T1_T2_jT3_P12ihipStream_tbPNSt15iterator_traitsISJ_E10value_typeEPNSP_ISK_E10value_typeEPSL_NS1_7vsmem_tEENKUlT_SJ_SK_SL_E_clIPjSE_SF_SF_EESI_SY_SJ_SK_SL_EUlSY_E0_NS1_11comp_targetILNS1_3genE10ELNS1_11target_archE1201ELNS1_3gpuE5ELNS1_3repE0EEENS1_38merge_mergepath_config_static_selectorELNS0_4arch9wavefront6targetE0EEEvSK_ ; -- Begin function _ZN7rocprim17ROCPRIM_400000_NS6detail17trampoline_kernelINS0_14default_configENS1_38merge_sort_block_merge_config_selectorIjNS0_10empty_typeEEEZZNS1_27merge_sort_block_merge_implIS3_N6thrust23THRUST_200600_302600_NS6detail15normal_iteratorINS9_10device_ptrIjEEEEPS5_m9comp_mod3IjEEE10hipError_tT0_T1_T2_jT3_P12ihipStream_tbPNSt15iterator_traitsISJ_E10value_typeEPNSP_ISK_E10value_typeEPSL_NS1_7vsmem_tEENKUlT_SJ_SK_SL_E_clIPjSE_SF_SF_EESI_SY_SJ_SK_SL_EUlSY_E0_NS1_11comp_targetILNS1_3genE10ELNS1_11target_archE1201ELNS1_3gpuE5ELNS1_3repE0EEENS1_38merge_mergepath_config_static_selectorELNS0_4arch9wavefront6targetE0EEEvSK_
	.globl	_ZN7rocprim17ROCPRIM_400000_NS6detail17trampoline_kernelINS0_14default_configENS1_38merge_sort_block_merge_config_selectorIjNS0_10empty_typeEEEZZNS1_27merge_sort_block_merge_implIS3_N6thrust23THRUST_200600_302600_NS6detail15normal_iteratorINS9_10device_ptrIjEEEEPS5_m9comp_mod3IjEEE10hipError_tT0_T1_T2_jT3_P12ihipStream_tbPNSt15iterator_traitsISJ_E10value_typeEPNSP_ISK_E10value_typeEPSL_NS1_7vsmem_tEENKUlT_SJ_SK_SL_E_clIPjSE_SF_SF_EESI_SY_SJ_SK_SL_EUlSY_E0_NS1_11comp_targetILNS1_3genE10ELNS1_11target_archE1201ELNS1_3gpuE5ELNS1_3repE0EEENS1_38merge_mergepath_config_static_selectorELNS0_4arch9wavefront6targetE0EEEvSK_
	.p2align	8
	.type	_ZN7rocprim17ROCPRIM_400000_NS6detail17trampoline_kernelINS0_14default_configENS1_38merge_sort_block_merge_config_selectorIjNS0_10empty_typeEEEZZNS1_27merge_sort_block_merge_implIS3_N6thrust23THRUST_200600_302600_NS6detail15normal_iteratorINS9_10device_ptrIjEEEEPS5_m9comp_mod3IjEEE10hipError_tT0_T1_T2_jT3_P12ihipStream_tbPNSt15iterator_traitsISJ_E10value_typeEPNSP_ISK_E10value_typeEPSL_NS1_7vsmem_tEENKUlT_SJ_SK_SL_E_clIPjSE_SF_SF_EESI_SY_SJ_SK_SL_EUlSY_E0_NS1_11comp_targetILNS1_3genE10ELNS1_11target_archE1201ELNS1_3gpuE5ELNS1_3repE0EEENS1_38merge_mergepath_config_static_selectorELNS0_4arch9wavefront6targetE0EEEvSK_,@function
_ZN7rocprim17ROCPRIM_400000_NS6detail17trampoline_kernelINS0_14default_configENS1_38merge_sort_block_merge_config_selectorIjNS0_10empty_typeEEEZZNS1_27merge_sort_block_merge_implIS3_N6thrust23THRUST_200600_302600_NS6detail15normal_iteratorINS9_10device_ptrIjEEEEPS5_m9comp_mod3IjEEE10hipError_tT0_T1_T2_jT3_P12ihipStream_tbPNSt15iterator_traitsISJ_E10value_typeEPNSP_ISK_E10value_typeEPSL_NS1_7vsmem_tEENKUlT_SJ_SK_SL_E_clIPjSE_SF_SF_EESI_SY_SJ_SK_SL_EUlSY_E0_NS1_11comp_targetILNS1_3genE10ELNS1_11target_archE1201ELNS1_3gpuE5ELNS1_3repE0EEENS1_38merge_mergepath_config_static_selectorELNS0_4arch9wavefront6targetE0EEEvSK_: ; @_ZN7rocprim17ROCPRIM_400000_NS6detail17trampoline_kernelINS0_14default_configENS1_38merge_sort_block_merge_config_selectorIjNS0_10empty_typeEEEZZNS1_27merge_sort_block_merge_implIS3_N6thrust23THRUST_200600_302600_NS6detail15normal_iteratorINS9_10device_ptrIjEEEEPS5_m9comp_mod3IjEEE10hipError_tT0_T1_T2_jT3_P12ihipStream_tbPNSt15iterator_traitsISJ_E10value_typeEPNSP_ISK_E10value_typeEPSL_NS1_7vsmem_tEENKUlT_SJ_SK_SL_E_clIPjSE_SF_SF_EESI_SY_SJ_SK_SL_EUlSY_E0_NS1_11comp_targetILNS1_3genE10ELNS1_11target_archE1201ELNS1_3gpuE5ELNS1_3repE0EEENS1_38merge_mergepath_config_static_selectorELNS0_4arch9wavefront6targetE0EEEvSK_
; %bb.0:
	.section	.rodata,"a",@progbits
	.p2align	6, 0x0
	.amdhsa_kernel _ZN7rocprim17ROCPRIM_400000_NS6detail17trampoline_kernelINS0_14default_configENS1_38merge_sort_block_merge_config_selectorIjNS0_10empty_typeEEEZZNS1_27merge_sort_block_merge_implIS3_N6thrust23THRUST_200600_302600_NS6detail15normal_iteratorINS9_10device_ptrIjEEEEPS5_m9comp_mod3IjEEE10hipError_tT0_T1_T2_jT3_P12ihipStream_tbPNSt15iterator_traitsISJ_E10value_typeEPNSP_ISK_E10value_typeEPSL_NS1_7vsmem_tEENKUlT_SJ_SK_SL_E_clIPjSE_SF_SF_EESI_SY_SJ_SK_SL_EUlSY_E0_NS1_11comp_targetILNS1_3genE10ELNS1_11target_archE1201ELNS1_3gpuE5ELNS1_3repE0EEENS1_38merge_mergepath_config_static_selectorELNS0_4arch9wavefront6targetE0EEEvSK_
		.amdhsa_group_segment_fixed_size 0
		.amdhsa_private_segment_fixed_size 0
		.amdhsa_kernarg_size 80
		.amdhsa_user_sgpr_count 6
		.amdhsa_user_sgpr_private_segment_buffer 1
		.amdhsa_user_sgpr_dispatch_ptr 0
		.amdhsa_user_sgpr_queue_ptr 0
		.amdhsa_user_sgpr_kernarg_segment_ptr 1
		.amdhsa_user_sgpr_dispatch_id 0
		.amdhsa_user_sgpr_flat_scratch_init 0
		.amdhsa_user_sgpr_private_segment_size 0
		.amdhsa_wavefront_size32 1
		.amdhsa_uses_dynamic_stack 0
		.amdhsa_system_sgpr_private_segment_wavefront_offset 0
		.amdhsa_system_sgpr_workgroup_id_x 1
		.amdhsa_system_sgpr_workgroup_id_y 0
		.amdhsa_system_sgpr_workgroup_id_z 0
		.amdhsa_system_sgpr_workgroup_info 0
		.amdhsa_system_vgpr_workitem_id 0
		.amdhsa_next_free_vgpr 1
		.amdhsa_next_free_sgpr 1
		.amdhsa_reserve_vcc 0
		.amdhsa_reserve_flat_scratch 0
		.amdhsa_float_round_mode_32 0
		.amdhsa_float_round_mode_16_64 0
		.amdhsa_float_denorm_mode_32 3
		.amdhsa_float_denorm_mode_16_64 3
		.amdhsa_dx10_clamp 1
		.amdhsa_ieee_mode 1
		.amdhsa_fp16_overflow 0
		.amdhsa_workgroup_processor_mode 1
		.amdhsa_memory_ordered 1
		.amdhsa_forward_progress 1
		.amdhsa_shared_vgpr_count 0
		.amdhsa_exception_fp_ieee_invalid_op 0
		.amdhsa_exception_fp_denorm_src 0
		.amdhsa_exception_fp_ieee_div_zero 0
		.amdhsa_exception_fp_ieee_overflow 0
		.amdhsa_exception_fp_ieee_underflow 0
		.amdhsa_exception_fp_ieee_inexact 0
		.amdhsa_exception_int_div_zero 0
	.end_amdhsa_kernel
	.section	.text._ZN7rocprim17ROCPRIM_400000_NS6detail17trampoline_kernelINS0_14default_configENS1_38merge_sort_block_merge_config_selectorIjNS0_10empty_typeEEEZZNS1_27merge_sort_block_merge_implIS3_N6thrust23THRUST_200600_302600_NS6detail15normal_iteratorINS9_10device_ptrIjEEEEPS5_m9comp_mod3IjEEE10hipError_tT0_T1_T2_jT3_P12ihipStream_tbPNSt15iterator_traitsISJ_E10value_typeEPNSP_ISK_E10value_typeEPSL_NS1_7vsmem_tEENKUlT_SJ_SK_SL_E_clIPjSE_SF_SF_EESI_SY_SJ_SK_SL_EUlSY_E0_NS1_11comp_targetILNS1_3genE10ELNS1_11target_archE1201ELNS1_3gpuE5ELNS1_3repE0EEENS1_38merge_mergepath_config_static_selectorELNS0_4arch9wavefront6targetE0EEEvSK_,"axG",@progbits,_ZN7rocprim17ROCPRIM_400000_NS6detail17trampoline_kernelINS0_14default_configENS1_38merge_sort_block_merge_config_selectorIjNS0_10empty_typeEEEZZNS1_27merge_sort_block_merge_implIS3_N6thrust23THRUST_200600_302600_NS6detail15normal_iteratorINS9_10device_ptrIjEEEEPS5_m9comp_mod3IjEEE10hipError_tT0_T1_T2_jT3_P12ihipStream_tbPNSt15iterator_traitsISJ_E10value_typeEPNSP_ISK_E10value_typeEPSL_NS1_7vsmem_tEENKUlT_SJ_SK_SL_E_clIPjSE_SF_SF_EESI_SY_SJ_SK_SL_EUlSY_E0_NS1_11comp_targetILNS1_3genE10ELNS1_11target_archE1201ELNS1_3gpuE5ELNS1_3repE0EEENS1_38merge_mergepath_config_static_selectorELNS0_4arch9wavefront6targetE0EEEvSK_,comdat
.Lfunc_end825:
	.size	_ZN7rocprim17ROCPRIM_400000_NS6detail17trampoline_kernelINS0_14default_configENS1_38merge_sort_block_merge_config_selectorIjNS0_10empty_typeEEEZZNS1_27merge_sort_block_merge_implIS3_N6thrust23THRUST_200600_302600_NS6detail15normal_iteratorINS9_10device_ptrIjEEEEPS5_m9comp_mod3IjEEE10hipError_tT0_T1_T2_jT3_P12ihipStream_tbPNSt15iterator_traitsISJ_E10value_typeEPNSP_ISK_E10value_typeEPSL_NS1_7vsmem_tEENKUlT_SJ_SK_SL_E_clIPjSE_SF_SF_EESI_SY_SJ_SK_SL_EUlSY_E0_NS1_11comp_targetILNS1_3genE10ELNS1_11target_archE1201ELNS1_3gpuE5ELNS1_3repE0EEENS1_38merge_mergepath_config_static_selectorELNS0_4arch9wavefront6targetE0EEEvSK_, .Lfunc_end825-_ZN7rocprim17ROCPRIM_400000_NS6detail17trampoline_kernelINS0_14default_configENS1_38merge_sort_block_merge_config_selectorIjNS0_10empty_typeEEEZZNS1_27merge_sort_block_merge_implIS3_N6thrust23THRUST_200600_302600_NS6detail15normal_iteratorINS9_10device_ptrIjEEEEPS5_m9comp_mod3IjEEE10hipError_tT0_T1_T2_jT3_P12ihipStream_tbPNSt15iterator_traitsISJ_E10value_typeEPNSP_ISK_E10value_typeEPSL_NS1_7vsmem_tEENKUlT_SJ_SK_SL_E_clIPjSE_SF_SF_EESI_SY_SJ_SK_SL_EUlSY_E0_NS1_11comp_targetILNS1_3genE10ELNS1_11target_archE1201ELNS1_3gpuE5ELNS1_3repE0EEENS1_38merge_mergepath_config_static_selectorELNS0_4arch9wavefront6targetE0EEEvSK_
                                        ; -- End function
	.set _ZN7rocprim17ROCPRIM_400000_NS6detail17trampoline_kernelINS0_14default_configENS1_38merge_sort_block_merge_config_selectorIjNS0_10empty_typeEEEZZNS1_27merge_sort_block_merge_implIS3_N6thrust23THRUST_200600_302600_NS6detail15normal_iteratorINS9_10device_ptrIjEEEEPS5_m9comp_mod3IjEEE10hipError_tT0_T1_T2_jT3_P12ihipStream_tbPNSt15iterator_traitsISJ_E10value_typeEPNSP_ISK_E10value_typeEPSL_NS1_7vsmem_tEENKUlT_SJ_SK_SL_E_clIPjSE_SF_SF_EESI_SY_SJ_SK_SL_EUlSY_E0_NS1_11comp_targetILNS1_3genE10ELNS1_11target_archE1201ELNS1_3gpuE5ELNS1_3repE0EEENS1_38merge_mergepath_config_static_selectorELNS0_4arch9wavefront6targetE0EEEvSK_.num_vgpr, 0
	.set _ZN7rocprim17ROCPRIM_400000_NS6detail17trampoline_kernelINS0_14default_configENS1_38merge_sort_block_merge_config_selectorIjNS0_10empty_typeEEEZZNS1_27merge_sort_block_merge_implIS3_N6thrust23THRUST_200600_302600_NS6detail15normal_iteratorINS9_10device_ptrIjEEEEPS5_m9comp_mod3IjEEE10hipError_tT0_T1_T2_jT3_P12ihipStream_tbPNSt15iterator_traitsISJ_E10value_typeEPNSP_ISK_E10value_typeEPSL_NS1_7vsmem_tEENKUlT_SJ_SK_SL_E_clIPjSE_SF_SF_EESI_SY_SJ_SK_SL_EUlSY_E0_NS1_11comp_targetILNS1_3genE10ELNS1_11target_archE1201ELNS1_3gpuE5ELNS1_3repE0EEENS1_38merge_mergepath_config_static_selectorELNS0_4arch9wavefront6targetE0EEEvSK_.num_agpr, 0
	.set _ZN7rocprim17ROCPRIM_400000_NS6detail17trampoline_kernelINS0_14default_configENS1_38merge_sort_block_merge_config_selectorIjNS0_10empty_typeEEEZZNS1_27merge_sort_block_merge_implIS3_N6thrust23THRUST_200600_302600_NS6detail15normal_iteratorINS9_10device_ptrIjEEEEPS5_m9comp_mod3IjEEE10hipError_tT0_T1_T2_jT3_P12ihipStream_tbPNSt15iterator_traitsISJ_E10value_typeEPNSP_ISK_E10value_typeEPSL_NS1_7vsmem_tEENKUlT_SJ_SK_SL_E_clIPjSE_SF_SF_EESI_SY_SJ_SK_SL_EUlSY_E0_NS1_11comp_targetILNS1_3genE10ELNS1_11target_archE1201ELNS1_3gpuE5ELNS1_3repE0EEENS1_38merge_mergepath_config_static_selectorELNS0_4arch9wavefront6targetE0EEEvSK_.numbered_sgpr, 0
	.set _ZN7rocprim17ROCPRIM_400000_NS6detail17trampoline_kernelINS0_14default_configENS1_38merge_sort_block_merge_config_selectorIjNS0_10empty_typeEEEZZNS1_27merge_sort_block_merge_implIS3_N6thrust23THRUST_200600_302600_NS6detail15normal_iteratorINS9_10device_ptrIjEEEEPS5_m9comp_mod3IjEEE10hipError_tT0_T1_T2_jT3_P12ihipStream_tbPNSt15iterator_traitsISJ_E10value_typeEPNSP_ISK_E10value_typeEPSL_NS1_7vsmem_tEENKUlT_SJ_SK_SL_E_clIPjSE_SF_SF_EESI_SY_SJ_SK_SL_EUlSY_E0_NS1_11comp_targetILNS1_3genE10ELNS1_11target_archE1201ELNS1_3gpuE5ELNS1_3repE0EEENS1_38merge_mergepath_config_static_selectorELNS0_4arch9wavefront6targetE0EEEvSK_.num_named_barrier, 0
	.set _ZN7rocprim17ROCPRIM_400000_NS6detail17trampoline_kernelINS0_14default_configENS1_38merge_sort_block_merge_config_selectorIjNS0_10empty_typeEEEZZNS1_27merge_sort_block_merge_implIS3_N6thrust23THRUST_200600_302600_NS6detail15normal_iteratorINS9_10device_ptrIjEEEEPS5_m9comp_mod3IjEEE10hipError_tT0_T1_T2_jT3_P12ihipStream_tbPNSt15iterator_traitsISJ_E10value_typeEPNSP_ISK_E10value_typeEPSL_NS1_7vsmem_tEENKUlT_SJ_SK_SL_E_clIPjSE_SF_SF_EESI_SY_SJ_SK_SL_EUlSY_E0_NS1_11comp_targetILNS1_3genE10ELNS1_11target_archE1201ELNS1_3gpuE5ELNS1_3repE0EEENS1_38merge_mergepath_config_static_selectorELNS0_4arch9wavefront6targetE0EEEvSK_.private_seg_size, 0
	.set _ZN7rocprim17ROCPRIM_400000_NS6detail17trampoline_kernelINS0_14default_configENS1_38merge_sort_block_merge_config_selectorIjNS0_10empty_typeEEEZZNS1_27merge_sort_block_merge_implIS3_N6thrust23THRUST_200600_302600_NS6detail15normal_iteratorINS9_10device_ptrIjEEEEPS5_m9comp_mod3IjEEE10hipError_tT0_T1_T2_jT3_P12ihipStream_tbPNSt15iterator_traitsISJ_E10value_typeEPNSP_ISK_E10value_typeEPSL_NS1_7vsmem_tEENKUlT_SJ_SK_SL_E_clIPjSE_SF_SF_EESI_SY_SJ_SK_SL_EUlSY_E0_NS1_11comp_targetILNS1_3genE10ELNS1_11target_archE1201ELNS1_3gpuE5ELNS1_3repE0EEENS1_38merge_mergepath_config_static_selectorELNS0_4arch9wavefront6targetE0EEEvSK_.uses_vcc, 0
	.set _ZN7rocprim17ROCPRIM_400000_NS6detail17trampoline_kernelINS0_14default_configENS1_38merge_sort_block_merge_config_selectorIjNS0_10empty_typeEEEZZNS1_27merge_sort_block_merge_implIS3_N6thrust23THRUST_200600_302600_NS6detail15normal_iteratorINS9_10device_ptrIjEEEEPS5_m9comp_mod3IjEEE10hipError_tT0_T1_T2_jT3_P12ihipStream_tbPNSt15iterator_traitsISJ_E10value_typeEPNSP_ISK_E10value_typeEPSL_NS1_7vsmem_tEENKUlT_SJ_SK_SL_E_clIPjSE_SF_SF_EESI_SY_SJ_SK_SL_EUlSY_E0_NS1_11comp_targetILNS1_3genE10ELNS1_11target_archE1201ELNS1_3gpuE5ELNS1_3repE0EEENS1_38merge_mergepath_config_static_selectorELNS0_4arch9wavefront6targetE0EEEvSK_.uses_flat_scratch, 0
	.set _ZN7rocprim17ROCPRIM_400000_NS6detail17trampoline_kernelINS0_14default_configENS1_38merge_sort_block_merge_config_selectorIjNS0_10empty_typeEEEZZNS1_27merge_sort_block_merge_implIS3_N6thrust23THRUST_200600_302600_NS6detail15normal_iteratorINS9_10device_ptrIjEEEEPS5_m9comp_mod3IjEEE10hipError_tT0_T1_T2_jT3_P12ihipStream_tbPNSt15iterator_traitsISJ_E10value_typeEPNSP_ISK_E10value_typeEPSL_NS1_7vsmem_tEENKUlT_SJ_SK_SL_E_clIPjSE_SF_SF_EESI_SY_SJ_SK_SL_EUlSY_E0_NS1_11comp_targetILNS1_3genE10ELNS1_11target_archE1201ELNS1_3gpuE5ELNS1_3repE0EEENS1_38merge_mergepath_config_static_selectorELNS0_4arch9wavefront6targetE0EEEvSK_.has_dyn_sized_stack, 0
	.set _ZN7rocprim17ROCPRIM_400000_NS6detail17trampoline_kernelINS0_14default_configENS1_38merge_sort_block_merge_config_selectorIjNS0_10empty_typeEEEZZNS1_27merge_sort_block_merge_implIS3_N6thrust23THRUST_200600_302600_NS6detail15normal_iteratorINS9_10device_ptrIjEEEEPS5_m9comp_mod3IjEEE10hipError_tT0_T1_T2_jT3_P12ihipStream_tbPNSt15iterator_traitsISJ_E10value_typeEPNSP_ISK_E10value_typeEPSL_NS1_7vsmem_tEENKUlT_SJ_SK_SL_E_clIPjSE_SF_SF_EESI_SY_SJ_SK_SL_EUlSY_E0_NS1_11comp_targetILNS1_3genE10ELNS1_11target_archE1201ELNS1_3gpuE5ELNS1_3repE0EEENS1_38merge_mergepath_config_static_selectorELNS0_4arch9wavefront6targetE0EEEvSK_.has_recursion, 0
	.set _ZN7rocprim17ROCPRIM_400000_NS6detail17trampoline_kernelINS0_14default_configENS1_38merge_sort_block_merge_config_selectorIjNS0_10empty_typeEEEZZNS1_27merge_sort_block_merge_implIS3_N6thrust23THRUST_200600_302600_NS6detail15normal_iteratorINS9_10device_ptrIjEEEEPS5_m9comp_mod3IjEEE10hipError_tT0_T1_T2_jT3_P12ihipStream_tbPNSt15iterator_traitsISJ_E10value_typeEPNSP_ISK_E10value_typeEPSL_NS1_7vsmem_tEENKUlT_SJ_SK_SL_E_clIPjSE_SF_SF_EESI_SY_SJ_SK_SL_EUlSY_E0_NS1_11comp_targetILNS1_3genE10ELNS1_11target_archE1201ELNS1_3gpuE5ELNS1_3repE0EEENS1_38merge_mergepath_config_static_selectorELNS0_4arch9wavefront6targetE0EEEvSK_.has_indirect_call, 0
	.section	.AMDGPU.csdata,"",@progbits
; Kernel info:
; codeLenInByte = 0
; TotalNumSgprs: 0
; NumVgprs: 0
; ScratchSize: 0
; MemoryBound: 0
; FloatMode: 240
; IeeeMode: 1
; LDSByteSize: 0 bytes/workgroup (compile time only)
; SGPRBlocks: 0
; VGPRBlocks: 0
; NumSGPRsForWavesPerEU: 1
; NumVGPRsForWavesPerEU: 1
; Occupancy: 16
; WaveLimiterHint : 0
; COMPUTE_PGM_RSRC2:SCRATCH_EN: 0
; COMPUTE_PGM_RSRC2:USER_SGPR: 6
; COMPUTE_PGM_RSRC2:TRAP_HANDLER: 0
; COMPUTE_PGM_RSRC2:TGID_X_EN: 1
; COMPUTE_PGM_RSRC2:TGID_Y_EN: 0
; COMPUTE_PGM_RSRC2:TGID_Z_EN: 0
; COMPUTE_PGM_RSRC2:TIDIG_COMP_CNT: 0
	.section	.text._ZN7rocprim17ROCPRIM_400000_NS6detail17trampoline_kernelINS0_14default_configENS1_38merge_sort_block_merge_config_selectorIjNS0_10empty_typeEEEZZNS1_27merge_sort_block_merge_implIS3_N6thrust23THRUST_200600_302600_NS6detail15normal_iteratorINS9_10device_ptrIjEEEEPS5_m9comp_mod3IjEEE10hipError_tT0_T1_T2_jT3_P12ihipStream_tbPNSt15iterator_traitsISJ_E10value_typeEPNSP_ISK_E10value_typeEPSL_NS1_7vsmem_tEENKUlT_SJ_SK_SL_E_clIPjSE_SF_SF_EESI_SY_SJ_SK_SL_EUlSY_E0_NS1_11comp_targetILNS1_3genE5ELNS1_11target_archE942ELNS1_3gpuE9ELNS1_3repE0EEENS1_38merge_mergepath_config_static_selectorELNS0_4arch9wavefront6targetE0EEEvSK_,"axG",@progbits,_ZN7rocprim17ROCPRIM_400000_NS6detail17trampoline_kernelINS0_14default_configENS1_38merge_sort_block_merge_config_selectorIjNS0_10empty_typeEEEZZNS1_27merge_sort_block_merge_implIS3_N6thrust23THRUST_200600_302600_NS6detail15normal_iteratorINS9_10device_ptrIjEEEEPS5_m9comp_mod3IjEEE10hipError_tT0_T1_T2_jT3_P12ihipStream_tbPNSt15iterator_traitsISJ_E10value_typeEPNSP_ISK_E10value_typeEPSL_NS1_7vsmem_tEENKUlT_SJ_SK_SL_E_clIPjSE_SF_SF_EESI_SY_SJ_SK_SL_EUlSY_E0_NS1_11comp_targetILNS1_3genE5ELNS1_11target_archE942ELNS1_3gpuE9ELNS1_3repE0EEENS1_38merge_mergepath_config_static_selectorELNS0_4arch9wavefront6targetE0EEEvSK_,comdat
	.protected	_ZN7rocprim17ROCPRIM_400000_NS6detail17trampoline_kernelINS0_14default_configENS1_38merge_sort_block_merge_config_selectorIjNS0_10empty_typeEEEZZNS1_27merge_sort_block_merge_implIS3_N6thrust23THRUST_200600_302600_NS6detail15normal_iteratorINS9_10device_ptrIjEEEEPS5_m9comp_mod3IjEEE10hipError_tT0_T1_T2_jT3_P12ihipStream_tbPNSt15iterator_traitsISJ_E10value_typeEPNSP_ISK_E10value_typeEPSL_NS1_7vsmem_tEENKUlT_SJ_SK_SL_E_clIPjSE_SF_SF_EESI_SY_SJ_SK_SL_EUlSY_E0_NS1_11comp_targetILNS1_3genE5ELNS1_11target_archE942ELNS1_3gpuE9ELNS1_3repE0EEENS1_38merge_mergepath_config_static_selectorELNS0_4arch9wavefront6targetE0EEEvSK_ ; -- Begin function _ZN7rocprim17ROCPRIM_400000_NS6detail17trampoline_kernelINS0_14default_configENS1_38merge_sort_block_merge_config_selectorIjNS0_10empty_typeEEEZZNS1_27merge_sort_block_merge_implIS3_N6thrust23THRUST_200600_302600_NS6detail15normal_iteratorINS9_10device_ptrIjEEEEPS5_m9comp_mod3IjEEE10hipError_tT0_T1_T2_jT3_P12ihipStream_tbPNSt15iterator_traitsISJ_E10value_typeEPNSP_ISK_E10value_typeEPSL_NS1_7vsmem_tEENKUlT_SJ_SK_SL_E_clIPjSE_SF_SF_EESI_SY_SJ_SK_SL_EUlSY_E0_NS1_11comp_targetILNS1_3genE5ELNS1_11target_archE942ELNS1_3gpuE9ELNS1_3repE0EEENS1_38merge_mergepath_config_static_selectorELNS0_4arch9wavefront6targetE0EEEvSK_
	.globl	_ZN7rocprim17ROCPRIM_400000_NS6detail17trampoline_kernelINS0_14default_configENS1_38merge_sort_block_merge_config_selectorIjNS0_10empty_typeEEEZZNS1_27merge_sort_block_merge_implIS3_N6thrust23THRUST_200600_302600_NS6detail15normal_iteratorINS9_10device_ptrIjEEEEPS5_m9comp_mod3IjEEE10hipError_tT0_T1_T2_jT3_P12ihipStream_tbPNSt15iterator_traitsISJ_E10value_typeEPNSP_ISK_E10value_typeEPSL_NS1_7vsmem_tEENKUlT_SJ_SK_SL_E_clIPjSE_SF_SF_EESI_SY_SJ_SK_SL_EUlSY_E0_NS1_11comp_targetILNS1_3genE5ELNS1_11target_archE942ELNS1_3gpuE9ELNS1_3repE0EEENS1_38merge_mergepath_config_static_selectorELNS0_4arch9wavefront6targetE0EEEvSK_
	.p2align	8
	.type	_ZN7rocprim17ROCPRIM_400000_NS6detail17trampoline_kernelINS0_14default_configENS1_38merge_sort_block_merge_config_selectorIjNS0_10empty_typeEEEZZNS1_27merge_sort_block_merge_implIS3_N6thrust23THRUST_200600_302600_NS6detail15normal_iteratorINS9_10device_ptrIjEEEEPS5_m9comp_mod3IjEEE10hipError_tT0_T1_T2_jT3_P12ihipStream_tbPNSt15iterator_traitsISJ_E10value_typeEPNSP_ISK_E10value_typeEPSL_NS1_7vsmem_tEENKUlT_SJ_SK_SL_E_clIPjSE_SF_SF_EESI_SY_SJ_SK_SL_EUlSY_E0_NS1_11comp_targetILNS1_3genE5ELNS1_11target_archE942ELNS1_3gpuE9ELNS1_3repE0EEENS1_38merge_mergepath_config_static_selectorELNS0_4arch9wavefront6targetE0EEEvSK_,@function
_ZN7rocprim17ROCPRIM_400000_NS6detail17trampoline_kernelINS0_14default_configENS1_38merge_sort_block_merge_config_selectorIjNS0_10empty_typeEEEZZNS1_27merge_sort_block_merge_implIS3_N6thrust23THRUST_200600_302600_NS6detail15normal_iteratorINS9_10device_ptrIjEEEEPS5_m9comp_mod3IjEEE10hipError_tT0_T1_T2_jT3_P12ihipStream_tbPNSt15iterator_traitsISJ_E10value_typeEPNSP_ISK_E10value_typeEPSL_NS1_7vsmem_tEENKUlT_SJ_SK_SL_E_clIPjSE_SF_SF_EESI_SY_SJ_SK_SL_EUlSY_E0_NS1_11comp_targetILNS1_3genE5ELNS1_11target_archE942ELNS1_3gpuE9ELNS1_3repE0EEENS1_38merge_mergepath_config_static_selectorELNS0_4arch9wavefront6targetE0EEEvSK_: ; @_ZN7rocprim17ROCPRIM_400000_NS6detail17trampoline_kernelINS0_14default_configENS1_38merge_sort_block_merge_config_selectorIjNS0_10empty_typeEEEZZNS1_27merge_sort_block_merge_implIS3_N6thrust23THRUST_200600_302600_NS6detail15normal_iteratorINS9_10device_ptrIjEEEEPS5_m9comp_mod3IjEEE10hipError_tT0_T1_T2_jT3_P12ihipStream_tbPNSt15iterator_traitsISJ_E10value_typeEPNSP_ISK_E10value_typeEPSL_NS1_7vsmem_tEENKUlT_SJ_SK_SL_E_clIPjSE_SF_SF_EESI_SY_SJ_SK_SL_EUlSY_E0_NS1_11comp_targetILNS1_3genE5ELNS1_11target_archE942ELNS1_3gpuE9ELNS1_3repE0EEENS1_38merge_mergepath_config_static_selectorELNS0_4arch9wavefront6targetE0EEEvSK_
; %bb.0:
	.section	.rodata,"a",@progbits
	.p2align	6, 0x0
	.amdhsa_kernel _ZN7rocprim17ROCPRIM_400000_NS6detail17trampoline_kernelINS0_14default_configENS1_38merge_sort_block_merge_config_selectorIjNS0_10empty_typeEEEZZNS1_27merge_sort_block_merge_implIS3_N6thrust23THRUST_200600_302600_NS6detail15normal_iteratorINS9_10device_ptrIjEEEEPS5_m9comp_mod3IjEEE10hipError_tT0_T1_T2_jT3_P12ihipStream_tbPNSt15iterator_traitsISJ_E10value_typeEPNSP_ISK_E10value_typeEPSL_NS1_7vsmem_tEENKUlT_SJ_SK_SL_E_clIPjSE_SF_SF_EESI_SY_SJ_SK_SL_EUlSY_E0_NS1_11comp_targetILNS1_3genE5ELNS1_11target_archE942ELNS1_3gpuE9ELNS1_3repE0EEENS1_38merge_mergepath_config_static_selectorELNS0_4arch9wavefront6targetE0EEEvSK_
		.amdhsa_group_segment_fixed_size 0
		.amdhsa_private_segment_fixed_size 0
		.amdhsa_kernarg_size 80
		.amdhsa_user_sgpr_count 6
		.amdhsa_user_sgpr_private_segment_buffer 1
		.amdhsa_user_sgpr_dispatch_ptr 0
		.amdhsa_user_sgpr_queue_ptr 0
		.amdhsa_user_sgpr_kernarg_segment_ptr 1
		.amdhsa_user_sgpr_dispatch_id 0
		.amdhsa_user_sgpr_flat_scratch_init 0
		.amdhsa_user_sgpr_private_segment_size 0
		.amdhsa_wavefront_size32 1
		.amdhsa_uses_dynamic_stack 0
		.amdhsa_system_sgpr_private_segment_wavefront_offset 0
		.amdhsa_system_sgpr_workgroup_id_x 1
		.amdhsa_system_sgpr_workgroup_id_y 0
		.amdhsa_system_sgpr_workgroup_id_z 0
		.amdhsa_system_sgpr_workgroup_info 0
		.amdhsa_system_vgpr_workitem_id 0
		.amdhsa_next_free_vgpr 1
		.amdhsa_next_free_sgpr 1
		.amdhsa_reserve_vcc 0
		.amdhsa_reserve_flat_scratch 0
		.amdhsa_float_round_mode_32 0
		.amdhsa_float_round_mode_16_64 0
		.amdhsa_float_denorm_mode_32 3
		.amdhsa_float_denorm_mode_16_64 3
		.amdhsa_dx10_clamp 1
		.amdhsa_ieee_mode 1
		.amdhsa_fp16_overflow 0
		.amdhsa_workgroup_processor_mode 1
		.amdhsa_memory_ordered 1
		.amdhsa_forward_progress 1
		.amdhsa_shared_vgpr_count 0
		.amdhsa_exception_fp_ieee_invalid_op 0
		.amdhsa_exception_fp_denorm_src 0
		.amdhsa_exception_fp_ieee_div_zero 0
		.amdhsa_exception_fp_ieee_overflow 0
		.amdhsa_exception_fp_ieee_underflow 0
		.amdhsa_exception_fp_ieee_inexact 0
		.amdhsa_exception_int_div_zero 0
	.end_amdhsa_kernel
	.section	.text._ZN7rocprim17ROCPRIM_400000_NS6detail17trampoline_kernelINS0_14default_configENS1_38merge_sort_block_merge_config_selectorIjNS0_10empty_typeEEEZZNS1_27merge_sort_block_merge_implIS3_N6thrust23THRUST_200600_302600_NS6detail15normal_iteratorINS9_10device_ptrIjEEEEPS5_m9comp_mod3IjEEE10hipError_tT0_T1_T2_jT3_P12ihipStream_tbPNSt15iterator_traitsISJ_E10value_typeEPNSP_ISK_E10value_typeEPSL_NS1_7vsmem_tEENKUlT_SJ_SK_SL_E_clIPjSE_SF_SF_EESI_SY_SJ_SK_SL_EUlSY_E0_NS1_11comp_targetILNS1_3genE5ELNS1_11target_archE942ELNS1_3gpuE9ELNS1_3repE0EEENS1_38merge_mergepath_config_static_selectorELNS0_4arch9wavefront6targetE0EEEvSK_,"axG",@progbits,_ZN7rocprim17ROCPRIM_400000_NS6detail17trampoline_kernelINS0_14default_configENS1_38merge_sort_block_merge_config_selectorIjNS0_10empty_typeEEEZZNS1_27merge_sort_block_merge_implIS3_N6thrust23THRUST_200600_302600_NS6detail15normal_iteratorINS9_10device_ptrIjEEEEPS5_m9comp_mod3IjEEE10hipError_tT0_T1_T2_jT3_P12ihipStream_tbPNSt15iterator_traitsISJ_E10value_typeEPNSP_ISK_E10value_typeEPSL_NS1_7vsmem_tEENKUlT_SJ_SK_SL_E_clIPjSE_SF_SF_EESI_SY_SJ_SK_SL_EUlSY_E0_NS1_11comp_targetILNS1_3genE5ELNS1_11target_archE942ELNS1_3gpuE9ELNS1_3repE0EEENS1_38merge_mergepath_config_static_selectorELNS0_4arch9wavefront6targetE0EEEvSK_,comdat
.Lfunc_end826:
	.size	_ZN7rocprim17ROCPRIM_400000_NS6detail17trampoline_kernelINS0_14default_configENS1_38merge_sort_block_merge_config_selectorIjNS0_10empty_typeEEEZZNS1_27merge_sort_block_merge_implIS3_N6thrust23THRUST_200600_302600_NS6detail15normal_iteratorINS9_10device_ptrIjEEEEPS5_m9comp_mod3IjEEE10hipError_tT0_T1_T2_jT3_P12ihipStream_tbPNSt15iterator_traitsISJ_E10value_typeEPNSP_ISK_E10value_typeEPSL_NS1_7vsmem_tEENKUlT_SJ_SK_SL_E_clIPjSE_SF_SF_EESI_SY_SJ_SK_SL_EUlSY_E0_NS1_11comp_targetILNS1_3genE5ELNS1_11target_archE942ELNS1_3gpuE9ELNS1_3repE0EEENS1_38merge_mergepath_config_static_selectorELNS0_4arch9wavefront6targetE0EEEvSK_, .Lfunc_end826-_ZN7rocprim17ROCPRIM_400000_NS6detail17trampoline_kernelINS0_14default_configENS1_38merge_sort_block_merge_config_selectorIjNS0_10empty_typeEEEZZNS1_27merge_sort_block_merge_implIS3_N6thrust23THRUST_200600_302600_NS6detail15normal_iteratorINS9_10device_ptrIjEEEEPS5_m9comp_mod3IjEEE10hipError_tT0_T1_T2_jT3_P12ihipStream_tbPNSt15iterator_traitsISJ_E10value_typeEPNSP_ISK_E10value_typeEPSL_NS1_7vsmem_tEENKUlT_SJ_SK_SL_E_clIPjSE_SF_SF_EESI_SY_SJ_SK_SL_EUlSY_E0_NS1_11comp_targetILNS1_3genE5ELNS1_11target_archE942ELNS1_3gpuE9ELNS1_3repE0EEENS1_38merge_mergepath_config_static_selectorELNS0_4arch9wavefront6targetE0EEEvSK_
                                        ; -- End function
	.set _ZN7rocprim17ROCPRIM_400000_NS6detail17trampoline_kernelINS0_14default_configENS1_38merge_sort_block_merge_config_selectorIjNS0_10empty_typeEEEZZNS1_27merge_sort_block_merge_implIS3_N6thrust23THRUST_200600_302600_NS6detail15normal_iteratorINS9_10device_ptrIjEEEEPS5_m9comp_mod3IjEEE10hipError_tT0_T1_T2_jT3_P12ihipStream_tbPNSt15iterator_traitsISJ_E10value_typeEPNSP_ISK_E10value_typeEPSL_NS1_7vsmem_tEENKUlT_SJ_SK_SL_E_clIPjSE_SF_SF_EESI_SY_SJ_SK_SL_EUlSY_E0_NS1_11comp_targetILNS1_3genE5ELNS1_11target_archE942ELNS1_3gpuE9ELNS1_3repE0EEENS1_38merge_mergepath_config_static_selectorELNS0_4arch9wavefront6targetE0EEEvSK_.num_vgpr, 0
	.set _ZN7rocprim17ROCPRIM_400000_NS6detail17trampoline_kernelINS0_14default_configENS1_38merge_sort_block_merge_config_selectorIjNS0_10empty_typeEEEZZNS1_27merge_sort_block_merge_implIS3_N6thrust23THRUST_200600_302600_NS6detail15normal_iteratorINS9_10device_ptrIjEEEEPS5_m9comp_mod3IjEEE10hipError_tT0_T1_T2_jT3_P12ihipStream_tbPNSt15iterator_traitsISJ_E10value_typeEPNSP_ISK_E10value_typeEPSL_NS1_7vsmem_tEENKUlT_SJ_SK_SL_E_clIPjSE_SF_SF_EESI_SY_SJ_SK_SL_EUlSY_E0_NS1_11comp_targetILNS1_3genE5ELNS1_11target_archE942ELNS1_3gpuE9ELNS1_3repE0EEENS1_38merge_mergepath_config_static_selectorELNS0_4arch9wavefront6targetE0EEEvSK_.num_agpr, 0
	.set _ZN7rocprim17ROCPRIM_400000_NS6detail17trampoline_kernelINS0_14default_configENS1_38merge_sort_block_merge_config_selectorIjNS0_10empty_typeEEEZZNS1_27merge_sort_block_merge_implIS3_N6thrust23THRUST_200600_302600_NS6detail15normal_iteratorINS9_10device_ptrIjEEEEPS5_m9comp_mod3IjEEE10hipError_tT0_T1_T2_jT3_P12ihipStream_tbPNSt15iterator_traitsISJ_E10value_typeEPNSP_ISK_E10value_typeEPSL_NS1_7vsmem_tEENKUlT_SJ_SK_SL_E_clIPjSE_SF_SF_EESI_SY_SJ_SK_SL_EUlSY_E0_NS1_11comp_targetILNS1_3genE5ELNS1_11target_archE942ELNS1_3gpuE9ELNS1_3repE0EEENS1_38merge_mergepath_config_static_selectorELNS0_4arch9wavefront6targetE0EEEvSK_.numbered_sgpr, 0
	.set _ZN7rocprim17ROCPRIM_400000_NS6detail17trampoline_kernelINS0_14default_configENS1_38merge_sort_block_merge_config_selectorIjNS0_10empty_typeEEEZZNS1_27merge_sort_block_merge_implIS3_N6thrust23THRUST_200600_302600_NS6detail15normal_iteratorINS9_10device_ptrIjEEEEPS5_m9comp_mod3IjEEE10hipError_tT0_T1_T2_jT3_P12ihipStream_tbPNSt15iterator_traitsISJ_E10value_typeEPNSP_ISK_E10value_typeEPSL_NS1_7vsmem_tEENKUlT_SJ_SK_SL_E_clIPjSE_SF_SF_EESI_SY_SJ_SK_SL_EUlSY_E0_NS1_11comp_targetILNS1_3genE5ELNS1_11target_archE942ELNS1_3gpuE9ELNS1_3repE0EEENS1_38merge_mergepath_config_static_selectorELNS0_4arch9wavefront6targetE0EEEvSK_.num_named_barrier, 0
	.set _ZN7rocprim17ROCPRIM_400000_NS6detail17trampoline_kernelINS0_14default_configENS1_38merge_sort_block_merge_config_selectorIjNS0_10empty_typeEEEZZNS1_27merge_sort_block_merge_implIS3_N6thrust23THRUST_200600_302600_NS6detail15normal_iteratorINS9_10device_ptrIjEEEEPS5_m9comp_mod3IjEEE10hipError_tT0_T1_T2_jT3_P12ihipStream_tbPNSt15iterator_traitsISJ_E10value_typeEPNSP_ISK_E10value_typeEPSL_NS1_7vsmem_tEENKUlT_SJ_SK_SL_E_clIPjSE_SF_SF_EESI_SY_SJ_SK_SL_EUlSY_E0_NS1_11comp_targetILNS1_3genE5ELNS1_11target_archE942ELNS1_3gpuE9ELNS1_3repE0EEENS1_38merge_mergepath_config_static_selectorELNS0_4arch9wavefront6targetE0EEEvSK_.private_seg_size, 0
	.set _ZN7rocprim17ROCPRIM_400000_NS6detail17trampoline_kernelINS0_14default_configENS1_38merge_sort_block_merge_config_selectorIjNS0_10empty_typeEEEZZNS1_27merge_sort_block_merge_implIS3_N6thrust23THRUST_200600_302600_NS6detail15normal_iteratorINS9_10device_ptrIjEEEEPS5_m9comp_mod3IjEEE10hipError_tT0_T1_T2_jT3_P12ihipStream_tbPNSt15iterator_traitsISJ_E10value_typeEPNSP_ISK_E10value_typeEPSL_NS1_7vsmem_tEENKUlT_SJ_SK_SL_E_clIPjSE_SF_SF_EESI_SY_SJ_SK_SL_EUlSY_E0_NS1_11comp_targetILNS1_3genE5ELNS1_11target_archE942ELNS1_3gpuE9ELNS1_3repE0EEENS1_38merge_mergepath_config_static_selectorELNS0_4arch9wavefront6targetE0EEEvSK_.uses_vcc, 0
	.set _ZN7rocprim17ROCPRIM_400000_NS6detail17trampoline_kernelINS0_14default_configENS1_38merge_sort_block_merge_config_selectorIjNS0_10empty_typeEEEZZNS1_27merge_sort_block_merge_implIS3_N6thrust23THRUST_200600_302600_NS6detail15normal_iteratorINS9_10device_ptrIjEEEEPS5_m9comp_mod3IjEEE10hipError_tT0_T1_T2_jT3_P12ihipStream_tbPNSt15iterator_traitsISJ_E10value_typeEPNSP_ISK_E10value_typeEPSL_NS1_7vsmem_tEENKUlT_SJ_SK_SL_E_clIPjSE_SF_SF_EESI_SY_SJ_SK_SL_EUlSY_E0_NS1_11comp_targetILNS1_3genE5ELNS1_11target_archE942ELNS1_3gpuE9ELNS1_3repE0EEENS1_38merge_mergepath_config_static_selectorELNS0_4arch9wavefront6targetE0EEEvSK_.uses_flat_scratch, 0
	.set _ZN7rocprim17ROCPRIM_400000_NS6detail17trampoline_kernelINS0_14default_configENS1_38merge_sort_block_merge_config_selectorIjNS0_10empty_typeEEEZZNS1_27merge_sort_block_merge_implIS3_N6thrust23THRUST_200600_302600_NS6detail15normal_iteratorINS9_10device_ptrIjEEEEPS5_m9comp_mod3IjEEE10hipError_tT0_T1_T2_jT3_P12ihipStream_tbPNSt15iterator_traitsISJ_E10value_typeEPNSP_ISK_E10value_typeEPSL_NS1_7vsmem_tEENKUlT_SJ_SK_SL_E_clIPjSE_SF_SF_EESI_SY_SJ_SK_SL_EUlSY_E0_NS1_11comp_targetILNS1_3genE5ELNS1_11target_archE942ELNS1_3gpuE9ELNS1_3repE0EEENS1_38merge_mergepath_config_static_selectorELNS0_4arch9wavefront6targetE0EEEvSK_.has_dyn_sized_stack, 0
	.set _ZN7rocprim17ROCPRIM_400000_NS6detail17trampoline_kernelINS0_14default_configENS1_38merge_sort_block_merge_config_selectorIjNS0_10empty_typeEEEZZNS1_27merge_sort_block_merge_implIS3_N6thrust23THRUST_200600_302600_NS6detail15normal_iteratorINS9_10device_ptrIjEEEEPS5_m9comp_mod3IjEEE10hipError_tT0_T1_T2_jT3_P12ihipStream_tbPNSt15iterator_traitsISJ_E10value_typeEPNSP_ISK_E10value_typeEPSL_NS1_7vsmem_tEENKUlT_SJ_SK_SL_E_clIPjSE_SF_SF_EESI_SY_SJ_SK_SL_EUlSY_E0_NS1_11comp_targetILNS1_3genE5ELNS1_11target_archE942ELNS1_3gpuE9ELNS1_3repE0EEENS1_38merge_mergepath_config_static_selectorELNS0_4arch9wavefront6targetE0EEEvSK_.has_recursion, 0
	.set _ZN7rocprim17ROCPRIM_400000_NS6detail17trampoline_kernelINS0_14default_configENS1_38merge_sort_block_merge_config_selectorIjNS0_10empty_typeEEEZZNS1_27merge_sort_block_merge_implIS3_N6thrust23THRUST_200600_302600_NS6detail15normal_iteratorINS9_10device_ptrIjEEEEPS5_m9comp_mod3IjEEE10hipError_tT0_T1_T2_jT3_P12ihipStream_tbPNSt15iterator_traitsISJ_E10value_typeEPNSP_ISK_E10value_typeEPSL_NS1_7vsmem_tEENKUlT_SJ_SK_SL_E_clIPjSE_SF_SF_EESI_SY_SJ_SK_SL_EUlSY_E0_NS1_11comp_targetILNS1_3genE5ELNS1_11target_archE942ELNS1_3gpuE9ELNS1_3repE0EEENS1_38merge_mergepath_config_static_selectorELNS0_4arch9wavefront6targetE0EEEvSK_.has_indirect_call, 0
	.section	.AMDGPU.csdata,"",@progbits
; Kernel info:
; codeLenInByte = 0
; TotalNumSgprs: 0
; NumVgprs: 0
; ScratchSize: 0
; MemoryBound: 0
; FloatMode: 240
; IeeeMode: 1
; LDSByteSize: 0 bytes/workgroup (compile time only)
; SGPRBlocks: 0
; VGPRBlocks: 0
; NumSGPRsForWavesPerEU: 1
; NumVGPRsForWavesPerEU: 1
; Occupancy: 16
; WaveLimiterHint : 0
; COMPUTE_PGM_RSRC2:SCRATCH_EN: 0
; COMPUTE_PGM_RSRC2:USER_SGPR: 6
; COMPUTE_PGM_RSRC2:TRAP_HANDLER: 0
; COMPUTE_PGM_RSRC2:TGID_X_EN: 1
; COMPUTE_PGM_RSRC2:TGID_Y_EN: 0
; COMPUTE_PGM_RSRC2:TGID_Z_EN: 0
; COMPUTE_PGM_RSRC2:TIDIG_COMP_CNT: 0
	.section	.text._ZN7rocprim17ROCPRIM_400000_NS6detail17trampoline_kernelINS0_14default_configENS1_38merge_sort_block_merge_config_selectorIjNS0_10empty_typeEEEZZNS1_27merge_sort_block_merge_implIS3_N6thrust23THRUST_200600_302600_NS6detail15normal_iteratorINS9_10device_ptrIjEEEEPS5_m9comp_mod3IjEEE10hipError_tT0_T1_T2_jT3_P12ihipStream_tbPNSt15iterator_traitsISJ_E10value_typeEPNSP_ISK_E10value_typeEPSL_NS1_7vsmem_tEENKUlT_SJ_SK_SL_E_clIPjSE_SF_SF_EESI_SY_SJ_SK_SL_EUlSY_E0_NS1_11comp_targetILNS1_3genE4ELNS1_11target_archE910ELNS1_3gpuE8ELNS1_3repE0EEENS1_38merge_mergepath_config_static_selectorELNS0_4arch9wavefront6targetE0EEEvSK_,"axG",@progbits,_ZN7rocprim17ROCPRIM_400000_NS6detail17trampoline_kernelINS0_14default_configENS1_38merge_sort_block_merge_config_selectorIjNS0_10empty_typeEEEZZNS1_27merge_sort_block_merge_implIS3_N6thrust23THRUST_200600_302600_NS6detail15normal_iteratorINS9_10device_ptrIjEEEEPS5_m9comp_mod3IjEEE10hipError_tT0_T1_T2_jT3_P12ihipStream_tbPNSt15iterator_traitsISJ_E10value_typeEPNSP_ISK_E10value_typeEPSL_NS1_7vsmem_tEENKUlT_SJ_SK_SL_E_clIPjSE_SF_SF_EESI_SY_SJ_SK_SL_EUlSY_E0_NS1_11comp_targetILNS1_3genE4ELNS1_11target_archE910ELNS1_3gpuE8ELNS1_3repE0EEENS1_38merge_mergepath_config_static_selectorELNS0_4arch9wavefront6targetE0EEEvSK_,comdat
	.protected	_ZN7rocprim17ROCPRIM_400000_NS6detail17trampoline_kernelINS0_14default_configENS1_38merge_sort_block_merge_config_selectorIjNS0_10empty_typeEEEZZNS1_27merge_sort_block_merge_implIS3_N6thrust23THRUST_200600_302600_NS6detail15normal_iteratorINS9_10device_ptrIjEEEEPS5_m9comp_mod3IjEEE10hipError_tT0_T1_T2_jT3_P12ihipStream_tbPNSt15iterator_traitsISJ_E10value_typeEPNSP_ISK_E10value_typeEPSL_NS1_7vsmem_tEENKUlT_SJ_SK_SL_E_clIPjSE_SF_SF_EESI_SY_SJ_SK_SL_EUlSY_E0_NS1_11comp_targetILNS1_3genE4ELNS1_11target_archE910ELNS1_3gpuE8ELNS1_3repE0EEENS1_38merge_mergepath_config_static_selectorELNS0_4arch9wavefront6targetE0EEEvSK_ ; -- Begin function _ZN7rocprim17ROCPRIM_400000_NS6detail17trampoline_kernelINS0_14default_configENS1_38merge_sort_block_merge_config_selectorIjNS0_10empty_typeEEEZZNS1_27merge_sort_block_merge_implIS3_N6thrust23THRUST_200600_302600_NS6detail15normal_iteratorINS9_10device_ptrIjEEEEPS5_m9comp_mod3IjEEE10hipError_tT0_T1_T2_jT3_P12ihipStream_tbPNSt15iterator_traitsISJ_E10value_typeEPNSP_ISK_E10value_typeEPSL_NS1_7vsmem_tEENKUlT_SJ_SK_SL_E_clIPjSE_SF_SF_EESI_SY_SJ_SK_SL_EUlSY_E0_NS1_11comp_targetILNS1_3genE4ELNS1_11target_archE910ELNS1_3gpuE8ELNS1_3repE0EEENS1_38merge_mergepath_config_static_selectorELNS0_4arch9wavefront6targetE0EEEvSK_
	.globl	_ZN7rocprim17ROCPRIM_400000_NS6detail17trampoline_kernelINS0_14default_configENS1_38merge_sort_block_merge_config_selectorIjNS0_10empty_typeEEEZZNS1_27merge_sort_block_merge_implIS3_N6thrust23THRUST_200600_302600_NS6detail15normal_iteratorINS9_10device_ptrIjEEEEPS5_m9comp_mod3IjEEE10hipError_tT0_T1_T2_jT3_P12ihipStream_tbPNSt15iterator_traitsISJ_E10value_typeEPNSP_ISK_E10value_typeEPSL_NS1_7vsmem_tEENKUlT_SJ_SK_SL_E_clIPjSE_SF_SF_EESI_SY_SJ_SK_SL_EUlSY_E0_NS1_11comp_targetILNS1_3genE4ELNS1_11target_archE910ELNS1_3gpuE8ELNS1_3repE0EEENS1_38merge_mergepath_config_static_selectorELNS0_4arch9wavefront6targetE0EEEvSK_
	.p2align	8
	.type	_ZN7rocprim17ROCPRIM_400000_NS6detail17trampoline_kernelINS0_14default_configENS1_38merge_sort_block_merge_config_selectorIjNS0_10empty_typeEEEZZNS1_27merge_sort_block_merge_implIS3_N6thrust23THRUST_200600_302600_NS6detail15normal_iteratorINS9_10device_ptrIjEEEEPS5_m9comp_mod3IjEEE10hipError_tT0_T1_T2_jT3_P12ihipStream_tbPNSt15iterator_traitsISJ_E10value_typeEPNSP_ISK_E10value_typeEPSL_NS1_7vsmem_tEENKUlT_SJ_SK_SL_E_clIPjSE_SF_SF_EESI_SY_SJ_SK_SL_EUlSY_E0_NS1_11comp_targetILNS1_3genE4ELNS1_11target_archE910ELNS1_3gpuE8ELNS1_3repE0EEENS1_38merge_mergepath_config_static_selectorELNS0_4arch9wavefront6targetE0EEEvSK_,@function
_ZN7rocprim17ROCPRIM_400000_NS6detail17trampoline_kernelINS0_14default_configENS1_38merge_sort_block_merge_config_selectorIjNS0_10empty_typeEEEZZNS1_27merge_sort_block_merge_implIS3_N6thrust23THRUST_200600_302600_NS6detail15normal_iteratorINS9_10device_ptrIjEEEEPS5_m9comp_mod3IjEEE10hipError_tT0_T1_T2_jT3_P12ihipStream_tbPNSt15iterator_traitsISJ_E10value_typeEPNSP_ISK_E10value_typeEPSL_NS1_7vsmem_tEENKUlT_SJ_SK_SL_E_clIPjSE_SF_SF_EESI_SY_SJ_SK_SL_EUlSY_E0_NS1_11comp_targetILNS1_3genE4ELNS1_11target_archE910ELNS1_3gpuE8ELNS1_3repE0EEENS1_38merge_mergepath_config_static_selectorELNS0_4arch9wavefront6targetE0EEEvSK_: ; @_ZN7rocprim17ROCPRIM_400000_NS6detail17trampoline_kernelINS0_14default_configENS1_38merge_sort_block_merge_config_selectorIjNS0_10empty_typeEEEZZNS1_27merge_sort_block_merge_implIS3_N6thrust23THRUST_200600_302600_NS6detail15normal_iteratorINS9_10device_ptrIjEEEEPS5_m9comp_mod3IjEEE10hipError_tT0_T1_T2_jT3_P12ihipStream_tbPNSt15iterator_traitsISJ_E10value_typeEPNSP_ISK_E10value_typeEPSL_NS1_7vsmem_tEENKUlT_SJ_SK_SL_E_clIPjSE_SF_SF_EESI_SY_SJ_SK_SL_EUlSY_E0_NS1_11comp_targetILNS1_3genE4ELNS1_11target_archE910ELNS1_3gpuE8ELNS1_3repE0EEENS1_38merge_mergepath_config_static_selectorELNS0_4arch9wavefront6targetE0EEEvSK_
; %bb.0:
	.section	.rodata,"a",@progbits
	.p2align	6, 0x0
	.amdhsa_kernel _ZN7rocprim17ROCPRIM_400000_NS6detail17trampoline_kernelINS0_14default_configENS1_38merge_sort_block_merge_config_selectorIjNS0_10empty_typeEEEZZNS1_27merge_sort_block_merge_implIS3_N6thrust23THRUST_200600_302600_NS6detail15normal_iteratorINS9_10device_ptrIjEEEEPS5_m9comp_mod3IjEEE10hipError_tT0_T1_T2_jT3_P12ihipStream_tbPNSt15iterator_traitsISJ_E10value_typeEPNSP_ISK_E10value_typeEPSL_NS1_7vsmem_tEENKUlT_SJ_SK_SL_E_clIPjSE_SF_SF_EESI_SY_SJ_SK_SL_EUlSY_E0_NS1_11comp_targetILNS1_3genE4ELNS1_11target_archE910ELNS1_3gpuE8ELNS1_3repE0EEENS1_38merge_mergepath_config_static_selectorELNS0_4arch9wavefront6targetE0EEEvSK_
		.amdhsa_group_segment_fixed_size 0
		.amdhsa_private_segment_fixed_size 0
		.amdhsa_kernarg_size 80
		.amdhsa_user_sgpr_count 6
		.amdhsa_user_sgpr_private_segment_buffer 1
		.amdhsa_user_sgpr_dispatch_ptr 0
		.amdhsa_user_sgpr_queue_ptr 0
		.amdhsa_user_sgpr_kernarg_segment_ptr 1
		.amdhsa_user_sgpr_dispatch_id 0
		.amdhsa_user_sgpr_flat_scratch_init 0
		.amdhsa_user_sgpr_private_segment_size 0
		.amdhsa_wavefront_size32 1
		.amdhsa_uses_dynamic_stack 0
		.amdhsa_system_sgpr_private_segment_wavefront_offset 0
		.amdhsa_system_sgpr_workgroup_id_x 1
		.amdhsa_system_sgpr_workgroup_id_y 0
		.amdhsa_system_sgpr_workgroup_id_z 0
		.amdhsa_system_sgpr_workgroup_info 0
		.amdhsa_system_vgpr_workitem_id 0
		.amdhsa_next_free_vgpr 1
		.amdhsa_next_free_sgpr 1
		.amdhsa_reserve_vcc 0
		.amdhsa_reserve_flat_scratch 0
		.amdhsa_float_round_mode_32 0
		.amdhsa_float_round_mode_16_64 0
		.amdhsa_float_denorm_mode_32 3
		.amdhsa_float_denorm_mode_16_64 3
		.amdhsa_dx10_clamp 1
		.amdhsa_ieee_mode 1
		.amdhsa_fp16_overflow 0
		.amdhsa_workgroup_processor_mode 1
		.amdhsa_memory_ordered 1
		.amdhsa_forward_progress 1
		.amdhsa_shared_vgpr_count 0
		.amdhsa_exception_fp_ieee_invalid_op 0
		.amdhsa_exception_fp_denorm_src 0
		.amdhsa_exception_fp_ieee_div_zero 0
		.amdhsa_exception_fp_ieee_overflow 0
		.amdhsa_exception_fp_ieee_underflow 0
		.amdhsa_exception_fp_ieee_inexact 0
		.amdhsa_exception_int_div_zero 0
	.end_amdhsa_kernel
	.section	.text._ZN7rocprim17ROCPRIM_400000_NS6detail17trampoline_kernelINS0_14default_configENS1_38merge_sort_block_merge_config_selectorIjNS0_10empty_typeEEEZZNS1_27merge_sort_block_merge_implIS3_N6thrust23THRUST_200600_302600_NS6detail15normal_iteratorINS9_10device_ptrIjEEEEPS5_m9comp_mod3IjEEE10hipError_tT0_T1_T2_jT3_P12ihipStream_tbPNSt15iterator_traitsISJ_E10value_typeEPNSP_ISK_E10value_typeEPSL_NS1_7vsmem_tEENKUlT_SJ_SK_SL_E_clIPjSE_SF_SF_EESI_SY_SJ_SK_SL_EUlSY_E0_NS1_11comp_targetILNS1_3genE4ELNS1_11target_archE910ELNS1_3gpuE8ELNS1_3repE0EEENS1_38merge_mergepath_config_static_selectorELNS0_4arch9wavefront6targetE0EEEvSK_,"axG",@progbits,_ZN7rocprim17ROCPRIM_400000_NS6detail17trampoline_kernelINS0_14default_configENS1_38merge_sort_block_merge_config_selectorIjNS0_10empty_typeEEEZZNS1_27merge_sort_block_merge_implIS3_N6thrust23THRUST_200600_302600_NS6detail15normal_iteratorINS9_10device_ptrIjEEEEPS5_m9comp_mod3IjEEE10hipError_tT0_T1_T2_jT3_P12ihipStream_tbPNSt15iterator_traitsISJ_E10value_typeEPNSP_ISK_E10value_typeEPSL_NS1_7vsmem_tEENKUlT_SJ_SK_SL_E_clIPjSE_SF_SF_EESI_SY_SJ_SK_SL_EUlSY_E0_NS1_11comp_targetILNS1_3genE4ELNS1_11target_archE910ELNS1_3gpuE8ELNS1_3repE0EEENS1_38merge_mergepath_config_static_selectorELNS0_4arch9wavefront6targetE0EEEvSK_,comdat
.Lfunc_end827:
	.size	_ZN7rocprim17ROCPRIM_400000_NS6detail17trampoline_kernelINS0_14default_configENS1_38merge_sort_block_merge_config_selectorIjNS0_10empty_typeEEEZZNS1_27merge_sort_block_merge_implIS3_N6thrust23THRUST_200600_302600_NS6detail15normal_iteratorINS9_10device_ptrIjEEEEPS5_m9comp_mod3IjEEE10hipError_tT0_T1_T2_jT3_P12ihipStream_tbPNSt15iterator_traitsISJ_E10value_typeEPNSP_ISK_E10value_typeEPSL_NS1_7vsmem_tEENKUlT_SJ_SK_SL_E_clIPjSE_SF_SF_EESI_SY_SJ_SK_SL_EUlSY_E0_NS1_11comp_targetILNS1_3genE4ELNS1_11target_archE910ELNS1_3gpuE8ELNS1_3repE0EEENS1_38merge_mergepath_config_static_selectorELNS0_4arch9wavefront6targetE0EEEvSK_, .Lfunc_end827-_ZN7rocprim17ROCPRIM_400000_NS6detail17trampoline_kernelINS0_14default_configENS1_38merge_sort_block_merge_config_selectorIjNS0_10empty_typeEEEZZNS1_27merge_sort_block_merge_implIS3_N6thrust23THRUST_200600_302600_NS6detail15normal_iteratorINS9_10device_ptrIjEEEEPS5_m9comp_mod3IjEEE10hipError_tT0_T1_T2_jT3_P12ihipStream_tbPNSt15iterator_traitsISJ_E10value_typeEPNSP_ISK_E10value_typeEPSL_NS1_7vsmem_tEENKUlT_SJ_SK_SL_E_clIPjSE_SF_SF_EESI_SY_SJ_SK_SL_EUlSY_E0_NS1_11comp_targetILNS1_3genE4ELNS1_11target_archE910ELNS1_3gpuE8ELNS1_3repE0EEENS1_38merge_mergepath_config_static_selectorELNS0_4arch9wavefront6targetE0EEEvSK_
                                        ; -- End function
	.set _ZN7rocprim17ROCPRIM_400000_NS6detail17trampoline_kernelINS0_14default_configENS1_38merge_sort_block_merge_config_selectorIjNS0_10empty_typeEEEZZNS1_27merge_sort_block_merge_implIS3_N6thrust23THRUST_200600_302600_NS6detail15normal_iteratorINS9_10device_ptrIjEEEEPS5_m9comp_mod3IjEEE10hipError_tT0_T1_T2_jT3_P12ihipStream_tbPNSt15iterator_traitsISJ_E10value_typeEPNSP_ISK_E10value_typeEPSL_NS1_7vsmem_tEENKUlT_SJ_SK_SL_E_clIPjSE_SF_SF_EESI_SY_SJ_SK_SL_EUlSY_E0_NS1_11comp_targetILNS1_3genE4ELNS1_11target_archE910ELNS1_3gpuE8ELNS1_3repE0EEENS1_38merge_mergepath_config_static_selectorELNS0_4arch9wavefront6targetE0EEEvSK_.num_vgpr, 0
	.set _ZN7rocprim17ROCPRIM_400000_NS6detail17trampoline_kernelINS0_14default_configENS1_38merge_sort_block_merge_config_selectorIjNS0_10empty_typeEEEZZNS1_27merge_sort_block_merge_implIS3_N6thrust23THRUST_200600_302600_NS6detail15normal_iteratorINS9_10device_ptrIjEEEEPS5_m9comp_mod3IjEEE10hipError_tT0_T1_T2_jT3_P12ihipStream_tbPNSt15iterator_traitsISJ_E10value_typeEPNSP_ISK_E10value_typeEPSL_NS1_7vsmem_tEENKUlT_SJ_SK_SL_E_clIPjSE_SF_SF_EESI_SY_SJ_SK_SL_EUlSY_E0_NS1_11comp_targetILNS1_3genE4ELNS1_11target_archE910ELNS1_3gpuE8ELNS1_3repE0EEENS1_38merge_mergepath_config_static_selectorELNS0_4arch9wavefront6targetE0EEEvSK_.num_agpr, 0
	.set _ZN7rocprim17ROCPRIM_400000_NS6detail17trampoline_kernelINS0_14default_configENS1_38merge_sort_block_merge_config_selectorIjNS0_10empty_typeEEEZZNS1_27merge_sort_block_merge_implIS3_N6thrust23THRUST_200600_302600_NS6detail15normal_iteratorINS9_10device_ptrIjEEEEPS5_m9comp_mod3IjEEE10hipError_tT0_T1_T2_jT3_P12ihipStream_tbPNSt15iterator_traitsISJ_E10value_typeEPNSP_ISK_E10value_typeEPSL_NS1_7vsmem_tEENKUlT_SJ_SK_SL_E_clIPjSE_SF_SF_EESI_SY_SJ_SK_SL_EUlSY_E0_NS1_11comp_targetILNS1_3genE4ELNS1_11target_archE910ELNS1_3gpuE8ELNS1_3repE0EEENS1_38merge_mergepath_config_static_selectorELNS0_4arch9wavefront6targetE0EEEvSK_.numbered_sgpr, 0
	.set _ZN7rocprim17ROCPRIM_400000_NS6detail17trampoline_kernelINS0_14default_configENS1_38merge_sort_block_merge_config_selectorIjNS0_10empty_typeEEEZZNS1_27merge_sort_block_merge_implIS3_N6thrust23THRUST_200600_302600_NS6detail15normal_iteratorINS9_10device_ptrIjEEEEPS5_m9comp_mod3IjEEE10hipError_tT0_T1_T2_jT3_P12ihipStream_tbPNSt15iterator_traitsISJ_E10value_typeEPNSP_ISK_E10value_typeEPSL_NS1_7vsmem_tEENKUlT_SJ_SK_SL_E_clIPjSE_SF_SF_EESI_SY_SJ_SK_SL_EUlSY_E0_NS1_11comp_targetILNS1_3genE4ELNS1_11target_archE910ELNS1_3gpuE8ELNS1_3repE0EEENS1_38merge_mergepath_config_static_selectorELNS0_4arch9wavefront6targetE0EEEvSK_.num_named_barrier, 0
	.set _ZN7rocprim17ROCPRIM_400000_NS6detail17trampoline_kernelINS0_14default_configENS1_38merge_sort_block_merge_config_selectorIjNS0_10empty_typeEEEZZNS1_27merge_sort_block_merge_implIS3_N6thrust23THRUST_200600_302600_NS6detail15normal_iteratorINS9_10device_ptrIjEEEEPS5_m9comp_mod3IjEEE10hipError_tT0_T1_T2_jT3_P12ihipStream_tbPNSt15iterator_traitsISJ_E10value_typeEPNSP_ISK_E10value_typeEPSL_NS1_7vsmem_tEENKUlT_SJ_SK_SL_E_clIPjSE_SF_SF_EESI_SY_SJ_SK_SL_EUlSY_E0_NS1_11comp_targetILNS1_3genE4ELNS1_11target_archE910ELNS1_3gpuE8ELNS1_3repE0EEENS1_38merge_mergepath_config_static_selectorELNS0_4arch9wavefront6targetE0EEEvSK_.private_seg_size, 0
	.set _ZN7rocprim17ROCPRIM_400000_NS6detail17trampoline_kernelINS0_14default_configENS1_38merge_sort_block_merge_config_selectorIjNS0_10empty_typeEEEZZNS1_27merge_sort_block_merge_implIS3_N6thrust23THRUST_200600_302600_NS6detail15normal_iteratorINS9_10device_ptrIjEEEEPS5_m9comp_mod3IjEEE10hipError_tT0_T1_T2_jT3_P12ihipStream_tbPNSt15iterator_traitsISJ_E10value_typeEPNSP_ISK_E10value_typeEPSL_NS1_7vsmem_tEENKUlT_SJ_SK_SL_E_clIPjSE_SF_SF_EESI_SY_SJ_SK_SL_EUlSY_E0_NS1_11comp_targetILNS1_3genE4ELNS1_11target_archE910ELNS1_3gpuE8ELNS1_3repE0EEENS1_38merge_mergepath_config_static_selectorELNS0_4arch9wavefront6targetE0EEEvSK_.uses_vcc, 0
	.set _ZN7rocprim17ROCPRIM_400000_NS6detail17trampoline_kernelINS0_14default_configENS1_38merge_sort_block_merge_config_selectorIjNS0_10empty_typeEEEZZNS1_27merge_sort_block_merge_implIS3_N6thrust23THRUST_200600_302600_NS6detail15normal_iteratorINS9_10device_ptrIjEEEEPS5_m9comp_mod3IjEEE10hipError_tT0_T1_T2_jT3_P12ihipStream_tbPNSt15iterator_traitsISJ_E10value_typeEPNSP_ISK_E10value_typeEPSL_NS1_7vsmem_tEENKUlT_SJ_SK_SL_E_clIPjSE_SF_SF_EESI_SY_SJ_SK_SL_EUlSY_E0_NS1_11comp_targetILNS1_3genE4ELNS1_11target_archE910ELNS1_3gpuE8ELNS1_3repE0EEENS1_38merge_mergepath_config_static_selectorELNS0_4arch9wavefront6targetE0EEEvSK_.uses_flat_scratch, 0
	.set _ZN7rocprim17ROCPRIM_400000_NS6detail17trampoline_kernelINS0_14default_configENS1_38merge_sort_block_merge_config_selectorIjNS0_10empty_typeEEEZZNS1_27merge_sort_block_merge_implIS3_N6thrust23THRUST_200600_302600_NS6detail15normal_iteratorINS9_10device_ptrIjEEEEPS5_m9comp_mod3IjEEE10hipError_tT0_T1_T2_jT3_P12ihipStream_tbPNSt15iterator_traitsISJ_E10value_typeEPNSP_ISK_E10value_typeEPSL_NS1_7vsmem_tEENKUlT_SJ_SK_SL_E_clIPjSE_SF_SF_EESI_SY_SJ_SK_SL_EUlSY_E0_NS1_11comp_targetILNS1_3genE4ELNS1_11target_archE910ELNS1_3gpuE8ELNS1_3repE0EEENS1_38merge_mergepath_config_static_selectorELNS0_4arch9wavefront6targetE0EEEvSK_.has_dyn_sized_stack, 0
	.set _ZN7rocprim17ROCPRIM_400000_NS6detail17trampoline_kernelINS0_14default_configENS1_38merge_sort_block_merge_config_selectorIjNS0_10empty_typeEEEZZNS1_27merge_sort_block_merge_implIS3_N6thrust23THRUST_200600_302600_NS6detail15normal_iteratorINS9_10device_ptrIjEEEEPS5_m9comp_mod3IjEEE10hipError_tT0_T1_T2_jT3_P12ihipStream_tbPNSt15iterator_traitsISJ_E10value_typeEPNSP_ISK_E10value_typeEPSL_NS1_7vsmem_tEENKUlT_SJ_SK_SL_E_clIPjSE_SF_SF_EESI_SY_SJ_SK_SL_EUlSY_E0_NS1_11comp_targetILNS1_3genE4ELNS1_11target_archE910ELNS1_3gpuE8ELNS1_3repE0EEENS1_38merge_mergepath_config_static_selectorELNS0_4arch9wavefront6targetE0EEEvSK_.has_recursion, 0
	.set _ZN7rocprim17ROCPRIM_400000_NS6detail17trampoline_kernelINS0_14default_configENS1_38merge_sort_block_merge_config_selectorIjNS0_10empty_typeEEEZZNS1_27merge_sort_block_merge_implIS3_N6thrust23THRUST_200600_302600_NS6detail15normal_iteratorINS9_10device_ptrIjEEEEPS5_m9comp_mod3IjEEE10hipError_tT0_T1_T2_jT3_P12ihipStream_tbPNSt15iterator_traitsISJ_E10value_typeEPNSP_ISK_E10value_typeEPSL_NS1_7vsmem_tEENKUlT_SJ_SK_SL_E_clIPjSE_SF_SF_EESI_SY_SJ_SK_SL_EUlSY_E0_NS1_11comp_targetILNS1_3genE4ELNS1_11target_archE910ELNS1_3gpuE8ELNS1_3repE0EEENS1_38merge_mergepath_config_static_selectorELNS0_4arch9wavefront6targetE0EEEvSK_.has_indirect_call, 0
	.section	.AMDGPU.csdata,"",@progbits
; Kernel info:
; codeLenInByte = 0
; TotalNumSgprs: 0
; NumVgprs: 0
; ScratchSize: 0
; MemoryBound: 0
; FloatMode: 240
; IeeeMode: 1
; LDSByteSize: 0 bytes/workgroup (compile time only)
; SGPRBlocks: 0
; VGPRBlocks: 0
; NumSGPRsForWavesPerEU: 1
; NumVGPRsForWavesPerEU: 1
; Occupancy: 16
; WaveLimiterHint : 0
; COMPUTE_PGM_RSRC2:SCRATCH_EN: 0
; COMPUTE_PGM_RSRC2:USER_SGPR: 6
; COMPUTE_PGM_RSRC2:TRAP_HANDLER: 0
; COMPUTE_PGM_RSRC2:TGID_X_EN: 1
; COMPUTE_PGM_RSRC2:TGID_Y_EN: 0
; COMPUTE_PGM_RSRC2:TGID_Z_EN: 0
; COMPUTE_PGM_RSRC2:TIDIG_COMP_CNT: 0
	.section	.text._ZN7rocprim17ROCPRIM_400000_NS6detail17trampoline_kernelINS0_14default_configENS1_38merge_sort_block_merge_config_selectorIjNS0_10empty_typeEEEZZNS1_27merge_sort_block_merge_implIS3_N6thrust23THRUST_200600_302600_NS6detail15normal_iteratorINS9_10device_ptrIjEEEEPS5_m9comp_mod3IjEEE10hipError_tT0_T1_T2_jT3_P12ihipStream_tbPNSt15iterator_traitsISJ_E10value_typeEPNSP_ISK_E10value_typeEPSL_NS1_7vsmem_tEENKUlT_SJ_SK_SL_E_clIPjSE_SF_SF_EESI_SY_SJ_SK_SL_EUlSY_E0_NS1_11comp_targetILNS1_3genE3ELNS1_11target_archE908ELNS1_3gpuE7ELNS1_3repE0EEENS1_38merge_mergepath_config_static_selectorELNS0_4arch9wavefront6targetE0EEEvSK_,"axG",@progbits,_ZN7rocprim17ROCPRIM_400000_NS6detail17trampoline_kernelINS0_14default_configENS1_38merge_sort_block_merge_config_selectorIjNS0_10empty_typeEEEZZNS1_27merge_sort_block_merge_implIS3_N6thrust23THRUST_200600_302600_NS6detail15normal_iteratorINS9_10device_ptrIjEEEEPS5_m9comp_mod3IjEEE10hipError_tT0_T1_T2_jT3_P12ihipStream_tbPNSt15iterator_traitsISJ_E10value_typeEPNSP_ISK_E10value_typeEPSL_NS1_7vsmem_tEENKUlT_SJ_SK_SL_E_clIPjSE_SF_SF_EESI_SY_SJ_SK_SL_EUlSY_E0_NS1_11comp_targetILNS1_3genE3ELNS1_11target_archE908ELNS1_3gpuE7ELNS1_3repE0EEENS1_38merge_mergepath_config_static_selectorELNS0_4arch9wavefront6targetE0EEEvSK_,comdat
	.protected	_ZN7rocprim17ROCPRIM_400000_NS6detail17trampoline_kernelINS0_14default_configENS1_38merge_sort_block_merge_config_selectorIjNS0_10empty_typeEEEZZNS1_27merge_sort_block_merge_implIS3_N6thrust23THRUST_200600_302600_NS6detail15normal_iteratorINS9_10device_ptrIjEEEEPS5_m9comp_mod3IjEEE10hipError_tT0_T1_T2_jT3_P12ihipStream_tbPNSt15iterator_traitsISJ_E10value_typeEPNSP_ISK_E10value_typeEPSL_NS1_7vsmem_tEENKUlT_SJ_SK_SL_E_clIPjSE_SF_SF_EESI_SY_SJ_SK_SL_EUlSY_E0_NS1_11comp_targetILNS1_3genE3ELNS1_11target_archE908ELNS1_3gpuE7ELNS1_3repE0EEENS1_38merge_mergepath_config_static_selectorELNS0_4arch9wavefront6targetE0EEEvSK_ ; -- Begin function _ZN7rocprim17ROCPRIM_400000_NS6detail17trampoline_kernelINS0_14default_configENS1_38merge_sort_block_merge_config_selectorIjNS0_10empty_typeEEEZZNS1_27merge_sort_block_merge_implIS3_N6thrust23THRUST_200600_302600_NS6detail15normal_iteratorINS9_10device_ptrIjEEEEPS5_m9comp_mod3IjEEE10hipError_tT0_T1_T2_jT3_P12ihipStream_tbPNSt15iterator_traitsISJ_E10value_typeEPNSP_ISK_E10value_typeEPSL_NS1_7vsmem_tEENKUlT_SJ_SK_SL_E_clIPjSE_SF_SF_EESI_SY_SJ_SK_SL_EUlSY_E0_NS1_11comp_targetILNS1_3genE3ELNS1_11target_archE908ELNS1_3gpuE7ELNS1_3repE0EEENS1_38merge_mergepath_config_static_selectorELNS0_4arch9wavefront6targetE0EEEvSK_
	.globl	_ZN7rocprim17ROCPRIM_400000_NS6detail17trampoline_kernelINS0_14default_configENS1_38merge_sort_block_merge_config_selectorIjNS0_10empty_typeEEEZZNS1_27merge_sort_block_merge_implIS3_N6thrust23THRUST_200600_302600_NS6detail15normal_iteratorINS9_10device_ptrIjEEEEPS5_m9comp_mod3IjEEE10hipError_tT0_T1_T2_jT3_P12ihipStream_tbPNSt15iterator_traitsISJ_E10value_typeEPNSP_ISK_E10value_typeEPSL_NS1_7vsmem_tEENKUlT_SJ_SK_SL_E_clIPjSE_SF_SF_EESI_SY_SJ_SK_SL_EUlSY_E0_NS1_11comp_targetILNS1_3genE3ELNS1_11target_archE908ELNS1_3gpuE7ELNS1_3repE0EEENS1_38merge_mergepath_config_static_selectorELNS0_4arch9wavefront6targetE0EEEvSK_
	.p2align	8
	.type	_ZN7rocprim17ROCPRIM_400000_NS6detail17trampoline_kernelINS0_14default_configENS1_38merge_sort_block_merge_config_selectorIjNS0_10empty_typeEEEZZNS1_27merge_sort_block_merge_implIS3_N6thrust23THRUST_200600_302600_NS6detail15normal_iteratorINS9_10device_ptrIjEEEEPS5_m9comp_mod3IjEEE10hipError_tT0_T1_T2_jT3_P12ihipStream_tbPNSt15iterator_traitsISJ_E10value_typeEPNSP_ISK_E10value_typeEPSL_NS1_7vsmem_tEENKUlT_SJ_SK_SL_E_clIPjSE_SF_SF_EESI_SY_SJ_SK_SL_EUlSY_E0_NS1_11comp_targetILNS1_3genE3ELNS1_11target_archE908ELNS1_3gpuE7ELNS1_3repE0EEENS1_38merge_mergepath_config_static_selectorELNS0_4arch9wavefront6targetE0EEEvSK_,@function
_ZN7rocprim17ROCPRIM_400000_NS6detail17trampoline_kernelINS0_14default_configENS1_38merge_sort_block_merge_config_selectorIjNS0_10empty_typeEEEZZNS1_27merge_sort_block_merge_implIS3_N6thrust23THRUST_200600_302600_NS6detail15normal_iteratorINS9_10device_ptrIjEEEEPS5_m9comp_mod3IjEEE10hipError_tT0_T1_T2_jT3_P12ihipStream_tbPNSt15iterator_traitsISJ_E10value_typeEPNSP_ISK_E10value_typeEPSL_NS1_7vsmem_tEENKUlT_SJ_SK_SL_E_clIPjSE_SF_SF_EESI_SY_SJ_SK_SL_EUlSY_E0_NS1_11comp_targetILNS1_3genE3ELNS1_11target_archE908ELNS1_3gpuE7ELNS1_3repE0EEENS1_38merge_mergepath_config_static_selectorELNS0_4arch9wavefront6targetE0EEEvSK_: ; @_ZN7rocprim17ROCPRIM_400000_NS6detail17trampoline_kernelINS0_14default_configENS1_38merge_sort_block_merge_config_selectorIjNS0_10empty_typeEEEZZNS1_27merge_sort_block_merge_implIS3_N6thrust23THRUST_200600_302600_NS6detail15normal_iteratorINS9_10device_ptrIjEEEEPS5_m9comp_mod3IjEEE10hipError_tT0_T1_T2_jT3_P12ihipStream_tbPNSt15iterator_traitsISJ_E10value_typeEPNSP_ISK_E10value_typeEPSL_NS1_7vsmem_tEENKUlT_SJ_SK_SL_E_clIPjSE_SF_SF_EESI_SY_SJ_SK_SL_EUlSY_E0_NS1_11comp_targetILNS1_3genE3ELNS1_11target_archE908ELNS1_3gpuE7ELNS1_3repE0EEENS1_38merge_mergepath_config_static_selectorELNS0_4arch9wavefront6targetE0EEEvSK_
; %bb.0:
	.section	.rodata,"a",@progbits
	.p2align	6, 0x0
	.amdhsa_kernel _ZN7rocprim17ROCPRIM_400000_NS6detail17trampoline_kernelINS0_14default_configENS1_38merge_sort_block_merge_config_selectorIjNS0_10empty_typeEEEZZNS1_27merge_sort_block_merge_implIS3_N6thrust23THRUST_200600_302600_NS6detail15normal_iteratorINS9_10device_ptrIjEEEEPS5_m9comp_mod3IjEEE10hipError_tT0_T1_T2_jT3_P12ihipStream_tbPNSt15iterator_traitsISJ_E10value_typeEPNSP_ISK_E10value_typeEPSL_NS1_7vsmem_tEENKUlT_SJ_SK_SL_E_clIPjSE_SF_SF_EESI_SY_SJ_SK_SL_EUlSY_E0_NS1_11comp_targetILNS1_3genE3ELNS1_11target_archE908ELNS1_3gpuE7ELNS1_3repE0EEENS1_38merge_mergepath_config_static_selectorELNS0_4arch9wavefront6targetE0EEEvSK_
		.amdhsa_group_segment_fixed_size 0
		.amdhsa_private_segment_fixed_size 0
		.amdhsa_kernarg_size 80
		.amdhsa_user_sgpr_count 6
		.amdhsa_user_sgpr_private_segment_buffer 1
		.amdhsa_user_sgpr_dispatch_ptr 0
		.amdhsa_user_sgpr_queue_ptr 0
		.amdhsa_user_sgpr_kernarg_segment_ptr 1
		.amdhsa_user_sgpr_dispatch_id 0
		.amdhsa_user_sgpr_flat_scratch_init 0
		.amdhsa_user_sgpr_private_segment_size 0
		.amdhsa_wavefront_size32 1
		.amdhsa_uses_dynamic_stack 0
		.amdhsa_system_sgpr_private_segment_wavefront_offset 0
		.amdhsa_system_sgpr_workgroup_id_x 1
		.amdhsa_system_sgpr_workgroup_id_y 0
		.amdhsa_system_sgpr_workgroup_id_z 0
		.amdhsa_system_sgpr_workgroup_info 0
		.amdhsa_system_vgpr_workitem_id 0
		.amdhsa_next_free_vgpr 1
		.amdhsa_next_free_sgpr 1
		.amdhsa_reserve_vcc 0
		.amdhsa_reserve_flat_scratch 0
		.amdhsa_float_round_mode_32 0
		.amdhsa_float_round_mode_16_64 0
		.amdhsa_float_denorm_mode_32 3
		.amdhsa_float_denorm_mode_16_64 3
		.amdhsa_dx10_clamp 1
		.amdhsa_ieee_mode 1
		.amdhsa_fp16_overflow 0
		.amdhsa_workgroup_processor_mode 1
		.amdhsa_memory_ordered 1
		.amdhsa_forward_progress 1
		.amdhsa_shared_vgpr_count 0
		.amdhsa_exception_fp_ieee_invalid_op 0
		.amdhsa_exception_fp_denorm_src 0
		.amdhsa_exception_fp_ieee_div_zero 0
		.amdhsa_exception_fp_ieee_overflow 0
		.amdhsa_exception_fp_ieee_underflow 0
		.amdhsa_exception_fp_ieee_inexact 0
		.amdhsa_exception_int_div_zero 0
	.end_amdhsa_kernel
	.section	.text._ZN7rocprim17ROCPRIM_400000_NS6detail17trampoline_kernelINS0_14default_configENS1_38merge_sort_block_merge_config_selectorIjNS0_10empty_typeEEEZZNS1_27merge_sort_block_merge_implIS3_N6thrust23THRUST_200600_302600_NS6detail15normal_iteratorINS9_10device_ptrIjEEEEPS5_m9comp_mod3IjEEE10hipError_tT0_T1_T2_jT3_P12ihipStream_tbPNSt15iterator_traitsISJ_E10value_typeEPNSP_ISK_E10value_typeEPSL_NS1_7vsmem_tEENKUlT_SJ_SK_SL_E_clIPjSE_SF_SF_EESI_SY_SJ_SK_SL_EUlSY_E0_NS1_11comp_targetILNS1_3genE3ELNS1_11target_archE908ELNS1_3gpuE7ELNS1_3repE0EEENS1_38merge_mergepath_config_static_selectorELNS0_4arch9wavefront6targetE0EEEvSK_,"axG",@progbits,_ZN7rocprim17ROCPRIM_400000_NS6detail17trampoline_kernelINS0_14default_configENS1_38merge_sort_block_merge_config_selectorIjNS0_10empty_typeEEEZZNS1_27merge_sort_block_merge_implIS3_N6thrust23THRUST_200600_302600_NS6detail15normal_iteratorINS9_10device_ptrIjEEEEPS5_m9comp_mod3IjEEE10hipError_tT0_T1_T2_jT3_P12ihipStream_tbPNSt15iterator_traitsISJ_E10value_typeEPNSP_ISK_E10value_typeEPSL_NS1_7vsmem_tEENKUlT_SJ_SK_SL_E_clIPjSE_SF_SF_EESI_SY_SJ_SK_SL_EUlSY_E0_NS1_11comp_targetILNS1_3genE3ELNS1_11target_archE908ELNS1_3gpuE7ELNS1_3repE0EEENS1_38merge_mergepath_config_static_selectorELNS0_4arch9wavefront6targetE0EEEvSK_,comdat
.Lfunc_end828:
	.size	_ZN7rocprim17ROCPRIM_400000_NS6detail17trampoline_kernelINS0_14default_configENS1_38merge_sort_block_merge_config_selectorIjNS0_10empty_typeEEEZZNS1_27merge_sort_block_merge_implIS3_N6thrust23THRUST_200600_302600_NS6detail15normal_iteratorINS9_10device_ptrIjEEEEPS5_m9comp_mod3IjEEE10hipError_tT0_T1_T2_jT3_P12ihipStream_tbPNSt15iterator_traitsISJ_E10value_typeEPNSP_ISK_E10value_typeEPSL_NS1_7vsmem_tEENKUlT_SJ_SK_SL_E_clIPjSE_SF_SF_EESI_SY_SJ_SK_SL_EUlSY_E0_NS1_11comp_targetILNS1_3genE3ELNS1_11target_archE908ELNS1_3gpuE7ELNS1_3repE0EEENS1_38merge_mergepath_config_static_selectorELNS0_4arch9wavefront6targetE0EEEvSK_, .Lfunc_end828-_ZN7rocprim17ROCPRIM_400000_NS6detail17trampoline_kernelINS0_14default_configENS1_38merge_sort_block_merge_config_selectorIjNS0_10empty_typeEEEZZNS1_27merge_sort_block_merge_implIS3_N6thrust23THRUST_200600_302600_NS6detail15normal_iteratorINS9_10device_ptrIjEEEEPS5_m9comp_mod3IjEEE10hipError_tT0_T1_T2_jT3_P12ihipStream_tbPNSt15iterator_traitsISJ_E10value_typeEPNSP_ISK_E10value_typeEPSL_NS1_7vsmem_tEENKUlT_SJ_SK_SL_E_clIPjSE_SF_SF_EESI_SY_SJ_SK_SL_EUlSY_E0_NS1_11comp_targetILNS1_3genE3ELNS1_11target_archE908ELNS1_3gpuE7ELNS1_3repE0EEENS1_38merge_mergepath_config_static_selectorELNS0_4arch9wavefront6targetE0EEEvSK_
                                        ; -- End function
	.set _ZN7rocprim17ROCPRIM_400000_NS6detail17trampoline_kernelINS0_14default_configENS1_38merge_sort_block_merge_config_selectorIjNS0_10empty_typeEEEZZNS1_27merge_sort_block_merge_implIS3_N6thrust23THRUST_200600_302600_NS6detail15normal_iteratorINS9_10device_ptrIjEEEEPS5_m9comp_mod3IjEEE10hipError_tT0_T1_T2_jT3_P12ihipStream_tbPNSt15iterator_traitsISJ_E10value_typeEPNSP_ISK_E10value_typeEPSL_NS1_7vsmem_tEENKUlT_SJ_SK_SL_E_clIPjSE_SF_SF_EESI_SY_SJ_SK_SL_EUlSY_E0_NS1_11comp_targetILNS1_3genE3ELNS1_11target_archE908ELNS1_3gpuE7ELNS1_3repE0EEENS1_38merge_mergepath_config_static_selectorELNS0_4arch9wavefront6targetE0EEEvSK_.num_vgpr, 0
	.set _ZN7rocprim17ROCPRIM_400000_NS6detail17trampoline_kernelINS0_14default_configENS1_38merge_sort_block_merge_config_selectorIjNS0_10empty_typeEEEZZNS1_27merge_sort_block_merge_implIS3_N6thrust23THRUST_200600_302600_NS6detail15normal_iteratorINS9_10device_ptrIjEEEEPS5_m9comp_mod3IjEEE10hipError_tT0_T1_T2_jT3_P12ihipStream_tbPNSt15iterator_traitsISJ_E10value_typeEPNSP_ISK_E10value_typeEPSL_NS1_7vsmem_tEENKUlT_SJ_SK_SL_E_clIPjSE_SF_SF_EESI_SY_SJ_SK_SL_EUlSY_E0_NS1_11comp_targetILNS1_3genE3ELNS1_11target_archE908ELNS1_3gpuE7ELNS1_3repE0EEENS1_38merge_mergepath_config_static_selectorELNS0_4arch9wavefront6targetE0EEEvSK_.num_agpr, 0
	.set _ZN7rocprim17ROCPRIM_400000_NS6detail17trampoline_kernelINS0_14default_configENS1_38merge_sort_block_merge_config_selectorIjNS0_10empty_typeEEEZZNS1_27merge_sort_block_merge_implIS3_N6thrust23THRUST_200600_302600_NS6detail15normal_iteratorINS9_10device_ptrIjEEEEPS5_m9comp_mod3IjEEE10hipError_tT0_T1_T2_jT3_P12ihipStream_tbPNSt15iterator_traitsISJ_E10value_typeEPNSP_ISK_E10value_typeEPSL_NS1_7vsmem_tEENKUlT_SJ_SK_SL_E_clIPjSE_SF_SF_EESI_SY_SJ_SK_SL_EUlSY_E0_NS1_11comp_targetILNS1_3genE3ELNS1_11target_archE908ELNS1_3gpuE7ELNS1_3repE0EEENS1_38merge_mergepath_config_static_selectorELNS0_4arch9wavefront6targetE0EEEvSK_.numbered_sgpr, 0
	.set _ZN7rocprim17ROCPRIM_400000_NS6detail17trampoline_kernelINS0_14default_configENS1_38merge_sort_block_merge_config_selectorIjNS0_10empty_typeEEEZZNS1_27merge_sort_block_merge_implIS3_N6thrust23THRUST_200600_302600_NS6detail15normal_iteratorINS9_10device_ptrIjEEEEPS5_m9comp_mod3IjEEE10hipError_tT0_T1_T2_jT3_P12ihipStream_tbPNSt15iterator_traitsISJ_E10value_typeEPNSP_ISK_E10value_typeEPSL_NS1_7vsmem_tEENKUlT_SJ_SK_SL_E_clIPjSE_SF_SF_EESI_SY_SJ_SK_SL_EUlSY_E0_NS1_11comp_targetILNS1_3genE3ELNS1_11target_archE908ELNS1_3gpuE7ELNS1_3repE0EEENS1_38merge_mergepath_config_static_selectorELNS0_4arch9wavefront6targetE0EEEvSK_.num_named_barrier, 0
	.set _ZN7rocprim17ROCPRIM_400000_NS6detail17trampoline_kernelINS0_14default_configENS1_38merge_sort_block_merge_config_selectorIjNS0_10empty_typeEEEZZNS1_27merge_sort_block_merge_implIS3_N6thrust23THRUST_200600_302600_NS6detail15normal_iteratorINS9_10device_ptrIjEEEEPS5_m9comp_mod3IjEEE10hipError_tT0_T1_T2_jT3_P12ihipStream_tbPNSt15iterator_traitsISJ_E10value_typeEPNSP_ISK_E10value_typeEPSL_NS1_7vsmem_tEENKUlT_SJ_SK_SL_E_clIPjSE_SF_SF_EESI_SY_SJ_SK_SL_EUlSY_E0_NS1_11comp_targetILNS1_3genE3ELNS1_11target_archE908ELNS1_3gpuE7ELNS1_3repE0EEENS1_38merge_mergepath_config_static_selectorELNS0_4arch9wavefront6targetE0EEEvSK_.private_seg_size, 0
	.set _ZN7rocprim17ROCPRIM_400000_NS6detail17trampoline_kernelINS0_14default_configENS1_38merge_sort_block_merge_config_selectorIjNS0_10empty_typeEEEZZNS1_27merge_sort_block_merge_implIS3_N6thrust23THRUST_200600_302600_NS6detail15normal_iteratorINS9_10device_ptrIjEEEEPS5_m9comp_mod3IjEEE10hipError_tT0_T1_T2_jT3_P12ihipStream_tbPNSt15iterator_traitsISJ_E10value_typeEPNSP_ISK_E10value_typeEPSL_NS1_7vsmem_tEENKUlT_SJ_SK_SL_E_clIPjSE_SF_SF_EESI_SY_SJ_SK_SL_EUlSY_E0_NS1_11comp_targetILNS1_3genE3ELNS1_11target_archE908ELNS1_3gpuE7ELNS1_3repE0EEENS1_38merge_mergepath_config_static_selectorELNS0_4arch9wavefront6targetE0EEEvSK_.uses_vcc, 0
	.set _ZN7rocprim17ROCPRIM_400000_NS6detail17trampoline_kernelINS0_14default_configENS1_38merge_sort_block_merge_config_selectorIjNS0_10empty_typeEEEZZNS1_27merge_sort_block_merge_implIS3_N6thrust23THRUST_200600_302600_NS6detail15normal_iteratorINS9_10device_ptrIjEEEEPS5_m9comp_mod3IjEEE10hipError_tT0_T1_T2_jT3_P12ihipStream_tbPNSt15iterator_traitsISJ_E10value_typeEPNSP_ISK_E10value_typeEPSL_NS1_7vsmem_tEENKUlT_SJ_SK_SL_E_clIPjSE_SF_SF_EESI_SY_SJ_SK_SL_EUlSY_E0_NS1_11comp_targetILNS1_3genE3ELNS1_11target_archE908ELNS1_3gpuE7ELNS1_3repE0EEENS1_38merge_mergepath_config_static_selectorELNS0_4arch9wavefront6targetE0EEEvSK_.uses_flat_scratch, 0
	.set _ZN7rocprim17ROCPRIM_400000_NS6detail17trampoline_kernelINS0_14default_configENS1_38merge_sort_block_merge_config_selectorIjNS0_10empty_typeEEEZZNS1_27merge_sort_block_merge_implIS3_N6thrust23THRUST_200600_302600_NS6detail15normal_iteratorINS9_10device_ptrIjEEEEPS5_m9comp_mod3IjEEE10hipError_tT0_T1_T2_jT3_P12ihipStream_tbPNSt15iterator_traitsISJ_E10value_typeEPNSP_ISK_E10value_typeEPSL_NS1_7vsmem_tEENKUlT_SJ_SK_SL_E_clIPjSE_SF_SF_EESI_SY_SJ_SK_SL_EUlSY_E0_NS1_11comp_targetILNS1_3genE3ELNS1_11target_archE908ELNS1_3gpuE7ELNS1_3repE0EEENS1_38merge_mergepath_config_static_selectorELNS0_4arch9wavefront6targetE0EEEvSK_.has_dyn_sized_stack, 0
	.set _ZN7rocprim17ROCPRIM_400000_NS6detail17trampoline_kernelINS0_14default_configENS1_38merge_sort_block_merge_config_selectorIjNS0_10empty_typeEEEZZNS1_27merge_sort_block_merge_implIS3_N6thrust23THRUST_200600_302600_NS6detail15normal_iteratorINS9_10device_ptrIjEEEEPS5_m9comp_mod3IjEEE10hipError_tT0_T1_T2_jT3_P12ihipStream_tbPNSt15iterator_traitsISJ_E10value_typeEPNSP_ISK_E10value_typeEPSL_NS1_7vsmem_tEENKUlT_SJ_SK_SL_E_clIPjSE_SF_SF_EESI_SY_SJ_SK_SL_EUlSY_E0_NS1_11comp_targetILNS1_3genE3ELNS1_11target_archE908ELNS1_3gpuE7ELNS1_3repE0EEENS1_38merge_mergepath_config_static_selectorELNS0_4arch9wavefront6targetE0EEEvSK_.has_recursion, 0
	.set _ZN7rocprim17ROCPRIM_400000_NS6detail17trampoline_kernelINS0_14default_configENS1_38merge_sort_block_merge_config_selectorIjNS0_10empty_typeEEEZZNS1_27merge_sort_block_merge_implIS3_N6thrust23THRUST_200600_302600_NS6detail15normal_iteratorINS9_10device_ptrIjEEEEPS5_m9comp_mod3IjEEE10hipError_tT0_T1_T2_jT3_P12ihipStream_tbPNSt15iterator_traitsISJ_E10value_typeEPNSP_ISK_E10value_typeEPSL_NS1_7vsmem_tEENKUlT_SJ_SK_SL_E_clIPjSE_SF_SF_EESI_SY_SJ_SK_SL_EUlSY_E0_NS1_11comp_targetILNS1_3genE3ELNS1_11target_archE908ELNS1_3gpuE7ELNS1_3repE0EEENS1_38merge_mergepath_config_static_selectorELNS0_4arch9wavefront6targetE0EEEvSK_.has_indirect_call, 0
	.section	.AMDGPU.csdata,"",@progbits
; Kernel info:
; codeLenInByte = 0
; TotalNumSgprs: 0
; NumVgprs: 0
; ScratchSize: 0
; MemoryBound: 0
; FloatMode: 240
; IeeeMode: 1
; LDSByteSize: 0 bytes/workgroup (compile time only)
; SGPRBlocks: 0
; VGPRBlocks: 0
; NumSGPRsForWavesPerEU: 1
; NumVGPRsForWavesPerEU: 1
; Occupancy: 16
; WaveLimiterHint : 0
; COMPUTE_PGM_RSRC2:SCRATCH_EN: 0
; COMPUTE_PGM_RSRC2:USER_SGPR: 6
; COMPUTE_PGM_RSRC2:TRAP_HANDLER: 0
; COMPUTE_PGM_RSRC2:TGID_X_EN: 1
; COMPUTE_PGM_RSRC2:TGID_Y_EN: 0
; COMPUTE_PGM_RSRC2:TGID_Z_EN: 0
; COMPUTE_PGM_RSRC2:TIDIG_COMP_CNT: 0
	.section	.text._ZN7rocprim17ROCPRIM_400000_NS6detail17trampoline_kernelINS0_14default_configENS1_38merge_sort_block_merge_config_selectorIjNS0_10empty_typeEEEZZNS1_27merge_sort_block_merge_implIS3_N6thrust23THRUST_200600_302600_NS6detail15normal_iteratorINS9_10device_ptrIjEEEEPS5_m9comp_mod3IjEEE10hipError_tT0_T1_T2_jT3_P12ihipStream_tbPNSt15iterator_traitsISJ_E10value_typeEPNSP_ISK_E10value_typeEPSL_NS1_7vsmem_tEENKUlT_SJ_SK_SL_E_clIPjSE_SF_SF_EESI_SY_SJ_SK_SL_EUlSY_E0_NS1_11comp_targetILNS1_3genE2ELNS1_11target_archE906ELNS1_3gpuE6ELNS1_3repE0EEENS1_38merge_mergepath_config_static_selectorELNS0_4arch9wavefront6targetE0EEEvSK_,"axG",@progbits,_ZN7rocprim17ROCPRIM_400000_NS6detail17trampoline_kernelINS0_14default_configENS1_38merge_sort_block_merge_config_selectorIjNS0_10empty_typeEEEZZNS1_27merge_sort_block_merge_implIS3_N6thrust23THRUST_200600_302600_NS6detail15normal_iteratorINS9_10device_ptrIjEEEEPS5_m9comp_mod3IjEEE10hipError_tT0_T1_T2_jT3_P12ihipStream_tbPNSt15iterator_traitsISJ_E10value_typeEPNSP_ISK_E10value_typeEPSL_NS1_7vsmem_tEENKUlT_SJ_SK_SL_E_clIPjSE_SF_SF_EESI_SY_SJ_SK_SL_EUlSY_E0_NS1_11comp_targetILNS1_3genE2ELNS1_11target_archE906ELNS1_3gpuE6ELNS1_3repE0EEENS1_38merge_mergepath_config_static_selectorELNS0_4arch9wavefront6targetE0EEEvSK_,comdat
	.protected	_ZN7rocprim17ROCPRIM_400000_NS6detail17trampoline_kernelINS0_14default_configENS1_38merge_sort_block_merge_config_selectorIjNS0_10empty_typeEEEZZNS1_27merge_sort_block_merge_implIS3_N6thrust23THRUST_200600_302600_NS6detail15normal_iteratorINS9_10device_ptrIjEEEEPS5_m9comp_mod3IjEEE10hipError_tT0_T1_T2_jT3_P12ihipStream_tbPNSt15iterator_traitsISJ_E10value_typeEPNSP_ISK_E10value_typeEPSL_NS1_7vsmem_tEENKUlT_SJ_SK_SL_E_clIPjSE_SF_SF_EESI_SY_SJ_SK_SL_EUlSY_E0_NS1_11comp_targetILNS1_3genE2ELNS1_11target_archE906ELNS1_3gpuE6ELNS1_3repE0EEENS1_38merge_mergepath_config_static_selectorELNS0_4arch9wavefront6targetE0EEEvSK_ ; -- Begin function _ZN7rocprim17ROCPRIM_400000_NS6detail17trampoline_kernelINS0_14default_configENS1_38merge_sort_block_merge_config_selectorIjNS0_10empty_typeEEEZZNS1_27merge_sort_block_merge_implIS3_N6thrust23THRUST_200600_302600_NS6detail15normal_iteratorINS9_10device_ptrIjEEEEPS5_m9comp_mod3IjEEE10hipError_tT0_T1_T2_jT3_P12ihipStream_tbPNSt15iterator_traitsISJ_E10value_typeEPNSP_ISK_E10value_typeEPSL_NS1_7vsmem_tEENKUlT_SJ_SK_SL_E_clIPjSE_SF_SF_EESI_SY_SJ_SK_SL_EUlSY_E0_NS1_11comp_targetILNS1_3genE2ELNS1_11target_archE906ELNS1_3gpuE6ELNS1_3repE0EEENS1_38merge_mergepath_config_static_selectorELNS0_4arch9wavefront6targetE0EEEvSK_
	.globl	_ZN7rocprim17ROCPRIM_400000_NS6detail17trampoline_kernelINS0_14default_configENS1_38merge_sort_block_merge_config_selectorIjNS0_10empty_typeEEEZZNS1_27merge_sort_block_merge_implIS3_N6thrust23THRUST_200600_302600_NS6detail15normal_iteratorINS9_10device_ptrIjEEEEPS5_m9comp_mod3IjEEE10hipError_tT0_T1_T2_jT3_P12ihipStream_tbPNSt15iterator_traitsISJ_E10value_typeEPNSP_ISK_E10value_typeEPSL_NS1_7vsmem_tEENKUlT_SJ_SK_SL_E_clIPjSE_SF_SF_EESI_SY_SJ_SK_SL_EUlSY_E0_NS1_11comp_targetILNS1_3genE2ELNS1_11target_archE906ELNS1_3gpuE6ELNS1_3repE0EEENS1_38merge_mergepath_config_static_selectorELNS0_4arch9wavefront6targetE0EEEvSK_
	.p2align	8
	.type	_ZN7rocprim17ROCPRIM_400000_NS6detail17trampoline_kernelINS0_14default_configENS1_38merge_sort_block_merge_config_selectorIjNS0_10empty_typeEEEZZNS1_27merge_sort_block_merge_implIS3_N6thrust23THRUST_200600_302600_NS6detail15normal_iteratorINS9_10device_ptrIjEEEEPS5_m9comp_mod3IjEEE10hipError_tT0_T1_T2_jT3_P12ihipStream_tbPNSt15iterator_traitsISJ_E10value_typeEPNSP_ISK_E10value_typeEPSL_NS1_7vsmem_tEENKUlT_SJ_SK_SL_E_clIPjSE_SF_SF_EESI_SY_SJ_SK_SL_EUlSY_E0_NS1_11comp_targetILNS1_3genE2ELNS1_11target_archE906ELNS1_3gpuE6ELNS1_3repE0EEENS1_38merge_mergepath_config_static_selectorELNS0_4arch9wavefront6targetE0EEEvSK_,@function
_ZN7rocprim17ROCPRIM_400000_NS6detail17trampoline_kernelINS0_14default_configENS1_38merge_sort_block_merge_config_selectorIjNS0_10empty_typeEEEZZNS1_27merge_sort_block_merge_implIS3_N6thrust23THRUST_200600_302600_NS6detail15normal_iteratorINS9_10device_ptrIjEEEEPS5_m9comp_mod3IjEEE10hipError_tT0_T1_T2_jT3_P12ihipStream_tbPNSt15iterator_traitsISJ_E10value_typeEPNSP_ISK_E10value_typeEPSL_NS1_7vsmem_tEENKUlT_SJ_SK_SL_E_clIPjSE_SF_SF_EESI_SY_SJ_SK_SL_EUlSY_E0_NS1_11comp_targetILNS1_3genE2ELNS1_11target_archE906ELNS1_3gpuE6ELNS1_3repE0EEENS1_38merge_mergepath_config_static_selectorELNS0_4arch9wavefront6targetE0EEEvSK_: ; @_ZN7rocprim17ROCPRIM_400000_NS6detail17trampoline_kernelINS0_14default_configENS1_38merge_sort_block_merge_config_selectorIjNS0_10empty_typeEEEZZNS1_27merge_sort_block_merge_implIS3_N6thrust23THRUST_200600_302600_NS6detail15normal_iteratorINS9_10device_ptrIjEEEEPS5_m9comp_mod3IjEEE10hipError_tT0_T1_T2_jT3_P12ihipStream_tbPNSt15iterator_traitsISJ_E10value_typeEPNSP_ISK_E10value_typeEPSL_NS1_7vsmem_tEENKUlT_SJ_SK_SL_E_clIPjSE_SF_SF_EESI_SY_SJ_SK_SL_EUlSY_E0_NS1_11comp_targetILNS1_3genE2ELNS1_11target_archE906ELNS1_3gpuE6ELNS1_3repE0EEENS1_38merge_mergepath_config_static_selectorELNS0_4arch9wavefront6targetE0EEEvSK_
; %bb.0:
	.section	.rodata,"a",@progbits
	.p2align	6, 0x0
	.amdhsa_kernel _ZN7rocprim17ROCPRIM_400000_NS6detail17trampoline_kernelINS0_14default_configENS1_38merge_sort_block_merge_config_selectorIjNS0_10empty_typeEEEZZNS1_27merge_sort_block_merge_implIS3_N6thrust23THRUST_200600_302600_NS6detail15normal_iteratorINS9_10device_ptrIjEEEEPS5_m9comp_mod3IjEEE10hipError_tT0_T1_T2_jT3_P12ihipStream_tbPNSt15iterator_traitsISJ_E10value_typeEPNSP_ISK_E10value_typeEPSL_NS1_7vsmem_tEENKUlT_SJ_SK_SL_E_clIPjSE_SF_SF_EESI_SY_SJ_SK_SL_EUlSY_E0_NS1_11comp_targetILNS1_3genE2ELNS1_11target_archE906ELNS1_3gpuE6ELNS1_3repE0EEENS1_38merge_mergepath_config_static_selectorELNS0_4arch9wavefront6targetE0EEEvSK_
		.amdhsa_group_segment_fixed_size 0
		.amdhsa_private_segment_fixed_size 0
		.amdhsa_kernarg_size 80
		.amdhsa_user_sgpr_count 6
		.amdhsa_user_sgpr_private_segment_buffer 1
		.amdhsa_user_sgpr_dispatch_ptr 0
		.amdhsa_user_sgpr_queue_ptr 0
		.amdhsa_user_sgpr_kernarg_segment_ptr 1
		.amdhsa_user_sgpr_dispatch_id 0
		.amdhsa_user_sgpr_flat_scratch_init 0
		.amdhsa_user_sgpr_private_segment_size 0
		.amdhsa_wavefront_size32 1
		.amdhsa_uses_dynamic_stack 0
		.amdhsa_system_sgpr_private_segment_wavefront_offset 0
		.amdhsa_system_sgpr_workgroup_id_x 1
		.amdhsa_system_sgpr_workgroup_id_y 0
		.amdhsa_system_sgpr_workgroup_id_z 0
		.amdhsa_system_sgpr_workgroup_info 0
		.amdhsa_system_vgpr_workitem_id 0
		.amdhsa_next_free_vgpr 1
		.amdhsa_next_free_sgpr 1
		.amdhsa_reserve_vcc 0
		.amdhsa_reserve_flat_scratch 0
		.amdhsa_float_round_mode_32 0
		.amdhsa_float_round_mode_16_64 0
		.amdhsa_float_denorm_mode_32 3
		.amdhsa_float_denorm_mode_16_64 3
		.amdhsa_dx10_clamp 1
		.amdhsa_ieee_mode 1
		.amdhsa_fp16_overflow 0
		.amdhsa_workgroup_processor_mode 1
		.amdhsa_memory_ordered 1
		.amdhsa_forward_progress 1
		.amdhsa_shared_vgpr_count 0
		.amdhsa_exception_fp_ieee_invalid_op 0
		.amdhsa_exception_fp_denorm_src 0
		.amdhsa_exception_fp_ieee_div_zero 0
		.amdhsa_exception_fp_ieee_overflow 0
		.amdhsa_exception_fp_ieee_underflow 0
		.amdhsa_exception_fp_ieee_inexact 0
		.amdhsa_exception_int_div_zero 0
	.end_amdhsa_kernel
	.section	.text._ZN7rocprim17ROCPRIM_400000_NS6detail17trampoline_kernelINS0_14default_configENS1_38merge_sort_block_merge_config_selectorIjNS0_10empty_typeEEEZZNS1_27merge_sort_block_merge_implIS3_N6thrust23THRUST_200600_302600_NS6detail15normal_iteratorINS9_10device_ptrIjEEEEPS5_m9comp_mod3IjEEE10hipError_tT0_T1_T2_jT3_P12ihipStream_tbPNSt15iterator_traitsISJ_E10value_typeEPNSP_ISK_E10value_typeEPSL_NS1_7vsmem_tEENKUlT_SJ_SK_SL_E_clIPjSE_SF_SF_EESI_SY_SJ_SK_SL_EUlSY_E0_NS1_11comp_targetILNS1_3genE2ELNS1_11target_archE906ELNS1_3gpuE6ELNS1_3repE0EEENS1_38merge_mergepath_config_static_selectorELNS0_4arch9wavefront6targetE0EEEvSK_,"axG",@progbits,_ZN7rocprim17ROCPRIM_400000_NS6detail17trampoline_kernelINS0_14default_configENS1_38merge_sort_block_merge_config_selectorIjNS0_10empty_typeEEEZZNS1_27merge_sort_block_merge_implIS3_N6thrust23THRUST_200600_302600_NS6detail15normal_iteratorINS9_10device_ptrIjEEEEPS5_m9comp_mod3IjEEE10hipError_tT0_T1_T2_jT3_P12ihipStream_tbPNSt15iterator_traitsISJ_E10value_typeEPNSP_ISK_E10value_typeEPSL_NS1_7vsmem_tEENKUlT_SJ_SK_SL_E_clIPjSE_SF_SF_EESI_SY_SJ_SK_SL_EUlSY_E0_NS1_11comp_targetILNS1_3genE2ELNS1_11target_archE906ELNS1_3gpuE6ELNS1_3repE0EEENS1_38merge_mergepath_config_static_selectorELNS0_4arch9wavefront6targetE0EEEvSK_,comdat
.Lfunc_end829:
	.size	_ZN7rocprim17ROCPRIM_400000_NS6detail17trampoline_kernelINS0_14default_configENS1_38merge_sort_block_merge_config_selectorIjNS0_10empty_typeEEEZZNS1_27merge_sort_block_merge_implIS3_N6thrust23THRUST_200600_302600_NS6detail15normal_iteratorINS9_10device_ptrIjEEEEPS5_m9comp_mod3IjEEE10hipError_tT0_T1_T2_jT3_P12ihipStream_tbPNSt15iterator_traitsISJ_E10value_typeEPNSP_ISK_E10value_typeEPSL_NS1_7vsmem_tEENKUlT_SJ_SK_SL_E_clIPjSE_SF_SF_EESI_SY_SJ_SK_SL_EUlSY_E0_NS1_11comp_targetILNS1_3genE2ELNS1_11target_archE906ELNS1_3gpuE6ELNS1_3repE0EEENS1_38merge_mergepath_config_static_selectorELNS0_4arch9wavefront6targetE0EEEvSK_, .Lfunc_end829-_ZN7rocprim17ROCPRIM_400000_NS6detail17trampoline_kernelINS0_14default_configENS1_38merge_sort_block_merge_config_selectorIjNS0_10empty_typeEEEZZNS1_27merge_sort_block_merge_implIS3_N6thrust23THRUST_200600_302600_NS6detail15normal_iteratorINS9_10device_ptrIjEEEEPS5_m9comp_mod3IjEEE10hipError_tT0_T1_T2_jT3_P12ihipStream_tbPNSt15iterator_traitsISJ_E10value_typeEPNSP_ISK_E10value_typeEPSL_NS1_7vsmem_tEENKUlT_SJ_SK_SL_E_clIPjSE_SF_SF_EESI_SY_SJ_SK_SL_EUlSY_E0_NS1_11comp_targetILNS1_3genE2ELNS1_11target_archE906ELNS1_3gpuE6ELNS1_3repE0EEENS1_38merge_mergepath_config_static_selectorELNS0_4arch9wavefront6targetE0EEEvSK_
                                        ; -- End function
	.set _ZN7rocprim17ROCPRIM_400000_NS6detail17trampoline_kernelINS0_14default_configENS1_38merge_sort_block_merge_config_selectorIjNS0_10empty_typeEEEZZNS1_27merge_sort_block_merge_implIS3_N6thrust23THRUST_200600_302600_NS6detail15normal_iteratorINS9_10device_ptrIjEEEEPS5_m9comp_mod3IjEEE10hipError_tT0_T1_T2_jT3_P12ihipStream_tbPNSt15iterator_traitsISJ_E10value_typeEPNSP_ISK_E10value_typeEPSL_NS1_7vsmem_tEENKUlT_SJ_SK_SL_E_clIPjSE_SF_SF_EESI_SY_SJ_SK_SL_EUlSY_E0_NS1_11comp_targetILNS1_3genE2ELNS1_11target_archE906ELNS1_3gpuE6ELNS1_3repE0EEENS1_38merge_mergepath_config_static_selectorELNS0_4arch9wavefront6targetE0EEEvSK_.num_vgpr, 0
	.set _ZN7rocprim17ROCPRIM_400000_NS6detail17trampoline_kernelINS0_14default_configENS1_38merge_sort_block_merge_config_selectorIjNS0_10empty_typeEEEZZNS1_27merge_sort_block_merge_implIS3_N6thrust23THRUST_200600_302600_NS6detail15normal_iteratorINS9_10device_ptrIjEEEEPS5_m9comp_mod3IjEEE10hipError_tT0_T1_T2_jT3_P12ihipStream_tbPNSt15iterator_traitsISJ_E10value_typeEPNSP_ISK_E10value_typeEPSL_NS1_7vsmem_tEENKUlT_SJ_SK_SL_E_clIPjSE_SF_SF_EESI_SY_SJ_SK_SL_EUlSY_E0_NS1_11comp_targetILNS1_3genE2ELNS1_11target_archE906ELNS1_3gpuE6ELNS1_3repE0EEENS1_38merge_mergepath_config_static_selectorELNS0_4arch9wavefront6targetE0EEEvSK_.num_agpr, 0
	.set _ZN7rocprim17ROCPRIM_400000_NS6detail17trampoline_kernelINS0_14default_configENS1_38merge_sort_block_merge_config_selectorIjNS0_10empty_typeEEEZZNS1_27merge_sort_block_merge_implIS3_N6thrust23THRUST_200600_302600_NS6detail15normal_iteratorINS9_10device_ptrIjEEEEPS5_m9comp_mod3IjEEE10hipError_tT0_T1_T2_jT3_P12ihipStream_tbPNSt15iterator_traitsISJ_E10value_typeEPNSP_ISK_E10value_typeEPSL_NS1_7vsmem_tEENKUlT_SJ_SK_SL_E_clIPjSE_SF_SF_EESI_SY_SJ_SK_SL_EUlSY_E0_NS1_11comp_targetILNS1_3genE2ELNS1_11target_archE906ELNS1_3gpuE6ELNS1_3repE0EEENS1_38merge_mergepath_config_static_selectorELNS0_4arch9wavefront6targetE0EEEvSK_.numbered_sgpr, 0
	.set _ZN7rocprim17ROCPRIM_400000_NS6detail17trampoline_kernelINS0_14default_configENS1_38merge_sort_block_merge_config_selectorIjNS0_10empty_typeEEEZZNS1_27merge_sort_block_merge_implIS3_N6thrust23THRUST_200600_302600_NS6detail15normal_iteratorINS9_10device_ptrIjEEEEPS5_m9comp_mod3IjEEE10hipError_tT0_T1_T2_jT3_P12ihipStream_tbPNSt15iterator_traitsISJ_E10value_typeEPNSP_ISK_E10value_typeEPSL_NS1_7vsmem_tEENKUlT_SJ_SK_SL_E_clIPjSE_SF_SF_EESI_SY_SJ_SK_SL_EUlSY_E0_NS1_11comp_targetILNS1_3genE2ELNS1_11target_archE906ELNS1_3gpuE6ELNS1_3repE0EEENS1_38merge_mergepath_config_static_selectorELNS0_4arch9wavefront6targetE0EEEvSK_.num_named_barrier, 0
	.set _ZN7rocprim17ROCPRIM_400000_NS6detail17trampoline_kernelINS0_14default_configENS1_38merge_sort_block_merge_config_selectorIjNS0_10empty_typeEEEZZNS1_27merge_sort_block_merge_implIS3_N6thrust23THRUST_200600_302600_NS6detail15normal_iteratorINS9_10device_ptrIjEEEEPS5_m9comp_mod3IjEEE10hipError_tT0_T1_T2_jT3_P12ihipStream_tbPNSt15iterator_traitsISJ_E10value_typeEPNSP_ISK_E10value_typeEPSL_NS1_7vsmem_tEENKUlT_SJ_SK_SL_E_clIPjSE_SF_SF_EESI_SY_SJ_SK_SL_EUlSY_E0_NS1_11comp_targetILNS1_3genE2ELNS1_11target_archE906ELNS1_3gpuE6ELNS1_3repE0EEENS1_38merge_mergepath_config_static_selectorELNS0_4arch9wavefront6targetE0EEEvSK_.private_seg_size, 0
	.set _ZN7rocprim17ROCPRIM_400000_NS6detail17trampoline_kernelINS0_14default_configENS1_38merge_sort_block_merge_config_selectorIjNS0_10empty_typeEEEZZNS1_27merge_sort_block_merge_implIS3_N6thrust23THRUST_200600_302600_NS6detail15normal_iteratorINS9_10device_ptrIjEEEEPS5_m9comp_mod3IjEEE10hipError_tT0_T1_T2_jT3_P12ihipStream_tbPNSt15iterator_traitsISJ_E10value_typeEPNSP_ISK_E10value_typeEPSL_NS1_7vsmem_tEENKUlT_SJ_SK_SL_E_clIPjSE_SF_SF_EESI_SY_SJ_SK_SL_EUlSY_E0_NS1_11comp_targetILNS1_3genE2ELNS1_11target_archE906ELNS1_3gpuE6ELNS1_3repE0EEENS1_38merge_mergepath_config_static_selectorELNS0_4arch9wavefront6targetE0EEEvSK_.uses_vcc, 0
	.set _ZN7rocprim17ROCPRIM_400000_NS6detail17trampoline_kernelINS0_14default_configENS1_38merge_sort_block_merge_config_selectorIjNS0_10empty_typeEEEZZNS1_27merge_sort_block_merge_implIS3_N6thrust23THRUST_200600_302600_NS6detail15normal_iteratorINS9_10device_ptrIjEEEEPS5_m9comp_mod3IjEEE10hipError_tT0_T1_T2_jT3_P12ihipStream_tbPNSt15iterator_traitsISJ_E10value_typeEPNSP_ISK_E10value_typeEPSL_NS1_7vsmem_tEENKUlT_SJ_SK_SL_E_clIPjSE_SF_SF_EESI_SY_SJ_SK_SL_EUlSY_E0_NS1_11comp_targetILNS1_3genE2ELNS1_11target_archE906ELNS1_3gpuE6ELNS1_3repE0EEENS1_38merge_mergepath_config_static_selectorELNS0_4arch9wavefront6targetE0EEEvSK_.uses_flat_scratch, 0
	.set _ZN7rocprim17ROCPRIM_400000_NS6detail17trampoline_kernelINS0_14default_configENS1_38merge_sort_block_merge_config_selectorIjNS0_10empty_typeEEEZZNS1_27merge_sort_block_merge_implIS3_N6thrust23THRUST_200600_302600_NS6detail15normal_iteratorINS9_10device_ptrIjEEEEPS5_m9comp_mod3IjEEE10hipError_tT0_T1_T2_jT3_P12ihipStream_tbPNSt15iterator_traitsISJ_E10value_typeEPNSP_ISK_E10value_typeEPSL_NS1_7vsmem_tEENKUlT_SJ_SK_SL_E_clIPjSE_SF_SF_EESI_SY_SJ_SK_SL_EUlSY_E0_NS1_11comp_targetILNS1_3genE2ELNS1_11target_archE906ELNS1_3gpuE6ELNS1_3repE0EEENS1_38merge_mergepath_config_static_selectorELNS0_4arch9wavefront6targetE0EEEvSK_.has_dyn_sized_stack, 0
	.set _ZN7rocprim17ROCPRIM_400000_NS6detail17trampoline_kernelINS0_14default_configENS1_38merge_sort_block_merge_config_selectorIjNS0_10empty_typeEEEZZNS1_27merge_sort_block_merge_implIS3_N6thrust23THRUST_200600_302600_NS6detail15normal_iteratorINS9_10device_ptrIjEEEEPS5_m9comp_mod3IjEEE10hipError_tT0_T1_T2_jT3_P12ihipStream_tbPNSt15iterator_traitsISJ_E10value_typeEPNSP_ISK_E10value_typeEPSL_NS1_7vsmem_tEENKUlT_SJ_SK_SL_E_clIPjSE_SF_SF_EESI_SY_SJ_SK_SL_EUlSY_E0_NS1_11comp_targetILNS1_3genE2ELNS1_11target_archE906ELNS1_3gpuE6ELNS1_3repE0EEENS1_38merge_mergepath_config_static_selectorELNS0_4arch9wavefront6targetE0EEEvSK_.has_recursion, 0
	.set _ZN7rocprim17ROCPRIM_400000_NS6detail17trampoline_kernelINS0_14default_configENS1_38merge_sort_block_merge_config_selectorIjNS0_10empty_typeEEEZZNS1_27merge_sort_block_merge_implIS3_N6thrust23THRUST_200600_302600_NS6detail15normal_iteratorINS9_10device_ptrIjEEEEPS5_m9comp_mod3IjEEE10hipError_tT0_T1_T2_jT3_P12ihipStream_tbPNSt15iterator_traitsISJ_E10value_typeEPNSP_ISK_E10value_typeEPSL_NS1_7vsmem_tEENKUlT_SJ_SK_SL_E_clIPjSE_SF_SF_EESI_SY_SJ_SK_SL_EUlSY_E0_NS1_11comp_targetILNS1_3genE2ELNS1_11target_archE906ELNS1_3gpuE6ELNS1_3repE0EEENS1_38merge_mergepath_config_static_selectorELNS0_4arch9wavefront6targetE0EEEvSK_.has_indirect_call, 0
	.section	.AMDGPU.csdata,"",@progbits
; Kernel info:
; codeLenInByte = 0
; TotalNumSgprs: 0
; NumVgprs: 0
; ScratchSize: 0
; MemoryBound: 0
; FloatMode: 240
; IeeeMode: 1
; LDSByteSize: 0 bytes/workgroup (compile time only)
; SGPRBlocks: 0
; VGPRBlocks: 0
; NumSGPRsForWavesPerEU: 1
; NumVGPRsForWavesPerEU: 1
; Occupancy: 16
; WaveLimiterHint : 0
; COMPUTE_PGM_RSRC2:SCRATCH_EN: 0
; COMPUTE_PGM_RSRC2:USER_SGPR: 6
; COMPUTE_PGM_RSRC2:TRAP_HANDLER: 0
; COMPUTE_PGM_RSRC2:TGID_X_EN: 1
; COMPUTE_PGM_RSRC2:TGID_Y_EN: 0
; COMPUTE_PGM_RSRC2:TGID_Z_EN: 0
; COMPUTE_PGM_RSRC2:TIDIG_COMP_CNT: 0
	.section	.text._ZN7rocprim17ROCPRIM_400000_NS6detail17trampoline_kernelINS0_14default_configENS1_38merge_sort_block_merge_config_selectorIjNS0_10empty_typeEEEZZNS1_27merge_sort_block_merge_implIS3_N6thrust23THRUST_200600_302600_NS6detail15normal_iteratorINS9_10device_ptrIjEEEEPS5_m9comp_mod3IjEEE10hipError_tT0_T1_T2_jT3_P12ihipStream_tbPNSt15iterator_traitsISJ_E10value_typeEPNSP_ISK_E10value_typeEPSL_NS1_7vsmem_tEENKUlT_SJ_SK_SL_E_clIPjSE_SF_SF_EESI_SY_SJ_SK_SL_EUlSY_E0_NS1_11comp_targetILNS1_3genE9ELNS1_11target_archE1100ELNS1_3gpuE3ELNS1_3repE0EEENS1_38merge_mergepath_config_static_selectorELNS0_4arch9wavefront6targetE0EEEvSK_,"axG",@progbits,_ZN7rocprim17ROCPRIM_400000_NS6detail17trampoline_kernelINS0_14default_configENS1_38merge_sort_block_merge_config_selectorIjNS0_10empty_typeEEEZZNS1_27merge_sort_block_merge_implIS3_N6thrust23THRUST_200600_302600_NS6detail15normal_iteratorINS9_10device_ptrIjEEEEPS5_m9comp_mod3IjEEE10hipError_tT0_T1_T2_jT3_P12ihipStream_tbPNSt15iterator_traitsISJ_E10value_typeEPNSP_ISK_E10value_typeEPSL_NS1_7vsmem_tEENKUlT_SJ_SK_SL_E_clIPjSE_SF_SF_EESI_SY_SJ_SK_SL_EUlSY_E0_NS1_11comp_targetILNS1_3genE9ELNS1_11target_archE1100ELNS1_3gpuE3ELNS1_3repE0EEENS1_38merge_mergepath_config_static_selectorELNS0_4arch9wavefront6targetE0EEEvSK_,comdat
	.protected	_ZN7rocprim17ROCPRIM_400000_NS6detail17trampoline_kernelINS0_14default_configENS1_38merge_sort_block_merge_config_selectorIjNS0_10empty_typeEEEZZNS1_27merge_sort_block_merge_implIS3_N6thrust23THRUST_200600_302600_NS6detail15normal_iteratorINS9_10device_ptrIjEEEEPS5_m9comp_mod3IjEEE10hipError_tT0_T1_T2_jT3_P12ihipStream_tbPNSt15iterator_traitsISJ_E10value_typeEPNSP_ISK_E10value_typeEPSL_NS1_7vsmem_tEENKUlT_SJ_SK_SL_E_clIPjSE_SF_SF_EESI_SY_SJ_SK_SL_EUlSY_E0_NS1_11comp_targetILNS1_3genE9ELNS1_11target_archE1100ELNS1_3gpuE3ELNS1_3repE0EEENS1_38merge_mergepath_config_static_selectorELNS0_4arch9wavefront6targetE0EEEvSK_ ; -- Begin function _ZN7rocprim17ROCPRIM_400000_NS6detail17trampoline_kernelINS0_14default_configENS1_38merge_sort_block_merge_config_selectorIjNS0_10empty_typeEEEZZNS1_27merge_sort_block_merge_implIS3_N6thrust23THRUST_200600_302600_NS6detail15normal_iteratorINS9_10device_ptrIjEEEEPS5_m9comp_mod3IjEEE10hipError_tT0_T1_T2_jT3_P12ihipStream_tbPNSt15iterator_traitsISJ_E10value_typeEPNSP_ISK_E10value_typeEPSL_NS1_7vsmem_tEENKUlT_SJ_SK_SL_E_clIPjSE_SF_SF_EESI_SY_SJ_SK_SL_EUlSY_E0_NS1_11comp_targetILNS1_3genE9ELNS1_11target_archE1100ELNS1_3gpuE3ELNS1_3repE0EEENS1_38merge_mergepath_config_static_selectorELNS0_4arch9wavefront6targetE0EEEvSK_
	.globl	_ZN7rocprim17ROCPRIM_400000_NS6detail17trampoline_kernelINS0_14default_configENS1_38merge_sort_block_merge_config_selectorIjNS0_10empty_typeEEEZZNS1_27merge_sort_block_merge_implIS3_N6thrust23THRUST_200600_302600_NS6detail15normal_iteratorINS9_10device_ptrIjEEEEPS5_m9comp_mod3IjEEE10hipError_tT0_T1_T2_jT3_P12ihipStream_tbPNSt15iterator_traitsISJ_E10value_typeEPNSP_ISK_E10value_typeEPSL_NS1_7vsmem_tEENKUlT_SJ_SK_SL_E_clIPjSE_SF_SF_EESI_SY_SJ_SK_SL_EUlSY_E0_NS1_11comp_targetILNS1_3genE9ELNS1_11target_archE1100ELNS1_3gpuE3ELNS1_3repE0EEENS1_38merge_mergepath_config_static_selectorELNS0_4arch9wavefront6targetE0EEEvSK_
	.p2align	8
	.type	_ZN7rocprim17ROCPRIM_400000_NS6detail17trampoline_kernelINS0_14default_configENS1_38merge_sort_block_merge_config_selectorIjNS0_10empty_typeEEEZZNS1_27merge_sort_block_merge_implIS3_N6thrust23THRUST_200600_302600_NS6detail15normal_iteratorINS9_10device_ptrIjEEEEPS5_m9comp_mod3IjEEE10hipError_tT0_T1_T2_jT3_P12ihipStream_tbPNSt15iterator_traitsISJ_E10value_typeEPNSP_ISK_E10value_typeEPSL_NS1_7vsmem_tEENKUlT_SJ_SK_SL_E_clIPjSE_SF_SF_EESI_SY_SJ_SK_SL_EUlSY_E0_NS1_11comp_targetILNS1_3genE9ELNS1_11target_archE1100ELNS1_3gpuE3ELNS1_3repE0EEENS1_38merge_mergepath_config_static_selectorELNS0_4arch9wavefront6targetE0EEEvSK_,@function
_ZN7rocprim17ROCPRIM_400000_NS6detail17trampoline_kernelINS0_14default_configENS1_38merge_sort_block_merge_config_selectorIjNS0_10empty_typeEEEZZNS1_27merge_sort_block_merge_implIS3_N6thrust23THRUST_200600_302600_NS6detail15normal_iteratorINS9_10device_ptrIjEEEEPS5_m9comp_mod3IjEEE10hipError_tT0_T1_T2_jT3_P12ihipStream_tbPNSt15iterator_traitsISJ_E10value_typeEPNSP_ISK_E10value_typeEPSL_NS1_7vsmem_tEENKUlT_SJ_SK_SL_E_clIPjSE_SF_SF_EESI_SY_SJ_SK_SL_EUlSY_E0_NS1_11comp_targetILNS1_3genE9ELNS1_11target_archE1100ELNS1_3gpuE3ELNS1_3repE0EEENS1_38merge_mergepath_config_static_selectorELNS0_4arch9wavefront6targetE0EEEvSK_: ; @_ZN7rocprim17ROCPRIM_400000_NS6detail17trampoline_kernelINS0_14default_configENS1_38merge_sort_block_merge_config_selectorIjNS0_10empty_typeEEEZZNS1_27merge_sort_block_merge_implIS3_N6thrust23THRUST_200600_302600_NS6detail15normal_iteratorINS9_10device_ptrIjEEEEPS5_m9comp_mod3IjEEE10hipError_tT0_T1_T2_jT3_P12ihipStream_tbPNSt15iterator_traitsISJ_E10value_typeEPNSP_ISK_E10value_typeEPSL_NS1_7vsmem_tEENKUlT_SJ_SK_SL_E_clIPjSE_SF_SF_EESI_SY_SJ_SK_SL_EUlSY_E0_NS1_11comp_targetILNS1_3genE9ELNS1_11target_archE1100ELNS1_3gpuE3ELNS1_3repE0EEENS1_38merge_mergepath_config_static_selectorELNS0_4arch9wavefront6targetE0EEEvSK_
; %bb.0:
	.section	.rodata,"a",@progbits
	.p2align	6, 0x0
	.amdhsa_kernel _ZN7rocprim17ROCPRIM_400000_NS6detail17trampoline_kernelINS0_14default_configENS1_38merge_sort_block_merge_config_selectorIjNS0_10empty_typeEEEZZNS1_27merge_sort_block_merge_implIS3_N6thrust23THRUST_200600_302600_NS6detail15normal_iteratorINS9_10device_ptrIjEEEEPS5_m9comp_mod3IjEEE10hipError_tT0_T1_T2_jT3_P12ihipStream_tbPNSt15iterator_traitsISJ_E10value_typeEPNSP_ISK_E10value_typeEPSL_NS1_7vsmem_tEENKUlT_SJ_SK_SL_E_clIPjSE_SF_SF_EESI_SY_SJ_SK_SL_EUlSY_E0_NS1_11comp_targetILNS1_3genE9ELNS1_11target_archE1100ELNS1_3gpuE3ELNS1_3repE0EEENS1_38merge_mergepath_config_static_selectorELNS0_4arch9wavefront6targetE0EEEvSK_
		.amdhsa_group_segment_fixed_size 0
		.amdhsa_private_segment_fixed_size 0
		.amdhsa_kernarg_size 80
		.amdhsa_user_sgpr_count 6
		.amdhsa_user_sgpr_private_segment_buffer 1
		.amdhsa_user_sgpr_dispatch_ptr 0
		.amdhsa_user_sgpr_queue_ptr 0
		.amdhsa_user_sgpr_kernarg_segment_ptr 1
		.amdhsa_user_sgpr_dispatch_id 0
		.amdhsa_user_sgpr_flat_scratch_init 0
		.amdhsa_user_sgpr_private_segment_size 0
		.amdhsa_wavefront_size32 1
		.amdhsa_uses_dynamic_stack 0
		.amdhsa_system_sgpr_private_segment_wavefront_offset 0
		.amdhsa_system_sgpr_workgroup_id_x 1
		.amdhsa_system_sgpr_workgroup_id_y 0
		.amdhsa_system_sgpr_workgroup_id_z 0
		.amdhsa_system_sgpr_workgroup_info 0
		.amdhsa_system_vgpr_workitem_id 0
		.amdhsa_next_free_vgpr 1
		.amdhsa_next_free_sgpr 1
		.amdhsa_reserve_vcc 0
		.amdhsa_reserve_flat_scratch 0
		.amdhsa_float_round_mode_32 0
		.amdhsa_float_round_mode_16_64 0
		.amdhsa_float_denorm_mode_32 3
		.amdhsa_float_denorm_mode_16_64 3
		.amdhsa_dx10_clamp 1
		.amdhsa_ieee_mode 1
		.amdhsa_fp16_overflow 0
		.amdhsa_workgroup_processor_mode 1
		.amdhsa_memory_ordered 1
		.amdhsa_forward_progress 1
		.amdhsa_shared_vgpr_count 0
		.amdhsa_exception_fp_ieee_invalid_op 0
		.amdhsa_exception_fp_denorm_src 0
		.amdhsa_exception_fp_ieee_div_zero 0
		.amdhsa_exception_fp_ieee_overflow 0
		.amdhsa_exception_fp_ieee_underflow 0
		.amdhsa_exception_fp_ieee_inexact 0
		.amdhsa_exception_int_div_zero 0
	.end_amdhsa_kernel
	.section	.text._ZN7rocprim17ROCPRIM_400000_NS6detail17trampoline_kernelINS0_14default_configENS1_38merge_sort_block_merge_config_selectorIjNS0_10empty_typeEEEZZNS1_27merge_sort_block_merge_implIS3_N6thrust23THRUST_200600_302600_NS6detail15normal_iteratorINS9_10device_ptrIjEEEEPS5_m9comp_mod3IjEEE10hipError_tT0_T1_T2_jT3_P12ihipStream_tbPNSt15iterator_traitsISJ_E10value_typeEPNSP_ISK_E10value_typeEPSL_NS1_7vsmem_tEENKUlT_SJ_SK_SL_E_clIPjSE_SF_SF_EESI_SY_SJ_SK_SL_EUlSY_E0_NS1_11comp_targetILNS1_3genE9ELNS1_11target_archE1100ELNS1_3gpuE3ELNS1_3repE0EEENS1_38merge_mergepath_config_static_selectorELNS0_4arch9wavefront6targetE0EEEvSK_,"axG",@progbits,_ZN7rocprim17ROCPRIM_400000_NS6detail17trampoline_kernelINS0_14default_configENS1_38merge_sort_block_merge_config_selectorIjNS0_10empty_typeEEEZZNS1_27merge_sort_block_merge_implIS3_N6thrust23THRUST_200600_302600_NS6detail15normal_iteratorINS9_10device_ptrIjEEEEPS5_m9comp_mod3IjEEE10hipError_tT0_T1_T2_jT3_P12ihipStream_tbPNSt15iterator_traitsISJ_E10value_typeEPNSP_ISK_E10value_typeEPSL_NS1_7vsmem_tEENKUlT_SJ_SK_SL_E_clIPjSE_SF_SF_EESI_SY_SJ_SK_SL_EUlSY_E0_NS1_11comp_targetILNS1_3genE9ELNS1_11target_archE1100ELNS1_3gpuE3ELNS1_3repE0EEENS1_38merge_mergepath_config_static_selectorELNS0_4arch9wavefront6targetE0EEEvSK_,comdat
.Lfunc_end830:
	.size	_ZN7rocprim17ROCPRIM_400000_NS6detail17trampoline_kernelINS0_14default_configENS1_38merge_sort_block_merge_config_selectorIjNS0_10empty_typeEEEZZNS1_27merge_sort_block_merge_implIS3_N6thrust23THRUST_200600_302600_NS6detail15normal_iteratorINS9_10device_ptrIjEEEEPS5_m9comp_mod3IjEEE10hipError_tT0_T1_T2_jT3_P12ihipStream_tbPNSt15iterator_traitsISJ_E10value_typeEPNSP_ISK_E10value_typeEPSL_NS1_7vsmem_tEENKUlT_SJ_SK_SL_E_clIPjSE_SF_SF_EESI_SY_SJ_SK_SL_EUlSY_E0_NS1_11comp_targetILNS1_3genE9ELNS1_11target_archE1100ELNS1_3gpuE3ELNS1_3repE0EEENS1_38merge_mergepath_config_static_selectorELNS0_4arch9wavefront6targetE0EEEvSK_, .Lfunc_end830-_ZN7rocprim17ROCPRIM_400000_NS6detail17trampoline_kernelINS0_14default_configENS1_38merge_sort_block_merge_config_selectorIjNS0_10empty_typeEEEZZNS1_27merge_sort_block_merge_implIS3_N6thrust23THRUST_200600_302600_NS6detail15normal_iteratorINS9_10device_ptrIjEEEEPS5_m9comp_mod3IjEEE10hipError_tT0_T1_T2_jT3_P12ihipStream_tbPNSt15iterator_traitsISJ_E10value_typeEPNSP_ISK_E10value_typeEPSL_NS1_7vsmem_tEENKUlT_SJ_SK_SL_E_clIPjSE_SF_SF_EESI_SY_SJ_SK_SL_EUlSY_E0_NS1_11comp_targetILNS1_3genE9ELNS1_11target_archE1100ELNS1_3gpuE3ELNS1_3repE0EEENS1_38merge_mergepath_config_static_selectorELNS0_4arch9wavefront6targetE0EEEvSK_
                                        ; -- End function
	.set _ZN7rocprim17ROCPRIM_400000_NS6detail17trampoline_kernelINS0_14default_configENS1_38merge_sort_block_merge_config_selectorIjNS0_10empty_typeEEEZZNS1_27merge_sort_block_merge_implIS3_N6thrust23THRUST_200600_302600_NS6detail15normal_iteratorINS9_10device_ptrIjEEEEPS5_m9comp_mod3IjEEE10hipError_tT0_T1_T2_jT3_P12ihipStream_tbPNSt15iterator_traitsISJ_E10value_typeEPNSP_ISK_E10value_typeEPSL_NS1_7vsmem_tEENKUlT_SJ_SK_SL_E_clIPjSE_SF_SF_EESI_SY_SJ_SK_SL_EUlSY_E0_NS1_11comp_targetILNS1_3genE9ELNS1_11target_archE1100ELNS1_3gpuE3ELNS1_3repE0EEENS1_38merge_mergepath_config_static_selectorELNS0_4arch9wavefront6targetE0EEEvSK_.num_vgpr, 0
	.set _ZN7rocprim17ROCPRIM_400000_NS6detail17trampoline_kernelINS0_14default_configENS1_38merge_sort_block_merge_config_selectorIjNS0_10empty_typeEEEZZNS1_27merge_sort_block_merge_implIS3_N6thrust23THRUST_200600_302600_NS6detail15normal_iteratorINS9_10device_ptrIjEEEEPS5_m9comp_mod3IjEEE10hipError_tT0_T1_T2_jT3_P12ihipStream_tbPNSt15iterator_traitsISJ_E10value_typeEPNSP_ISK_E10value_typeEPSL_NS1_7vsmem_tEENKUlT_SJ_SK_SL_E_clIPjSE_SF_SF_EESI_SY_SJ_SK_SL_EUlSY_E0_NS1_11comp_targetILNS1_3genE9ELNS1_11target_archE1100ELNS1_3gpuE3ELNS1_3repE0EEENS1_38merge_mergepath_config_static_selectorELNS0_4arch9wavefront6targetE0EEEvSK_.num_agpr, 0
	.set _ZN7rocprim17ROCPRIM_400000_NS6detail17trampoline_kernelINS0_14default_configENS1_38merge_sort_block_merge_config_selectorIjNS0_10empty_typeEEEZZNS1_27merge_sort_block_merge_implIS3_N6thrust23THRUST_200600_302600_NS6detail15normal_iteratorINS9_10device_ptrIjEEEEPS5_m9comp_mod3IjEEE10hipError_tT0_T1_T2_jT3_P12ihipStream_tbPNSt15iterator_traitsISJ_E10value_typeEPNSP_ISK_E10value_typeEPSL_NS1_7vsmem_tEENKUlT_SJ_SK_SL_E_clIPjSE_SF_SF_EESI_SY_SJ_SK_SL_EUlSY_E0_NS1_11comp_targetILNS1_3genE9ELNS1_11target_archE1100ELNS1_3gpuE3ELNS1_3repE0EEENS1_38merge_mergepath_config_static_selectorELNS0_4arch9wavefront6targetE0EEEvSK_.numbered_sgpr, 0
	.set _ZN7rocprim17ROCPRIM_400000_NS6detail17trampoline_kernelINS0_14default_configENS1_38merge_sort_block_merge_config_selectorIjNS0_10empty_typeEEEZZNS1_27merge_sort_block_merge_implIS3_N6thrust23THRUST_200600_302600_NS6detail15normal_iteratorINS9_10device_ptrIjEEEEPS5_m9comp_mod3IjEEE10hipError_tT0_T1_T2_jT3_P12ihipStream_tbPNSt15iterator_traitsISJ_E10value_typeEPNSP_ISK_E10value_typeEPSL_NS1_7vsmem_tEENKUlT_SJ_SK_SL_E_clIPjSE_SF_SF_EESI_SY_SJ_SK_SL_EUlSY_E0_NS1_11comp_targetILNS1_3genE9ELNS1_11target_archE1100ELNS1_3gpuE3ELNS1_3repE0EEENS1_38merge_mergepath_config_static_selectorELNS0_4arch9wavefront6targetE0EEEvSK_.num_named_barrier, 0
	.set _ZN7rocprim17ROCPRIM_400000_NS6detail17trampoline_kernelINS0_14default_configENS1_38merge_sort_block_merge_config_selectorIjNS0_10empty_typeEEEZZNS1_27merge_sort_block_merge_implIS3_N6thrust23THRUST_200600_302600_NS6detail15normal_iteratorINS9_10device_ptrIjEEEEPS5_m9comp_mod3IjEEE10hipError_tT0_T1_T2_jT3_P12ihipStream_tbPNSt15iterator_traitsISJ_E10value_typeEPNSP_ISK_E10value_typeEPSL_NS1_7vsmem_tEENKUlT_SJ_SK_SL_E_clIPjSE_SF_SF_EESI_SY_SJ_SK_SL_EUlSY_E0_NS1_11comp_targetILNS1_3genE9ELNS1_11target_archE1100ELNS1_3gpuE3ELNS1_3repE0EEENS1_38merge_mergepath_config_static_selectorELNS0_4arch9wavefront6targetE0EEEvSK_.private_seg_size, 0
	.set _ZN7rocprim17ROCPRIM_400000_NS6detail17trampoline_kernelINS0_14default_configENS1_38merge_sort_block_merge_config_selectorIjNS0_10empty_typeEEEZZNS1_27merge_sort_block_merge_implIS3_N6thrust23THRUST_200600_302600_NS6detail15normal_iteratorINS9_10device_ptrIjEEEEPS5_m9comp_mod3IjEEE10hipError_tT0_T1_T2_jT3_P12ihipStream_tbPNSt15iterator_traitsISJ_E10value_typeEPNSP_ISK_E10value_typeEPSL_NS1_7vsmem_tEENKUlT_SJ_SK_SL_E_clIPjSE_SF_SF_EESI_SY_SJ_SK_SL_EUlSY_E0_NS1_11comp_targetILNS1_3genE9ELNS1_11target_archE1100ELNS1_3gpuE3ELNS1_3repE0EEENS1_38merge_mergepath_config_static_selectorELNS0_4arch9wavefront6targetE0EEEvSK_.uses_vcc, 0
	.set _ZN7rocprim17ROCPRIM_400000_NS6detail17trampoline_kernelINS0_14default_configENS1_38merge_sort_block_merge_config_selectorIjNS0_10empty_typeEEEZZNS1_27merge_sort_block_merge_implIS3_N6thrust23THRUST_200600_302600_NS6detail15normal_iteratorINS9_10device_ptrIjEEEEPS5_m9comp_mod3IjEEE10hipError_tT0_T1_T2_jT3_P12ihipStream_tbPNSt15iterator_traitsISJ_E10value_typeEPNSP_ISK_E10value_typeEPSL_NS1_7vsmem_tEENKUlT_SJ_SK_SL_E_clIPjSE_SF_SF_EESI_SY_SJ_SK_SL_EUlSY_E0_NS1_11comp_targetILNS1_3genE9ELNS1_11target_archE1100ELNS1_3gpuE3ELNS1_3repE0EEENS1_38merge_mergepath_config_static_selectorELNS0_4arch9wavefront6targetE0EEEvSK_.uses_flat_scratch, 0
	.set _ZN7rocprim17ROCPRIM_400000_NS6detail17trampoline_kernelINS0_14default_configENS1_38merge_sort_block_merge_config_selectorIjNS0_10empty_typeEEEZZNS1_27merge_sort_block_merge_implIS3_N6thrust23THRUST_200600_302600_NS6detail15normal_iteratorINS9_10device_ptrIjEEEEPS5_m9comp_mod3IjEEE10hipError_tT0_T1_T2_jT3_P12ihipStream_tbPNSt15iterator_traitsISJ_E10value_typeEPNSP_ISK_E10value_typeEPSL_NS1_7vsmem_tEENKUlT_SJ_SK_SL_E_clIPjSE_SF_SF_EESI_SY_SJ_SK_SL_EUlSY_E0_NS1_11comp_targetILNS1_3genE9ELNS1_11target_archE1100ELNS1_3gpuE3ELNS1_3repE0EEENS1_38merge_mergepath_config_static_selectorELNS0_4arch9wavefront6targetE0EEEvSK_.has_dyn_sized_stack, 0
	.set _ZN7rocprim17ROCPRIM_400000_NS6detail17trampoline_kernelINS0_14default_configENS1_38merge_sort_block_merge_config_selectorIjNS0_10empty_typeEEEZZNS1_27merge_sort_block_merge_implIS3_N6thrust23THRUST_200600_302600_NS6detail15normal_iteratorINS9_10device_ptrIjEEEEPS5_m9comp_mod3IjEEE10hipError_tT0_T1_T2_jT3_P12ihipStream_tbPNSt15iterator_traitsISJ_E10value_typeEPNSP_ISK_E10value_typeEPSL_NS1_7vsmem_tEENKUlT_SJ_SK_SL_E_clIPjSE_SF_SF_EESI_SY_SJ_SK_SL_EUlSY_E0_NS1_11comp_targetILNS1_3genE9ELNS1_11target_archE1100ELNS1_3gpuE3ELNS1_3repE0EEENS1_38merge_mergepath_config_static_selectorELNS0_4arch9wavefront6targetE0EEEvSK_.has_recursion, 0
	.set _ZN7rocprim17ROCPRIM_400000_NS6detail17trampoline_kernelINS0_14default_configENS1_38merge_sort_block_merge_config_selectorIjNS0_10empty_typeEEEZZNS1_27merge_sort_block_merge_implIS3_N6thrust23THRUST_200600_302600_NS6detail15normal_iteratorINS9_10device_ptrIjEEEEPS5_m9comp_mod3IjEEE10hipError_tT0_T1_T2_jT3_P12ihipStream_tbPNSt15iterator_traitsISJ_E10value_typeEPNSP_ISK_E10value_typeEPSL_NS1_7vsmem_tEENKUlT_SJ_SK_SL_E_clIPjSE_SF_SF_EESI_SY_SJ_SK_SL_EUlSY_E0_NS1_11comp_targetILNS1_3genE9ELNS1_11target_archE1100ELNS1_3gpuE3ELNS1_3repE0EEENS1_38merge_mergepath_config_static_selectorELNS0_4arch9wavefront6targetE0EEEvSK_.has_indirect_call, 0
	.section	.AMDGPU.csdata,"",@progbits
; Kernel info:
; codeLenInByte = 0
; TotalNumSgprs: 0
; NumVgprs: 0
; ScratchSize: 0
; MemoryBound: 0
; FloatMode: 240
; IeeeMode: 1
; LDSByteSize: 0 bytes/workgroup (compile time only)
; SGPRBlocks: 0
; VGPRBlocks: 0
; NumSGPRsForWavesPerEU: 1
; NumVGPRsForWavesPerEU: 1
; Occupancy: 16
; WaveLimiterHint : 0
; COMPUTE_PGM_RSRC2:SCRATCH_EN: 0
; COMPUTE_PGM_RSRC2:USER_SGPR: 6
; COMPUTE_PGM_RSRC2:TRAP_HANDLER: 0
; COMPUTE_PGM_RSRC2:TGID_X_EN: 1
; COMPUTE_PGM_RSRC2:TGID_Y_EN: 0
; COMPUTE_PGM_RSRC2:TGID_Z_EN: 0
; COMPUTE_PGM_RSRC2:TIDIG_COMP_CNT: 0
	.section	.text._ZN7rocprim17ROCPRIM_400000_NS6detail17trampoline_kernelINS0_14default_configENS1_38merge_sort_block_merge_config_selectorIjNS0_10empty_typeEEEZZNS1_27merge_sort_block_merge_implIS3_N6thrust23THRUST_200600_302600_NS6detail15normal_iteratorINS9_10device_ptrIjEEEEPS5_m9comp_mod3IjEEE10hipError_tT0_T1_T2_jT3_P12ihipStream_tbPNSt15iterator_traitsISJ_E10value_typeEPNSP_ISK_E10value_typeEPSL_NS1_7vsmem_tEENKUlT_SJ_SK_SL_E_clIPjSE_SF_SF_EESI_SY_SJ_SK_SL_EUlSY_E0_NS1_11comp_targetILNS1_3genE8ELNS1_11target_archE1030ELNS1_3gpuE2ELNS1_3repE0EEENS1_38merge_mergepath_config_static_selectorELNS0_4arch9wavefront6targetE0EEEvSK_,"axG",@progbits,_ZN7rocprim17ROCPRIM_400000_NS6detail17trampoline_kernelINS0_14default_configENS1_38merge_sort_block_merge_config_selectorIjNS0_10empty_typeEEEZZNS1_27merge_sort_block_merge_implIS3_N6thrust23THRUST_200600_302600_NS6detail15normal_iteratorINS9_10device_ptrIjEEEEPS5_m9comp_mod3IjEEE10hipError_tT0_T1_T2_jT3_P12ihipStream_tbPNSt15iterator_traitsISJ_E10value_typeEPNSP_ISK_E10value_typeEPSL_NS1_7vsmem_tEENKUlT_SJ_SK_SL_E_clIPjSE_SF_SF_EESI_SY_SJ_SK_SL_EUlSY_E0_NS1_11comp_targetILNS1_3genE8ELNS1_11target_archE1030ELNS1_3gpuE2ELNS1_3repE0EEENS1_38merge_mergepath_config_static_selectorELNS0_4arch9wavefront6targetE0EEEvSK_,comdat
	.protected	_ZN7rocprim17ROCPRIM_400000_NS6detail17trampoline_kernelINS0_14default_configENS1_38merge_sort_block_merge_config_selectorIjNS0_10empty_typeEEEZZNS1_27merge_sort_block_merge_implIS3_N6thrust23THRUST_200600_302600_NS6detail15normal_iteratorINS9_10device_ptrIjEEEEPS5_m9comp_mod3IjEEE10hipError_tT0_T1_T2_jT3_P12ihipStream_tbPNSt15iterator_traitsISJ_E10value_typeEPNSP_ISK_E10value_typeEPSL_NS1_7vsmem_tEENKUlT_SJ_SK_SL_E_clIPjSE_SF_SF_EESI_SY_SJ_SK_SL_EUlSY_E0_NS1_11comp_targetILNS1_3genE8ELNS1_11target_archE1030ELNS1_3gpuE2ELNS1_3repE0EEENS1_38merge_mergepath_config_static_selectorELNS0_4arch9wavefront6targetE0EEEvSK_ ; -- Begin function _ZN7rocprim17ROCPRIM_400000_NS6detail17trampoline_kernelINS0_14default_configENS1_38merge_sort_block_merge_config_selectorIjNS0_10empty_typeEEEZZNS1_27merge_sort_block_merge_implIS3_N6thrust23THRUST_200600_302600_NS6detail15normal_iteratorINS9_10device_ptrIjEEEEPS5_m9comp_mod3IjEEE10hipError_tT0_T1_T2_jT3_P12ihipStream_tbPNSt15iterator_traitsISJ_E10value_typeEPNSP_ISK_E10value_typeEPSL_NS1_7vsmem_tEENKUlT_SJ_SK_SL_E_clIPjSE_SF_SF_EESI_SY_SJ_SK_SL_EUlSY_E0_NS1_11comp_targetILNS1_3genE8ELNS1_11target_archE1030ELNS1_3gpuE2ELNS1_3repE0EEENS1_38merge_mergepath_config_static_selectorELNS0_4arch9wavefront6targetE0EEEvSK_
	.globl	_ZN7rocprim17ROCPRIM_400000_NS6detail17trampoline_kernelINS0_14default_configENS1_38merge_sort_block_merge_config_selectorIjNS0_10empty_typeEEEZZNS1_27merge_sort_block_merge_implIS3_N6thrust23THRUST_200600_302600_NS6detail15normal_iteratorINS9_10device_ptrIjEEEEPS5_m9comp_mod3IjEEE10hipError_tT0_T1_T2_jT3_P12ihipStream_tbPNSt15iterator_traitsISJ_E10value_typeEPNSP_ISK_E10value_typeEPSL_NS1_7vsmem_tEENKUlT_SJ_SK_SL_E_clIPjSE_SF_SF_EESI_SY_SJ_SK_SL_EUlSY_E0_NS1_11comp_targetILNS1_3genE8ELNS1_11target_archE1030ELNS1_3gpuE2ELNS1_3repE0EEENS1_38merge_mergepath_config_static_selectorELNS0_4arch9wavefront6targetE0EEEvSK_
	.p2align	8
	.type	_ZN7rocprim17ROCPRIM_400000_NS6detail17trampoline_kernelINS0_14default_configENS1_38merge_sort_block_merge_config_selectorIjNS0_10empty_typeEEEZZNS1_27merge_sort_block_merge_implIS3_N6thrust23THRUST_200600_302600_NS6detail15normal_iteratorINS9_10device_ptrIjEEEEPS5_m9comp_mod3IjEEE10hipError_tT0_T1_T2_jT3_P12ihipStream_tbPNSt15iterator_traitsISJ_E10value_typeEPNSP_ISK_E10value_typeEPSL_NS1_7vsmem_tEENKUlT_SJ_SK_SL_E_clIPjSE_SF_SF_EESI_SY_SJ_SK_SL_EUlSY_E0_NS1_11comp_targetILNS1_3genE8ELNS1_11target_archE1030ELNS1_3gpuE2ELNS1_3repE0EEENS1_38merge_mergepath_config_static_selectorELNS0_4arch9wavefront6targetE0EEEvSK_,@function
_ZN7rocprim17ROCPRIM_400000_NS6detail17trampoline_kernelINS0_14default_configENS1_38merge_sort_block_merge_config_selectorIjNS0_10empty_typeEEEZZNS1_27merge_sort_block_merge_implIS3_N6thrust23THRUST_200600_302600_NS6detail15normal_iteratorINS9_10device_ptrIjEEEEPS5_m9comp_mod3IjEEE10hipError_tT0_T1_T2_jT3_P12ihipStream_tbPNSt15iterator_traitsISJ_E10value_typeEPNSP_ISK_E10value_typeEPSL_NS1_7vsmem_tEENKUlT_SJ_SK_SL_E_clIPjSE_SF_SF_EESI_SY_SJ_SK_SL_EUlSY_E0_NS1_11comp_targetILNS1_3genE8ELNS1_11target_archE1030ELNS1_3gpuE2ELNS1_3repE0EEENS1_38merge_mergepath_config_static_selectorELNS0_4arch9wavefront6targetE0EEEvSK_: ; @_ZN7rocprim17ROCPRIM_400000_NS6detail17trampoline_kernelINS0_14default_configENS1_38merge_sort_block_merge_config_selectorIjNS0_10empty_typeEEEZZNS1_27merge_sort_block_merge_implIS3_N6thrust23THRUST_200600_302600_NS6detail15normal_iteratorINS9_10device_ptrIjEEEEPS5_m9comp_mod3IjEEE10hipError_tT0_T1_T2_jT3_P12ihipStream_tbPNSt15iterator_traitsISJ_E10value_typeEPNSP_ISK_E10value_typeEPSL_NS1_7vsmem_tEENKUlT_SJ_SK_SL_E_clIPjSE_SF_SF_EESI_SY_SJ_SK_SL_EUlSY_E0_NS1_11comp_targetILNS1_3genE8ELNS1_11target_archE1030ELNS1_3gpuE2ELNS1_3repE0EEENS1_38merge_mergepath_config_static_selectorELNS0_4arch9wavefront6targetE0EEEvSK_
; %bb.0:
	s_clause 0x1
	s_load_dwordx2 s[22:23], s[4:5], 0x50
	s_load_dword s0, s[4:5], 0x38
	s_add_u32 s20, s4, 0x50
	s_addc_u32 s21, s5, 0
	s_waitcnt lgkmcnt(0)
	s_mul_i32 s1, s23, s8
	s_add_i32 s1, s1, s7
	s_mul_i32 s1, s1, s22
	s_add_i32 s18, s1, s6
	s_cmp_ge_u32 s18, s0
	s_cbranch_scc1 .LBB831_35
; %bb.1:
	s_clause 0x1
	s_load_dwordx2 s[0:1], s[4:5], 0x48
	s_load_dwordx4 s[8:11], s[4:5], 0x28
	s_mov_b32 s19, 0
	s_lshl_b64 s[2:3], s[18:19], 3
	s_waitcnt lgkmcnt(0)
	s_add_u32 s0, s0, s2
	s_addc_u32 s1, s1, s3
	s_lshl_b64 s[16:17], s[18:19], 10
	s_load_dwordx4 s[12:15], s[0:1], 0x0
	s_lshr_b64 s[0:1], s[10:11], 9
	s_mov_b32 s1, s19
	s_and_b32 s0, s0, -2
	s_sub_i32 s29, 0, s0
	s_and_b32 s0, s18, s29
	s_lshl_b64 s[24:25], s[0:1], 10
	s_sub_u32 s23, s16, s24
	s_subb_u32 s30, s17, s25
	s_lshl_b64 s[26:27], s[0:1], 11
	s_load_dwordx4 s[0:3], s[4:5], 0x8
	s_add_u32 s7, s26, s10
	s_addc_u32 s28, s27, s11
	s_add_u32 s26, s7, s23
	s_addc_u32 s27, s28, s30
	s_waitcnt lgkmcnt(0)
	s_sub_u32 s23, s26, s14
	s_subb_u32 s15, s27, s15
	s_add_u32 s30, s23, 0x400
	s_addc_u32 s31, s15, 0
	v_cmp_lt_u64_e64 s15, s[8:9], s[30:31]
	s_and_b32 s15, s15, exec_lo
	s_cselect_b32 s23, s8, s30
	s_or_b32 s15, s18, s29
	s_cmp_lg_u32 s15, -1
	s_mov_b32 s15, -1
	s_cbranch_scc1 .LBB831_3
; %bb.2:
	s_sub_u32 s24, s7, s24
	s_subb_u32 s25, s28, s25
	v_cmp_lt_u64_e64 s7, s[8:9], s[24:25]
	s_and_b32 s7, s7, exec_lo
	s_cselect_b32 s14, s8, s24
	s_add_u32 s10, s24, s10
	s_addc_u32 s11, s25, s11
	v_cmp_lt_u64_e64 s7, s[8:9], s[10:11]
	s_and_b32 s7, s7, exec_lo
	s_cselect_b32 s23, s8, s10
.LBB831_3:
	s_lshr_b64 s[24:25], s[8:9], 10
	v_mov_b32_e32 v5, 0
	s_cmp_lg_u64 s[24:25], s[18:19]
	v_lshlrev_b32_e32 v8, 2, v0
	s_cselect_b32 s7, -1, 0
	s_sub_u32 s10, s26, s12
	s_subb_u32 s11, s27, s13
	global_load_dword v1, v5, s[20:21] offset:14
	v_cmp_lt_u64_e64 s26, s[8:9], s[10:11]
                                        ; implicit-def: $vgpr4
                                        ; implicit-def: $vgpr7
	s_and_b32 s26, s26, exec_lo
	s_cselect_b32 s26, s8, s10
	s_cselect_b32 s27, s9, s11
	s_lshl_b64 s[28:29], s[12:13], 2
	s_sub_i32 s9, s14, s12
	s_sub_i32 s10, s23, s26
	s_add_u32 s13, s0, s28
	s_addc_u32 s14, s1, s29
	s_lshl_b64 s[26:27], s[26:27], 2
	s_add_u32 s11, s0, s26
	s_addc_u32 s12, s1, s27
	s_cmp_lt_u32 s6, s22
	s_cselect_b32 s0, 12, 18
	s_add_u32 s0, s20, s0
	s_addc_u32 s1, s21, 0
	s_cmp_eq_u64 s[24:25], s[18:19]
	global_load_ushort v2, v5, s[0:1]
	s_waitcnt vmcnt(1)
	v_lshrrev_b32_e32 v3, 16, v1
	v_and_b32_e32 v1, 0xffff, v1
	v_mul_lo_u32 v1, v1, v3
	s_waitcnt vmcnt(0)
	v_mul_lo_u32 v1, v1, v2
	v_add_nc_u32_e32 v2, v1, v0
                                        ; implicit-def: $vgpr1
	s_cbranch_scc1 .LBB831_5
; %bb.4:
	v_mov_b32_e32 v3, v5
	v_sub_co_u32 v4, vcc_lo, v0, s9
	v_add_co_u32 v1, s0, s13, v8
	v_lshlrev_b64 v[6:7], 2, v[2:3]
	v_add_co_ci_u32_e64 v11, null, s14, 0, s0
	v_lshlrev_b64 v[9:10], 2, v[4:5]
	s_mov_b32 s15, 0
	v_add_co_u32 v12, s0, s13, v6
	v_add_co_ci_u32_e64 v6, null, s14, v7, s0
	v_sub_co_u32 v4, s0, v2, s9
	v_lshlrev_b64 v[3:4], 2, v[4:5]
	v_add_co_u32 v5, s1, s11, v9
	v_add_co_ci_u32_e64 v7, null, s12, v10, s1
	v_add_co_u32 v9, s1, s11, v3
	v_add_co_ci_u32_e64 v10, null, s12, v4, s1
	v_cndmask_b32_e32 v4, v7, v11, vcc_lo
	v_cndmask_b32_e32 v3, v5, v1, vcc_lo
	v_cndmask_b32_e64 v5, v9, v12, s0
	v_cndmask_b32_e64 v6, v10, v6, s0
	s_add_i32 s0, s9, s10
	global_load_dword v4, v[3:4], off
	global_load_dword v1, v[5:6], off
	v_mov_b32_e32 v7, s0
.LBB831_5:
	s_load_dwordx2 s[4:5], s[4:5], 0x40
	s_andn2_b32 vcc_lo, exec_lo, s15
	s_cbranch_vccnz .LBB831_11
; %bb.6:
	s_waitcnt vmcnt(0)
	v_mov_b32_e32 v1, 0
	v_mov_b32_e32 v4, 0
	s_add_i32 s1, s9, s10
	s_mov_b32 s6, exec_lo
	v_cmpx_gt_u32_e64 s1, v0
	s_cbranch_execz .LBB831_8
; %bb.7:
	v_sub_co_u32 v3, vcc_lo, v0, s9
	v_mov_b32_e32 v4, 0
	v_add_co_u32 v5, s0, s13, v8
	v_add_co_ci_u32_e64 v6, null, s14, 0, s0
	v_lshlrev_b64 v[3:4], 2, v[3:4]
	v_add_co_u32 v3, s0, s11, v3
	v_add_co_ci_u32_e64 v4, null, s12, v4, s0
	v_cndmask_b32_e32 v3, v3, v5, vcc_lo
	v_cndmask_b32_e32 v4, v4, v6, vcc_lo
	global_load_dword v4, v[3:4], off
.LBB831_8:
	s_or_b32 exec_lo, exec_lo, s6
	s_mov_b32 s6, exec_lo
	v_cmpx_gt_u32_e64 s1, v2
	s_cbranch_execz .LBB831_10
; %bb.9:
	v_mov_b32_e32 v3, 0
	v_lshlrev_b64 v[5:6], 2, v[2:3]
	v_add_co_u32 v5, vcc_lo, s13, v5
	v_add_co_ci_u32_e64 v6, null, s14, v6, vcc_lo
	v_sub_co_u32 v2, vcc_lo, v2, s9
	v_lshlrev_b64 v[1:2], 2, v[2:3]
	v_add_co_u32 v1, s0, s11, v1
	v_add_co_ci_u32_e64 v2, null, s12, v2, s0
	v_cndmask_b32_e32 v1, v1, v5, vcc_lo
	v_cndmask_b32_e32 v2, v2, v6, vcc_lo
	global_load_dword v1, v[1:2], off
.LBB831_10:
	s_or_b32 exec_lo, exec_lo, s6
	v_mov_b32_e32 v7, s1
.LBB831_11:
	v_lshlrev_b32_e32 v9, 1, v0
	s_mov_b32 s0, exec_lo
	s_waitcnt vmcnt(0)
	ds_write2st64_b32 v8, v4, v1 offset1:8
	s_waitcnt lgkmcnt(0)
	s_barrier
	v_min_u32_e32 v3, v7, v9
	buffer_gl0_inv
	v_sub_nc_u32_e64 v2, v3, s10 clamp
	v_min_u32_e32 v5, s9, v3
	v_cmpx_lt_u32_e64 v2, v5
	s_cbranch_execz .LBB831_15
; %bb.12:
	v_lshlrev_b32_e32 v6, 2, v3
	s_mov_b32 s1, 0
	v_lshl_add_u32 v6, s9, 2, v6
	s_inst_prefetch 0x1
	.p2align	6
.LBB831_13:                             ; =>This Inner Loop Header: Depth=1
	v_add_nc_u32_e32 v10, v5, v2
	v_lshrrev_b32_e32 v14, 1, v10
	v_not_b32_e32 v10, v14
	v_lshlrev_b32_e32 v11, 2, v14
	v_lshl_add_u32 v12, v10, 2, v6
	ds_read_b32 v10, v11
	ds_read_b32 v12, v12
	s_waitcnt lgkmcnt(1)
	v_ashrrev_i32_e32 v11, 31, v10
	s_waitcnt lgkmcnt(0)
	v_ashrrev_i32_e32 v13, 31, v12
	v_lshlrev_b64 v[10:11], 2, v[10:11]
	v_lshlrev_b64 v[12:13], 2, v[12:13]
	v_add_co_u32 v10, vcc_lo, s4, v10
	v_add_co_ci_u32_e64 v11, null, s5, v11, vcc_lo
	v_add_co_u32 v12, vcc_lo, s4, v12
	v_add_co_ci_u32_e64 v13, null, s5, v13, vcc_lo
	s_clause 0x1
	global_load_dword v12, v[12:13], off
	global_load_dword v10, v[10:11], off
	v_add_nc_u32_e32 v11, 1, v14
	s_waitcnt vmcnt(0)
	v_cmp_lt_u32_e32 vcc_lo, v12, v10
	v_cndmask_b32_e32 v5, v5, v14, vcc_lo
	v_cndmask_b32_e32 v2, v11, v2, vcc_lo
	v_cmp_ge_u32_e32 vcc_lo, v2, v5
	s_or_b32 s1, vcc_lo, s1
	s_andn2_b32 exec_lo, exec_lo, s1
	s_cbranch_execnz .LBB831_13
; %bb.14:
	s_inst_prefetch 0x2
	s_or_b32 exec_lo, exec_lo, s1
.LBB831_15:
	s_or_b32 exec_lo, exec_lo, s0
	v_sub_nc_u32_e32 v3, v3, v2
	v_cmp_ge_u32_e32 vcc_lo, s9, v2
	v_add_nc_u32_e32 v10, s9, v3
	v_cmp_le_u32_e64 s0, v10, v7
	s_or_b32 s0, vcc_lo, s0
	s_and_saveexec_b32 s1, s0
	s_cbranch_execz .LBB831_27
; %bb.16:
	s_mov_b32 s6, exec_lo
	v_cmp_le_u32_e32 vcc_lo, s9, v2
                                        ; implicit-def: $vgpr3
	v_cmpx_gt_u32_e64 s9, v2
; %bb.17:
	v_lshlrev_b32_e32 v1, 2, v2
	ds_read_b32 v3, v1
; %bb.18:
	s_or_b32 exec_lo, exec_lo, s6
	v_cmp_ge_u32_e64 s6, v10, v7
	s_mov_b32 s10, exec_lo
                                        ; implicit-def: $vgpr5
	v_cmpx_lt_u32_e64 v10, v7
; %bb.19:
	v_lshlrev_b32_e32 v1, 2, v10
	ds_read_b32 v5, v1
; %bb.20:
	s_or_b32 exec_lo, exec_lo, s10
	s_nor_b32 s10, vcc_lo, s6
	s_and_saveexec_b32 s0, s10
	s_cbranch_execz .LBB831_22
; %bb.21:
	s_waitcnt lgkmcnt(0)
	v_ashrrev_i32_e32 v6, 31, v5
	v_ashrrev_i32_e32 v4, 31, v3
	s_andn2_b32 s6, s6, exec_lo
	v_lshlrev_b64 v[11:12], 2, v[5:6]
	v_lshlrev_b64 v[13:14], 2, v[3:4]
	v_add_co_u32 v11, vcc_lo, s4, v11
	v_add_co_ci_u32_e64 v12, null, s5, v12, vcc_lo
	v_add_co_u32 v13, vcc_lo, s4, v13
	v_add_co_ci_u32_e64 v14, null, s5, v14, vcc_lo
	s_clause 0x1
	global_load_dword v1, v[11:12], off
	global_load_dword v4, v[13:14], off
	s_waitcnt vmcnt(0)
	v_cmp_ge_u32_e32 vcc_lo, v1, v4
	s_and_b32 s10, vcc_lo, exec_lo
	s_or_b32 s6, s6, s10
.LBB831_22:
	s_or_b32 exec_lo, exec_lo, s0
	v_cndmask_b32_e64 v1, v10, v2, s6
	v_cndmask_b32_e64 v6, v7, s9, s6
	s_mov_b32 s0, exec_lo
	v_add_nc_u32_e32 v4, 1, v1
	v_add_nc_u32_e32 v1, -1, v6
	v_cndmask_b32_e64 v10, v4, v10, s6
	v_min_u32_e32 v1, v4, v1
	v_lshlrev_b32_e32 v1, 2, v1
	ds_read_b32 v6, v1
	s_waitcnt lgkmcnt(0)
	v_cndmask_b32_e64 v1, v3, v6, s6
	v_cmpx_lt_u32_e64 v10, v7
	s_cbranch_execz .LBB831_26
; %bb.23:
	v_cndmask_b32_e64 v2, v2, v4, s6
	v_cndmask_b32_e64 v6, v6, v5, s6
	v_cmp_gt_u32_e32 vcc_lo, s9, v2
	s_and_saveexec_b32 s9, vcc_lo
	s_cbranch_execz .LBB831_25
; %bb.24:
	v_ashrrev_i32_e32 v7, 31, v6
	v_ashrrev_i32_e32 v2, 31, v1
	v_lshlrev_b64 v[10:11], 2, v[6:7]
	v_lshlrev_b64 v[12:13], 2, v[1:2]
	v_add_co_u32 v10, vcc_lo, s4, v10
	v_add_co_ci_u32_e64 v11, null, s5, v11, vcc_lo
	v_add_co_u32 v12, vcc_lo, s4, v12
	v_add_co_ci_u32_e64 v13, null, s5, v13, vcc_lo
	s_clause 0x1
	global_load_dword v2, v[10:11], off
	global_load_dword v4, v[12:13], off
	s_waitcnt vmcnt(0)
	v_cmp_lt_u32_e32 vcc_lo, v2, v4
	v_cndmask_b32_e32 v6, v1, v6, vcc_lo
.LBB831_25:
	s_or_b32 exec_lo, exec_lo, s9
	v_mov_b32_e32 v1, v6
.LBB831_26:
	s_or_b32 exec_lo, exec_lo, s0
	v_cndmask_b32_e64 v4, v5, v3, s6
.LBB831_27:
	s_or_b32 exec_lo, exec_lo, s1
	v_lshrrev_b32_e32 v2, 2, v0
	v_or_b32_e32 v3, 0x200, v0
	v_lshrrev_b32_e32 v5, 3, v0
	s_lshl_b64 s[0:1], s[16:17], 2
	v_and_b32_e32 v2, 0x7c, v2
	v_lshrrev_b32_e32 v6, 3, v3
	v_and_b32_e32 v5, 60, v5
	s_add_u32 s0, s2, s0
	s_barrier
	v_lshl_add_u32 v2, v9, 2, v2
	v_and_b32_e32 v6, 0x7c, v6
	buffer_gl0_inv
	s_barrier
	buffer_gl0_inv
	s_addc_u32 s1, s3, s1
	ds_write2_b32 v2, v4, v1 offset1:1
	v_add_co_u32 v1, s0, s0, v8
	v_add_nc_u32_e32 v5, v5, v8
	v_add_nc_u32_e32 v6, v6, v8
	v_add_co_ci_u32_e64 v2, null, s1, 0, s0
	s_and_b32 vcc_lo, exec_lo, s7
	s_waitcnt lgkmcnt(0)
	s_cbranch_vccz .LBB831_29
; %bb.28:
	s_barrier
	buffer_gl0_inv
	ds_read_b32 v7, v5
	ds_read_b32 v4, v6 offset:2048
	s_mov_b32 s0, -1
	s_waitcnt lgkmcnt(1)
	global_store_dword v[1:2], v7, off
	s_cbranch_execz .LBB831_30
	s_branch .LBB831_33
.LBB831_29:
	s_mov_b32 s0, 0
                                        ; implicit-def: $vgpr4
.LBB831_30:
	s_barrier
	s_waitcnt lgkmcnt(0)
	s_waitcnt_vscnt null, 0x0
	buffer_gl0_inv
	ds_read_b32 v4, v6 offset:2048
	s_sub_i32 s0, s8, s16
	s_mov_b32 s1, exec_lo
	v_cmpx_gt_u32_e64 s0, v0
	s_cbranch_execz .LBB831_32
; %bb.31:
	ds_read_b32 v0, v5
	s_waitcnt lgkmcnt(0)
	global_store_dword v[1:2], v0, off
.LBB831_32:
	s_or_b32 exec_lo, exec_lo, s1
	v_cmp_gt_u32_e64 s0, s0, v3
.LBB831_33:
	s_and_saveexec_b32 s1, s0
	s_cbranch_execz .LBB831_35
; %bb.34:
	v_add_co_u32 v0, vcc_lo, 0x800, v1
	v_add_co_ci_u32_e64 v1, null, 0, v2, vcc_lo
	s_waitcnt lgkmcnt(0)
	global_store_dword v[0:1], v4, off
.LBB831_35:
	s_endpgm
	.section	.rodata,"a",@progbits
	.p2align	6, 0x0
	.amdhsa_kernel _ZN7rocprim17ROCPRIM_400000_NS6detail17trampoline_kernelINS0_14default_configENS1_38merge_sort_block_merge_config_selectorIjNS0_10empty_typeEEEZZNS1_27merge_sort_block_merge_implIS3_N6thrust23THRUST_200600_302600_NS6detail15normal_iteratorINS9_10device_ptrIjEEEEPS5_m9comp_mod3IjEEE10hipError_tT0_T1_T2_jT3_P12ihipStream_tbPNSt15iterator_traitsISJ_E10value_typeEPNSP_ISK_E10value_typeEPSL_NS1_7vsmem_tEENKUlT_SJ_SK_SL_E_clIPjSE_SF_SF_EESI_SY_SJ_SK_SL_EUlSY_E0_NS1_11comp_targetILNS1_3genE8ELNS1_11target_archE1030ELNS1_3gpuE2ELNS1_3repE0EEENS1_38merge_mergepath_config_static_selectorELNS0_4arch9wavefront6targetE0EEEvSK_
		.amdhsa_group_segment_fixed_size 4224
		.amdhsa_private_segment_fixed_size 0
		.amdhsa_kernarg_size 336
		.amdhsa_user_sgpr_count 6
		.amdhsa_user_sgpr_private_segment_buffer 1
		.amdhsa_user_sgpr_dispatch_ptr 0
		.amdhsa_user_sgpr_queue_ptr 0
		.amdhsa_user_sgpr_kernarg_segment_ptr 1
		.amdhsa_user_sgpr_dispatch_id 0
		.amdhsa_user_sgpr_flat_scratch_init 0
		.amdhsa_user_sgpr_private_segment_size 0
		.amdhsa_wavefront_size32 1
		.amdhsa_uses_dynamic_stack 0
		.amdhsa_system_sgpr_private_segment_wavefront_offset 0
		.amdhsa_system_sgpr_workgroup_id_x 1
		.amdhsa_system_sgpr_workgroup_id_y 1
		.amdhsa_system_sgpr_workgroup_id_z 1
		.amdhsa_system_sgpr_workgroup_info 0
		.amdhsa_system_vgpr_workitem_id 0
		.amdhsa_next_free_vgpr 15
		.amdhsa_next_free_sgpr 32
		.amdhsa_reserve_vcc 1
		.amdhsa_reserve_flat_scratch 0
		.amdhsa_float_round_mode_32 0
		.amdhsa_float_round_mode_16_64 0
		.amdhsa_float_denorm_mode_32 3
		.amdhsa_float_denorm_mode_16_64 3
		.amdhsa_dx10_clamp 1
		.amdhsa_ieee_mode 1
		.amdhsa_fp16_overflow 0
		.amdhsa_workgroup_processor_mode 1
		.amdhsa_memory_ordered 1
		.amdhsa_forward_progress 1
		.amdhsa_shared_vgpr_count 0
		.amdhsa_exception_fp_ieee_invalid_op 0
		.amdhsa_exception_fp_denorm_src 0
		.amdhsa_exception_fp_ieee_div_zero 0
		.amdhsa_exception_fp_ieee_overflow 0
		.amdhsa_exception_fp_ieee_underflow 0
		.amdhsa_exception_fp_ieee_inexact 0
		.amdhsa_exception_int_div_zero 0
	.end_amdhsa_kernel
	.section	.text._ZN7rocprim17ROCPRIM_400000_NS6detail17trampoline_kernelINS0_14default_configENS1_38merge_sort_block_merge_config_selectorIjNS0_10empty_typeEEEZZNS1_27merge_sort_block_merge_implIS3_N6thrust23THRUST_200600_302600_NS6detail15normal_iteratorINS9_10device_ptrIjEEEEPS5_m9comp_mod3IjEEE10hipError_tT0_T1_T2_jT3_P12ihipStream_tbPNSt15iterator_traitsISJ_E10value_typeEPNSP_ISK_E10value_typeEPSL_NS1_7vsmem_tEENKUlT_SJ_SK_SL_E_clIPjSE_SF_SF_EESI_SY_SJ_SK_SL_EUlSY_E0_NS1_11comp_targetILNS1_3genE8ELNS1_11target_archE1030ELNS1_3gpuE2ELNS1_3repE0EEENS1_38merge_mergepath_config_static_selectorELNS0_4arch9wavefront6targetE0EEEvSK_,"axG",@progbits,_ZN7rocprim17ROCPRIM_400000_NS6detail17trampoline_kernelINS0_14default_configENS1_38merge_sort_block_merge_config_selectorIjNS0_10empty_typeEEEZZNS1_27merge_sort_block_merge_implIS3_N6thrust23THRUST_200600_302600_NS6detail15normal_iteratorINS9_10device_ptrIjEEEEPS5_m9comp_mod3IjEEE10hipError_tT0_T1_T2_jT3_P12ihipStream_tbPNSt15iterator_traitsISJ_E10value_typeEPNSP_ISK_E10value_typeEPSL_NS1_7vsmem_tEENKUlT_SJ_SK_SL_E_clIPjSE_SF_SF_EESI_SY_SJ_SK_SL_EUlSY_E0_NS1_11comp_targetILNS1_3genE8ELNS1_11target_archE1030ELNS1_3gpuE2ELNS1_3repE0EEENS1_38merge_mergepath_config_static_selectorELNS0_4arch9wavefront6targetE0EEEvSK_,comdat
.Lfunc_end831:
	.size	_ZN7rocprim17ROCPRIM_400000_NS6detail17trampoline_kernelINS0_14default_configENS1_38merge_sort_block_merge_config_selectorIjNS0_10empty_typeEEEZZNS1_27merge_sort_block_merge_implIS3_N6thrust23THRUST_200600_302600_NS6detail15normal_iteratorINS9_10device_ptrIjEEEEPS5_m9comp_mod3IjEEE10hipError_tT0_T1_T2_jT3_P12ihipStream_tbPNSt15iterator_traitsISJ_E10value_typeEPNSP_ISK_E10value_typeEPSL_NS1_7vsmem_tEENKUlT_SJ_SK_SL_E_clIPjSE_SF_SF_EESI_SY_SJ_SK_SL_EUlSY_E0_NS1_11comp_targetILNS1_3genE8ELNS1_11target_archE1030ELNS1_3gpuE2ELNS1_3repE0EEENS1_38merge_mergepath_config_static_selectorELNS0_4arch9wavefront6targetE0EEEvSK_, .Lfunc_end831-_ZN7rocprim17ROCPRIM_400000_NS6detail17trampoline_kernelINS0_14default_configENS1_38merge_sort_block_merge_config_selectorIjNS0_10empty_typeEEEZZNS1_27merge_sort_block_merge_implIS3_N6thrust23THRUST_200600_302600_NS6detail15normal_iteratorINS9_10device_ptrIjEEEEPS5_m9comp_mod3IjEEE10hipError_tT0_T1_T2_jT3_P12ihipStream_tbPNSt15iterator_traitsISJ_E10value_typeEPNSP_ISK_E10value_typeEPSL_NS1_7vsmem_tEENKUlT_SJ_SK_SL_E_clIPjSE_SF_SF_EESI_SY_SJ_SK_SL_EUlSY_E0_NS1_11comp_targetILNS1_3genE8ELNS1_11target_archE1030ELNS1_3gpuE2ELNS1_3repE0EEENS1_38merge_mergepath_config_static_selectorELNS0_4arch9wavefront6targetE0EEEvSK_
                                        ; -- End function
	.set _ZN7rocprim17ROCPRIM_400000_NS6detail17trampoline_kernelINS0_14default_configENS1_38merge_sort_block_merge_config_selectorIjNS0_10empty_typeEEEZZNS1_27merge_sort_block_merge_implIS3_N6thrust23THRUST_200600_302600_NS6detail15normal_iteratorINS9_10device_ptrIjEEEEPS5_m9comp_mod3IjEEE10hipError_tT0_T1_T2_jT3_P12ihipStream_tbPNSt15iterator_traitsISJ_E10value_typeEPNSP_ISK_E10value_typeEPSL_NS1_7vsmem_tEENKUlT_SJ_SK_SL_E_clIPjSE_SF_SF_EESI_SY_SJ_SK_SL_EUlSY_E0_NS1_11comp_targetILNS1_3genE8ELNS1_11target_archE1030ELNS1_3gpuE2ELNS1_3repE0EEENS1_38merge_mergepath_config_static_selectorELNS0_4arch9wavefront6targetE0EEEvSK_.num_vgpr, 15
	.set _ZN7rocprim17ROCPRIM_400000_NS6detail17trampoline_kernelINS0_14default_configENS1_38merge_sort_block_merge_config_selectorIjNS0_10empty_typeEEEZZNS1_27merge_sort_block_merge_implIS3_N6thrust23THRUST_200600_302600_NS6detail15normal_iteratorINS9_10device_ptrIjEEEEPS5_m9comp_mod3IjEEE10hipError_tT0_T1_T2_jT3_P12ihipStream_tbPNSt15iterator_traitsISJ_E10value_typeEPNSP_ISK_E10value_typeEPSL_NS1_7vsmem_tEENKUlT_SJ_SK_SL_E_clIPjSE_SF_SF_EESI_SY_SJ_SK_SL_EUlSY_E0_NS1_11comp_targetILNS1_3genE8ELNS1_11target_archE1030ELNS1_3gpuE2ELNS1_3repE0EEENS1_38merge_mergepath_config_static_selectorELNS0_4arch9wavefront6targetE0EEEvSK_.num_agpr, 0
	.set _ZN7rocprim17ROCPRIM_400000_NS6detail17trampoline_kernelINS0_14default_configENS1_38merge_sort_block_merge_config_selectorIjNS0_10empty_typeEEEZZNS1_27merge_sort_block_merge_implIS3_N6thrust23THRUST_200600_302600_NS6detail15normal_iteratorINS9_10device_ptrIjEEEEPS5_m9comp_mod3IjEEE10hipError_tT0_T1_T2_jT3_P12ihipStream_tbPNSt15iterator_traitsISJ_E10value_typeEPNSP_ISK_E10value_typeEPSL_NS1_7vsmem_tEENKUlT_SJ_SK_SL_E_clIPjSE_SF_SF_EESI_SY_SJ_SK_SL_EUlSY_E0_NS1_11comp_targetILNS1_3genE8ELNS1_11target_archE1030ELNS1_3gpuE2ELNS1_3repE0EEENS1_38merge_mergepath_config_static_selectorELNS0_4arch9wavefront6targetE0EEEvSK_.numbered_sgpr, 32
	.set _ZN7rocprim17ROCPRIM_400000_NS6detail17trampoline_kernelINS0_14default_configENS1_38merge_sort_block_merge_config_selectorIjNS0_10empty_typeEEEZZNS1_27merge_sort_block_merge_implIS3_N6thrust23THRUST_200600_302600_NS6detail15normal_iteratorINS9_10device_ptrIjEEEEPS5_m9comp_mod3IjEEE10hipError_tT0_T1_T2_jT3_P12ihipStream_tbPNSt15iterator_traitsISJ_E10value_typeEPNSP_ISK_E10value_typeEPSL_NS1_7vsmem_tEENKUlT_SJ_SK_SL_E_clIPjSE_SF_SF_EESI_SY_SJ_SK_SL_EUlSY_E0_NS1_11comp_targetILNS1_3genE8ELNS1_11target_archE1030ELNS1_3gpuE2ELNS1_3repE0EEENS1_38merge_mergepath_config_static_selectorELNS0_4arch9wavefront6targetE0EEEvSK_.num_named_barrier, 0
	.set _ZN7rocprim17ROCPRIM_400000_NS6detail17trampoline_kernelINS0_14default_configENS1_38merge_sort_block_merge_config_selectorIjNS0_10empty_typeEEEZZNS1_27merge_sort_block_merge_implIS3_N6thrust23THRUST_200600_302600_NS6detail15normal_iteratorINS9_10device_ptrIjEEEEPS5_m9comp_mod3IjEEE10hipError_tT0_T1_T2_jT3_P12ihipStream_tbPNSt15iterator_traitsISJ_E10value_typeEPNSP_ISK_E10value_typeEPSL_NS1_7vsmem_tEENKUlT_SJ_SK_SL_E_clIPjSE_SF_SF_EESI_SY_SJ_SK_SL_EUlSY_E0_NS1_11comp_targetILNS1_3genE8ELNS1_11target_archE1030ELNS1_3gpuE2ELNS1_3repE0EEENS1_38merge_mergepath_config_static_selectorELNS0_4arch9wavefront6targetE0EEEvSK_.private_seg_size, 0
	.set _ZN7rocprim17ROCPRIM_400000_NS6detail17trampoline_kernelINS0_14default_configENS1_38merge_sort_block_merge_config_selectorIjNS0_10empty_typeEEEZZNS1_27merge_sort_block_merge_implIS3_N6thrust23THRUST_200600_302600_NS6detail15normal_iteratorINS9_10device_ptrIjEEEEPS5_m9comp_mod3IjEEE10hipError_tT0_T1_T2_jT3_P12ihipStream_tbPNSt15iterator_traitsISJ_E10value_typeEPNSP_ISK_E10value_typeEPSL_NS1_7vsmem_tEENKUlT_SJ_SK_SL_E_clIPjSE_SF_SF_EESI_SY_SJ_SK_SL_EUlSY_E0_NS1_11comp_targetILNS1_3genE8ELNS1_11target_archE1030ELNS1_3gpuE2ELNS1_3repE0EEENS1_38merge_mergepath_config_static_selectorELNS0_4arch9wavefront6targetE0EEEvSK_.uses_vcc, 1
	.set _ZN7rocprim17ROCPRIM_400000_NS6detail17trampoline_kernelINS0_14default_configENS1_38merge_sort_block_merge_config_selectorIjNS0_10empty_typeEEEZZNS1_27merge_sort_block_merge_implIS3_N6thrust23THRUST_200600_302600_NS6detail15normal_iteratorINS9_10device_ptrIjEEEEPS5_m9comp_mod3IjEEE10hipError_tT0_T1_T2_jT3_P12ihipStream_tbPNSt15iterator_traitsISJ_E10value_typeEPNSP_ISK_E10value_typeEPSL_NS1_7vsmem_tEENKUlT_SJ_SK_SL_E_clIPjSE_SF_SF_EESI_SY_SJ_SK_SL_EUlSY_E0_NS1_11comp_targetILNS1_3genE8ELNS1_11target_archE1030ELNS1_3gpuE2ELNS1_3repE0EEENS1_38merge_mergepath_config_static_selectorELNS0_4arch9wavefront6targetE0EEEvSK_.uses_flat_scratch, 0
	.set _ZN7rocprim17ROCPRIM_400000_NS6detail17trampoline_kernelINS0_14default_configENS1_38merge_sort_block_merge_config_selectorIjNS0_10empty_typeEEEZZNS1_27merge_sort_block_merge_implIS3_N6thrust23THRUST_200600_302600_NS6detail15normal_iteratorINS9_10device_ptrIjEEEEPS5_m9comp_mod3IjEEE10hipError_tT0_T1_T2_jT3_P12ihipStream_tbPNSt15iterator_traitsISJ_E10value_typeEPNSP_ISK_E10value_typeEPSL_NS1_7vsmem_tEENKUlT_SJ_SK_SL_E_clIPjSE_SF_SF_EESI_SY_SJ_SK_SL_EUlSY_E0_NS1_11comp_targetILNS1_3genE8ELNS1_11target_archE1030ELNS1_3gpuE2ELNS1_3repE0EEENS1_38merge_mergepath_config_static_selectorELNS0_4arch9wavefront6targetE0EEEvSK_.has_dyn_sized_stack, 0
	.set _ZN7rocprim17ROCPRIM_400000_NS6detail17trampoline_kernelINS0_14default_configENS1_38merge_sort_block_merge_config_selectorIjNS0_10empty_typeEEEZZNS1_27merge_sort_block_merge_implIS3_N6thrust23THRUST_200600_302600_NS6detail15normal_iteratorINS9_10device_ptrIjEEEEPS5_m9comp_mod3IjEEE10hipError_tT0_T1_T2_jT3_P12ihipStream_tbPNSt15iterator_traitsISJ_E10value_typeEPNSP_ISK_E10value_typeEPSL_NS1_7vsmem_tEENKUlT_SJ_SK_SL_E_clIPjSE_SF_SF_EESI_SY_SJ_SK_SL_EUlSY_E0_NS1_11comp_targetILNS1_3genE8ELNS1_11target_archE1030ELNS1_3gpuE2ELNS1_3repE0EEENS1_38merge_mergepath_config_static_selectorELNS0_4arch9wavefront6targetE0EEEvSK_.has_recursion, 0
	.set _ZN7rocprim17ROCPRIM_400000_NS6detail17trampoline_kernelINS0_14default_configENS1_38merge_sort_block_merge_config_selectorIjNS0_10empty_typeEEEZZNS1_27merge_sort_block_merge_implIS3_N6thrust23THRUST_200600_302600_NS6detail15normal_iteratorINS9_10device_ptrIjEEEEPS5_m9comp_mod3IjEEE10hipError_tT0_T1_T2_jT3_P12ihipStream_tbPNSt15iterator_traitsISJ_E10value_typeEPNSP_ISK_E10value_typeEPSL_NS1_7vsmem_tEENKUlT_SJ_SK_SL_E_clIPjSE_SF_SF_EESI_SY_SJ_SK_SL_EUlSY_E0_NS1_11comp_targetILNS1_3genE8ELNS1_11target_archE1030ELNS1_3gpuE2ELNS1_3repE0EEENS1_38merge_mergepath_config_static_selectorELNS0_4arch9wavefront6targetE0EEEvSK_.has_indirect_call, 0
	.section	.AMDGPU.csdata,"",@progbits
; Kernel info:
; codeLenInByte = 1872
; TotalNumSgprs: 34
; NumVgprs: 15
; ScratchSize: 0
; MemoryBound: 0
; FloatMode: 240
; IeeeMode: 1
; LDSByteSize: 4224 bytes/workgroup (compile time only)
; SGPRBlocks: 0
; VGPRBlocks: 1
; NumSGPRsForWavesPerEU: 34
; NumVGPRsForWavesPerEU: 15
; Occupancy: 16
; WaveLimiterHint : 1
; COMPUTE_PGM_RSRC2:SCRATCH_EN: 0
; COMPUTE_PGM_RSRC2:USER_SGPR: 6
; COMPUTE_PGM_RSRC2:TRAP_HANDLER: 0
; COMPUTE_PGM_RSRC2:TGID_X_EN: 1
; COMPUTE_PGM_RSRC2:TGID_Y_EN: 1
; COMPUTE_PGM_RSRC2:TGID_Z_EN: 1
; COMPUTE_PGM_RSRC2:TIDIG_COMP_CNT: 0
	.section	.text._ZN7rocprim17ROCPRIM_400000_NS6detail17trampoline_kernelINS0_14default_configENS1_38merge_sort_block_merge_config_selectorIjNS0_10empty_typeEEEZZNS1_27merge_sort_block_merge_implIS3_N6thrust23THRUST_200600_302600_NS6detail15normal_iteratorINS9_10device_ptrIjEEEEPS5_m9comp_mod3IjEEE10hipError_tT0_T1_T2_jT3_P12ihipStream_tbPNSt15iterator_traitsISJ_E10value_typeEPNSP_ISK_E10value_typeEPSL_NS1_7vsmem_tEENKUlT_SJ_SK_SL_E_clIPjSE_SF_SF_EESI_SY_SJ_SK_SL_EUlSY_E1_NS1_11comp_targetILNS1_3genE0ELNS1_11target_archE4294967295ELNS1_3gpuE0ELNS1_3repE0EEENS1_36merge_oddeven_config_static_selectorELNS0_4arch9wavefront6targetE0EEEvSK_,"axG",@progbits,_ZN7rocprim17ROCPRIM_400000_NS6detail17trampoline_kernelINS0_14default_configENS1_38merge_sort_block_merge_config_selectorIjNS0_10empty_typeEEEZZNS1_27merge_sort_block_merge_implIS3_N6thrust23THRUST_200600_302600_NS6detail15normal_iteratorINS9_10device_ptrIjEEEEPS5_m9comp_mod3IjEEE10hipError_tT0_T1_T2_jT3_P12ihipStream_tbPNSt15iterator_traitsISJ_E10value_typeEPNSP_ISK_E10value_typeEPSL_NS1_7vsmem_tEENKUlT_SJ_SK_SL_E_clIPjSE_SF_SF_EESI_SY_SJ_SK_SL_EUlSY_E1_NS1_11comp_targetILNS1_3genE0ELNS1_11target_archE4294967295ELNS1_3gpuE0ELNS1_3repE0EEENS1_36merge_oddeven_config_static_selectorELNS0_4arch9wavefront6targetE0EEEvSK_,comdat
	.protected	_ZN7rocprim17ROCPRIM_400000_NS6detail17trampoline_kernelINS0_14default_configENS1_38merge_sort_block_merge_config_selectorIjNS0_10empty_typeEEEZZNS1_27merge_sort_block_merge_implIS3_N6thrust23THRUST_200600_302600_NS6detail15normal_iteratorINS9_10device_ptrIjEEEEPS5_m9comp_mod3IjEEE10hipError_tT0_T1_T2_jT3_P12ihipStream_tbPNSt15iterator_traitsISJ_E10value_typeEPNSP_ISK_E10value_typeEPSL_NS1_7vsmem_tEENKUlT_SJ_SK_SL_E_clIPjSE_SF_SF_EESI_SY_SJ_SK_SL_EUlSY_E1_NS1_11comp_targetILNS1_3genE0ELNS1_11target_archE4294967295ELNS1_3gpuE0ELNS1_3repE0EEENS1_36merge_oddeven_config_static_selectorELNS0_4arch9wavefront6targetE0EEEvSK_ ; -- Begin function _ZN7rocprim17ROCPRIM_400000_NS6detail17trampoline_kernelINS0_14default_configENS1_38merge_sort_block_merge_config_selectorIjNS0_10empty_typeEEEZZNS1_27merge_sort_block_merge_implIS3_N6thrust23THRUST_200600_302600_NS6detail15normal_iteratorINS9_10device_ptrIjEEEEPS5_m9comp_mod3IjEEE10hipError_tT0_T1_T2_jT3_P12ihipStream_tbPNSt15iterator_traitsISJ_E10value_typeEPNSP_ISK_E10value_typeEPSL_NS1_7vsmem_tEENKUlT_SJ_SK_SL_E_clIPjSE_SF_SF_EESI_SY_SJ_SK_SL_EUlSY_E1_NS1_11comp_targetILNS1_3genE0ELNS1_11target_archE4294967295ELNS1_3gpuE0ELNS1_3repE0EEENS1_36merge_oddeven_config_static_selectorELNS0_4arch9wavefront6targetE0EEEvSK_
	.globl	_ZN7rocprim17ROCPRIM_400000_NS6detail17trampoline_kernelINS0_14default_configENS1_38merge_sort_block_merge_config_selectorIjNS0_10empty_typeEEEZZNS1_27merge_sort_block_merge_implIS3_N6thrust23THRUST_200600_302600_NS6detail15normal_iteratorINS9_10device_ptrIjEEEEPS5_m9comp_mod3IjEEE10hipError_tT0_T1_T2_jT3_P12ihipStream_tbPNSt15iterator_traitsISJ_E10value_typeEPNSP_ISK_E10value_typeEPSL_NS1_7vsmem_tEENKUlT_SJ_SK_SL_E_clIPjSE_SF_SF_EESI_SY_SJ_SK_SL_EUlSY_E1_NS1_11comp_targetILNS1_3genE0ELNS1_11target_archE4294967295ELNS1_3gpuE0ELNS1_3repE0EEENS1_36merge_oddeven_config_static_selectorELNS0_4arch9wavefront6targetE0EEEvSK_
	.p2align	8
	.type	_ZN7rocprim17ROCPRIM_400000_NS6detail17trampoline_kernelINS0_14default_configENS1_38merge_sort_block_merge_config_selectorIjNS0_10empty_typeEEEZZNS1_27merge_sort_block_merge_implIS3_N6thrust23THRUST_200600_302600_NS6detail15normal_iteratorINS9_10device_ptrIjEEEEPS5_m9comp_mod3IjEEE10hipError_tT0_T1_T2_jT3_P12ihipStream_tbPNSt15iterator_traitsISJ_E10value_typeEPNSP_ISK_E10value_typeEPSL_NS1_7vsmem_tEENKUlT_SJ_SK_SL_E_clIPjSE_SF_SF_EESI_SY_SJ_SK_SL_EUlSY_E1_NS1_11comp_targetILNS1_3genE0ELNS1_11target_archE4294967295ELNS1_3gpuE0ELNS1_3repE0EEENS1_36merge_oddeven_config_static_selectorELNS0_4arch9wavefront6targetE0EEEvSK_,@function
_ZN7rocprim17ROCPRIM_400000_NS6detail17trampoline_kernelINS0_14default_configENS1_38merge_sort_block_merge_config_selectorIjNS0_10empty_typeEEEZZNS1_27merge_sort_block_merge_implIS3_N6thrust23THRUST_200600_302600_NS6detail15normal_iteratorINS9_10device_ptrIjEEEEPS5_m9comp_mod3IjEEE10hipError_tT0_T1_T2_jT3_P12ihipStream_tbPNSt15iterator_traitsISJ_E10value_typeEPNSP_ISK_E10value_typeEPSL_NS1_7vsmem_tEENKUlT_SJ_SK_SL_E_clIPjSE_SF_SF_EESI_SY_SJ_SK_SL_EUlSY_E1_NS1_11comp_targetILNS1_3genE0ELNS1_11target_archE4294967295ELNS1_3gpuE0ELNS1_3repE0EEENS1_36merge_oddeven_config_static_selectorELNS0_4arch9wavefront6targetE0EEEvSK_: ; @_ZN7rocprim17ROCPRIM_400000_NS6detail17trampoline_kernelINS0_14default_configENS1_38merge_sort_block_merge_config_selectorIjNS0_10empty_typeEEEZZNS1_27merge_sort_block_merge_implIS3_N6thrust23THRUST_200600_302600_NS6detail15normal_iteratorINS9_10device_ptrIjEEEEPS5_m9comp_mod3IjEEE10hipError_tT0_T1_T2_jT3_P12ihipStream_tbPNSt15iterator_traitsISJ_E10value_typeEPNSP_ISK_E10value_typeEPSL_NS1_7vsmem_tEENKUlT_SJ_SK_SL_E_clIPjSE_SF_SF_EESI_SY_SJ_SK_SL_EUlSY_E1_NS1_11comp_targetILNS1_3genE0ELNS1_11target_archE4294967295ELNS1_3gpuE0ELNS1_3repE0EEENS1_36merge_oddeven_config_static_selectorELNS0_4arch9wavefront6targetE0EEEvSK_
; %bb.0:
	.section	.rodata,"a",@progbits
	.p2align	6, 0x0
	.amdhsa_kernel _ZN7rocprim17ROCPRIM_400000_NS6detail17trampoline_kernelINS0_14default_configENS1_38merge_sort_block_merge_config_selectorIjNS0_10empty_typeEEEZZNS1_27merge_sort_block_merge_implIS3_N6thrust23THRUST_200600_302600_NS6detail15normal_iteratorINS9_10device_ptrIjEEEEPS5_m9comp_mod3IjEEE10hipError_tT0_T1_T2_jT3_P12ihipStream_tbPNSt15iterator_traitsISJ_E10value_typeEPNSP_ISK_E10value_typeEPSL_NS1_7vsmem_tEENKUlT_SJ_SK_SL_E_clIPjSE_SF_SF_EESI_SY_SJ_SK_SL_EUlSY_E1_NS1_11comp_targetILNS1_3genE0ELNS1_11target_archE4294967295ELNS1_3gpuE0ELNS1_3repE0EEENS1_36merge_oddeven_config_static_selectorELNS0_4arch9wavefront6targetE0EEEvSK_
		.amdhsa_group_segment_fixed_size 0
		.amdhsa_private_segment_fixed_size 0
		.amdhsa_kernarg_size 56
		.amdhsa_user_sgpr_count 6
		.amdhsa_user_sgpr_private_segment_buffer 1
		.amdhsa_user_sgpr_dispatch_ptr 0
		.amdhsa_user_sgpr_queue_ptr 0
		.amdhsa_user_sgpr_kernarg_segment_ptr 1
		.amdhsa_user_sgpr_dispatch_id 0
		.amdhsa_user_sgpr_flat_scratch_init 0
		.amdhsa_user_sgpr_private_segment_size 0
		.amdhsa_wavefront_size32 1
		.amdhsa_uses_dynamic_stack 0
		.amdhsa_system_sgpr_private_segment_wavefront_offset 0
		.amdhsa_system_sgpr_workgroup_id_x 1
		.amdhsa_system_sgpr_workgroup_id_y 0
		.amdhsa_system_sgpr_workgroup_id_z 0
		.amdhsa_system_sgpr_workgroup_info 0
		.amdhsa_system_vgpr_workitem_id 0
		.amdhsa_next_free_vgpr 1
		.amdhsa_next_free_sgpr 1
		.amdhsa_reserve_vcc 0
		.amdhsa_reserve_flat_scratch 0
		.amdhsa_float_round_mode_32 0
		.amdhsa_float_round_mode_16_64 0
		.amdhsa_float_denorm_mode_32 3
		.amdhsa_float_denorm_mode_16_64 3
		.amdhsa_dx10_clamp 1
		.amdhsa_ieee_mode 1
		.amdhsa_fp16_overflow 0
		.amdhsa_workgroup_processor_mode 1
		.amdhsa_memory_ordered 1
		.amdhsa_forward_progress 1
		.amdhsa_shared_vgpr_count 0
		.amdhsa_exception_fp_ieee_invalid_op 0
		.amdhsa_exception_fp_denorm_src 0
		.amdhsa_exception_fp_ieee_div_zero 0
		.amdhsa_exception_fp_ieee_overflow 0
		.amdhsa_exception_fp_ieee_underflow 0
		.amdhsa_exception_fp_ieee_inexact 0
		.amdhsa_exception_int_div_zero 0
	.end_amdhsa_kernel
	.section	.text._ZN7rocprim17ROCPRIM_400000_NS6detail17trampoline_kernelINS0_14default_configENS1_38merge_sort_block_merge_config_selectorIjNS0_10empty_typeEEEZZNS1_27merge_sort_block_merge_implIS3_N6thrust23THRUST_200600_302600_NS6detail15normal_iteratorINS9_10device_ptrIjEEEEPS5_m9comp_mod3IjEEE10hipError_tT0_T1_T2_jT3_P12ihipStream_tbPNSt15iterator_traitsISJ_E10value_typeEPNSP_ISK_E10value_typeEPSL_NS1_7vsmem_tEENKUlT_SJ_SK_SL_E_clIPjSE_SF_SF_EESI_SY_SJ_SK_SL_EUlSY_E1_NS1_11comp_targetILNS1_3genE0ELNS1_11target_archE4294967295ELNS1_3gpuE0ELNS1_3repE0EEENS1_36merge_oddeven_config_static_selectorELNS0_4arch9wavefront6targetE0EEEvSK_,"axG",@progbits,_ZN7rocprim17ROCPRIM_400000_NS6detail17trampoline_kernelINS0_14default_configENS1_38merge_sort_block_merge_config_selectorIjNS0_10empty_typeEEEZZNS1_27merge_sort_block_merge_implIS3_N6thrust23THRUST_200600_302600_NS6detail15normal_iteratorINS9_10device_ptrIjEEEEPS5_m9comp_mod3IjEEE10hipError_tT0_T1_T2_jT3_P12ihipStream_tbPNSt15iterator_traitsISJ_E10value_typeEPNSP_ISK_E10value_typeEPSL_NS1_7vsmem_tEENKUlT_SJ_SK_SL_E_clIPjSE_SF_SF_EESI_SY_SJ_SK_SL_EUlSY_E1_NS1_11comp_targetILNS1_3genE0ELNS1_11target_archE4294967295ELNS1_3gpuE0ELNS1_3repE0EEENS1_36merge_oddeven_config_static_selectorELNS0_4arch9wavefront6targetE0EEEvSK_,comdat
.Lfunc_end832:
	.size	_ZN7rocprim17ROCPRIM_400000_NS6detail17trampoline_kernelINS0_14default_configENS1_38merge_sort_block_merge_config_selectorIjNS0_10empty_typeEEEZZNS1_27merge_sort_block_merge_implIS3_N6thrust23THRUST_200600_302600_NS6detail15normal_iteratorINS9_10device_ptrIjEEEEPS5_m9comp_mod3IjEEE10hipError_tT0_T1_T2_jT3_P12ihipStream_tbPNSt15iterator_traitsISJ_E10value_typeEPNSP_ISK_E10value_typeEPSL_NS1_7vsmem_tEENKUlT_SJ_SK_SL_E_clIPjSE_SF_SF_EESI_SY_SJ_SK_SL_EUlSY_E1_NS1_11comp_targetILNS1_3genE0ELNS1_11target_archE4294967295ELNS1_3gpuE0ELNS1_3repE0EEENS1_36merge_oddeven_config_static_selectorELNS0_4arch9wavefront6targetE0EEEvSK_, .Lfunc_end832-_ZN7rocprim17ROCPRIM_400000_NS6detail17trampoline_kernelINS0_14default_configENS1_38merge_sort_block_merge_config_selectorIjNS0_10empty_typeEEEZZNS1_27merge_sort_block_merge_implIS3_N6thrust23THRUST_200600_302600_NS6detail15normal_iteratorINS9_10device_ptrIjEEEEPS5_m9comp_mod3IjEEE10hipError_tT0_T1_T2_jT3_P12ihipStream_tbPNSt15iterator_traitsISJ_E10value_typeEPNSP_ISK_E10value_typeEPSL_NS1_7vsmem_tEENKUlT_SJ_SK_SL_E_clIPjSE_SF_SF_EESI_SY_SJ_SK_SL_EUlSY_E1_NS1_11comp_targetILNS1_3genE0ELNS1_11target_archE4294967295ELNS1_3gpuE0ELNS1_3repE0EEENS1_36merge_oddeven_config_static_selectorELNS0_4arch9wavefront6targetE0EEEvSK_
                                        ; -- End function
	.set _ZN7rocprim17ROCPRIM_400000_NS6detail17trampoline_kernelINS0_14default_configENS1_38merge_sort_block_merge_config_selectorIjNS0_10empty_typeEEEZZNS1_27merge_sort_block_merge_implIS3_N6thrust23THRUST_200600_302600_NS6detail15normal_iteratorINS9_10device_ptrIjEEEEPS5_m9comp_mod3IjEEE10hipError_tT0_T1_T2_jT3_P12ihipStream_tbPNSt15iterator_traitsISJ_E10value_typeEPNSP_ISK_E10value_typeEPSL_NS1_7vsmem_tEENKUlT_SJ_SK_SL_E_clIPjSE_SF_SF_EESI_SY_SJ_SK_SL_EUlSY_E1_NS1_11comp_targetILNS1_3genE0ELNS1_11target_archE4294967295ELNS1_3gpuE0ELNS1_3repE0EEENS1_36merge_oddeven_config_static_selectorELNS0_4arch9wavefront6targetE0EEEvSK_.num_vgpr, 0
	.set _ZN7rocprim17ROCPRIM_400000_NS6detail17trampoline_kernelINS0_14default_configENS1_38merge_sort_block_merge_config_selectorIjNS0_10empty_typeEEEZZNS1_27merge_sort_block_merge_implIS3_N6thrust23THRUST_200600_302600_NS6detail15normal_iteratorINS9_10device_ptrIjEEEEPS5_m9comp_mod3IjEEE10hipError_tT0_T1_T2_jT3_P12ihipStream_tbPNSt15iterator_traitsISJ_E10value_typeEPNSP_ISK_E10value_typeEPSL_NS1_7vsmem_tEENKUlT_SJ_SK_SL_E_clIPjSE_SF_SF_EESI_SY_SJ_SK_SL_EUlSY_E1_NS1_11comp_targetILNS1_3genE0ELNS1_11target_archE4294967295ELNS1_3gpuE0ELNS1_3repE0EEENS1_36merge_oddeven_config_static_selectorELNS0_4arch9wavefront6targetE0EEEvSK_.num_agpr, 0
	.set _ZN7rocprim17ROCPRIM_400000_NS6detail17trampoline_kernelINS0_14default_configENS1_38merge_sort_block_merge_config_selectorIjNS0_10empty_typeEEEZZNS1_27merge_sort_block_merge_implIS3_N6thrust23THRUST_200600_302600_NS6detail15normal_iteratorINS9_10device_ptrIjEEEEPS5_m9comp_mod3IjEEE10hipError_tT0_T1_T2_jT3_P12ihipStream_tbPNSt15iterator_traitsISJ_E10value_typeEPNSP_ISK_E10value_typeEPSL_NS1_7vsmem_tEENKUlT_SJ_SK_SL_E_clIPjSE_SF_SF_EESI_SY_SJ_SK_SL_EUlSY_E1_NS1_11comp_targetILNS1_3genE0ELNS1_11target_archE4294967295ELNS1_3gpuE0ELNS1_3repE0EEENS1_36merge_oddeven_config_static_selectorELNS0_4arch9wavefront6targetE0EEEvSK_.numbered_sgpr, 0
	.set _ZN7rocprim17ROCPRIM_400000_NS6detail17trampoline_kernelINS0_14default_configENS1_38merge_sort_block_merge_config_selectorIjNS0_10empty_typeEEEZZNS1_27merge_sort_block_merge_implIS3_N6thrust23THRUST_200600_302600_NS6detail15normal_iteratorINS9_10device_ptrIjEEEEPS5_m9comp_mod3IjEEE10hipError_tT0_T1_T2_jT3_P12ihipStream_tbPNSt15iterator_traitsISJ_E10value_typeEPNSP_ISK_E10value_typeEPSL_NS1_7vsmem_tEENKUlT_SJ_SK_SL_E_clIPjSE_SF_SF_EESI_SY_SJ_SK_SL_EUlSY_E1_NS1_11comp_targetILNS1_3genE0ELNS1_11target_archE4294967295ELNS1_3gpuE0ELNS1_3repE0EEENS1_36merge_oddeven_config_static_selectorELNS0_4arch9wavefront6targetE0EEEvSK_.num_named_barrier, 0
	.set _ZN7rocprim17ROCPRIM_400000_NS6detail17trampoline_kernelINS0_14default_configENS1_38merge_sort_block_merge_config_selectorIjNS0_10empty_typeEEEZZNS1_27merge_sort_block_merge_implIS3_N6thrust23THRUST_200600_302600_NS6detail15normal_iteratorINS9_10device_ptrIjEEEEPS5_m9comp_mod3IjEEE10hipError_tT0_T1_T2_jT3_P12ihipStream_tbPNSt15iterator_traitsISJ_E10value_typeEPNSP_ISK_E10value_typeEPSL_NS1_7vsmem_tEENKUlT_SJ_SK_SL_E_clIPjSE_SF_SF_EESI_SY_SJ_SK_SL_EUlSY_E1_NS1_11comp_targetILNS1_3genE0ELNS1_11target_archE4294967295ELNS1_3gpuE0ELNS1_3repE0EEENS1_36merge_oddeven_config_static_selectorELNS0_4arch9wavefront6targetE0EEEvSK_.private_seg_size, 0
	.set _ZN7rocprim17ROCPRIM_400000_NS6detail17trampoline_kernelINS0_14default_configENS1_38merge_sort_block_merge_config_selectorIjNS0_10empty_typeEEEZZNS1_27merge_sort_block_merge_implIS3_N6thrust23THRUST_200600_302600_NS6detail15normal_iteratorINS9_10device_ptrIjEEEEPS5_m9comp_mod3IjEEE10hipError_tT0_T1_T2_jT3_P12ihipStream_tbPNSt15iterator_traitsISJ_E10value_typeEPNSP_ISK_E10value_typeEPSL_NS1_7vsmem_tEENKUlT_SJ_SK_SL_E_clIPjSE_SF_SF_EESI_SY_SJ_SK_SL_EUlSY_E1_NS1_11comp_targetILNS1_3genE0ELNS1_11target_archE4294967295ELNS1_3gpuE0ELNS1_3repE0EEENS1_36merge_oddeven_config_static_selectorELNS0_4arch9wavefront6targetE0EEEvSK_.uses_vcc, 0
	.set _ZN7rocprim17ROCPRIM_400000_NS6detail17trampoline_kernelINS0_14default_configENS1_38merge_sort_block_merge_config_selectorIjNS0_10empty_typeEEEZZNS1_27merge_sort_block_merge_implIS3_N6thrust23THRUST_200600_302600_NS6detail15normal_iteratorINS9_10device_ptrIjEEEEPS5_m9comp_mod3IjEEE10hipError_tT0_T1_T2_jT3_P12ihipStream_tbPNSt15iterator_traitsISJ_E10value_typeEPNSP_ISK_E10value_typeEPSL_NS1_7vsmem_tEENKUlT_SJ_SK_SL_E_clIPjSE_SF_SF_EESI_SY_SJ_SK_SL_EUlSY_E1_NS1_11comp_targetILNS1_3genE0ELNS1_11target_archE4294967295ELNS1_3gpuE0ELNS1_3repE0EEENS1_36merge_oddeven_config_static_selectorELNS0_4arch9wavefront6targetE0EEEvSK_.uses_flat_scratch, 0
	.set _ZN7rocprim17ROCPRIM_400000_NS6detail17trampoline_kernelINS0_14default_configENS1_38merge_sort_block_merge_config_selectorIjNS0_10empty_typeEEEZZNS1_27merge_sort_block_merge_implIS3_N6thrust23THRUST_200600_302600_NS6detail15normal_iteratorINS9_10device_ptrIjEEEEPS5_m9comp_mod3IjEEE10hipError_tT0_T1_T2_jT3_P12ihipStream_tbPNSt15iterator_traitsISJ_E10value_typeEPNSP_ISK_E10value_typeEPSL_NS1_7vsmem_tEENKUlT_SJ_SK_SL_E_clIPjSE_SF_SF_EESI_SY_SJ_SK_SL_EUlSY_E1_NS1_11comp_targetILNS1_3genE0ELNS1_11target_archE4294967295ELNS1_3gpuE0ELNS1_3repE0EEENS1_36merge_oddeven_config_static_selectorELNS0_4arch9wavefront6targetE0EEEvSK_.has_dyn_sized_stack, 0
	.set _ZN7rocprim17ROCPRIM_400000_NS6detail17trampoline_kernelINS0_14default_configENS1_38merge_sort_block_merge_config_selectorIjNS0_10empty_typeEEEZZNS1_27merge_sort_block_merge_implIS3_N6thrust23THRUST_200600_302600_NS6detail15normal_iteratorINS9_10device_ptrIjEEEEPS5_m9comp_mod3IjEEE10hipError_tT0_T1_T2_jT3_P12ihipStream_tbPNSt15iterator_traitsISJ_E10value_typeEPNSP_ISK_E10value_typeEPSL_NS1_7vsmem_tEENKUlT_SJ_SK_SL_E_clIPjSE_SF_SF_EESI_SY_SJ_SK_SL_EUlSY_E1_NS1_11comp_targetILNS1_3genE0ELNS1_11target_archE4294967295ELNS1_3gpuE0ELNS1_3repE0EEENS1_36merge_oddeven_config_static_selectorELNS0_4arch9wavefront6targetE0EEEvSK_.has_recursion, 0
	.set _ZN7rocprim17ROCPRIM_400000_NS6detail17trampoline_kernelINS0_14default_configENS1_38merge_sort_block_merge_config_selectorIjNS0_10empty_typeEEEZZNS1_27merge_sort_block_merge_implIS3_N6thrust23THRUST_200600_302600_NS6detail15normal_iteratorINS9_10device_ptrIjEEEEPS5_m9comp_mod3IjEEE10hipError_tT0_T1_T2_jT3_P12ihipStream_tbPNSt15iterator_traitsISJ_E10value_typeEPNSP_ISK_E10value_typeEPSL_NS1_7vsmem_tEENKUlT_SJ_SK_SL_E_clIPjSE_SF_SF_EESI_SY_SJ_SK_SL_EUlSY_E1_NS1_11comp_targetILNS1_3genE0ELNS1_11target_archE4294967295ELNS1_3gpuE0ELNS1_3repE0EEENS1_36merge_oddeven_config_static_selectorELNS0_4arch9wavefront6targetE0EEEvSK_.has_indirect_call, 0
	.section	.AMDGPU.csdata,"",@progbits
; Kernel info:
; codeLenInByte = 0
; TotalNumSgprs: 0
; NumVgprs: 0
; ScratchSize: 0
; MemoryBound: 0
; FloatMode: 240
; IeeeMode: 1
; LDSByteSize: 0 bytes/workgroup (compile time only)
; SGPRBlocks: 0
; VGPRBlocks: 0
; NumSGPRsForWavesPerEU: 1
; NumVGPRsForWavesPerEU: 1
; Occupancy: 16
; WaveLimiterHint : 0
; COMPUTE_PGM_RSRC2:SCRATCH_EN: 0
; COMPUTE_PGM_RSRC2:USER_SGPR: 6
; COMPUTE_PGM_RSRC2:TRAP_HANDLER: 0
; COMPUTE_PGM_RSRC2:TGID_X_EN: 1
; COMPUTE_PGM_RSRC2:TGID_Y_EN: 0
; COMPUTE_PGM_RSRC2:TGID_Z_EN: 0
; COMPUTE_PGM_RSRC2:TIDIG_COMP_CNT: 0
	.section	.text._ZN7rocprim17ROCPRIM_400000_NS6detail17trampoline_kernelINS0_14default_configENS1_38merge_sort_block_merge_config_selectorIjNS0_10empty_typeEEEZZNS1_27merge_sort_block_merge_implIS3_N6thrust23THRUST_200600_302600_NS6detail15normal_iteratorINS9_10device_ptrIjEEEEPS5_m9comp_mod3IjEEE10hipError_tT0_T1_T2_jT3_P12ihipStream_tbPNSt15iterator_traitsISJ_E10value_typeEPNSP_ISK_E10value_typeEPSL_NS1_7vsmem_tEENKUlT_SJ_SK_SL_E_clIPjSE_SF_SF_EESI_SY_SJ_SK_SL_EUlSY_E1_NS1_11comp_targetILNS1_3genE10ELNS1_11target_archE1201ELNS1_3gpuE5ELNS1_3repE0EEENS1_36merge_oddeven_config_static_selectorELNS0_4arch9wavefront6targetE0EEEvSK_,"axG",@progbits,_ZN7rocprim17ROCPRIM_400000_NS6detail17trampoline_kernelINS0_14default_configENS1_38merge_sort_block_merge_config_selectorIjNS0_10empty_typeEEEZZNS1_27merge_sort_block_merge_implIS3_N6thrust23THRUST_200600_302600_NS6detail15normal_iteratorINS9_10device_ptrIjEEEEPS5_m9comp_mod3IjEEE10hipError_tT0_T1_T2_jT3_P12ihipStream_tbPNSt15iterator_traitsISJ_E10value_typeEPNSP_ISK_E10value_typeEPSL_NS1_7vsmem_tEENKUlT_SJ_SK_SL_E_clIPjSE_SF_SF_EESI_SY_SJ_SK_SL_EUlSY_E1_NS1_11comp_targetILNS1_3genE10ELNS1_11target_archE1201ELNS1_3gpuE5ELNS1_3repE0EEENS1_36merge_oddeven_config_static_selectorELNS0_4arch9wavefront6targetE0EEEvSK_,comdat
	.protected	_ZN7rocprim17ROCPRIM_400000_NS6detail17trampoline_kernelINS0_14default_configENS1_38merge_sort_block_merge_config_selectorIjNS0_10empty_typeEEEZZNS1_27merge_sort_block_merge_implIS3_N6thrust23THRUST_200600_302600_NS6detail15normal_iteratorINS9_10device_ptrIjEEEEPS5_m9comp_mod3IjEEE10hipError_tT0_T1_T2_jT3_P12ihipStream_tbPNSt15iterator_traitsISJ_E10value_typeEPNSP_ISK_E10value_typeEPSL_NS1_7vsmem_tEENKUlT_SJ_SK_SL_E_clIPjSE_SF_SF_EESI_SY_SJ_SK_SL_EUlSY_E1_NS1_11comp_targetILNS1_3genE10ELNS1_11target_archE1201ELNS1_3gpuE5ELNS1_3repE0EEENS1_36merge_oddeven_config_static_selectorELNS0_4arch9wavefront6targetE0EEEvSK_ ; -- Begin function _ZN7rocprim17ROCPRIM_400000_NS6detail17trampoline_kernelINS0_14default_configENS1_38merge_sort_block_merge_config_selectorIjNS0_10empty_typeEEEZZNS1_27merge_sort_block_merge_implIS3_N6thrust23THRUST_200600_302600_NS6detail15normal_iteratorINS9_10device_ptrIjEEEEPS5_m9comp_mod3IjEEE10hipError_tT0_T1_T2_jT3_P12ihipStream_tbPNSt15iterator_traitsISJ_E10value_typeEPNSP_ISK_E10value_typeEPSL_NS1_7vsmem_tEENKUlT_SJ_SK_SL_E_clIPjSE_SF_SF_EESI_SY_SJ_SK_SL_EUlSY_E1_NS1_11comp_targetILNS1_3genE10ELNS1_11target_archE1201ELNS1_3gpuE5ELNS1_3repE0EEENS1_36merge_oddeven_config_static_selectorELNS0_4arch9wavefront6targetE0EEEvSK_
	.globl	_ZN7rocprim17ROCPRIM_400000_NS6detail17trampoline_kernelINS0_14default_configENS1_38merge_sort_block_merge_config_selectorIjNS0_10empty_typeEEEZZNS1_27merge_sort_block_merge_implIS3_N6thrust23THRUST_200600_302600_NS6detail15normal_iteratorINS9_10device_ptrIjEEEEPS5_m9comp_mod3IjEEE10hipError_tT0_T1_T2_jT3_P12ihipStream_tbPNSt15iterator_traitsISJ_E10value_typeEPNSP_ISK_E10value_typeEPSL_NS1_7vsmem_tEENKUlT_SJ_SK_SL_E_clIPjSE_SF_SF_EESI_SY_SJ_SK_SL_EUlSY_E1_NS1_11comp_targetILNS1_3genE10ELNS1_11target_archE1201ELNS1_3gpuE5ELNS1_3repE0EEENS1_36merge_oddeven_config_static_selectorELNS0_4arch9wavefront6targetE0EEEvSK_
	.p2align	8
	.type	_ZN7rocprim17ROCPRIM_400000_NS6detail17trampoline_kernelINS0_14default_configENS1_38merge_sort_block_merge_config_selectorIjNS0_10empty_typeEEEZZNS1_27merge_sort_block_merge_implIS3_N6thrust23THRUST_200600_302600_NS6detail15normal_iteratorINS9_10device_ptrIjEEEEPS5_m9comp_mod3IjEEE10hipError_tT0_T1_T2_jT3_P12ihipStream_tbPNSt15iterator_traitsISJ_E10value_typeEPNSP_ISK_E10value_typeEPSL_NS1_7vsmem_tEENKUlT_SJ_SK_SL_E_clIPjSE_SF_SF_EESI_SY_SJ_SK_SL_EUlSY_E1_NS1_11comp_targetILNS1_3genE10ELNS1_11target_archE1201ELNS1_3gpuE5ELNS1_3repE0EEENS1_36merge_oddeven_config_static_selectorELNS0_4arch9wavefront6targetE0EEEvSK_,@function
_ZN7rocprim17ROCPRIM_400000_NS6detail17trampoline_kernelINS0_14default_configENS1_38merge_sort_block_merge_config_selectorIjNS0_10empty_typeEEEZZNS1_27merge_sort_block_merge_implIS3_N6thrust23THRUST_200600_302600_NS6detail15normal_iteratorINS9_10device_ptrIjEEEEPS5_m9comp_mod3IjEEE10hipError_tT0_T1_T2_jT3_P12ihipStream_tbPNSt15iterator_traitsISJ_E10value_typeEPNSP_ISK_E10value_typeEPSL_NS1_7vsmem_tEENKUlT_SJ_SK_SL_E_clIPjSE_SF_SF_EESI_SY_SJ_SK_SL_EUlSY_E1_NS1_11comp_targetILNS1_3genE10ELNS1_11target_archE1201ELNS1_3gpuE5ELNS1_3repE0EEENS1_36merge_oddeven_config_static_selectorELNS0_4arch9wavefront6targetE0EEEvSK_: ; @_ZN7rocprim17ROCPRIM_400000_NS6detail17trampoline_kernelINS0_14default_configENS1_38merge_sort_block_merge_config_selectorIjNS0_10empty_typeEEEZZNS1_27merge_sort_block_merge_implIS3_N6thrust23THRUST_200600_302600_NS6detail15normal_iteratorINS9_10device_ptrIjEEEEPS5_m9comp_mod3IjEEE10hipError_tT0_T1_T2_jT3_P12ihipStream_tbPNSt15iterator_traitsISJ_E10value_typeEPNSP_ISK_E10value_typeEPSL_NS1_7vsmem_tEENKUlT_SJ_SK_SL_E_clIPjSE_SF_SF_EESI_SY_SJ_SK_SL_EUlSY_E1_NS1_11comp_targetILNS1_3genE10ELNS1_11target_archE1201ELNS1_3gpuE5ELNS1_3repE0EEENS1_36merge_oddeven_config_static_selectorELNS0_4arch9wavefront6targetE0EEEvSK_
; %bb.0:
	.section	.rodata,"a",@progbits
	.p2align	6, 0x0
	.amdhsa_kernel _ZN7rocprim17ROCPRIM_400000_NS6detail17trampoline_kernelINS0_14default_configENS1_38merge_sort_block_merge_config_selectorIjNS0_10empty_typeEEEZZNS1_27merge_sort_block_merge_implIS3_N6thrust23THRUST_200600_302600_NS6detail15normal_iteratorINS9_10device_ptrIjEEEEPS5_m9comp_mod3IjEEE10hipError_tT0_T1_T2_jT3_P12ihipStream_tbPNSt15iterator_traitsISJ_E10value_typeEPNSP_ISK_E10value_typeEPSL_NS1_7vsmem_tEENKUlT_SJ_SK_SL_E_clIPjSE_SF_SF_EESI_SY_SJ_SK_SL_EUlSY_E1_NS1_11comp_targetILNS1_3genE10ELNS1_11target_archE1201ELNS1_3gpuE5ELNS1_3repE0EEENS1_36merge_oddeven_config_static_selectorELNS0_4arch9wavefront6targetE0EEEvSK_
		.amdhsa_group_segment_fixed_size 0
		.amdhsa_private_segment_fixed_size 0
		.amdhsa_kernarg_size 56
		.amdhsa_user_sgpr_count 6
		.amdhsa_user_sgpr_private_segment_buffer 1
		.amdhsa_user_sgpr_dispatch_ptr 0
		.amdhsa_user_sgpr_queue_ptr 0
		.amdhsa_user_sgpr_kernarg_segment_ptr 1
		.amdhsa_user_sgpr_dispatch_id 0
		.amdhsa_user_sgpr_flat_scratch_init 0
		.amdhsa_user_sgpr_private_segment_size 0
		.amdhsa_wavefront_size32 1
		.amdhsa_uses_dynamic_stack 0
		.amdhsa_system_sgpr_private_segment_wavefront_offset 0
		.amdhsa_system_sgpr_workgroup_id_x 1
		.amdhsa_system_sgpr_workgroup_id_y 0
		.amdhsa_system_sgpr_workgroup_id_z 0
		.amdhsa_system_sgpr_workgroup_info 0
		.amdhsa_system_vgpr_workitem_id 0
		.amdhsa_next_free_vgpr 1
		.amdhsa_next_free_sgpr 1
		.amdhsa_reserve_vcc 0
		.amdhsa_reserve_flat_scratch 0
		.amdhsa_float_round_mode_32 0
		.amdhsa_float_round_mode_16_64 0
		.amdhsa_float_denorm_mode_32 3
		.amdhsa_float_denorm_mode_16_64 3
		.amdhsa_dx10_clamp 1
		.amdhsa_ieee_mode 1
		.amdhsa_fp16_overflow 0
		.amdhsa_workgroup_processor_mode 1
		.amdhsa_memory_ordered 1
		.amdhsa_forward_progress 1
		.amdhsa_shared_vgpr_count 0
		.amdhsa_exception_fp_ieee_invalid_op 0
		.amdhsa_exception_fp_denorm_src 0
		.amdhsa_exception_fp_ieee_div_zero 0
		.amdhsa_exception_fp_ieee_overflow 0
		.amdhsa_exception_fp_ieee_underflow 0
		.amdhsa_exception_fp_ieee_inexact 0
		.amdhsa_exception_int_div_zero 0
	.end_amdhsa_kernel
	.section	.text._ZN7rocprim17ROCPRIM_400000_NS6detail17trampoline_kernelINS0_14default_configENS1_38merge_sort_block_merge_config_selectorIjNS0_10empty_typeEEEZZNS1_27merge_sort_block_merge_implIS3_N6thrust23THRUST_200600_302600_NS6detail15normal_iteratorINS9_10device_ptrIjEEEEPS5_m9comp_mod3IjEEE10hipError_tT0_T1_T2_jT3_P12ihipStream_tbPNSt15iterator_traitsISJ_E10value_typeEPNSP_ISK_E10value_typeEPSL_NS1_7vsmem_tEENKUlT_SJ_SK_SL_E_clIPjSE_SF_SF_EESI_SY_SJ_SK_SL_EUlSY_E1_NS1_11comp_targetILNS1_3genE10ELNS1_11target_archE1201ELNS1_3gpuE5ELNS1_3repE0EEENS1_36merge_oddeven_config_static_selectorELNS0_4arch9wavefront6targetE0EEEvSK_,"axG",@progbits,_ZN7rocprim17ROCPRIM_400000_NS6detail17trampoline_kernelINS0_14default_configENS1_38merge_sort_block_merge_config_selectorIjNS0_10empty_typeEEEZZNS1_27merge_sort_block_merge_implIS3_N6thrust23THRUST_200600_302600_NS6detail15normal_iteratorINS9_10device_ptrIjEEEEPS5_m9comp_mod3IjEEE10hipError_tT0_T1_T2_jT3_P12ihipStream_tbPNSt15iterator_traitsISJ_E10value_typeEPNSP_ISK_E10value_typeEPSL_NS1_7vsmem_tEENKUlT_SJ_SK_SL_E_clIPjSE_SF_SF_EESI_SY_SJ_SK_SL_EUlSY_E1_NS1_11comp_targetILNS1_3genE10ELNS1_11target_archE1201ELNS1_3gpuE5ELNS1_3repE0EEENS1_36merge_oddeven_config_static_selectorELNS0_4arch9wavefront6targetE0EEEvSK_,comdat
.Lfunc_end833:
	.size	_ZN7rocprim17ROCPRIM_400000_NS6detail17trampoline_kernelINS0_14default_configENS1_38merge_sort_block_merge_config_selectorIjNS0_10empty_typeEEEZZNS1_27merge_sort_block_merge_implIS3_N6thrust23THRUST_200600_302600_NS6detail15normal_iteratorINS9_10device_ptrIjEEEEPS5_m9comp_mod3IjEEE10hipError_tT0_T1_T2_jT3_P12ihipStream_tbPNSt15iterator_traitsISJ_E10value_typeEPNSP_ISK_E10value_typeEPSL_NS1_7vsmem_tEENKUlT_SJ_SK_SL_E_clIPjSE_SF_SF_EESI_SY_SJ_SK_SL_EUlSY_E1_NS1_11comp_targetILNS1_3genE10ELNS1_11target_archE1201ELNS1_3gpuE5ELNS1_3repE0EEENS1_36merge_oddeven_config_static_selectorELNS0_4arch9wavefront6targetE0EEEvSK_, .Lfunc_end833-_ZN7rocprim17ROCPRIM_400000_NS6detail17trampoline_kernelINS0_14default_configENS1_38merge_sort_block_merge_config_selectorIjNS0_10empty_typeEEEZZNS1_27merge_sort_block_merge_implIS3_N6thrust23THRUST_200600_302600_NS6detail15normal_iteratorINS9_10device_ptrIjEEEEPS5_m9comp_mod3IjEEE10hipError_tT0_T1_T2_jT3_P12ihipStream_tbPNSt15iterator_traitsISJ_E10value_typeEPNSP_ISK_E10value_typeEPSL_NS1_7vsmem_tEENKUlT_SJ_SK_SL_E_clIPjSE_SF_SF_EESI_SY_SJ_SK_SL_EUlSY_E1_NS1_11comp_targetILNS1_3genE10ELNS1_11target_archE1201ELNS1_3gpuE5ELNS1_3repE0EEENS1_36merge_oddeven_config_static_selectorELNS0_4arch9wavefront6targetE0EEEvSK_
                                        ; -- End function
	.set _ZN7rocprim17ROCPRIM_400000_NS6detail17trampoline_kernelINS0_14default_configENS1_38merge_sort_block_merge_config_selectorIjNS0_10empty_typeEEEZZNS1_27merge_sort_block_merge_implIS3_N6thrust23THRUST_200600_302600_NS6detail15normal_iteratorINS9_10device_ptrIjEEEEPS5_m9comp_mod3IjEEE10hipError_tT0_T1_T2_jT3_P12ihipStream_tbPNSt15iterator_traitsISJ_E10value_typeEPNSP_ISK_E10value_typeEPSL_NS1_7vsmem_tEENKUlT_SJ_SK_SL_E_clIPjSE_SF_SF_EESI_SY_SJ_SK_SL_EUlSY_E1_NS1_11comp_targetILNS1_3genE10ELNS1_11target_archE1201ELNS1_3gpuE5ELNS1_3repE0EEENS1_36merge_oddeven_config_static_selectorELNS0_4arch9wavefront6targetE0EEEvSK_.num_vgpr, 0
	.set _ZN7rocprim17ROCPRIM_400000_NS6detail17trampoline_kernelINS0_14default_configENS1_38merge_sort_block_merge_config_selectorIjNS0_10empty_typeEEEZZNS1_27merge_sort_block_merge_implIS3_N6thrust23THRUST_200600_302600_NS6detail15normal_iteratorINS9_10device_ptrIjEEEEPS5_m9comp_mod3IjEEE10hipError_tT0_T1_T2_jT3_P12ihipStream_tbPNSt15iterator_traitsISJ_E10value_typeEPNSP_ISK_E10value_typeEPSL_NS1_7vsmem_tEENKUlT_SJ_SK_SL_E_clIPjSE_SF_SF_EESI_SY_SJ_SK_SL_EUlSY_E1_NS1_11comp_targetILNS1_3genE10ELNS1_11target_archE1201ELNS1_3gpuE5ELNS1_3repE0EEENS1_36merge_oddeven_config_static_selectorELNS0_4arch9wavefront6targetE0EEEvSK_.num_agpr, 0
	.set _ZN7rocprim17ROCPRIM_400000_NS6detail17trampoline_kernelINS0_14default_configENS1_38merge_sort_block_merge_config_selectorIjNS0_10empty_typeEEEZZNS1_27merge_sort_block_merge_implIS3_N6thrust23THRUST_200600_302600_NS6detail15normal_iteratorINS9_10device_ptrIjEEEEPS5_m9comp_mod3IjEEE10hipError_tT0_T1_T2_jT3_P12ihipStream_tbPNSt15iterator_traitsISJ_E10value_typeEPNSP_ISK_E10value_typeEPSL_NS1_7vsmem_tEENKUlT_SJ_SK_SL_E_clIPjSE_SF_SF_EESI_SY_SJ_SK_SL_EUlSY_E1_NS1_11comp_targetILNS1_3genE10ELNS1_11target_archE1201ELNS1_3gpuE5ELNS1_3repE0EEENS1_36merge_oddeven_config_static_selectorELNS0_4arch9wavefront6targetE0EEEvSK_.numbered_sgpr, 0
	.set _ZN7rocprim17ROCPRIM_400000_NS6detail17trampoline_kernelINS0_14default_configENS1_38merge_sort_block_merge_config_selectorIjNS0_10empty_typeEEEZZNS1_27merge_sort_block_merge_implIS3_N6thrust23THRUST_200600_302600_NS6detail15normal_iteratorINS9_10device_ptrIjEEEEPS5_m9comp_mod3IjEEE10hipError_tT0_T1_T2_jT3_P12ihipStream_tbPNSt15iterator_traitsISJ_E10value_typeEPNSP_ISK_E10value_typeEPSL_NS1_7vsmem_tEENKUlT_SJ_SK_SL_E_clIPjSE_SF_SF_EESI_SY_SJ_SK_SL_EUlSY_E1_NS1_11comp_targetILNS1_3genE10ELNS1_11target_archE1201ELNS1_3gpuE5ELNS1_3repE0EEENS1_36merge_oddeven_config_static_selectorELNS0_4arch9wavefront6targetE0EEEvSK_.num_named_barrier, 0
	.set _ZN7rocprim17ROCPRIM_400000_NS6detail17trampoline_kernelINS0_14default_configENS1_38merge_sort_block_merge_config_selectorIjNS0_10empty_typeEEEZZNS1_27merge_sort_block_merge_implIS3_N6thrust23THRUST_200600_302600_NS6detail15normal_iteratorINS9_10device_ptrIjEEEEPS5_m9comp_mod3IjEEE10hipError_tT0_T1_T2_jT3_P12ihipStream_tbPNSt15iterator_traitsISJ_E10value_typeEPNSP_ISK_E10value_typeEPSL_NS1_7vsmem_tEENKUlT_SJ_SK_SL_E_clIPjSE_SF_SF_EESI_SY_SJ_SK_SL_EUlSY_E1_NS1_11comp_targetILNS1_3genE10ELNS1_11target_archE1201ELNS1_3gpuE5ELNS1_3repE0EEENS1_36merge_oddeven_config_static_selectorELNS0_4arch9wavefront6targetE0EEEvSK_.private_seg_size, 0
	.set _ZN7rocprim17ROCPRIM_400000_NS6detail17trampoline_kernelINS0_14default_configENS1_38merge_sort_block_merge_config_selectorIjNS0_10empty_typeEEEZZNS1_27merge_sort_block_merge_implIS3_N6thrust23THRUST_200600_302600_NS6detail15normal_iteratorINS9_10device_ptrIjEEEEPS5_m9comp_mod3IjEEE10hipError_tT0_T1_T2_jT3_P12ihipStream_tbPNSt15iterator_traitsISJ_E10value_typeEPNSP_ISK_E10value_typeEPSL_NS1_7vsmem_tEENKUlT_SJ_SK_SL_E_clIPjSE_SF_SF_EESI_SY_SJ_SK_SL_EUlSY_E1_NS1_11comp_targetILNS1_3genE10ELNS1_11target_archE1201ELNS1_3gpuE5ELNS1_3repE0EEENS1_36merge_oddeven_config_static_selectorELNS0_4arch9wavefront6targetE0EEEvSK_.uses_vcc, 0
	.set _ZN7rocprim17ROCPRIM_400000_NS6detail17trampoline_kernelINS0_14default_configENS1_38merge_sort_block_merge_config_selectorIjNS0_10empty_typeEEEZZNS1_27merge_sort_block_merge_implIS3_N6thrust23THRUST_200600_302600_NS6detail15normal_iteratorINS9_10device_ptrIjEEEEPS5_m9comp_mod3IjEEE10hipError_tT0_T1_T2_jT3_P12ihipStream_tbPNSt15iterator_traitsISJ_E10value_typeEPNSP_ISK_E10value_typeEPSL_NS1_7vsmem_tEENKUlT_SJ_SK_SL_E_clIPjSE_SF_SF_EESI_SY_SJ_SK_SL_EUlSY_E1_NS1_11comp_targetILNS1_3genE10ELNS1_11target_archE1201ELNS1_3gpuE5ELNS1_3repE0EEENS1_36merge_oddeven_config_static_selectorELNS0_4arch9wavefront6targetE0EEEvSK_.uses_flat_scratch, 0
	.set _ZN7rocprim17ROCPRIM_400000_NS6detail17trampoline_kernelINS0_14default_configENS1_38merge_sort_block_merge_config_selectorIjNS0_10empty_typeEEEZZNS1_27merge_sort_block_merge_implIS3_N6thrust23THRUST_200600_302600_NS6detail15normal_iteratorINS9_10device_ptrIjEEEEPS5_m9comp_mod3IjEEE10hipError_tT0_T1_T2_jT3_P12ihipStream_tbPNSt15iterator_traitsISJ_E10value_typeEPNSP_ISK_E10value_typeEPSL_NS1_7vsmem_tEENKUlT_SJ_SK_SL_E_clIPjSE_SF_SF_EESI_SY_SJ_SK_SL_EUlSY_E1_NS1_11comp_targetILNS1_3genE10ELNS1_11target_archE1201ELNS1_3gpuE5ELNS1_3repE0EEENS1_36merge_oddeven_config_static_selectorELNS0_4arch9wavefront6targetE0EEEvSK_.has_dyn_sized_stack, 0
	.set _ZN7rocprim17ROCPRIM_400000_NS6detail17trampoline_kernelINS0_14default_configENS1_38merge_sort_block_merge_config_selectorIjNS0_10empty_typeEEEZZNS1_27merge_sort_block_merge_implIS3_N6thrust23THRUST_200600_302600_NS6detail15normal_iteratorINS9_10device_ptrIjEEEEPS5_m9comp_mod3IjEEE10hipError_tT0_T1_T2_jT3_P12ihipStream_tbPNSt15iterator_traitsISJ_E10value_typeEPNSP_ISK_E10value_typeEPSL_NS1_7vsmem_tEENKUlT_SJ_SK_SL_E_clIPjSE_SF_SF_EESI_SY_SJ_SK_SL_EUlSY_E1_NS1_11comp_targetILNS1_3genE10ELNS1_11target_archE1201ELNS1_3gpuE5ELNS1_3repE0EEENS1_36merge_oddeven_config_static_selectorELNS0_4arch9wavefront6targetE0EEEvSK_.has_recursion, 0
	.set _ZN7rocprim17ROCPRIM_400000_NS6detail17trampoline_kernelINS0_14default_configENS1_38merge_sort_block_merge_config_selectorIjNS0_10empty_typeEEEZZNS1_27merge_sort_block_merge_implIS3_N6thrust23THRUST_200600_302600_NS6detail15normal_iteratorINS9_10device_ptrIjEEEEPS5_m9comp_mod3IjEEE10hipError_tT0_T1_T2_jT3_P12ihipStream_tbPNSt15iterator_traitsISJ_E10value_typeEPNSP_ISK_E10value_typeEPSL_NS1_7vsmem_tEENKUlT_SJ_SK_SL_E_clIPjSE_SF_SF_EESI_SY_SJ_SK_SL_EUlSY_E1_NS1_11comp_targetILNS1_3genE10ELNS1_11target_archE1201ELNS1_3gpuE5ELNS1_3repE0EEENS1_36merge_oddeven_config_static_selectorELNS0_4arch9wavefront6targetE0EEEvSK_.has_indirect_call, 0
	.section	.AMDGPU.csdata,"",@progbits
; Kernel info:
; codeLenInByte = 0
; TotalNumSgprs: 0
; NumVgprs: 0
; ScratchSize: 0
; MemoryBound: 0
; FloatMode: 240
; IeeeMode: 1
; LDSByteSize: 0 bytes/workgroup (compile time only)
; SGPRBlocks: 0
; VGPRBlocks: 0
; NumSGPRsForWavesPerEU: 1
; NumVGPRsForWavesPerEU: 1
; Occupancy: 16
; WaveLimiterHint : 0
; COMPUTE_PGM_RSRC2:SCRATCH_EN: 0
; COMPUTE_PGM_RSRC2:USER_SGPR: 6
; COMPUTE_PGM_RSRC2:TRAP_HANDLER: 0
; COMPUTE_PGM_RSRC2:TGID_X_EN: 1
; COMPUTE_PGM_RSRC2:TGID_Y_EN: 0
; COMPUTE_PGM_RSRC2:TGID_Z_EN: 0
; COMPUTE_PGM_RSRC2:TIDIG_COMP_CNT: 0
	.section	.text._ZN7rocprim17ROCPRIM_400000_NS6detail17trampoline_kernelINS0_14default_configENS1_38merge_sort_block_merge_config_selectorIjNS0_10empty_typeEEEZZNS1_27merge_sort_block_merge_implIS3_N6thrust23THRUST_200600_302600_NS6detail15normal_iteratorINS9_10device_ptrIjEEEEPS5_m9comp_mod3IjEEE10hipError_tT0_T1_T2_jT3_P12ihipStream_tbPNSt15iterator_traitsISJ_E10value_typeEPNSP_ISK_E10value_typeEPSL_NS1_7vsmem_tEENKUlT_SJ_SK_SL_E_clIPjSE_SF_SF_EESI_SY_SJ_SK_SL_EUlSY_E1_NS1_11comp_targetILNS1_3genE5ELNS1_11target_archE942ELNS1_3gpuE9ELNS1_3repE0EEENS1_36merge_oddeven_config_static_selectorELNS0_4arch9wavefront6targetE0EEEvSK_,"axG",@progbits,_ZN7rocprim17ROCPRIM_400000_NS6detail17trampoline_kernelINS0_14default_configENS1_38merge_sort_block_merge_config_selectorIjNS0_10empty_typeEEEZZNS1_27merge_sort_block_merge_implIS3_N6thrust23THRUST_200600_302600_NS6detail15normal_iteratorINS9_10device_ptrIjEEEEPS5_m9comp_mod3IjEEE10hipError_tT0_T1_T2_jT3_P12ihipStream_tbPNSt15iterator_traitsISJ_E10value_typeEPNSP_ISK_E10value_typeEPSL_NS1_7vsmem_tEENKUlT_SJ_SK_SL_E_clIPjSE_SF_SF_EESI_SY_SJ_SK_SL_EUlSY_E1_NS1_11comp_targetILNS1_3genE5ELNS1_11target_archE942ELNS1_3gpuE9ELNS1_3repE0EEENS1_36merge_oddeven_config_static_selectorELNS0_4arch9wavefront6targetE0EEEvSK_,comdat
	.protected	_ZN7rocprim17ROCPRIM_400000_NS6detail17trampoline_kernelINS0_14default_configENS1_38merge_sort_block_merge_config_selectorIjNS0_10empty_typeEEEZZNS1_27merge_sort_block_merge_implIS3_N6thrust23THRUST_200600_302600_NS6detail15normal_iteratorINS9_10device_ptrIjEEEEPS5_m9comp_mod3IjEEE10hipError_tT0_T1_T2_jT3_P12ihipStream_tbPNSt15iterator_traitsISJ_E10value_typeEPNSP_ISK_E10value_typeEPSL_NS1_7vsmem_tEENKUlT_SJ_SK_SL_E_clIPjSE_SF_SF_EESI_SY_SJ_SK_SL_EUlSY_E1_NS1_11comp_targetILNS1_3genE5ELNS1_11target_archE942ELNS1_3gpuE9ELNS1_3repE0EEENS1_36merge_oddeven_config_static_selectorELNS0_4arch9wavefront6targetE0EEEvSK_ ; -- Begin function _ZN7rocprim17ROCPRIM_400000_NS6detail17trampoline_kernelINS0_14default_configENS1_38merge_sort_block_merge_config_selectorIjNS0_10empty_typeEEEZZNS1_27merge_sort_block_merge_implIS3_N6thrust23THRUST_200600_302600_NS6detail15normal_iteratorINS9_10device_ptrIjEEEEPS5_m9comp_mod3IjEEE10hipError_tT0_T1_T2_jT3_P12ihipStream_tbPNSt15iterator_traitsISJ_E10value_typeEPNSP_ISK_E10value_typeEPSL_NS1_7vsmem_tEENKUlT_SJ_SK_SL_E_clIPjSE_SF_SF_EESI_SY_SJ_SK_SL_EUlSY_E1_NS1_11comp_targetILNS1_3genE5ELNS1_11target_archE942ELNS1_3gpuE9ELNS1_3repE0EEENS1_36merge_oddeven_config_static_selectorELNS0_4arch9wavefront6targetE0EEEvSK_
	.globl	_ZN7rocprim17ROCPRIM_400000_NS6detail17trampoline_kernelINS0_14default_configENS1_38merge_sort_block_merge_config_selectorIjNS0_10empty_typeEEEZZNS1_27merge_sort_block_merge_implIS3_N6thrust23THRUST_200600_302600_NS6detail15normal_iteratorINS9_10device_ptrIjEEEEPS5_m9comp_mod3IjEEE10hipError_tT0_T1_T2_jT3_P12ihipStream_tbPNSt15iterator_traitsISJ_E10value_typeEPNSP_ISK_E10value_typeEPSL_NS1_7vsmem_tEENKUlT_SJ_SK_SL_E_clIPjSE_SF_SF_EESI_SY_SJ_SK_SL_EUlSY_E1_NS1_11comp_targetILNS1_3genE5ELNS1_11target_archE942ELNS1_3gpuE9ELNS1_3repE0EEENS1_36merge_oddeven_config_static_selectorELNS0_4arch9wavefront6targetE0EEEvSK_
	.p2align	8
	.type	_ZN7rocprim17ROCPRIM_400000_NS6detail17trampoline_kernelINS0_14default_configENS1_38merge_sort_block_merge_config_selectorIjNS0_10empty_typeEEEZZNS1_27merge_sort_block_merge_implIS3_N6thrust23THRUST_200600_302600_NS6detail15normal_iteratorINS9_10device_ptrIjEEEEPS5_m9comp_mod3IjEEE10hipError_tT0_T1_T2_jT3_P12ihipStream_tbPNSt15iterator_traitsISJ_E10value_typeEPNSP_ISK_E10value_typeEPSL_NS1_7vsmem_tEENKUlT_SJ_SK_SL_E_clIPjSE_SF_SF_EESI_SY_SJ_SK_SL_EUlSY_E1_NS1_11comp_targetILNS1_3genE5ELNS1_11target_archE942ELNS1_3gpuE9ELNS1_3repE0EEENS1_36merge_oddeven_config_static_selectorELNS0_4arch9wavefront6targetE0EEEvSK_,@function
_ZN7rocprim17ROCPRIM_400000_NS6detail17trampoline_kernelINS0_14default_configENS1_38merge_sort_block_merge_config_selectorIjNS0_10empty_typeEEEZZNS1_27merge_sort_block_merge_implIS3_N6thrust23THRUST_200600_302600_NS6detail15normal_iteratorINS9_10device_ptrIjEEEEPS5_m9comp_mod3IjEEE10hipError_tT0_T1_T2_jT3_P12ihipStream_tbPNSt15iterator_traitsISJ_E10value_typeEPNSP_ISK_E10value_typeEPSL_NS1_7vsmem_tEENKUlT_SJ_SK_SL_E_clIPjSE_SF_SF_EESI_SY_SJ_SK_SL_EUlSY_E1_NS1_11comp_targetILNS1_3genE5ELNS1_11target_archE942ELNS1_3gpuE9ELNS1_3repE0EEENS1_36merge_oddeven_config_static_selectorELNS0_4arch9wavefront6targetE0EEEvSK_: ; @_ZN7rocprim17ROCPRIM_400000_NS6detail17trampoline_kernelINS0_14default_configENS1_38merge_sort_block_merge_config_selectorIjNS0_10empty_typeEEEZZNS1_27merge_sort_block_merge_implIS3_N6thrust23THRUST_200600_302600_NS6detail15normal_iteratorINS9_10device_ptrIjEEEEPS5_m9comp_mod3IjEEE10hipError_tT0_T1_T2_jT3_P12ihipStream_tbPNSt15iterator_traitsISJ_E10value_typeEPNSP_ISK_E10value_typeEPSL_NS1_7vsmem_tEENKUlT_SJ_SK_SL_E_clIPjSE_SF_SF_EESI_SY_SJ_SK_SL_EUlSY_E1_NS1_11comp_targetILNS1_3genE5ELNS1_11target_archE942ELNS1_3gpuE9ELNS1_3repE0EEENS1_36merge_oddeven_config_static_selectorELNS0_4arch9wavefront6targetE0EEEvSK_
; %bb.0:
	.section	.rodata,"a",@progbits
	.p2align	6, 0x0
	.amdhsa_kernel _ZN7rocprim17ROCPRIM_400000_NS6detail17trampoline_kernelINS0_14default_configENS1_38merge_sort_block_merge_config_selectorIjNS0_10empty_typeEEEZZNS1_27merge_sort_block_merge_implIS3_N6thrust23THRUST_200600_302600_NS6detail15normal_iteratorINS9_10device_ptrIjEEEEPS5_m9comp_mod3IjEEE10hipError_tT0_T1_T2_jT3_P12ihipStream_tbPNSt15iterator_traitsISJ_E10value_typeEPNSP_ISK_E10value_typeEPSL_NS1_7vsmem_tEENKUlT_SJ_SK_SL_E_clIPjSE_SF_SF_EESI_SY_SJ_SK_SL_EUlSY_E1_NS1_11comp_targetILNS1_3genE5ELNS1_11target_archE942ELNS1_3gpuE9ELNS1_3repE0EEENS1_36merge_oddeven_config_static_selectorELNS0_4arch9wavefront6targetE0EEEvSK_
		.amdhsa_group_segment_fixed_size 0
		.amdhsa_private_segment_fixed_size 0
		.amdhsa_kernarg_size 56
		.amdhsa_user_sgpr_count 6
		.amdhsa_user_sgpr_private_segment_buffer 1
		.amdhsa_user_sgpr_dispatch_ptr 0
		.amdhsa_user_sgpr_queue_ptr 0
		.amdhsa_user_sgpr_kernarg_segment_ptr 1
		.amdhsa_user_sgpr_dispatch_id 0
		.amdhsa_user_sgpr_flat_scratch_init 0
		.amdhsa_user_sgpr_private_segment_size 0
		.amdhsa_wavefront_size32 1
		.amdhsa_uses_dynamic_stack 0
		.amdhsa_system_sgpr_private_segment_wavefront_offset 0
		.amdhsa_system_sgpr_workgroup_id_x 1
		.amdhsa_system_sgpr_workgroup_id_y 0
		.amdhsa_system_sgpr_workgroup_id_z 0
		.amdhsa_system_sgpr_workgroup_info 0
		.amdhsa_system_vgpr_workitem_id 0
		.amdhsa_next_free_vgpr 1
		.amdhsa_next_free_sgpr 1
		.amdhsa_reserve_vcc 0
		.amdhsa_reserve_flat_scratch 0
		.amdhsa_float_round_mode_32 0
		.amdhsa_float_round_mode_16_64 0
		.amdhsa_float_denorm_mode_32 3
		.amdhsa_float_denorm_mode_16_64 3
		.amdhsa_dx10_clamp 1
		.amdhsa_ieee_mode 1
		.amdhsa_fp16_overflow 0
		.amdhsa_workgroup_processor_mode 1
		.amdhsa_memory_ordered 1
		.amdhsa_forward_progress 1
		.amdhsa_shared_vgpr_count 0
		.amdhsa_exception_fp_ieee_invalid_op 0
		.amdhsa_exception_fp_denorm_src 0
		.amdhsa_exception_fp_ieee_div_zero 0
		.amdhsa_exception_fp_ieee_overflow 0
		.amdhsa_exception_fp_ieee_underflow 0
		.amdhsa_exception_fp_ieee_inexact 0
		.amdhsa_exception_int_div_zero 0
	.end_amdhsa_kernel
	.section	.text._ZN7rocprim17ROCPRIM_400000_NS6detail17trampoline_kernelINS0_14default_configENS1_38merge_sort_block_merge_config_selectorIjNS0_10empty_typeEEEZZNS1_27merge_sort_block_merge_implIS3_N6thrust23THRUST_200600_302600_NS6detail15normal_iteratorINS9_10device_ptrIjEEEEPS5_m9comp_mod3IjEEE10hipError_tT0_T1_T2_jT3_P12ihipStream_tbPNSt15iterator_traitsISJ_E10value_typeEPNSP_ISK_E10value_typeEPSL_NS1_7vsmem_tEENKUlT_SJ_SK_SL_E_clIPjSE_SF_SF_EESI_SY_SJ_SK_SL_EUlSY_E1_NS1_11comp_targetILNS1_3genE5ELNS1_11target_archE942ELNS1_3gpuE9ELNS1_3repE0EEENS1_36merge_oddeven_config_static_selectorELNS0_4arch9wavefront6targetE0EEEvSK_,"axG",@progbits,_ZN7rocprim17ROCPRIM_400000_NS6detail17trampoline_kernelINS0_14default_configENS1_38merge_sort_block_merge_config_selectorIjNS0_10empty_typeEEEZZNS1_27merge_sort_block_merge_implIS3_N6thrust23THRUST_200600_302600_NS6detail15normal_iteratorINS9_10device_ptrIjEEEEPS5_m9comp_mod3IjEEE10hipError_tT0_T1_T2_jT3_P12ihipStream_tbPNSt15iterator_traitsISJ_E10value_typeEPNSP_ISK_E10value_typeEPSL_NS1_7vsmem_tEENKUlT_SJ_SK_SL_E_clIPjSE_SF_SF_EESI_SY_SJ_SK_SL_EUlSY_E1_NS1_11comp_targetILNS1_3genE5ELNS1_11target_archE942ELNS1_3gpuE9ELNS1_3repE0EEENS1_36merge_oddeven_config_static_selectorELNS0_4arch9wavefront6targetE0EEEvSK_,comdat
.Lfunc_end834:
	.size	_ZN7rocprim17ROCPRIM_400000_NS6detail17trampoline_kernelINS0_14default_configENS1_38merge_sort_block_merge_config_selectorIjNS0_10empty_typeEEEZZNS1_27merge_sort_block_merge_implIS3_N6thrust23THRUST_200600_302600_NS6detail15normal_iteratorINS9_10device_ptrIjEEEEPS5_m9comp_mod3IjEEE10hipError_tT0_T1_T2_jT3_P12ihipStream_tbPNSt15iterator_traitsISJ_E10value_typeEPNSP_ISK_E10value_typeEPSL_NS1_7vsmem_tEENKUlT_SJ_SK_SL_E_clIPjSE_SF_SF_EESI_SY_SJ_SK_SL_EUlSY_E1_NS1_11comp_targetILNS1_3genE5ELNS1_11target_archE942ELNS1_3gpuE9ELNS1_3repE0EEENS1_36merge_oddeven_config_static_selectorELNS0_4arch9wavefront6targetE0EEEvSK_, .Lfunc_end834-_ZN7rocprim17ROCPRIM_400000_NS6detail17trampoline_kernelINS0_14default_configENS1_38merge_sort_block_merge_config_selectorIjNS0_10empty_typeEEEZZNS1_27merge_sort_block_merge_implIS3_N6thrust23THRUST_200600_302600_NS6detail15normal_iteratorINS9_10device_ptrIjEEEEPS5_m9comp_mod3IjEEE10hipError_tT0_T1_T2_jT3_P12ihipStream_tbPNSt15iterator_traitsISJ_E10value_typeEPNSP_ISK_E10value_typeEPSL_NS1_7vsmem_tEENKUlT_SJ_SK_SL_E_clIPjSE_SF_SF_EESI_SY_SJ_SK_SL_EUlSY_E1_NS1_11comp_targetILNS1_3genE5ELNS1_11target_archE942ELNS1_3gpuE9ELNS1_3repE0EEENS1_36merge_oddeven_config_static_selectorELNS0_4arch9wavefront6targetE0EEEvSK_
                                        ; -- End function
	.set _ZN7rocprim17ROCPRIM_400000_NS6detail17trampoline_kernelINS0_14default_configENS1_38merge_sort_block_merge_config_selectorIjNS0_10empty_typeEEEZZNS1_27merge_sort_block_merge_implIS3_N6thrust23THRUST_200600_302600_NS6detail15normal_iteratorINS9_10device_ptrIjEEEEPS5_m9comp_mod3IjEEE10hipError_tT0_T1_T2_jT3_P12ihipStream_tbPNSt15iterator_traitsISJ_E10value_typeEPNSP_ISK_E10value_typeEPSL_NS1_7vsmem_tEENKUlT_SJ_SK_SL_E_clIPjSE_SF_SF_EESI_SY_SJ_SK_SL_EUlSY_E1_NS1_11comp_targetILNS1_3genE5ELNS1_11target_archE942ELNS1_3gpuE9ELNS1_3repE0EEENS1_36merge_oddeven_config_static_selectorELNS0_4arch9wavefront6targetE0EEEvSK_.num_vgpr, 0
	.set _ZN7rocprim17ROCPRIM_400000_NS6detail17trampoline_kernelINS0_14default_configENS1_38merge_sort_block_merge_config_selectorIjNS0_10empty_typeEEEZZNS1_27merge_sort_block_merge_implIS3_N6thrust23THRUST_200600_302600_NS6detail15normal_iteratorINS9_10device_ptrIjEEEEPS5_m9comp_mod3IjEEE10hipError_tT0_T1_T2_jT3_P12ihipStream_tbPNSt15iterator_traitsISJ_E10value_typeEPNSP_ISK_E10value_typeEPSL_NS1_7vsmem_tEENKUlT_SJ_SK_SL_E_clIPjSE_SF_SF_EESI_SY_SJ_SK_SL_EUlSY_E1_NS1_11comp_targetILNS1_3genE5ELNS1_11target_archE942ELNS1_3gpuE9ELNS1_3repE0EEENS1_36merge_oddeven_config_static_selectorELNS0_4arch9wavefront6targetE0EEEvSK_.num_agpr, 0
	.set _ZN7rocprim17ROCPRIM_400000_NS6detail17trampoline_kernelINS0_14default_configENS1_38merge_sort_block_merge_config_selectorIjNS0_10empty_typeEEEZZNS1_27merge_sort_block_merge_implIS3_N6thrust23THRUST_200600_302600_NS6detail15normal_iteratorINS9_10device_ptrIjEEEEPS5_m9comp_mod3IjEEE10hipError_tT0_T1_T2_jT3_P12ihipStream_tbPNSt15iterator_traitsISJ_E10value_typeEPNSP_ISK_E10value_typeEPSL_NS1_7vsmem_tEENKUlT_SJ_SK_SL_E_clIPjSE_SF_SF_EESI_SY_SJ_SK_SL_EUlSY_E1_NS1_11comp_targetILNS1_3genE5ELNS1_11target_archE942ELNS1_3gpuE9ELNS1_3repE0EEENS1_36merge_oddeven_config_static_selectorELNS0_4arch9wavefront6targetE0EEEvSK_.numbered_sgpr, 0
	.set _ZN7rocprim17ROCPRIM_400000_NS6detail17trampoline_kernelINS0_14default_configENS1_38merge_sort_block_merge_config_selectorIjNS0_10empty_typeEEEZZNS1_27merge_sort_block_merge_implIS3_N6thrust23THRUST_200600_302600_NS6detail15normal_iteratorINS9_10device_ptrIjEEEEPS5_m9comp_mod3IjEEE10hipError_tT0_T1_T2_jT3_P12ihipStream_tbPNSt15iterator_traitsISJ_E10value_typeEPNSP_ISK_E10value_typeEPSL_NS1_7vsmem_tEENKUlT_SJ_SK_SL_E_clIPjSE_SF_SF_EESI_SY_SJ_SK_SL_EUlSY_E1_NS1_11comp_targetILNS1_3genE5ELNS1_11target_archE942ELNS1_3gpuE9ELNS1_3repE0EEENS1_36merge_oddeven_config_static_selectorELNS0_4arch9wavefront6targetE0EEEvSK_.num_named_barrier, 0
	.set _ZN7rocprim17ROCPRIM_400000_NS6detail17trampoline_kernelINS0_14default_configENS1_38merge_sort_block_merge_config_selectorIjNS0_10empty_typeEEEZZNS1_27merge_sort_block_merge_implIS3_N6thrust23THRUST_200600_302600_NS6detail15normal_iteratorINS9_10device_ptrIjEEEEPS5_m9comp_mod3IjEEE10hipError_tT0_T1_T2_jT3_P12ihipStream_tbPNSt15iterator_traitsISJ_E10value_typeEPNSP_ISK_E10value_typeEPSL_NS1_7vsmem_tEENKUlT_SJ_SK_SL_E_clIPjSE_SF_SF_EESI_SY_SJ_SK_SL_EUlSY_E1_NS1_11comp_targetILNS1_3genE5ELNS1_11target_archE942ELNS1_3gpuE9ELNS1_3repE0EEENS1_36merge_oddeven_config_static_selectorELNS0_4arch9wavefront6targetE0EEEvSK_.private_seg_size, 0
	.set _ZN7rocprim17ROCPRIM_400000_NS6detail17trampoline_kernelINS0_14default_configENS1_38merge_sort_block_merge_config_selectorIjNS0_10empty_typeEEEZZNS1_27merge_sort_block_merge_implIS3_N6thrust23THRUST_200600_302600_NS6detail15normal_iteratorINS9_10device_ptrIjEEEEPS5_m9comp_mod3IjEEE10hipError_tT0_T1_T2_jT3_P12ihipStream_tbPNSt15iterator_traitsISJ_E10value_typeEPNSP_ISK_E10value_typeEPSL_NS1_7vsmem_tEENKUlT_SJ_SK_SL_E_clIPjSE_SF_SF_EESI_SY_SJ_SK_SL_EUlSY_E1_NS1_11comp_targetILNS1_3genE5ELNS1_11target_archE942ELNS1_3gpuE9ELNS1_3repE0EEENS1_36merge_oddeven_config_static_selectorELNS0_4arch9wavefront6targetE0EEEvSK_.uses_vcc, 0
	.set _ZN7rocprim17ROCPRIM_400000_NS6detail17trampoline_kernelINS0_14default_configENS1_38merge_sort_block_merge_config_selectorIjNS0_10empty_typeEEEZZNS1_27merge_sort_block_merge_implIS3_N6thrust23THRUST_200600_302600_NS6detail15normal_iteratorINS9_10device_ptrIjEEEEPS5_m9comp_mod3IjEEE10hipError_tT0_T1_T2_jT3_P12ihipStream_tbPNSt15iterator_traitsISJ_E10value_typeEPNSP_ISK_E10value_typeEPSL_NS1_7vsmem_tEENKUlT_SJ_SK_SL_E_clIPjSE_SF_SF_EESI_SY_SJ_SK_SL_EUlSY_E1_NS1_11comp_targetILNS1_3genE5ELNS1_11target_archE942ELNS1_3gpuE9ELNS1_3repE0EEENS1_36merge_oddeven_config_static_selectorELNS0_4arch9wavefront6targetE0EEEvSK_.uses_flat_scratch, 0
	.set _ZN7rocprim17ROCPRIM_400000_NS6detail17trampoline_kernelINS0_14default_configENS1_38merge_sort_block_merge_config_selectorIjNS0_10empty_typeEEEZZNS1_27merge_sort_block_merge_implIS3_N6thrust23THRUST_200600_302600_NS6detail15normal_iteratorINS9_10device_ptrIjEEEEPS5_m9comp_mod3IjEEE10hipError_tT0_T1_T2_jT3_P12ihipStream_tbPNSt15iterator_traitsISJ_E10value_typeEPNSP_ISK_E10value_typeEPSL_NS1_7vsmem_tEENKUlT_SJ_SK_SL_E_clIPjSE_SF_SF_EESI_SY_SJ_SK_SL_EUlSY_E1_NS1_11comp_targetILNS1_3genE5ELNS1_11target_archE942ELNS1_3gpuE9ELNS1_3repE0EEENS1_36merge_oddeven_config_static_selectorELNS0_4arch9wavefront6targetE0EEEvSK_.has_dyn_sized_stack, 0
	.set _ZN7rocprim17ROCPRIM_400000_NS6detail17trampoline_kernelINS0_14default_configENS1_38merge_sort_block_merge_config_selectorIjNS0_10empty_typeEEEZZNS1_27merge_sort_block_merge_implIS3_N6thrust23THRUST_200600_302600_NS6detail15normal_iteratorINS9_10device_ptrIjEEEEPS5_m9comp_mod3IjEEE10hipError_tT0_T1_T2_jT3_P12ihipStream_tbPNSt15iterator_traitsISJ_E10value_typeEPNSP_ISK_E10value_typeEPSL_NS1_7vsmem_tEENKUlT_SJ_SK_SL_E_clIPjSE_SF_SF_EESI_SY_SJ_SK_SL_EUlSY_E1_NS1_11comp_targetILNS1_3genE5ELNS1_11target_archE942ELNS1_3gpuE9ELNS1_3repE0EEENS1_36merge_oddeven_config_static_selectorELNS0_4arch9wavefront6targetE0EEEvSK_.has_recursion, 0
	.set _ZN7rocprim17ROCPRIM_400000_NS6detail17trampoline_kernelINS0_14default_configENS1_38merge_sort_block_merge_config_selectorIjNS0_10empty_typeEEEZZNS1_27merge_sort_block_merge_implIS3_N6thrust23THRUST_200600_302600_NS6detail15normal_iteratorINS9_10device_ptrIjEEEEPS5_m9comp_mod3IjEEE10hipError_tT0_T1_T2_jT3_P12ihipStream_tbPNSt15iterator_traitsISJ_E10value_typeEPNSP_ISK_E10value_typeEPSL_NS1_7vsmem_tEENKUlT_SJ_SK_SL_E_clIPjSE_SF_SF_EESI_SY_SJ_SK_SL_EUlSY_E1_NS1_11comp_targetILNS1_3genE5ELNS1_11target_archE942ELNS1_3gpuE9ELNS1_3repE0EEENS1_36merge_oddeven_config_static_selectorELNS0_4arch9wavefront6targetE0EEEvSK_.has_indirect_call, 0
	.section	.AMDGPU.csdata,"",@progbits
; Kernel info:
; codeLenInByte = 0
; TotalNumSgprs: 0
; NumVgprs: 0
; ScratchSize: 0
; MemoryBound: 0
; FloatMode: 240
; IeeeMode: 1
; LDSByteSize: 0 bytes/workgroup (compile time only)
; SGPRBlocks: 0
; VGPRBlocks: 0
; NumSGPRsForWavesPerEU: 1
; NumVGPRsForWavesPerEU: 1
; Occupancy: 16
; WaveLimiterHint : 0
; COMPUTE_PGM_RSRC2:SCRATCH_EN: 0
; COMPUTE_PGM_RSRC2:USER_SGPR: 6
; COMPUTE_PGM_RSRC2:TRAP_HANDLER: 0
; COMPUTE_PGM_RSRC2:TGID_X_EN: 1
; COMPUTE_PGM_RSRC2:TGID_Y_EN: 0
; COMPUTE_PGM_RSRC2:TGID_Z_EN: 0
; COMPUTE_PGM_RSRC2:TIDIG_COMP_CNT: 0
	.section	.text._ZN7rocprim17ROCPRIM_400000_NS6detail17trampoline_kernelINS0_14default_configENS1_38merge_sort_block_merge_config_selectorIjNS0_10empty_typeEEEZZNS1_27merge_sort_block_merge_implIS3_N6thrust23THRUST_200600_302600_NS6detail15normal_iteratorINS9_10device_ptrIjEEEEPS5_m9comp_mod3IjEEE10hipError_tT0_T1_T2_jT3_P12ihipStream_tbPNSt15iterator_traitsISJ_E10value_typeEPNSP_ISK_E10value_typeEPSL_NS1_7vsmem_tEENKUlT_SJ_SK_SL_E_clIPjSE_SF_SF_EESI_SY_SJ_SK_SL_EUlSY_E1_NS1_11comp_targetILNS1_3genE4ELNS1_11target_archE910ELNS1_3gpuE8ELNS1_3repE0EEENS1_36merge_oddeven_config_static_selectorELNS0_4arch9wavefront6targetE0EEEvSK_,"axG",@progbits,_ZN7rocprim17ROCPRIM_400000_NS6detail17trampoline_kernelINS0_14default_configENS1_38merge_sort_block_merge_config_selectorIjNS0_10empty_typeEEEZZNS1_27merge_sort_block_merge_implIS3_N6thrust23THRUST_200600_302600_NS6detail15normal_iteratorINS9_10device_ptrIjEEEEPS5_m9comp_mod3IjEEE10hipError_tT0_T1_T2_jT3_P12ihipStream_tbPNSt15iterator_traitsISJ_E10value_typeEPNSP_ISK_E10value_typeEPSL_NS1_7vsmem_tEENKUlT_SJ_SK_SL_E_clIPjSE_SF_SF_EESI_SY_SJ_SK_SL_EUlSY_E1_NS1_11comp_targetILNS1_3genE4ELNS1_11target_archE910ELNS1_3gpuE8ELNS1_3repE0EEENS1_36merge_oddeven_config_static_selectorELNS0_4arch9wavefront6targetE0EEEvSK_,comdat
	.protected	_ZN7rocprim17ROCPRIM_400000_NS6detail17trampoline_kernelINS0_14default_configENS1_38merge_sort_block_merge_config_selectorIjNS0_10empty_typeEEEZZNS1_27merge_sort_block_merge_implIS3_N6thrust23THRUST_200600_302600_NS6detail15normal_iteratorINS9_10device_ptrIjEEEEPS5_m9comp_mod3IjEEE10hipError_tT0_T1_T2_jT3_P12ihipStream_tbPNSt15iterator_traitsISJ_E10value_typeEPNSP_ISK_E10value_typeEPSL_NS1_7vsmem_tEENKUlT_SJ_SK_SL_E_clIPjSE_SF_SF_EESI_SY_SJ_SK_SL_EUlSY_E1_NS1_11comp_targetILNS1_3genE4ELNS1_11target_archE910ELNS1_3gpuE8ELNS1_3repE0EEENS1_36merge_oddeven_config_static_selectorELNS0_4arch9wavefront6targetE0EEEvSK_ ; -- Begin function _ZN7rocprim17ROCPRIM_400000_NS6detail17trampoline_kernelINS0_14default_configENS1_38merge_sort_block_merge_config_selectorIjNS0_10empty_typeEEEZZNS1_27merge_sort_block_merge_implIS3_N6thrust23THRUST_200600_302600_NS6detail15normal_iteratorINS9_10device_ptrIjEEEEPS5_m9comp_mod3IjEEE10hipError_tT0_T1_T2_jT3_P12ihipStream_tbPNSt15iterator_traitsISJ_E10value_typeEPNSP_ISK_E10value_typeEPSL_NS1_7vsmem_tEENKUlT_SJ_SK_SL_E_clIPjSE_SF_SF_EESI_SY_SJ_SK_SL_EUlSY_E1_NS1_11comp_targetILNS1_3genE4ELNS1_11target_archE910ELNS1_3gpuE8ELNS1_3repE0EEENS1_36merge_oddeven_config_static_selectorELNS0_4arch9wavefront6targetE0EEEvSK_
	.globl	_ZN7rocprim17ROCPRIM_400000_NS6detail17trampoline_kernelINS0_14default_configENS1_38merge_sort_block_merge_config_selectorIjNS0_10empty_typeEEEZZNS1_27merge_sort_block_merge_implIS3_N6thrust23THRUST_200600_302600_NS6detail15normal_iteratorINS9_10device_ptrIjEEEEPS5_m9comp_mod3IjEEE10hipError_tT0_T1_T2_jT3_P12ihipStream_tbPNSt15iterator_traitsISJ_E10value_typeEPNSP_ISK_E10value_typeEPSL_NS1_7vsmem_tEENKUlT_SJ_SK_SL_E_clIPjSE_SF_SF_EESI_SY_SJ_SK_SL_EUlSY_E1_NS1_11comp_targetILNS1_3genE4ELNS1_11target_archE910ELNS1_3gpuE8ELNS1_3repE0EEENS1_36merge_oddeven_config_static_selectorELNS0_4arch9wavefront6targetE0EEEvSK_
	.p2align	8
	.type	_ZN7rocprim17ROCPRIM_400000_NS6detail17trampoline_kernelINS0_14default_configENS1_38merge_sort_block_merge_config_selectorIjNS0_10empty_typeEEEZZNS1_27merge_sort_block_merge_implIS3_N6thrust23THRUST_200600_302600_NS6detail15normal_iteratorINS9_10device_ptrIjEEEEPS5_m9comp_mod3IjEEE10hipError_tT0_T1_T2_jT3_P12ihipStream_tbPNSt15iterator_traitsISJ_E10value_typeEPNSP_ISK_E10value_typeEPSL_NS1_7vsmem_tEENKUlT_SJ_SK_SL_E_clIPjSE_SF_SF_EESI_SY_SJ_SK_SL_EUlSY_E1_NS1_11comp_targetILNS1_3genE4ELNS1_11target_archE910ELNS1_3gpuE8ELNS1_3repE0EEENS1_36merge_oddeven_config_static_selectorELNS0_4arch9wavefront6targetE0EEEvSK_,@function
_ZN7rocprim17ROCPRIM_400000_NS6detail17trampoline_kernelINS0_14default_configENS1_38merge_sort_block_merge_config_selectorIjNS0_10empty_typeEEEZZNS1_27merge_sort_block_merge_implIS3_N6thrust23THRUST_200600_302600_NS6detail15normal_iteratorINS9_10device_ptrIjEEEEPS5_m9comp_mod3IjEEE10hipError_tT0_T1_T2_jT3_P12ihipStream_tbPNSt15iterator_traitsISJ_E10value_typeEPNSP_ISK_E10value_typeEPSL_NS1_7vsmem_tEENKUlT_SJ_SK_SL_E_clIPjSE_SF_SF_EESI_SY_SJ_SK_SL_EUlSY_E1_NS1_11comp_targetILNS1_3genE4ELNS1_11target_archE910ELNS1_3gpuE8ELNS1_3repE0EEENS1_36merge_oddeven_config_static_selectorELNS0_4arch9wavefront6targetE0EEEvSK_: ; @_ZN7rocprim17ROCPRIM_400000_NS6detail17trampoline_kernelINS0_14default_configENS1_38merge_sort_block_merge_config_selectorIjNS0_10empty_typeEEEZZNS1_27merge_sort_block_merge_implIS3_N6thrust23THRUST_200600_302600_NS6detail15normal_iteratorINS9_10device_ptrIjEEEEPS5_m9comp_mod3IjEEE10hipError_tT0_T1_T2_jT3_P12ihipStream_tbPNSt15iterator_traitsISJ_E10value_typeEPNSP_ISK_E10value_typeEPSL_NS1_7vsmem_tEENKUlT_SJ_SK_SL_E_clIPjSE_SF_SF_EESI_SY_SJ_SK_SL_EUlSY_E1_NS1_11comp_targetILNS1_3genE4ELNS1_11target_archE910ELNS1_3gpuE8ELNS1_3repE0EEENS1_36merge_oddeven_config_static_selectorELNS0_4arch9wavefront6targetE0EEEvSK_
; %bb.0:
	.section	.rodata,"a",@progbits
	.p2align	6, 0x0
	.amdhsa_kernel _ZN7rocprim17ROCPRIM_400000_NS6detail17trampoline_kernelINS0_14default_configENS1_38merge_sort_block_merge_config_selectorIjNS0_10empty_typeEEEZZNS1_27merge_sort_block_merge_implIS3_N6thrust23THRUST_200600_302600_NS6detail15normal_iteratorINS9_10device_ptrIjEEEEPS5_m9comp_mod3IjEEE10hipError_tT0_T1_T2_jT3_P12ihipStream_tbPNSt15iterator_traitsISJ_E10value_typeEPNSP_ISK_E10value_typeEPSL_NS1_7vsmem_tEENKUlT_SJ_SK_SL_E_clIPjSE_SF_SF_EESI_SY_SJ_SK_SL_EUlSY_E1_NS1_11comp_targetILNS1_3genE4ELNS1_11target_archE910ELNS1_3gpuE8ELNS1_3repE0EEENS1_36merge_oddeven_config_static_selectorELNS0_4arch9wavefront6targetE0EEEvSK_
		.amdhsa_group_segment_fixed_size 0
		.amdhsa_private_segment_fixed_size 0
		.amdhsa_kernarg_size 56
		.amdhsa_user_sgpr_count 6
		.amdhsa_user_sgpr_private_segment_buffer 1
		.amdhsa_user_sgpr_dispatch_ptr 0
		.amdhsa_user_sgpr_queue_ptr 0
		.amdhsa_user_sgpr_kernarg_segment_ptr 1
		.amdhsa_user_sgpr_dispatch_id 0
		.amdhsa_user_sgpr_flat_scratch_init 0
		.amdhsa_user_sgpr_private_segment_size 0
		.amdhsa_wavefront_size32 1
		.amdhsa_uses_dynamic_stack 0
		.amdhsa_system_sgpr_private_segment_wavefront_offset 0
		.amdhsa_system_sgpr_workgroup_id_x 1
		.amdhsa_system_sgpr_workgroup_id_y 0
		.amdhsa_system_sgpr_workgroup_id_z 0
		.amdhsa_system_sgpr_workgroup_info 0
		.amdhsa_system_vgpr_workitem_id 0
		.amdhsa_next_free_vgpr 1
		.amdhsa_next_free_sgpr 1
		.amdhsa_reserve_vcc 0
		.amdhsa_reserve_flat_scratch 0
		.amdhsa_float_round_mode_32 0
		.amdhsa_float_round_mode_16_64 0
		.amdhsa_float_denorm_mode_32 3
		.amdhsa_float_denorm_mode_16_64 3
		.amdhsa_dx10_clamp 1
		.amdhsa_ieee_mode 1
		.amdhsa_fp16_overflow 0
		.amdhsa_workgroup_processor_mode 1
		.amdhsa_memory_ordered 1
		.amdhsa_forward_progress 1
		.amdhsa_shared_vgpr_count 0
		.amdhsa_exception_fp_ieee_invalid_op 0
		.amdhsa_exception_fp_denorm_src 0
		.amdhsa_exception_fp_ieee_div_zero 0
		.amdhsa_exception_fp_ieee_overflow 0
		.amdhsa_exception_fp_ieee_underflow 0
		.amdhsa_exception_fp_ieee_inexact 0
		.amdhsa_exception_int_div_zero 0
	.end_amdhsa_kernel
	.section	.text._ZN7rocprim17ROCPRIM_400000_NS6detail17trampoline_kernelINS0_14default_configENS1_38merge_sort_block_merge_config_selectorIjNS0_10empty_typeEEEZZNS1_27merge_sort_block_merge_implIS3_N6thrust23THRUST_200600_302600_NS6detail15normal_iteratorINS9_10device_ptrIjEEEEPS5_m9comp_mod3IjEEE10hipError_tT0_T1_T2_jT3_P12ihipStream_tbPNSt15iterator_traitsISJ_E10value_typeEPNSP_ISK_E10value_typeEPSL_NS1_7vsmem_tEENKUlT_SJ_SK_SL_E_clIPjSE_SF_SF_EESI_SY_SJ_SK_SL_EUlSY_E1_NS1_11comp_targetILNS1_3genE4ELNS1_11target_archE910ELNS1_3gpuE8ELNS1_3repE0EEENS1_36merge_oddeven_config_static_selectorELNS0_4arch9wavefront6targetE0EEEvSK_,"axG",@progbits,_ZN7rocprim17ROCPRIM_400000_NS6detail17trampoline_kernelINS0_14default_configENS1_38merge_sort_block_merge_config_selectorIjNS0_10empty_typeEEEZZNS1_27merge_sort_block_merge_implIS3_N6thrust23THRUST_200600_302600_NS6detail15normal_iteratorINS9_10device_ptrIjEEEEPS5_m9comp_mod3IjEEE10hipError_tT0_T1_T2_jT3_P12ihipStream_tbPNSt15iterator_traitsISJ_E10value_typeEPNSP_ISK_E10value_typeEPSL_NS1_7vsmem_tEENKUlT_SJ_SK_SL_E_clIPjSE_SF_SF_EESI_SY_SJ_SK_SL_EUlSY_E1_NS1_11comp_targetILNS1_3genE4ELNS1_11target_archE910ELNS1_3gpuE8ELNS1_3repE0EEENS1_36merge_oddeven_config_static_selectorELNS0_4arch9wavefront6targetE0EEEvSK_,comdat
.Lfunc_end835:
	.size	_ZN7rocprim17ROCPRIM_400000_NS6detail17trampoline_kernelINS0_14default_configENS1_38merge_sort_block_merge_config_selectorIjNS0_10empty_typeEEEZZNS1_27merge_sort_block_merge_implIS3_N6thrust23THRUST_200600_302600_NS6detail15normal_iteratorINS9_10device_ptrIjEEEEPS5_m9comp_mod3IjEEE10hipError_tT0_T1_T2_jT3_P12ihipStream_tbPNSt15iterator_traitsISJ_E10value_typeEPNSP_ISK_E10value_typeEPSL_NS1_7vsmem_tEENKUlT_SJ_SK_SL_E_clIPjSE_SF_SF_EESI_SY_SJ_SK_SL_EUlSY_E1_NS1_11comp_targetILNS1_3genE4ELNS1_11target_archE910ELNS1_3gpuE8ELNS1_3repE0EEENS1_36merge_oddeven_config_static_selectorELNS0_4arch9wavefront6targetE0EEEvSK_, .Lfunc_end835-_ZN7rocprim17ROCPRIM_400000_NS6detail17trampoline_kernelINS0_14default_configENS1_38merge_sort_block_merge_config_selectorIjNS0_10empty_typeEEEZZNS1_27merge_sort_block_merge_implIS3_N6thrust23THRUST_200600_302600_NS6detail15normal_iteratorINS9_10device_ptrIjEEEEPS5_m9comp_mod3IjEEE10hipError_tT0_T1_T2_jT3_P12ihipStream_tbPNSt15iterator_traitsISJ_E10value_typeEPNSP_ISK_E10value_typeEPSL_NS1_7vsmem_tEENKUlT_SJ_SK_SL_E_clIPjSE_SF_SF_EESI_SY_SJ_SK_SL_EUlSY_E1_NS1_11comp_targetILNS1_3genE4ELNS1_11target_archE910ELNS1_3gpuE8ELNS1_3repE0EEENS1_36merge_oddeven_config_static_selectorELNS0_4arch9wavefront6targetE0EEEvSK_
                                        ; -- End function
	.set _ZN7rocprim17ROCPRIM_400000_NS6detail17trampoline_kernelINS0_14default_configENS1_38merge_sort_block_merge_config_selectorIjNS0_10empty_typeEEEZZNS1_27merge_sort_block_merge_implIS3_N6thrust23THRUST_200600_302600_NS6detail15normal_iteratorINS9_10device_ptrIjEEEEPS5_m9comp_mod3IjEEE10hipError_tT0_T1_T2_jT3_P12ihipStream_tbPNSt15iterator_traitsISJ_E10value_typeEPNSP_ISK_E10value_typeEPSL_NS1_7vsmem_tEENKUlT_SJ_SK_SL_E_clIPjSE_SF_SF_EESI_SY_SJ_SK_SL_EUlSY_E1_NS1_11comp_targetILNS1_3genE4ELNS1_11target_archE910ELNS1_3gpuE8ELNS1_3repE0EEENS1_36merge_oddeven_config_static_selectorELNS0_4arch9wavefront6targetE0EEEvSK_.num_vgpr, 0
	.set _ZN7rocprim17ROCPRIM_400000_NS6detail17trampoline_kernelINS0_14default_configENS1_38merge_sort_block_merge_config_selectorIjNS0_10empty_typeEEEZZNS1_27merge_sort_block_merge_implIS3_N6thrust23THRUST_200600_302600_NS6detail15normal_iteratorINS9_10device_ptrIjEEEEPS5_m9comp_mod3IjEEE10hipError_tT0_T1_T2_jT3_P12ihipStream_tbPNSt15iterator_traitsISJ_E10value_typeEPNSP_ISK_E10value_typeEPSL_NS1_7vsmem_tEENKUlT_SJ_SK_SL_E_clIPjSE_SF_SF_EESI_SY_SJ_SK_SL_EUlSY_E1_NS1_11comp_targetILNS1_3genE4ELNS1_11target_archE910ELNS1_3gpuE8ELNS1_3repE0EEENS1_36merge_oddeven_config_static_selectorELNS0_4arch9wavefront6targetE0EEEvSK_.num_agpr, 0
	.set _ZN7rocprim17ROCPRIM_400000_NS6detail17trampoline_kernelINS0_14default_configENS1_38merge_sort_block_merge_config_selectorIjNS0_10empty_typeEEEZZNS1_27merge_sort_block_merge_implIS3_N6thrust23THRUST_200600_302600_NS6detail15normal_iteratorINS9_10device_ptrIjEEEEPS5_m9comp_mod3IjEEE10hipError_tT0_T1_T2_jT3_P12ihipStream_tbPNSt15iterator_traitsISJ_E10value_typeEPNSP_ISK_E10value_typeEPSL_NS1_7vsmem_tEENKUlT_SJ_SK_SL_E_clIPjSE_SF_SF_EESI_SY_SJ_SK_SL_EUlSY_E1_NS1_11comp_targetILNS1_3genE4ELNS1_11target_archE910ELNS1_3gpuE8ELNS1_3repE0EEENS1_36merge_oddeven_config_static_selectorELNS0_4arch9wavefront6targetE0EEEvSK_.numbered_sgpr, 0
	.set _ZN7rocprim17ROCPRIM_400000_NS6detail17trampoline_kernelINS0_14default_configENS1_38merge_sort_block_merge_config_selectorIjNS0_10empty_typeEEEZZNS1_27merge_sort_block_merge_implIS3_N6thrust23THRUST_200600_302600_NS6detail15normal_iteratorINS9_10device_ptrIjEEEEPS5_m9comp_mod3IjEEE10hipError_tT0_T1_T2_jT3_P12ihipStream_tbPNSt15iterator_traitsISJ_E10value_typeEPNSP_ISK_E10value_typeEPSL_NS1_7vsmem_tEENKUlT_SJ_SK_SL_E_clIPjSE_SF_SF_EESI_SY_SJ_SK_SL_EUlSY_E1_NS1_11comp_targetILNS1_3genE4ELNS1_11target_archE910ELNS1_3gpuE8ELNS1_3repE0EEENS1_36merge_oddeven_config_static_selectorELNS0_4arch9wavefront6targetE0EEEvSK_.num_named_barrier, 0
	.set _ZN7rocprim17ROCPRIM_400000_NS6detail17trampoline_kernelINS0_14default_configENS1_38merge_sort_block_merge_config_selectorIjNS0_10empty_typeEEEZZNS1_27merge_sort_block_merge_implIS3_N6thrust23THRUST_200600_302600_NS6detail15normal_iteratorINS9_10device_ptrIjEEEEPS5_m9comp_mod3IjEEE10hipError_tT0_T1_T2_jT3_P12ihipStream_tbPNSt15iterator_traitsISJ_E10value_typeEPNSP_ISK_E10value_typeEPSL_NS1_7vsmem_tEENKUlT_SJ_SK_SL_E_clIPjSE_SF_SF_EESI_SY_SJ_SK_SL_EUlSY_E1_NS1_11comp_targetILNS1_3genE4ELNS1_11target_archE910ELNS1_3gpuE8ELNS1_3repE0EEENS1_36merge_oddeven_config_static_selectorELNS0_4arch9wavefront6targetE0EEEvSK_.private_seg_size, 0
	.set _ZN7rocprim17ROCPRIM_400000_NS6detail17trampoline_kernelINS0_14default_configENS1_38merge_sort_block_merge_config_selectorIjNS0_10empty_typeEEEZZNS1_27merge_sort_block_merge_implIS3_N6thrust23THRUST_200600_302600_NS6detail15normal_iteratorINS9_10device_ptrIjEEEEPS5_m9comp_mod3IjEEE10hipError_tT0_T1_T2_jT3_P12ihipStream_tbPNSt15iterator_traitsISJ_E10value_typeEPNSP_ISK_E10value_typeEPSL_NS1_7vsmem_tEENKUlT_SJ_SK_SL_E_clIPjSE_SF_SF_EESI_SY_SJ_SK_SL_EUlSY_E1_NS1_11comp_targetILNS1_3genE4ELNS1_11target_archE910ELNS1_3gpuE8ELNS1_3repE0EEENS1_36merge_oddeven_config_static_selectorELNS0_4arch9wavefront6targetE0EEEvSK_.uses_vcc, 0
	.set _ZN7rocprim17ROCPRIM_400000_NS6detail17trampoline_kernelINS0_14default_configENS1_38merge_sort_block_merge_config_selectorIjNS0_10empty_typeEEEZZNS1_27merge_sort_block_merge_implIS3_N6thrust23THRUST_200600_302600_NS6detail15normal_iteratorINS9_10device_ptrIjEEEEPS5_m9comp_mod3IjEEE10hipError_tT0_T1_T2_jT3_P12ihipStream_tbPNSt15iterator_traitsISJ_E10value_typeEPNSP_ISK_E10value_typeEPSL_NS1_7vsmem_tEENKUlT_SJ_SK_SL_E_clIPjSE_SF_SF_EESI_SY_SJ_SK_SL_EUlSY_E1_NS1_11comp_targetILNS1_3genE4ELNS1_11target_archE910ELNS1_3gpuE8ELNS1_3repE0EEENS1_36merge_oddeven_config_static_selectorELNS0_4arch9wavefront6targetE0EEEvSK_.uses_flat_scratch, 0
	.set _ZN7rocprim17ROCPRIM_400000_NS6detail17trampoline_kernelINS0_14default_configENS1_38merge_sort_block_merge_config_selectorIjNS0_10empty_typeEEEZZNS1_27merge_sort_block_merge_implIS3_N6thrust23THRUST_200600_302600_NS6detail15normal_iteratorINS9_10device_ptrIjEEEEPS5_m9comp_mod3IjEEE10hipError_tT0_T1_T2_jT3_P12ihipStream_tbPNSt15iterator_traitsISJ_E10value_typeEPNSP_ISK_E10value_typeEPSL_NS1_7vsmem_tEENKUlT_SJ_SK_SL_E_clIPjSE_SF_SF_EESI_SY_SJ_SK_SL_EUlSY_E1_NS1_11comp_targetILNS1_3genE4ELNS1_11target_archE910ELNS1_3gpuE8ELNS1_3repE0EEENS1_36merge_oddeven_config_static_selectorELNS0_4arch9wavefront6targetE0EEEvSK_.has_dyn_sized_stack, 0
	.set _ZN7rocprim17ROCPRIM_400000_NS6detail17trampoline_kernelINS0_14default_configENS1_38merge_sort_block_merge_config_selectorIjNS0_10empty_typeEEEZZNS1_27merge_sort_block_merge_implIS3_N6thrust23THRUST_200600_302600_NS6detail15normal_iteratorINS9_10device_ptrIjEEEEPS5_m9comp_mod3IjEEE10hipError_tT0_T1_T2_jT3_P12ihipStream_tbPNSt15iterator_traitsISJ_E10value_typeEPNSP_ISK_E10value_typeEPSL_NS1_7vsmem_tEENKUlT_SJ_SK_SL_E_clIPjSE_SF_SF_EESI_SY_SJ_SK_SL_EUlSY_E1_NS1_11comp_targetILNS1_3genE4ELNS1_11target_archE910ELNS1_3gpuE8ELNS1_3repE0EEENS1_36merge_oddeven_config_static_selectorELNS0_4arch9wavefront6targetE0EEEvSK_.has_recursion, 0
	.set _ZN7rocprim17ROCPRIM_400000_NS6detail17trampoline_kernelINS0_14default_configENS1_38merge_sort_block_merge_config_selectorIjNS0_10empty_typeEEEZZNS1_27merge_sort_block_merge_implIS3_N6thrust23THRUST_200600_302600_NS6detail15normal_iteratorINS9_10device_ptrIjEEEEPS5_m9comp_mod3IjEEE10hipError_tT0_T1_T2_jT3_P12ihipStream_tbPNSt15iterator_traitsISJ_E10value_typeEPNSP_ISK_E10value_typeEPSL_NS1_7vsmem_tEENKUlT_SJ_SK_SL_E_clIPjSE_SF_SF_EESI_SY_SJ_SK_SL_EUlSY_E1_NS1_11comp_targetILNS1_3genE4ELNS1_11target_archE910ELNS1_3gpuE8ELNS1_3repE0EEENS1_36merge_oddeven_config_static_selectorELNS0_4arch9wavefront6targetE0EEEvSK_.has_indirect_call, 0
	.section	.AMDGPU.csdata,"",@progbits
; Kernel info:
; codeLenInByte = 0
; TotalNumSgprs: 0
; NumVgprs: 0
; ScratchSize: 0
; MemoryBound: 0
; FloatMode: 240
; IeeeMode: 1
; LDSByteSize: 0 bytes/workgroup (compile time only)
; SGPRBlocks: 0
; VGPRBlocks: 0
; NumSGPRsForWavesPerEU: 1
; NumVGPRsForWavesPerEU: 1
; Occupancy: 16
; WaveLimiterHint : 0
; COMPUTE_PGM_RSRC2:SCRATCH_EN: 0
; COMPUTE_PGM_RSRC2:USER_SGPR: 6
; COMPUTE_PGM_RSRC2:TRAP_HANDLER: 0
; COMPUTE_PGM_RSRC2:TGID_X_EN: 1
; COMPUTE_PGM_RSRC2:TGID_Y_EN: 0
; COMPUTE_PGM_RSRC2:TGID_Z_EN: 0
; COMPUTE_PGM_RSRC2:TIDIG_COMP_CNT: 0
	.section	.text._ZN7rocprim17ROCPRIM_400000_NS6detail17trampoline_kernelINS0_14default_configENS1_38merge_sort_block_merge_config_selectorIjNS0_10empty_typeEEEZZNS1_27merge_sort_block_merge_implIS3_N6thrust23THRUST_200600_302600_NS6detail15normal_iteratorINS9_10device_ptrIjEEEEPS5_m9comp_mod3IjEEE10hipError_tT0_T1_T2_jT3_P12ihipStream_tbPNSt15iterator_traitsISJ_E10value_typeEPNSP_ISK_E10value_typeEPSL_NS1_7vsmem_tEENKUlT_SJ_SK_SL_E_clIPjSE_SF_SF_EESI_SY_SJ_SK_SL_EUlSY_E1_NS1_11comp_targetILNS1_3genE3ELNS1_11target_archE908ELNS1_3gpuE7ELNS1_3repE0EEENS1_36merge_oddeven_config_static_selectorELNS0_4arch9wavefront6targetE0EEEvSK_,"axG",@progbits,_ZN7rocprim17ROCPRIM_400000_NS6detail17trampoline_kernelINS0_14default_configENS1_38merge_sort_block_merge_config_selectorIjNS0_10empty_typeEEEZZNS1_27merge_sort_block_merge_implIS3_N6thrust23THRUST_200600_302600_NS6detail15normal_iteratorINS9_10device_ptrIjEEEEPS5_m9comp_mod3IjEEE10hipError_tT0_T1_T2_jT3_P12ihipStream_tbPNSt15iterator_traitsISJ_E10value_typeEPNSP_ISK_E10value_typeEPSL_NS1_7vsmem_tEENKUlT_SJ_SK_SL_E_clIPjSE_SF_SF_EESI_SY_SJ_SK_SL_EUlSY_E1_NS1_11comp_targetILNS1_3genE3ELNS1_11target_archE908ELNS1_3gpuE7ELNS1_3repE0EEENS1_36merge_oddeven_config_static_selectorELNS0_4arch9wavefront6targetE0EEEvSK_,comdat
	.protected	_ZN7rocprim17ROCPRIM_400000_NS6detail17trampoline_kernelINS0_14default_configENS1_38merge_sort_block_merge_config_selectorIjNS0_10empty_typeEEEZZNS1_27merge_sort_block_merge_implIS3_N6thrust23THRUST_200600_302600_NS6detail15normal_iteratorINS9_10device_ptrIjEEEEPS5_m9comp_mod3IjEEE10hipError_tT0_T1_T2_jT3_P12ihipStream_tbPNSt15iterator_traitsISJ_E10value_typeEPNSP_ISK_E10value_typeEPSL_NS1_7vsmem_tEENKUlT_SJ_SK_SL_E_clIPjSE_SF_SF_EESI_SY_SJ_SK_SL_EUlSY_E1_NS1_11comp_targetILNS1_3genE3ELNS1_11target_archE908ELNS1_3gpuE7ELNS1_3repE0EEENS1_36merge_oddeven_config_static_selectorELNS0_4arch9wavefront6targetE0EEEvSK_ ; -- Begin function _ZN7rocprim17ROCPRIM_400000_NS6detail17trampoline_kernelINS0_14default_configENS1_38merge_sort_block_merge_config_selectorIjNS0_10empty_typeEEEZZNS1_27merge_sort_block_merge_implIS3_N6thrust23THRUST_200600_302600_NS6detail15normal_iteratorINS9_10device_ptrIjEEEEPS5_m9comp_mod3IjEEE10hipError_tT0_T1_T2_jT3_P12ihipStream_tbPNSt15iterator_traitsISJ_E10value_typeEPNSP_ISK_E10value_typeEPSL_NS1_7vsmem_tEENKUlT_SJ_SK_SL_E_clIPjSE_SF_SF_EESI_SY_SJ_SK_SL_EUlSY_E1_NS1_11comp_targetILNS1_3genE3ELNS1_11target_archE908ELNS1_3gpuE7ELNS1_3repE0EEENS1_36merge_oddeven_config_static_selectorELNS0_4arch9wavefront6targetE0EEEvSK_
	.globl	_ZN7rocprim17ROCPRIM_400000_NS6detail17trampoline_kernelINS0_14default_configENS1_38merge_sort_block_merge_config_selectorIjNS0_10empty_typeEEEZZNS1_27merge_sort_block_merge_implIS3_N6thrust23THRUST_200600_302600_NS6detail15normal_iteratorINS9_10device_ptrIjEEEEPS5_m9comp_mod3IjEEE10hipError_tT0_T1_T2_jT3_P12ihipStream_tbPNSt15iterator_traitsISJ_E10value_typeEPNSP_ISK_E10value_typeEPSL_NS1_7vsmem_tEENKUlT_SJ_SK_SL_E_clIPjSE_SF_SF_EESI_SY_SJ_SK_SL_EUlSY_E1_NS1_11comp_targetILNS1_3genE3ELNS1_11target_archE908ELNS1_3gpuE7ELNS1_3repE0EEENS1_36merge_oddeven_config_static_selectorELNS0_4arch9wavefront6targetE0EEEvSK_
	.p2align	8
	.type	_ZN7rocprim17ROCPRIM_400000_NS6detail17trampoline_kernelINS0_14default_configENS1_38merge_sort_block_merge_config_selectorIjNS0_10empty_typeEEEZZNS1_27merge_sort_block_merge_implIS3_N6thrust23THRUST_200600_302600_NS6detail15normal_iteratorINS9_10device_ptrIjEEEEPS5_m9comp_mod3IjEEE10hipError_tT0_T1_T2_jT3_P12ihipStream_tbPNSt15iterator_traitsISJ_E10value_typeEPNSP_ISK_E10value_typeEPSL_NS1_7vsmem_tEENKUlT_SJ_SK_SL_E_clIPjSE_SF_SF_EESI_SY_SJ_SK_SL_EUlSY_E1_NS1_11comp_targetILNS1_3genE3ELNS1_11target_archE908ELNS1_3gpuE7ELNS1_3repE0EEENS1_36merge_oddeven_config_static_selectorELNS0_4arch9wavefront6targetE0EEEvSK_,@function
_ZN7rocprim17ROCPRIM_400000_NS6detail17trampoline_kernelINS0_14default_configENS1_38merge_sort_block_merge_config_selectorIjNS0_10empty_typeEEEZZNS1_27merge_sort_block_merge_implIS3_N6thrust23THRUST_200600_302600_NS6detail15normal_iteratorINS9_10device_ptrIjEEEEPS5_m9comp_mod3IjEEE10hipError_tT0_T1_T2_jT3_P12ihipStream_tbPNSt15iterator_traitsISJ_E10value_typeEPNSP_ISK_E10value_typeEPSL_NS1_7vsmem_tEENKUlT_SJ_SK_SL_E_clIPjSE_SF_SF_EESI_SY_SJ_SK_SL_EUlSY_E1_NS1_11comp_targetILNS1_3genE3ELNS1_11target_archE908ELNS1_3gpuE7ELNS1_3repE0EEENS1_36merge_oddeven_config_static_selectorELNS0_4arch9wavefront6targetE0EEEvSK_: ; @_ZN7rocprim17ROCPRIM_400000_NS6detail17trampoline_kernelINS0_14default_configENS1_38merge_sort_block_merge_config_selectorIjNS0_10empty_typeEEEZZNS1_27merge_sort_block_merge_implIS3_N6thrust23THRUST_200600_302600_NS6detail15normal_iteratorINS9_10device_ptrIjEEEEPS5_m9comp_mod3IjEEE10hipError_tT0_T1_T2_jT3_P12ihipStream_tbPNSt15iterator_traitsISJ_E10value_typeEPNSP_ISK_E10value_typeEPSL_NS1_7vsmem_tEENKUlT_SJ_SK_SL_E_clIPjSE_SF_SF_EESI_SY_SJ_SK_SL_EUlSY_E1_NS1_11comp_targetILNS1_3genE3ELNS1_11target_archE908ELNS1_3gpuE7ELNS1_3repE0EEENS1_36merge_oddeven_config_static_selectorELNS0_4arch9wavefront6targetE0EEEvSK_
; %bb.0:
	.section	.rodata,"a",@progbits
	.p2align	6, 0x0
	.amdhsa_kernel _ZN7rocprim17ROCPRIM_400000_NS6detail17trampoline_kernelINS0_14default_configENS1_38merge_sort_block_merge_config_selectorIjNS0_10empty_typeEEEZZNS1_27merge_sort_block_merge_implIS3_N6thrust23THRUST_200600_302600_NS6detail15normal_iteratorINS9_10device_ptrIjEEEEPS5_m9comp_mod3IjEEE10hipError_tT0_T1_T2_jT3_P12ihipStream_tbPNSt15iterator_traitsISJ_E10value_typeEPNSP_ISK_E10value_typeEPSL_NS1_7vsmem_tEENKUlT_SJ_SK_SL_E_clIPjSE_SF_SF_EESI_SY_SJ_SK_SL_EUlSY_E1_NS1_11comp_targetILNS1_3genE3ELNS1_11target_archE908ELNS1_3gpuE7ELNS1_3repE0EEENS1_36merge_oddeven_config_static_selectorELNS0_4arch9wavefront6targetE0EEEvSK_
		.amdhsa_group_segment_fixed_size 0
		.amdhsa_private_segment_fixed_size 0
		.amdhsa_kernarg_size 56
		.amdhsa_user_sgpr_count 6
		.amdhsa_user_sgpr_private_segment_buffer 1
		.amdhsa_user_sgpr_dispatch_ptr 0
		.amdhsa_user_sgpr_queue_ptr 0
		.amdhsa_user_sgpr_kernarg_segment_ptr 1
		.amdhsa_user_sgpr_dispatch_id 0
		.amdhsa_user_sgpr_flat_scratch_init 0
		.amdhsa_user_sgpr_private_segment_size 0
		.amdhsa_wavefront_size32 1
		.amdhsa_uses_dynamic_stack 0
		.amdhsa_system_sgpr_private_segment_wavefront_offset 0
		.amdhsa_system_sgpr_workgroup_id_x 1
		.amdhsa_system_sgpr_workgroup_id_y 0
		.amdhsa_system_sgpr_workgroup_id_z 0
		.amdhsa_system_sgpr_workgroup_info 0
		.amdhsa_system_vgpr_workitem_id 0
		.amdhsa_next_free_vgpr 1
		.amdhsa_next_free_sgpr 1
		.amdhsa_reserve_vcc 0
		.amdhsa_reserve_flat_scratch 0
		.amdhsa_float_round_mode_32 0
		.amdhsa_float_round_mode_16_64 0
		.amdhsa_float_denorm_mode_32 3
		.amdhsa_float_denorm_mode_16_64 3
		.amdhsa_dx10_clamp 1
		.amdhsa_ieee_mode 1
		.amdhsa_fp16_overflow 0
		.amdhsa_workgroup_processor_mode 1
		.amdhsa_memory_ordered 1
		.amdhsa_forward_progress 1
		.amdhsa_shared_vgpr_count 0
		.amdhsa_exception_fp_ieee_invalid_op 0
		.amdhsa_exception_fp_denorm_src 0
		.amdhsa_exception_fp_ieee_div_zero 0
		.amdhsa_exception_fp_ieee_overflow 0
		.amdhsa_exception_fp_ieee_underflow 0
		.amdhsa_exception_fp_ieee_inexact 0
		.amdhsa_exception_int_div_zero 0
	.end_amdhsa_kernel
	.section	.text._ZN7rocprim17ROCPRIM_400000_NS6detail17trampoline_kernelINS0_14default_configENS1_38merge_sort_block_merge_config_selectorIjNS0_10empty_typeEEEZZNS1_27merge_sort_block_merge_implIS3_N6thrust23THRUST_200600_302600_NS6detail15normal_iteratorINS9_10device_ptrIjEEEEPS5_m9comp_mod3IjEEE10hipError_tT0_T1_T2_jT3_P12ihipStream_tbPNSt15iterator_traitsISJ_E10value_typeEPNSP_ISK_E10value_typeEPSL_NS1_7vsmem_tEENKUlT_SJ_SK_SL_E_clIPjSE_SF_SF_EESI_SY_SJ_SK_SL_EUlSY_E1_NS1_11comp_targetILNS1_3genE3ELNS1_11target_archE908ELNS1_3gpuE7ELNS1_3repE0EEENS1_36merge_oddeven_config_static_selectorELNS0_4arch9wavefront6targetE0EEEvSK_,"axG",@progbits,_ZN7rocprim17ROCPRIM_400000_NS6detail17trampoline_kernelINS0_14default_configENS1_38merge_sort_block_merge_config_selectorIjNS0_10empty_typeEEEZZNS1_27merge_sort_block_merge_implIS3_N6thrust23THRUST_200600_302600_NS6detail15normal_iteratorINS9_10device_ptrIjEEEEPS5_m9comp_mod3IjEEE10hipError_tT0_T1_T2_jT3_P12ihipStream_tbPNSt15iterator_traitsISJ_E10value_typeEPNSP_ISK_E10value_typeEPSL_NS1_7vsmem_tEENKUlT_SJ_SK_SL_E_clIPjSE_SF_SF_EESI_SY_SJ_SK_SL_EUlSY_E1_NS1_11comp_targetILNS1_3genE3ELNS1_11target_archE908ELNS1_3gpuE7ELNS1_3repE0EEENS1_36merge_oddeven_config_static_selectorELNS0_4arch9wavefront6targetE0EEEvSK_,comdat
.Lfunc_end836:
	.size	_ZN7rocprim17ROCPRIM_400000_NS6detail17trampoline_kernelINS0_14default_configENS1_38merge_sort_block_merge_config_selectorIjNS0_10empty_typeEEEZZNS1_27merge_sort_block_merge_implIS3_N6thrust23THRUST_200600_302600_NS6detail15normal_iteratorINS9_10device_ptrIjEEEEPS5_m9comp_mod3IjEEE10hipError_tT0_T1_T2_jT3_P12ihipStream_tbPNSt15iterator_traitsISJ_E10value_typeEPNSP_ISK_E10value_typeEPSL_NS1_7vsmem_tEENKUlT_SJ_SK_SL_E_clIPjSE_SF_SF_EESI_SY_SJ_SK_SL_EUlSY_E1_NS1_11comp_targetILNS1_3genE3ELNS1_11target_archE908ELNS1_3gpuE7ELNS1_3repE0EEENS1_36merge_oddeven_config_static_selectorELNS0_4arch9wavefront6targetE0EEEvSK_, .Lfunc_end836-_ZN7rocprim17ROCPRIM_400000_NS6detail17trampoline_kernelINS0_14default_configENS1_38merge_sort_block_merge_config_selectorIjNS0_10empty_typeEEEZZNS1_27merge_sort_block_merge_implIS3_N6thrust23THRUST_200600_302600_NS6detail15normal_iteratorINS9_10device_ptrIjEEEEPS5_m9comp_mod3IjEEE10hipError_tT0_T1_T2_jT3_P12ihipStream_tbPNSt15iterator_traitsISJ_E10value_typeEPNSP_ISK_E10value_typeEPSL_NS1_7vsmem_tEENKUlT_SJ_SK_SL_E_clIPjSE_SF_SF_EESI_SY_SJ_SK_SL_EUlSY_E1_NS1_11comp_targetILNS1_3genE3ELNS1_11target_archE908ELNS1_3gpuE7ELNS1_3repE0EEENS1_36merge_oddeven_config_static_selectorELNS0_4arch9wavefront6targetE0EEEvSK_
                                        ; -- End function
	.set _ZN7rocprim17ROCPRIM_400000_NS6detail17trampoline_kernelINS0_14default_configENS1_38merge_sort_block_merge_config_selectorIjNS0_10empty_typeEEEZZNS1_27merge_sort_block_merge_implIS3_N6thrust23THRUST_200600_302600_NS6detail15normal_iteratorINS9_10device_ptrIjEEEEPS5_m9comp_mod3IjEEE10hipError_tT0_T1_T2_jT3_P12ihipStream_tbPNSt15iterator_traitsISJ_E10value_typeEPNSP_ISK_E10value_typeEPSL_NS1_7vsmem_tEENKUlT_SJ_SK_SL_E_clIPjSE_SF_SF_EESI_SY_SJ_SK_SL_EUlSY_E1_NS1_11comp_targetILNS1_3genE3ELNS1_11target_archE908ELNS1_3gpuE7ELNS1_3repE0EEENS1_36merge_oddeven_config_static_selectorELNS0_4arch9wavefront6targetE0EEEvSK_.num_vgpr, 0
	.set _ZN7rocprim17ROCPRIM_400000_NS6detail17trampoline_kernelINS0_14default_configENS1_38merge_sort_block_merge_config_selectorIjNS0_10empty_typeEEEZZNS1_27merge_sort_block_merge_implIS3_N6thrust23THRUST_200600_302600_NS6detail15normal_iteratorINS9_10device_ptrIjEEEEPS5_m9comp_mod3IjEEE10hipError_tT0_T1_T2_jT3_P12ihipStream_tbPNSt15iterator_traitsISJ_E10value_typeEPNSP_ISK_E10value_typeEPSL_NS1_7vsmem_tEENKUlT_SJ_SK_SL_E_clIPjSE_SF_SF_EESI_SY_SJ_SK_SL_EUlSY_E1_NS1_11comp_targetILNS1_3genE3ELNS1_11target_archE908ELNS1_3gpuE7ELNS1_3repE0EEENS1_36merge_oddeven_config_static_selectorELNS0_4arch9wavefront6targetE0EEEvSK_.num_agpr, 0
	.set _ZN7rocprim17ROCPRIM_400000_NS6detail17trampoline_kernelINS0_14default_configENS1_38merge_sort_block_merge_config_selectorIjNS0_10empty_typeEEEZZNS1_27merge_sort_block_merge_implIS3_N6thrust23THRUST_200600_302600_NS6detail15normal_iteratorINS9_10device_ptrIjEEEEPS5_m9comp_mod3IjEEE10hipError_tT0_T1_T2_jT3_P12ihipStream_tbPNSt15iterator_traitsISJ_E10value_typeEPNSP_ISK_E10value_typeEPSL_NS1_7vsmem_tEENKUlT_SJ_SK_SL_E_clIPjSE_SF_SF_EESI_SY_SJ_SK_SL_EUlSY_E1_NS1_11comp_targetILNS1_3genE3ELNS1_11target_archE908ELNS1_3gpuE7ELNS1_3repE0EEENS1_36merge_oddeven_config_static_selectorELNS0_4arch9wavefront6targetE0EEEvSK_.numbered_sgpr, 0
	.set _ZN7rocprim17ROCPRIM_400000_NS6detail17trampoline_kernelINS0_14default_configENS1_38merge_sort_block_merge_config_selectorIjNS0_10empty_typeEEEZZNS1_27merge_sort_block_merge_implIS3_N6thrust23THRUST_200600_302600_NS6detail15normal_iteratorINS9_10device_ptrIjEEEEPS5_m9comp_mod3IjEEE10hipError_tT0_T1_T2_jT3_P12ihipStream_tbPNSt15iterator_traitsISJ_E10value_typeEPNSP_ISK_E10value_typeEPSL_NS1_7vsmem_tEENKUlT_SJ_SK_SL_E_clIPjSE_SF_SF_EESI_SY_SJ_SK_SL_EUlSY_E1_NS1_11comp_targetILNS1_3genE3ELNS1_11target_archE908ELNS1_3gpuE7ELNS1_3repE0EEENS1_36merge_oddeven_config_static_selectorELNS0_4arch9wavefront6targetE0EEEvSK_.num_named_barrier, 0
	.set _ZN7rocprim17ROCPRIM_400000_NS6detail17trampoline_kernelINS0_14default_configENS1_38merge_sort_block_merge_config_selectorIjNS0_10empty_typeEEEZZNS1_27merge_sort_block_merge_implIS3_N6thrust23THRUST_200600_302600_NS6detail15normal_iteratorINS9_10device_ptrIjEEEEPS5_m9comp_mod3IjEEE10hipError_tT0_T1_T2_jT3_P12ihipStream_tbPNSt15iterator_traitsISJ_E10value_typeEPNSP_ISK_E10value_typeEPSL_NS1_7vsmem_tEENKUlT_SJ_SK_SL_E_clIPjSE_SF_SF_EESI_SY_SJ_SK_SL_EUlSY_E1_NS1_11comp_targetILNS1_3genE3ELNS1_11target_archE908ELNS1_3gpuE7ELNS1_3repE0EEENS1_36merge_oddeven_config_static_selectorELNS0_4arch9wavefront6targetE0EEEvSK_.private_seg_size, 0
	.set _ZN7rocprim17ROCPRIM_400000_NS6detail17trampoline_kernelINS0_14default_configENS1_38merge_sort_block_merge_config_selectorIjNS0_10empty_typeEEEZZNS1_27merge_sort_block_merge_implIS3_N6thrust23THRUST_200600_302600_NS6detail15normal_iteratorINS9_10device_ptrIjEEEEPS5_m9comp_mod3IjEEE10hipError_tT0_T1_T2_jT3_P12ihipStream_tbPNSt15iterator_traitsISJ_E10value_typeEPNSP_ISK_E10value_typeEPSL_NS1_7vsmem_tEENKUlT_SJ_SK_SL_E_clIPjSE_SF_SF_EESI_SY_SJ_SK_SL_EUlSY_E1_NS1_11comp_targetILNS1_3genE3ELNS1_11target_archE908ELNS1_3gpuE7ELNS1_3repE0EEENS1_36merge_oddeven_config_static_selectorELNS0_4arch9wavefront6targetE0EEEvSK_.uses_vcc, 0
	.set _ZN7rocprim17ROCPRIM_400000_NS6detail17trampoline_kernelINS0_14default_configENS1_38merge_sort_block_merge_config_selectorIjNS0_10empty_typeEEEZZNS1_27merge_sort_block_merge_implIS3_N6thrust23THRUST_200600_302600_NS6detail15normal_iteratorINS9_10device_ptrIjEEEEPS5_m9comp_mod3IjEEE10hipError_tT0_T1_T2_jT3_P12ihipStream_tbPNSt15iterator_traitsISJ_E10value_typeEPNSP_ISK_E10value_typeEPSL_NS1_7vsmem_tEENKUlT_SJ_SK_SL_E_clIPjSE_SF_SF_EESI_SY_SJ_SK_SL_EUlSY_E1_NS1_11comp_targetILNS1_3genE3ELNS1_11target_archE908ELNS1_3gpuE7ELNS1_3repE0EEENS1_36merge_oddeven_config_static_selectorELNS0_4arch9wavefront6targetE0EEEvSK_.uses_flat_scratch, 0
	.set _ZN7rocprim17ROCPRIM_400000_NS6detail17trampoline_kernelINS0_14default_configENS1_38merge_sort_block_merge_config_selectorIjNS0_10empty_typeEEEZZNS1_27merge_sort_block_merge_implIS3_N6thrust23THRUST_200600_302600_NS6detail15normal_iteratorINS9_10device_ptrIjEEEEPS5_m9comp_mod3IjEEE10hipError_tT0_T1_T2_jT3_P12ihipStream_tbPNSt15iterator_traitsISJ_E10value_typeEPNSP_ISK_E10value_typeEPSL_NS1_7vsmem_tEENKUlT_SJ_SK_SL_E_clIPjSE_SF_SF_EESI_SY_SJ_SK_SL_EUlSY_E1_NS1_11comp_targetILNS1_3genE3ELNS1_11target_archE908ELNS1_3gpuE7ELNS1_3repE0EEENS1_36merge_oddeven_config_static_selectorELNS0_4arch9wavefront6targetE0EEEvSK_.has_dyn_sized_stack, 0
	.set _ZN7rocprim17ROCPRIM_400000_NS6detail17trampoline_kernelINS0_14default_configENS1_38merge_sort_block_merge_config_selectorIjNS0_10empty_typeEEEZZNS1_27merge_sort_block_merge_implIS3_N6thrust23THRUST_200600_302600_NS6detail15normal_iteratorINS9_10device_ptrIjEEEEPS5_m9comp_mod3IjEEE10hipError_tT0_T1_T2_jT3_P12ihipStream_tbPNSt15iterator_traitsISJ_E10value_typeEPNSP_ISK_E10value_typeEPSL_NS1_7vsmem_tEENKUlT_SJ_SK_SL_E_clIPjSE_SF_SF_EESI_SY_SJ_SK_SL_EUlSY_E1_NS1_11comp_targetILNS1_3genE3ELNS1_11target_archE908ELNS1_3gpuE7ELNS1_3repE0EEENS1_36merge_oddeven_config_static_selectorELNS0_4arch9wavefront6targetE0EEEvSK_.has_recursion, 0
	.set _ZN7rocprim17ROCPRIM_400000_NS6detail17trampoline_kernelINS0_14default_configENS1_38merge_sort_block_merge_config_selectorIjNS0_10empty_typeEEEZZNS1_27merge_sort_block_merge_implIS3_N6thrust23THRUST_200600_302600_NS6detail15normal_iteratorINS9_10device_ptrIjEEEEPS5_m9comp_mod3IjEEE10hipError_tT0_T1_T2_jT3_P12ihipStream_tbPNSt15iterator_traitsISJ_E10value_typeEPNSP_ISK_E10value_typeEPSL_NS1_7vsmem_tEENKUlT_SJ_SK_SL_E_clIPjSE_SF_SF_EESI_SY_SJ_SK_SL_EUlSY_E1_NS1_11comp_targetILNS1_3genE3ELNS1_11target_archE908ELNS1_3gpuE7ELNS1_3repE0EEENS1_36merge_oddeven_config_static_selectorELNS0_4arch9wavefront6targetE0EEEvSK_.has_indirect_call, 0
	.section	.AMDGPU.csdata,"",@progbits
; Kernel info:
; codeLenInByte = 0
; TotalNumSgprs: 0
; NumVgprs: 0
; ScratchSize: 0
; MemoryBound: 0
; FloatMode: 240
; IeeeMode: 1
; LDSByteSize: 0 bytes/workgroup (compile time only)
; SGPRBlocks: 0
; VGPRBlocks: 0
; NumSGPRsForWavesPerEU: 1
; NumVGPRsForWavesPerEU: 1
; Occupancy: 16
; WaveLimiterHint : 0
; COMPUTE_PGM_RSRC2:SCRATCH_EN: 0
; COMPUTE_PGM_RSRC2:USER_SGPR: 6
; COMPUTE_PGM_RSRC2:TRAP_HANDLER: 0
; COMPUTE_PGM_RSRC2:TGID_X_EN: 1
; COMPUTE_PGM_RSRC2:TGID_Y_EN: 0
; COMPUTE_PGM_RSRC2:TGID_Z_EN: 0
; COMPUTE_PGM_RSRC2:TIDIG_COMP_CNT: 0
	.section	.text._ZN7rocprim17ROCPRIM_400000_NS6detail17trampoline_kernelINS0_14default_configENS1_38merge_sort_block_merge_config_selectorIjNS0_10empty_typeEEEZZNS1_27merge_sort_block_merge_implIS3_N6thrust23THRUST_200600_302600_NS6detail15normal_iteratorINS9_10device_ptrIjEEEEPS5_m9comp_mod3IjEEE10hipError_tT0_T1_T2_jT3_P12ihipStream_tbPNSt15iterator_traitsISJ_E10value_typeEPNSP_ISK_E10value_typeEPSL_NS1_7vsmem_tEENKUlT_SJ_SK_SL_E_clIPjSE_SF_SF_EESI_SY_SJ_SK_SL_EUlSY_E1_NS1_11comp_targetILNS1_3genE2ELNS1_11target_archE906ELNS1_3gpuE6ELNS1_3repE0EEENS1_36merge_oddeven_config_static_selectorELNS0_4arch9wavefront6targetE0EEEvSK_,"axG",@progbits,_ZN7rocprim17ROCPRIM_400000_NS6detail17trampoline_kernelINS0_14default_configENS1_38merge_sort_block_merge_config_selectorIjNS0_10empty_typeEEEZZNS1_27merge_sort_block_merge_implIS3_N6thrust23THRUST_200600_302600_NS6detail15normal_iteratorINS9_10device_ptrIjEEEEPS5_m9comp_mod3IjEEE10hipError_tT0_T1_T2_jT3_P12ihipStream_tbPNSt15iterator_traitsISJ_E10value_typeEPNSP_ISK_E10value_typeEPSL_NS1_7vsmem_tEENKUlT_SJ_SK_SL_E_clIPjSE_SF_SF_EESI_SY_SJ_SK_SL_EUlSY_E1_NS1_11comp_targetILNS1_3genE2ELNS1_11target_archE906ELNS1_3gpuE6ELNS1_3repE0EEENS1_36merge_oddeven_config_static_selectorELNS0_4arch9wavefront6targetE0EEEvSK_,comdat
	.protected	_ZN7rocprim17ROCPRIM_400000_NS6detail17trampoline_kernelINS0_14default_configENS1_38merge_sort_block_merge_config_selectorIjNS0_10empty_typeEEEZZNS1_27merge_sort_block_merge_implIS3_N6thrust23THRUST_200600_302600_NS6detail15normal_iteratorINS9_10device_ptrIjEEEEPS5_m9comp_mod3IjEEE10hipError_tT0_T1_T2_jT3_P12ihipStream_tbPNSt15iterator_traitsISJ_E10value_typeEPNSP_ISK_E10value_typeEPSL_NS1_7vsmem_tEENKUlT_SJ_SK_SL_E_clIPjSE_SF_SF_EESI_SY_SJ_SK_SL_EUlSY_E1_NS1_11comp_targetILNS1_3genE2ELNS1_11target_archE906ELNS1_3gpuE6ELNS1_3repE0EEENS1_36merge_oddeven_config_static_selectorELNS0_4arch9wavefront6targetE0EEEvSK_ ; -- Begin function _ZN7rocprim17ROCPRIM_400000_NS6detail17trampoline_kernelINS0_14default_configENS1_38merge_sort_block_merge_config_selectorIjNS0_10empty_typeEEEZZNS1_27merge_sort_block_merge_implIS3_N6thrust23THRUST_200600_302600_NS6detail15normal_iteratorINS9_10device_ptrIjEEEEPS5_m9comp_mod3IjEEE10hipError_tT0_T1_T2_jT3_P12ihipStream_tbPNSt15iterator_traitsISJ_E10value_typeEPNSP_ISK_E10value_typeEPSL_NS1_7vsmem_tEENKUlT_SJ_SK_SL_E_clIPjSE_SF_SF_EESI_SY_SJ_SK_SL_EUlSY_E1_NS1_11comp_targetILNS1_3genE2ELNS1_11target_archE906ELNS1_3gpuE6ELNS1_3repE0EEENS1_36merge_oddeven_config_static_selectorELNS0_4arch9wavefront6targetE0EEEvSK_
	.globl	_ZN7rocprim17ROCPRIM_400000_NS6detail17trampoline_kernelINS0_14default_configENS1_38merge_sort_block_merge_config_selectorIjNS0_10empty_typeEEEZZNS1_27merge_sort_block_merge_implIS3_N6thrust23THRUST_200600_302600_NS6detail15normal_iteratorINS9_10device_ptrIjEEEEPS5_m9comp_mod3IjEEE10hipError_tT0_T1_T2_jT3_P12ihipStream_tbPNSt15iterator_traitsISJ_E10value_typeEPNSP_ISK_E10value_typeEPSL_NS1_7vsmem_tEENKUlT_SJ_SK_SL_E_clIPjSE_SF_SF_EESI_SY_SJ_SK_SL_EUlSY_E1_NS1_11comp_targetILNS1_3genE2ELNS1_11target_archE906ELNS1_3gpuE6ELNS1_3repE0EEENS1_36merge_oddeven_config_static_selectorELNS0_4arch9wavefront6targetE0EEEvSK_
	.p2align	8
	.type	_ZN7rocprim17ROCPRIM_400000_NS6detail17trampoline_kernelINS0_14default_configENS1_38merge_sort_block_merge_config_selectorIjNS0_10empty_typeEEEZZNS1_27merge_sort_block_merge_implIS3_N6thrust23THRUST_200600_302600_NS6detail15normal_iteratorINS9_10device_ptrIjEEEEPS5_m9comp_mod3IjEEE10hipError_tT0_T1_T2_jT3_P12ihipStream_tbPNSt15iterator_traitsISJ_E10value_typeEPNSP_ISK_E10value_typeEPSL_NS1_7vsmem_tEENKUlT_SJ_SK_SL_E_clIPjSE_SF_SF_EESI_SY_SJ_SK_SL_EUlSY_E1_NS1_11comp_targetILNS1_3genE2ELNS1_11target_archE906ELNS1_3gpuE6ELNS1_3repE0EEENS1_36merge_oddeven_config_static_selectorELNS0_4arch9wavefront6targetE0EEEvSK_,@function
_ZN7rocprim17ROCPRIM_400000_NS6detail17trampoline_kernelINS0_14default_configENS1_38merge_sort_block_merge_config_selectorIjNS0_10empty_typeEEEZZNS1_27merge_sort_block_merge_implIS3_N6thrust23THRUST_200600_302600_NS6detail15normal_iteratorINS9_10device_ptrIjEEEEPS5_m9comp_mod3IjEEE10hipError_tT0_T1_T2_jT3_P12ihipStream_tbPNSt15iterator_traitsISJ_E10value_typeEPNSP_ISK_E10value_typeEPSL_NS1_7vsmem_tEENKUlT_SJ_SK_SL_E_clIPjSE_SF_SF_EESI_SY_SJ_SK_SL_EUlSY_E1_NS1_11comp_targetILNS1_3genE2ELNS1_11target_archE906ELNS1_3gpuE6ELNS1_3repE0EEENS1_36merge_oddeven_config_static_selectorELNS0_4arch9wavefront6targetE0EEEvSK_: ; @_ZN7rocprim17ROCPRIM_400000_NS6detail17trampoline_kernelINS0_14default_configENS1_38merge_sort_block_merge_config_selectorIjNS0_10empty_typeEEEZZNS1_27merge_sort_block_merge_implIS3_N6thrust23THRUST_200600_302600_NS6detail15normal_iteratorINS9_10device_ptrIjEEEEPS5_m9comp_mod3IjEEE10hipError_tT0_T1_T2_jT3_P12ihipStream_tbPNSt15iterator_traitsISJ_E10value_typeEPNSP_ISK_E10value_typeEPSL_NS1_7vsmem_tEENKUlT_SJ_SK_SL_E_clIPjSE_SF_SF_EESI_SY_SJ_SK_SL_EUlSY_E1_NS1_11comp_targetILNS1_3genE2ELNS1_11target_archE906ELNS1_3gpuE6ELNS1_3repE0EEENS1_36merge_oddeven_config_static_selectorELNS0_4arch9wavefront6targetE0EEEvSK_
; %bb.0:
	.section	.rodata,"a",@progbits
	.p2align	6, 0x0
	.amdhsa_kernel _ZN7rocprim17ROCPRIM_400000_NS6detail17trampoline_kernelINS0_14default_configENS1_38merge_sort_block_merge_config_selectorIjNS0_10empty_typeEEEZZNS1_27merge_sort_block_merge_implIS3_N6thrust23THRUST_200600_302600_NS6detail15normal_iteratorINS9_10device_ptrIjEEEEPS5_m9comp_mod3IjEEE10hipError_tT0_T1_T2_jT3_P12ihipStream_tbPNSt15iterator_traitsISJ_E10value_typeEPNSP_ISK_E10value_typeEPSL_NS1_7vsmem_tEENKUlT_SJ_SK_SL_E_clIPjSE_SF_SF_EESI_SY_SJ_SK_SL_EUlSY_E1_NS1_11comp_targetILNS1_3genE2ELNS1_11target_archE906ELNS1_3gpuE6ELNS1_3repE0EEENS1_36merge_oddeven_config_static_selectorELNS0_4arch9wavefront6targetE0EEEvSK_
		.amdhsa_group_segment_fixed_size 0
		.amdhsa_private_segment_fixed_size 0
		.amdhsa_kernarg_size 56
		.amdhsa_user_sgpr_count 6
		.amdhsa_user_sgpr_private_segment_buffer 1
		.amdhsa_user_sgpr_dispatch_ptr 0
		.amdhsa_user_sgpr_queue_ptr 0
		.amdhsa_user_sgpr_kernarg_segment_ptr 1
		.amdhsa_user_sgpr_dispatch_id 0
		.amdhsa_user_sgpr_flat_scratch_init 0
		.amdhsa_user_sgpr_private_segment_size 0
		.amdhsa_wavefront_size32 1
		.amdhsa_uses_dynamic_stack 0
		.amdhsa_system_sgpr_private_segment_wavefront_offset 0
		.amdhsa_system_sgpr_workgroup_id_x 1
		.amdhsa_system_sgpr_workgroup_id_y 0
		.amdhsa_system_sgpr_workgroup_id_z 0
		.amdhsa_system_sgpr_workgroup_info 0
		.amdhsa_system_vgpr_workitem_id 0
		.amdhsa_next_free_vgpr 1
		.amdhsa_next_free_sgpr 1
		.amdhsa_reserve_vcc 0
		.amdhsa_reserve_flat_scratch 0
		.amdhsa_float_round_mode_32 0
		.amdhsa_float_round_mode_16_64 0
		.amdhsa_float_denorm_mode_32 3
		.amdhsa_float_denorm_mode_16_64 3
		.amdhsa_dx10_clamp 1
		.amdhsa_ieee_mode 1
		.amdhsa_fp16_overflow 0
		.amdhsa_workgroup_processor_mode 1
		.amdhsa_memory_ordered 1
		.amdhsa_forward_progress 1
		.amdhsa_shared_vgpr_count 0
		.amdhsa_exception_fp_ieee_invalid_op 0
		.amdhsa_exception_fp_denorm_src 0
		.amdhsa_exception_fp_ieee_div_zero 0
		.amdhsa_exception_fp_ieee_overflow 0
		.amdhsa_exception_fp_ieee_underflow 0
		.amdhsa_exception_fp_ieee_inexact 0
		.amdhsa_exception_int_div_zero 0
	.end_amdhsa_kernel
	.section	.text._ZN7rocprim17ROCPRIM_400000_NS6detail17trampoline_kernelINS0_14default_configENS1_38merge_sort_block_merge_config_selectorIjNS0_10empty_typeEEEZZNS1_27merge_sort_block_merge_implIS3_N6thrust23THRUST_200600_302600_NS6detail15normal_iteratorINS9_10device_ptrIjEEEEPS5_m9comp_mod3IjEEE10hipError_tT0_T1_T2_jT3_P12ihipStream_tbPNSt15iterator_traitsISJ_E10value_typeEPNSP_ISK_E10value_typeEPSL_NS1_7vsmem_tEENKUlT_SJ_SK_SL_E_clIPjSE_SF_SF_EESI_SY_SJ_SK_SL_EUlSY_E1_NS1_11comp_targetILNS1_3genE2ELNS1_11target_archE906ELNS1_3gpuE6ELNS1_3repE0EEENS1_36merge_oddeven_config_static_selectorELNS0_4arch9wavefront6targetE0EEEvSK_,"axG",@progbits,_ZN7rocprim17ROCPRIM_400000_NS6detail17trampoline_kernelINS0_14default_configENS1_38merge_sort_block_merge_config_selectorIjNS0_10empty_typeEEEZZNS1_27merge_sort_block_merge_implIS3_N6thrust23THRUST_200600_302600_NS6detail15normal_iteratorINS9_10device_ptrIjEEEEPS5_m9comp_mod3IjEEE10hipError_tT0_T1_T2_jT3_P12ihipStream_tbPNSt15iterator_traitsISJ_E10value_typeEPNSP_ISK_E10value_typeEPSL_NS1_7vsmem_tEENKUlT_SJ_SK_SL_E_clIPjSE_SF_SF_EESI_SY_SJ_SK_SL_EUlSY_E1_NS1_11comp_targetILNS1_3genE2ELNS1_11target_archE906ELNS1_3gpuE6ELNS1_3repE0EEENS1_36merge_oddeven_config_static_selectorELNS0_4arch9wavefront6targetE0EEEvSK_,comdat
.Lfunc_end837:
	.size	_ZN7rocprim17ROCPRIM_400000_NS6detail17trampoline_kernelINS0_14default_configENS1_38merge_sort_block_merge_config_selectorIjNS0_10empty_typeEEEZZNS1_27merge_sort_block_merge_implIS3_N6thrust23THRUST_200600_302600_NS6detail15normal_iteratorINS9_10device_ptrIjEEEEPS5_m9comp_mod3IjEEE10hipError_tT0_T1_T2_jT3_P12ihipStream_tbPNSt15iterator_traitsISJ_E10value_typeEPNSP_ISK_E10value_typeEPSL_NS1_7vsmem_tEENKUlT_SJ_SK_SL_E_clIPjSE_SF_SF_EESI_SY_SJ_SK_SL_EUlSY_E1_NS1_11comp_targetILNS1_3genE2ELNS1_11target_archE906ELNS1_3gpuE6ELNS1_3repE0EEENS1_36merge_oddeven_config_static_selectorELNS0_4arch9wavefront6targetE0EEEvSK_, .Lfunc_end837-_ZN7rocprim17ROCPRIM_400000_NS6detail17trampoline_kernelINS0_14default_configENS1_38merge_sort_block_merge_config_selectorIjNS0_10empty_typeEEEZZNS1_27merge_sort_block_merge_implIS3_N6thrust23THRUST_200600_302600_NS6detail15normal_iteratorINS9_10device_ptrIjEEEEPS5_m9comp_mod3IjEEE10hipError_tT0_T1_T2_jT3_P12ihipStream_tbPNSt15iterator_traitsISJ_E10value_typeEPNSP_ISK_E10value_typeEPSL_NS1_7vsmem_tEENKUlT_SJ_SK_SL_E_clIPjSE_SF_SF_EESI_SY_SJ_SK_SL_EUlSY_E1_NS1_11comp_targetILNS1_3genE2ELNS1_11target_archE906ELNS1_3gpuE6ELNS1_3repE0EEENS1_36merge_oddeven_config_static_selectorELNS0_4arch9wavefront6targetE0EEEvSK_
                                        ; -- End function
	.set _ZN7rocprim17ROCPRIM_400000_NS6detail17trampoline_kernelINS0_14default_configENS1_38merge_sort_block_merge_config_selectorIjNS0_10empty_typeEEEZZNS1_27merge_sort_block_merge_implIS3_N6thrust23THRUST_200600_302600_NS6detail15normal_iteratorINS9_10device_ptrIjEEEEPS5_m9comp_mod3IjEEE10hipError_tT0_T1_T2_jT3_P12ihipStream_tbPNSt15iterator_traitsISJ_E10value_typeEPNSP_ISK_E10value_typeEPSL_NS1_7vsmem_tEENKUlT_SJ_SK_SL_E_clIPjSE_SF_SF_EESI_SY_SJ_SK_SL_EUlSY_E1_NS1_11comp_targetILNS1_3genE2ELNS1_11target_archE906ELNS1_3gpuE6ELNS1_3repE0EEENS1_36merge_oddeven_config_static_selectorELNS0_4arch9wavefront6targetE0EEEvSK_.num_vgpr, 0
	.set _ZN7rocprim17ROCPRIM_400000_NS6detail17trampoline_kernelINS0_14default_configENS1_38merge_sort_block_merge_config_selectorIjNS0_10empty_typeEEEZZNS1_27merge_sort_block_merge_implIS3_N6thrust23THRUST_200600_302600_NS6detail15normal_iteratorINS9_10device_ptrIjEEEEPS5_m9comp_mod3IjEEE10hipError_tT0_T1_T2_jT3_P12ihipStream_tbPNSt15iterator_traitsISJ_E10value_typeEPNSP_ISK_E10value_typeEPSL_NS1_7vsmem_tEENKUlT_SJ_SK_SL_E_clIPjSE_SF_SF_EESI_SY_SJ_SK_SL_EUlSY_E1_NS1_11comp_targetILNS1_3genE2ELNS1_11target_archE906ELNS1_3gpuE6ELNS1_3repE0EEENS1_36merge_oddeven_config_static_selectorELNS0_4arch9wavefront6targetE0EEEvSK_.num_agpr, 0
	.set _ZN7rocprim17ROCPRIM_400000_NS6detail17trampoline_kernelINS0_14default_configENS1_38merge_sort_block_merge_config_selectorIjNS0_10empty_typeEEEZZNS1_27merge_sort_block_merge_implIS3_N6thrust23THRUST_200600_302600_NS6detail15normal_iteratorINS9_10device_ptrIjEEEEPS5_m9comp_mod3IjEEE10hipError_tT0_T1_T2_jT3_P12ihipStream_tbPNSt15iterator_traitsISJ_E10value_typeEPNSP_ISK_E10value_typeEPSL_NS1_7vsmem_tEENKUlT_SJ_SK_SL_E_clIPjSE_SF_SF_EESI_SY_SJ_SK_SL_EUlSY_E1_NS1_11comp_targetILNS1_3genE2ELNS1_11target_archE906ELNS1_3gpuE6ELNS1_3repE0EEENS1_36merge_oddeven_config_static_selectorELNS0_4arch9wavefront6targetE0EEEvSK_.numbered_sgpr, 0
	.set _ZN7rocprim17ROCPRIM_400000_NS6detail17trampoline_kernelINS0_14default_configENS1_38merge_sort_block_merge_config_selectorIjNS0_10empty_typeEEEZZNS1_27merge_sort_block_merge_implIS3_N6thrust23THRUST_200600_302600_NS6detail15normal_iteratorINS9_10device_ptrIjEEEEPS5_m9comp_mod3IjEEE10hipError_tT0_T1_T2_jT3_P12ihipStream_tbPNSt15iterator_traitsISJ_E10value_typeEPNSP_ISK_E10value_typeEPSL_NS1_7vsmem_tEENKUlT_SJ_SK_SL_E_clIPjSE_SF_SF_EESI_SY_SJ_SK_SL_EUlSY_E1_NS1_11comp_targetILNS1_3genE2ELNS1_11target_archE906ELNS1_3gpuE6ELNS1_3repE0EEENS1_36merge_oddeven_config_static_selectorELNS0_4arch9wavefront6targetE0EEEvSK_.num_named_barrier, 0
	.set _ZN7rocprim17ROCPRIM_400000_NS6detail17trampoline_kernelINS0_14default_configENS1_38merge_sort_block_merge_config_selectorIjNS0_10empty_typeEEEZZNS1_27merge_sort_block_merge_implIS3_N6thrust23THRUST_200600_302600_NS6detail15normal_iteratorINS9_10device_ptrIjEEEEPS5_m9comp_mod3IjEEE10hipError_tT0_T1_T2_jT3_P12ihipStream_tbPNSt15iterator_traitsISJ_E10value_typeEPNSP_ISK_E10value_typeEPSL_NS1_7vsmem_tEENKUlT_SJ_SK_SL_E_clIPjSE_SF_SF_EESI_SY_SJ_SK_SL_EUlSY_E1_NS1_11comp_targetILNS1_3genE2ELNS1_11target_archE906ELNS1_3gpuE6ELNS1_3repE0EEENS1_36merge_oddeven_config_static_selectorELNS0_4arch9wavefront6targetE0EEEvSK_.private_seg_size, 0
	.set _ZN7rocprim17ROCPRIM_400000_NS6detail17trampoline_kernelINS0_14default_configENS1_38merge_sort_block_merge_config_selectorIjNS0_10empty_typeEEEZZNS1_27merge_sort_block_merge_implIS3_N6thrust23THRUST_200600_302600_NS6detail15normal_iteratorINS9_10device_ptrIjEEEEPS5_m9comp_mod3IjEEE10hipError_tT0_T1_T2_jT3_P12ihipStream_tbPNSt15iterator_traitsISJ_E10value_typeEPNSP_ISK_E10value_typeEPSL_NS1_7vsmem_tEENKUlT_SJ_SK_SL_E_clIPjSE_SF_SF_EESI_SY_SJ_SK_SL_EUlSY_E1_NS1_11comp_targetILNS1_3genE2ELNS1_11target_archE906ELNS1_3gpuE6ELNS1_3repE0EEENS1_36merge_oddeven_config_static_selectorELNS0_4arch9wavefront6targetE0EEEvSK_.uses_vcc, 0
	.set _ZN7rocprim17ROCPRIM_400000_NS6detail17trampoline_kernelINS0_14default_configENS1_38merge_sort_block_merge_config_selectorIjNS0_10empty_typeEEEZZNS1_27merge_sort_block_merge_implIS3_N6thrust23THRUST_200600_302600_NS6detail15normal_iteratorINS9_10device_ptrIjEEEEPS5_m9comp_mod3IjEEE10hipError_tT0_T1_T2_jT3_P12ihipStream_tbPNSt15iterator_traitsISJ_E10value_typeEPNSP_ISK_E10value_typeEPSL_NS1_7vsmem_tEENKUlT_SJ_SK_SL_E_clIPjSE_SF_SF_EESI_SY_SJ_SK_SL_EUlSY_E1_NS1_11comp_targetILNS1_3genE2ELNS1_11target_archE906ELNS1_3gpuE6ELNS1_3repE0EEENS1_36merge_oddeven_config_static_selectorELNS0_4arch9wavefront6targetE0EEEvSK_.uses_flat_scratch, 0
	.set _ZN7rocprim17ROCPRIM_400000_NS6detail17trampoline_kernelINS0_14default_configENS1_38merge_sort_block_merge_config_selectorIjNS0_10empty_typeEEEZZNS1_27merge_sort_block_merge_implIS3_N6thrust23THRUST_200600_302600_NS6detail15normal_iteratorINS9_10device_ptrIjEEEEPS5_m9comp_mod3IjEEE10hipError_tT0_T1_T2_jT3_P12ihipStream_tbPNSt15iterator_traitsISJ_E10value_typeEPNSP_ISK_E10value_typeEPSL_NS1_7vsmem_tEENKUlT_SJ_SK_SL_E_clIPjSE_SF_SF_EESI_SY_SJ_SK_SL_EUlSY_E1_NS1_11comp_targetILNS1_3genE2ELNS1_11target_archE906ELNS1_3gpuE6ELNS1_3repE0EEENS1_36merge_oddeven_config_static_selectorELNS0_4arch9wavefront6targetE0EEEvSK_.has_dyn_sized_stack, 0
	.set _ZN7rocprim17ROCPRIM_400000_NS6detail17trampoline_kernelINS0_14default_configENS1_38merge_sort_block_merge_config_selectorIjNS0_10empty_typeEEEZZNS1_27merge_sort_block_merge_implIS3_N6thrust23THRUST_200600_302600_NS6detail15normal_iteratorINS9_10device_ptrIjEEEEPS5_m9comp_mod3IjEEE10hipError_tT0_T1_T2_jT3_P12ihipStream_tbPNSt15iterator_traitsISJ_E10value_typeEPNSP_ISK_E10value_typeEPSL_NS1_7vsmem_tEENKUlT_SJ_SK_SL_E_clIPjSE_SF_SF_EESI_SY_SJ_SK_SL_EUlSY_E1_NS1_11comp_targetILNS1_3genE2ELNS1_11target_archE906ELNS1_3gpuE6ELNS1_3repE0EEENS1_36merge_oddeven_config_static_selectorELNS0_4arch9wavefront6targetE0EEEvSK_.has_recursion, 0
	.set _ZN7rocprim17ROCPRIM_400000_NS6detail17trampoline_kernelINS0_14default_configENS1_38merge_sort_block_merge_config_selectorIjNS0_10empty_typeEEEZZNS1_27merge_sort_block_merge_implIS3_N6thrust23THRUST_200600_302600_NS6detail15normal_iteratorINS9_10device_ptrIjEEEEPS5_m9comp_mod3IjEEE10hipError_tT0_T1_T2_jT3_P12ihipStream_tbPNSt15iterator_traitsISJ_E10value_typeEPNSP_ISK_E10value_typeEPSL_NS1_7vsmem_tEENKUlT_SJ_SK_SL_E_clIPjSE_SF_SF_EESI_SY_SJ_SK_SL_EUlSY_E1_NS1_11comp_targetILNS1_3genE2ELNS1_11target_archE906ELNS1_3gpuE6ELNS1_3repE0EEENS1_36merge_oddeven_config_static_selectorELNS0_4arch9wavefront6targetE0EEEvSK_.has_indirect_call, 0
	.section	.AMDGPU.csdata,"",@progbits
; Kernel info:
; codeLenInByte = 0
; TotalNumSgprs: 0
; NumVgprs: 0
; ScratchSize: 0
; MemoryBound: 0
; FloatMode: 240
; IeeeMode: 1
; LDSByteSize: 0 bytes/workgroup (compile time only)
; SGPRBlocks: 0
; VGPRBlocks: 0
; NumSGPRsForWavesPerEU: 1
; NumVGPRsForWavesPerEU: 1
; Occupancy: 16
; WaveLimiterHint : 0
; COMPUTE_PGM_RSRC2:SCRATCH_EN: 0
; COMPUTE_PGM_RSRC2:USER_SGPR: 6
; COMPUTE_PGM_RSRC2:TRAP_HANDLER: 0
; COMPUTE_PGM_RSRC2:TGID_X_EN: 1
; COMPUTE_PGM_RSRC2:TGID_Y_EN: 0
; COMPUTE_PGM_RSRC2:TGID_Z_EN: 0
; COMPUTE_PGM_RSRC2:TIDIG_COMP_CNT: 0
	.section	.text._ZN7rocprim17ROCPRIM_400000_NS6detail17trampoline_kernelINS0_14default_configENS1_38merge_sort_block_merge_config_selectorIjNS0_10empty_typeEEEZZNS1_27merge_sort_block_merge_implIS3_N6thrust23THRUST_200600_302600_NS6detail15normal_iteratorINS9_10device_ptrIjEEEEPS5_m9comp_mod3IjEEE10hipError_tT0_T1_T2_jT3_P12ihipStream_tbPNSt15iterator_traitsISJ_E10value_typeEPNSP_ISK_E10value_typeEPSL_NS1_7vsmem_tEENKUlT_SJ_SK_SL_E_clIPjSE_SF_SF_EESI_SY_SJ_SK_SL_EUlSY_E1_NS1_11comp_targetILNS1_3genE9ELNS1_11target_archE1100ELNS1_3gpuE3ELNS1_3repE0EEENS1_36merge_oddeven_config_static_selectorELNS0_4arch9wavefront6targetE0EEEvSK_,"axG",@progbits,_ZN7rocprim17ROCPRIM_400000_NS6detail17trampoline_kernelINS0_14default_configENS1_38merge_sort_block_merge_config_selectorIjNS0_10empty_typeEEEZZNS1_27merge_sort_block_merge_implIS3_N6thrust23THRUST_200600_302600_NS6detail15normal_iteratorINS9_10device_ptrIjEEEEPS5_m9comp_mod3IjEEE10hipError_tT0_T1_T2_jT3_P12ihipStream_tbPNSt15iterator_traitsISJ_E10value_typeEPNSP_ISK_E10value_typeEPSL_NS1_7vsmem_tEENKUlT_SJ_SK_SL_E_clIPjSE_SF_SF_EESI_SY_SJ_SK_SL_EUlSY_E1_NS1_11comp_targetILNS1_3genE9ELNS1_11target_archE1100ELNS1_3gpuE3ELNS1_3repE0EEENS1_36merge_oddeven_config_static_selectorELNS0_4arch9wavefront6targetE0EEEvSK_,comdat
	.protected	_ZN7rocprim17ROCPRIM_400000_NS6detail17trampoline_kernelINS0_14default_configENS1_38merge_sort_block_merge_config_selectorIjNS0_10empty_typeEEEZZNS1_27merge_sort_block_merge_implIS3_N6thrust23THRUST_200600_302600_NS6detail15normal_iteratorINS9_10device_ptrIjEEEEPS5_m9comp_mod3IjEEE10hipError_tT0_T1_T2_jT3_P12ihipStream_tbPNSt15iterator_traitsISJ_E10value_typeEPNSP_ISK_E10value_typeEPSL_NS1_7vsmem_tEENKUlT_SJ_SK_SL_E_clIPjSE_SF_SF_EESI_SY_SJ_SK_SL_EUlSY_E1_NS1_11comp_targetILNS1_3genE9ELNS1_11target_archE1100ELNS1_3gpuE3ELNS1_3repE0EEENS1_36merge_oddeven_config_static_selectorELNS0_4arch9wavefront6targetE0EEEvSK_ ; -- Begin function _ZN7rocprim17ROCPRIM_400000_NS6detail17trampoline_kernelINS0_14default_configENS1_38merge_sort_block_merge_config_selectorIjNS0_10empty_typeEEEZZNS1_27merge_sort_block_merge_implIS3_N6thrust23THRUST_200600_302600_NS6detail15normal_iteratorINS9_10device_ptrIjEEEEPS5_m9comp_mod3IjEEE10hipError_tT0_T1_T2_jT3_P12ihipStream_tbPNSt15iterator_traitsISJ_E10value_typeEPNSP_ISK_E10value_typeEPSL_NS1_7vsmem_tEENKUlT_SJ_SK_SL_E_clIPjSE_SF_SF_EESI_SY_SJ_SK_SL_EUlSY_E1_NS1_11comp_targetILNS1_3genE9ELNS1_11target_archE1100ELNS1_3gpuE3ELNS1_3repE0EEENS1_36merge_oddeven_config_static_selectorELNS0_4arch9wavefront6targetE0EEEvSK_
	.globl	_ZN7rocprim17ROCPRIM_400000_NS6detail17trampoline_kernelINS0_14default_configENS1_38merge_sort_block_merge_config_selectorIjNS0_10empty_typeEEEZZNS1_27merge_sort_block_merge_implIS3_N6thrust23THRUST_200600_302600_NS6detail15normal_iteratorINS9_10device_ptrIjEEEEPS5_m9comp_mod3IjEEE10hipError_tT0_T1_T2_jT3_P12ihipStream_tbPNSt15iterator_traitsISJ_E10value_typeEPNSP_ISK_E10value_typeEPSL_NS1_7vsmem_tEENKUlT_SJ_SK_SL_E_clIPjSE_SF_SF_EESI_SY_SJ_SK_SL_EUlSY_E1_NS1_11comp_targetILNS1_3genE9ELNS1_11target_archE1100ELNS1_3gpuE3ELNS1_3repE0EEENS1_36merge_oddeven_config_static_selectorELNS0_4arch9wavefront6targetE0EEEvSK_
	.p2align	8
	.type	_ZN7rocprim17ROCPRIM_400000_NS6detail17trampoline_kernelINS0_14default_configENS1_38merge_sort_block_merge_config_selectorIjNS0_10empty_typeEEEZZNS1_27merge_sort_block_merge_implIS3_N6thrust23THRUST_200600_302600_NS6detail15normal_iteratorINS9_10device_ptrIjEEEEPS5_m9comp_mod3IjEEE10hipError_tT0_T1_T2_jT3_P12ihipStream_tbPNSt15iterator_traitsISJ_E10value_typeEPNSP_ISK_E10value_typeEPSL_NS1_7vsmem_tEENKUlT_SJ_SK_SL_E_clIPjSE_SF_SF_EESI_SY_SJ_SK_SL_EUlSY_E1_NS1_11comp_targetILNS1_3genE9ELNS1_11target_archE1100ELNS1_3gpuE3ELNS1_3repE0EEENS1_36merge_oddeven_config_static_selectorELNS0_4arch9wavefront6targetE0EEEvSK_,@function
_ZN7rocprim17ROCPRIM_400000_NS6detail17trampoline_kernelINS0_14default_configENS1_38merge_sort_block_merge_config_selectorIjNS0_10empty_typeEEEZZNS1_27merge_sort_block_merge_implIS3_N6thrust23THRUST_200600_302600_NS6detail15normal_iteratorINS9_10device_ptrIjEEEEPS5_m9comp_mod3IjEEE10hipError_tT0_T1_T2_jT3_P12ihipStream_tbPNSt15iterator_traitsISJ_E10value_typeEPNSP_ISK_E10value_typeEPSL_NS1_7vsmem_tEENKUlT_SJ_SK_SL_E_clIPjSE_SF_SF_EESI_SY_SJ_SK_SL_EUlSY_E1_NS1_11comp_targetILNS1_3genE9ELNS1_11target_archE1100ELNS1_3gpuE3ELNS1_3repE0EEENS1_36merge_oddeven_config_static_selectorELNS0_4arch9wavefront6targetE0EEEvSK_: ; @_ZN7rocprim17ROCPRIM_400000_NS6detail17trampoline_kernelINS0_14default_configENS1_38merge_sort_block_merge_config_selectorIjNS0_10empty_typeEEEZZNS1_27merge_sort_block_merge_implIS3_N6thrust23THRUST_200600_302600_NS6detail15normal_iteratorINS9_10device_ptrIjEEEEPS5_m9comp_mod3IjEEE10hipError_tT0_T1_T2_jT3_P12ihipStream_tbPNSt15iterator_traitsISJ_E10value_typeEPNSP_ISK_E10value_typeEPSL_NS1_7vsmem_tEENKUlT_SJ_SK_SL_E_clIPjSE_SF_SF_EESI_SY_SJ_SK_SL_EUlSY_E1_NS1_11comp_targetILNS1_3genE9ELNS1_11target_archE1100ELNS1_3gpuE3ELNS1_3repE0EEENS1_36merge_oddeven_config_static_selectorELNS0_4arch9wavefront6targetE0EEEvSK_
; %bb.0:
	.section	.rodata,"a",@progbits
	.p2align	6, 0x0
	.amdhsa_kernel _ZN7rocprim17ROCPRIM_400000_NS6detail17trampoline_kernelINS0_14default_configENS1_38merge_sort_block_merge_config_selectorIjNS0_10empty_typeEEEZZNS1_27merge_sort_block_merge_implIS3_N6thrust23THRUST_200600_302600_NS6detail15normal_iteratorINS9_10device_ptrIjEEEEPS5_m9comp_mod3IjEEE10hipError_tT0_T1_T2_jT3_P12ihipStream_tbPNSt15iterator_traitsISJ_E10value_typeEPNSP_ISK_E10value_typeEPSL_NS1_7vsmem_tEENKUlT_SJ_SK_SL_E_clIPjSE_SF_SF_EESI_SY_SJ_SK_SL_EUlSY_E1_NS1_11comp_targetILNS1_3genE9ELNS1_11target_archE1100ELNS1_3gpuE3ELNS1_3repE0EEENS1_36merge_oddeven_config_static_selectorELNS0_4arch9wavefront6targetE0EEEvSK_
		.amdhsa_group_segment_fixed_size 0
		.amdhsa_private_segment_fixed_size 0
		.amdhsa_kernarg_size 56
		.amdhsa_user_sgpr_count 6
		.amdhsa_user_sgpr_private_segment_buffer 1
		.amdhsa_user_sgpr_dispatch_ptr 0
		.amdhsa_user_sgpr_queue_ptr 0
		.amdhsa_user_sgpr_kernarg_segment_ptr 1
		.amdhsa_user_sgpr_dispatch_id 0
		.amdhsa_user_sgpr_flat_scratch_init 0
		.amdhsa_user_sgpr_private_segment_size 0
		.amdhsa_wavefront_size32 1
		.amdhsa_uses_dynamic_stack 0
		.amdhsa_system_sgpr_private_segment_wavefront_offset 0
		.amdhsa_system_sgpr_workgroup_id_x 1
		.amdhsa_system_sgpr_workgroup_id_y 0
		.amdhsa_system_sgpr_workgroup_id_z 0
		.amdhsa_system_sgpr_workgroup_info 0
		.amdhsa_system_vgpr_workitem_id 0
		.amdhsa_next_free_vgpr 1
		.amdhsa_next_free_sgpr 1
		.amdhsa_reserve_vcc 0
		.amdhsa_reserve_flat_scratch 0
		.amdhsa_float_round_mode_32 0
		.amdhsa_float_round_mode_16_64 0
		.amdhsa_float_denorm_mode_32 3
		.amdhsa_float_denorm_mode_16_64 3
		.amdhsa_dx10_clamp 1
		.amdhsa_ieee_mode 1
		.amdhsa_fp16_overflow 0
		.amdhsa_workgroup_processor_mode 1
		.amdhsa_memory_ordered 1
		.amdhsa_forward_progress 1
		.amdhsa_shared_vgpr_count 0
		.amdhsa_exception_fp_ieee_invalid_op 0
		.amdhsa_exception_fp_denorm_src 0
		.amdhsa_exception_fp_ieee_div_zero 0
		.amdhsa_exception_fp_ieee_overflow 0
		.amdhsa_exception_fp_ieee_underflow 0
		.amdhsa_exception_fp_ieee_inexact 0
		.amdhsa_exception_int_div_zero 0
	.end_amdhsa_kernel
	.section	.text._ZN7rocprim17ROCPRIM_400000_NS6detail17trampoline_kernelINS0_14default_configENS1_38merge_sort_block_merge_config_selectorIjNS0_10empty_typeEEEZZNS1_27merge_sort_block_merge_implIS3_N6thrust23THRUST_200600_302600_NS6detail15normal_iteratorINS9_10device_ptrIjEEEEPS5_m9comp_mod3IjEEE10hipError_tT0_T1_T2_jT3_P12ihipStream_tbPNSt15iterator_traitsISJ_E10value_typeEPNSP_ISK_E10value_typeEPSL_NS1_7vsmem_tEENKUlT_SJ_SK_SL_E_clIPjSE_SF_SF_EESI_SY_SJ_SK_SL_EUlSY_E1_NS1_11comp_targetILNS1_3genE9ELNS1_11target_archE1100ELNS1_3gpuE3ELNS1_3repE0EEENS1_36merge_oddeven_config_static_selectorELNS0_4arch9wavefront6targetE0EEEvSK_,"axG",@progbits,_ZN7rocprim17ROCPRIM_400000_NS6detail17trampoline_kernelINS0_14default_configENS1_38merge_sort_block_merge_config_selectorIjNS0_10empty_typeEEEZZNS1_27merge_sort_block_merge_implIS3_N6thrust23THRUST_200600_302600_NS6detail15normal_iteratorINS9_10device_ptrIjEEEEPS5_m9comp_mod3IjEEE10hipError_tT0_T1_T2_jT3_P12ihipStream_tbPNSt15iterator_traitsISJ_E10value_typeEPNSP_ISK_E10value_typeEPSL_NS1_7vsmem_tEENKUlT_SJ_SK_SL_E_clIPjSE_SF_SF_EESI_SY_SJ_SK_SL_EUlSY_E1_NS1_11comp_targetILNS1_3genE9ELNS1_11target_archE1100ELNS1_3gpuE3ELNS1_3repE0EEENS1_36merge_oddeven_config_static_selectorELNS0_4arch9wavefront6targetE0EEEvSK_,comdat
.Lfunc_end838:
	.size	_ZN7rocprim17ROCPRIM_400000_NS6detail17trampoline_kernelINS0_14default_configENS1_38merge_sort_block_merge_config_selectorIjNS0_10empty_typeEEEZZNS1_27merge_sort_block_merge_implIS3_N6thrust23THRUST_200600_302600_NS6detail15normal_iteratorINS9_10device_ptrIjEEEEPS5_m9comp_mod3IjEEE10hipError_tT0_T1_T2_jT3_P12ihipStream_tbPNSt15iterator_traitsISJ_E10value_typeEPNSP_ISK_E10value_typeEPSL_NS1_7vsmem_tEENKUlT_SJ_SK_SL_E_clIPjSE_SF_SF_EESI_SY_SJ_SK_SL_EUlSY_E1_NS1_11comp_targetILNS1_3genE9ELNS1_11target_archE1100ELNS1_3gpuE3ELNS1_3repE0EEENS1_36merge_oddeven_config_static_selectorELNS0_4arch9wavefront6targetE0EEEvSK_, .Lfunc_end838-_ZN7rocprim17ROCPRIM_400000_NS6detail17trampoline_kernelINS0_14default_configENS1_38merge_sort_block_merge_config_selectorIjNS0_10empty_typeEEEZZNS1_27merge_sort_block_merge_implIS3_N6thrust23THRUST_200600_302600_NS6detail15normal_iteratorINS9_10device_ptrIjEEEEPS5_m9comp_mod3IjEEE10hipError_tT0_T1_T2_jT3_P12ihipStream_tbPNSt15iterator_traitsISJ_E10value_typeEPNSP_ISK_E10value_typeEPSL_NS1_7vsmem_tEENKUlT_SJ_SK_SL_E_clIPjSE_SF_SF_EESI_SY_SJ_SK_SL_EUlSY_E1_NS1_11comp_targetILNS1_3genE9ELNS1_11target_archE1100ELNS1_3gpuE3ELNS1_3repE0EEENS1_36merge_oddeven_config_static_selectorELNS0_4arch9wavefront6targetE0EEEvSK_
                                        ; -- End function
	.set _ZN7rocprim17ROCPRIM_400000_NS6detail17trampoline_kernelINS0_14default_configENS1_38merge_sort_block_merge_config_selectorIjNS0_10empty_typeEEEZZNS1_27merge_sort_block_merge_implIS3_N6thrust23THRUST_200600_302600_NS6detail15normal_iteratorINS9_10device_ptrIjEEEEPS5_m9comp_mod3IjEEE10hipError_tT0_T1_T2_jT3_P12ihipStream_tbPNSt15iterator_traitsISJ_E10value_typeEPNSP_ISK_E10value_typeEPSL_NS1_7vsmem_tEENKUlT_SJ_SK_SL_E_clIPjSE_SF_SF_EESI_SY_SJ_SK_SL_EUlSY_E1_NS1_11comp_targetILNS1_3genE9ELNS1_11target_archE1100ELNS1_3gpuE3ELNS1_3repE0EEENS1_36merge_oddeven_config_static_selectorELNS0_4arch9wavefront6targetE0EEEvSK_.num_vgpr, 0
	.set _ZN7rocprim17ROCPRIM_400000_NS6detail17trampoline_kernelINS0_14default_configENS1_38merge_sort_block_merge_config_selectorIjNS0_10empty_typeEEEZZNS1_27merge_sort_block_merge_implIS3_N6thrust23THRUST_200600_302600_NS6detail15normal_iteratorINS9_10device_ptrIjEEEEPS5_m9comp_mod3IjEEE10hipError_tT0_T1_T2_jT3_P12ihipStream_tbPNSt15iterator_traitsISJ_E10value_typeEPNSP_ISK_E10value_typeEPSL_NS1_7vsmem_tEENKUlT_SJ_SK_SL_E_clIPjSE_SF_SF_EESI_SY_SJ_SK_SL_EUlSY_E1_NS1_11comp_targetILNS1_3genE9ELNS1_11target_archE1100ELNS1_3gpuE3ELNS1_3repE0EEENS1_36merge_oddeven_config_static_selectorELNS0_4arch9wavefront6targetE0EEEvSK_.num_agpr, 0
	.set _ZN7rocprim17ROCPRIM_400000_NS6detail17trampoline_kernelINS0_14default_configENS1_38merge_sort_block_merge_config_selectorIjNS0_10empty_typeEEEZZNS1_27merge_sort_block_merge_implIS3_N6thrust23THRUST_200600_302600_NS6detail15normal_iteratorINS9_10device_ptrIjEEEEPS5_m9comp_mod3IjEEE10hipError_tT0_T1_T2_jT3_P12ihipStream_tbPNSt15iterator_traitsISJ_E10value_typeEPNSP_ISK_E10value_typeEPSL_NS1_7vsmem_tEENKUlT_SJ_SK_SL_E_clIPjSE_SF_SF_EESI_SY_SJ_SK_SL_EUlSY_E1_NS1_11comp_targetILNS1_3genE9ELNS1_11target_archE1100ELNS1_3gpuE3ELNS1_3repE0EEENS1_36merge_oddeven_config_static_selectorELNS0_4arch9wavefront6targetE0EEEvSK_.numbered_sgpr, 0
	.set _ZN7rocprim17ROCPRIM_400000_NS6detail17trampoline_kernelINS0_14default_configENS1_38merge_sort_block_merge_config_selectorIjNS0_10empty_typeEEEZZNS1_27merge_sort_block_merge_implIS3_N6thrust23THRUST_200600_302600_NS6detail15normal_iteratorINS9_10device_ptrIjEEEEPS5_m9comp_mod3IjEEE10hipError_tT0_T1_T2_jT3_P12ihipStream_tbPNSt15iterator_traitsISJ_E10value_typeEPNSP_ISK_E10value_typeEPSL_NS1_7vsmem_tEENKUlT_SJ_SK_SL_E_clIPjSE_SF_SF_EESI_SY_SJ_SK_SL_EUlSY_E1_NS1_11comp_targetILNS1_3genE9ELNS1_11target_archE1100ELNS1_3gpuE3ELNS1_3repE0EEENS1_36merge_oddeven_config_static_selectorELNS0_4arch9wavefront6targetE0EEEvSK_.num_named_barrier, 0
	.set _ZN7rocprim17ROCPRIM_400000_NS6detail17trampoline_kernelINS0_14default_configENS1_38merge_sort_block_merge_config_selectorIjNS0_10empty_typeEEEZZNS1_27merge_sort_block_merge_implIS3_N6thrust23THRUST_200600_302600_NS6detail15normal_iteratorINS9_10device_ptrIjEEEEPS5_m9comp_mod3IjEEE10hipError_tT0_T1_T2_jT3_P12ihipStream_tbPNSt15iterator_traitsISJ_E10value_typeEPNSP_ISK_E10value_typeEPSL_NS1_7vsmem_tEENKUlT_SJ_SK_SL_E_clIPjSE_SF_SF_EESI_SY_SJ_SK_SL_EUlSY_E1_NS1_11comp_targetILNS1_3genE9ELNS1_11target_archE1100ELNS1_3gpuE3ELNS1_3repE0EEENS1_36merge_oddeven_config_static_selectorELNS0_4arch9wavefront6targetE0EEEvSK_.private_seg_size, 0
	.set _ZN7rocprim17ROCPRIM_400000_NS6detail17trampoline_kernelINS0_14default_configENS1_38merge_sort_block_merge_config_selectorIjNS0_10empty_typeEEEZZNS1_27merge_sort_block_merge_implIS3_N6thrust23THRUST_200600_302600_NS6detail15normal_iteratorINS9_10device_ptrIjEEEEPS5_m9comp_mod3IjEEE10hipError_tT0_T1_T2_jT3_P12ihipStream_tbPNSt15iterator_traitsISJ_E10value_typeEPNSP_ISK_E10value_typeEPSL_NS1_7vsmem_tEENKUlT_SJ_SK_SL_E_clIPjSE_SF_SF_EESI_SY_SJ_SK_SL_EUlSY_E1_NS1_11comp_targetILNS1_3genE9ELNS1_11target_archE1100ELNS1_3gpuE3ELNS1_3repE0EEENS1_36merge_oddeven_config_static_selectorELNS0_4arch9wavefront6targetE0EEEvSK_.uses_vcc, 0
	.set _ZN7rocprim17ROCPRIM_400000_NS6detail17trampoline_kernelINS0_14default_configENS1_38merge_sort_block_merge_config_selectorIjNS0_10empty_typeEEEZZNS1_27merge_sort_block_merge_implIS3_N6thrust23THRUST_200600_302600_NS6detail15normal_iteratorINS9_10device_ptrIjEEEEPS5_m9comp_mod3IjEEE10hipError_tT0_T1_T2_jT3_P12ihipStream_tbPNSt15iterator_traitsISJ_E10value_typeEPNSP_ISK_E10value_typeEPSL_NS1_7vsmem_tEENKUlT_SJ_SK_SL_E_clIPjSE_SF_SF_EESI_SY_SJ_SK_SL_EUlSY_E1_NS1_11comp_targetILNS1_3genE9ELNS1_11target_archE1100ELNS1_3gpuE3ELNS1_3repE0EEENS1_36merge_oddeven_config_static_selectorELNS0_4arch9wavefront6targetE0EEEvSK_.uses_flat_scratch, 0
	.set _ZN7rocprim17ROCPRIM_400000_NS6detail17trampoline_kernelINS0_14default_configENS1_38merge_sort_block_merge_config_selectorIjNS0_10empty_typeEEEZZNS1_27merge_sort_block_merge_implIS3_N6thrust23THRUST_200600_302600_NS6detail15normal_iteratorINS9_10device_ptrIjEEEEPS5_m9comp_mod3IjEEE10hipError_tT0_T1_T2_jT3_P12ihipStream_tbPNSt15iterator_traitsISJ_E10value_typeEPNSP_ISK_E10value_typeEPSL_NS1_7vsmem_tEENKUlT_SJ_SK_SL_E_clIPjSE_SF_SF_EESI_SY_SJ_SK_SL_EUlSY_E1_NS1_11comp_targetILNS1_3genE9ELNS1_11target_archE1100ELNS1_3gpuE3ELNS1_3repE0EEENS1_36merge_oddeven_config_static_selectorELNS0_4arch9wavefront6targetE0EEEvSK_.has_dyn_sized_stack, 0
	.set _ZN7rocprim17ROCPRIM_400000_NS6detail17trampoline_kernelINS0_14default_configENS1_38merge_sort_block_merge_config_selectorIjNS0_10empty_typeEEEZZNS1_27merge_sort_block_merge_implIS3_N6thrust23THRUST_200600_302600_NS6detail15normal_iteratorINS9_10device_ptrIjEEEEPS5_m9comp_mod3IjEEE10hipError_tT0_T1_T2_jT3_P12ihipStream_tbPNSt15iterator_traitsISJ_E10value_typeEPNSP_ISK_E10value_typeEPSL_NS1_7vsmem_tEENKUlT_SJ_SK_SL_E_clIPjSE_SF_SF_EESI_SY_SJ_SK_SL_EUlSY_E1_NS1_11comp_targetILNS1_3genE9ELNS1_11target_archE1100ELNS1_3gpuE3ELNS1_3repE0EEENS1_36merge_oddeven_config_static_selectorELNS0_4arch9wavefront6targetE0EEEvSK_.has_recursion, 0
	.set _ZN7rocprim17ROCPRIM_400000_NS6detail17trampoline_kernelINS0_14default_configENS1_38merge_sort_block_merge_config_selectorIjNS0_10empty_typeEEEZZNS1_27merge_sort_block_merge_implIS3_N6thrust23THRUST_200600_302600_NS6detail15normal_iteratorINS9_10device_ptrIjEEEEPS5_m9comp_mod3IjEEE10hipError_tT0_T1_T2_jT3_P12ihipStream_tbPNSt15iterator_traitsISJ_E10value_typeEPNSP_ISK_E10value_typeEPSL_NS1_7vsmem_tEENKUlT_SJ_SK_SL_E_clIPjSE_SF_SF_EESI_SY_SJ_SK_SL_EUlSY_E1_NS1_11comp_targetILNS1_3genE9ELNS1_11target_archE1100ELNS1_3gpuE3ELNS1_3repE0EEENS1_36merge_oddeven_config_static_selectorELNS0_4arch9wavefront6targetE0EEEvSK_.has_indirect_call, 0
	.section	.AMDGPU.csdata,"",@progbits
; Kernel info:
; codeLenInByte = 0
; TotalNumSgprs: 0
; NumVgprs: 0
; ScratchSize: 0
; MemoryBound: 0
; FloatMode: 240
; IeeeMode: 1
; LDSByteSize: 0 bytes/workgroup (compile time only)
; SGPRBlocks: 0
; VGPRBlocks: 0
; NumSGPRsForWavesPerEU: 1
; NumVGPRsForWavesPerEU: 1
; Occupancy: 16
; WaveLimiterHint : 0
; COMPUTE_PGM_RSRC2:SCRATCH_EN: 0
; COMPUTE_PGM_RSRC2:USER_SGPR: 6
; COMPUTE_PGM_RSRC2:TRAP_HANDLER: 0
; COMPUTE_PGM_RSRC2:TGID_X_EN: 1
; COMPUTE_PGM_RSRC2:TGID_Y_EN: 0
; COMPUTE_PGM_RSRC2:TGID_Z_EN: 0
; COMPUTE_PGM_RSRC2:TIDIG_COMP_CNT: 0
	.section	.text._ZN7rocprim17ROCPRIM_400000_NS6detail17trampoline_kernelINS0_14default_configENS1_38merge_sort_block_merge_config_selectorIjNS0_10empty_typeEEEZZNS1_27merge_sort_block_merge_implIS3_N6thrust23THRUST_200600_302600_NS6detail15normal_iteratorINS9_10device_ptrIjEEEEPS5_m9comp_mod3IjEEE10hipError_tT0_T1_T2_jT3_P12ihipStream_tbPNSt15iterator_traitsISJ_E10value_typeEPNSP_ISK_E10value_typeEPSL_NS1_7vsmem_tEENKUlT_SJ_SK_SL_E_clIPjSE_SF_SF_EESI_SY_SJ_SK_SL_EUlSY_E1_NS1_11comp_targetILNS1_3genE8ELNS1_11target_archE1030ELNS1_3gpuE2ELNS1_3repE0EEENS1_36merge_oddeven_config_static_selectorELNS0_4arch9wavefront6targetE0EEEvSK_,"axG",@progbits,_ZN7rocprim17ROCPRIM_400000_NS6detail17trampoline_kernelINS0_14default_configENS1_38merge_sort_block_merge_config_selectorIjNS0_10empty_typeEEEZZNS1_27merge_sort_block_merge_implIS3_N6thrust23THRUST_200600_302600_NS6detail15normal_iteratorINS9_10device_ptrIjEEEEPS5_m9comp_mod3IjEEE10hipError_tT0_T1_T2_jT3_P12ihipStream_tbPNSt15iterator_traitsISJ_E10value_typeEPNSP_ISK_E10value_typeEPSL_NS1_7vsmem_tEENKUlT_SJ_SK_SL_E_clIPjSE_SF_SF_EESI_SY_SJ_SK_SL_EUlSY_E1_NS1_11comp_targetILNS1_3genE8ELNS1_11target_archE1030ELNS1_3gpuE2ELNS1_3repE0EEENS1_36merge_oddeven_config_static_selectorELNS0_4arch9wavefront6targetE0EEEvSK_,comdat
	.protected	_ZN7rocprim17ROCPRIM_400000_NS6detail17trampoline_kernelINS0_14default_configENS1_38merge_sort_block_merge_config_selectorIjNS0_10empty_typeEEEZZNS1_27merge_sort_block_merge_implIS3_N6thrust23THRUST_200600_302600_NS6detail15normal_iteratorINS9_10device_ptrIjEEEEPS5_m9comp_mod3IjEEE10hipError_tT0_T1_T2_jT3_P12ihipStream_tbPNSt15iterator_traitsISJ_E10value_typeEPNSP_ISK_E10value_typeEPSL_NS1_7vsmem_tEENKUlT_SJ_SK_SL_E_clIPjSE_SF_SF_EESI_SY_SJ_SK_SL_EUlSY_E1_NS1_11comp_targetILNS1_3genE8ELNS1_11target_archE1030ELNS1_3gpuE2ELNS1_3repE0EEENS1_36merge_oddeven_config_static_selectorELNS0_4arch9wavefront6targetE0EEEvSK_ ; -- Begin function _ZN7rocprim17ROCPRIM_400000_NS6detail17trampoline_kernelINS0_14default_configENS1_38merge_sort_block_merge_config_selectorIjNS0_10empty_typeEEEZZNS1_27merge_sort_block_merge_implIS3_N6thrust23THRUST_200600_302600_NS6detail15normal_iteratorINS9_10device_ptrIjEEEEPS5_m9comp_mod3IjEEE10hipError_tT0_T1_T2_jT3_P12ihipStream_tbPNSt15iterator_traitsISJ_E10value_typeEPNSP_ISK_E10value_typeEPSL_NS1_7vsmem_tEENKUlT_SJ_SK_SL_E_clIPjSE_SF_SF_EESI_SY_SJ_SK_SL_EUlSY_E1_NS1_11comp_targetILNS1_3genE8ELNS1_11target_archE1030ELNS1_3gpuE2ELNS1_3repE0EEENS1_36merge_oddeven_config_static_selectorELNS0_4arch9wavefront6targetE0EEEvSK_
	.globl	_ZN7rocprim17ROCPRIM_400000_NS6detail17trampoline_kernelINS0_14default_configENS1_38merge_sort_block_merge_config_selectorIjNS0_10empty_typeEEEZZNS1_27merge_sort_block_merge_implIS3_N6thrust23THRUST_200600_302600_NS6detail15normal_iteratorINS9_10device_ptrIjEEEEPS5_m9comp_mod3IjEEE10hipError_tT0_T1_T2_jT3_P12ihipStream_tbPNSt15iterator_traitsISJ_E10value_typeEPNSP_ISK_E10value_typeEPSL_NS1_7vsmem_tEENKUlT_SJ_SK_SL_E_clIPjSE_SF_SF_EESI_SY_SJ_SK_SL_EUlSY_E1_NS1_11comp_targetILNS1_3genE8ELNS1_11target_archE1030ELNS1_3gpuE2ELNS1_3repE0EEENS1_36merge_oddeven_config_static_selectorELNS0_4arch9wavefront6targetE0EEEvSK_
	.p2align	8
	.type	_ZN7rocprim17ROCPRIM_400000_NS6detail17trampoline_kernelINS0_14default_configENS1_38merge_sort_block_merge_config_selectorIjNS0_10empty_typeEEEZZNS1_27merge_sort_block_merge_implIS3_N6thrust23THRUST_200600_302600_NS6detail15normal_iteratorINS9_10device_ptrIjEEEEPS5_m9comp_mod3IjEEE10hipError_tT0_T1_T2_jT3_P12ihipStream_tbPNSt15iterator_traitsISJ_E10value_typeEPNSP_ISK_E10value_typeEPSL_NS1_7vsmem_tEENKUlT_SJ_SK_SL_E_clIPjSE_SF_SF_EESI_SY_SJ_SK_SL_EUlSY_E1_NS1_11comp_targetILNS1_3genE8ELNS1_11target_archE1030ELNS1_3gpuE2ELNS1_3repE0EEENS1_36merge_oddeven_config_static_selectorELNS0_4arch9wavefront6targetE0EEEvSK_,@function
_ZN7rocprim17ROCPRIM_400000_NS6detail17trampoline_kernelINS0_14default_configENS1_38merge_sort_block_merge_config_selectorIjNS0_10empty_typeEEEZZNS1_27merge_sort_block_merge_implIS3_N6thrust23THRUST_200600_302600_NS6detail15normal_iteratorINS9_10device_ptrIjEEEEPS5_m9comp_mod3IjEEE10hipError_tT0_T1_T2_jT3_P12ihipStream_tbPNSt15iterator_traitsISJ_E10value_typeEPNSP_ISK_E10value_typeEPSL_NS1_7vsmem_tEENKUlT_SJ_SK_SL_E_clIPjSE_SF_SF_EESI_SY_SJ_SK_SL_EUlSY_E1_NS1_11comp_targetILNS1_3genE8ELNS1_11target_archE1030ELNS1_3gpuE2ELNS1_3repE0EEENS1_36merge_oddeven_config_static_selectorELNS0_4arch9wavefront6targetE0EEEvSK_: ; @_ZN7rocprim17ROCPRIM_400000_NS6detail17trampoline_kernelINS0_14default_configENS1_38merge_sort_block_merge_config_selectorIjNS0_10empty_typeEEEZZNS1_27merge_sort_block_merge_implIS3_N6thrust23THRUST_200600_302600_NS6detail15normal_iteratorINS9_10device_ptrIjEEEEPS5_m9comp_mod3IjEEE10hipError_tT0_T1_T2_jT3_P12ihipStream_tbPNSt15iterator_traitsISJ_E10value_typeEPNSP_ISK_E10value_typeEPSL_NS1_7vsmem_tEENKUlT_SJ_SK_SL_E_clIPjSE_SF_SF_EESI_SY_SJ_SK_SL_EUlSY_E1_NS1_11comp_targetILNS1_3genE8ELNS1_11target_archE1030ELNS1_3gpuE2ELNS1_3repE0EEENS1_36merge_oddeven_config_static_selectorELNS0_4arch9wavefront6targetE0EEEvSK_
; %bb.0:
	s_load_dword s7, s[4:5], 0x20
	s_waitcnt lgkmcnt(0)
	s_lshr_b32 s0, s7, 8
	s_cmp_lg_u32 s6, s0
	s_cselect_b32 s2, -1, 0
	s_cmp_eq_u32 s6, s0
	s_cselect_b32 s14, -1, 0
	s_lshl_b32 s12, s6, 8
	s_sub_i32 s0, s7, s12
	v_cmp_gt_u32_e64 s0, s0, v0
	s_or_b32 s1, s2, s0
	s_and_saveexec_b32 s3, s1
	s_cbranch_execz .LBB839_28
; %bb.1:
	s_clause 0x1
	s_load_dwordx4 s[8:11], s[4:5], 0x0
	s_load_dword s15, s[4:5], 0x28
	s_mov_b32 s13, 0
	v_lshlrev_b32_e32 v1, 2, v0
	s_lshl_b64 s[16:17], s[12:13], 2
	v_add_nc_u32_e32 v4, s12, v0
	s_waitcnt lgkmcnt(0)
	s_add_u32 s16, s8, s16
	s_addc_u32 s17, s9, s17
	s_lshr_b32 s1, s15, 8
	global_load_dword v1, v1, s[16:17]
	s_sub_i32 s3, 0, s1
	s_and_b32 s3, s6, s3
	s_and_b32 s6, s3, s1
	s_cmp_lg_u32 s6, 0
	s_cselect_b32 s1, -1, 0
	s_lshl_b32 s16, s3, 8
	s_sub_i32 s3, 0, s15
	s_cmp_eq_u32 s6, 0
	s_cselect_b32 s6, s15, s3
	s_add_i32 s6, s6, s16
	s_cmp_lt_u32 s6, s7
	s_cbranch_scc1 .LBB839_3
; %bb.2:
	v_cmp_gt_u32_e32 vcc_lo, s7, v4
	s_or_b32 s3, vcc_lo, s2
	s_and_b32 s13, s3, exec_lo
	s_cbranch_execz .LBB839_4
	s_branch .LBB839_26
.LBB839_3:
.LBB839_4:
	s_load_dwordx2 s[2:3], s[4:5], 0x30
	s_waitcnt vmcnt(0)
	v_ashrrev_i32_e32 v2, 31, v1
	s_min_u32 s4, s6, s7
	s_add_i32 s5, s16, s4
	s_add_i32 s12, s4, s15
	v_lshlrev_b64 v[2:3], 2, v[1:2]
	v_subrev_nc_u32_e32 v0, s5, v4
	s_min_u32 s5, s16, s4
	v_add_nc_u32_e32 v0, s5, v0
	s_min_u32 s5, s12, s7
	s_waitcnt lgkmcnt(0)
	v_add_co_u32 v2, vcc_lo, s2, v2
	v_add_co_ci_u32_e64 v3, null, s3, v3, vcc_lo
	s_and_b32 vcc_lo, exec_lo, s14
	s_cbranch_vccz .LBB839_13
; %bb.5:
                                        ; implicit-def: $vgpr4
	s_and_saveexec_b32 s7, s0
	s_cbranch_execz .LBB839_16
; %bb.6:
	v_mov_b32_e32 v8, s4
	s_cmp_ge_u32 s6, s5
	s_cbranch_scc1 .LBB839_15
; %bb.7:
	v_mov_b32_e32 v9, s5
	v_mov_b32_e32 v8, s4
	v_mov_b32_e32 v5, 0
	s_mov_b32 s0, 0
	s_branch .LBB839_9
.LBB839_8:                              ;   in Loop: Header=BB839_9 Depth=1
	v_add_nc_u32_e32 v6, 1, v4
	v_cndmask_b32_e64 v9, v4, v9, s12
	v_cndmask_b32_e64 v8, v8, v6, s12
	v_cmp_ge_u32_e32 vcc_lo, v8, v9
	s_or_b32 s0, vcc_lo, s0
	s_andn2_b32 exec_lo, exec_lo, s0
	s_cbranch_execz .LBB839_14
.LBB839_9:                              ; =>This Inner Loop Header: Depth=1
	v_add_nc_u32_e32 v4, v8, v9
	s_mov_b32 s14, -1
                                        ; implicit-def: $sgpr12
	v_lshrrev_b32_e32 v4, 1, v4
	v_lshlrev_b64 v[6:7], 2, v[4:5]
	v_add_co_u32 v6, vcc_lo, s8, v6
	v_add_co_ci_u32_e64 v7, null, s9, v7, vcc_lo
	s_andn2_b32 vcc_lo, exec_lo, s1
	global_load_dword v6, v[6:7], off
	s_waitcnt vmcnt(0)
	v_ashrrev_i32_e32 v7, 31, v6
	s_cbranch_vccnz .LBB839_11
; %bb.10:                               ;   in Loop: Header=BB839_9 Depth=1
	v_lshlrev_b64 v[10:11], 2, v[6:7]
	s_mov_b32 s14, 0
	v_add_co_u32 v10, vcc_lo, s2, v10
	v_add_co_ci_u32_e64 v11, null, s3, v11, vcc_lo
	s_clause 0x1
	global_load_dword v12, v[2:3], off
	global_load_dword v10, v[10:11], off
	s_waitcnt vmcnt(0)
	v_cmp_ge_u32_e64 s12, v12, v10
.LBB839_11:                             ;   in Loop: Header=BB839_9 Depth=1
	s_andn2_b32 vcc_lo, exec_lo, s14
	s_cbranch_vccnz .LBB839_8
; %bb.12:                               ;   in Loop: Header=BB839_9 Depth=1
	v_lshlrev_b64 v[6:7], 2, v[6:7]
	s_andn2_b32 s12, s12, exec_lo
	v_add_co_u32 v6, vcc_lo, s2, v6
	v_add_co_ci_u32_e64 v7, null, s3, v7, vcc_lo
	s_clause 0x1
	global_load_dword v6, v[6:7], off
	global_load_dword v7, v[2:3], off
	s_waitcnt vmcnt(0)
	v_cmp_lt_u32_e32 vcc_lo, v6, v7
	s_and_b32 s14, vcc_lo, exec_lo
	s_or_b32 s12, s12, s14
	s_branch .LBB839_8
.LBB839_13:
                                        ; implicit-def: $vgpr4
	s_cbranch_execnz .LBB839_17
	s_branch .LBB839_26
.LBB839_14:
	s_or_b32 exec_lo, exec_lo, s0
.LBB839_15:
	v_add_nc_u32_e32 v4, v8, v0
	s_or_b32 s13, s13, exec_lo
.LBB839_16:
	s_or_b32 exec_lo, exec_lo, s7
	s_branch .LBB839_26
.LBB839_17:
	v_mov_b32_e32 v8, s4
	s_cmp_ge_u32 s6, s5
	s_cbranch_scc1 .LBB839_25
; %bb.18:
	v_mov_b32_e32 v9, s5
	v_mov_b32_e32 v8, s4
	;; [unrolled: 1-line block ×3, first 2 shown]
	s_mov_b32 s0, 0
	s_branch .LBB839_20
.LBB839_19:                             ;   in Loop: Header=BB839_20 Depth=1
	v_add_nc_u32_e32 v6, 1, v4
	v_cndmask_b32_e64 v9, v4, v9, s4
	v_cndmask_b32_e64 v8, v8, v6, s4
	v_cmp_ge_u32_e32 vcc_lo, v8, v9
	s_or_b32 s0, vcc_lo, s0
	s_andn2_b32 exec_lo, exec_lo, s0
	s_cbranch_execz .LBB839_24
.LBB839_20:                             ; =>This Inner Loop Header: Depth=1
	v_add_nc_u32_e32 v4, v8, v9
	s_mov_b32 s5, -1
                                        ; implicit-def: $sgpr4
	v_lshrrev_b32_e32 v4, 1, v4
	v_lshlrev_b64 v[6:7], 2, v[4:5]
	v_add_co_u32 v6, vcc_lo, s8, v6
	v_add_co_ci_u32_e64 v7, null, s9, v7, vcc_lo
	s_andn2_b32 vcc_lo, exec_lo, s1
	global_load_dword v6, v[6:7], off
	s_waitcnt vmcnt(0)
	v_ashrrev_i32_e32 v7, 31, v6
	s_cbranch_vccnz .LBB839_22
; %bb.21:                               ;   in Loop: Header=BB839_20 Depth=1
	v_lshlrev_b64 v[10:11], 2, v[6:7]
	s_mov_b32 s5, 0
	v_add_co_u32 v10, vcc_lo, s2, v10
	v_add_co_ci_u32_e64 v11, null, s3, v11, vcc_lo
	s_clause 0x1
	global_load_dword v12, v[2:3], off
	global_load_dword v10, v[10:11], off
	s_waitcnt vmcnt(0)
	v_cmp_ge_u32_e64 s4, v12, v10
.LBB839_22:                             ;   in Loop: Header=BB839_20 Depth=1
	s_andn2_b32 vcc_lo, exec_lo, s5
	s_cbranch_vccnz .LBB839_19
; %bb.23:                               ;   in Loop: Header=BB839_20 Depth=1
	v_lshlrev_b64 v[6:7], 2, v[6:7]
	s_andn2_b32 s4, s4, exec_lo
	v_add_co_u32 v6, vcc_lo, s2, v6
	v_add_co_ci_u32_e64 v7, null, s3, v7, vcc_lo
	s_clause 0x1
	global_load_dword v6, v[6:7], off
	global_load_dword v7, v[2:3], off
	s_waitcnt vmcnt(0)
	v_cmp_lt_u32_e32 vcc_lo, v6, v7
	s_and_b32 s5, vcc_lo, exec_lo
	s_or_b32 s4, s4, s5
	s_branch .LBB839_19
.LBB839_24:
	s_or_b32 exec_lo, exec_lo, s0
.LBB839_25:
	v_add_nc_u32_e32 v4, v8, v0
	s_mov_b32 s13, -1
.LBB839_26:
	s_and_b32 exec_lo, exec_lo, s13
	s_cbranch_execz .LBB839_28
; %bb.27:
	v_mov_b32_e32 v5, 0
	v_lshlrev_b64 v[2:3], 2, v[4:5]
	v_add_co_u32 v2, vcc_lo, s10, v2
	v_add_co_ci_u32_e64 v3, null, s11, v3, vcc_lo
	s_waitcnt vmcnt(0)
	global_store_dword v[2:3], v1, off
.LBB839_28:
	s_endpgm
	.section	.rodata,"a",@progbits
	.p2align	6, 0x0
	.amdhsa_kernel _ZN7rocprim17ROCPRIM_400000_NS6detail17trampoline_kernelINS0_14default_configENS1_38merge_sort_block_merge_config_selectorIjNS0_10empty_typeEEEZZNS1_27merge_sort_block_merge_implIS3_N6thrust23THRUST_200600_302600_NS6detail15normal_iteratorINS9_10device_ptrIjEEEEPS5_m9comp_mod3IjEEE10hipError_tT0_T1_T2_jT3_P12ihipStream_tbPNSt15iterator_traitsISJ_E10value_typeEPNSP_ISK_E10value_typeEPSL_NS1_7vsmem_tEENKUlT_SJ_SK_SL_E_clIPjSE_SF_SF_EESI_SY_SJ_SK_SL_EUlSY_E1_NS1_11comp_targetILNS1_3genE8ELNS1_11target_archE1030ELNS1_3gpuE2ELNS1_3repE0EEENS1_36merge_oddeven_config_static_selectorELNS0_4arch9wavefront6targetE0EEEvSK_
		.amdhsa_group_segment_fixed_size 0
		.amdhsa_private_segment_fixed_size 0
		.amdhsa_kernarg_size 56
		.amdhsa_user_sgpr_count 6
		.amdhsa_user_sgpr_private_segment_buffer 1
		.amdhsa_user_sgpr_dispatch_ptr 0
		.amdhsa_user_sgpr_queue_ptr 0
		.amdhsa_user_sgpr_kernarg_segment_ptr 1
		.amdhsa_user_sgpr_dispatch_id 0
		.amdhsa_user_sgpr_flat_scratch_init 0
		.amdhsa_user_sgpr_private_segment_size 0
		.amdhsa_wavefront_size32 1
		.amdhsa_uses_dynamic_stack 0
		.amdhsa_system_sgpr_private_segment_wavefront_offset 0
		.amdhsa_system_sgpr_workgroup_id_x 1
		.amdhsa_system_sgpr_workgroup_id_y 0
		.amdhsa_system_sgpr_workgroup_id_z 0
		.amdhsa_system_sgpr_workgroup_info 0
		.amdhsa_system_vgpr_workitem_id 0
		.amdhsa_next_free_vgpr 13
		.amdhsa_next_free_sgpr 18
		.amdhsa_reserve_vcc 1
		.amdhsa_reserve_flat_scratch 0
		.amdhsa_float_round_mode_32 0
		.amdhsa_float_round_mode_16_64 0
		.amdhsa_float_denorm_mode_32 3
		.amdhsa_float_denorm_mode_16_64 3
		.amdhsa_dx10_clamp 1
		.amdhsa_ieee_mode 1
		.amdhsa_fp16_overflow 0
		.amdhsa_workgroup_processor_mode 1
		.amdhsa_memory_ordered 1
		.amdhsa_forward_progress 1
		.amdhsa_shared_vgpr_count 0
		.amdhsa_exception_fp_ieee_invalid_op 0
		.amdhsa_exception_fp_denorm_src 0
		.amdhsa_exception_fp_ieee_div_zero 0
		.amdhsa_exception_fp_ieee_overflow 0
		.amdhsa_exception_fp_ieee_underflow 0
		.amdhsa_exception_fp_ieee_inexact 0
		.amdhsa_exception_int_div_zero 0
	.end_amdhsa_kernel
	.section	.text._ZN7rocprim17ROCPRIM_400000_NS6detail17trampoline_kernelINS0_14default_configENS1_38merge_sort_block_merge_config_selectorIjNS0_10empty_typeEEEZZNS1_27merge_sort_block_merge_implIS3_N6thrust23THRUST_200600_302600_NS6detail15normal_iteratorINS9_10device_ptrIjEEEEPS5_m9comp_mod3IjEEE10hipError_tT0_T1_T2_jT3_P12ihipStream_tbPNSt15iterator_traitsISJ_E10value_typeEPNSP_ISK_E10value_typeEPSL_NS1_7vsmem_tEENKUlT_SJ_SK_SL_E_clIPjSE_SF_SF_EESI_SY_SJ_SK_SL_EUlSY_E1_NS1_11comp_targetILNS1_3genE8ELNS1_11target_archE1030ELNS1_3gpuE2ELNS1_3repE0EEENS1_36merge_oddeven_config_static_selectorELNS0_4arch9wavefront6targetE0EEEvSK_,"axG",@progbits,_ZN7rocprim17ROCPRIM_400000_NS6detail17trampoline_kernelINS0_14default_configENS1_38merge_sort_block_merge_config_selectorIjNS0_10empty_typeEEEZZNS1_27merge_sort_block_merge_implIS3_N6thrust23THRUST_200600_302600_NS6detail15normal_iteratorINS9_10device_ptrIjEEEEPS5_m9comp_mod3IjEEE10hipError_tT0_T1_T2_jT3_P12ihipStream_tbPNSt15iterator_traitsISJ_E10value_typeEPNSP_ISK_E10value_typeEPSL_NS1_7vsmem_tEENKUlT_SJ_SK_SL_E_clIPjSE_SF_SF_EESI_SY_SJ_SK_SL_EUlSY_E1_NS1_11comp_targetILNS1_3genE8ELNS1_11target_archE1030ELNS1_3gpuE2ELNS1_3repE0EEENS1_36merge_oddeven_config_static_selectorELNS0_4arch9wavefront6targetE0EEEvSK_,comdat
.Lfunc_end839:
	.size	_ZN7rocprim17ROCPRIM_400000_NS6detail17trampoline_kernelINS0_14default_configENS1_38merge_sort_block_merge_config_selectorIjNS0_10empty_typeEEEZZNS1_27merge_sort_block_merge_implIS3_N6thrust23THRUST_200600_302600_NS6detail15normal_iteratorINS9_10device_ptrIjEEEEPS5_m9comp_mod3IjEEE10hipError_tT0_T1_T2_jT3_P12ihipStream_tbPNSt15iterator_traitsISJ_E10value_typeEPNSP_ISK_E10value_typeEPSL_NS1_7vsmem_tEENKUlT_SJ_SK_SL_E_clIPjSE_SF_SF_EESI_SY_SJ_SK_SL_EUlSY_E1_NS1_11comp_targetILNS1_3genE8ELNS1_11target_archE1030ELNS1_3gpuE2ELNS1_3repE0EEENS1_36merge_oddeven_config_static_selectorELNS0_4arch9wavefront6targetE0EEEvSK_, .Lfunc_end839-_ZN7rocprim17ROCPRIM_400000_NS6detail17trampoline_kernelINS0_14default_configENS1_38merge_sort_block_merge_config_selectorIjNS0_10empty_typeEEEZZNS1_27merge_sort_block_merge_implIS3_N6thrust23THRUST_200600_302600_NS6detail15normal_iteratorINS9_10device_ptrIjEEEEPS5_m9comp_mod3IjEEE10hipError_tT0_T1_T2_jT3_P12ihipStream_tbPNSt15iterator_traitsISJ_E10value_typeEPNSP_ISK_E10value_typeEPSL_NS1_7vsmem_tEENKUlT_SJ_SK_SL_E_clIPjSE_SF_SF_EESI_SY_SJ_SK_SL_EUlSY_E1_NS1_11comp_targetILNS1_3genE8ELNS1_11target_archE1030ELNS1_3gpuE2ELNS1_3repE0EEENS1_36merge_oddeven_config_static_selectorELNS0_4arch9wavefront6targetE0EEEvSK_
                                        ; -- End function
	.set _ZN7rocprim17ROCPRIM_400000_NS6detail17trampoline_kernelINS0_14default_configENS1_38merge_sort_block_merge_config_selectorIjNS0_10empty_typeEEEZZNS1_27merge_sort_block_merge_implIS3_N6thrust23THRUST_200600_302600_NS6detail15normal_iteratorINS9_10device_ptrIjEEEEPS5_m9comp_mod3IjEEE10hipError_tT0_T1_T2_jT3_P12ihipStream_tbPNSt15iterator_traitsISJ_E10value_typeEPNSP_ISK_E10value_typeEPSL_NS1_7vsmem_tEENKUlT_SJ_SK_SL_E_clIPjSE_SF_SF_EESI_SY_SJ_SK_SL_EUlSY_E1_NS1_11comp_targetILNS1_3genE8ELNS1_11target_archE1030ELNS1_3gpuE2ELNS1_3repE0EEENS1_36merge_oddeven_config_static_selectorELNS0_4arch9wavefront6targetE0EEEvSK_.num_vgpr, 13
	.set _ZN7rocprim17ROCPRIM_400000_NS6detail17trampoline_kernelINS0_14default_configENS1_38merge_sort_block_merge_config_selectorIjNS0_10empty_typeEEEZZNS1_27merge_sort_block_merge_implIS3_N6thrust23THRUST_200600_302600_NS6detail15normal_iteratorINS9_10device_ptrIjEEEEPS5_m9comp_mod3IjEEE10hipError_tT0_T1_T2_jT3_P12ihipStream_tbPNSt15iterator_traitsISJ_E10value_typeEPNSP_ISK_E10value_typeEPSL_NS1_7vsmem_tEENKUlT_SJ_SK_SL_E_clIPjSE_SF_SF_EESI_SY_SJ_SK_SL_EUlSY_E1_NS1_11comp_targetILNS1_3genE8ELNS1_11target_archE1030ELNS1_3gpuE2ELNS1_3repE0EEENS1_36merge_oddeven_config_static_selectorELNS0_4arch9wavefront6targetE0EEEvSK_.num_agpr, 0
	.set _ZN7rocprim17ROCPRIM_400000_NS6detail17trampoline_kernelINS0_14default_configENS1_38merge_sort_block_merge_config_selectorIjNS0_10empty_typeEEEZZNS1_27merge_sort_block_merge_implIS3_N6thrust23THRUST_200600_302600_NS6detail15normal_iteratorINS9_10device_ptrIjEEEEPS5_m9comp_mod3IjEEE10hipError_tT0_T1_T2_jT3_P12ihipStream_tbPNSt15iterator_traitsISJ_E10value_typeEPNSP_ISK_E10value_typeEPSL_NS1_7vsmem_tEENKUlT_SJ_SK_SL_E_clIPjSE_SF_SF_EESI_SY_SJ_SK_SL_EUlSY_E1_NS1_11comp_targetILNS1_3genE8ELNS1_11target_archE1030ELNS1_3gpuE2ELNS1_3repE0EEENS1_36merge_oddeven_config_static_selectorELNS0_4arch9wavefront6targetE0EEEvSK_.numbered_sgpr, 18
	.set _ZN7rocprim17ROCPRIM_400000_NS6detail17trampoline_kernelINS0_14default_configENS1_38merge_sort_block_merge_config_selectorIjNS0_10empty_typeEEEZZNS1_27merge_sort_block_merge_implIS3_N6thrust23THRUST_200600_302600_NS6detail15normal_iteratorINS9_10device_ptrIjEEEEPS5_m9comp_mod3IjEEE10hipError_tT0_T1_T2_jT3_P12ihipStream_tbPNSt15iterator_traitsISJ_E10value_typeEPNSP_ISK_E10value_typeEPSL_NS1_7vsmem_tEENKUlT_SJ_SK_SL_E_clIPjSE_SF_SF_EESI_SY_SJ_SK_SL_EUlSY_E1_NS1_11comp_targetILNS1_3genE8ELNS1_11target_archE1030ELNS1_3gpuE2ELNS1_3repE0EEENS1_36merge_oddeven_config_static_selectorELNS0_4arch9wavefront6targetE0EEEvSK_.num_named_barrier, 0
	.set _ZN7rocprim17ROCPRIM_400000_NS6detail17trampoline_kernelINS0_14default_configENS1_38merge_sort_block_merge_config_selectorIjNS0_10empty_typeEEEZZNS1_27merge_sort_block_merge_implIS3_N6thrust23THRUST_200600_302600_NS6detail15normal_iteratorINS9_10device_ptrIjEEEEPS5_m9comp_mod3IjEEE10hipError_tT0_T1_T2_jT3_P12ihipStream_tbPNSt15iterator_traitsISJ_E10value_typeEPNSP_ISK_E10value_typeEPSL_NS1_7vsmem_tEENKUlT_SJ_SK_SL_E_clIPjSE_SF_SF_EESI_SY_SJ_SK_SL_EUlSY_E1_NS1_11comp_targetILNS1_3genE8ELNS1_11target_archE1030ELNS1_3gpuE2ELNS1_3repE0EEENS1_36merge_oddeven_config_static_selectorELNS0_4arch9wavefront6targetE0EEEvSK_.private_seg_size, 0
	.set _ZN7rocprim17ROCPRIM_400000_NS6detail17trampoline_kernelINS0_14default_configENS1_38merge_sort_block_merge_config_selectorIjNS0_10empty_typeEEEZZNS1_27merge_sort_block_merge_implIS3_N6thrust23THRUST_200600_302600_NS6detail15normal_iteratorINS9_10device_ptrIjEEEEPS5_m9comp_mod3IjEEE10hipError_tT0_T1_T2_jT3_P12ihipStream_tbPNSt15iterator_traitsISJ_E10value_typeEPNSP_ISK_E10value_typeEPSL_NS1_7vsmem_tEENKUlT_SJ_SK_SL_E_clIPjSE_SF_SF_EESI_SY_SJ_SK_SL_EUlSY_E1_NS1_11comp_targetILNS1_3genE8ELNS1_11target_archE1030ELNS1_3gpuE2ELNS1_3repE0EEENS1_36merge_oddeven_config_static_selectorELNS0_4arch9wavefront6targetE0EEEvSK_.uses_vcc, 1
	.set _ZN7rocprim17ROCPRIM_400000_NS6detail17trampoline_kernelINS0_14default_configENS1_38merge_sort_block_merge_config_selectorIjNS0_10empty_typeEEEZZNS1_27merge_sort_block_merge_implIS3_N6thrust23THRUST_200600_302600_NS6detail15normal_iteratorINS9_10device_ptrIjEEEEPS5_m9comp_mod3IjEEE10hipError_tT0_T1_T2_jT3_P12ihipStream_tbPNSt15iterator_traitsISJ_E10value_typeEPNSP_ISK_E10value_typeEPSL_NS1_7vsmem_tEENKUlT_SJ_SK_SL_E_clIPjSE_SF_SF_EESI_SY_SJ_SK_SL_EUlSY_E1_NS1_11comp_targetILNS1_3genE8ELNS1_11target_archE1030ELNS1_3gpuE2ELNS1_3repE0EEENS1_36merge_oddeven_config_static_selectorELNS0_4arch9wavefront6targetE0EEEvSK_.uses_flat_scratch, 0
	.set _ZN7rocprim17ROCPRIM_400000_NS6detail17trampoline_kernelINS0_14default_configENS1_38merge_sort_block_merge_config_selectorIjNS0_10empty_typeEEEZZNS1_27merge_sort_block_merge_implIS3_N6thrust23THRUST_200600_302600_NS6detail15normal_iteratorINS9_10device_ptrIjEEEEPS5_m9comp_mod3IjEEE10hipError_tT0_T1_T2_jT3_P12ihipStream_tbPNSt15iterator_traitsISJ_E10value_typeEPNSP_ISK_E10value_typeEPSL_NS1_7vsmem_tEENKUlT_SJ_SK_SL_E_clIPjSE_SF_SF_EESI_SY_SJ_SK_SL_EUlSY_E1_NS1_11comp_targetILNS1_3genE8ELNS1_11target_archE1030ELNS1_3gpuE2ELNS1_3repE0EEENS1_36merge_oddeven_config_static_selectorELNS0_4arch9wavefront6targetE0EEEvSK_.has_dyn_sized_stack, 0
	.set _ZN7rocprim17ROCPRIM_400000_NS6detail17trampoline_kernelINS0_14default_configENS1_38merge_sort_block_merge_config_selectorIjNS0_10empty_typeEEEZZNS1_27merge_sort_block_merge_implIS3_N6thrust23THRUST_200600_302600_NS6detail15normal_iteratorINS9_10device_ptrIjEEEEPS5_m9comp_mod3IjEEE10hipError_tT0_T1_T2_jT3_P12ihipStream_tbPNSt15iterator_traitsISJ_E10value_typeEPNSP_ISK_E10value_typeEPSL_NS1_7vsmem_tEENKUlT_SJ_SK_SL_E_clIPjSE_SF_SF_EESI_SY_SJ_SK_SL_EUlSY_E1_NS1_11comp_targetILNS1_3genE8ELNS1_11target_archE1030ELNS1_3gpuE2ELNS1_3repE0EEENS1_36merge_oddeven_config_static_selectorELNS0_4arch9wavefront6targetE0EEEvSK_.has_recursion, 0
	.set _ZN7rocprim17ROCPRIM_400000_NS6detail17trampoline_kernelINS0_14default_configENS1_38merge_sort_block_merge_config_selectorIjNS0_10empty_typeEEEZZNS1_27merge_sort_block_merge_implIS3_N6thrust23THRUST_200600_302600_NS6detail15normal_iteratorINS9_10device_ptrIjEEEEPS5_m9comp_mod3IjEEE10hipError_tT0_T1_T2_jT3_P12ihipStream_tbPNSt15iterator_traitsISJ_E10value_typeEPNSP_ISK_E10value_typeEPSL_NS1_7vsmem_tEENKUlT_SJ_SK_SL_E_clIPjSE_SF_SF_EESI_SY_SJ_SK_SL_EUlSY_E1_NS1_11comp_targetILNS1_3genE8ELNS1_11target_archE1030ELNS1_3gpuE2ELNS1_3repE0EEENS1_36merge_oddeven_config_static_selectorELNS0_4arch9wavefront6targetE0EEEvSK_.has_indirect_call, 0
	.section	.AMDGPU.csdata,"",@progbits
; Kernel info:
; codeLenInByte = 896
; TotalNumSgprs: 20
; NumVgprs: 13
; ScratchSize: 0
; MemoryBound: 0
; FloatMode: 240
; IeeeMode: 1
; LDSByteSize: 0 bytes/workgroup (compile time only)
; SGPRBlocks: 0
; VGPRBlocks: 1
; NumSGPRsForWavesPerEU: 20
; NumVGPRsForWavesPerEU: 13
; Occupancy: 16
; WaveLimiterHint : 1
; COMPUTE_PGM_RSRC2:SCRATCH_EN: 0
; COMPUTE_PGM_RSRC2:USER_SGPR: 6
; COMPUTE_PGM_RSRC2:TRAP_HANDLER: 0
; COMPUTE_PGM_RSRC2:TGID_X_EN: 1
; COMPUTE_PGM_RSRC2:TGID_Y_EN: 0
; COMPUTE_PGM_RSRC2:TGID_Z_EN: 0
; COMPUTE_PGM_RSRC2:TIDIG_COMP_CNT: 0
	.section	.text._ZN7rocprim17ROCPRIM_400000_NS6detail17trampoline_kernelINS0_14default_configENS1_38merge_sort_block_merge_config_selectorIjNS0_10empty_typeEEEZZNS1_27merge_sort_block_merge_implIS3_N6thrust23THRUST_200600_302600_NS6detail15normal_iteratorINS9_10device_ptrIjEEEEPS5_m9comp_mod3IjEEE10hipError_tT0_T1_T2_jT3_P12ihipStream_tbPNSt15iterator_traitsISJ_E10value_typeEPNSP_ISK_E10value_typeEPSL_NS1_7vsmem_tEENKUlT_SJ_SK_SL_E_clISE_PjSF_SF_EESI_SY_SJ_SK_SL_EUlSY_E_NS1_11comp_targetILNS1_3genE0ELNS1_11target_archE4294967295ELNS1_3gpuE0ELNS1_3repE0EEENS1_48merge_mergepath_partition_config_static_selectorELNS0_4arch9wavefront6targetE0EEEvSK_,"axG",@progbits,_ZN7rocprim17ROCPRIM_400000_NS6detail17trampoline_kernelINS0_14default_configENS1_38merge_sort_block_merge_config_selectorIjNS0_10empty_typeEEEZZNS1_27merge_sort_block_merge_implIS3_N6thrust23THRUST_200600_302600_NS6detail15normal_iteratorINS9_10device_ptrIjEEEEPS5_m9comp_mod3IjEEE10hipError_tT0_T1_T2_jT3_P12ihipStream_tbPNSt15iterator_traitsISJ_E10value_typeEPNSP_ISK_E10value_typeEPSL_NS1_7vsmem_tEENKUlT_SJ_SK_SL_E_clISE_PjSF_SF_EESI_SY_SJ_SK_SL_EUlSY_E_NS1_11comp_targetILNS1_3genE0ELNS1_11target_archE4294967295ELNS1_3gpuE0ELNS1_3repE0EEENS1_48merge_mergepath_partition_config_static_selectorELNS0_4arch9wavefront6targetE0EEEvSK_,comdat
	.protected	_ZN7rocprim17ROCPRIM_400000_NS6detail17trampoline_kernelINS0_14default_configENS1_38merge_sort_block_merge_config_selectorIjNS0_10empty_typeEEEZZNS1_27merge_sort_block_merge_implIS3_N6thrust23THRUST_200600_302600_NS6detail15normal_iteratorINS9_10device_ptrIjEEEEPS5_m9comp_mod3IjEEE10hipError_tT0_T1_T2_jT3_P12ihipStream_tbPNSt15iterator_traitsISJ_E10value_typeEPNSP_ISK_E10value_typeEPSL_NS1_7vsmem_tEENKUlT_SJ_SK_SL_E_clISE_PjSF_SF_EESI_SY_SJ_SK_SL_EUlSY_E_NS1_11comp_targetILNS1_3genE0ELNS1_11target_archE4294967295ELNS1_3gpuE0ELNS1_3repE0EEENS1_48merge_mergepath_partition_config_static_selectorELNS0_4arch9wavefront6targetE0EEEvSK_ ; -- Begin function _ZN7rocprim17ROCPRIM_400000_NS6detail17trampoline_kernelINS0_14default_configENS1_38merge_sort_block_merge_config_selectorIjNS0_10empty_typeEEEZZNS1_27merge_sort_block_merge_implIS3_N6thrust23THRUST_200600_302600_NS6detail15normal_iteratorINS9_10device_ptrIjEEEEPS5_m9comp_mod3IjEEE10hipError_tT0_T1_T2_jT3_P12ihipStream_tbPNSt15iterator_traitsISJ_E10value_typeEPNSP_ISK_E10value_typeEPSL_NS1_7vsmem_tEENKUlT_SJ_SK_SL_E_clISE_PjSF_SF_EESI_SY_SJ_SK_SL_EUlSY_E_NS1_11comp_targetILNS1_3genE0ELNS1_11target_archE4294967295ELNS1_3gpuE0ELNS1_3repE0EEENS1_48merge_mergepath_partition_config_static_selectorELNS0_4arch9wavefront6targetE0EEEvSK_
	.globl	_ZN7rocprim17ROCPRIM_400000_NS6detail17trampoline_kernelINS0_14default_configENS1_38merge_sort_block_merge_config_selectorIjNS0_10empty_typeEEEZZNS1_27merge_sort_block_merge_implIS3_N6thrust23THRUST_200600_302600_NS6detail15normal_iteratorINS9_10device_ptrIjEEEEPS5_m9comp_mod3IjEEE10hipError_tT0_T1_T2_jT3_P12ihipStream_tbPNSt15iterator_traitsISJ_E10value_typeEPNSP_ISK_E10value_typeEPSL_NS1_7vsmem_tEENKUlT_SJ_SK_SL_E_clISE_PjSF_SF_EESI_SY_SJ_SK_SL_EUlSY_E_NS1_11comp_targetILNS1_3genE0ELNS1_11target_archE4294967295ELNS1_3gpuE0ELNS1_3repE0EEENS1_48merge_mergepath_partition_config_static_selectorELNS0_4arch9wavefront6targetE0EEEvSK_
	.p2align	8
	.type	_ZN7rocprim17ROCPRIM_400000_NS6detail17trampoline_kernelINS0_14default_configENS1_38merge_sort_block_merge_config_selectorIjNS0_10empty_typeEEEZZNS1_27merge_sort_block_merge_implIS3_N6thrust23THRUST_200600_302600_NS6detail15normal_iteratorINS9_10device_ptrIjEEEEPS5_m9comp_mod3IjEEE10hipError_tT0_T1_T2_jT3_P12ihipStream_tbPNSt15iterator_traitsISJ_E10value_typeEPNSP_ISK_E10value_typeEPSL_NS1_7vsmem_tEENKUlT_SJ_SK_SL_E_clISE_PjSF_SF_EESI_SY_SJ_SK_SL_EUlSY_E_NS1_11comp_targetILNS1_3genE0ELNS1_11target_archE4294967295ELNS1_3gpuE0ELNS1_3repE0EEENS1_48merge_mergepath_partition_config_static_selectorELNS0_4arch9wavefront6targetE0EEEvSK_,@function
_ZN7rocprim17ROCPRIM_400000_NS6detail17trampoline_kernelINS0_14default_configENS1_38merge_sort_block_merge_config_selectorIjNS0_10empty_typeEEEZZNS1_27merge_sort_block_merge_implIS3_N6thrust23THRUST_200600_302600_NS6detail15normal_iteratorINS9_10device_ptrIjEEEEPS5_m9comp_mod3IjEEE10hipError_tT0_T1_T2_jT3_P12ihipStream_tbPNSt15iterator_traitsISJ_E10value_typeEPNSP_ISK_E10value_typeEPSL_NS1_7vsmem_tEENKUlT_SJ_SK_SL_E_clISE_PjSF_SF_EESI_SY_SJ_SK_SL_EUlSY_E_NS1_11comp_targetILNS1_3genE0ELNS1_11target_archE4294967295ELNS1_3gpuE0ELNS1_3repE0EEENS1_48merge_mergepath_partition_config_static_selectorELNS0_4arch9wavefront6targetE0EEEvSK_: ; @_ZN7rocprim17ROCPRIM_400000_NS6detail17trampoline_kernelINS0_14default_configENS1_38merge_sort_block_merge_config_selectorIjNS0_10empty_typeEEEZZNS1_27merge_sort_block_merge_implIS3_N6thrust23THRUST_200600_302600_NS6detail15normal_iteratorINS9_10device_ptrIjEEEEPS5_m9comp_mod3IjEEE10hipError_tT0_T1_T2_jT3_P12ihipStream_tbPNSt15iterator_traitsISJ_E10value_typeEPNSP_ISK_E10value_typeEPSL_NS1_7vsmem_tEENKUlT_SJ_SK_SL_E_clISE_PjSF_SF_EESI_SY_SJ_SK_SL_EUlSY_E_NS1_11comp_targetILNS1_3genE0ELNS1_11target_archE4294967295ELNS1_3gpuE0ELNS1_3repE0EEENS1_48merge_mergepath_partition_config_static_selectorELNS0_4arch9wavefront6targetE0EEEvSK_
; %bb.0:
	.section	.rodata,"a",@progbits
	.p2align	6, 0x0
	.amdhsa_kernel _ZN7rocprim17ROCPRIM_400000_NS6detail17trampoline_kernelINS0_14default_configENS1_38merge_sort_block_merge_config_selectorIjNS0_10empty_typeEEEZZNS1_27merge_sort_block_merge_implIS3_N6thrust23THRUST_200600_302600_NS6detail15normal_iteratorINS9_10device_ptrIjEEEEPS5_m9comp_mod3IjEEE10hipError_tT0_T1_T2_jT3_P12ihipStream_tbPNSt15iterator_traitsISJ_E10value_typeEPNSP_ISK_E10value_typeEPSL_NS1_7vsmem_tEENKUlT_SJ_SK_SL_E_clISE_PjSF_SF_EESI_SY_SJ_SK_SL_EUlSY_E_NS1_11comp_targetILNS1_3genE0ELNS1_11target_archE4294967295ELNS1_3gpuE0ELNS1_3repE0EEENS1_48merge_mergepath_partition_config_static_selectorELNS0_4arch9wavefront6targetE0EEEvSK_
		.amdhsa_group_segment_fixed_size 0
		.amdhsa_private_segment_fixed_size 0
		.amdhsa_kernarg_size 48
		.amdhsa_user_sgpr_count 6
		.amdhsa_user_sgpr_private_segment_buffer 1
		.amdhsa_user_sgpr_dispatch_ptr 0
		.amdhsa_user_sgpr_queue_ptr 0
		.amdhsa_user_sgpr_kernarg_segment_ptr 1
		.amdhsa_user_sgpr_dispatch_id 0
		.amdhsa_user_sgpr_flat_scratch_init 0
		.amdhsa_user_sgpr_private_segment_size 0
		.amdhsa_wavefront_size32 1
		.amdhsa_uses_dynamic_stack 0
		.amdhsa_system_sgpr_private_segment_wavefront_offset 0
		.amdhsa_system_sgpr_workgroup_id_x 1
		.amdhsa_system_sgpr_workgroup_id_y 0
		.amdhsa_system_sgpr_workgroup_id_z 0
		.amdhsa_system_sgpr_workgroup_info 0
		.amdhsa_system_vgpr_workitem_id 0
		.amdhsa_next_free_vgpr 1
		.amdhsa_next_free_sgpr 1
		.amdhsa_reserve_vcc 0
		.amdhsa_reserve_flat_scratch 0
		.amdhsa_float_round_mode_32 0
		.amdhsa_float_round_mode_16_64 0
		.amdhsa_float_denorm_mode_32 3
		.amdhsa_float_denorm_mode_16_64 3
		.amdhsa_dx10_clamp 1
		.amdhsa_ieee_mode 1
		.amdhsa_fp16_overflow 0
		.amdhsa_workgroup_processor_mode 1
		.amdhsa_memory_ordered 1
		.amdhsa_forward_progress 1
		.amdhsa_shared_vgpr_count 0
		.amdhsa_exception_fp_ieee_invalid_op 0
		.amdhsa_exception_fp_denorm_src 0
		.amdhsa_exception_fp_ieee_div_zero 0
		.amdhsa_exception_fp_ieee_overflow 0
		.amdhsa_exception_fp_ieee_underflow 0
		.amdhsa_exception_fp_ieee_inexact 0
		.amdhsa_exception_int_div_zero 0
	.end_amdhsa_kernel
	.section	.text._ZN7rocprim17ROCPRIM_400000_NS6detail17trampoline_kernelINS0_14default_configENS1_38merge_sort_block_merge_config_selectorIjNS0_10empty_typeEEEZZNS1_27merge_sort_block_merge_implIS3_N6thrust23THRUST_200600_302600_NS6detail15normal_iteratorINS9_10device_ptrIjEEEEPS5_m9comp_mod3IjEEE10hipError_tT0_T1_T2_jT3_P12ihipStream_tbPNSt15iterator_traitsISJ_E10value_typeEPNSP_ISK_E10value_typeEPSL_NS1_7vsmem_tEENKUlT_SJ_SK_SL_E_clISE_PjSF_SF_EESI_SY_SJ_SK_SL_EUlSY_E_NS1_11comp_targetILNS1_3genE0ELNS1_11target_archE4294967295ELNS1_3gpuE0ELNS1_3repE0EEENS1_48merge_mergepath_partition_config_static_selectorELNS0_4arch9wavefront6targetE0EEEvSK_,"axG",@progbits,_ZN7rocprim17ROCPRIM_400000_NS6detail17trampoline_kernelINS0_14default_configENS1_38merge_sort_block_merge_config_selectorIjNS0_10empty_typeEEEZZNS1_27merge_sort_block_merge_implIS3_N6thrust23THRUST_200600_302600_NS6detail15normal_iteratorINS9_10device_ptrIjEEEEPS5_m9comp_mod3IjEEE10hipError_tT0_T1_T2_jT3_P12ihipStream_tbPNSt15iterator_traitsISJ_E10value_typeEPNSP_ISK_E10value_typeEPSL_NS1_7vsmem_tEENKUlT_SJ_SK_SL_E_clISE_PjSF_SF_EESI_SY_SJ_SK_SL_EUlSY_E_NS1_11comp_targetILNS1_3genE0ELNS1_11target_archE4294967295ELNS1_3gpuE0ELNS1_3repE0EEENS1_48merge_mergepath_partition_config_static_selectorELNS0_4arch9wavefront6targetE0EEEvSK_,comdat
.Lfunc_end840:
	.size	_ZN7rocprim17ROCPRIM_400000_NS6detail17trampoline_kernelINS0_14default_configENS1_38merge_sort_block_merge_config_selectorIjNS0_10empty_typeEEEZZNS1_27merge_sort_block_merge_implIS3_N6thrust23THRUST_200600_302600_NS6detail15normal_iteratorINS9_10device_ptrIjEEEEPS5_m9comp_mod3IjEEE10hipError_tT0_T1_T2_jT3_P12ihipStream_tbPNSt15iterator_traitsISJ_E10value_typeEPNSP_ISK_E10value_typeEPSL_NS1_7vsmem_tEENKUlT_SJ_SK_SL_E_clISE_PjSF_SF_EESI_SY_SJ_SK_SL_EUlSY_E_NS1_11comp_targetILNS1_3genE0ELNS1_11target_archE4294967295ELNS1_3gpuE0ELNS1_3repE0EEENS1_48merge_mergepath_partition_config_static_selectorELNS0_4arch9wavefront6targetE0EEEvSK_, .Lfunc_end840-_ZN7rocprim17ROCPRIM_400000_NS6detail17trampoline_kernelINS0_14default_configENS1_38merge_sort_block_merge_config_selectorIjNS0_10empty_typeEEEZZNS1_27merge_sort_block_merge_implIS3_N6thrust23THRUST_200600_302600_NS6detail15normal_iteratorINS9_10device_ptrIjEEEEPS5_m9comp_mod3IjEEE10hipError_tT0_T1_T2_jT3_P12ihipStream_tbPNSt15iterator_traitsISJ_E10value_typeEPNSP_ISK_E10value_typeEPSL_NS1_7vsmem_tEENKUlT_SJ_SK_SL_E_clISE_PjSF_SF_EESI_SY_SJ_SK_SL_EUlSY_E_NS1_11comp_targetILNS1_3genE0ELNS1_11target_archE4294967295ELNS1_3gpuE0ELNS1_3repE0EEENS1_48merge_mergepath_partition_config_static_selectorELNS0_4arch9wavefront6targetE0EEEvSK_
                                        ; -- End function
	.set _ZN7rocprim17ROCPRIM_400000_NS6detail17trampoline_kernelINS0_14default_configENS1_38merge_sort_block_merge_config_selectorIjNS0_10empty_typeEEEZZNS1_27merge_sort_block_merge_implIS3_N6thrust23THRUST_200600_302600_NS6detail15normal_iteratorINS9_10device_ptrIjEEEEPS5_m9comp_mod3IjEEE10hipError_tT0_T1_T2_jT3_P12ihipStream_tbPNSt15iterator_traitsISJ_E10value_typeEPNSP_ISK_E10value_typeEPSL_NS1_7vsmem_tEENKUlT_SJ_SK_SL_E_clISE_PjSF_SF_EESI_SY_SJ_SK_SL_EUlSY_E_NS1_11comp_targetILNS1_3genE0ELNS1_11target_archE4294967295ELNS1_3gpuE0ELNS1_3repE0EEENS1_48merge_mergepath_partition_config_static_selectorELNS0_4arch9wavefront6targetE0EEEvSK_.num_vgpr, 0
	.set _ZN7rocprim17ROCPRIM_400000_NS6detail17trampoline_kernelINS0_14default_configENS1_38merge_sort_block_merge_config_selectorIjNS0_10empty_typeEEEZZNS1_27merge_sort_block_merge_implIS3_N6thrust23THRUST_200600_302600_NS6detail15normal_iteratorINS9_10device_ptrIjEEEEPS5_m9comp_mod3IjEEE10hipError_tT0_T1_T2_jT3_P12ihipStream_tbPNSt15iterator_traitsISJ_E10value_typeEPNSP_ISK_E10value_typeEPSL_NS1_7vsmem_tEENKUlT_SJ_SK_SL_E_clISE_PjSF_SF_EESI_SY_SJ_SK_SL_EUlSY_E_NS1_11comp_targetILNS1_3genE0ELNS1_11target_archE4294967295ELNS1_3gpuE0ELNS1_3repE0EEENS1_48merge_mergepath_partition_config_static_selectorELNS0_4arch9wavefront6targetE0EEEvSK_.num_agpr, 0
	.set _ZN7rocprim17ROCPRIM_400000_NS6detail17trampoline_kernelINS0_14default_configENS1_38merge_sort_block_merge_config_selectorIjNS0_10empty_typeEEEZZNS1_27merge_sort_block_merge_implIS3_N6thrust23THRUST_200600_302600_NS6detail15normal_iteratorINS9_10device_ptrIjEEEEPS5_m9comp_mod3IjEEE10hipError_tT0_T1_T2_jT3_P12ihipStream_tbPNSt15iterator_traitsISJ_E10value_typeEPNSP_ISK_E10value_typeEPSL_NS1_7vsmem_tEENKUlT_SJ_SK_SL_E_clISE_PjSF_SF_EESI_SY_SJ_SK_SL_EUlSY_E_NS1_11comp_targetILNS1_3genE0ELNS1_11target_archE4294967295ELNS1_3gpuE0ELNS1_3repE0EEENS1_48merge_mergepath_partition_config_static_selectorELNS0_4arch9wavefront6targetE0EEEvSK_.numbered_sgpr, 0
	.set _ZN7rocprim17ROCPRIM_400000_NS6detail17trampoline_kernelINS0_14default_configENS1_38merge_sort_block_merge_config_selectorIjNS0_10empty_typeEEEZZNS1_27merge_sort_block_merge_implIS3_N6thrust23THRUST_200600_302600_NS6detail15normal_iteratorINS9_10device_ptrIjEEEEPS5_m9comp_mod3IjEEE10hipError_tT0_T1_T2_jT3_P12ihipStream_tbPNSt15iterator_traitsISJ_E10value_typeEPNSP_ISK_E10value_typeEPSL_NS1_7vsmem_tEENKUlT_SJ_SK_SL_E_clISE_PjSF_SF_EESI_SY_SJ_SK_SL_EUlSY_E_NS1_11comp_targetILNS1_3genE0ELNS1_11target_archE4294967295ELNS1_3gpuE0ELNS1_3repE0EEENS1_48merge_mergepath_partition_config_static_selectorELNS0_4arch9wavefront6targetE0EEEvSK_.num_named_barrier, 0
	.set _ZN7rocprim17ROCPRIM_400000_NS6detail17trampoline_kernelINS0_14default_configENS1_38merge_sort_block_merge_config_selectorIjNS0_10empty_typeEEEZZNS1_27merge_sort_block_merge_implIS3_N6thrust23THRUST_200600_302600_NS6detail15normal_iteratorINS9_10device_ptrIjEEEEPS5_m9comp_mod3IjEEE10hipError_tT0_T1_T2_jT3_P12ihipStream_tbPNSt15iterator_traitsISJ_E10value_typeEPNSP_ISK_E10value_typeEPSL_NS1_7vsmem_tEENKUlT_SJ_SK_SL_E_clISE_PjSF_SF_EESI_SY_SJ_SK_SL_EUlSY_E_NS1_11comp_targetILNS1_3genE0ELNS1_11target_archE4294967295ELNS1_3gpuE0ELNS1_3repE0EEENS1_48merge_mergepath_partition_config_static_selectorELNS0_4arch9wavefront6targetE0EEEvSK_.private_seg_size, 0
	.set _ZN7rocprim17ROCPRIM_400000_NS6detail17trampoline_kernelINS0_14default_configENS1_38merge_sort_block_merge_config_selectorIjNS0_10empty_typeEEEZZNS1_27merge_sort_block_merge_implIS3_N6thrust23THRUST_200600_302600_NS6detail15normal_iteratorINS9_10device_ptrIjEEEEPS5_m9comp_mod3IjEEE10hipError_tT0_T1_T2_jT3_P12ihipStream_tbPNSt15iterator_traitsISJ_E10value_typeEPNSP_ISK_E10value_typeEPSL_NS1_7vsmem_tEENKUlT_SJ_SK_SL_E_clISE_PjSF_SF_EESI_SY_SJ_SK_SL_EUlSY_E_NS1_11comp_targetILNS1_3genE0ELNS1_11target_archE4294967295ELNS1_3gpuE0ELNS1_3repE0EEENS1_48merge_mergepath_partition_config_static_selectorELNS0_4arch9wavefront6targetE0EEEvSK_.uses_vcc, 0
	.set _ZN7rocprim17ROCPRIM_400000_NS6detail17trampoline_kernelINS0_14default_configENS1_38merge_sort_block_merge_config_selectorIjNS0_10empty_typeEEEZZNS1_27merge_sort_block_merge_implIS3_N6thrust23THRUST_200600_302600_NS6detail15normal_iteratorINS9_10device_ptrIjEEEEPS5_m9comp_mod3IjEEE10hipError_tT0_T1_T2_jT3_P12ihipStream_tbPNSt15iterator_traitsISJ_E10value_typeEPNSP_ISK_E10value_typeEPSL_NS1_7vsmem_tEENKUlT_SJ_SK_SL_E_clISE_PjSF_SF_EESI_SY_SJ_SK_SL_EUlSY_E_NS1_11comp_targetILNS1_3genE0ELNS1_11target_archE4294967295ELNS1_3gpuE0ELNS1_3repE0EEENS1_48merge_mergepath_partition_config_static_selectorELNS0_4arch9wavefront6targetE0EEEvSK_.uses_flat_scratch, 0
	.set _ZN7rocprim17ROCPRIM_400000_NS6detail17trampoline_kernelINS0_14default_configENS1_38merge_sort_block_merge_config_selectorIjNS0_10empty_typeEEEZZNS1_27merge_sort_block_merge_implIS3_N6thrust23THRUST_200600_302600_NS6detail15normal_iteratorINS9_10device_ptrIjEEEEPS5_m9comp_mod3IjEEE10hipError_tT0_T1_T2_jT3_P12ihipStream_tbPNSt15iterator_traitsISJ_E10value_typeEPNSP_ISK_E10value_typeEPSL_NS1_7vsmem_tEENKUlT_SJ_SK_SL_E_clISE_PjSF_SF_EESI_SY_SJ_SK_SL_EUlSY_E_NS1_11comp_targetILNS1_3genE0ELNS1_11target_archE4294967295ELNS1_3gpuE0ELNS1_3repE0EEENS1_48merge_mergepath_partition_config_static_selectorELNS0_4arch9wavefront6targetE0EEEvSK_.has_dyn_sized_stack, 0
	.set _ZN7rocprim17ROCPRIM_400000_NS6detail17trampoline_kernelINS0_14default_configENS1_38merge_sort_block_merge_config_selectorIjNS0_10empty_typeEEEZZNS1_27merge_sort_block_merge_implIS3_N6thrust23THRUST_200600_302600_NS6detail15normal_iteratorINS9_10device_ptrIjEEEEPS5_m9comp_mod3IjEEE10hipError_tT0_T1_T2_jT3_P12ihipStream_tbPNSt15iterator_traitsISJ_E10value_typeEPNSP_ISK_E10value_typeEPSL_NS1_7vsmem_tEENKUlT_SJ_SK_SL_E_clISE_PjSF_SF_EESI_SY_SJ_SK_SL_EUlSY_E_NS1_11comp_targetILNS1_3genE0ELNS1_11target_archE4294967295ELNS1_3gpuE0ELNS1_3repE0EEENS1_48merge_mergepath_partition_config_static_selectorELNS0_4arch9wavefront6targetE0EEEvSK_.has_recursion, 0
	.set _ZN7rocprim17ROCPRIM_400000_NS6detail17trampoline_kernelINS0_14default_configENS1_38merge_sort_block_merge_config_selectorIjNS0_10empty_typeEEEZZNS1_27merge_sort_block_merge_implIS3_N6thrust23THRUST_200600_302600_NS6detail15normal_iteratorINS9_10device_ptrIjEEEEPS5_m9comp_mod3IjEEE10hipError_tT0_T1_T2_jT3_P12ihipStream_tbPNSt15iterator_traitsISJ_E10value_typeEPNSP_ISK_E10value_typeEPSL_NS1_7vsmem_tEENKUlT_SJ_SK_SL_E_clISE_PjSF_SF_EESI_SY_SJ_SK_SL_EUlSY_E_NS1_11comp_targetILNS1_3genE0ELNS1_11target_archE4294967295ELNS1_3gpuE0ELNS1_3repE0EEENS1_48merge_mergepath_partition_config_static_selectorELNS0_4arch9wavefront6targetE0EEEvSK_.has_indirect_call, 0
	.section	.AMDGPU.csdata,"",@progbits
; Kernel info:
; codeLenInByte = 0
; TotalNumSgprs: 0
; NumVgprs: 0
; ScratchSize: 0
; MemoryBound: 0
; FloatMode: 240
; IeeeMode: 1
; LDSByteSize: 0 bytes/workgroup (compile time only)
; SGPRBlocks: 0
; VGPRBlocks: 0
; NumSGPRsForWavesPerEU: 1
; NumVGPRsForWavesPerEU: 1
; Occupancy: 16
; WaveLimiterHint : 0
; COMPUTE_PGM_RSRC2:SCRATCH_EN: 0
; COMPUTE_PGM_RSRC2:USER_SGPR: 6
; COMPUTE_PGM_RSRC2:TRAP_HANDLER: 0
; COMPUTE_PGM_RSRC2:TGID_X_EN: 1
; COMPUTE_PGM_RSRC2:TGID_Y_EN: 0
; COMPUTE_PGM_RSRC2:TGID_Z_EN: 0
; COMPUTE_PGM_RSRC2:TIDIG_COMP_CNT: 0
	.section	.text._ZN7rocprim17ROCPRIM_400000_NS6detail17trampoline_kernelINS0_14default_configENS1_38merge_sort_block_merge_config_selectorIjNS0_10empty_typeEEEZZNS1_27merge_sort_block_merge_implIS3_N6thrust23THRUST_200600_302600_NS6detail15normal_iteratorINS9_10device_ptrIjEEEEPS5_m9comp_mod3IjEEE10hipError_tT0_T1_T2_jT3_P12ihipStream_tbPNSt15iterator_traitsISJ_E10value_typeEPNSP_ISK_E10value_typeEPSL_NS1_7vsmem_tEENKUlT_SJ_SK_SL_E_clISE_PjSF_SF_EESI_SY_SJ_SK_SL_EUlSY_E_NS1_11comp_targetILNS1_3genE10ELNS1_11target_archE1201ELNS1_3gpuE5ELNS1_3repE0EEENS1_48merge_mergepath_partition_config_static_selectorELNS0_4arch9wavefront6targetE0EEEvSK_,"axG",@progbits,_ZN7rocprim17ROCPRIM_400000_NS6detail17trampoline_kernelINS0_14default_configENS1_38merge_sort_block_merge_config_selectorIjNS0_10empty_typeEEEZZNS1_27merge_sort_block_merge_implIS3_N6thrust23THRUST_200600_302600_NS6detail15normal_iteratorINS9_10device_ptrIjEEEEPS5_m9comp_mod3IjEEE10hipError_tT0_T1_T2_jT3_P12ihipStream_tbPNSt15iterator_traitsISJ_E10value_typeEPNSP_ISK_E10value_typeEPSL_NS1_7vsmem_tEENKUlT_SJ_SK_SL_E_clISE_PjSF_SF_EESI_SY_SJ_SK_SL_EUlSY_E_NS1_11comp_targetILNS1_3genE10ELNS1_11target_archE1201ELNS1_3gpuE5ELNS1_3repE0EEENS1_48merge_mergepath_partition_config_static_selectorELNS0_4arch9wavefront6targetE0EEEvSK_,comdat
	.protected	_ZN7rocprim17ROCPRIM_400000_NS6detail17trampoline_kernelINS0_14default_configENS1_38merge_sort_block_merge_config_selectorIjNS0_10empty_typeEEEZZNS1_27merge_sort_block_merge_implIS3_N6thrust23THRUST_200600_302600_NS6detail15normal_iteratorINS9_10device_ptrIjEEEEPS5_m9comp_mod3IjEEE10hipError_tT0_T1_T2_jT3_P12ihipStream_tbPNSt15iterator_traitsISJ_E10value_typeEPNSP_ISK_E10value_typeEPSL_NS1_7vsmem_tEENKUlT_SJ_SK_SL_E_clISE_PjSF_SF_EESI_SY_SJ_SK_SL_EUlSY_E_NS1_11comp_targetILNS1_3genE10ELNS1_11target_archE1201ELNS1_3gpuE5ELNS1_3repE0EEENS1_48merge_mergepath_partition_config_static_selectorELNS0_4arch9wavefront6targetE0EEEvSK_ ; -- Begin function _ZN7rocprim17ROCPRIM_400000_NS6detail17trampoline_kernelINS0_14default_configENS1_38merge_sort_block_merge_config_selectorIjNS0_10empty_typeEEEZZNS1_27merge_sort_block_merge_implIS3_N6thrust23THRUST_200600_302600_NS6detail15normal_iteratorINS9_10device_ptrIjEEEEPS5_m9comp_mod3IjEEE10hipError_tT0_T1_T2_jT3_P12ihipStream_tbPNSt15iterator_traitsISJ_E10value_typeEPNSP_ISK_E10value_typeEPSL_NS1_7vsmem_tEENKUlT_SJ_SK_SL_E_clISE_PjSF_SF_EESI_SY_SJ_SK_SL_EUlSY_E_NS1_11comp_targetILNS1_3genE10ELNS1_11target_archE1201ELNS1_3gpuE5ELNS1_3repE0EEENS1_48merge_mergepath_partition_config_static_selectorELNS0_4arch9wavefront6targetE0EEEvSK_
	.globl	_ZN7rocprim17ROCPRIM_400000_NS6detail17trampoline_kernelINS0_14default_configENS1_38merge_sort_block_merge_config_selectorIjNS0_10empty_typeEEEZZNS1_27merge_sort_block_merge_implIS3_N6thrust23THRUST_200600_302600_NS6detail15normal_iteratorINS9_10device_ptrIjEEEEPS5_m9comp_mod3IjEEE10hipError_tT0_T1_T2_jT3_P12ihipStream_tbPNSt15iterator_traitsISJ_E10value_typeEPNSP_ISK_E10value_typeEPSL_NS1_7vsmem_tEENKUlT_SJ_SK_SL_E_clISE_PjSF_SF_EESI_SY_SJ_SK_SL_EUlSY_E_NS1_11comp_targetILNS1_3genE10ELNS1_11target_archE1201ELNS1_3gpuE5ELNS1_3repE0EEENS1_48merge_mergepath_partition_config_static_selectorELNS0_4arch9wavefront6targetE0EEEvSK_
	.p2align	8
	.type	_ZN7rocprim17ROCPRIM_400000_NS6detail17trampoline_kernelINS0_14default_configENS1_38merge_sort_block_merge_config_selectorIjNS0_10empty_typeEEEZZNS1_27merge_sort_block_merge_implIS3_N6thrust23THRUST_200600_302600_NS6detail15normal_iteratorINS9_10device_ptrIjEEEEPS5_m9comp_mod3IjEEE10hipError_tT0_T1_T2_jT3_P12ihipStream_tbPNSt15iterator_traitsISJ_E10value_typeEPNSP_ISK_E10value_typeEPSL_NS1_7vsmem_tEENKUlT_SJ_SK_SL_E_clISE_PjSF_SF_EESI_SY_SJ_SK_SL_EUlSY_E_NS1_11comp_targetILNS1_3genE10ELNS1_11target_archE1201ELNS1_3gpuE5ELNS1_3repE0EEENS1_48merge_mergepath_partition_config_static_selectorELNS0_4arch9wavefront6targetE0EEEvSK_,@function
_ZN7rocprim17ROCPRIM_400000_NS6detail17trampoline_kernelINS0_14default_configENS1_38merge_sort_block_merge_config_selectorIjNS0_10empty_typeEEEZZNS1_27merge_sort_block_merge_implIS3_N6thrust23THRUST_200600_302600_NS6detail15normal_iteratorINS9_10device_ptrIjEEEEPS5_m9comp_mod3IjEEE10hipError_tT0_T1_T2_jT3_P12ihipStream_tbPNSt15iterator_traitsISJ_E10value_typeEPNSP_ISK_E10value_typeEPSL_NS1_7vsmem_tEENKUlT_SJ_SK_SL_E_clISE_PjSF_SF_EESI_SY_SJ_SK_SL_EUlSY_E_NS1_11comp_targetILNS1_3genE10ELNS1_11target_archE1201ELNS1_3gpuE5ELNS1_3repE0EEENS1_48merge_mergepath_partition_config_static_selectorELNS0_4arch9wavefront6targetE0EEEvSK_: ; @_ZN7rocprim17ROCPRIM_400000_NS6detail17trampoline_kernelINS0_14default_configENS1_38merge_sort_block_merge_config_selectorIjNS0_10empty_typeEEEZZNS1_27merge_sort_block_merge_implIS3_N6thrust23THRUST_200600_302600_NS6detail15normal_iteratorINS9_10device_ptrIjEEEEPS5_m9comp_mod3IjEEE10hipError_tT0_T1_T2_jT3_P12ihipStream_tbPNSt15iterator_traitsISJ_E10value_typeEPNSP_ISK_E10value_typeEPSL_NS1_7vsmem_tEENKUlT_SJ_SK_SL_E_clISE_PjSF_SF_EESI_SY_SJ_SK_SL_EUlSY_E_NS1_11comp_targetILNS1_3genE10ELNS1_11target_archE1201ELNS1_3gpuE5ELNS1_3repE0EEENS1_48merge_mergepath_partition_config_static_selectorELNS0_4arch9wavefront6targetE0EEEvSK_
; %bb.0:
	.section	.rodata,"a",@progbits
	.p2align	6, 0x0
	.amdhsa_kernel _ZN7rocprim17ROCPRIM_400000_NS6detail17trampoline_kernelINS0_14default_configENS1_38merge_sort_block_merge_config_selectorIjNS0_10empty_typeEEEZZNS1_27merge_sort_block_merge_implIS3_N6thrust23THRUST_200600_302600_NS6detail15normal_iteratorINS9_10device_ptrIjEEEEPS5_m9comp_mod3IjEEE10hipError_tT0_T1_T2_jT3_P12ihipStream_tbPNSt15iterator_traitsISJ_E10value_typeEPNSP_ISK_E10value_typeEPSL_NS1_7vsmem_tEENKUlT_SJ_SK_SL_E_clISE_PjSF_SF_EESI_SY_SJ_SK_SL_EUlSY_E_NS1_11comp_targetILNS1_3genE10ELNS1_11target_archE1201ELNS1_3gpuE5ELNS1_3repE0EEENS1_48merge_mergepath_partition_config_static_selectorELNS0_4arch9wavefront6targetE0EEEvSK_
		.amdhsa_group_segment_fixed_size 0
		.amdhsa_private_segment_fixed_size 0
		.amdhsa_kernarg_size 48
		.amdhsa_user_sgpr_count 6
		.amdhsa_user_sgpr_private_segment_buffer 1
		.amdhsa_user_sgpr_dispatch_ptr 0
		.amdhsa_user_sgpr_queue_ptr 0
		.amdhsa_user_sgpr_kernarg_segment_ptr 1
		.amdhsa_user_sgpr_dispatch_id 0
		.amdhsa_user_sgpr_flat_scratch_init 0
		.amdhsa_user_sgpr_private_segment_size 0
		.amdhsa_wavefront_size32 1
		.amdhsa_uses_dynamic_stack 0
		.amdhsa_system_sgpr_private_segment_wavefront_offset 0
		.amdhsa_system_sgpr_workgroup_id_x 1
		.amdhsa_system_sgpr_workgroup_id_y 0
		.amdhsa_system_sgpr_workgroup_id_z 0
		.amdhsa_system_sgpr_workgroup_info 0
		.amdhsa_system_vgpr_workitem_id 0
		.amdhsa_next_free_vgpr 1
		.amdhsa_next_free_sgpr 1
		.amdhsa_reserve_vcc 0
		.amdhsa_reserve_flat_scratch 0
		.amdhsa_float_round_mode_32 0
		.amdhsa_float_round_mode_16_64 0
		.amdhsa_float_denorm_mode_32 3
		.amdhsa_float_denorm_mode_16_64 3
		.amdhsa_dx10_clamp 1
		.amdhsa_ieee_mode 1
		.amdhsa_fp16_overflow 0
		.amdhsa_workgroup_processor_mode 1
		.amdhsa_memory_ordered 1
		.amdhsa_forward_progress 1
		.amdhsa_shared_vgpr_count 0
		.amdhsa_exception_fp_ieee_invalid_op 0
		.amdhsa_exception_fp_denorm_src 0
		.amdhsa_exception_fp_ieee_div_zero 0
		.amdhsa_exception_fp_ieee_overflow 0
		.amdhsa_exception_fp_ieee_underflow 0
		.amdhsa_exception_fp_ieee_inexact 0
		.amdhsa_exception_int_div_zero 0
	.end_amdhsa_kernel
	.section	.text._ZN7rocprim17ROCPRIM_400000_NS6detail17trampoline_kernelINS0_14default_configENS1_38merge_sort_block_merge_config_selectorIjNS0_10empty_typeEEEZZNS1_27merge_sort_block_merge_implIS3_N6thrust23THRUST_200600_302600_NS6detail15normal_iteratorINS9_10device_ptrIjEEEEPS5_m9comp_mod3IjEEE10hipError_tT0_T1_T2_jT3_P12ihipStream_tbPNSt15iterator_traitsISJ_E10value_typeEPNSP_ISK_E10value_typeEPSL_NS1_7vsmem_tEENKUlT_SJ_SK_SL_E_clISE_PjSF_SF_EESI_SY_SJ_SK_SL_EUlSY_E_NS1_11comp_targetILNS1_3genE10ELNS1_11target_archE1201ELNS1_3gpuE5ELNS1_3repE0EEENS1_48merge_mergepath_partition_config_static_selectorELNS0_4arch9wavefront6targetE0EEEvSK_,"axG",@progbits,_ZN7rocprim17ROCPRIM_400000_NS6detail17trampoline_kernelINS0_14default_configENS1_38merge_sort_block_merge_config_selectorIjNS0_10empty_typeEEEZZNS1_27merge_sort_block_merge_implIS3_N6thrust23THRUST_200600_302600_NS6detail15normal_iteratorINS9_10device_ptrIjEEEEPS5_m9comp_mod3IjEEE10hipError_tT0_T1_T2_jT3_P12ihipStream_tbPNSt15iterator_traitsISJ_E10value_typeEPNSP_ISK_E10value_typeEPSL_NS1_7vsmem_tEENKUlT_SJ_SK_SL_E_clISE_PjSF_SF_EESI_SY_SJ_SK_SL_EUlSY_E_NS1_11comp_targetILNS1_3genE10ELNS1_11target_archE1201ELNS1_3gpuE5ELNS1_3repE0EEENS1_48merge_mergepath_partition_config_static_selectorELNS0_4arch9wavefront6targetE0EEEvSK_,comdat
.Lfunc_end841:
	.size	_ZN7rocprim17ROCPRIM_400000_NS6detail17trampoline_kernelINS0_14default_configENS1_38merge_sort_block_merge_config_selectorIjNS0_10empty_typeEEEZZNS1_27merge_sort_block_merge_implIS3_N6thrust23THRUST_200600_302600_NS6detail15normal_iteratorINS9_10device_ptrIjEEEEPS5_m9comp_mod3IjEEE10hipError_tT0_T1_T2_jT3_P12ihipStream_tbPNSt15iterator_traitsISJ_E10value_typeEPNSP_ISK_E10value_typeEPSL_NS1_7vsmem_tEENKUlT_SJ_SK_SL_E_clISE_PjSF_SF_EESI_SY_SJ_SK_SL_EUlSY_E_NS1_11comp_targetILNS1_3genE10ELNS1_11target_archE1201ELNS1_3gpuE5ELNS1_3repE0EEENS1_48merge_mergepath_partition_config_static_selectorELNS0_4arch9wavefront6targetE0EEEvSK_, .Lfunc_end841-_ZN7rocprim17ROCPRIM_400000_NS6detail17trampoline_kernelINS0_14default_configENS1_38merge_sort_block_merge_config_selectorIjNS0_10empty_typeEEEZZNS1_27merge_sort_block_merge_implIS3_N6thrust23THRUST_200600_302600_NS6detail15normal_iteratorINS9_10device_ptrIjEEEEPS5_m9comp_mod3IjEEE10hipError_tT0_T1_T2_jT3_P12ihipStream_tbPNSt15iterator_traitsISJ_E10value_typeEPNSP_ISK_E10value_typeEPSL_NS1_7vsmem_tEENKUlT_SJ_SK_SL_E_clISE_PjSF_SF_EESI_SY_SJ_SK_SL_EUlSY_E_NS1_11comp_targetILNS1_3genE10ELNS1_11target_archE1201ELNS1_3gpuE5ELNS1_3repE0EEENS1_48merge_mergepath_partition_config_static_selectorELNS0_4arch9wavefront6targetE0EEEvSK_
                                        ; -- End function
	.set _ZN7rocprim17ROCPRIM_400000_NS6detail17trampoline_kernelINS0_14default_configENS1_38merge_sort_block_merge_config_selectorIjNS0_10empty_typeEEEZZNS1_27merge_sort_block_merge_implIS3_N6thrust23THRUST_200600_302600_NS6detail15normal_iteratorINS9_10device_ptrIjEEEEPS5_m9comp_mod3IjEEE10hipError_tT0_T1_T2_jT3_P12ihipStream_tbPNSt15iterator_traitsISJ_E10value_typeEPNSP_ISK_E10value_typeEPSL_NS1_7vsmem_tEENKUlT_SJ_SK_SL_E_clISE_PjSF_SF_EESI_SY_SJ_SK_SL_EUlSY_E_NS1_11comp_targetILNS1_3genE10ELNS1_11target_archE1201ELNS1_3gpuE5ELNS1_3repE0EEENS1_48merge_mergepath_partition_config_static_selectorELNS0_4arch9wavefront6targetE0EEEvSK_.num_vgpr, 0
	.set _ZN7rocprim17ROCPRIM_400000_NS6detail17trampoline_kernelINS0_14default_configENS1_38merge_sort_block_merge_config_selectorIjNS0_10empty_typeEEEZZNS1_27merge_sort_block_merge_implIS3_N6thrust23THRUST_200600_302600_NS6detail15normal_iteratorINS9_10device_ptrIjEEEEPS5_m9comp_mod3IjEEE10hipError_tT0_T1_T2_jT3_P12ihipStream_tbPNSt15iterator_traitsISJ_E10value_typeEPNSP_ISK_E10value_typeEPSL_NS1_7vsmem_tEENKUlT_SJ_SK_SL_E_clISE_PjSF_SF_EESI_SY_SJ_SK_SL_EUlSY_E_NS1_11comp_targetILNS1_3genE10ELNS1_11target_archE1201ELNS1_3gpuE5ELNS1_3repE0EEENS1_48merge_mergepath_partition_config_static_selectorELNS0_4arch9wavefront6targetE0EEEvSK_.num_agpr, 0
	.set _ZN7rocprim17ROCPRIM_400000_NS6detail17trampoline_kernelINS0_14default_configENS1_38merge_sort_block_merge_config_selectorIjNS0_10empty_typeEEEZZNS1_27merge_sort_block_merge_implIS3_N6thrust23THRUST_200600_302600_NS6detail15normal_iteratorINS9_10device_ptrIjEEEEPS5_m9comp_mod3IjEEE10hipError_tT0_T1_T2_jT3_P12ihipStream_tbPNSt15iterator_traitsISJ_E10value_typeEPNSP_ISK_E10value_typeEPSL_NS1_7vsmem_tEENKUlT_SJ_SK_SL_E_clISE_PjSF_SF_EESI_SY_SJ_SK_SL_EUlSY_E_NS1_11comp_targetILNS1_3genE10ELNS1_11target_archE1201ELNS1_3gpuE5ELNS1_3repE0EEENS1_48merge_mergepath_partition_config_static_selectorELNS0_4arch9wavefront6targetE0EEEvSK_.numbered_sgpr, 0
	.set _ZN7rocprim17ROCPRIM_400000_NS6detail17trampoline_kernelINS0_14default_configENS1_38merge_sort_block_merge_config_selectorIjNS0_10empty_typeEEEZZNS1_27merge_sort_block_merge_implIS3_N6thrust23THRUST_200600_302600_NS6detail15normal_iteratorINS9_10device_ptrIjEEEEPS5_m9comp_mod3IjEEE10hipError_tT0_T1_T2_jT3_P12ihipStream_tbPNSt15iterator_traitsISJ_E10value_typeEPNSP_ISK_E10value_typeEPSL_NS1_7vsmem_tEENKUlT_SJ_SK_SL_E_clISE_PjSF_SF_EESI_SY_SJ_SK_SL_EUlSY_E_NS1_11comp_targetILNS1_3genE10ELNS1_11target_archE1201ELNS1_3gpuE5ELNS1_3repE0EEENS1_48merge_mergepath_partition_config_static_selectorELNS0_4arch9wavefront6targetE0EEEvSK_.num_named_barrier, 0
	.set _ZN7rocprim17ROCPRIM_400000_NS6detail17trampoline_kernelINS0_14default_configENS1_38merge_sort_block_merge_config_selectorIjNS0_10empty_typeEEEZZNS1_27merge_sort_block_merge_implIS3_N6thrust23THRUST_200600_302600_NS6detail15normal_iteratorINS9_10device_ptrIjEEEEPS5_m9comp_mod3IjEEE10hipError_tT0_T1_T2_jT3_P12ihipStream_tbPNSt15iterator_traitsISJ_E10value_typeEPNSP_ISK_E10value_typeEPSL_NS1_7vsmem_tEENKUlT_SJ_SK_SL_E_clISE_PjSF_SF_EESI_SY_SJ_SK_SL_EUlSY_E_NS1_11comp_targetILNS1_3genE10ELNS1_11target_archE1201ELNS1_3gpuE5ELNS1_3repE0EEENS1_48merge_mergepath_partition_config_static_selectorELNS0_4arch9wavefront6targetE0EEEvSK_.private_seg_size, 0
	.set _ZN7rocprim17ROCPRIM_400000_NS6detail17trampoline_kernelINS0_14default_configENS1_38merge_sort_block_merge_config_selectorIjNS0_10empty_typeEEEZZNS1_27merge_sort_block_merge_implIS3_N6thrust23THRUST_200600_302600_NS6detail15normal_iteratorINS9_10device_ptrIjEEEEPS5_m9comp_mod3IjEEE10hipError_tT0_T1_T2_jT3_P12ihipStream_tbPNSt15iterator_traitsISJ_E10value_typeEPNSP_ISK_E10value_typeEPSL_NS1_7vsmem_tEENKUlT_SJ_SK_SL_E_clISE_PjSF_SF_EESI_SY_SJ_SK_SL_EUlSY_E_NS1_11comp_targetILNS1_3genE10ELNS1_11target_archE1201ELNS1_3gpuE5ELNS1_3repE0EEENS1_48merge_mergepath_partition_config_static_selectorELNS0_4arch9wavefront6targetE0EEEvSK_.uses_vcc, 0
	.set _ZN7rocprim17ROCPRIM_400000_NS6detail17trampoline_kernelINS0_14default_configENS1_38merge_sort_block_merge_config_selectorIjNS0_10empty_typeEEEZZNS1_27merge_sort_block_merge_implIS3_N6thrust23THRUST_200600_302600_NS6detail15normal_iteratorINS9_10device_ptrIjEEEEPS5_m9comp_mod3IjEEE10hipError_tT0_T1_T2_jT3_P12ihipStream_tbPNSt15iterator_traitsISJ_E10value_typeEPNSP_ISK_E10value_typeEPSL_NS1_7vsmem_tEENKUlT_SJ_SK_SL_E_clISE_PjSF_SF_EESI_SY_SJ_SK_SL_EUlSY_E_NS1_11comp_targetILNS1_3genE10ELNS1_11target_archE1201ELNS1_3gpuE5ELNS1_3repE0EEENS1_48merge_mergepath_partition_config_static_selectorELNS0_4arch9wavefront6targetE0EEEvSK_.uses_flat_scratch, 0
	.set _ZN7rocprim17ROCPRIM_400000_NS6detail17trampoline_kernelINS0_14default_configENS1_38merge_sort_block_merge_config_selectorIjNS0_10empty_typeEEEZZNS1_27merge_sort_block_merge_implIS3_N6thrust23THRUST_200600_302600_NS6detail15normal_iteratorINS9_10device_ptrIjEEEEPS5_m9comp_mod3IjEEE10hipError_tT0_T1_T2_jT3_P12ihipStream_tbPNSt15iterator_traitsISJ_E10value_typeEPNSP_ISK_E10value_typeEPSL_NS1_7vsmem_tEENKUlT_SJ_SK_SL_E_clISE_PjSF_SF_EESI_SY_SJ_SK_SL_EUlSY_E_NS1_11comp_targetILNS1_3genE10ELNS1_11target_archE1201ELNS1_3gpuE5ELNS1_3repE0EEENS1_48merge_mergepath_partition_config_static_selectorELNS0_4arch9wavefront6targetE0EEEvSK_.has_dyn_sized_stack, 0
	.set _ZN7rocprim17ROCPRIM_400000_NS6detail17trampoline_kernelINS0_14default_configENS1_38merge_sort_block_merge_config_selectorIjNS0_10empty_typeEEEZZNS1_27merge_sort_block_merge_implIS3_N6thrust23THRUST_200600_302600_NS6detail15normal_iteratorINS9_10device_ptrIjEEEEPS5_m9comp_mod3IjEEE10hipError_tT0_T1_T2_jT3_P12ihipStream_tbPNSt15iterator_traitsISJ_E10value_typeEPNSP_ISK_E10value_typeEPSL_NS1_7vsmem_tEENKUlT_SJ_SK_SL_E_clISE_PjSF_SF_EESI_SY_SJ_SK_SL_EUlSY_E_NS1_11comp_targetILNS1_3genE10ELNS1_11target_archE1201ELNS1_3gpuE5ELNS1_3repE0EEENS1_48merge_mergepath_partition_config_static_selectorELNS0_4arch9wavefront6targetE0EEEvSK_.has_recursion, 0
	.set _ZN7rocprim17ROCPRIM_400000_NS6detail17trampoline_kernelINS0_14default_configENS1_38merge_sort_block_merge_config_selectorIjNS0_10empty_typeEEEZZNS1_27merge_sort_block_merge_implIS3_N6thrust23THRUST_200600_302600_NS6detail15normal_iteratorINS9_10device_ptrIjEEEEPS5_m9comp_mod3IjEEE10hipError_tT0_T1_T2_jT3_P12ihipStream_tbPNSt15iterator_traitsISJ_E10value_typeEPNSP_ISK_E10value_typeEPSL_NS1_7vsmem_tEENKUlT_SJ_SK_SL_E_clISE_PjSF_SF_EESI_SY_SJ_SK_SL_EUlSY_E_NS1_11comp_targetILNS1_3genE10ELNS1_11target_archE1201ELNS1_3gpuE5ELNS1_3repE0EEENS1_48merge_mergepath_partition_config_static_selectorELNS0_4arch9wavefront6targetE0EEEvSK_.has_indirect_call, 0
	.section	.AMDGPU.csdata,"",@progbits
; Kernel info:
; codeLenInByte = 0
; TotalNumSgprs: 0
; NumVgprs: 0
; ScratchSize: 0
; MemoryBound: 0
; FloatMode: 240
; IeeeMode: 1
; LDSByteSize: 0 bytes/workgroup (compile time only)
; SGPRBlocks: 0
; VGPRBlocks: 0
; NumSGPRsForWavesPerEU: 1
; NumVGPRsForWavesPerEU: 1
; Occupancy: 16
; WaveLimiterHint : 0
; COMPUTE_PGM_RSRC2:SCRATCH_EN: 0
; COMPUTE_PGM_RSRC2:USER_SGPR: 6
; COMPUTE_PGM_RSRC2:TRAP_HANDLER: 0
; COMPUTE_PGM_RSRC2:TGID_X_EN: 1
; COMPUTE_PGM_RSRC2:TGID_Y_EN: 0
; COMPUTE_PGM_RSRC2:TGID_Z_EN: 0
; COMPUTE_PGM_RSRC2:TIDIG_COMP_CNT: 0
	.section	.text._ZN7rocprim17ROCPRIM_400000_NS6detail17trampoline_kernelINS0_14default_configENS1_38merge_sort_block_merge_config_selectorIjNS0_10empty_typeEEEZZNS1_27merge_sort_block_merge_implIS3_N6thrust23THRUST_200600_302600_NS6detail15normal_iteratorINS9_10device_ptrIjEEEEPS5_m9comp_mod3IjEEE10hipError_tT0_T1_T2_jT3_P12ihipStream_tbPNSt15iterator_traitsISJ_E10value_typeEPNSP_ISK_E10value_typeEPSL_NS1_7vsmem_tEENKUlT_SJ_SK_SL_E_clISE_PjSF_SF_EESI_SY_SJ_SK_SL_EUlSY_E_NS1_11comp_targetILNS1_3genE5ELNS1_11target_archE942ELNS1_3gpuE9ELNS1_3repE0EEENS1_48merge_mergepath_partition_config_static_selectorELNS0_4arch9wavefront6targetE0EEEvSK_,"axG",@progbits,_ZN7rocprim17ROCPRIM_400000_NS6detail17trampoline_kernelINS0_14default_configENS1_38merge_sort_block_merge_config_selectorIjNS0_10empty_typeEEEZZNS1_27merge_sort_block_merge_implIS3_N6thrust23THRUST_200600_302600_NS6detail15normal_iteratorINS9_10device_ptrIjEEEEPS5_m9comp_mod3IjEEE10hipError_tT0_T1_T2_jT3_P12ihipStream_tbPNSt15iterator_traitsISJ_E10value_typeEPNSP_ISK_E10value_typeEPSL_NS1_7vsmem_tEENKUlT_SJ_SK_SL_E_clISE_PjSF_SF_EESI_SY_SJ_SK_SL_EUlSY_E_NS1_11comp_targetILNS1_3genE5ELNS1_11target_archE942ELNS1_3gpuE9ELNS1_3repE0EEENS1_48merge_mergepath_partition_config_static_selectorELNS0_4arch9wavefront6targetE0EEEvSK_,comdat
	.protected	_ZN7rocprim17ROCPRIM_400000_NS6detail17trampoline_kernelINS0_14default_configENS1_38merge_sort_block_merge_config_selectorIjNS0_10empty_typeEEEZZNS1_27merge_sort_block_merge_implIS3_N6thrust23THRUST_200600_302600_NS6detail15normal_iteratorINS9_10device_ptrIjEEEEPS5_m9comp_mod3IjEEE10hipError_tT0_T1_T2_jT3_P12ihipStream_tbPNSt15iterator_traitsISJ_E10value_typeEPNSP_ISK_E10value_typeEPSL_NS1_7vsmem_tEENKUlT_SJ_SK_SL_E_clISE_PjSF_SF_EESI_SY_SJ_SK_SL_EUlSY_E_NS1_11comp_targetILNS1_3genE5ELNS1_11target_archE942ELNS1_3gpuE9ELNS1_3repE0EEENS1_48merge_mergepath_partition_config_static_selectorELNS0_4arch9wavefront6targetE0EEEvSK_ ; -- Begin function _ZN7rocprim17ROCPRIM_400000_NS6detail17trampoline_kernelINS0_14default_configENS1_38merge_sort_block_merge_config_selectorIjNS0_10empty_typeEEEZZNS1_27merge_sort_block_merge_implIS3_N6thrust23THRUST_200600_302600_NS6detail15normal_iteratorINS9_10device_ptrIjEEEEPS5_m9comp_mod3IjEEE10hipError_tT0_T1_T2_jT3_P12ihipStream_tbPNSt15iterator_traitsISJ_E10value_typeEPNSP_ISK_E10value_typeEPSL_NS1_7vsmem_tEENKUlT_SJ_SK_SL_E_clISE_PjSF_SF_EESI_SY_SJ_SK_SL_EUlSY_E_NS1_11comp_targetILNS1_3genE5ELNS1_11target_archE942ELNS1_3gpuE9ELNS1_3repE0EEENS1_48merge_mergepath_partition_config_static_selectorELNS0_4arch9wavefront6targetE0EEEvSK_
	.globl	_ZN7rocprim17ROCPRIM_400000_NS6detail17trampoline_kernelINS0_14default_configENS1_38merge_sort_block_merge_config_selectorIjNS0_10empty_typeEEEZZNS1_27merge_sort_block_merge_implIS3_N6thrust23THRUST_200600_302600_NS6detail15normal_iteratorINS9_10device_ptrIjEEEEPS5_m9comp_mod3IjEEE10hipError_tT0_T1_T2_jT3_P12ihipStream_tbPNSt15iterator_traitsISJ_E10value_typeEPNSP_ISK_E10value_typeEPSL_NS1_7vsmem_tEENKUlT_SJ_SK_SL_E_clISE_PjSF_SF_EESI_SY_SJ_SK_SL_EUlSY_E_NS1_11comp_targetILNS1_3genE5ELNS1_11target_archE942ELNS1_3gpuE9ELNS1_3repE0EEENS1_48merge_mergepath_partition_config_static_selectorELNS0_4arch9wavefront6targetE0EEEvSK_
	.p2align	8
	.type	_ZN7rocprim17ROCPRIM_400000_NS6detail17trampoline_kernelINS0_14default_configENS1_38merge_sort_block_merge_config_selectorIjNS0_10empty_typeEEEZZNS1_27merge_sort_block_merge_implIS3_N6thrust23THRUST_200600_302600_NS6detail15normal_iteratorINS9_10device_ptrIjEEEEPS5_m9comp_mod3IjEEE10hipError_tT0_T1_T2_jT3_P12ihipStream_tbPNSt15iterator_traitsISJ_E10value_typeEPNSP_ISK_E10value_typeEPSL_NS1_7vsmem_tEENKUlT_SJ_SK_SL_E_clISE_PjSF_SF_EESI_SY_SJ_SK_SL_EUlSY_E_NS1_11comp_targetILNS1_3genE5ELNS1_11target_archE942ELNS1_3gpuE9ELNS1_3repE0EEENS1_48merge_mergepath_partition_config_static_selectorELNS0_4arch9wavefront6targetE0EEEvSK_,@function
_ZN7rocprim17ROCPRIM_400000_NS6detail17trampoline_kernelINS0_14default_configENS1_38merge_sort_block_merge_config_selectorIjNS0_10empty_typeEEEZZNS1_27merge_sort_block_merge_implIS3_N6thrust23THRUST_200600_302600_NS6detail15normal_iteratorINS9_10device_ptrIjEEEEPS5_m9comp_mod3IjEEE10hipError_tT0_T1_T2_jT3_P12ihipStream_tbPNSt15iterator_traitsISJ_E10value_typeEPNSP_ISK_E10value_typeEPSL_NS1_7vsmem_tEENKUlT_SJ_SK_SL_E_clISE_PjSF_SF_EESI_SY_SJ_SK_SL_EUlSY_E_NS1_11comp_targetILNS1_3genE5ELNS1_11target_archE942ELNS1_3gpuE9ELNS1_3repE0EEENS1_48merge_mergepath_partition_config_static_selectorELNS0_4arch9wavefront6targetE0EEEvSK_: ; @_ZN7rocprim17ROCPRIM_400000_NS6detail17trampoline_kernelINS0_14default_configENS1_38merge_sort_block_merge_config_selectorIjNS0_10empty_typeEEEZZNS1_27merge_sort_block_merge_implIS3_N6thrust23THRUST_200600_302600_NS6detail15normal_iteratorINS9_10device_ptrIjEEEEPS5_m9comp_mod3IjEEE10hipError_tT0_T1_T2_jT3_P12ihipStream_tbPNSt15iterator_traitsISJ_E10value_typeEPNSP_ISK_E10value_typeEPSL_NS1_7vsmem_tEENKUlT_SJ_SK_SL_E_clISE_PjSF_SF_EESI_SY_SJ_SK_SL_EUlSY_E_NS1_11comp_targetILNS1_3genE5ELNS1_11target_archE942ELNS1_3gpuE9ELNS1_3repE0EEENS1_48merge_mergepath_partition_config_static_selectorELNS0_4arch9wavefront6targetE0EEEvSK_
; %bb.0:
	.section	.rodata,"a",@progbits
	.p2align	6, 0x0
	.amdhsa_kernel _ZN7rocprim17ROCPRIM_400000_NS6detail17trampoline_kernelINS0_14default_configENS1_38merge_sort_block_merge_config_selectorIjNS0_10empty_typeEEEZZNS1_27merge_sort_block_merge_implIS3_N6thrust23THRUST_200600_302600_NS6detail15normal_iteratorINS9_10device_ptrIjEEEEPS5_m9comp_mod3IjEEE10hipError_tT0_T1_T2_jT3_P12ihipStream_tbPNSt15iterator_traitsISJ_E10value_typeEPNSP_ISK_E10value_typeEPSL_NS1_7vsmem_tEENKUlT_SJ_SK_SL_E_clISE_PjSF_SF_EESI_SY_SJ_SK_SL_EUlSY_E_NS1_11comp_targetILNS1_3genE5ELNS1_11target_archE942ELNS1_3gpuE9ELNS1_3repE0EEENS1_48merge_mergepath_partition_config_static_selectorELNS0_4arch9wavefront6targetE0EEEvSK_
		.amdhsa_group_segment_fixed_size 0
		.amdhsa_private_segment_fixed_size 0
		.amdhsa_kernarg_size 48
		.amdhsa_user_sgpr_count 6
		.amdhsa_user_sgpr_private_segment_buffer 1
		.amdhsa_user_sgpr_dispatch_ptr 0
		.amdhsa_user_sgpr_queue_ptr 0
		.amdhsa_user_sgpr_kernarg_segment_ptr 1
		.amdhsa_user_sgpr_dispatch_id 0
		.amdhsa_user_sgpr_flat_scratch_init 0
		.amdhsa_user_sgpr_private_segment_size 0
		.amdhsa_wavefront_size32 1
		.amdhsa_uses_dynamic_stack 0
		.amdhsa_system_sgpr_private_segment_wavefront_offset 0
		.amdhsa_system_sgpr_workgroup_id_x 1
		.amdhsa_system_sgpr_workgroup_id_y 0
		.amdhsa_system_sgpr_workgroup_id_z 0
		.amdhsa_system_sgpr_workgroup_info 0
		.amdhsa_system_vgpr_workitem_id 0
		.amdhsa_next_free_vgpr 1
		.amdhsa_next_free_sgpr 1
		.amdhsa_reserve_vcc 0
		.amdhsa_reserve_flat_scratch 0
		.amdhsa_float_round_mode_32 0
		.amdhsa_float_round_mode_16_64 0
		.amdhsa_float_denorm_mode_32 3
		.amdhsa_float_denorm_mode_16_64 3
		.amdhsa_dx10_clamp 1
		.amdhsa_ieee_mode 1
		.amdhsa_fp16_overflow 0
		.amdhsa_workgroup_processor_mode 1
		.amdhsa_memory_ordered 1
		.amdhsa_forward_progress 1
		.amdhsa_shared_vgpr_count 0
		.amdhsa_exception_fp_ieee_invalid_op 0
		.amdhsa_exception_fp_denorm_src 0
		.amdhsa_exception_fp_ieee_div_zero 0
		.amdhsa_exception_fp_ieee_overflow 0
		.amdhsa_exception_fp_ieee_underflow 0
		.amdhsa_exception_fp_ieee_inexact 0
		.amdhsa_exception_int_div_zero 0
	.end_amdhsa_kernel
	.section	.text._ZN7rocprim17ROCPRIM_400000_NS6detail17trampoline_kernelINS0_14default_configENS1_38merge_sort_block_merge_config_selectorIjNS0_10empty_typeEEEZZNS1_27merge_sort_block_merge_implIS3_N6thrust23THRUST_200600_302600_NS6detail15normal_iteratorINS9_10device_ptrIjEEEEPS5_m9comp_mod3IjEEE10hipError_tT0_T1_T2_jT3_P12ihipStream_tbPNSt15iterator_traitsISJ_E10value_typeEPNSP_ISK_E10value_typeEPSL_NS1_7vsmem_tEENKUlT_SJ_SK_SL_E_clISE_PjSF_SF_EESI_SY_SJ_SK_SL_EUlSY_E_NS1_11comp_targetILNS1_3genE5ELNS1_11target_archE942ELNS1_3gpuE9ELNS1_3repE0EEENS1_48merge_mergepath_partition_config_static_selectorELNS0_4arch9wavefront6targetE0EEEvSK_,"axG",@progbits,_ZN7rocprim17ROCPRIM_400000_NS6detail17trampoline_kernelINS0_14default_configENS1_38merge_sort_block_merge_config_selectorIjNS0_10empty_typeEEEZZNS1_27merge_sort_block_merge_implIS3_N6thrust23THRUST_200600_302600_NS6detail15normal_iteratorINS9_10device_ptrIjEEEEPS5_m9comp_mod3IjEEE10hipError_tT0_T1_T2_jT3_P12ihipStream_tbPNSt15iterator_traitsISJ_E10value_typeEPNSP_ISK_E10value_typeEPSL_NS1_7vsmem_tEENKUlT_SJ_SK_SL_E_clISE_PjSF_SF_EESI_SY_SJ_SK_SL_EUlSY_E_NS1_11comp_targetILNS1_3genE5ELNS1_11target_archE942ELNS1_3gpuE9ELNS1_3repE0EEENS1_48merge_mergepath_partition_config_static_selectorELNS0_4arch9wavefront6targetE0EEEvSK_,comdat
.Lfunc_end842:
	.size	_ZN7rocprim17ROCPRIM_400000_NS6detail17trampoline_kernelINS0_14default_configENS1_38merge_sort_block_merge_config_selectorIjNS0_10empty_typeEEEZZNS1_27merge_sort_block_merge_implIS3_N6thrust23THRUST_200600_302600_NS6detail15normal_iteratorINS9_10device_ptrIjEEEEPS5_m9comp_mod3IjEEE10hipError_tT0_T1_T2_jT3_P12ihipStream_tbPNSt15iterator_traitsISJ_E10value_typeEPNSP_ISK_E10value_typeEPSL_NS1_7vsmem_tEENKUlT_SJ_SK_SL_E_clISE_PjSF_SF_EESI_SY_SJ_SK_SL_EUlSY_E_NS1_11comp_targetILNS1_3genE5ELNS1_11target_archE942ELNS1_3gpuE9ELNS1_3repE0EEENS1_48merge_mergepath_partition_config_static_selectorELNS0_4arch9wavefront6targetE0EEEvSK_, .Lfunc_end842-_ZN7rocprim17ROCPRIM_400000_NS6detail17trampoline_kernelINS0_14default_configENS1_38merge_sort_block_merge_config_selectorIjNS0_10empty_typeEEEZZNS1_27merge_sort_block_merge_implIS3_N6thrust23THRUST_200600_302600_NS6detail15normal_iteratorINS9_10device_ptrIjEEEEPS5_m9comp_mod3IjEEE10hipError_tT0_T1_T2_jT3_P12ihipStream_tbPNSt15iterator_traitsISJ_E10value_typeEPNSP_ISK_E10value_typeEPSL_NS1_7vsmem_tEENKUlT_SJ_SK_SL_E_clISE_PjSF_SF_EESI_SY_SJ_SK_SL_EUlSY_E_NS1_11comp_targetILNS1_3genE5ELNS1_11target_archE942ELNS1_3gpuE9ELNS1_3repE0EEENS1_48merge_mergepath_partition_config_static_selectorELNS0_4arch9wavefront6targetE0EEEvSK_
                                        ; -- End function
	.set _ZN7rocprim17ROCPRIM_400000_NS6detail17trampoline_kernelINS0_14default_configENS1_38merge_sort_block_merge_config_selectorIjNS0_10empty_typeEEEZZNS1_27merge_sort_block_merge_implIS3_N6thrust23THRUST_200600_302600_NS6detail15normal_iteratorINS9_10device_ptrIjEEEEPS5_m9comp_mod3IjEEE10hipError_tT0_T1_T2_jT3_P12ihipStream_tbPNSt15iterator_traitsISJ_E10value_typeEPNSP_ISK_E10value_typeEPSL_NS1_7vsmem_tEENKUlT_SJ_SK_SL_E_clISE_PjSF_SF_EESI_SY_SJ_SK_SL_EUlSY_E_NS1_11comp_targetILNS1_3genE5ELNS1_11target_archE942ELNS1_3gpuE9ELNS1_3repE0EEENS1_48merge_mergepath_partition_config_static_selectorELNS0_4arch9wavefront6targetE0EEEvSK_.num_vgpr, 0
	.set _ZN7rocprim17ROCPRIM_400000_NS6detail17trampoline_kernelINS0_14default_configENS1_38merge_sort_block_merge_config_selectorIjNS0_10empty_typeEEEZZNS1_27merge_sort_block_merge_implIS3_N6thrust23THRUST_200600_302600_NS6detail15normal_iteratorINS9_10device_ptrIjEEEEPS5_m9comp_mod3IjEEE10hipError_tT0_T1_T2_jT3_P12ihipStream_tbPNSt15iterator_traitsISJ_E10value_typeEPNSP_ISK_E10value_typeEPSL_NS1_7vsmem_tEENKUlT_SJ_SK_SL_E_clISE_PjSF_SF_EESI_SY_SJ_SK_SL_EUlSY_E_NS1_11comp_targetILNS1_3genE5ELNS1_11target_archE942ELNS1_3gpuE9ELNS1_3repE0EEENS1_48merge_mergepath_partition_config_static_selectorELNS0_4arch9wavefront6targetE0EEEvSK_.num_agpr, 0
	.set _ZN7rocprim17ROCPRIM_400000_NS6detail17trampoline_kernelINS0_14default_configENS1_38merge_sort_block_merge_config_selectorIjNS0_10empty_typeEEEZZNS1_27merge_sort_block_merge_implIS3_N6thrust23THRUST_200600_302600_NS6detail15normal_iteratorINS9_10device_ptrIjEEEEPS5_m9comp_mod3IjEEE10hipError_tT0_T1_T2_jT3_P12ihipStream_tbPNSt15iterator_traitsISJ_E10value_typeEPNSP_ISK_E10value_typeEPSL_NS1_7vsmem_tEENKUlT_SJ_SK_SL_E_clISE_PjSF_SF_EESI_SY_SJ_SK_SL_EUlSY_E_NS1_11comp_targetILNS1_3genE5ELNS1_11target_archE942ELNS1_3gpuE9ELNS1_3repE0EEENS1_48merge_mergepath_partition_config_static_selectorELNS0_4arch9wavefront6targetE0EEEvSK_.numbered_sgpr, 0
	.set _ZN7rocprim17ROCPRIM_400000_NS6detail17trampoline_kernelINS0_14default_configENS1_38merge_sort_block_merge_config_selectorIjNS0_10empty_typeEEEZZNS1_27merge_sort_block_merge_implIS3_N6thrust23THRUST_200600_302600_NS6detail15normal_iteratorINS9_10device_ptrIjEEEEPS5_m9comp_mod3IjEEE10hipError_tT0_T1_T2_jT3_P12ihipStream_tbPNSt15iterator_traitsISJ_E10value_typeEPNSP_ISK_E10value_typeEPSL_NS1_7vsmem_tEENKUlT_SJ_SK_SL_E_clISE_PjSF_SF_EESI_SY_SJ_SK_SL_EUlSY_E_NS1_11comp_targetILNS1_3genE5ELNS1_11target_archE942ELNS1_3gpuE9ELNS1_3repE0EEENS1_48merge_mergepath_partition_config_static_selectorELNS0_4arch9wavefront6targetE0EEEvSK_.num_named_barrier, 0
	.set _ZN7rocprim17ROCPRIM_400000_NS6detail17trampoline_kernelINS0_14default_configENS1_38merge_sort_block_merge_config_selectorIjNS0_10empty_typeEEEZZNS1_27merge_sort_block_merge_implIS3_N6thrust23THRUST_200600_302600_NS6detail15normal_iteratorINS9_10device_ptrIjEEEEPS5_m9comp_mod3IjEEE10hipError_tT0_T1_T2_jT3_P12ihipStream_tbPNSt15iterator_traitsISJ_E10value_typeEPNSP_ISK_E10value_typeEPSL_NS1_7vsmem_tEENKUlT_SJ_SK_SL_E_clISE_PjSF_SF_EESI_SY_SJ_SK_SL_EUlSY_E_NS1_11comp_targetILNS1_3genE5ELNS1_11target_archE942ELNS1_3gpuE9ELNS1_3repE0EEENS1_48merge_mergepath_partition_config_static_selectorELNS0_4arch9wavefront6targetE0EEEvSK_.private_seg_size, 0
	.set _ZN7rocprim17ROCPRIM_400000_NS6detail17trampoline_kernelINS0_14default_configENS1_38merge_sort_block_merge_config_selectorIjNS0_10empty_typeEEEZZNS1_27merge_sort_block_merge_implIS3_N6thrust23THRUST_200600_302600_NS6detail15normal_iteratorINS9_10device_ptrIjEEEEPS5_m9comp_mod3IjEEE10hipError_tT0_T1_T2_jT3_P12ihipStream_tbPNSt15iterator_traitsISJ_E10value_typeEPNSP_ISK_E10value_typeEPSL_NS1_7vsmem_tEENKUlT_SJ_SK_SL_E_clISE_PjSF_SF_EESI_SY_SJ_SK_SL_EUlSY_E_NS1_11comp_targetILNS1_3genE5ELNS1_11target_archE942ELNS1_3gpuE9ELNS1_3repE0EEENS1_48merge_mergepath_partition_config_static_selectorELNS0_4arch9wavefront6targetE0EEEvSK_.uses_vcc, 0
	.set _ZN7rocprim17ROCPRIM_400000_NS6detail17trampoline_kernelINS0_14default_configENS1_38merge_sort_block_merge_config_selectorIjNS0_10empty_typeEEEZZNS1_27merge_sort_block_merge_implIS3_N6thrust23THRUST_200600_302600_NS6detail15normal_iteratorINS9_10device_ptrIjEEEEPS5_m9comp_mod3IjEEE10hipError_tT0_T1_T2_jT3_P12ihipStream_tbPNSt15iterator_traitsISJ_E10value_typeEPNSP_ISK_E10value_typeEPSL_NS1_7vsmem_tEENKUlT_SJ_SK_SL_E_clISE_PjSF_SF_EESI_SY_SJ_SK_SL_EUlSY_E_NS1_11comp_targetILNS1_3genE5ELNS1_11target_archE942ELNS1_3gpuE9ELNS1_3repE0EEENS1_48merge_mergepath_partition_config_static_selectorELNS0_4arch9wavefront6targetE0EEEvSK_.uses_flat_scratch, 0
	.set _ZN7rocprim17ROCPRIM_400000_NS6detail17trampoline_kernelINS0_14default_configENS1_38merge_sort_block_merge_config_selectorIjNS0_10empty_typeEEEZZNS1_27merge_sort_block_merge_implIS3_N6thrust23THRUST_200600_302600_NS6detail15normal_iteratorINS9_10device_ptrIjEEEEPS5_m9comp_mod3IjEEE10hipError_tT0_T1_T2_jT3_P12ihipStream_tbPNSt15iterator_traitsISJ_E10value_typeEPNSP_ISK_E10value_typeEPSL_NS1_7vsmem_tEENKUlT_SJ_SK_SL_E_clISE_PjSF_SF_EESI_SY_SJ_SK_SL_EUlSY_E_NS1_11comp_targetILNS1_3genE5ELNS1_11target_archE942ELNS1_3gpuE9ELNS1_3repE0EEENS1_48merge_mergepath_partition_config_static_selectorELNS0_4arch9wavefront6targetE0EEEvSK_.has_dyn_sized_stack, 0
	.set _ZN7rocprim17ROCPRIM_400000_NS6detail17trampoline_kernelINS0_14default_configENS1_38merge_sort_block_merge_config_selectorIjNS0_10empty_typeEEEZZNS1_27merge_sort_block_merge_implIS3_N6thrust23THRUST_200600_302600_NS6detail15normal_iteratorINS9_10device_ptrIjEEEEPS5_m9comp_mod3IjEEE10hipError_tT0_T1_T2_jT3_P12ihipStream_tbPNSt15iterator_traitsISJ_E10value_typeEPNSP_ISK_E10value_typeEPSL_NS1_7vsmem_tEENKUlT_SJ_SK_SL_E_clISE_PjSF_SF_EESI_SY_SJ_SK_SL_EUlSY_E_NS1_11comp_targetILNS1_3genE5ELNS1_11target_archE942ELNS1_3gpuE9ELNS1_3repE0EEENS1_48merge_mergepath_partition_config_static_selectorELNS0_4arch9wavefront6targetE0EEEvSK_.has_recursion, 0
	.set _ZN7rocprim17ROCPRIM_400000_NS6detail17trampoline_kernelINS0_14default_configENS1_38merge_sort_block_merge_config_selectorIjNS0_10empty_typeEEEZZNS1_27merge_sort_block_merge_implIS3_N6thrust23THRUST_200600_302600_NS6detail15normal_iteratorINS9_10device_ptrIjEEEEPS5_m9comp_mod3IjEEE10hipError_tT0_T1_T2_jT3_P12ihipStream_tbPNSt15iterator_traitsISJ_E10value_typeEPNSP_ISK_E10value_typeEPSL_NS1_7vsmem_tEENKUlT_SJ_SK_SL_E_clISE_PjSF_SF_EESI_SY_SJ_SK_SL_EUlSY_E_NS1_11comp_targetILNS1_3genE5ELNS1_11target_archE942ELNS1_3gpuE9ELNS1_3repE0EEENS1_48merge_mergepath_partition_config_static_selectorELNS0_4arch9wavefront6targetE0EEEvSK_.has_indirect_call, 0
	.section	.AMDGPU.csdata,"",@progbits
; Kernel info:
; codeLenInByte = 0
; TotalNumSgprs: 0
; NumVgprs: 0
; ScratchSize: 0
; MemoryBound: 0
; FloatMode: 240
; IeeeMode: 1
; LDSByteSize: 0 bytes/workgroup (compile time only)
; SGPRBlocks: 0
; VGPRBlocks: 0
; NumSGPRsForWavesPerEU: 1
; NumVGPRsForWavesPerEU: 1
; Occupancy: 16
; WaveLimiterHint : 0
; COMPUTE_PGM_RSRC2:SCRATCH_EN: 0
; COMPUTE_PGM_RSRC2:USER_SGPR: 6
; COMPUTE_PGM_RSRC2:TRAP_HANDLER: 0
; COMPUTE_PGM_RSRC2:TGID_X_EN: 1
; COMPUTE_PGM_RSRC2:TGID_Y_EN: 0
; COMPUTE_PGM_RSRC2:TGID_Z_EN: 0
; COMPUTE_PGM_RSRC2:TIDIG_COMP_CNT: 0
	.section	.text._ZN7rocprim17ROCPRIM_400000_NS6detail17trampoline_kernelINS0_14default_configENS1_38merge_sort_block_merge_config_selectorIjNS0_10empty_typeEEEZZNS1_27merge_sort_block_merge_implIS3_N6thrust23THRUST_200600_302600_NS6detail15normal_iteratorINS9_10device_ptrIjEEEEPS5_m9comp_mod3IjEEE10hipError_tT0_T1_T2_jT3_P12ihipStream_tbPNSt15iterator_traitsISJ_E10value_typeEPNSP_ISK_E10value_typeEPSL_NS1_7vsmem_tEENKUlT_SJ_SK_SL_E_clISE_PjSF_SF_EESI_SY_SJ_SK_SL_EUlSY_E_NS1_11comp_targetILNS1_3genE4ELNS1_11target_archE910ELNS1_3gpuE8ELNS1_3repE0EEENS1_48merge_mergepath_partition_config_static_selectorELNS0_4arch9wavefront6targetE0EEEvSK_,"axG",@progbits,_ZN7rocprim17ROCPRIM_400000_NS6detail17trampoline_kernelINS0_14default_configENS1_38merge_sort_block_merge_config_selectorIjNS0_10empty_typeEEEZZNS1_27merge_sort_block_merge_implIS3_N6thrust23THRUST_200600_302600_NS6detail15normal_iteratorINS9_10device_ptrIjEEEEPS5_m9comp_mod3IjEEE10hipError_tT0_T1_T2_jT3_P12ihipStream_tbPNSt15iterator_traitsISJ_E10value_typeEPNSP_ISK_E10value_typeEPSL_NS1_7vsmem_tEENKUlT_SJ_SK_SL_E_clISE_PjSF_SF_EESI_SY_SJ_SK_SL_EUlSY_E_NS1_11comp_targetILNS1_3genE4ELNS1_11target_archE910ELNS1_3gpuE8ELNS1_3repE0EEENS1_48merge_mergepath_partition_config_static_selectorELNS0_4arch9wavefront6targetE0EEEvSK_,comdat
	.protected	_ZN7rocprim17ROCPRIM_400000_NS6detail17trampoline_kernelINS0_14default_configENS1_38merge_sort_block_merge_config_selectorIjNS0_10empty_typeEEEZZNS1_27merge_sort_block_merge_implIS3_N6thrust23THRUST_200600_302600_NS6detail15normal_iteratorINS9_10device_ptrIjEEEEPS5_m9comp_mod3IjEEE10hipError_tT0_T1_T2_jT3_P12ihipStream_tbPNSt15iterator_traitsISJ_E10value_typeEPNSP_ISK_E10value_typeEPSL_NS1_7vsmem_tEENKUlT_SJ_SK_SL_E_clISE_PjSF_SF_EESI_SY_SJ_SK_SL_EUlSY_E_NS1_11comp_targetILNS1_3genE4ELNS1_11target_archE910ELNS1_3gpuE8ELNS1_3repE0EEENS1_48merge_mergepath_partition_config_static_selectorELNS0_4arch9wavefront6targetE0EEEvSK_ ; -- Begin function _ZN7rocprim17ROCPRIM_400000_NS6detail17trampoline_kernelINS0_14default_configENS1_38merge_sort_block_merge_config_selectorIjNS0_10empty_typeEEEZZNS1_27merge_sort_block_merge_implIS3_N6thrust23THRUST_200600_302600_NS6detail15normal_iteratorINS9_10device_ptrIjEEEEPS5_m9comp_mod3IjEEE10hipError_tT0_T1_T2_jT3_P12ihipStream_tbPNSt15iterator_traitsISJ_E10value_typeEPNSP_ISK_E10value_typeEPSL_NS1_7vsmem_tEENKUlT_SJ_SK_SL_E_clISE_PjSF_SF_EESI_SY_SJ_SK_SL_EUlSY_E_NS1_11comp_targetILNS1_3genE4ELNS1_11target_archE910ELNS1_3gpuE8ELNS1_3repE0EEENS1_48merge_mergepath_partition_config_static_selectorELNS0_4arch9wavefront6targetE0EEEvSK_
	.globl	_ZN7rocprim17ROCPRIM_400000_NS6detail17trampoline_kernelINS0_14default_configENS1_38merge_sort_block_merge_config_selectorIjNS0_10empty_typeEEEZZNS1_27merge_sort_block_merge_implIS3_N6thrust23THRUST_200600_302600_NS6detail15normal_iteratorINS9_10device_ptrIjEEEEPS5_m9comp_mod3IjEEE10hipError_tT0_T1_T2_jT3_P12ihipStream_tbPNSt15iterator_traitsISJ_E10value_typeEPNSP_ISK_E10value_typeEPSL_NS1_7vsmem_tEENKUlT_SJ_SK_SL_E_clISE_PjSF_SF_EESI_SY_SJ_SK_SL_EUlSY_E_NS1_11comp_targetILNS1_3genE4ELNS1_11target_archE910ELNS1_3gpuE8ELNS1_3repE0EEENS1_48merge_mergepath_partition_config_static_selectorELNS0_4arch9wavefront6targetE0EEEvSK_
	.p2align	8
	.type	_ZN7rocprim17ROCPRIM_400000_NS6detail17trampoline_kernelINS0_14default_configENS1_38merge_sort_block_merge_config_selectorIjNS0_10empty_typeEEEZZNS1_27merge_sort_block_merge_implIS3_N6thrust23THRUST_200600_302600_NS6detail15normal_iteratorINS9_10device_ptrIjEEEEPS5_m9comp_mod3IjEEE10hipError_tT0_T1_T2_jT3_P12ihipStream_tbPNSt15iterator_traitsISJ_E10value_typeEPNSP_ISK_E10value_typeEPSL_NS1_7vsmem_tEENKUlT_SJ_SK_SL_E_clISE_PjSF_SF_EESI_SY_SJ_SK_SL_EUlSY_E_NS1_11comp_targetILNS1_3genE4ELNS1_11target_archE910ELNS1_3gpuE8ELNS1_3repE0EEENS1_48merge_mergepath_partition_config_static_selectorELNS0_4arch9wavefront6targetE0EEEvSK_,@function
_ZN7rocprim17ROCPRIM_400000_NS6detail17trampoline_kernelINS0_14default_configENS1_38merge_sort_block_merge_config_selectorIjNS0_10empty_typeEEEZZNS1_27merge_sort_block_merge_implIS3_N6thrust23THRUST_200600_302600_NS6detail15normal_iteratorINS9_10device_ptrIjEEEEPS5_m9comp_mod3IjEEE10hipError_tT0_T1_T2_jT3_P12ihipStream_tbPNSt15iterator_traitsISJ_E10value_typeEPNSP_ISK_E10value_typeEPSL_NS1_7vsmem_tEENKUlT_SJ_SK_SL_E_clISE_PjSF_SF_EESI_SY_SJ_SK_SL_EUlSY_E_NS1_11comp_targetILNS1_3genE4ELNS1_11target_archE910ELNS1_3gpuE8ELNS1_3repE0EEENS1_48merge_mergepath_partition_config_static_selectorELNS0_4arch9wavefront6targetE0EEEvSK_: ; @_ZN7rocprim17ROCPRIM_400000_NS6detail17trampoline_kernelINS0_14default_configENS1_38merge_sort_block_merge_config_selectorIjNS0_10empty_typeEEEZZNS1_27merge_sort_block_merge_implIS3_N6thrust23THRUST_200600_302600_NS6detail15normal_iteratorINS9_10device_ptrIjEEEEPS5_m9comp_mod3IjEEE10hipError_tT0_T1_T2_jT3_P12ihipStream_tbPNSt15iterator_traitsISJ_E10value_typeEPNSP_ISK_E10value_typeEPSL_NS1_7vsmem_tEENKUlT_SJ_SK_SL_E_clISE_PjSF_SF_EESI_SY_SJ_SK_SL_EUlSY_E_NS1_11comp_targetILNS1_3genE4ELNS1_11target_archE910ELNS1_3gpuE8ELNS1_3repE0EEENS1_48merge_mergepath_partition_config_static_selectorELNS0_4arch9wavefront6targetE0EEEvSK_
; %bb.0:
	.section	.rodata,"a",@progbits
	.p2align	6, 0x0
	.amdhsa_kernel _ZN7rocprim17ROCPRIM_400000_NS6detail17trampoline_kernelINS0_14default_configENS1_38merge_sort_block_merge_config_selectorIjNS0_10empty_typeEEEZZNS1_27merge_sort_block_merge_implIS3_N6thrust23THRUST_200600_302600_NS6detail15normal_iteratorINS9_10device_ptrIjEEEEPS5_m9comp_mod3IjEEE10hipError_tT0_T1_T2_jT3_P12ihipStream_tbPNSt15iterator_traitsISJ_E10value_typeEPNSP_ISK_E10value_typeEPSL_NS1_7vsmem_tEENKUlT_SJ_SK_SL_E_clISE_PjSF_SF_EESI_SY_SJ_SK_SL_EUlSY_E_NS1_11comp_targetILNS1_3genE4ELNS1_11target_archE910ELNS1_3gpuE8ELNS1_3repE0EEENS1_48merge_mergepath_partition_config_static_selectorELNS0_4arch9wavefront6targetE0EEEvSK_
		.amdhsa_group_segment_fixed_size 0
		.amdhsa_private_segment_fixed_size 0
		.amdhsa_kernarg_size 48
		.amdhsa_user_sgpr_count 6
		.amdhsa_user_sgpr_private_segment_buffer 1
		.amdhsa_user_sgpr_dispatch_ptr 0
		.amdhsa_user_sgpr_queue_ptr 0
		.amdhsa_user_sgpr_kernarg_segment_ptr 1
		.amdhsa_user_sgpr_dispatch_id 0
		.amdhsa_user_sgpr_flat_scratch_init 0
		.amdhsa_user_sgpr_private_segment_size 0
		.amdhsa_wavefront_size32 1
		.amdhsa_uses_dynamic_stack 0
		.amdhsa_system_sgpr_private_segment_wavefront_offset 0
		.amdhsa_system_sgpr_workgroup_id_x 1
		.amdhsa_system_sgpr_workgroup_id_y 0
		.amdhsa_system_sgpr_workgroup_id_z 0
		.amdhsa_system_sgpr_workgroup_info 0
		.amdhsa_system_vgpr_workitem_id 0
		.amdhsa_next_free_vgpr 1
		.amdhsa_next_free_sgpr 1
		.amdhsa_reserve_vcc 0
		.amdhsa_reserve_flat_scratch 0
		.amdhsa_float_round_mode_32 0
		.amdhsa_float_round_mode_16_64 0
		.amdhsa_float_denorm_mode_32 3
		.amdhsa_float_denorm_mode_16_64 3
		.amdhsa_dx10_clamp 1
		.amdhsa_ieee_mode 1
		.amdhsa_fp16_overflow 0
		.amdhsa_workgroup_processor_mode 1
		.amdhsa_memory_ordered 1
		.amdhsa_forward_progress 1
		.amdhsa_shared_vgpr_count 0
		.amdhsa_exception_fp_ieee_invalid_op 0
		.amdhsa_exception_fp_denorm_src 0
		.amdhsa_exception_fp_ieee_div_zero 0
		.amdhsa_exception_fp_ieee_overflow 0
		.amdhsa_exception_fp_ieee_underflow 0
		.amdhsa_exception_fp_ieee_inexact 0
		.amdhsa_exception_int_div_zero 0
	.end_amdhsa_kernel
	.section	.text._ZN7rocprim17ROCPRIM_400000_NS6detail17trampoline_kernelINS0_14default_configENS1_38merge_sort_block_merge_config_selectorIjNS0_10empty_typeEEEZZNS1_27merge_sort_block_merge_implIS3_N6thrust23THRUST_200600_302600_NS6detail15normal_iteratorINS9_10device_ptrIjEEEEPS5_m9comp_mod3IjEEE10hipError_tT0_T1_T2_jT3_P12ihipStream_tbPNSt15iterator_traitsISJ_E10value_typeEPNSP_ISK_E10value_typeEPSL_NS1_7vsmem_tEENKUlT_SJ_SK_SL_E_clISE_PjSF_SF_EESI_SY_SJ_SK_SL_EUlSY_E_NS1_11comp_targetILNS1_3genE4ELNS1_11target_archE910ELNS1_3gpuE8ELNS1_3repE0EEENS1_48merge_mergepath_partition_config_static_selectorELNS0_4arch9wavefront6targetE0EEEvSK_,"axG",@progbits,_ZN7rocprim17ROCPRIM_400000_NS6detail17trampoline_kernelINS0_14default_configENS1_38merge_sort_block_merge_config_selectorIjNS0_10empty_typeEEEZZNS1_27merge_sort_block_merge_implIS3_N6thrust23THRUST_200600_302600_NS6detail15normal_iteratorINS9_10device_ptrIjEEEEPS5_m9comp_mod3IjEEE10hipError_tT0_T1_T2_jT3_P12ihipStream_tbPNSt15iterator_traitsISJ_E10value_typeEPNSP_ISK_E10value_typeEPSL_NS1_7vsmem_tEENKUlT_SJ_SK_SL_E_clISE_PjSF_SF_EESI_SY_SJ_SK_SL_EUlSY_E_NS1_11comp_targetILNS1_3genE4ELNS1_11target_archE910ELNS1_3gpuE8ELNS1_3repE0EEENS1_48merge_mergepath_partition_config_static_selectorELNS0_4arch9wavefront6targetE0EEEvSK_,comdat
.Lfunc_end843:
	.size	_ZN7rocprim17ROCPRIM_400000_NS6detail17trampoline_kernelINS0_14default_configENS1_38merge_sort_block_merge_config_selectorIjNS0_10empty_typeEEEZZNS1_27merge_sort_block_merge_implIS3_N6thrust23THRUST_200600_302600_NS6detail15normal_iteratorINS9_10device_ptrIjEEEEPS5_m9comp_mod3IjEEE10hipError_tT0_T1_T2_jT3_P12ihipStream_tbPNSt15iterator_traitsISJ_E10value_typeEPNSP_ISK_E10value_typeEPSL_NS1_7vsmem_tEENKUlT_SJ_SK_SL_E_clISE_PjSF_SF_EESI_SY_SJ_SK_SL_EUlSY_E_NS1_11comp_targetILNS1_3genE4ELNS1_11target_archE910ELNS1_3gpuE8ELNS1_3repE0EEENS1_48merge_mergepath_partition_config_static_selectorELNS0_4arch9wavefront6targetE0EEEvSK_, .Lfunc_end843-_ZN7rocprim17ROCPRIM_400000_NS6detail17trampoline_kernelINS0_14default_configENS1_38merge_sort_block_merge_config_selectorIjNS0_10empty_typeEEEZZNS1_27merge_sort_block_merge_implIS3_N6thrust23THRUST_200600_302600_NS6detail15normal_iteratorINS9_10device_ptrIjEEEEPS5_m9comp_mod3IjEEE10hipError_tT0_T1_T2_jT3_P12ihipStream_tbPNSt15iterator_traitsISJ_E10value_typeEPNSP_ISK_E10value_typeEPSL_NS1_7vsmem_tEENKUlT_SJ_SK_SL_E_clISE_PjSF_SF_EESI_SY_SJ_SK_SL_EUlSY_E_NS1_11comp_targetILNS1_3genE4ELNS1_11target_archE910ELNS1_3gpuE8ELNS1_3repE0EEENS1_48merge_mergepath_partition_config_static_selectorELNS0_4arch9wavefront6targetE0EEEvSK_
                                        ; -- End function
	.set _ZN7rocprim17ROCPRIM_400000_NS6detail17trampoline_kernelINS0_14default_configENS1_38merge_sort_block_merge_config_selectorIjNS0_10empty_typeEEEZZNS1_27merge_sort_block_merge_implIS3_N6thrust23THRUST_200600_302600_NS6detail15normal_iteratorINS9_10device_ptrIjEEEEPS5_m9comp_mod3IjEEE10hipError_tT0_T1_T2_jT3_P12ihipStream_tbPNSt15iterator_traitsISJ_E10value_typeEPNSP_ISK_E10value_typeEPSL_NS1_7vsmem_tEENKUlT_SJ_SK_SL_E_clISE_PjSF_SF_EESI_SY_SJ_SK_SL_EUlSY_E_NS1_11comp_targetILNS1_3genE4ELNS1_11target_archE910ELNS1_3gpuE8ELNS1_3repE0EEENS1_48merge_mergepath_partition_config_static_selectorELNS0_4arch9wavefront6targetE0EEEvSK_.num_vgpr, 0
	.set _ZN7rocprim17ROCPRIM_400000_NS6detail17trampoline_kernelINS0_14default_configENS1_38merge_sort_block_merge_config_selectorIjNS0_10empty_typeEEEZZNS1_27merge_sort_block_merge_implIS3_N6thrust23THRUST_200600_302600_NS6detail15normal_iteratorINS9_10device_ptrIjEEEEPS5_m9comp_mod3IjEEE10hipError_tT0_T1_T2_jT3_P12ihipStream_tbPNSt15iterator_traitsISJ_E10value_typeEPNSP_ISK_E10value_typeEPSL_NS1_7vsmem_tEENKUlT_SJ_SK_SL_E_clISE_PjSF_SF_EESI_SY_SJ_SK_SL_EUlSY_E_NS1_11comp_targetILNS1_3genE4ELNS1_11target_archE910ELNS1_3gpuE8ELNS1_3repE0EEENS1_48merge_mergepath_partition_config_static_selectorELNS0_4arch9wavefront6targetE0EEEvSK_.num_agpr, 0
	.set _ZN7rocprim17ROCPRIM_400000_NS6detail17trampoline_kernelINS0_14default_configENS1_38merge_sort_block_merge_config_selectorIjNS0_10empty_typeEEEZZNS1_27merge_sort_block_merge_implIS3_N6thrust23THRUST_200600_302600_NS6detail15normal_iteratorINS9_10device_ptrIjEEEEPS5_m9comp_mod3IjEEE10hipError_tT0_T1_T2_jT3_P12ihipStream_tbPNSt15iterator_traitsISJ_E10value_typeEPNSP_ISK_E10value_typeEPSL_NS1_7vsmem_tEENKUlT_SJ_SK_SL_E_clISE_PjSF_SF_EESI_SY_SJ_SK_SL_EUlSY_E_NS1_11comp_targetILNS1_3genE4ELNS1_11target_archE910ELNS1_3gpuE8ELNS1_3repE0EEENS1_48merge_mergepath_partition_config_static_selectorELNS0_4arch9wavefront6targetE0EEEvSK_.numbered_sgpr, 0
	.set _ZN7rocprim17ROCPRIM_400000_NS6detail17trampoline_kernelINS0_14default_configENS1_38merge_sort_block_merge_config_selectorIjNS0_10empty_typeEEEZZNS1_27merge_sort_block_merge_implIS3_N6thrust23THRUST_200600_302600_NS6detail15normal_iteratorINS9_10device_ptrIjEEEEPS5_m9comp_mod3IjEEE10hipError_tT0_T1_T2_jT3_P12ihipStream_tbPNSt15iterator_traitsISJ_E10value_typeEPNSP_ISK_E10value_typeEPSL_NS1_7vsmem_tEENKUlT_SJ_SK_SL_E_clISE_PjSF_SF_EESI_SY_SJ_SK_SL_EUlSY_E_NS1_11comp_targetILNS1_3genE4ELNS1_11target_archE910ELNS1_3gpuE8ELNS1_3repE0EEENS1_48merge_mergepath_partition_config_static_selectorELNS0_4arch9wavefront6targetE0EEEvSK_.num_named_barrier, 0
	.set _ZN7rocprim17ROCPRIM_400000_NS6detail17trampoline_kernelINS0_14default_configENS1_38merge_sort_block_merge_config_selectorIjNS0_10empty_typeEEEZZNS1_27merge_sort_block_merge_implIS3_N6thrust23THRUST_200600_302600_NS6detail15normal_iteratorINS9_10device_ptrIjEEEEPS5_m9comp_mod3IjEEE10hipError_tT0_T1_T2_jT3_P12ihipStream_tbPNSt15iterator_traitsISJ_E10value_typeEPNSP_ISK_E10value_typeEPSL_NS1_7vsmem_tEENKUlT_SJ_SK_SL_E_clISE_PjSF_SF_EESI_SY_SJ_SK_SL_EUlSY_E_NS1_11comp_targetILNS1_3genE4ELNS1_11target_archE910ELNS1_3gpuE8ELNS1_3repE0EEENS1_48merge_mergepath_partition_config_static_selectorELNS0_4arch9wavefront6targetE0EEEvSK_.private_seg_size, 0
	.set _ZN7rocprim17ROCPRIM_400000_NS6detail17trampoline_kernelINS0_14default_configENS1_38merge_sort_block_merge_config_selectorIjNS0_10empty_typeEEEZZNS1_27merge_sort_block_merge_implIS3_N6thrust23THRUST_200600_302600_NS6detail15normal_iteratorINS9_10device_ptrIjEEEEPS5_m9comp_mod3IjEEE10hipError_tT0_T1_T2_jT3_P12ihipStream_tbPNSt15iterator_traitsISJ_E10value_typeEPNSP_ISK_E10value_typeEPSL_NS1_7vsmem_tEENKUlT_SJ_SK_SL_E_clISE_PjSF_SF_EESI_SY_SJ_SK_SL_EUlSY_E_NS1_11comp_targetILNS1_3genE4ELNS1_11target_archE910ELNS1_3gpuE8ELNS1_3repE0EEENS1_48merge_mergepath_partition_config_static_selectorELNS0_4arch9wavefront6targetE0EEEvSK_.uses_vcc, 0
	.set _ZN7rocprim17ROCPRIM_400000_NS6detail17trampoline_kernelINS0_14default_configENS1_38merge_sort_block_merge_config_selectorIjNS0_10empty_typeEEEZZNS1_27merge_sort_block_merge_implIS3_N6thrust23THRUST_200600_302600_NS6detail15normal_iteratorINS9_10device_ptrIjEEEEPS5_m9comp_mod3IjEEE10hipError_tT0_T1_T2_jT3_P12ihipStream_tbPNSt15iterator_traitsISJ_E10value_typeEPNSP_ISK_E10value_typeEPSL_NS1_7vsmem_tEENKUlT_SJ_SK_SL_E_clISE_PjSF_SF_EESI_SY_SJ_SK_SL_EUlSY_E_NS1_11comp_targetILNS1_3genE4ELNS1_11target_archE910ELNS1_3gpuE8ELNS1_3repE0EEENS1_48merge_mergepath_partition_config_static_selectorELNS0_4arch9wavefront6targetE0EEEvSK_.uses_flat_scratch, 0
	.set _ZN7rocprim17ROCPRIM_400000_NS6detail17trampoline_kernelINS0_14default_configENS1_38merge_sort_block_merge_config_selectorIjNS0_10empty_typeEEEZZNS1_27merge_sort_block_merge_implIS3_N6thrust23THRUST_200600_302600_NS6detail15normal_iteratorINS9_10device_ptrIjEEEEPS5_m9comp_mod3IjEEE10hipError_tT0_T1_T2_jT3_P12ihipStream_tbPNSt15iterator_traitsISJ_E10value_typeEPNSP_ISK_E10value_typeEPSL_NS1_7vsmem_tEENKUlT_SJ_SK_SL_E_clISE_PjSF_SF_EESI_SY_SJ_SK_SL_EUlSY_E_NS1_11comp_targetILNS1_3genE4ELNS1_11target_archE910ELNS1_3gpuE8ELNS1_3repE0EEENS1_48merge_mergepath_partition_config_static_selectorELNS0_4arch9wavefront6targetE0EEEvSK_.has_dyn_sized_stack, 0
	.set _ZN7rocprim17ROCPRIM_400000_NS6detail17trampoline_kernelINS0_14default_configENS1_38merge_sort_block_merge_config_selectorIjNS0_10empty_typeEEEZZNS1_27merge_sort_block_merge_implIS3_N6thrust23THRUST_200600_302600_NS6detail15normal_iteratorINS9_10device_ptrIjEEEEPS5_m9comp_mod3IjEEE10hipError_tT0_T1_T2_jT3_P12ihipStream_tbPNSt15iterator_traitsISJ_E10value_typeEPNSP_ISK_E10value_typeEPSL_NS1_7vsmem_tEENKUlT_SJ_SK_SL_E_clISE_PjSF_SF_EESI_SY_SJ_SK_SL_EUlSY_E_NS1_11comp_targetILNS1_3genE4ELNS1_11target_archE910ELNS1_3gpuE8ELNS1_3repE0EEENS1_48merge_mergepath_partition_config_static_selectorELNS0_4arch9wavefront6targetE0EEEvSK_.has_recursion, 0
	.set _ZN7rocprim17ROCPRIM_400000_NS6detail17trampoline_kernelINS0_14default_configENS1_38merge_sort_block_merge_config_selectorIjNS0_10empty_typeEEEZZNS1_27merge_sort_block_merge_implIS3_N6thrust23THRUST_200600_302600_NS6detail15normal_iteratorINS9_10device_ptrIjEEEEPS5_m9comp_mod3IjEEE10hipError_tT0_T1_T2_jT3_P12ihipStream_tbPNSt15iterator_traitsISJ_E10value_typeEPNSP_ISK_E10value_typeEPSL_NS1_7vsmem_tEENKUlT_SJ_SK_SL_E_clISE_PjSF_SF_EESI_SY_SJ_SK_SL_EUlSY_E_NS1_11comp_targetILNS1_3genE4ELNS1_11target_archE910ELNS1_3gpuE8ELNS1_3repE0EEENS1_48merge_mergepath_partition_config_static_selectorELNS0_4arch9wavefront6targetE0EEEvSK_.has_indirect_call, 0
	.section	.AMDGPU.csdata,"",@progbits
; Kernel info:
; codeLenInByte = 0
; TotalNumSgprs: 0
; NumVgprs: 0
; ScratchSize: 0
; MemoryBound: 0
; FloatMode: 240
; IeeeMode: 1
; LDSByteSize: 0 bytes/workgroup (compile time only)
; SGPRBlocks: 0
; VGPRBlocks: 0
; NumSGPRsForWavesPerEU: 1
; NumVGPRsForWavesPerEU: 1
; Occupancy: 16
; WaveLimiterHint : 0
; COMPUTE_PGM_RSRC2:SCRATCH_EN: 0
; COMPUTE_PGM_RSRC2:USER_SGPR: 6
; COMPUTE_PGM_RSRC2:TRAP_HANDLER: 0
; COMPUTE_PGM_RSRC2:TGID_X_EN: 1
; COMPUTE_PGM_RSRC2:TGID_Y_EN: 0
; COMPUTE_PGM_RSRC2:TGID_Z_EN: 0
; COMPUTE_PGM_RSRC2:TIDIG_COMP_CNT: 0
	.section	.text._ZN7rocprim17ROCPRIM_400000_NS6detail17trampoline_kernelINS0_14default_configENS1_38merge_sort_block_merge_config_selectorIjNS0_10empty_typeEEEZZNS1_27merge_sort_block_merge_implIS3_N6thrust23THRUST_200600_302600_NS6detail15normal_iteratorINS9_10device_ptrIjEEEEPS5_m9comp_mod3IjEEE10hipError_tT0_T1_T2_jT3_P12ihipStream_tbPNSt15iterator_traitsISJ_E10value_typeEPNSP_ISK_E10value_typeEPSL_NS1_7vsmem_tEENKUlT_SJ_SK_SL_E_clISE_PjSF_SF_EESI_SY_SJ_SK_SL_EUlSY_E_NS1_11comp_targetILNS1_3genE3ELNS1_11target_archE908ELNS1_3gpuE7ELNS1_3repE0EEENS1_48merge_mergepath_partition_config_static_selectorELNS0_4arch9wavefront6targetE0EEEvSK_,"axG",@progbits,_ZN7rocprim17ROCPRIM_400000_NS6detail17trampoline_kernelINS0_14default_configENS1_38merge_sort_block_merge_config_selectorIjNS0_10empty_typeEEEZZNS1_27merge_sort_block_merge_implIS3_N6thrust23THRUST_200600_302600_NS6detail15normal_iteratorINS9_10device_ptrIjEEEEPS5_m9comp_mod3IjEEE10hipError_tT0_T1_T2_jT3_P12ihipStream_tbPNSt15iterator_traitsISJ_E10value_typeEPNSP_ISK_E10value_typeEPSL_NS1_7vsmem_tEENKUlT_SJ_SK_SL_E_clISE_PjSF_SF_EESI_SY_SJ_SK_SL_EUlSY_E_NS1_11comp_targetILNS1_3genE3ELNS1_11target_archE908ELNS1_3gpuE7ELNS1_3repE0EEENS1_48merge_mergepath_partition_config_static_selectorELNS0_4arch9wavefront6targetE0EEEvSK_,comdat
	.protected	_ZN7rocprim17ROCPRIM_400000_NS6detail17trampoline_kernelINS0_14default_configENS1_38merge_sort_block_merge_config_selectorIjNS0_10empty_typeEEEZZNS1_27merge_sort_block_merge_implIS3_N6thrust23THRUST_200600_302600_NS6detail15normal_iteratorINS9_10device_ptrIjEEEEPS5_m9comp_mod3IjEEE10hipError_tT0_T1_T2_jT3_P12ihipStream_tbPNSt15iterator_traitsISJ_E10value_typeEPNSP_ISK_E10value_typeEPSL_NS1_7vsmem_tEENKUlT_SJ_SK_SL_E_clISE_PjSF_SF_EESI_SY_SJ_SK_SL_EUlSY_E_NS1_11comp_targetILNS1_3genE3ELNS1_11target_archE908ELNS1_3gpuE7ELNS1_3repE0EEENS1_48merge_mergepath_partition_config_static_selectorELNS0_4arch9wavefront6targetE0EEEvSK_ ; -- Begin function _ZN7rocprim17ROCPRIM_400000_NS6detail17trampoline_kernelINS0_14default_configENS1_38merge_sort_block_merge_config_selectorIjNS0_10empty_typeEEEZZNS1_27merge_sort_block_merge_implIS3_N6thrust23THRUST_200600_302600_NS6detail15normal_iteratorINS9_10device_ptrIjEEEEPS5_m9comp_mod3IjEEE10hipError_tT0_T1_T2_jT3_P12ihipStream_tbPNSt15iterator_traitsISJ_E10value_typeEPNSP_ISK_E10value_typeEPSL_NS1_7vsmem_tEENKUlT_SJ_SK_SL_E_clISE_PjSF_SF_EESI_SY_SJ_SK_SL_EUlSY_E_NS1_11comp_targetILNS1_3genE3ELNS1_11target_archE908ELNS1_3gpuE7ELNS1_3repE0EEENS1_48merge_mergepath_partition_config_static_selectorELNS0_4arch9wavefront6targetE0EEEvSK_
	.globl	_ZN7rocprim17ROCPRIM_400000_NS6detail17trampoline_kernelINS0_14default_configENS1_38merge_sort_block_merge_config_selectorIjNS0_10empty_typeEEEZZNS1_27merge_sort_block_merge_implIS3_N6thrust23THRUST_200600_302600_NS6detail15normal_iteratorINS9_10device_ptrIjEEEEPS5_m9comp_mod3IjEEE10hipError_tT0_T1_T2_jT3_P12ihipStream_tbPNSt15iterator_traitsISJ_E10value_typeEPNSP_ISK_E10value_typeEPSL_NS1_7vsmem_tEENKUlT_SJ_SK_SL_E_clISE_PjSF_SF_EESI_SY_SJ_SK_SL_EUlSY_E_NS1_11comp_targetILNS1_3genE3ELNS1_11target_archE908ELNS1_3gpuE7ELNS1_3repE0EEENS1_48merge_mergepath_partition_config_static_selectorELNS0_4arch9wavefront6targetE0EEEvSK_
	.p2align	8
	.type	_ZN7rocprim17ROCPRIM_400000_NS6detail17trampoline_kernelINS0_14default_configENS1_38merge_sort_block_merge_config_selectorIjNS0_10empty_typeEEEZZNS1_27merge_sort_block_merge_implIS3_N6thrust23THRUST_200600_302600_NS6detail15normal_iteratorINS9_10device_ptrIjEEEEPS5_m9comp_mod3IjEEE10hipError_tT0_T1_T2_jT3_P12ihipStream_tbPNSt15iterator_traitsISJ_E10value_typeEPNSP_ISK_E10value_typeEPSL_NS1_7vsmem_tEENKUlT_SJ_SK_SL_E_clISE_PjSF_SF_EESI_SY_SJ_SK_SL_EUlSY_E_NS1_11comp_targetILNS1_3genE3ELNS1_11target_archE908ELNS1_3gpuE7ELNS1_3repE0EEENS1_48merge_mergepath_partition_config_static_selectorELNS0_4arch9wavefront6targetE0EEEvSK_,@function
_ZN7rocprim17ROCPRIM_400000_NS6detail17trampoline_kernelINS0_14default_configENS1_38merge_sort_block_merge_config_selectorIjNS0_10empty_typeEEEZZNS1_27merge_sort_block_merge_implIS3_N6thrust23THRUST_200600_302600_NS6detail15normal_iteratorINS9_10device_ptrIjEEEEPS5_m9comp_mod3IjEEE10hipError_tT0_T1_T2_jT3_P12ihipStream_tbPNSt15iterator_traitsISJ_E10value_typeEPNSP_ISK_E10value_typeEPSL_NS1_7vsmem_tEENKUlT_SJ_SK_SL_E_clISE_PjSF_SF_EESI_SY_SJ_SK_SL_EUlSY_E_NS1_11comp_targetILNS1_3genE3ELNS1_11target_archE908ELNS1_3gpuE7ELNS1_3repE0EEENS1_48merge_mergepath_partition_config_static_selectorELNS0_4arch9wavefront6targetE0EEEvSK_: ; @_ZN7rocprim17ROCPRIM_400000_NS6detail17trampoline_kernelINS0_14default_configENS1_38merge_sort_block_merge_config_selectorIjNS0_10empty_typeEEEZZNS1_27merge_sort_block_merge_implIS3_N6thrust23THRUST_200600_302600_NS6detail15normal_iteratorINS9_10device_ptrIjEEEEPS5_m9comp_mod3IjEEE10hipError_tT0_T1_T2_jT3_P12ihipStream_tbPNSt15iterator_traitsISJ_E10value_typeEPNSP_ISK_E10value_typeEPSL_NS1_7vsmem_tEENKUlT_SJ_SK_SL_E_clISE_PjSF_SF_EESI_SY_SJ_SK_SL_EUlSY_E_NS1_11comp_targetILNS1_3genE3ELNS1_11target_archE908ELNS1_3gpuE7ELNS1_3repE0EEENS1_48merge_mergepath_partition_config_static_selectorELNS0_4arch9wavefront6targetE0EEEvSK_
; %bb.0:
	.section	.rodata,"a",@progbits
	.p2align	6, 0x0
	.amdhsa_kernel _ZN7rocprim17ROCPRIM_400000_NS6detail17trampoline_kernelINS0_14default_configENS1_38merge_sort_block_merge_config_selectorIjNS0_10empty_typeEEEZZNS1_27merge_sort_block_merge_implIS3_N6thrust23THRUST_200600_302600_NS6detail15normal_iteratorINS9_10device_ptrIjEEEEPS5_m9comp_mod3IjEEE10hipError_tT0_T1_T2_jT3_P12ihipStream_tbPNSt15iterator_traitsISJ_E10value_typeEPNSP_ISK_E10value_typeEPSL_NS1_7vsmem_tEENKUlT_SJ_SK_SL_E_clISE_PjSF_SF_EESI_SY_SJ_SK_SL_EUlSY_E_NS1_11comp_targetILNS1_3genE3ELNS1_11target_archE908ELNS1_3gpuE7ELNS1_3repE0EEENS1_48merge_mergepath_partition_config_static_selectorELNS0_4arch9wavefront6targetE0EEEvSK_
		.amdhsa_group_segment_fixed_size 0
		.amdhsa_private_segment_fixed_size 0
		.amdhsa_kernarg_size 48
		.amdhsa_user_sgpr_count 6
		.amdhsa_user_sgpr_private_segment_buffer 1
		.amdhsa_user_sgpr_dispatch_ptr 0
		.amdhsa_user_sgpr_queue_ptr 0
		.amdhsa_user_sgpr_kernarg_segment_ptr 1
		.amdhsa_user_sgpr_dispatch_id 0
		.amdhsa_user_sgpr_flat_scratch_init 0
		.amdhsa_user_sgpr_private_segment_size 0
		.amdhsa_wavefront_size32 1
		.amdhsa_uses_dynamic_stack 0
		.amdhsa_system_sgpr_private_segment_wavefront_offset 0
		.amdhsa_system_sgpr_workgroup_id_x 1
		.amdhsa_system_sgpr_workgroup_id_y 0
		.amdhsa_system_sgpr_workgroup_id_z 0
		.amdhsa_system_sgpr_workgroup_info 0
		.amdhsa_system_vgpr_workitem_id 0
		.amdhsa_next_free_vgpr 1
		.amdhsa_next_free_sgpr 1
		.amdhsa_reserve_vcc 0
		.amdhsa_reserve_flat_scratch 0
		.amdhsa_float_round_mode_32 0
		.amdhsa_float_round_mode_16_64 0
		.amdhsa_float_denorm_mode_32 3
		.amdhsa_float_denorm_mode_16_64 3
		.amdhsa_dx10_clamp 1
		.amdhsa_ieee_mode 1
		.amdhsa_fp16_overflow 0
		.amdhsa_workgroup_processor_mode 1
		.amdhsa_memory_ordered 1
		.amdhsa_forward_progress 1
		.amdhsa_shared_vgpr_count 0
		.amdhsa_exception_fp_ieee_invalid_op 0
		.amdhsa_exception_fp_denorm_src 0
		.amdhsa_exception_fp_ieee_div_zero 0
		.amdhsa_exception_fp_ieee_overflow 0
		.amdhsa_exception_fp_ieee_underflow 0
		.amdhsa_exception_fp_ieee_inexact 0
		.amdhsa_exception_int_div_zero 0
	.end_amdhsa_kernel
	.section	.text._ZN7rocprim17ROCPRIM_400000_NS6detail17trampoline_kernelINS0_14default_configENS1_38merge_sort_block_merge_config_selectorIjNS0_10empty_typeEEEZZNS1_27merge_sort_block_merge_implIS3_N6thrust23THRUST_200600_302600_NS6detail15normal_iteratorINS9_10device_ptrIjEEEEPS5_m9comp_mod3IjEEE10hipError_tT0_T1_T2_jT3_P12ihipStream_tbPNSt15iterator_traitsISJ_E10value_typeEPNSP_ISK_E10value_typeEPSL_NS1_7vsmem_tEENKUlT_SJ_SK_SL_E_clISE_PjSF_SF_EESI_SY_SJ_SK_SL_EUlSY_E_NS1_11comp_targetILNS1_3genE3ELNS1_11target_archE908ELNS1_3gpuE7ELNS1_3repE0EEENS1_48merge_mergepath_partition_config_static_selectorELNS0_4arch9wavefront6targetE0EEEvSK_,"axG",@progbits,_ZN7rocprim17ROCPRIM_400000_NS6detail17trampoline_kernelINS0_14default_configENS1_38merge_sort_block_merge_config_selectorIjNS0_10empty_typeEEEZZNS1_27merge_sort_block_merge_implIS3_N6thrust23THRUST_200600_302600_NS6detail15normal_iteratorINS9_10device_ptrIjEEEEPS5_m9comp_mod3IjEEE10hipError_tT0_T1_T2_jT3_P12ihipStream_tbPNSt15iterator_traitsISJ_E10value_typeEPNSP_ISK_E10value_typeEPSL_NS1_7vsmem_tEENKUlT_SJ_SK_SL_E_clISE_PjSF_SF_EESI_SY_SJ_SK_SL_EUlSY_E_NS1_11comp_targetILNS1_3genE3ELNS1_11target_archE908ELNS1_3gpuE7ELNS1_3repE0EEENS1_48merge_mergepath_partition_config_static_selectorELNS0_4arch9wavefront6targetE0EEEvSK_,comdat
.Lfunc_end844:
	.size	_ZN7rocprim17ROCPRIM_400000_NS6detail17trampoline_kernelINS0_14default_configENS1_38merge_sort_block_merge_config_selectorIjNS0_10empty_typeEEEZZNS1_27merge_sort_block_merge_implIS3_N6thrust23THRUST_200600_302600_NS6detail15normal_iteratorINS9_10device_ptrIjEEEEPS5_m9comp_mod3IjEEE10hipError_tT0_T1_T2_jT3_P12ihipStream_tbPNSt15iterator_traitsISJ_E10value_typeEPNSP_ISK_E10value_typeEPSL_NS1_7vsmem_tEENKUlT_SJ_SK_SL_E_clISE_PjSF_SF_EESI_SY_SJ_SK_SL_EUlSY_E_NS1_11comp_targetILNS1_3genE3ELNS1_11target_archE908ELNS1_3gpuE7ELNS1_3repE0EEENS1_48merge_mergepath_partition_config_static_selectorELNS0_4arch9wavefront6targetE0EEEvSK_, .Lfunc_end844-_ZN7rocprim17ROCPRIM_400000_NS6detail17trampoline_kernelINS0_14default_configENS1_38merge_sort_block_merge_config_selectorIjNS0_10empty_typeEEEZZNS1_27merge_sort_block_merge_implIS3_N6thrust23THRUST_200600_302600_NS6detail15normal_iteratorINS9_10device_ptrIjEEEEPS5_m9comp_mod3IjEEE10hipError_tT0_T1_T2_jT3_P12ihipStream_tbPNSt15iterator_traitsISJ_E10value_typeEPNSP_ISK_E10value_typeEPSL_NS1_7vsmem_tEENKUlT_SJ_SK_SL_E_clISE_PjSF_SF_EESI_SY_SJ_SK_SL_EUlSY_E_NS1_11comp_targetILNS1_3genE3ELNS1_11target_archE908ELNS1_3gpuE7ELNS1_3repE0EEENS1_48merge_mergepath_partition_config_static_selectorELNS0_4arch9wavefront6targetE0EEEvSK_
                                        ; -- End function
	.set _ZN7rocprim17ROCPRIM_400000_NS6detail17trampoline_kernelINS0_14default_configENS1_38merge_sort_block_merge_config_selectorIjNS0_10empty_typeEEEZZNS1_27merge_sort_block_merge_implIS3_N6thrust23THRUST_200600_302600_NS6detail15normal_iteratorINS9_10device_ptrIjEEEEPS5_m9comp_mod3IjEEE10hipError_tT0_T1_T2_jT3_P12ihipStream_tbPNSt15iterator_traitsISJ_E10value_typeEPNSP_ISK_E10value_typeEPSL_NS1_7vsmem_tEENKUlT_SJ_SK_SL_E_clISE_PjSF_SF_EESI_SY_SJ_SK_SL_EUlSY_E_NS1_11comp_targetILNS1_3genE3ELNS1_11target_archE908ELNS1_3gpuE7ELNS1_3repE0EEENS1_48merge_mergepath_partition_config_static_selectorELNS0_4arch9wavefront6targetE0EEEvSK_.num_vgpr, 0
	.set _ZN7rocprim17ROCPRIM_400000_NS6detail17trampoline_kernelINS0_14default_configENS1_38merge_sort_block_merge_config_selectorIjNS0_10empty_typeEEEZZNS1_27merge_sort_block_merge_implIS3_N6thrust23THRUST_200600_302600_NS6detail15normal_iteratorINS9_10device_ptrIjEEEEPS5_m9comp_mod3IjEEE10hipError_tT0_T1_T2_jT3_P12ihipStream_tbPNSt15iterator_traitsISJ_E10value_typeEPNSP_ISK_E10value_typeEPSL_NS1_7vsmem_tEENKUlT_SJ_SK_SL_E_clISE_PjSF_SF_EESI_SY_SJ_SK_SL_EUlSY_E_NS1_11comp_targetILNS1_3genE3ELNS1_11target_archE908ELNS1_3gpuE7ELNS1_3repE0EEENS1_48merge_mergepath_partition_config_static_selectorELNS0_4arch9wavefront6targetE0EEEvSK_.num_agpr, 0
	.set _ZN7rocprim17ROCPRIM_400000_NS6detail17trampoline_kernelINS0_14default_configENS1_38merge_sort_block_merge_config_selectorIjNS0_10empty_typeEEEZZNS1_27merge_sort_block_merge_implIS3_N6thrust23THRUST_200600_302600_NS6detail15normal_iteratorINS9_10device_ptrIjEEEEPS5_m9comp_mod3IjEEE10hipError_tT0_T1_T2_jT3_P12ihipStream_tbPNSt15iterator_traitsISJ_E10value_typeEPNSP_ISK_E10value_typeEPSL_NS1_7vsmem_tEENKUlT_SJ_SK_SL_E_clISE_PjSF_SF_EESI_SY_SJ_SK_SL_EUlSY_E_NS1_11comp_targetILNS1_3genE3ELNS1_11target_archE908ELNS1_3gpuE7ELNS1_3repE0EEENS1_48merge_mergepath_partition_config_static_selectorELNS0_4arch9wavefront6targetE0EEEvSK_.numbered_sgpr, 0
	.set _ZN7rocprim17ROCPRIM_400000_NS6detail17trampoline_kernelINS0_14default_configENS1_38merge_sort_block_merge_config_selectorIjNS0_10empty_typeEEEZZNS1_27merge_sort_block_merge_implIS3_N6thrust23THRUST_200600_302600_NS6detail15normal_iteratorINS9_10device_ptrIjEEEEPS5_m9comp_mod3IjEEE10hipError_tT0_T1_T2_jT3_P12ihipStream_tbPNSt15iterator_traitsISJ_E10value_typeEPNSP_ISK_E10value_typeEPSL_NS1_7vsmem_tEENKUlT_SJ_SK_SL_E_clISE_PjSF_SF_EESI_SY_SJ_SK_SL_EUlSY_E_NS1_11comp_targetILNS1_3genE3ELNS1_11target_archE908ELNS1_3gpuE7ELNS1_3repE0EEENS1_48merge_mergepath_partition_config_static_selectorELNS0_4arch9wavefront6targetE0EEEvSK_.num_named_barrier, 0
	.set _ZN7rocprim17ROCPRIM_400000_NS6detail17trampoline_kernelINS0_14default_configENS1_38merge_sort_block_merge_config_selectorIjNS0_10empty_typeEEEZZNS1_27merge_sort_block_merge_implIS3_N6thrust23THRUST_200600_302600_NS6detail15normal_iteratorINS9_10device_ptrIjEEEEPS5_m9comp_mod3IjEEE10hipError_tT0_T1_T2_jT3_P12ihipStream_tbPNSt15iterator_traitsISJ_E10value_typeEPNSP_ISK_E10value_typeEPSL_NS1_7vsmem_tEENKUlT_SJ_SK_SL_E_clISE_PjSF_SF_EESI_SY_SJ_SK_SL_EUlSY_E_NS1_11comp_targetILNS1_3genE3ELNS1_11target_archE908ELNS1_3gpuE7ELNS1_3repE0EEENS1_48merge_mergepath_partition_config_static_selectorELNS0_4arch9wavefront6targetE0EEEvSK_.private_seg_size, 0
	.set _ZN7rocprim17ROCPRIM_400000_NS6detail17trampoline_kernelINS0_14default_configENS1_38merge_sort_block_merge_config_selectorIjNS0_10empty_typeEEEZZNS1_27merge_sort_block_merge_implIS3_N6thrust23THRUST_200600_302600_NS6detail15normal_iteratorINS9_10device_ptrIjEEEEPS5_m9comp_mod3IjEEE10hipError_tT0_T1_T2_jT3_P12ihipStream_tbPNSt15iterator_traitsISJ_E10value_typeEPNSP_ISK_E10value_typeEPSL_NS1_7vsmem_tEENKUlT_SJ_SK_SL_E_clISE_PjSF_SF_EESI_SY_SJ_SK_SL_EUlSY_E_NS1_11comp_targetILNS1_3genE3ELNS1_11target_archE908ELNS1_3gpuE7ELNS1_3repE0EEENS1_48merge_mergepath_partition_config_static_selectorELNS0_4arch9wavefront6targetE0EEEvSK_.uses_vcc, 0
	.set _ZN7rocprim17ROCPRIM_400000_NS6detail17trampoline_kernelINS0_14default_configENS1_38merge_sort_block_merge_config_selectorIjNS0_10empty_typeEEEZZNS1_27merge_sort_block_merge_implIS3_N6thrust23THRUST_200600_302600_NS6detail15normal_iteratorINS9_10device_ptrIjEEEEPS5_m9comp_mod3IjEEE10hipError_tT0_T1_T2_jT3_P12ihipStream_tbPNSt15iterator_traitsISJ_E10value_typeEPNSP_ISK_E10value_typeEPSL_NS1_7vsmem_tEENKUlT_SJ_SK_SL_E_clISE_PjSF_SF_EESI_SY_SJ_SK_SL_EUlSY_E_NS1_11comp_targetILNS1_3genE3ELNS1_11target_archE908ELNS1_3gpuE7ELNS1_3repE0EEENS1_48merge_mergepath_partition_config_static_selectorELNS0_4arch9wavefront6targetE0EEEvSK_.uses_flat_scratch, 0
	.set _ZN7rocprim17ROCPRIM_400000_NS6detail17trampoline_kernelINS0_14default_configENS1_38merge_sort_block_merge_config_selectorIjNS0_10empty_typeEEEZZNS1_27merge_sort_block_merge_implIS3_N6thrust23THRUST_200600_302600_NS6detail15normal_iteratorINS9_10device_ptrIjEEEEPS5_m9comp_mod3IjEEE10hipError_tT0_T1_T2_jT3_P12ihipStream_tbPNSt15iterator_traitsISJ_E10value_typeEPNSP_ISK_E10value_typeEPSL_NS1_7vsmem_tEENKUlT_SJ_SK_SL_E_clISE_PjSF_SF_EESI_SY_SJ_SK_SL_EUlSY_E_NS1_11comp_targetILNS1_3genE3ELNS1_11target_archE908ELNS1_3gpuE7ELNS1_3repE0EEENS1_48merge_mergepath_partition_config_static_selectorELNS0_4arch9wavefront6targetE0EEEvSK_.has_dyn_sized_stack, 0
	.set _ZN7rocprim17ROCPRIM_400000_NS6detail17trampoline_kernelINS0_14default_configENS1_38merge_sort_block_merge_config_selectorIjNS0_10empty_typeEEEZZNS1_27merge_sort_block_merge_implIS3_N6thrust23THRUST_200600_302600_NS6detail15normal_iteratorINS9_10device_ptrIjEEEEPS5_m9comp_mod3IjEEE10hipError_tT0_T1_T2_jT3_P12ihipStream_tbPNSt15iterator_traitsISJ_E10value_typeEPNSP_ISK_E10value_typeEPSL_NS1_7vsmem_tEENKUlT_SJ_SK_SL_E_clISE_PjSF_SF_EESI_SY_SJ_SK_SL_EUlSY_E_NS1_11comp_targetILNS1_3genE3ELNS1_11target_archE908ELNS1_3gpuE7ELNS1_3repE0EEENS1_48merge_mergepath_partition_config_static_selectorELNS0_4arch9wavefront6targetE0EEEvSK_.has_recursion, 0
	.set _ZN7rocprim17ROCPRIM_400000_NS6detail17trampoline_kernelINS0_14default_configENS1_38merge_sort_block_merge_config_selectorIjNS0_10empty_typeEEEZZNS1_27merge_sort_block_merge_implIS3_N6thrust23THRUST_200600_302600_NS6detail15normal_iteratorINS9_10device_ptrIjEEEEPS5_m9comp_mod3IjEEE10hipError_tT0_T1_T2_jT3_P12ihipStream_tbPNSt15iterator_traitsISJ_E10value_typeEPNSP_ISK_E10value_typeEPSL_NS1_7vsmem_tEENKUlT_SJ_SK_SL_E_clISE_PjSF_SF_EESI_SY_SJ_SK_SL_EUlSY_E_NS1_11comp_targetILNS1_3genE3ELNS1_11target_archE908ELNS1_3gpuE7ELNS1_3repE0EEENS1_48merge_mergepath_partition_config_static_selectorELNS0_4arch9wavefront6targetE0EEEvSK_.has_indirect_call, 0
	.section	.AMDGPU.csdata,"",@progbits
; Kernel info:
; codeLenInByte = 0
; TotalNumSgprs: 0
; NumVgprs: 0
; ScratchSize: 0
; MemoryBound: 0
; FloatMode: 240
; IeeeMode: 1
; LDSByteSize: 0 bytes/workgroup (compile time only)
; SGPRBlocks: 0
; VGPRBlocks: 0
; NumSGPRsForWavesPerEU: 1
; NumVGPRsForWavesPerEU: 1
; Occupancy: 16
; WaveLimiterHint : 0
; COMPUTE_PGM_RSRC2:SCRATCH_EN: 0
; COMPUTE_PGM_RSRC2:USER_SGPR: 6
; COMPUTE_PGM_RSRC2:TRAP_HANDLER: 0
; COMPUTE_PGM_RSRC2:TGID_X_EN: 1
; COMPUTE_PGM_RSRC2:TGID_Y_EN: 0
; COMPUTE_PGM_RSRC2:TGID_Z_EN: 0
; COMPUTE_PGM_RSRC2:TIDIG_COMP_CNT: 0
	.section	.text._ZN7rocprim17ROCPRIM_400000_NS6detail17trampoline_kernelINS0_14default_configENS1_38merge_sort_block_merge_config_selectorIjNS0_10empty_typeEEEZZNS1_27merge_sort_block_merge_implIS3_N6thrust23THRUST_200600_302600_NS6detail15normal_iteratorINS9_10device_ptrIjEEEEPS5_m9comp_mod3IjEEE10hipError_tT0_T1_T2_jT3_P12ihipStream_tbPNSt15iterator_traitsISJ_E10value_typeEPNSP_ISK_E10value_typeEPSL_NS1_7vsmem_tEENKUlT_SJ_SK_SL_E_clISE_PjSF_SF_EESI_SY_SJ_SK_SL_EUlSY_E_NS1_11comp_targetILNS1_3genE2ELNS1_11target_archE906ELNS1_3gpuE6ELNS1_3repE0EEENS1_48merge_mergepath_partition_config_static_selectorELNS0_4arch9wavefront6targetE0EEEvSK_,"axG",@progbits,_ZN7rocprim17ROCPRIM_400000_NS6detail17trampoline_kernelINS0_14default_configENS1_38merge_sort_block_merge_config_selectorIjNS0_10empty_typeEEEZZNS1_27merge_sort_block_merge_implIS3_N6thrust23THRUST_200600_302600_NS6detail15normal_iteratorINS9_10device_ptrIjEEEEPS5_m9comp_mod3IjEEE10hipError_tT0_T1_T2_jT3_P12ihipStream_tbPNSt15iterator_traitsISJ_E10value_typeEPNSP_ISK_E10value_typeEPSL_NS1_7vsmem_tEENKUlT_SJ_SK_SL_E_clISE_PjSF_SF_EESI_SY_SJ_SK_SL_EUlSY_E_NS1_11comp_targetILNS1_3genE2ELNS1_11target_archE906ELNS1_3gpuE6ELNS1_3repE0EEENS1_48merge_mergepath_partition_config_static_selectorELNS0_4arch9wavefront6targetE0EEEvSK_,comdat
	.protected	_ZN7rocprim17ROCPRIM_400000_NS6detail17trampoline_kernelINS0_14default_configENS1_38merge_sort_block_merge_config_selectorIjNS0_10empty_typeEEEZZNS1_27merge_sort_block_merge_implIS3_N6thrust23THRUST_200600_302600_NS6detail15normal_iteratorINS9_10device_ptrIjEEEEPS5_m9comp_mod3IjEEE10hipError_tT0_T1_T2_jT3_P12ihipStream_tbPNSt15iterator_traitsISJ_E10value_typeEPNSP_ISK_E10value_typeEPSL_NS1_7vsmem_tEENKUlT_SJ_SK_SL_E_clISE_PjSF_SF_EESI_SY_SJ_SK_SL_EUlSY_E_NS1_11comp_targetILNS1_3genE2ELNS1_11target_archE906ELNS1_3gpuE6ELNS1_3repE0EEENS1_48merge_mergepath_partition_config_static_selectorELNS0_4arch9wavefront6targetE0EEEvSK_ ; -- Begin function _ZN7rocprim17ROCPRIM_400000_NS6detail17trampoline_kernelINS0_14default_configENS1_38merge_sort_block_merge_config_selectorIjNS0_10empty_typeEEEZZNS1_27merge_sort_block_merge_implIS3_N6thrust23THRUST_200600_302600_NS6detail15normal_iteratorINS9_10device_ptrIjEEEEPS5_m9comp_mod3IjEEE10hipError_tT0_T1_T2_jT3_P12ihipStream_tbPNSt15iterator_traitsISJ_E10value_typeEPNSP_ISK_E10value_typeEPSL_NS1_7vsmem_tEENKUlT_SJ_SK_SL_E_clISE_PjSF_SF_EESI_SY_SJ_SK_SL_EUlSY_E_NS1_11comp_targetILNS1_3genE2ELNS1_11target_archE906ELNS1_3gpuE6ELNS1_3repE0EEENS1_48merge_mergepath_partition_config_static_selectorELNS0_4arch9wavefront6targetE0EEEvSK_
	.globl	_ZN7rocprim17ROCPRIM_400000_NS6detail17trampoline_kernelINS0_14default_configENS1_38merge_sort_block_merge_config_selectorIjNS0_10empty_typeEEEZZNS1_27merge_sort_block_merge_implIS3_N6thrust23THRUST_200600_302600_NS6detail15normal_iteratorINS9_10device_ptrIjEEEEPS5_m9comp_mod3IjEEE10hipError_tT0_T1_T2_jT3_P12ihipStream_tbPNSt15iterator_traitsISJ_E10value_typeEPNSP_ISK_E10value_typeEPSL_NS1_7vsmem_tEENKUlT_SJ_SK_SL_E_clISE_PjSF_SF_EESI_SY_SJ_SK_SL_EUlSY_E_NS1_11comp_targetILNS1_3genE2ELNS1_11target_archE906ELNS1_3gpuE6ELNS1_3repE0EEENS1_48merge_mergepath_partition_config_static_selectorELNS0_4arch9wavefront6targetE0EEEvSK_
	.p2align	8
	.type	_ZN7rocprim17ROCPRIM_400000_NS6detail17trampoline_kernelINS0_14default_configENS1_38merge_sort_block_merge_config_selectorIjNS0_10empty_typeEEEZZNS1_27merge_sort_block_merge_implIS3_N6thrust23THRUST_200600_302600_NS6detail15normal_iteratorINS9_10device_ptrIjEEEEPS5_m9comp_mod3IjEEE10hipError_tT0_T1_T2_jT3_P12ihipStream_tbPNSt15iterator_traitsISJ_E10value_typeEPNSP_ISK_E10value_typeEPSL_NS1_7vsmem_tEENKUlT_SJ_SK_SL_E_clISE_PjSF_SF_EESI_SY_SJ_SK_SL_EUlSY_E_NS1_11comp_targetILNS1_3genE2ELNS1_11target_archE906ELNS1_3gpuE6ELNS1_3repE0EEENS1_48merge_mergepath_partition_config_static_selectorELNS0_4arch9wavefront6targetE0EEEvSK_,@function
_ZN7rocprim17ROCPRIM_400000_NS6detail17trampoline_kernelINS0_14default_configENS1_38merge_sort_block_merge_config_selectorIjNS0_10empty_typeEEEZZNS1_27merge_sort_block_merge_implIS3_N6thrust23THRUST_200600_302600_NS6detail15normal_iteratorINS9_10device_ptrIjEEEEPS5_m9comp_mod3IjEEE10hipError_tT0_T1_T2_jT3_P12ihipStream_tbPNSt15iterator_traitsISJ_E10value_typeEPNSP_ISK_E10value_typeEPSL_NS1_7vsmem_tEENKUlT_SJ_SK_SL_E_clISE_PjSF_SF_EESI_SY_SJ_SK_SL_EUlSY_E_NS1_11comp_targetILNS1_3genE2ELNS1_11target_archE906ELNS1_3gpuE6ELNS1_3repE0EEENS1_48merge_mergepath_partition_config_static_selectorELNS0_4arch9wavefront6targetE0EEEvSK_: ; @_ZN7rocprim17ROCPRIM_400000_NS6detail17trampoline_kernelINS0_14default_configENS1_38merge_sort_block_merge_config_selectorIjNS0_10empty_typeEEEZZNS1_27merge_sort_block_merge_implIS3_N6thrust23THRUST_200600_302600_NS6detail15normal_iteratorINS9_10device_ptrIjEEEEPS5_m9comp_mod3IjEEE10hipError_tT0_T1_T2_jT3_P12ihipStream_tbPNSt15iterator_traitsISJ_E10value_typeEPNSP_ISK_E10value_typeEPSL_NS1_7vsmem_tEENKUlT_SJ_SK_SL_E_clISE_PjSF_SF_EESI_SY_SJ_SK_SL_EUlSY_E_NS1_11comp_targetILNS1_3genE2ELNS1_11target_archE906ELNS1_3gpuE6ELNS1_3repE0EEENS1_48merge_mergepath_partition_config_static_selectorELNS0_4arch9wavefront6targetE0EEEvSK_
; %bb.0:
	.section	.rodata,"a",@progbits
	.p2align	6, 0x0
	.amdhsa_kernel _ZN7rocprim17ROCPRIM_400000_NS6detail17trampoline_kernelINS0_14default_configENS1_38merge_sort_block_merge_config_selectorIjNS0_10empty_typeEEEZZNS1_27merge_sort_block_merge_implIS3_N6thrust23THRUST_200600_302600_NS6detail15normal_iteratorINS9_10device_ptrIjEEEEPS5_m9comp_mod3IjEEE10hipError_tT0_T1_T2_jT3_P12ihipStream_tbPNSt15iterator_traitsISJ_E10value_typeEPNSP_ISK_E10value_typeEPSL_NS1_7vsmem_tEENKUlT_SJ_SK_SL_E_clISE_PjSF_SF_EESI_SY_SJ_SK_SL_EUlSY_E_NS1_11comp_targetILNS1_3genE2ELNS1_11target_archE906ELNS1_3gpuE6ELNS1_3repE0EEENS1_48merge_mergepath_partition_config_static_selectorELNS0_4arch9wavefront6targetE0EEEvSK_
		.amdhsa_group_segment_fixed_size 0
		.amdhsa_private_segment_fixed_size 0
		.amdhsa_kernarg_size 48
		.amdhsa_user_sgpr_count 6
		.amdhsa_user_sgpr_private_segment_buffer 1
		.amdhsa_user_sgpr_dispatch_ptr 0
		.amdhsa_user_sgpr_queue_ptr 0
		.amdhsa_user_sgpr_kernarg_segment_ptr 1
		.amdhsa_user_sgpr_dispatch_id 0
		.amdhsa_user_sgpr_flat_scratch_init 0
		.amdhsa_user_sgpr_private_segment_size 0
		.amdhsa_wavefront_size32 1
		.amdhsa_uses_dynamic_stack 0
		.amdhsa_system_sgpr_private_segment_wavefront_offset 0
		.amdhsa_system_sgpr_workgroup_id_x 1
		.amdhsa_system_sgpr_workgroup_id_y 0
		.amdhsa_system_sgpr_workgroup_id_z 0
		.amdhsa_system_sgpr_workgroup_info 0
		.amdhsa_system_vgpr_workitem_id 0
		.amdhsa_next_free_vgpr 1
		.amdhsa_next_free_sgpr 1
		.amdhsa_reserve_vcc 0
		.amdhsa_reserve_flat_scratch 0
		.amdhsa_float_round_mode_32 0
		.amdhsa_float_round_mode_16_64 0
		.amdhsa_float_denorm_mode_32 3
		.amdhsa_float_denorm_mode_16_64 3
		.amdhsa_dx10_clamp 1
		.amdhsa_ieee_mode 1
		.amdhsa_fp16_overflow 0
		.amdhsa_workgroup_processor_mode 1
		.amdhsa_memory_ordered 1
		.amdhsa_forward_progress 1
		.amdhsa_shared_vgpr_count 0
		.amdhsa_exception_fp_ieee_invalid_op 0
		.amdhsa_exception_fp_denorm_src 0
		.amdhsa_exception_fp_ieee_div_zero 0
		.amdhsa_exception_fp_ieee_overflow 0
		.amdhsa_exception_fp_ieee_underflow 0
		.amdhsa_exception_fp_ieee_inexact 0
		.amdhsa_exception_int_div_zero 0
	.end_amdhsa_kernel
	.section	.text._ZN7rocprim17ROCPRIM_400000_NS6detail17trampoline_kernelINS0_14default_configENS1_38merge_sort_block_merge_config_selectorIjNS0_10empty_typeEEEZZNS1_27merge_sort_block_merge_implIS3_N6thrust23THRUST_200600_302600_NS6detail15normal_iteratorINS9_10device_ptrIjEEEEPS5_m9comp_mod3IjEEE10hipError_tT0_T1_T2_jT3_P12ihipStream_tbPNSt15iterator_traitsISJ_E10value_typeEPNSP_ISK_E10value_typeEPSL_NS1_7vsmem_tEENKUlT_SJ_SK_SL_E_clISE_PjSF_SF_EESI_SY_SJ_SK_SL_EUlSY_E_NS1_11comp_targetILNS1_3genE2ELNS1_11target_archE906ELNS1_3gpuE6ELNS1_3repE0EEENS1_48merge_mergepath_partition_config_static_selectorELNS0_4arch9wavefront6targetE0EEEvSK_,"axG",@progbits,_ZN7rocprim17ROCPRIM_400000_NS6detail17trampoline_kernelINS0_14default_configENS1_38merge_sort_block_merge_config_selectorIjNS0_10empty_typeEEEZZNS1_27merge_sort_block_merge_implIS3_N6thrust23THRUST_200600_302600_NS6detail15normal_iteratorINS9_10device_ptrIjEEEEPS5_m9comp_mod3IjEEE10hipError_tT0_T1_T2_jT3_P12ihipStream_tbPNSt15iterator_traitsISJ_E10value_typeEPNSP_ISK_E10value_typeEPSL_NS1_7vsmem_tEENKUlT_SJ_SK_SL_E_clISE_PjSF_SF_EESI_SY_SJ_SK_SL_EUlSY_E_NS1_11comp_targetILNS1_3genE2ELNS1_11target_archE906ELNS1_3gpuE6ELNS1_3repE0EEENS1_48merge_mergepath_partition_config_static_selectorELNS0_4arch9wavefront6targetE0EEEvSK_,comdat
.Lfunc_end845:
	.size	_ZN7rocprim17ROCPRIM_400000_NS6detail17trampoline_kernelINS0_14default_configENS1_38merge_sort_block_merge_config_selectorIjNS0_10empty_typeEEEZZNS1_27merge_sort_block_merge_implIS3_N6thrust23THRUST_200600_302600_NS6detail15normal_iteratorINS9_10device_ptrIjEEEEPS5_m9comp_mod3IjEEE10hipError_tT0_T1_T2_jT3_P12ihipStream_tbPNSt15iterator_traitsISJ_E10value_typeEPNSP_ISK_E10value_typeEPSL_NS1_7vsmem_tEENKUlT_SJ_SK_SL_E_clISE_PjSF_SF_EESI_SY_SJ_SK_SL_EUlSY_E_NS1_11comp_targetILNS1_3genE2ELNS1_11target_archE906ELNS1_3gpuE6ELNS1_3repE0EEENS1_48merge_mergepath_partition_config_static_selectorELNS0_4arch9wavefront6targetE0EEEvSK_, .Lfunc_end845-_ZN7rocprim17ROCPRIM_400000_NS6detail17trampoline_kernelINS0_14default_configENS1_38merge_sort_block_merge_config_selectorIjNS0_10empty_typeEEEZZNS1_27merge_sort_block_merge_implIS3_N6thrust23THRUST_200600_302600_NS6detail15normal_iteratorINS9_10device_ptrIjEEEEPS5_m9comp_mod3IjEEE10hipError_tT0_T1_T2_jT3_P12ihipStream_tbPNSt15iterator_traitsISJ_E10value_typeEPNSP_ISK_E10value_typeEPSL_NS1_7vsmem_tEENKUlT_SJ_SK_SL_E_clISE_PjSF_SF_EESI_SY_SJ_SK_SL_EUlSY_E_NS1_11comp_targetILNS1_3genE2ELNS1_11target_archE906ELNS1_3gpuE6ELNS1_3repE0EEENS1_48merge_mergepath_partition_config_static_selectorELNS0_4arch9wavefront6targetE0EEEvSK_
                                        ; -- End function
	.set _ZN7rocprim17ROCPRIM_400000_NS6detail17trampoline_kernelINS0_14default_configENS1_38merge_sort_block_merge_config_selectorIjNS0_10empty_typeEEEZZNS1_27merge_sort_block_merge_implIS3_N6thrust23THRUST_200600_302600_NS6detail15normal_iteratorINS9_10device_ptrIjEEEEPS5_m9comp_mod3IjEEE10hipError_tT0_T1_T2_jT3_P12ihipStream_tbPNSt15iterator_traitsISJ_E10value_typeEPNSP_ISK_E10value_typeEPSL_NS1_7vsmem_tEENKUlT_SJ_SK_SL_E_clISE_PjSF_SF_EESI_SY_SJ_SK_SL_EUlSY_E_NS1_11comp_targetILNS1_3genE2ELNS1_11target_archE906ELNS1_3gpuE6ELNS1_3repE0EEENS1_48merge_mergepath_partition_config_static_selectorELNS0_4arch9wavefront6targetE0EEEvSK_.num_vgpr, 0
	.set _ZN7rocprim17ROCPRIM_400000_NS6detail17trampoline_kernelINS0_14default_configENS1_38merge_sort_block_merge_config_selectorIjNS0_10empty_typeEEEZZNS1_27merge_sort_block_merge_implIS3_N6thrust23THRUST_200600_302600_NS6detail15normal_iteratorINS9_10device_ptrIjEEEEPS5_m9comp_mod3IjEEE10hipError_tT0_T1_T2_jT3_P12ihipStream_tbPNSt15iterator_traitsISJ_E10value_typeEPNSP_ISK_E10value_typeEPSL_NS1_7vsmem_tEENKUlT_SJ_SK_SL_E_clISE_PjSF_SF_EESI_SY_SJ_SK_SL_EUlSY_E_NS1_11comp_targetILNS1_3genE2ELNS1_11target_archE906ELNS1_3gpuE6ELNS1_3repE0EEENS1_48merge_mergepath_partition_config_static_selectorELNS0_4arch9wavefront6targetE0EEEvSK_.num_agpr, 0
	.set _ZN7rocprim17ROCPRIM_400000_NS6detail17trampoline_kernelINS0_14default_configENS1_38merge_sort_block_merge_config_selectorIjNS0_10empty_typeEEEZZNS1_27merge_sort_block_merge_implIS3_N6thrust23THRUST_200600_302600_NS6detail15normal_iteratorINS9_10device_ptrIjEEEEPS5_m9comp_mod3IjEEE10hipError_tT0_T1_T2_jT3_P12ihipStream_tbPNSt15iterator_traitsISJ_E10value_typeEPNSP_ISK_E10value_typeEPSL_NS1_7vsmem_tEENKUlT_SJ_SK_SL_E_clISE_PjSF_SF_EESI_SY_SJ_SK_SL_EUlSY_E_NS1_11comp_targetILNS1_3genE2ELNS1_11target_archE906ELNS1_3gpuE6ELNS1_3repE0EEENS1_48merge_mergepath_partition_config_static_selectorELNS0_4arch9wavefront6targetE0EEEvSK_.numbered_sgpr, 0
	.set _ZN7rocprim17ROCPRIM_400000_NS6detail17trampoline_kernelINS0_14default_configENS1_38merge_sort_block_merge_config_selectorIjNS0_10empty_typeEEEZZNS1_27merge_sort_block_merge_implIS3_N6thrust23THRUST_200600_302600_NS6detail15normal_iteratorINS9_10device_ptrIjEEEEPS5_m9comp_mod3IjEEE10hipError_tT0_T1_T2_jT3_P12ihipStream_tbPNSt15iterator_traitsISJ_E10value_typeEPNSP_ISK_E10value_typeEPSL_NS1_7vsmem_tEENKUlT_SJ_SK_SL_E_clISE_PjSF_SF_EESI_SY_SJ_SK_SL_EUlSY_E_NS1_11comp_targetILNS1_3genE2ELNS1_11target_archE906ELNS1_3gpuE6ELNS1_3repE0EEENS1_48merge_mergepath_partition_config_static_selectorELNS0_4arch9wavefront6targetE0EEEvSK_.num_named_barrier, 0
	.set _ZN7rocprim17ROCPRIM_400000_NS6detail17trampoline_kernelINS0_14default_configENS1_38merge_sort_block_merge_config_selectorIjNS0_10empty_typeEEEZZNS1_27merge_sort_block_merge_implIS3_N6thrust23THRUST_200600_302600_NS6detail15normal_iteratorINS9_10device_ptrIjEEEEPS5_m9comp_mod3IjEEE10hipError_tT0_T1_T2_jT3_P12ihipStream_tbPNSt15iterator_traitsISJ_E10value_typeEPNSP_ISK_E10value_typeEPSL_NS1_7vsmem_tEENKUlT_SJ_SK_SL_E_clISE_PjSF_SF_EESI_SY_SJ_SK_SL_EUlSY_E_NS1_11comp_targetILNS1_3genE2ELNS1_11target_archE906ELNS1_3gpuE6ELNS1_3repE0EEENS1_48merge_mergepath_partition_config_static_selectorELNS0_4arch9wavefront6targetE0EEEvSK_.private_seg_size, 0
	.set _ZN7rocprim17ROCPRIM_400000_NS6detail17trampoline_kernelINS0_14default_configENS1_38merge_sort_block_merge_config_selectorIjNS0_10empty_typeEEEZZNS1_27merge_sort_block_merge_implIS3_N6thrust23THRUST_200600_302600_NS6detail15normal_iteratorINS9_10device_ptrIjEEEEPS5_m9comp_mod3IjEEE10hipError_tT0_T1_T2_jT3_P12ihipStream_tbPNSt15iterator_traitsISJ_E10value_typeEPNSP_ISK_E10value_typeEPSL_NS1_7vsmem_tEENKUlT_SJ_SK_SL_E_clISE_PjSF_SF_EESI_SY_SJ_SK_SL_EUlSY_E_NS1_11comp_targetILNS1_3genE2ELNS1_11target_archE906ELNS1_3gpuE6ELNS1_3repE0EEENS1_48merge_mergepath_partition_config_static_selectorELNS0_4arch9wavefront6targetE0EEEvSK_.uses_vcc, 0
	.set _ZN7rocprim17ROCPRIM_400000_NS6detail17trampoline_kernelINS0_14default_configENS1_38merge_sort_block_merge_config_selectorIjNS0_10empty_typeEEEZZNS1_27merge_sort_block_merge_implIS3_N6thrust23THRUST_200600_302600_NS6detail15normal_iteratorINS9_10device_ptrIjEEEEPS5_m9comp_mod3IjEEE10hipError_tT0_T1_T2_jT3_P12ihipStream_tbPNSt15iterator_traitsISJ_E10value_typeEPNSP_ISK_E10value_typeEPSL_NS1_7vsmem_tEENKUlT_SJ_SK_SL_E_clISE_PjSF_SF_EESI_SY_SJ_SK_SL_EUlSY_E_NS1_11comp_targetILNS1_3genE2ELNS1_11target_archE906ELNS1_3gpuE6ELNS1_3repE0EEENS1_48merge_mergepath_partition_config_static_selectorELNS0_4arch9wavefront6targetE0EEEvSK_.uses_flat_scratch, 0
	.set _ZN7rocprim17ROCPRIM_400000_NS6detail17trampoline_kernelINS0_14default_configENS1_38merge_sort_block_merge_config_selectorIjNS0_10empty_typeEEEZZNS1_27merge_sort_block_merge_implIS3_N6thrust23THRUST_200600_302600_NS6detail15normal_iteratorINS9_10device_ptrIjEEEEPS5_m9comp_mod3IjEEE10hipError_tT0_T1_T2_jT3_P12ihipStream_tbPNSt15iterator_traitsISJ_E10value_typeEPNSP_ISK_E10value_typeEPSL_NS1_7vsmem_tEENKUlT_SJ_SK_SL_E_clISE_PjSF_SF_EESI_SY_SJ_SK_SL_EUlSY_E_NS1_11comp_targetILNS1_3genE2ELNS1_11target_archE906ELNS1_3gpuE6ELNS1_3repE0EEENS1_48merge_mergepath_partition_config_static_selectorELNS0_4arch9wavefront6targetE0EEEvSK_.has_dyn_sized_stack, 0
	.set _ZN7rocprim17ROCPRIM_400000_NS6detail17trampoline_kernelINS0_14default_configENS1_38merge_sort_block_merge_config_selectorIjNS0_10empty_typeEEEZZNS1_27merge_sort_block_merge_implIS3_N6thrust23THRUST_200600_302600_NS6detail15normal_iteratorINS9_10device_ptrIjEEEEPS5_m9comp_mod3IjEEE10hipError_tT0_T1_T2_jT3_P12ihipStream_tbPNSt15iterator_traitsISJ_E10value_typeEPNSP_ISK_E10value_typeEPSL_NS1_7vsmem_tEENKUlT_SJ_SK_SL_E_clISE_PjSF_SF_EESI_SY_SJ_SK_SL_EUlSY_E_NS1_11comp_targetILNS1_3genE2ELNS1_11target_archE906ELNS1_3gpuE6ELNS1_3repE0EEENS1_48merge_mergepath_partition_config_static_selectorELNS0_4arch9wavefront6targetE0EEEvSK_.has_recursion, 0
	.set _ZN7rocprim17ROCPRIM_400000_NS6detail17trampoline_kernelINS0_14default_configENS1_38merge_sort_block_merge_config_selectorIjNS0_10empty_typeEEEZZNS1_27merge_sort_block_merge_implIS3_N6thrust23THRUST_200600_302600_NS6detail15normal_iteratorINS9_10device_ptrIjEEEEPS5_m9comp_mod3IjEEE10hipError_tT0_T1_T2_jT3_P12ihipStream_tbPNSt15iterator_traitsISJ_E10value_typeEPNSP_ISK_E10value_typeEPSL_NS1_7vsmem_tEENKUlT_SJ_SK_SL_E_clISE_PjSF_SF_EESI_SY_SJ_SK_SL_EUlSY_E_NS1_11comp_targetILNS1_3genE2ELNS1_11target_archE906ELNS1_3gpuE6ELNS1_3repE0EEENS1_48merge_mergepath_partition_config_static_selectorELNS0_4arch9wavefront6targetE0EEEvSK_.has_indirect_call, 0
	.section	.AMDGPU.csdata,"",@progbits
; Kernel info:
; codeLenInByte = 0
; TotalNumSgprs: 0
; NumVgprs: 0
; ScratchSize: 0
; MemoryBound: 0
; FloatMode: 240
; IeeeMode: 1
; LDSByteSize: 0 bytes/workgroup (compile time only)
; SGPRBlocks: 0
; VGPRBlocks: 0
; NumSGPRsForWavesPerEU: 1
; NumVGPRsForWavesPerEU: 1
; Occupancy: 16
; WaveLimiterHint : 0
; COMPUTE_PGM_RSRC2:SCRATCH_EN: 0
; COMPUTE_PGM_RSRC2:USER_SGPR: 6
; COMPUTE_PGM_RSRC2:TRAP_HANDLER: 0
; COMPUTE_PGM_RSRC2:TGID_X_EN: 1
; COMPUTE_PGM_RSRC2:TGID_Y_EN: 0
; COMPUTE_PGM_RSRC2:TGID_Z_EN: 0
; COMPUTE_PGM_RSRC2:TIDIG_COMP_CNT: 0
	.section	.text._ZN7rocprim17ROCPRIM_400000_NS6detail17trampoline_kernelINS0_14default_configENS1_38merge_sort_block_merge_config_selectorIjNS0_10empty_typeEEEZZNS1_27merge_sort_block_merge_implIS3_N6thrust23THRUST_200600_302600_NS6detail15normal_iteratorINS9_10device_ptrIjEEEEPS5_m9comp_mod3IjEEE10hipError_tT0_T1_T2_jT3_P12ihipStream_tbPNSt15iterator_traitsISJ_E10value_typeEPNSP_ISK_E10value_typeEPSL_NS1_7vsmem_tEENKUlT_SJ_SK_SL_E_clISE_PjSF_SF_EESI_SY_SJ_SK_SL_EUlSY_E_NS1_11comp_targetILNS1_3genE9ELNS1_11target_archE1100ELNS1_3gpuE3ELNS1_3repE0EEENS1_48merge_mergepath_partition_config_static_selectorELNS0_4arch9wavefront6targetE0EEEvSK_,"axG",@progbits,_ZN7rocprim17ROCPRIM_400000_NS6detail17trampoline_kernelINS0_14default_configENS1_38merge_sort_block_merge_config_selectorIjNS0_10empty_typeEEEZZNS1_27merge_sort_block_merge_implIS3_N6thrust23THRUST_200600_302600_NS6detail15normal_iteratorINS9_10device_ptrIjEEEEPS5_m9comp_mod3IjEEE10hipError_tT0_T1_T2_jT3_P12ihipStream_tbPNSt15iterator_traitsISJ_E10value_typeEPNSP_ISK_E10value_typeEPSL_NS1_7vsmem_tEENKUlT_SJ_SK_SL_E_clISE_PjSF_SF_EESI_SY_SJ_SK_SL_EUlSY_E_NS1_11comp_targetILNS1_3genE9ELNS1_11target_archE1100ELNS1_3gpuE3ELNS1_3repE0EEENS1_48merge_mergepath_partition_config_static_selectorELNS0_4arch9wavefront6targetE0EEEvSK_,comdat
	.protected	_ZN7rocprim17ROCPRIM_400000_NS6detail17trampoline_kernelINS0_14default_configENS1_38merge_sort_block_merge_config_selectorIjNS0_10empty_typeEEEZZNS1_27merge_sort_block_merge_implIS3_N6thrust23THRUST_200600_302600_NS6detail15normal_iteratorINS9_10device_ptrIjEEEEPS5_m9comp_mod3IjEEE10hipError_tT0_T1_T2_jT3_P12ihipStream_tbPNSt15iterator_traitsISJ_E10value_typeEPNSP_ISK_E10value_typeEPSL_NS1_7vsmem_tEENKUlT_SJ_SK_SL_E_clISE_PjSF_SF_EESI_SY_SJ_SK_SL_EUlSY_E_NS1_11comp_targetILNS1_3genE9ELNS1_11target_archE1100ELNS1_3gpuE3ELNS1_3repE0EEENS1_48merge_mergepath_partition_config_static_selectorELNS0_4arch9wavefront6targetE0EEEvSK_ ; -- Begin function _ZN7rocprim17ROCPRIM_400000_NS6detail17trampoline_kernelINS0_14default_configENS1_38merge_sort_block_merge_config_selectorIjNS0_10empty_typeEEEZZNS1_27merge_sort_block_merge_implIS3_N6thrust23THRUST_200600_302600_NS6detail15normal_iteratorINS9_10device_ptrIjEEEEPS5_m9comp_mod3IjEEE10hipError_tT0_T1_T2_jT3_P12ihipStream_tbPNSt15iterator_traitsISJ_E10value_typeEPNSP_ISK_E10value_typeEPSL_NS1_7vsmem_tEENKUlT_SJ_SK_SL_E_clISE_PjSF_SF_EESI_SY_SJ_SK_SL_EUlSY_E_NS1_11comp_targetILNS1_3genE9ELNS1_11target_archE1100ELNS1_3gpuE3ELNS1_3repE0EEENS1_48merge_mergepath_partition_config_static_selectorELNS0_4arch9wavefront6targetE0EEEvSK_
	.globl	_ZN7rocprim17ROCPRIM_400000_NS6detail17trampoline_kernelINS0_14default_configENS1_38merge_sort_block_merge_config_selectorIjNS0_10empty_typeEEEZZNS1_27merge_sort_block_merge_implIS3_N6thrust23THRUST_200600_302600_NS6detail15normal_iteratorINS9_10device_ptrIjEEEEPS5_m9comp_mod3IjEEE10hipError_tT0_T1_T2_jT3_P12ihipStream_tbPNSt15iterator_traitsISJ_E10value_typeEPNSP_ISK_E10value_typeEPSL_NS1_7vsmem_tEENKUlT_SJ_SK_SL_E_clISE_PjSF_SF_EESI_SY_SJ_SK_SL_EUlSY_E_NS1_11comp_targetILNS1_3genE9ELNS1_11target_archE1100ELNS1_3gpuE3ELNS1_3repE0EEENS1_48merge_mergepath_partition_config_static_selectorELNS0_4arch9wavefront6targetE0EEEvSK_
	.p2align	8
	.type	_ZN7rocprim17ROCPRIM_400000_NS6detail17trampoline_kernelINS0_14default_configENS1_38merge_sort_block_merge_config_selectorIjNS0_10empty_typeEEEZZNS1_27merge_sort_block_merge_implIS3_N6thrust23THRUST_200600_302600_NS6detail15normal_iteratorINS9_10device_ptrIjEEEEPS5_m9comp_mod3IjEEE10hipError_tT0_T1_T2_jT3_P12ihipStream_tbPNSt15iterator_traitsISJ_E10value_typeEPNSP_ISK_E10value_typeEPSL_NS1_7vsmem_tEENKUlT_SJ_SK_SL_E_clISE_PjSF_SF_EESI_SY_SJ_SK_SL_EUlSY_E_NS1_11comp_targetILNS1_3genE9ELNS1_11target_archE1100ELNS1_3gpuE3ELNS1_3repE0EEENS1_48merge_mergepath_partition_config_static_selectorELNS0_4arch9wavefront6targetE0EEEvSK_,@function
_ZN7rocprim17ROCPRIM_400000_NS6detail17trampoline_kernelINS0_14default_configENS1_38merge_sort_block_merge_config_selectorIjNS0_10empty_typeEEEZZNS1_27merge_sort_block_merge_implIS3_N6thrust23THRUST_200600_302600_NS6detail15normal_iteratorINS9_10device_ptrIjEEEEPS5_m9comp_mod3IjEEE10hipError_tT0_T1_T2_jT3_P12ihipStream_tbPNSt15iterator_traitsISJ_E10value_typeEPNSP_ISK_E10value_typeEPSL_NS1_7vsmem_tEENKUlT_SJ_SK_SL_E_clISE_PjSF_SF_EESI_SY_SJ_SK_SL_EUlSY_E_NS1_11comp_targetILNS1_3genE9ELNS1_11target_archE1100ELNS1_3gpuE3ELNS1_3repE0EEENS1_48merge_mergepath_partition_config_static_selectorELNS0_4arch9wavefront6targetE0EEEvSK_: ; @_ZN7rocprim17ROCPRIM_400000_NS6detail17trampoline_kernelINS0_14default_configENS1_38merge_sort_block_merge_config_selectorIjNS0_10empty_typeEEEZZNS1_27merge_sort_block_merge_implIS3_N6thrust23THRUST_200600_302600_NS6detail15normal_iteratorINS9_10device_ptrIjEEEEPS5_m9comp_mod3IjEEE10hipError_tT0_T1_T2_jT3_P12ihipStream_tbPNSt15iterator_traitsISJ_E10value_typeEPNSP_ISK_E10value_typeEPSL_NS1_7vsmem_tEENKUlT_SJ_SK_SL_E_clISE_PjSF_SF_EESI_SY_SJ_SK_SL_EUlSY_E_NS1_11comp_targetILNS1_3genE9ELNS1_11target_archE1100ELNS1_3gpuE3ELNS1_3repE0EEENS1_48merge_mergepath_partition_config_static_selectorELNS0_4arch9wavefront6targetE0EEEvSK_
; %bb.0:
	.section	.rodata,"a",@progbits
	.p2align	6, 0x0
	.amdhsa_kernel _ZN7rocprim17ROCPRIM_400000_NS6detail17trampoline_kernelINS0_14default_configENS1_38merge_sort_block_merge_config_selectorIjNS0_10empty_typeEEEZZNS1_27merge_sort_block_merge_implIS3_N6thrust23THRUST_200600_302600_NS6detail15normal_iteratorINS9_10device_ptrIjEEEEPS5_m9comp_mod3IjEEE10hipError_tT0_T1_T2_jT3_P12ihipStream_tbPNSt15iterator_traitsISJ_E10value_typeEPNSP_ISK_E10value_typeEPSL_NS1_7vsmem_tEENKUlT_SJ_SK_SL_E_clISE_PjSF_SF_EESI_SY_SJ_SK_SL_EUlSY_E_NS1_11comp_targetILNS1_3genE9ELNS1_11target_archE1100ELNS1_3gpuE3ELNS1_3repE0EEENS1_48merge_mergepath_partition_config_static_selectorELNS0_4arch9wavefront6targetE0EEEvSK_
		.amdhsa_group_segment_fixed_size 0
		.amdhsa_private_segment_fixed_size 0
		.amdhsa_kernarg_size 48
		.amdhsa_user_sgpr_count 6
		.amdhsa_user_sgpr_private_segment_buffer 1
		.amdhsa_user_sgpr_dispatch_ptr 0
		.amdhsa_user_sgpr_queue_ptr 0
		.amdhsa_user_sgpr_kernarg_segment_ptr 1
		.amdhsa_user_sgpr_dispatch_id 0
		.amdhsa_user_sgpr_flat_scratch_init 0
		.amdhsa_user_sgpr_private_segment_size 0
		.amdhsa_wavefront_size32 1
		.amdhsa_uses_dynamic_stack 0
		.amdhsa_system_sgpr_private_segment_wavefront_offset 0
		.amdhsa_system_sgpr_workgroup_id_x 1
		.amdhsa_system_sgpr_workgroup_id_y 0
		.amdhsa_system_sgpr_workgroup_id_z 0
		.amdhsa_system_sgpr_workgroup_info 0
		.amdhsa_system_vgpr_workitem_id 0
		.amdhsa_next_free_vgpr 1
		.amdhsa_next_free_sgpr 1
		.amdhsa_reserve_vcc 0
		.amdhsa_reserve_flat_scratch 0
		.amdhsa_float_round_mode_32 0
		.amdhsa_float_round_mode_16_64 0
		.amdhsa_float_denorm_mode_32 3
		.amdhsa_float_denorm_mode_16_64 3
		.amdhsa_dx10_clamp 1
		.amdhsa_ieee_mode 1
		.amdhsa_fp16_overflow 0
		.amdhsa_workgroup_processor_mode 1
		.amdhsa_memory_ordered 1
		.amdhsa_forward_progress 1
		.amdhsa_shared_vgpr_count 0
		.amdhsa_exception_fp_ieee_invalid_op 0
		.amdhsa_exception_fp_denorm_src 0
		.amdhsa_exception_fp_ieee_div_zero 0
		.amdhsa_exception_fp_ieee_overflow 0
		.amdhsa_exception_fp_ieee_underflow 0
		.amdhsa_exception_fp_ieee_inexact 0
		.amdhsa_exception_int_div_zero 0
	.end_amdhsa_kernel
	.section	.text._ZN7rocprim17ROCPRIM_400000_NS6detail17trampoline_kernelINS0_14default_configENS1_38merge_sort_block_merge_config_selectorIjNS0_10empty_typeEEEZZNS1_27merge_sort_block_merge_implIS3_N6thrust23THRUST_200600_302600_NS6detail15normal_iteratorINS9_10device_ptrIjEEEEPS5_m9comp_mod3IjEEE10hipError_tT0_T1_T2_jT3_P12ihipStream_tbPNSt15iterator_traitsISJ_E10value_typeEPNSP_ISK_E10value_typeEPSL_NS1_7vsmem_tEENKUlT_SJ_SK_SL_E_clISE_PjSF_SF_EESI_SY_SJ_SK_SL_EUlSY_E_NS1_11comp_targetILNS1_3genE9ELNS1_11target_archE1100ELNS1_3gpuE3ELNS1_3repE0EEENS1_48merge_mergepath_partition_config_static_selectorELNS0_4arch9wavefront6targetE0EEEvSK_,"axG",@progbits,_ZN7rocprim17ROCPRIM_400000_NS6detail17trampoline_kernelINS0_14default_configENS1_38merge_sort_block_merge_config_selectorIjNS0_10empty_typeEEEZZNS1_27merge_sort_block_merge_implIS3_N6thrust23THRUST_200600_302600_NS6detail15normal_iteratorINS9_10device_ptrIjEEEEPS5_m9comp_mod3IjEEE10hipError_tT0_T1_T2_jT3_P12ihipStream_tbPNSt15iterator_traitsISJ_E10value_typeEPNSP_ISK_E10value_typeEPSL_NS1_7vsmem_tEENKUlT_SJ_SK_SL_E_clISE_PjSF_SF_EESI_SY_SJ_SK_SL_EUlSY_E_NS1_11comp_targetILNS1_3genE9ELNS1_11target_archE1100ELNS1_3gpuE3ELNS1_3repE0EEENS1_48merge_mergepath_partition_config_static_selectorELNS0_4arch9wavefront6targetE0EEEvSK_,comdat
.Lfunc_end846:
	.size	_ZN7rocprim17ROCPRIM_400000_NS6detail17trampoline_kernelINS0_14default_configENS1_38merge_sort_block_merge_config_selectorIjNS0_10empty_typeEEEZZNS1_27merge_sort_block_merge_implIS3_N6thrust23THRUST_200600_302600_NS6detail15normal_iteratorINS9_10device_ptrIjEEEEPS5_m9comp_mod3IjEEE10hipError_tT0_T1_T2_jT3_P12ihipStream_tbPNSt15iterator_traitsISJ_E10value_typeEPNSP_ISK_E10value_typeEPSL_NS1_7vsmem_tEENKUlT_SJ_SK_SL_E_clISE_PjSF_SF_EESI_SY_SJ_SK_SL_EUlSY_E_NS1_11comp_targetILNS1_3genE9ELNS1_11target_archE1100ELNS1_3gpuE3ELNS1_3repE0EEENS1_48merge_mergepath_partition_config_static_selectorELNS0_4arch9wavefront6targetE0EEEvSK_, .Lfunc_end846-_ZN7rocprim17ROCPRIM_400000_NS6detail17trampoline_kernelINS0_14default_configENS1_38merge_sort_block_merge_config_selectorIjNS0_10empty_typeEEEZZNS1_27merge_sort_block_merge_implIS3_N6thrust23THRUST_200600_302600_NS6detail15normal_iteratorINS9_10device_ptrIjEEEEPS5_m9comp_mod3IjEEE10hipError_tT0_T1_T2_jT3_P12ihipStream_tbPNSt15iterator_traitsISJ_E10value_typeEPNSP_ISK_E10value_typeEPSL_NS1_7vsmem_tEENKUlT_SJ_SK_SL_E_clISE_PjSF_SF_EESI_SY_SJ_SK_SL_EUlSY_E_NS1_11comp_targetILNS1_3genE9ELNS1_11target_archE1100ELNS1_3gpuE3ELNS1_3repE0EEENS1_48merge_mergepath_partition_config_static_selectorELNS0_4arch9wavefront6targetE0EEEvSK_
                                        ; -- End function
	.set _ZN7rocprim17ROCPRIM_400000_NS6detail17trampoline_kernelINS0_14default_configENS1_38merge_sort_block_merge_config_selectorIjNS0_10empty_typeEEEZZNS1_27merge_sort_block_merge_implIS3_N6thrust23THRUST_200600_302600_NS6detail15normal_iteratorINS9_10device_ptrIjEEEEPS5_m9comp_mod3IjEEE10hipError_tT0_T1_T2_jT3_P12ihipStream_tbPNSt15iterator_traitsISJ_E10value_typeEPNSP_ISK_E10value_typeEPSL_NS1_7vsmem_tEENKUlT_SJ_SK_SL_E_clISE_PjSF_SF_EESI_SY_SJ_SK_SL_EUlSY_E_NS1_11comp_targetILNS1_3genE9ELNS1_11target_archE1100ELNS1_3gpuE3ELNS1_3repE0EEENS1_48merge_mergepath_partition_config_static_selectorELNS0_4arch9wavefront6targetE0EEEvSK_.num_vgpr, 0
	.set _ZN7rocprim17ROCPRIM_400000_NS6detail17trampoline_kernelINS0_14default_configENS1_38merge_sort_block_merge_config_selectorIjNS0_10empty_typeEEEZZNS1_27merge_sort_block_merge_implIS3_N6thrust23THRUST_200600_302600_NS6detail15normal_iteratorINS9_10device_ptrIjEEEEPS5_m9comp_mod3IjEEE10hipError_tT0_T1_T2_jT3_P12ihipStream_tbPNSt15iterator_traitsISJ_E10value_typeEPNSP_ISK_E10value_typeEPSL_NS1_7vsmem_tEENKUlT_SJ_SK_SL_E_clISE_PjSF_SF_EESI_SY_SJ_SK_SL_EUlSY_E_NS1_11comp_targetILNS1_3genE9ELNS1_11target_archE1100ELNS1_3gpuE3ELNS1_3repE0EEENS1_48merge_mergepath_partition_config_static_selectorELNS0_4arch9wavefront6targetE0EEEvSK_.num_agpr, 0
	.set _ZN7rocprim17ROCPRIM_400000_NS6detail17trampoline_kernelINS0_14default_configENS1_38merge_sort_block_merge_config_selectorIjNS0_10empty_typeEEEZZNS1_27merge_sort_block_merge_implIS3_N6thrust23THRUST_200600_302600_NS6detail15normal_iteratorINS9_10device_ptrIjEEEEPS5_m9comp_mod3IjEEE10hipError_tT0_T1_T2_jT3_P12ihipStream_tbPNSt15iterator_traitsISJ_E10value_typeEPNSP_ISK_E10value_typeEPSL_NS1_7vsmem_tEENKUlT_SJ_SK_SL_E_clISE_PjSF_SF_EESI_SY_SJ_SK_SL_EUlSY_E_NS1_11comp_targetILNS1_3genE9ELNS1_11target_archE1100ELNS1_3gpuE3ELNS1_3repE0EEENS1_48merge_mergepath_partition_config_static_selectorELNS0_4arch9wavefront6targetE0EEEvSK_.numbered_sgpr, 0
	.set _ZN7rocprim17ROCPRIM_400000_NS6detail17trampoline_kernelINS0_14default_configENS1_38merge_sort_block_merge_config_selectorIjNS0_10empty_typeEEEZZNS1_27merge_sort_block_merge_implIS3_N6thrust23THRUST_200600_302600_NS6detail15normal_iteratorINS9_10device_ptrIjEEEEPS5_m9comp_mod3IjEEE10hipError_tT0_T1_T2_jT3_P12ihipStream_tbPNSt15iterator_traitsISJ_E10value_typeEPNSP_ISK_E10value_typeEPSL_NS1_7vsmem_tEENKUlT_SJ_SK_SL_E_clISE_PjSF_SF_EESI_SY_SJ_SK_SL_EUlSY_E_NS1_11comp_targetILNS1_3genE9ELNS1_11target_archE1100ELNS1_3gpuE3ELNS1_3repE0EEENS1_48merge_mergepath_partition_config_static_selectorELNS0_4arch9wavefront6targetE0EEEvSK_.num_named_barrier, 0
	.set _ZN7rocprim17ROCPRIM_400000_NS6detail17trampoline_kernelINS0_14default_configENS1_38merge_sort_block_merge_config_selectorIjNS0_10empty_typeEEEZZNS1_27merge_sort_block_merge_implIS3_N6thrust23THRUST_200600_302600_NS6detail15normal_iteratorINS9_10device_ptrIjEEEEPS5_m9comp_mod3IjEEE10hipError_tT0_T1_T2_jT3_P12ihipStream_tbPNSt15iterator_traitsISJ_E10value_typeEPNSP_ISK_E10value_typeEPSL_NS1_7vsmem_tEENKUlT_SJ_SK_SL_E_clISE_PjSF_SF_EESI_SY_SJ_SK_SL_EUlSY_E_NS1_11comp_targetILNS1_3genE9ELNS1_11target_archE1100ELNS1_3gpuE3ELNS1_3repE0EEENS1_48merge_mergepath_partition_config_static_selectorELNS0_4arch9wavefront6targetE0EEEvSK_.private_seg_size, 0
	.set _ZN7rocprim17ROCPRIM_400000_NS6detail17trampoline_kernelINS0_14default_configENS1_38merge_sort_block_merge_config_selectorIjNS0_10empty_typeEEEZZNS1_27merge_sort_block_merge_implIS3_N6thrust23THRUST_200600_302600_NS6detail15normal_iteratorINS9_10device_ptrIjEEEEPS5_m9comp_mod3IjEEE10hipError_tT0_T1_T2_jT3_P12ihipStream_tbPNSt15iterator_traitsISJ_E10value_typeEPNSP_ISK_E10value_typeEPSL_NS1_7vsmem_tEENKUlT_SJ_SK_SL_E_clISE_PjSF_SF_EESI_SY_SJ_SK_SL_EUlSY_E_NS1_11comp_targetILNS1_3genE9ELNS1_11target_archE1100ELNS1_3gpuE3ELNS1_3repE0EEENS1_48merge_mergepath_partition_config_static_selectorELNS0_4arch9wavefront6targetE0EEEvSK_.uses_vcc, 0
	.set _ZN7rocprim17ROCPRIM_400000_NS6detail17trampoline_kernelINS0_14default_configENS1_38merge_sort_block_merge_config_selectorIjNS0_10empty_typeEEEZZNS1_27merge_sort_block_merge_implIS3_N6thrust23THRUST_200600_302600_NS6detail15normal_iteratorINS9_10device_ptrIjEEEEPS5_m9comp_mod3IjEEE10hipError_tT0_T1_T2_jT3_P12ihipStream_tbPNSt15iterator_traitsISJ_E10value_typeEPNSP_ISK_E10value_typeEPSL_NS1_7vsmem_tEENKUlT_SJ_SK_SL_E_clISE_PjSF_SF_EESI_SY_SJ_SK_SL_EUlSY_E_NS1_11comp_targetILNS1_3genE9ELNS1_11target_archE1100ELNS1_3gpuE3ELNS1_3repE0EEENS1_48merge_mergepath_partition_config_static_selectorELNS0_4arch9wavefront6targetE0EEEvSK_.uses_flat_scratch, 0
	.set _ZN7rocprim17ROCPRIM_400000_NS6detail17trampoline_kernelINS0_14default_configENS1_38merge_sort_block_merge_config_selectorIjNS0_10empty_typeEEEZZNS1_27merge_sort_block_merge_implIS3_N6thrust23THRUST_200600_302600_NS6detail15normal_iteratorINS9_10device_ptrIjEEEEPS5_m9comp_mod3IjEEE10hipError_tT0_T1_T2_jT3_P12ihipStream_tbPNSt15iterator_traitsISJ_E10value_typeEPNSP_ISK_E10value_typeEPSL_NS1_7vsmem_tEENKUlT_SJ_SK_SL_E_clISE_PjSF_SF_EESI_SY_SJ_SK_SL_EUlSY_E_NS1_11comp_targetILNS1_3genE9ELNS1_11target_archE1100ELNS1_3gpuE3ELNS1_3repE0EEENS1_48merge_mergepath_partition_config_static_selectorELNS0_4arch9wavefront6targetE0EEEvSK_.has_dyn_sized_stack, 0
	.set _ZN7rocprim17ROCPRIM_400000_NS6detail17trampoline_kernelINS0_14default_configENS1_38merge_sort_block_merge_config_selectorIjNS0_10empty_typeEEEZZNS1_27merge_sort_block_merge_implIS3_N6thrust23THRUST_200600_302600_NS6detail15normal_iteratorINS9_10device_ptrIjEEEEPS5_m9comp_mod3IjEEE10hipError_tT0_T1_T2_jT3_P12ihipStream_tbPNSt15iterator_traitsISJ_E10value_typeEPNSP_ISK_E10value_typeEPSL_NS1_7vsmem_tEENKUlT_SJ_SK_SL_E_clISE_PjSF_SF_EESI_SY_SJ_SK_SL_EUlSY_E_NS1_11comp_targetILNS1_3genE9ELNS1_11target_archE1100ELNS1_3gpuE3ELNS1_3repE0EEENS1_48merge_mergepath_partition_config_static_selectorELNS0_4arch9wavefront6targetE0EEEvSK_.has_recursion, 0
	.set _ZN7rocprim17ROCPRIM_400000_NS6detail17trampoline_kernelINS0_14default_configENS1_38merge_sort_block_merge_config_selectorIjNS0_10empty_typeEEEZZNS1_27merge_sort_block_merge_implIS3_N6thrust23THRUST_200600_302600_NS6detail15normal_iteratorINS9_10device_ptrIjEEEEPS5_m9comp_mod3IjEEE10hipError_tT0_T1_T2_jT3_P12ihipStream_tbPNSt15iterator_traitsISJ_E10value_typeEPNSP_ISK_E10value_typeEPSL_NS1_7vsmem_tEENKUlT_SJ_SK_SL_E_clISE_PjSF_SF_EESI_SY_SJ_SK_SL_EUlSY_E_NS1_11comp_targetILNS1_3genE9ELNS1_11target_archE1100ELNS1_3gpuE3ELNS1_3repE0EEENS1_48merge_mergepath_partition_config_static_selectorELNS0_4arch9wavefront6targetE0EEEvSK_.has_indirect_call, 0
	.section	.AMDGPU.csdata,"",@progbits
; Kernel info:
; codeLenInByte = 0
; TotalNumSgprs: 0
; NumVgprs: 0
; ScratchSize: 0
; MemoryBound: 0
; FloatMode: 240
; IeeeMode: 1
; LDSByteSize: 0 bytes/workgroup (compile time only)
; SGPRBlocks: 0
; VGPRBlocks: 0
; NumSGPRsForWavesPerEU: 1
; NumVGPRsForWavesPerEU: 1
; Occupancy: 16
; WaveLimiterHint : 0
; COMPUTE_PGM_RSRC2:SCRATCH_EN: 0
; COMPUTE_PGM_RSRC2:USER_SGPR: 6
; COMPUTE_PGM_RSRC2:TRAP_HANDLER: 0
; COMPUTE_PGM_RSRC2:TGID_X_EN: 1
; COMPUTE_PGM_RSRC2:TGID_Y_EN: 0
; COMPUTE_PGM_RSRC2:TGID_Z_EN: 0
; COMPUTE_PGM_RSRC2:TIDIG_COMP_CNT: 0
	.section	.text._ZN7rocprim17ROCPRIM_400000_NS6detail17trampoline_kernelINS0_14default_configENS1_38merge_sort_block_merge_config_selectorIjNS0_10empty_typeEEEZZNS1_27merge_sort_block_merge_implIS3_N6thrust23THRUST_200600_302600_NS6detail15normal_iteratorINS9_10device_ptrIjEEEEPS5_m9comp_mod3IjEEE10hipError_tT0_T1_T2_jT3_P12ihipStream_tbPNSt15iterator_traitsISJ_E10value_typeEPNSP_ISK_E10value_typeEPSL_NS1_7vsmem_tEENKUlT_SJ_SK_SL_E_clISE_PjSF_SF_EESI_SY_SJ_SK_SL_EUlSY_E_NS1_11comp_targetILNS1_3genE8ELNS1_11target_archE1030ELNS1_3gpuE2ELNS1_3repE0EEENS1_48merge_mergepath_partition_config_static_selectorELNS0_4arch9wavefront6targetE0EEEvSK_,"axG",@progbits,_ZN7rocprim17ROCPRIM_400000_NS6detail17trampoline_kernelINS0_14default_configENS1_38merge_sort_block_merge_config_selectorIjNS0_10empty_typeEEEZZNS1_27merge_sort_block_merge_implIS3_N6thrust23THRUST_200600_302600_NS6detail15normal_iteratorINS9_10device_ptrIjEEEEPS5_m9comp_mod3IjEEE10hipError_tT0_T1_T2_jT3_P12ihipStream_tbPNSt15iterator_traitsISJ_E10value_typeEPNSP_ISK_E10value_typeEPSL_NS1_7vsmem_tEENKUlT_SJ_SK_SL_E_clISE_PjSF_SF_EESI_SY_SJ_SK_SL_EUlSY_E_NS1_11comp_targetILNS1_3genE8ELNS1_11target_archE1030ELNS1_3gpuE2ELNS1_3repE0EEENS1_48merge_mergepath_partition_config_static_selectorELNS0_4arch9wavefront6targetE0EEEvSK_,comdat
	.protected	_ZN7rocprim17ROCPRIM_400000_NS6detail17trampoline_kernelINS0_14default_configENS1_38merge_sort_block_merge_config_selectorIjNS0_10empty_typeEEEZZNS1_27merge_sort_block_merge_implIS3_N6thrust23THRUST_200600_302600_NS6detail15normal_iteratorINS9_10device_ptrIjEEEEPS5_m9comp_mod3IjEEE10hipError_tT0_T1_T2_jT3_P12ihipStream_tbPNSt15iterator_traitsISJ_E10value_typeEPNSP_ISK_E10value_typeEPSL_NS1_7vsmem_tEENKUlT_SJ_SK_SL_E_clISE_PjSF_SF_EESI_SY_SJ_SK_SL_EUlSY_E_NS1_11comp_targetILNS1_3genE8ELNS1_11target_archE1030ELNS1_3gpuE2ELNS1_3repE0EEENS1_48merge_mergepath_partition_config_static_selectorELNS0_4arch9wavefront6targetE0EEEvSK_ ; -- Begin function _ZN7rocprim17ROCPRIM_400000_NS6detail17trampoline_kernelINS0_14default_configENS1_38merge_sort_block_merge_config_selectorIjNS0_10empty_typeEEEZZNS1_27merge_sort_block_merge_implIS3_N6thrust23THRUST_200600_302600_NS6detail15normal_iteratorINS9_10device_ptrIjEEEEPS5_m9comp_mod3IjEEE10hipError_tT0_T1_T2_jT3_P12ihipStream_tbPNSt15iterator_traitsISJ_E10value_typeEPNSP_ISK_E10value_typeEPSL_NS1_7vsmem_tEENKUlT_SJ_SK_SL_E_clISE_PjSF_SF_EESI_SY_SJ_SK_SL_EUlSY_E_NS1_11comp_targetILNS1_3genE8ELNS1_11target_archE1030ELNS1_3gpuE2ELNS1_3repE0EEENS1_48merge_mergepath_partition_config_static_selectorELNS0_4arch9wavefront6targetE0EEEvSK_
	.globl	_ZN7rocprim17ROCPRIM_400000_NS6detail17trampoline_kernelINS0_14default_configENS1_38merge_sort_block_merge_config_selectorIjNS0_10empty_typeEEEZZNS1_27merge_sort_block_merge_implIS3_N6thrust23THRUST_200600_302600_NS6detail15normal_iteratorINS9_10device_ptrIjEEEEPS5_m9comp_mod3IjEEE10hipError_tT0_T1_T2_jT3_P12ihipStream_tbPNSt15iterator_traitsISJ_E10value_typeEPNSP_ISK_E10value_typeEPSL_NS1_7vsmem_tEENKUlT_SJ_SK_SL_E_clISE_PjSF_SF_EESI_SY_SJ_SK_SL_EUlSY_E_NS1_11comp_targetILNS1_3genE8ELNS1_11target_archE1030ELNS1_3gpuE2ELNS1_3repE0EEENS1_48merge_mergepath_partition_config_static_selectorELNS0_4arch9wavefront6targetE0EEEvSK_
	.p2align	8
	.type	_ZN7rocprim17ROCPRIM_400000_NS6detail17trampoline_kernelINS0_14default_configENS1_38merge_sort_block_merge_config_selectorIjNS0_10empty_typeEEEZZNS1_27merge_sort_block_merge_implIS3_N6thrust23THRUST_200600_302600_NS6detail15normal_iteratorINS9_10device_ptrIjEEEEPS5_m9comp_mod3IjEEE10hipError_tT0_T1_T2_jT3_P12ihipStream_tbPNSt15iterator_traitsISJ_E10value_typeEPNSP_ISK_E10value_typeEPSL_NS1_7vsmem_tEENKUlT_SJ_SK_SL_E_clISE_PjSF_SF_EESI_SY_SJ_SK_SL_EUlSY_E_NS1_11comp_targetILNS1_3genE8ELNS1_11target_archE1030ELNS1_3gpuE2ELNS1_3repE0EEENS1_48merge_mergepath_partition_config_static_selectorELNS0_4arch9wavefront6targetE0EEEvSK_,@function
_ZN7rocprim17ROCPRIM_400000_NS6detail17trampoline_kernelINS0_14default_configENS1_38merge_sort_block_merge_config_selectorIjNS0_10empty_typeEEEZZNS1_27merge_sort_block_merge_implIS3_N6thrust23THRUST_200600_302600_NS6detail15normal_iteratorINS9_10device_ptrIjEEEEPS5_m9comp_mod3IjEEE10hipError_tT0_T1_T2_jT3_P12ihipStream_tbPNSt15iterator_traitsISJ_E10value_typeEPNSP_ISK_E10value_typeEPSL_NS1_7vsmem_tEENKUlT_SJ_SK_SL_E_clISE_PjSF_SF_EESI_SY_SJ_SK_SL_EUlSY_E_NS1_11comp_targetILNS1_3genE8ELNS1_11target_archE1030ELNS1_3gpuE2ELNS1_3repE0EEENS1_48merge_mergepath_partition_config_static_selectorELNS0_4arch9wavefront6targetE0EEEvSK_: ; @_ZN7rocprim17ROCPRIM_400000_NS6detail17trampoline_kernelINS0_14default_configENS1_38merge_sort_block_merge_config_selectorIjNS0_10empty_typeEEEZZNS1_27merge_sort_block_merge_implIS3_N6thrust23THRUST_200600_302600_NS6detail15normal_iteratorINS9_10device_ptrIjEEEEPS5_m9comp_mod3IjEEE10hipError_tT0_T1_T2_jT3_P12ihipStream_tbPNSt15iterator_traitsISJ_E10value_typeEPNSP_ISK_E10value_typeEPSL_NS1_7vsmem_tEENKUlT_SJ_SK_SL_E_clISE_PjSF_SF_EESI_SY_SJ_SK_SL_EUlSY_E_NS1_11comp_targetILNS1_3genE8ELNS1_11target_archE1030ELNS1_3gpuE2ELNS1_3repE0EEENS1_48merge_mergepath_partition_config_static_selectorELNS0_4arch9wavefront6targetE0EEEvSK_
; %bb.0:
	s_load_dword s0, s[4:5], 0x0
	v_lshl_or_b32 v0, s6, 7, v0
	s_waitcnt lgkmcnt(0)
	v_cmp_gt_u32_e32 vcc_lo, s0, v0
	s_and_saveexec_b32 s0, vcc_lo
	s_cbranch_execz .LBB847_6
; %bb.1:
	s_clause 0x1
	s_load_dwordx4 s[0:3], s[4:5], 0x8
	s_load_dwordx4 s[8:11], s[4:5], 0x20
	v_mov_b32_e32 v2, 0
	v_mov_b32_e32 v11, v2
	s_waitcnt lgkmcnt(0)
	s_lshr_b64 s[6:7], s[0:1], 9
	s_and_b32 s6, s6, -2
	s_sub_i32 s7, 0, s6
	s_add_i32 s6, s6, -1
	v_and_b32_e32 v1, s7, v0
	v_and_b32_e32 v10, s6, v0
	v_lshlrev_b64 v[4:5], 10, v[1:2]
	v_add_co_u32 v6, vcc_lo, v4, s0
	v_add_co_ci_u32_e64 v7, null, s1, v5, vcc_lo
	v_cmp_lt_u64_e32 vcc_lo, s[2:3], v[6:7]
	v_cndmask_b32_e64 v8, v6, s2, vcc_lo
	v_cndmask_b32_e64 v9, v7, s3, vcc_lo
	v_add_co_u32 v6, vcc_lo, v8, s0
	v_add_co_ci_u32_e64 v7, null, s1, v9, vcc_lo
	v_cmp_lt_u64_e32 vcc_lo, s[2:3], v[4:5]
	s_mov_b32 s1, 0
	v_cmp_lt_u64_e64 s0, s[2:3], v[6:7]
	v_cndmask_b32_e64 v2, v4, s2, vcc_lo
	v_cndmask_b32_e64 v3, v5, s3, vcc_lo
	v_lshlrev_b64 v[4:5], 10, v[10:11]
	v_cndmask_b32_e64 v12, v6, s2, s0
	v_cndmask_b32_e64 v1, v7, s3, s0
	v_sub_co_u32 v6, vcc_lo, v12, v2
	v_sub_co_ci_u32_e64 v7, null, v1, v3, vcc_lo
	v_cmp_lt_u64_e32 vcc_lo, v[6:7], v[4:5]
	v_cndmask_b32_e32 v11, v5, v7, vcc_lo
	v_cndmask_b32_e32 v10, v4, v6, vcc_lo
	v_sub_co_u32 v4, vcc_lo, v8, v12
	v_sub_co_ci_u32_e64 v1, null, v9, v1, vcc_lo
	v_add_co_u32 v4, vcc_lo, v10, v4
	v_add_co_ci_u32_e64 v5, null, v11, v1, vcc_lo
	v_sub_co_u32 v6, vcc_lo, v8, v2
	v_sub_co_ci_u32_e64 v7, null, v9, v3, vcc_lo
	v_cmp_gt_u64_e32 vcc_lo, v[4:5], v[10:11]
	v_cmp_lt_u64_e64 s0, v[10:11], v[6:7]
	v_cndmask_b32_e64 v5, v5, 0, vcc_lo
	v_cndmask_b32_e64 v4, v4, 0, vcc_lo
	v_cndmask_b32_e64 v7, v7, v11, s0
	v_cndmask_b32_e64 v6, v6, v10, s0
	s_mov_b32 s0, exec_lo
	v_cmpx_lt_u64_e64 v[4:5], v[6:7]
	s_cbranch_execz .LBB847_5
; %bb.2:
	s_load_dwordx2 s[2:3], s[4:5], 0x18
	v_lshlrev_b64 v[8:9], 2, v[8:9]
	v_lshlrev_b64 v[12:13], 2, v[2:3]
	;; [unrolled: 1-line block ×3, first 2 shown]
	s_waitcnt lgkmcnt(0)
	v_add_co_u32 v14, vcc_lo, s2, v8
	v_add_co_ci_u32_e64 v15, null, s3, v9, vcc_lo
	v_add_co_u32 v1, vcc_lo, s2, v12
	v_add_co_ci_u32_e64 v8, null, s3, v13, vcc_lo
	;; [unrolled: 2-line block ×3, first 2 shown]
.LBB847_3:                              ; =>This Inner Loop Header: Depth=1
	v_add_co_u32 v11, vcc_lo, v6, v4
	v_add_co_ci_u32_e64 v12, null, v7, v5, vcc_lo
	v_lshrrev_b64 v[11:12], 1, v[11:12]
	v_lshlrev_b64 v[13:14], 2, v[11:12]
	v_xor_b32_e32 v15, -4, v13
	v_xor_b32_e32 v16, -1, v14
	v_add_co_u32 v13, vcc_lo, v1, v13
	v_add_co_ci_u32_e64 v14, null, v8, v14, vcc_lo
	v_add_co_u32 v15, vcc_lo, v9, v15
	v_add_co_ci_u32_e64 v16, null, v10, v16, vcc_lo
	flat_load_dword v13, v[13:14]
	flat_load_dword v15, v[15:16]
	s_waitcnt vmcnt(1) lgkmcnt(1)
	v_ashrrev_i32_e32 v14, 31, v13
	s_waitcnt vmcnt(0) lgkmcnt(0)
	v_ashrrev_i32_e32 v16, 31, v15
	v_lshlrev_b64 v[13:14], 2, v[13:14]
	v_lshlrev_b64 v[15:16], 2, v[15:16]
	v_add_co_u32 v13, vcc_lo, s8, v13
	v_add_co_ci_u32_e64 v14, null, s9, v14, vcc_lo
	v_add_co_u32 v15, vcc_lo, s8, v15
	v_add_co_ci_u32_e64 v16, null, s9, v16, vcc_lo
	s_clause 0x1
	global_load_dword v15, v[15:16], off
	global_load_dword v13, v[13:14], off
	v_add_co_u32 v14, vcc_lo, v11, 1
	v_add_co_ci_u32_e64 v16, null, 0, v12, vcc_lo
	s_waitcnt vmcnt(0)
	v_cmp_lt_u32_e32 vcc_lo, v15, v13
	v_cndmask_b32_e32 v7, v7, v12, vcc_lo
	v_cndmask_b32_e32 v6, v6, v11, vcc_lo
	;; [unrolled: 1-line block ×4, first 2 shown]
	v_cmp_ge_u64_e32 vcc_lo, v[4:5], v[6:7]
	s_or_b32 s1, vcc_lo, s1
	s_andn2_b32 exec_lo, exec_lo, s1
	s_cbranch_execnz .LBB847_3
; %bb.4:
	s_or_b32 exec_lo, exec_lo, s1
.LBB847_5:
	s_or_b32 exec_lo, exec_lo, s0
	v_mov_b32_e32 v1, 0
	v_add_co_u32 v2, vcc_lo, v4, v2
	v_add_co_ci_u32_e64 v3, null, v5, v3, vcc_lo
	v_lshlrev_b64 v[0:1], 3, v[0:1]
	v_add_co_u32 v0, vcc_lo, s10, v0
	v_add_co_ci_u32_e64 v1, null, s11, v1, vcc_lo
	global_store_dwordx2 v[0:1], v[2:3], off
.LBB847_6:
	s_endpgm
	.section	.rodata,"a",@progbits
	.p2align	6, 0x0
	.amdhsa_kernel _ZN7rocprim17ROCPRIM_400000_NS6detail17trampoline_kernelINS0_14default_configENS1_38merge_sort_block_merge_config_selectorIjNS0_10empty_typeEEEZZNS1_27merge_sort_block_merge_implIS3_N6thrust23THRUST_200600_302600_NS6detail15normal_iteratorINS9_10device_ptrIjEEEEPS5_m9comp_mod3IjEEE10hipError_tT0_T1_T2_jT3_P12ihipStream_tbPNSt15iterator_traitsISJ_E10value_typeEPNSP_ISK_E10value_typeEPSL_NS1_7vsmem_tEENKUlT_SJ_SK_SL_E_clISE_PjSF_SF_EESI_SY_SJ_SK_SL_EUlSY_E_NS1_11comp_targetILNS1_3genE8ELNS1_11target_archE1030ELNS1_3gpuE2ELNS1_3repE0EEENS1_48merge_mergepath_partition_config_static_selectorELNS0_4arch9wavefront6targetE0EEEvSK_
		.amdhsa_group_segment_fixed_size 0
		.amdhsa_private_segment_fixed_size 0
		.amdhsa_kernarg_size 48
		.amdhsa_user_sgpr_count 6
		.amdhsa_user_sgpr_private_segment_buffer 1
		.amdhsa_user_sgpr_dispatch_ptr 0
		.amdhsa_user_sgpr_queue_ptr 0
		.amdhsa_user_sgpr_kernarg_segment_ptr 1
		.amdhsa_user_sgpr_dispatch_id 0
		.amdhsa_user_sgpr_flat_scratch_init 0
		.amdhsa_user_sgpr_private_segment_size 0
		.amdhsa_wavefront_size32 1
		.amdhsa_uses_dynamic_stack 0
		.amdhsa_system_sgpr_private_segment_wavefront_offset 0
		.amdhsa_system_sgpr_workgroup_id_x 1
		.amdhsa_system_sgpr_workgroup_id_y 0
		.amdhsa_system_sgpr_workgroup_id_z 0
		.amdhsa_system_sgpr_workgroup_info 0
		.amdhsa_system_vgpr_workitem_id 0
		.amdhsa_next_free_vgpr 17
		.amdhsa_next_free_sgpr 12
		.amdhsa_reserve_vcc 1
		.amdhsa_reserve_flat_scratch 0
		.amdhsa_float_round_mode_32 0
		.amdhsa_float_round_mode_16_64 0
		.amdhsa_float_denorm_mode_32 3
		.amdhsa_float_denorm_mode_16_64 3
		.amdhsa_dx10_clamp 1
		.amdhsa_ieee_mode 1
		.amdhsa_fp16_overflow 0
		.amdhsa_workgroup_processor_mode 1
		.amdhsa_memory_ordered 1
		.amdhsa_forward_progress 1
		.amdhsa_shared_vgpr_count 0
		.amdhsa_exception_fp_ieee_invalid_op 0
		.amdhsa_exception_fp_denorm_src 0
		.amdhsa_exception_fp_ieee_div_zero 0
		.amdhsa_exception_fp_ieee_overflow 0
		.amdhsa_exception_fp_ieee_underflow 0
		.amdhsa_exception_fp_ieee_inexact 0
		.amdhsa_exception_int_div_zero 0
	.end_amdhsa_kernel
	.section	.text._ZN7rocprim17ROCPRIM_400000_NS6detail17trampoline_kernelINS0_14default_configENS1_38merge_sort_block_merge_config_selectorIjNS0_10empty_typeEEEZZNS1_27merge_sort_block_merge_implIS3_N6thrust23THRUST_200600_302600_NS6detail15normal_iteratorINS9_10device_ptrIjEEEEPS5_m9comp_mod3IjEEE10hipError_tT0_T1_T2_jT3_P12ihipStream_tbPNSt15iterator_traitsISJ_E10value_typeEPNSP_ISK_E10value_typeEPSL_NS1_7vsmem_tEENKUlT_SJ_SK_SL_E_clISE_PjSF_SF_EESI_SY_SJ_SK_SL_EUlSY_E_NS1_11comp_targetILNS1_3genE8ELNS1_11target_archE1030ELNS1_3gpuE2ELNS1_3repE0EEENS1_48merge_mergepath_partition_config_static_selectorELNS0_4arch9wavefront6targetE0EEEvSK_,"axG",@progbits,_ZN7rocprim17ROCPRIM_400000_NS6detail17trampoline_kernelINS0_14default_configENS1_38merge_sort_block_merge_config_selectorIjNS0_10empty_typeEEEZZNS1_27merge_sort_block_merge_implIS3_N6thrust23THRUST_200600_302600_NS6detail15normal_iteratorINS9_10device_ptrIjEEEEPS5_m9comp_mod3IjEEE10hipError_tT0_T1_T2_jT3_P12ihipStream_tbPNSt15iterator_traitsISJ_E10value_typeEPNSP_ISK_E10value_typeEPSL_NS1_7vsmem_tEENKUlT_SJ_SK_SL_E_clISE_PjSF_SF_EESI_SY_SJ_SK_SL_EUlSY_E_NS1_11comp_targetILNS1_3genE8ELNS1_11target_archE1030ELNS1_3gpuE2ELNS1_3repE0EEENS1_48merge_mergepath_partition_config_static_selectorELNS0_4arch9wavefront6targetE0EEEvSK_,comdat
.Lfunc_end847:
	.size	_ZN7rocprim17ROCPRIM_400000_NS6detail17trampoline_kernelINS0_14default_configENS1_38merge_sort_block_merge_config_selectorIjNS0_10empty_typeEEEZZNS1_27merge_sort_block_merge_implIS3_N6thrust23THRUST_200600_302600_NS6detail15normal_iteratorINS9_10device_ptrIjEEEEPS5_m9comp_mod3IjEEE10hipError_tT0_T1_T2_jT3_P12ihipStream_tbPNSt15iterator_traitsISJ_E10value_typeEPNSP_ISK_E10value_typeEPSL_NS1_7vsmem_tEENKUlT_SJ_SK_SL_E_clISE_PjSF_SF_EESI_SY_SJ_SK_SL_EUlSY_E_NS1_11comp_targetILNS1_3genE8ELNS1_11target_archE1030ELNS1_3gpuE2ELNS1_3repE0EEENS1_48merge_mergepath_partition_config_static_selectorELNS0_4arch9wavefront6targetE0EEEvSK_, .Lfunc_end847-_ZN7rocprim17ROCPRIM_400000_NS6detail17trampoline_kernelINS0_14default_configENS1_38merge_sort_block_merge_config_selectorIjNS0_10empty_typeEEEZZNS1_27merge_sort_block_merge_implIS3_N6thrust23THRUST_200600_302600_NS6detail15normal_iteratorINS9_10device_ptrIjEEEEPS5_m9comp_mod3IjEEE10hipError_tT0_T1_T2_jT3_P12ihipStream_tbPNSt15iterator_traitsISJ_E10value_typeEPNSP_ISK_E10value_typeEPSL_NS1_7vsmem_tEENKUlT_SJ_SK_SL_E_clISE_PjSF_SF_EESI_SY_SJ_SK_SL_EUlSY_E_NS1_11comp_targetILNS1_3genE8ELNS1_11target_archE1030ELNS1_3gpuE2ELNS1_3repE0EEENS1_48merge_mergepath_partition_config_static_selectorELNS0_4arch9wavefront6targetE0EEEvSK_
                                        ; -- End function
	.set _ZN7rocprim17ROCPRIM_400000_NS6detail17trampoline_kernelINS0_14default_configENS1_38merge_sort_block_merge_config_selectorIjNS0_10empty_typeEEEZZNS1_27merge_sort_block_merge_implIS3_N6thrust23THRUST_200600_302600_NS6detail15normal_iteratorINS9_10device_ptrIjEEEEPS5_m9comp_mod3IjEEE10hipError_tT0_T1_T2_jT3_P12ihipStream_tbPNSt15iterator_traitsISJ_E10value_typeEPNSP_ISK_E10value_typeEPSL_NS1_7vsmem_tEENKUlT_SJ_SK_SL_E_clISE_PjSF_SF_EESI_SY_SJ_SK_SL_EUlSY_E_NS1_11comp_targetILNS1_3genE8ELNS1_11target_archE1030ELNS1_3gpuE2ELNS1_3repE0EEENS1_48merge_mergepath_partition_config_static_selectorELNS0_4arch9wavefront6targetE0EEEvSK_.num_vgpr, 17
	.set _ZN7rocprim17ROCPRIM_400000_NS6detail17trampoline_kernelINS0_14default_configENS1_38merge_sort_block_merge_config_selectorIjNS0_10empty_typeEEEZZNS1_27merge_sort_block_merge_implIS3_N6thrust23THRUST_200600_302600_NS6detail15normal_iteratorINS9_10device_ptrIjEEEEPS5_m9comp_mod3IjEEE10hipError_tT0_T1_T2_jT3_P12ihipStream_tbPNSt15iterator_traitsISJ_E10value_typeEPNSP_ISK_E10value_typeEPSL_NS1_7vsmem_tEENKUlT_SJ_SK_SL_E_clISE_PjSF_SF_EESI_SY_SJ_SK_SL_EUlSY_E_NS1_11comp_targetILNS1_3genE8ELNS1_11target_archE1030ELNS1_3gpuE2ELNS1_3repE0EEENS1_48merge_mergepath_partition_config_static_selectorELNS0_4arch9wavefront6targetE0EEEvSK_.num_agpr, 0
	.set _ZN7rocprim17ROCPRIM_400000_NS6detail17trampoline_kernelINS0_14default_configENS1_38merge_sort_block_merge_config_selectorIjNS0_10empty_typeEEEZZNS1_27merge_sort_block_merge_implIS3_N6thrust23THRUST_200600_302600_NS6detail15normal_iteratorINS9_10device_ptrIjEEEEPS5_m9comp_mod3IjEEE10hipError_tT0_T1_T2_jT3_P12ihipStream_tbPNSt15iterator_traitsISJ_E10value_typeEPNSP_ISK_E10value_typeEPSL_NS1_7vsmem_tEENKUlT_SJ_SK_SL_E_clISE_PjSF_SF_EESI_SY_SJ_SK_SL_EUlSY_E_NS1_11comp_targetILNS1_3genE8ELNS1_11target_archE1030ELNS1_3gpuE2ELNS1_3repE0EEENS1_48merge_mergepath_partition_config_static_selectorELNS0_4arch9wavefront6targetE0EEEvSK_.numbered_sgpr, 12
	.set _ZN7rocprim17ROCPRIM_400000_NS6detail17trampoline_kernelINS0_14default_configENS1_38merge_sort_block_merge_config_selectorIjNS0_10empty_typeEEEZZNS1_27merge_sort_block_merge_implIS3_N6thrust23THRUST_200600_302600_NS6detail15normal_iteratorINS9_10device_ptrIjEEEEPS5_m9comp_mod3IjEEE10hipError_tT0_T1_T2_jT3_P12ihipStream_tbPNSt15iterator_traitsISJ_E10value_typeEPNSP_ISK_E10value_typeEPSL_NS1_7vsmem_tEENKUlT_SJ_SK_SL_E_clISE_PjSF_SF_EESI_SY_SJ_SK_SL_EUlSY_E_NS1_11comp_targetILNS1_3genE8ELNS1_11target_archE1030ELNS1_3gpuE2ELNS1_3repE0EEENS1_48merge_mergepath_partition_config_static_selectorELNS0_4arch9wavefront6targetE0EEEvSK_.num_named_barrier, 0
	.set _ZN7rocprim17ROCPRIM_400000_NS6detail17trampoline_kernelINS0_14default_configENS1_38merge_sort_block_merge_config_selectorIjNS0_10empty_typeEEEZZNS1_27merge_sort_block_merge_implIS3_N6thrust23THRUST_200600_302600_NS6detail15normal_iteratorINS9_10device_ptrIjEEEEPS5_m9comp_mod3IjEEE10hipError_tT0_T1_T2_jT3_P12ihipStream_tbPNSt15iterator_traitsISJ_E10value_typeEPNSP_ISK_E10value_typeEPSL_NS1_7vsmem_tEENKUlT_SJ_SK_SL_E_clISE_PjSF_SF_EESI_SY_SJ_SK_SL_EUlSY_E_NS1_11comp_targetILNS1_3genE8ELNS1_11target_archE1030ELNS1_3gpuE2ELNS1_3repE0EEENS1_48merge_mergepath_partition_config_static_selectorELNS0_4arch9wavefront6targetE0EEEvSK_.private_seg_size, 0
	.set _ZN7rocprim17ROCPRIM_400000_NS6detail17trampoline_kernelINS0_14default_configENS1_38merge_sort_block_merge_config_selectorIjNS0_10empty_typeEEEZZNS1_27merge_sort_block_merge_implIS3_N6thrust23THRUST_200600_302600_NS6detail15normal_iteratorINS9_10device_ptrIjEEEEPS5_m9comp_mod3IjEEE10hipError_tT0_T1_T2_jT3_P12ihipStream_tbPNSt15iterator_traitsISJ_E10value_typeEPNSP_ISK_E10value_typeEPSL_NS1_7vsmem_tEENKUlT_SJ_SK_SL_E_clISE_PjSF_SF_EESI_SY_SJ_SK_SL_EUlSY_E_NS1_11comp_targetILNS1_3genE8ELNS1_11target_archE1030ELNS1_3gpuE2ELNS1_3repE0EEENS1_48merge_mergepath_partition_config_static_selectorELNS0_4arch9wavefront6targetE0EEEvSK_.uses_vcc, 1
	.set _ZN7rocprim17ROCPRIM_400000_NS6detail17trampoline_kernelINS0_14default_configENS1_38merge_sort_block_merge_config_selectorIjNS0_10empty_typeEEEZZNS1_27merge_sort_block_merge_implIS3_N6thrust23THRUST_200600_302600_NS6detail15normal_iteratorINS9_10device_ptrIjEEEEPS5_m9comp_mod3IjEEE10hipError_tT0_T1_T2_jT3_P12ihipStream_tbPNSt15iterator_traitsISJ_E10value_typeEPNSP_ISK_E10value_typeEPSL_NS1_7vsmem_tEENKUlT_SJ_SK_SL_E_clISE_PjSF_SF_EESI_SY_SJ_SK_SL_EUlSY_E_NS1_11comp_targetILNS1_3genE8ELNS1_11target_archE1030ELNS1_3gpuE2ELNS1_3repE0EEENS1_48merge_mergepath_partition_config_static_selectorELNS0_4arch9wavefront6targetE0EEEvSK_.uses_flat_scratch, 0
	.set _ZN7rocprim17ROCPRIM_400000_NS6detail17trampoline_kernelINS0_14default_configENS1_38merge_sort_block_merge_config_selectorIjNS0_10empty_typeEEEZZNS1_27merge_sort_block_merge_implIS3_N6thrust23THRUST_200600_302600_NS6detail15normal_iteratorINS9_10device_ptrIjEEEEPS5_m9comp_mod3IjEEE10hipError_tT0_T1_T2_jT3_P12ihipStream_tbPNSt15iterator_traitsISJ_E10value_typeEPNSP_ISK_E10value_typeEPSL_NS1_7vsmem_tEENKUlT_SJ_SK_SL_E_clISE_PjSF_SF_EESI_SY_SJ_SK_SL_EUlSY_E_NS1_11comp_targetILNS1_3genE8ELNS1_11target_archE1030ELNS1_3gpuE2ELNS1_3repE0EEENS1_48merge_mergepath_partition_config_static_selectorELNS0_4arch9wavefront6targetE0EEEvSK_.has_dyn_sized_stack, 0
	.set _ZN7rocprim17ROCPRIM_400000_NS6detail17trampoline_kernelINS0_14default_configENS1_38merge_sort_block_merge_config_selectorIjNS0_10empty_typeEEEZZNS1_27merge_sort_block_merge_implIS3_N6thrust23THRUST_200600_302600_NS6detail15normal_iteratorINS9_10device_ptrIjEEEEPS5_m9comp_mod3IjEEE10hipError_tT0_T1_T2_jT3_P12ihipStream_tbPNSt15iterator_traitsISJ_E10value_typeEPNSP_ISK_E10value_typeEPSL_NS1_7vsmem_tEENKUlT_SJ_SK_SL_E_clISE_PjSF_SF_EESI_SY_SJ_SK_SL_EUlSY_E_NS1_11comp_targetILNS1_3genE8ELNS1_11target_archE1030ELNS1_3gpuE2ELNS1_3repE0EEENS1_48merge_mergepath_partition_config_static_selectorELNS0_4arch9wavefront6targetE0EEEvSK_.has_recursion, 0
	.set _ZN7rocprim17ROCPRIM_400000_NS6detail17trampoline_kernelINS0_14default_configENS1_38merge_sort_block_merge_config_selectorIjNS0_10empty_typeEEEZZNS1_27merge_sort_block_merge_implIS3_N6thrust23THRUST_200600_302600_NS6detail15normal_iteratorINS9_10device_ptrIjEEEEPS5_m9comp_mod3IjEEE10hipError_tT0_T1_T2_jT3_P12ihipStream_tbPNSt15iterator_traitsISJ_E10value_typeEPNSP_ISK_E10value_typeEPSL_NS1_7vsmem_tEENKUlT_SJ_SK_SL_E_clISE_PjSF_SF_EESI_SY_SJ_SK_SL_EUlSY_E_NS1_11comp_targetILNS1_3genE8ELNS1_11target_archE1030ELNS1_3gpuE2ELNS1_3repE0EEENS1_48merge_mergepath_partition_config_static_selectorELNS0_4arch9wavefront6targetE0EEEvSK_.has_indirect_call, 0
	.section	.AMDGPU.csdata,"",@progbits
; Kernel info:
; codeLenInByte = 716
; TotalNumSgprs: 14
; NumVgprs: 17
; ScratchSize: 0
; MemoryBound: 0
; FloatMode: 240
; IeeeMode: 1
; LDSByteSize: 0 bytes/workgroup (compile time only)
; SGPRBlocks: 0
; VGPRBlocks: 2
; NumSGPRsForWavesPerEU: 14
; NumVGPRsForWavesPerEU: 17
; Occupancy: 16
; WaveLimiterHint : 1
; COMPUTE_PGM_RSRC2:SCRATCH_EN: 0
; COMPUTE_PGM_RSRC2:USER_SGPR: 6
; COMPUTE_PGM_RSRC2:TRAP_HANDLER: 0
; COMPUTE_PGM_RSRC2:TGID_X_EN: 1
; COMPUTE_PGM_RSRC2:TGID_Y_EN: 0
; COMPUTE_PGM_RSRC2:TGID_Z_EN: 0
; COMPUTE_PGM_RSRC2:TIDIG_COMP_CNT: 0
	.section	.text._ZN7rocprim17ROCPRIM_400000_NS6detail17trampoline_kernelINS0_14default_configENS1_38merge_sort_block_merge_config_selectorIjNS0_10empty_typeEEEZZNS1_27merge_sort_block_merge_implIS3_N6thrust23THRUST_200600_302600_NS6detail15normal_iteratorINS9_10device_ptrIjEEEEPS5_m9comp_mod3IjEEE10hipError_tT0_T1_T2_jT3_P12ihipStream_tbPNSt15iterator_traitsISJ_E10value_typeEPNSP_ISK_E10value_typeEPSL_NS1_7vsmem_tEENKUlT_SJ_SK_SL_E_clISE_PjSF_SF_EESI_SY_SJ_SK_SL_EUlSY_E0_NS1_11comp_targetILNS1_3genE0ELNS1_11target_archE4294967295ELNS1_3gpuE0ELNS1_3repE0EEENS1_38merge_mergepath_config_static_selectorELNS0_4arch9wavefront6targetE0EEEvSK_,"axG",@progbits,_ZN7rocprim17ROCPRIM_400000_NS6detail17trampoline_kernelINS0_14default_configENS1_38merge_sort_block_merge_config_selectorIjNS0_10empty_typeEEEZZNS1_27merge_sort_block_merge_implIS3_N6thrust23THRUST_200600_302600_NS6detail15normal_iteratorINS9_10device_ptrIjEEEEPS5_m9comp_mod3IjEEE10hipError_tT0_T1_T2_jT3_P12ihipStream_tbPNSt15iterator_traitsISJ_E10value_typeEPNSP_ISK_E10value_typeEPSL_NS1_7vsmem_tEENKUlT_SJ_SK_SL_E_clISE_PjSF_SF_EESI_SY_SJ_SK_SL_EUlSY_E0_NS1_11comp_targetILNS1_3genE0ELNS1_11target_archE4294967295ELNS1_3gpuE0ELNS1_3repE0EEENS1_38merge_mergepath_config_static_selectorELNS0_4arch9wavefront6targetE0EEEvSK_,comdat
	.protected	_ZN7rocprim17ROCPRIM_400000_NS6detail17trampoline_kernelINS0_14default_configENS1_38merge_sort_block_merge_config_selectorIjNS0_10empty_typeEEEZZNS1_27merge_sort_block_merge_implIS3_N6thrust23THRUST_200600_302600_NS6detail15normal_iteratorINS9_10device_ptrIjEEEEPS5_m9comp_mod3IjEEE10hipError_tT0_T1_T2_jT3_P12ihipStream_tbPNSt15iterator_traitsISJ_E10value_typeEPNSP_ISK_E10value_typeEPSL_NS1_7vsmem_tEENKUlT_SJ_SK_SL_E_clISE_PjSF_SF_EESI_SY_SJ_SK_SL_EUlSY_E0_NS1_11comp_targetILNS1_3genE0ELNS1_11target_archE4294967295ELNS1_3gpuE0ELNS1_3repE0EEENS1_38merge_mergepath_config_static_selectorELNS0_4arch9wavefront6targetE0EEEvSK_ ; -- Begin function _ZN7rocprim17ROCPRIM_400000_NS6detail17trampoline_kernelINS0_14default_configENS1_38merge_sort_block_merge_config_selectorIjNS0_10empty_typeEEEZZNS1_27merge_sort_block_merge_implIS3_N6thrust23THRUST_200600_302600_NS6detail15normal_iteratorINS9_10device_ptrIjEEEEPS5_m9comp_mod3IjEEE10hipError_tT0_T1_T2_jT3_P12ihipStream_tbPNSt15iterator_traitsISJ_E10value_typeEPNSP_ISK_E10value_typeEPSL_NS1_7vsmem_tEENKUlT_SJ_SK_SL_E_clISE_PjSF_SF_EESI_SY_SJ_SK_SL_EUlSY_E0_NS1_11comp_targetILNS1_3genE0ELNS1_11target_archE4294967295ELNS1_3gpuE0ELNS1_3repE0EEENS1_38merge_mergepath_config_static_selectorELNS0_4arch9wavefront6targetE0EEEvSK_
	.globl	_ZN7rocprim17ROCPRIM_400000_NS6detail17trampoline_kernelINS0_14default_configENS1_38merge_sort_block_merge_config_selectorIjNS0_10empty_typeEEEZZNS1_27merge_sort_block_merge_implIS3_N6thrust23THRUST_200600_302600_NS6detail15normal_iteratorINS9_10device_ptrIjEEEEPS5_m9comp_mod3IjEEE10hipError_tT0_T1_T2_jT3_P12ihipStream_tbPNSt15iterator_traitsISJ_E10value_typeEPNSP_ISK_E10value_typeEPSL_NS1_7vsmem_tEENKUlT_SJ_SK_SL_E_clISE_PjSF_SF_EESI_SY_SJ_SK_SL_EUlSY_E0_NS1_11comp_targetILNS1_3genE0ELNS1_11target_archE4294967295ELNS1_3gpuE0ELNS1_3repE0EEENS1_38merge_mergepath_config_static_selectorELNS0_4arch9wavefront6targetE0EEEvSK_
	.p2align	8
	.type	_ZN7rocprim17ROCPRIM_400000_NS6detail17trampoline_kernelINS0_14default_configENS1_38merge_sort_block_merge_config_selectorIjNS0_10empty_typeEEEZZNS1_27merge_sort_block_merge_implIS3_N6thrust23THRUST_200600_302600_NS6detail15normal_iteratorINS9_10device_ptrIjEEEEPS5_m9comp_mod3IjEEE10hipError_tT0_T1_T2_jT3_P12ihipStream_tbPNSt15iterator_traitsISJ_E10value_typeEPNSP_ISK_E10value_typeEPSL_NS1_7vsmem_tEENKUlT_SJ_SK_SL_E_clISE_PjSF_SF_EESI_SY_SJ_SK_SL_EUlSY_E0_NS1_11comp_targetILNS1_3genE0ELNS1_11target_archE4294967295ELNS1_3gpuE0ELNS1_3repE0EEENS1_38merge_mergepath_config_static_selectorELNS0_4arch9wavefront6targetE0EEEvSK_,@function
_ZN7rocprim17ROCPRIM_400000_NS6detail17trampoline_kernelINS0_14default_configENS1_38merge_sort_block_merge_config_selectorIjNS0_10empty_typeEEEZZNS1_27merge_sort_block_merge_implIS3_N6thrust23THRUST_200600_302600_NS6detail15normal_iteratorINS9_10device_ptrIjEEEEPS5_m9comp_mod3IjEEE10hipError_tT0_T1_T2_jT3_P12ihipStream_tbPNSt15iterator_traitsISJ_E10value_typeEPNSP_ISK_E10value_typeEPSL_NS1_7vsmem_tEENKUlT_SJ_SK_SL_E_clISE_PjSF_SF_EESI_SY_SJ_SK_SL_EUlSY_E0_NS1_11comp_targetILNS1_3genE0ELNS1_11target_archE4294967295ELNS1_3gpuE0ELNS1_3repE0EEENS1_38merge_mergepath_config_static_selectorELNS0_4arch9wavefront6targetE0EEEvSK_: ; @_ZN7rocprim17ROCPRIM_400000_NS6detail17trampoline_kernelINS0_14default_configENS1_38merge_sort_block_merge_config_selectorIjNS0_10empty_typeEEEZZNS1_27merge_sort_block_merge_implIS3_N6thrust23THRUST_200600_302600_NS6detail15normal_iteratorINS9_10device_ptrIjEEEEPS5_m9comp_mod3IjEEE10hipError_tT0_T1_T2_jT3_P12ihipStream_tbPNSt15iterator_traitsISJ_E10value_typeEPNSP_ISK_E10value_typeEPSL_NS1_7vsmem_tEENKUlT_SJ_SK_SL_E_clISE_PjSF_SF_EESI_SY_SJ_SK_SL_EUlSY_E0_NS1_11comp_targetILNS1_3genE0ELNS1_11target_archE4294967295ELNS1_3gpuE0ELNS1_3repE0EEENS1_38merge_mergepath_config_static_selectorELNS0_4arch9wavefront6targetE0EEEvSK_
; %bb.0:
	.section	.rodata,"a",@progbits
	.p2align	6, 0x0
	.amdhsa_kernel _ZN7rocprim17ROCPRIM_400000_NS6detail17trampoline_kernelINS0_14default_configENS1_38merge_sort_block_merge_config_selectorIjNS0_10empty_typeEEEZZNS1_27merge_sort_block_merge_implIS3_N6thrust23THRUST_200600_302600_NS6detail15normal_iteratorINS9_10device_ptrIjEEEEPS5_m9comp_mod3IjEEE10hipError_tT0_T1_T2_jT3_P12ihipStream_tbPNSt15iterator_traitsISJ_E10value_typeEPNSP_ISK_E10value_typeEPSL_NS1_7vsmem_tEENKUlT_SJ_SK_SL_E_clISE_PjSF_SF_EESI_SY_SJ_SK_SL_EUlSY_E0_NS1_11comp_targetILNS1_3genE0ELNS1_11target_archE4294967295ELNS1_3gpuE0ELNS1_3repE0EEENS1_38merge_mergepath_config_static_selectorELNS0_4arch9wavefront6targetE0EEEvSK_
		.amdhsa_group_segment_fixed_size 0
		.amdhsa_private_segment_fixed_size 0
		.amdhsa_kernarg_size 80
		.amdhsa_user_sgpr_count 6
		.amdhsa_user_sgpr_private_segment_buffer 1
		.amdhsa_user_sgpr_dispatch_ptr 0
		.amdhsa_user_sgpr_queue_ptr 0
		.amdhsa_user_sgpr_kernarg_segment_ptr 1
		.amdhsa_user_sgpr_dispatch_id 0
		.amdhsa_user_sgpr_flat_scratch_init 0
		.amdhsa_user_sgpr_private_segment_size 0
		.amdhsa_wavefront_size32 1
		.amdhsa_uses_dynamic_stack 0
		.amdhsa_system_sgpr_private_segment_wavefront_offset 0
		.amdhsa_system_sgpr_workgroup_id_x 1
		.amdhsa_system_sgpr_workgroup_id_y 0
		.amdhsa_system_sgpr_workgroup_id_z 0
		.amdhsa_system_sgpr_workgroup_info 0
		.amdhsa_system_vgpr_workitem_id 0
		.amdhsa_next_free_vgpr 1
		.amdhsa_next_free_sgpr 1
		.amdhsa_reserve_vcc 0
		.amdhsa_reserve_flat_scratch 0
		.amdhsa_float_round_mode_32 0
		.amdhsa_float_round_mode_16_64 0
		.amdhsa_float_denorm_mode_32 3
		.amdhsa_float_denorm_mode_16_64 3
		.amdhsa_dx10_clamp 1
		.amdhsa_ieee_mode 1
		.amdhsa_fp16_overflow 0
		.amdhsa_workgroup_processor_mode 1
		.amdhsa_memory_ordered 1
		.amdhsa_forward_progress 1
		.amdhsa_shared_vgpr_count 0
		.amdhsa_exception_fp_ieee_invalid_op 0
		.amdhsa_exception_fp_denorm_src 0
		.amdhsa_exception_fp_ieee_div_zero 0
		.amdhsa_exception_fp_ieee_overflow 0
		.amdhsa_exception_fp_ieee_underflow 0
		.amdhsa_exception_fp_ieee_inexact 0
		.amdhsa_exception_int_div_zero 0
	.end_amdhsa_kernel
	.section	.text._ZN7rocprim17ROCPRIM_400000_NS6detail17trampoline_kernelINS0_14default_configENS1_38merge_sort_block_merge_config_selectorIjNS0_10empty_typeEEEZZNS1_27merge_sort_block_merge_implIS3_N6thrust23THRUST_200600_302600_NS6detail15normal_iteratorINS9_10device_ptrIjEEEEPS5_m9comp_mod3IjEEE10hipError_tT0_T1_T2_jT3_P12ihipStream_tbPNSt15iterator_traitsISJ_E10value_typeEPNSP_ISK_E10value_typeEPSL_NS1_7vsmem_tEENKUlT_SJ_SK_SL_E_clISE_PjSF_SF_EESI_SY_SJ_SK_SL_EUlSY_E0_NS1_11comp_targetILNS1_3genE0ELNS1_11target_archE4294967295ELNS1_3gpuE0ELNS1_3repE0EEENS1_38merge_mergepath_config_static_selectorELNS0_4arch9wavefront6targetE0EEEvSK_,"axG",@progbits,_ZN7rocprim17ROCPRIM_400000_NS6detail17trampoline_kernelINS0_14default_configENS1_38merge_sort_block_merge_config_selectorIjNS0_10empty_typeEEEZZNS1_27merge_sort_block_merge_implIS3_N6thrust23THRUST_200600_302600_NS6detail15normal_iteratorINS9_10device_ptrIjEEEEPS5_m9comp_mod3IjEEE10hipError_tT0_T1_T2_jT3_P12ihipStream_tbPNSt15iterator_traitsISJ_E10value_typeEPNSP_ISK_E10value_typeEPSL_NS1_7vsmem_tEENKUlT_SJ_SK_SL_E_clISE_PjSF_SF_EESI_SY_SJ_SK_SL_EUlSY_E0_NS1_11comp_targetILNS1_3genE0ELNS1_11target_archE4294967295ELNS1_3gpuE0ELNS1_3repE0EEENS1_38merge_mergepath_config_static_selectorELNS0_4arch9wavefront6targetE0EEEvSK_,comdat
.Lfunc_end848:
	.size	_ZN7rocprim17ROCPRIM_400000_NS6detail17trampoline_kernelINS0_14default_configENS1_38merge_sort_block_merge_config_selectorIjNS0_10empty_typeEEEZZNS1_27merge_sort_block_merge_implIS3_N6thrust23THRUST_200600_302600_NS6detail15normal_iteratorINS9_10device_ptrIjEEEEPS5_m9comp_mod3IjEEE10hipError_tT0_T1_T2_jT3_P12ihipStream_tbPNSt15iterator_traitsISJ_E10value_typeEPNSP_ISK_E10value_typeEPSL_NS1_7vsmem_tEENKUlT_SJ_SK_SL_E_clISE_PjSF_SF_EESI_SY_SJ_SK_SL_EUlSY_E0_NS1_11comp_targetILNS1_3genE0ELNS1_11target_archE4294967295ELNS1_3gpuE0ELNS1_3repE0EEENS1_38merge_mergepath_config_static_selectorELNS0_4arch9wavefront6targetE0EEEvSK_, .Lfunc_end848-_ZN7rocprim17ROCPRIM_400000_NS6detail17trampoline_kernelINS0_14default_configENS1_38merge_sort_block_merge_config_selectorIjNS0_10empty_typeEEEZZNS1_27merge_sort_block_merge_implIS3_N6thrust23THRUST_200600_302600_NS6detail15normal_iteratorINS9_10device_ptrIjEEEEPS5_m9comp_mod3IjEEE10hipError_tT0_T1_T2_jT3_P12ihipStream_tbPNSt15iterator_traitsISJ_E10value_typeEPNSP_ISK_E10value_typeEPSL_NS1_7vsmem_tEENKUlT_SJ_SK_SL_E_clISE_PjSF_SF_EESI_SY_SJ_SK_SL_EUlSY_E0_NS1_11comp_targetILNS1_3genE0ELNS1_11target_archE4294967295ELNS1_3gpuE0ELNS1_3repE0EEENS1_38merge_mergepath_config_static_selectorELNS0_4arch9wavefront6targetE0EEEvSK_
                                        ; -- End function
	.set _ZN7rocprim17ROCPRIM_400000_NS6detail17trampoline_kernelINS0_14default_configENS1_38merge_sort_block_merge_config_selectorIjNS0_10empty_typeEEEZZNS1_27merge_sort_block_merge_implIS3_N6thrust23THRUST_200600_302600_NS6detail15normal_iteratorINS9_10device_ptrIjEEEEPS5_m9comp_mod3IjEEE10hipError_tT0_T1_T2_jT3_P12ihipStream_tbPNSt15iterator_traitsISJ_E10value_typeEPNSP_ISK_E10value_typeEPSL_NS1_7vsmem_tEENKUlT_SJ_SK_SL_E_clISE_PjSF_SF_EESI_SY_SJ_SK_SL_EUlSY_E0_NS1_11comp_targetILNS1_3genE0ELNS1_11target_archE4294967295ELNS1_3gpuE0ELNS1_3repE0EEENS1_38merge_mergepath_config_static_selectorELNS0_4arch9wavefront6targetE0EEEvSK_.num_vgpr, 0
	.set _ZN7rocprim17ROCPRIM_400000_NS6detail17trampoline_kernelINS0_14default_configENS1_38merge_sort_block_merge_config_selectorIjNS0_10empty_typeEEEZZNS1_27merge_sort_block_merge_implIS3_N6thrust23THRUST_200600_302600_NS6detail15normal_iteratorINS9_10device_ptrIjEEEEPS5_m9comp_mod3IjEEE10hipError_tT0_T1_T2_jT3_P12ihipStream_tbPNSt15iterator_traitsISJ_E10value_typeEPNSP_ISK_E10value_typeEPSL_NS1_7vsmem_tEENKUlT_SJ_SK_SL_E_clISE_PjSF_SF_EESI_SY_SJ_SK_SL_EUlSY_E0_NS1_11comp_targetILNS1_3genE0ELNS1_11target_archE4294967295ELNS1_3gpuE0ELNS1_3repE0EEENS1_38merge_mergepath_config_static_selectorELNS0_4arch9wavefront6targetE0EEEvSK_.num_agpr, 0
	.set _ZN7rocprim17ROCPRIM_400000_NS6detail17trampoline_kernelINS0_14default_configENS1_38merge_sort_block_merge_config_selectorIjNS0_10empty_typeEEEZZNS1_27merge_sort_block_merge_implIS3_N6thrust23THRUST_200600_302600_NS6detail15normal_iteratorINS9_10device_ptrIjEEEEPS5_m9comp_mod3IjEEE10hipError_tT0_T1_T2_jT3_P12ihipStream_tbPNSt15iterator_traitsISJ_E10value_typeEPNSP_ISK_E10value_typeEPSL_NS1_7vsmem_tEENKUlT_SJ_SK_SL_E_clISE_PjSF_SF_EESI_SY_SJ_SK_SL_EUlSY_E0_NS1_11comp_targetILNS1_3genE0ELNS1_11target_archE4294967295ELNS1_3gpuE0ELNS1_3repE0EEENS1_38merge_mergepath_config_static_selectorELNS0_4arch9wavefront6targetE0EEEvSK_.numbered_sgpr, 0
	.set _ZN7rocprim17ROCPRIM_400000_NS6detail17trampoline_kernelINS0_14default_configENS1_38merge_sort_block_merge_config_selectorIjNS0_10empty_typeEEEZZNS1_27merge_sort_block_merge_implIS3_N6thrust23THRUST_200600_302600_NS6detail15normal_iteratorINS9_10device_ptrIjEEEEPS5_m9comp_mod3IjEEE10hipError_tT0_T1_T2_jT3_P12ihipStream_tbPNSt15iterator_traitsISJ_E10value_typeEPNSP_ISK_E10value_typeEPSL_NS1_7vsmem_tEENKUlT_SJ_SK_SL_E_clISE_PjSF_SF_EESI_SY_SJ_SK_SL_EUlSY_E0_NS1_11comp_targetILNS1_3genE0ELNS1_11target_archE4294967295ELNS1_3gpuE0ELNS1_3repE0EEENS1_38merge_mergepath_config_static_selectorELNS0_4arch9wavefront6targetE0EEEvSK_.num_named_barrier, 0
	.set _ZN7rocprim17ROCPRIM_400000_NS6detail17trampoline_kernelINS0_14default_configENS1_38merge_sort_block_merge_config_selectorIjNS0_10empty_typeEEEZZNS1_27merge_sort_block_merge_implIS3_N6thrust23THRUST_200600_302600_NS6detail15normal_iteratorINS9_10device_ptrIjEEEEPS5_m9comp_mod3IjEEE10hipError_tT0_T1_T2_jT3_P12ihipStream_tbPNSt15iterator_traitsISJ_E10value_typeEPNSP_ISK_E10value_typeEPSL_NS1_7vsmem_tEENKUlT_SJ_SK_SL_E_clISE_PjSF_SF_EESI_SY_SJ_SK_SL_EUlSY_E0_NS1_11comp_targetILNS1_3genE0ELNS1_11target_archE4294967295ELNS1_3gpuE0ELNS1_3repE0EEENS1_38merge_mergepath_config_static_selectorELNS0_4arch9wavefront6targetE0EEEvSK_.private_seg_size, 0
	.set _ZN7rocprim17ROCPRIM_400000_NS6detail17trampoline_kernelINS0_14default_configENS1_38merge_sort_block_merge_config_selectorIjNS0_10empty_typeEEEZZNS1_27merge_sort_block_merge_implIS3_N6thrust23THRUST_200600_302600_NS6detail15normal_iteratorINS9_10device_ptrIjEEEEPS5_m9comp_mod3IjEEE10hipError_tT0_T1_T2_jT3_P12ihipStream_tbPNSt15iterator_traitsISJ_E10value_typeEPNSP_ISK_E10value_typeEPSL_NS1_7vsmem_tEENKUlT_SJ_SK_SL_E_clISE_PjSF_SF_EESI_SY_SJ_SK_SL_EUlSY_E0_NS1_11comp_targetILNS1_3genE0ELNS1_11target_archE4294967295ELNS1_3gpuE0ELNS1_3repE0EEENS1_38merge_mergepath_config_static_selectorELNS0_4arch9wavefront6targetE0EEEvSK_.uses_vcc, 0
	.set _ZN7rocprim17ROCPRIM_400000_NS6detail17trampoline_kernelINS0_14default_configENS1_38merge_sort_block_merge_config_selectorIjNS0_10empty_typeEEEZZNS1_27merge_sort_block_merge_implIS3_N6thrust23THRUST_200600_302600_NS6detail15normal_iteratorINS9_10device_ptrIjEEEEPS5_m9comp_mod3IjEEE10hipError_tT0_T1_T2_jT3_P12ihipStream_tbPNSt15iterator_traitsISJ_E10value_typeEPNSP_ISK_E10value_typeEPSL_NS1_7vsmem_tEENKUlT_SJ_SK_SL_E_clISE_PjSF_SF_EESI_SY_SJ_SK_SL_EUlSY_E0_NS1_11comp_targetILNS1_3genE0ELNS1_11target_archE4294967295ELNS1_3gpuE0ELNS1_3repE0EEENS1_38merge_mergepath_config_static_selectorELNS0_4arch9wavefront6targetE0EEEvSK_.uses_flat_scratch, 0
	.set _ZN7rocprim17ROCPRIM_400000_NS6detail17trampoline_kernelINS0_14default_configENS1_38merge_sort_block_merge_config_selectorIjNS0_10empty_typeEEEZZNS1_27merge_sort_block_merge_implIS3_N6thrust23THRUST_200600_302600_NS6detail15normal_iteratorINS9_10device_ptrIjEEEEPS5_m9comp_mod3IjEEE10hipError_tT0_T1_T2_jT3_P12ihipStream_tbPNSt15iterator_traitsISJ_E10value_typeEPNSP_ISK_E10value_typeEPSL_NS1_7vsmem_tEENKUlT_SJ_SK_SL_E_clISE_PjSF_SF_EESI_SY_SJ_SK_SL_EUlSY_E0_NS1_11comp_targetILNS1_3genE0ELNS1_11target_archE4294967295ELNS1_3gpuE0ELNS1_3repE0EEENS1_38merge_mergepath_config_static_selectorELNS0_4arch9wavefront6targetE0EEEvSK_.has_dyn_sized_stack, 0
	.set _ZN7rocprim17ROCPRIM_400000_NS6detail17trampoline_kernelINS0_14default_configENS1_38merge_sort_block_merge_config_selectorIjNS0_10empty_typeEEEZZNS1_27merge_sort_block_merge_implIS3_N6thrust23THRUST_200600_302600_NS6detail15normal_iteratorINS9_10device_ptrIjEEEEPS5_m9comp_mod3IjEEE10hipError_tT0_T1_T2_jT3_P12ihipStream_tbPNSt15iterator_traitsISJ_E10value_typeEPNSP_ISK_E10value_typeEPSL_NS1_7vsmem_tEENKUlT_SJ_SK_SL_E_clISE_PjSF_SF_EESI_SY_SJ_SK_SL_EUlSY_E0_NS1_11comp_targetILNS1_3genE0ELNS1_11target_archE4294967295ELNS1_3gpuE0ELNS1_3repE0EEENS1_38merge_mergepath_config_static_selectorELNS0_4arch9wavefront6targetE0EEEvSK_.has_recursion, 0
	.set _ZN7rocprim17ROCPRIM_400000_NS6detail17trampoline_kernelINS0_14default_configENS1_38merge_sort_block_merge_config_selectorIjNS0_10empty_typeEEEZZNS1_27merge_sort_block_merge_implIS3_N6thrust23THRUST_200600_302600_NS6detail15normal_iteratorINS9_10device_ptrIjEEEEPS5_m9comp_mod3IjEEE10hipError_tT0_T1_T2_jT3_P12ihipStream_tbPNSt15iterator_traitsISJ_E10value_typeEPNSP_ISK_E10value_typeEPSL_NS1_7vsmem_tEENKUlT_SJ_SK_SL_E_clISE_PjSF_SF_EESI_SY_SJ_SK_SL_EUlSY_E0_NS1_11comp_targetILNS1_3genE0ELNS1_11target_archE4294967295ELNS1_3gpuE0ELNS1_3repE0EEENS1_38merge_mergepath_config_static_selectorELNS0_4arch9wavefront6targetE0EEEvSK_.has_indirect_call, 0
	.section	.AMDGPU.csdata,"",@progbits
; Kernel info:
; codeLenInByte = 0
; TotalNumSgprs: 0
; NumVgprs: 0
; ScratchSize: 0
; MemoryBound: 0
; FloatMode: 240
; IeeeMode: 1
; LDSByteSize: 0 bytes/workgroup (compile time only)
; SGPRBlocks: 0
; VGPRBlocks: 0
; NumSGPRsForWavesPerEU: 1
; NumVGPRsForWavesPerEU: 1
; Occupancy: 16
; WaveLimiterHint : 0
; COMPUTE_PGM_RSRC2:SCRATCH_EN: 0
; COMPUTE_PGM_RSRC2:USER_SGPR: 6
; COMPUTE_PGM_RSRC2:TRAP_HANDLER: 0
; COMPUTE_PGM_RSRC2:TGID_X_EN: 1
; COMPUTE_PGM_RSRC2:TGID_Y_EN: 0
; COMPUTE_PGM_RSRC2:TGID_Z_EN: 0
; COMPUTE_PGM_RSRC2:TIDIG_COMP_CNT: 0
	.section	.text._ZN7rocprim17ROCPRIM_400000_NS6detail17trampoline_kernelINS0_14default_configENS1_38merge_sort_block_merge_config_selectorIjNS0_10empty_typeEEEZZNS1_27merge_sort_block_merge_implIS3_N6thrust23THRUST_200600_302600_NS6detail15normal_iteratorINS9_10device_ptrIjEEEEPS5_m9comp_mod3IjEEE10hipError_tT0_T1_T2_jT3_P12ihipStream_tbPNSt15iterator_traitsISJ_E10value_typeEPNSP_ISK_E10value_typeEPSL_NS1_7vsmem_tEENKUlT_SJ_SK_SL_E_clISE_PjSF_SF_EESI_SY_SJ_SK_SL_EUlSY_E0_NS1_11comp_targetILNS1_3genE10ELNS1_11target_archE1201ELNS1_3gpuE5ELNS1_3repE0EEENS1_38merge_mergepath_config_static_selectorELNS0_4arch9wavefront6targetE0EEEvSK_,"axG",@progbits,_ZN7rocprim17ROCPRIM_400000_NS6detail17trampoline_kernelINS0_14default_configENS1_38merge_sort_block_merge_config_selectorIjNS0_10empty_typeEEEZZNS1_27merge_sort_block_merge_implIS3_N6thrust23THRUST_200600_302600_NS6detail15normal_iteratorINS9_10device_ptrIjEEEEPS5_m9comp_mod3IjEEE10hipError_tT0_T1_T2_jT3_P12ihipStream_tbPNSt15iterator_traitsISJ_E10value_typeEPNSP_ISK_E10value_typeEPSL_NS1_7vsmem_tEENKUlT_SJ_SK_SL_E_clISE_PjSF_SF_EESI_SY_SJ_SK_SL_EUlSY_E0_NS1_11comp_targetILNS1_3genE10ELNS1_11target_archE1201ELNS1_3gpuE5ELNS1_3repE0EEENS1_38merge_mergepath_config_static_selectorELNS0_4arch9wavefront6targetE0EEEvSK_,comdat
	.protected	_ZN7rocprim17ROCPRIM_400000_NS6detail17trampoline_kernelINS0_14default_configENS1_38merge_sort_block_merge_config_selectorIjNS0_10empty_typeEEEZZNS1_27merge_sort_block_merge_implIS3_N6thrust23THRUST_200600_302600_NS6detail15normal_iteratorINS9_10device_ptrIjEEEEPS5_m9comp_mod3IjEEE10hipError_tT0_T1_T2_jT3_P12ihipStream_tbPNSt15iterator_traitsISJ_E10value_typeEPNSP_ISK_E10value_typeEPSL_NS1_7vsmem_tEENKUlT_SJ_SK_SL_E_clISE_PjSF_SF_EESI_SY_SJ_SK_SL_EUlSY_E0_NS1_11comp_targetILNS1_3genE10ELNS1_11target_archE1201ELNS1_3gpuE5ELNS1_3repE0EEENS1_38merge_mergepath_config_static_selectorELNS0_4arch9wavefront6targetE0EEEvSK_ ; -- Begin function _ZN7rocprim17ROCPRIM_400000_NS6detail17trampoline_kernelINS0_14default_configENS1_38merge_sort_block_merge_config_selectorIjNS0_10empty_typeEEEZZNS1_27merge_sort_block_merge_implIS3_N6thrust23THRUST_200600_302600_NS6detail15normal_iteratorINS9_10device_ptrIjEEEEPS5_m9comp_mod3IjEEE10hipError_tT0_T1_T2_jT3_P12ihipStream_tbPNSt15iterator_traitsISJ_E10value_typeEPNSP_ISK_E10value_typeEPSL_NS1_7vsmem_tEENKUlT_SJ_SK_SL_E_clISE_PjSF_SF_EESI_SY_SJ_SK_SL_EUlSY_E0_NS1_11comp_targetILNS1_3genE10ELNS1_11target_archE1201ELNS1_3gpuE5ELNS1_3repE0EEENS1_38merge_mergepath_config_static_selectorELNS0_4arch9wavefront6targetE0EEEvSK_
	.globl	_ZN7rocprim17ROCPRIM_400000_NS6detail17trampoline_kernelINS0_14default_configENS1_38merge_sort_block_merge_config_selectorIjNS0_10empty_typeEEEZZNS1_27merge_sort_block_merge_implIS3_N6thrust23THRUST_200600_302600_NS6detail15normal_iteratorINS9_10device_ptrIjEEEEPS5_m9comp_mod3IjEEE10hipError_tT0_T1_T2_jT3_P12ihipStream_tbPNSt15iterator_traitsISJ_E10value_typeEPNSP_ISK_E10value_typeEPSL_NS1_7vsmem_tEENKUlT_SJ_SK_SL_E_clISE_PjSF_SF_EESI_SY_SJ_SK_SL_EUlSY_E0_NS1_11comp_targetILNS1_3genE10ELNS1_11target_archE1201ELNS1_3gpuE5ELNS1_3repE0EEENS1_38merge_mergepath_config_static_selectorELNS0_4arch9wavefront6targetE0EEEvSK_
	.p2align	8
	.type	_ZN7rocprim17ROCPRIM_400000_NS6detail17trampoline_kernelINS0_14default_configENS1_38merge_sort_block_merge_config_selectorIjNS0_10empty_typeEEEZZNS1_27merge_sort_block_merge_implIS3_N6thrust23THRUST_200600_302600_NS6detail15normal_iteratorINS9_10device_ptrIjEEEEPS5_m9comp_mod3IjEEE10hipError_tT0_T1_T2_jT3_P12ihipStream_tbPNSt15iterator_traitsISJ_E10value_typeEPNSP_ISK_E10value_typeEPSL_NS1_7vsmem_tEENKUlT_SJ_SK_SL_E_clISE_PjSF_SF_EESI_SY_SJ_SK_SL_EUlSY_E0_NS1_11comp_targetILNS1_3genE10ELNS1_11target_archE1201ELNS1_3gpuE5ELNS1_3repE0EEENS1_38merge_mergepath_config_static_selectorELNS0_4arch9wavefront6targetE0EEEvSK_,@function
_ZN7rocprim17ROCPRIM_400000_NS6detail17trampoline_kernelINS0_14default_configENS1_38merge_sort_block_merge_config_selectorIjNS0_10empty_typeEEEZZNS1_27merge_sort_block_merge_implIS3_N6thrust23THRUST_200600_302600_NS6detail15normal_iteratorINS9_10device_ptrIjEEEEPS5_m9comp_mod3IjEEE10hipError_tT0_T1_T2_jT3_P12ihipStream_tbPNSt15iterator_traitsISJ_E10value_typeEPNSP_ISK_E10value_typeEPSL_NS1_7vsmem_tEENKUlT_SJ_SK_SL_E_clISE_PjSF_SF_EESI_SY_SJ_SK_SL_EUlSY_E0_NS1_11comp_targetILNS1_3genE10ELNS1_11target_archE1201ELNS1_3gpuE5ELNS1_3repE0EEENS1_38merge_mergepath_config_static_selectorELNS0_4arch9wavefront6targetE0EEEvSK_: ; @_ZN7rocprim17ROCPRIM_400000_NS6detail17trampoline_kernelINS0_14default_configENS1_38merge_sort_block_merge_config_selectorIjNS0_10empty_typeEEEZZNS1_27merge_sort_block_merge_implIS3_N6thrust23THRUST_200600_302600_NS6detail15normal_iteratorINS9_10device_ptrIjEEEEPS5_m9comp_mod3IjEEE10hipError_tT0_T1_T2_jT3_P12ihipStream_tbPNSt15iterator_traitsISJ_E10value_typeEPNSP_ISK_E10value_typeEPSL_NS1_7vsmem_tEENKUlT_SJ_SK_SL_E_clISE_PjSF_SF_EESI_SY_SJ_SK_SL_EUlSY_E0_NS1_11comp_targetILNS1_3genE10ELNS1_11target_archE1201ELNS1_3gpuE5ELNS1_3repE0EEENS1_38merge_mergepath_config_static_selectorELNS0_4arch9wavefront6targetE0EEEvSK_
; %bb.0:
	.section	.rodata,"a",@progbits
	.p2align	6, 0x0
	.amdhsa_kernel _ZN7rocprim17ROCPRIM_400000_NS6detail17trampoline_kernelINS0_14default_configENS1_38merge_sort_block_merge_config_selectorIjNS0_10empty_typeEEEZZNS1_27merge_sort_block_merge_implIS3_N6thrust23THRUST_200600_302600_NS6detail15normal_iteratorINS9_10device_ptrIjEEEEPS5_m9comp_mod3IjEEE10hipError_tT0_T1_T2_jT3_P12ihipStream_tbPNSt15iterator_traitsISJ_E10value_typeEPNSP_ISK_E10value_typeEPSL_NS1_7vsmem_tEENKUlT_SJ_SK_SL_E_clISE_PjSF_SF_EESI_SY_SJ_SK_SL_EUlSY_E0_NS1_11comp_targetILNS1_3genE10ELNS1_11target_archE1201ELNS1_3gpuE5ELNS1_3repE0EEENS1_38merge_mergepath_config_static_selectorELNS0_4arch9wavefront6targetE0EEEvSK_
		.amdhsa_group_segment_fixed_size 0
		.amdhsa_private_segment_fixed_size 0
		.amdhsa_kernarg_size 80
		.amdhsa_user_sgpr_count 6
		.amdhsa_user_sgpr_private_segment_buffer 1
		.amdhsa_user_sgpr_dispatch_ptr 0
		.amdhsa_user_sgpr_queue_ptr 0
		.amdhsa_user_sgpr_kernarg_segment_ptr 1
		.amdhsa_user_sgpr_dispatch_id 0
		.amdhsa_user_sgpr_flat_scratch_init 0
		.amdhsa_user_sgpr_private_segment_size 0
		.amdhsa_wavefront_size32 1
		.amdhsa_uses_dynamic_stack 0
		.amdhsa_system_sgpr_private_segment_wavefront_offset 0
		.amdhsa_system_sgpr_workgroup_id_x 1
		.amdhsa_system_sgpr_workgroup_id_y 0
		.amdhsa_system_sgpr_workgroup_id_z 0
		.amdhsa_system_sgpr_workgroup_info 0
		.amdhsa_system_vgpr_workitem_id 0
		.amdhsa_next_free_vgpr 1
		.amdhsa_next_free_sgpr 1
		.amdhsa_reserve_vcc 0
		.amdhsa_reserve_flat_scratch 0
		.amdhsa_float_round_mode_32 0
		.amdhsa_float_round_mode_16_64 0
		.amdhsa_float_denorm_mode_32 3
		.amdhsa_float_denorm_mode_16_64 3
		.amdhsa_dx10_clamp 1
		.amdhsa_ieee_mode 1
		.amdhsa_fp16_overflow 0
		.amdhsa_workgroup_processor_mode 1
		.amdhsa_memory_ordered 1
		.amdhsa_forward_progress 1
		.amdhsa_shared_vgpr_count 0
		.amdhsa_exception_fp_ieee_invalid_op 0
		.amdhsa_exception_fp_denorm_src 0
		.amdhsa_exception_fp_ieee_div_zero 0
		.amdhsa_exception_fp_ieee_overflow 0
		.amdhsa_exception_fp_ieee_underflow 0
		.amdhsa_exception_fp_ieee_inexact 0
		.amdhsa_exception_int_div_zero 0
	.end_amdhsa_kernel
	.section	.text._ZN7rocprim17ROCPRIM_400000_NS6detail17trampoline_kernelINS0_14default_configENS1_38merge_sort_block_merge_config_selectorIjNS0_10empty_typeEEEZZNS1_27merge_sort_block_merge_implIS3_N6thrust23THRUST_200600_302600_NS6detail15normal_iteratorINS9_10device_ptrIjEEEEPS5_m9comp_mod3IjEEE10hipError_tT0_T1_T2_jT3_P12ihipStream_tbPNSt15iterator_traitsISJ_E10value_typeEPNSP_ISK_E10value_typeEPSL_NS1_7vsmem_tEENKUlT_SJ_SK_SL_E_clISE_PjSF_SF_EESI_SY_SJ_SK_SL_EUlSY_E0_NS1_11comp_targetILNS1_3genE10ELNS1_11target_archE1201ELNS1_3gpuE5ELNS1_3repE0EEENS1_38merge_mergepath_config_static_selectorELNS0_4arch9wavefront6targetE0EEEvSK_,"axG",@progbits,_ZN7rocprim17ROCPRIM_400000_NS6detail17trampoline_kernelINS0_14default_configENS1_38merge_sort_block_merge_config_selectorIjNS0_10empty_typeEEEZZNS1_27merge_sort_block_merge_implIS3_N6thrust23THRUST_200600_302600_NS6detail15normal_iteratorINS9_10device_ptrIjEEEEPS5_m9comp_mod3IjEEE10hipError_tT0_T1_T2_jT3_P12ihipStream_tbPNSt15iterator_traitsISJ_E10value_typeEPNSP_ISK_E10value_typeEPSL_NS1_7vsmem_tEENKUlT_SJ_SK_SL_E_clISE_PjSF_SF_EESI_SY_SJ_SK_SL_EUlSY_E0_NS1_11comp_targetILNS1_3genE10ELNS1_11target_archE1201ELNS1_3gpuE5ELNS1_3repE0EEENS1_38merge_mergepath_config_static_selectorELNS0_4arch9wavefront6targetE0EEEvSK_,comdat
.Lfunc_end849:
	.size	_ZN7rocprim17ROCPRIM_400000_NS6detail17trampoline_kernelINS0_14default_configENS1_38merge_sort_block_merge_config_selectorIjNS0_10empty_typeEEEZZNS1_27merge_sort_block_merge_implIS3_N6thrust23THRUST_200600_302600_NS6detail15normal_iteratorINS9_10device_ptrIjEEEEPS5_m9comp_mod3IjEEE10hipError_tT0_T1_T2_jT3_P12ihipStream_tbPNSt15iterator_traitsISJ_E10value_typeEPNSP_ISK_E10value_typeEPSL_NS1_7vsmem_tEENKUlT_SJ_SK_SL_E_clISE_PjSF_SF_EESI_SY_SJ_SK_SL_EUlSY_E0_NS1_11comp_targetILNS1_3genE10ELNS1_11target_archE1201ELNS1_3gpuE5ELNS1_3repE0EEENS1_38merge_mergepath_config_static_selectorELNS0_4arch9wavefront6targetE0EEEvSK_, .Lfunc_end849-_ZN7rocprim17ROCPRIM_400000_NS6detail17trampoline_kernelINS0_14default_configENS1_38merge_sort_block_merge_config_selectorIjNS0_10empty_typeEEEZZNS1_27merge_sort_block_merge_implIS3_N6thrust23THRUST_200600_302600_NS6detail15normal_iteratorINS9_10device_ptrIjEEEEPS5_m9comp_mod3IjEEE10hipError_tT0_T1_T2_jT3_P12ihipStream_tbPNSt15iterator_traitsISJ_E10value_typeEPNSP_ISK_E10value_typeEPSL_NS1_7vsmem_tEENKUlT_SJ_SK_SL_E_clISE_PjSF_SF_EESI_SY_SJ_SK_SL_EUlSY_E0_NS1_11comp_targetILNS1_3genE10ELNS1_11target_archE1201ELNS1_3gpuE5ELNS1_3repE0EEENS1_38merge_mergepath_config_static_selectorELNS0_4arch9wavefront6targetE0EEEvSK_
                                        ; -- End function
	.set _ZN7rocprim17ROCPRIM_400000_NS6detail17trampoline_kernelINS0_14default_configENS1_38merge_sort_block_merge_config_selectorIjNS0_10empty_typeEEEZZNS1_27merge_sort_block_merge_implIS3_N6thrust23THRUST_200600_302600_NS6detail15normal_iteratorINS9_10device_ptrIjEEEEPS5_m9comp_mod3IjEEE10hipError_tT0_T1_T2_jT3_P12ihipStream_tbPNSt15iterator_traitsISJ_E10value_typeEPNSP_ISK_E10value_typeEPSL_NS1_7vsmem_tEENKUlT_SJ_SK_SL_E_clISE_PjSF_SF_EESI_SY_SJ_SK_SL_EUlSY_E0_NS1_11comp_targetILNS1_3genE10ELNS1_11target_archE1201ELNS1_3gpuE5ELNS1_3repE0EEENS1_38merge_mergepath_config_static_selectorELNS0_4arch9wavefront6targetE0EEEvSK_.num_vgpr, 0
	.set _ZN7rocprim17ROCPRIM_400000_NS6detail17trampoline_kernelINS0_14default_configENS1_38merge_sort_block_merge_config_selectorIjNS0_10empty_typeEEEZZNS1_27merge_sort_block_merge_implIS3_N6thrust23THRUST_200600_302600_NS6detail15normal_iteratorINS9_10device_ptrIjEEEEPS5_m9comp_mod3IjEEE10hipError_tT0_T1_T2_jT3_P12ihipStream_tbPNSt15iterator_traitsISJ_E10value_typeEPNSP_ISK_E10value_typeEPSL_NS1_7vsmem_tEENKUlT_SJ_SK_SL_E_clISE_PjSF_SF_EESI_SY_SJ_SK_SL_EUlSY_E0_NS1_11comp_targetILNS1_3genE10ELNS1_11target_archE1201ELNS1_3gpuE5ELNS1_3repE0EEENS1_38merge_mergepath_config_static_selectorELNS0_4arch9wavefront6targetE0EEEvSK_.num_agpr, 0
	.set _ZN7rocprim17ROCPRIM_400000_NS6detail17trampoline_kernelINS0_14default_configENS1_38merge_sort_block_merge_config_selectorIjNS0_10empty_typeEEEZZNS1_27merge_sort_block_merge_implIS3_N6thrust23THRUST_200600_302600_NS6detail15normal_iteratorINS9_10device_ptrIjEEEEPS5_m9comp_mod3IjEEE10hipError_tT0_T1_T2_jT3_P12ihipStream_tbPNSt15iterator_traitsISJ_E10value_typeEPNSP_ISK_E10value_typeEPSL_NS1_7vsmem_tEENKUlT_SJ_SK_SL_E_clISE_PjSF_SF_EESI_SY_SJ_SK_SL_EUlSY_E0_NS1_11comp_targetILNS1_3genE10ELNS1_11target_archE1201ELNS1_3gpuE5ELNS1_3repE0EEENS1_38merge_mergepath_config_static_selectorELNS0_4arch9wavefront6targetE0EEEvSK_.numbered_sgpr, 0
	.set _ZN7rocprim17ROCPRIM_400000_NS6detail17trampoline_kernelINS0_14default_configENS1_38merge_sort_block_merge_config_selectorIjNS0_10empty_typeEEEZZNS1_27merge_sort_block_merge_implIS3_N6thrust23THRUST_200600_302600_NS6detail15normal_iteratorINS9_10device_ptrIjEEEEPS5_m9comp_mod3IjEEE10hipError_tT0_T1_T2_jT3_P12ihipStream_tbPNSt15iterator_traitsISJ_E10value_typeEPNSP_ISK_E10value_typeEPSL_NS1_7vsmem_tEENKUlT_SJ_SK_SL_E_clISE_PjSF_SF_EESI_SY_SJ_SK_SL_EUlSY_E0_NS1_11comp_targetILNS1_3genE10ELNS1_11target_archE1201ELNS1_3gpuE5ELNS1_3repE0EEENS1_38merge_mergepath_config_static_selectorELNS0_4arch9wavefront6targetE0EEEvSK_.num_named_barrier, 0
	.set _ZN7rocprim17ROCPRIM_400000_NS6detail17trampoline_kernelINS0_14default_configENS1_38merge_sort_block_merge_config_selectorIjNS0_10empty_typeEEEZZNS1_27merge_sort_block_merge_implIS3_N6thrust23THRUST_200600_302600_NS6detail15normal_iteratorINS9_10device_ptrIjEEEEPS5_m9comp_mod3IjEEE10hipError_tT0_T1_T2_jT3_P12ihipStream_tbPNSt15iterator_traitsISJ_E10value_typeEPNSP_ISK_E10value_typeEPSL_NS1_7vsmem_tEENKUlT_SJ_SK_SL_E_clISE_PjSF_SF_EESI_SY_SJ_SK_SL_EUlSY_E0_NS1_11comp_targetILNS1_3genE10ELNS1_11target_archE1201ELNS1_3gpuE5ELNS1_3repE0EEENS1_38merge_mergepath_config_static_selectorELNS0_4arch9wavefront6targetE0EEEvSK_.private_seg_size, 0
	.set _ZN7rocprim17ROCPRIM_400000_NS6detail17trampoline_kernelINS0_14default_configENS1_38merge_sort_block_merge_config_selectorIjNS0_10empty_typeEEEZZNS1_27merge_sort_block_merge_implIS3_N6thrust23THRUST_200600_302600_NS6detail15normal_iteratorINS9_10device_ptrIjEEEEPS5_m9comp_mod3IjEEE10hipError_tT0_T1_T2_jT3_P12ihipStream_tbPNSt15iterator_traitsISJ_E10value_typeEPNSP_ISK_E10value_typeEPSL_NS1_7vsmem_tEENKUlT_SJ_SK_SL_E_clISE_PjSF_SF_EESI_SY_SJ_SK_SL_EUlSY_E0_NS1_11comp_targetILNS1_3genE10ELNS1_11target_archE1201ELNS1_3gpuE5ELNS1_3repE0EEENS1_38merge_mergepath_config_static_selectorELNS0_4arch9wavefront6targetE0EEEvSK_.uses_vcc, 0
	.set _ZN7rocprim17ROCPRIM_400000_NS6detail17trampoline_kernelINS0_14default_configENS1_38merge_sort_block_merge_config_selectorIjNS0_10empty_typeEEEZZNS1_27merge_sort_block_merge_implIS3_N6thrust23THRUST_200600_302600_NS6detail15normal_iteratorINS9_10device_ptrIjEEEEPS5_m9comp_mod3IjEEE10hipError_tT0_T1_T2_jT3_P12ihipStream_tbPNSt15iterator_traitsISJ_E10value_typeEPNSP_ISK_E10value_typeEPSL_NS1_7vsmem_tEENKUlT_SJ_SK_SL_E_clISE_PjSF_SF_EESI_SY_SJ_SK_SL_EUlSY_E0_NS1_11comp_targetILNS1_3genE10ELNS1_11target_archE1201ELNS1_3gpuE5ELNS1_3repE0EEENS1_38merge_mergepath_config_static_selectorELNS0_4arch9wavefront6targetE0EEEvSK_.uses_flat_scratch, 0
	.set _ZN7rocprim17ROCPRIM_400000_NS6detail17trampoline_kernelINS0_14default_configENS1_38merge_sort_block_merge_config_selectorIjNS0_10empty_typeEEEZZNS1_27merge_sort_block_merge_implIS3_N6thrust23THRUST_200600_302600_NS6detail15normal_iteratorINS9_10device_ptrIjEEEEPS5_m9comp_mod3IjEEE10hipError_tT0_T1_T2_jT3_P12ihipStream_tbPNSt15iterator_traitsISJ_E10value_typeEPNSP_ISK_E10value_typeEPSL_NS1_7vsmem_tEENKUlT_SJ_SK_SL_E_clISE_PjSF_SF_EESI_SY_SJ_SK_SL_EUlSY_E0_NS1_11comp_targetILNS1_3genE10ELNS1_11target_archE1201ELNS1_3gpuE5ELNS1_3repE0EEENS1_38merge_mergepath_config_static_selectorELNS0_4arch9wavefront6targetE0EEEvSK_.has_dyn_sized_stack, 0
	.set _ZN7rocprim17ROCPRIM_400000_NS6detail17trampoline_kernelINS0_14default_configENS1_38merge_sort_block_merge_config_selectorIjNS0_10empty_typeEEEZZNS1_27merge_sort_block_merge_implIS3_N6thrust23THRUST_200600_302600_NS6detail15normal_iteratorINS9_10device_ptrIjEEEEPS5_m9comp_mod3IjEEE10hipError_tT0_T1_T2_jT3_P12ihipStream_tbPNSt15iterator_traitsISJ_E10value_typeEPNSP_ISK_E10value_typeEPSL_NS1_7vsmem_tEENKUlT_SJ_SK_SL_E_clISE_PjSF_SF_EESI_SY_SJ_SK_SL_EUlSY_E0_NS1_11comp_targetILNS1_3genE10ELNS1_11target_archE1201ELNS1_3gpuE5ELNS1_3repE0EEENS1_38merge_mergepath_config_static_selectorELNS0_4arch9wavefront6targetE0EEEvSK_.has_recursion, 0
	.set _ZN7rocprim17ROCPRIM_400000_NS6detail17trampoline_kernelINS0_14default_configENS1_38merge_sort_block_merge_config_selectorIjNS0_10empty_typeEEEZZNS1_27merge_sort_block_merge_implIS3_N6thrust23THRUST_200600_302600_NS6detail15normal_iteratorINS9_10device_ptrIjEEEEPS5_m9comp_mod3IjEEE10hipError_tT0_T1_T2_jT3_P12ihipStream_tbPNSt15iterator_traitsISJ_E10value_typeEPNSP_ISK_E10value_typeEPSL_NS1_7vsmem_tEENKUlT_SJ_SK_SL_E_clISE_PjSF_SF_EESI_SY_SJ_SK_SL_EUlSY_E0_NS1_11comp_targetILNS1_3genE10ELNS1_11target_archE1201ELNS1_3gpuE5ELNS1_3repE0EEENS1_38merge_mergepath_config_static_selectorELNS0_4arch9wavefront6targetE0EEEvSK_.has_indirect_call, 0
	.section	.AMDGPU.csdata,"",@progbits
; Kernel info:
; codeLenInByte = 0
; TotalNumSgprs: 0
; NumVgprs: 0
; ScratchSize: 0
; MemoryBound: 0
; FloatMode: 240
; IeeeMode: 1
; LDSByteSize: 0 bytes/workgroup (compile time only)
; SGPRBlocks: 0
; VGPRBlocks: 0
; NumSGPRsForWavesPerEU: 1
; NumVGPRsForWavesPerEU: 1
; Occupancy: 16
; WaveLimiterHint : 0
; COMPUTE_PGM_RSRC2:SCRATCH_EN: 0
; COMPUTE_PGM_RSRC2:USER_SGPR: 6
; COMPUTE_PGM_RSRC2:TRAP_HANDLER: 0
; COMPUTE_PGM_RSRC2:TGID_X_EN: 1
; COMPUTE_PGM_RSRC2:TGID_Y_EN: 0
; COMPUTE_PGM_RSRC2:TGID_Z_EN: 0
; COMPUTE_PGM_RSRC2:TIDIG_COMP_CNT: 0
	.section	.text._ZN7rocprim17ROCPRIM_400000_NS6detail17trampoline_kernelINS0_14default_configENS1_38merge_sort_block_merge_config_selectorIjNS0_10empty_typeEEEZZNS1_27merge_sort_block_merge_implIS3_N6thrust23THRUST_200600_302600_NS6detail15normal_iteratorINS9_10device_ptrIjEEEEPS5_m9comp_mod3IjEEE10hipError_tT0_T1_T2_jT3_P12ihipStream_tbPNSt15iterator_traitsISJ_E10value_typeEPNSP_ISK_E10value_typeEPSL_NS1_7vsmem_tEENKUlT_SJ_SK_SL_E_clISE_PjSF_SF_EESI_SY_SJ_SK_SL_EUlSY_E0_NS1_11comp_targetILNS1_3genE5ELNS1_11target_archE942ELNS1_3gpuE9ELNS1_3repE0EEENS1_38merge_mergepath_config_static_selectorELNS0_4arch9wavefront6targetE0EEEvSK_,"axG",@progbits,_ZN7rocprim17ROCPRIM_400000_NS6detail17trampoline_kernelINS0_14default_configENS1_38merge_sort_block_merge_config_selectorIjNS0_10empty_typeEEEZZNS1_27merge_sort_block_merge_implIS3_N6thrust23THRUST_200600_302600_NS6detail15normal_iteratorINS9_10device_ptrIjEEEEPS5_m9comp_mod3IjEEE10hipError_tT0_T1_T2_jT3_P12ihipStream_tbPNSt15iterator_traitsISJ_E10value_typeEPNSP_ISK_E10value_typeEPSL_NS1_7vsmem_tEENKUlT_SJ_SK_SL_E_clISE_PjSF_SF_EESI_SY_SJ_SK_SL_EUlSY_E0_NS1_11comp_targetILNS1_3genE5ELNS1_11target_archE942ELNS1_3gpuE9ELNS1_3repE0EEENS1_38merge_mergepath_config_static_selectorELNS0_4arch9wavefront6targetE0EEEvSK_,comdat
	.protected	_ZN7rocprim17ROCPRIM_400000_NS6detail17trampoline_kernelINS0_14default_configENS1_38merge_sort_block_merge_config_selectorIjNS0_10empty_typeEEEZZNS1_27merge_sort_block_merge_implIS3_N6thrust23THRUST_200600_302600_NS6detail15normal_iteratorINS9_10device_ptrIjEEEEPS5_m9comp_mod3IjEEE10hipError_tT0_T1_T2_jT3_P12ihipStream_tbPNSt15iterator_traitsISJ_E10value_typeEPNSP_ISK_E10value_typeEPSL_NS1_7vsmem_tEENKUlT_SJ_SK_SL_E_clISE_PjSF_SF_EESI_SY_SJ_SK_SL_EUlSY_E0_NS1_11comp_targetILNS1_3genE5ELNS1_11target_archE942ELNS1_3gpuE9ELNS1_3repE0EEENS1_38merge_mergepath_config_static_selectorELNS0_4arch9wavefront6targetE0EEEvSK_ ; -- Begin function _ZN7rocprim17ROCPRIM_400000_NS6detail17trampoline_kernelINS0_14default_configENS1_38merge_sort_block_merge_config_selectorIjNS0_10empty_typeEEEZZNS1_27merge_sort_block_merge_implIS3_N6thrust23THRUST_200600_302600_NS6detail15normal_iteratorINS9_10device_ptrIjEEEEPS5_m9comp_mod3IjEEE10hipError_tT0_T1_T2_jT3_P12ihipStream_tbPNSt15iterator_traitsISJ_E10value_typeEPNSP_ISK_E10value_typeEPSL_NS1_7vsmem_tEENKUlT_SJ_SK_SL_E_clISE_PjSF_SF_EESI_SY_SJ_SK_SL_EUlSY_E0_NS1_11comp_targetILNS1_3genE5ELNS1_11target_archE942ELNS1_3gpuE9ELNS1_3repE0EEENS1_38merge_mergepath_config_static_selectorELNS0_4arch9wavefront6targetE0EEEvSK_
	.globl	_ZN7rocprim17ROCPRIM_400000_NS6detail17trampoline_kernelINS0_14default_configENS1_38merge_sort_block_merge_config_selectorIjNS0_10empty_typeEEEZZNS1_27merge_sort_block_merge_implIS3_N6thrust23THRUST_200600_302600_NS6detail15normal_iteratorINS9_10device_ptrIjEEEEPS5_m9comp_mod3IjEEE10hipError_tT0_T1_T2_jT3_P12ihipStream_tbPNSt15iterator_traitsISJ_E10value_typeEPNSP_ISK_E10value_typeEPSL_NS1_7vsmem_tEENKUlT_SJ_SK_SL_E_clISE_PjSF_SF_EESI_SY_SJ_SK_SL_EUlSY_E0_NS1_11comp_targetILNS1_3genE5ELNS1_11target_archE942ELNS1_3gpuE9ELNS1_3repE0EEENS1_38merge_mergepath_config_static_selectorELNS0_4arch9wavefront6targetE0EEEvSK_
	.p2align	8
	.type	_ZN7rocprim17ROCPRIM_400000_NS6detail17trampoline_kernelINS0_14default_configENS1_38merge_sort_block_merge_config_selectorIjNS0_10empty_typeEEEZZNS1_27merge_sort_block_merge_implIS3_N6thrust23THRUST_200600_302600_NS6detail15normal_iteratorINS9_10device_ptrIjEEEEPS5_m9comp_mod3IjEEE10hipError_tT0_T1_T2_jT3_P12ihipStream_tbPNSt15iterator_traitsISJ_E10value_typeEPNSP_ISK_E10value_typeEPSL_NS1_7vsmem_tEENKUlT_SJ_SK_SL_E_clISE_PjSF_SF_EESI_SY_SJ_SK_SL_EUlSY_E0_NS1_11comp_targetILNS1_3genE5ELNS1_11target_archE942ELNS1_3gpuE9ELNS1_3repE0EEENS1_38merge_mergepath_config_static_selectorELNS0_4arch9wavefront6targetE0EEEvSK_,@function
_ZN7rocprim17ROCPRIM_400000_NS6detail17trampoline_kernelINS0_14default_configENS1_38merge_sort_block_merge_config_selectorIjNS0_10empty_typeEEEZZNS1_27merge_sort_block_merge_implIS3_N6thrust23THRUST_200600_302600_NS6detail15normal_iteratorINS9_10device_ptrIjEEEEPS5_m9comp_mod3IjEEE10hipError_tT0_T1_T2_jT3_P12ihipStream_tbPNSt15iterator_traitsISJ_E10value_typeEPNSP_ISK_E10value_typeEPSL_NS1_7vsmem_tEENKUlT_SJ_SK_SL_E_clISE_PjSF_SF_EESI_SY_SJ_SK_SL_EUlSY_E0_NS1_11comp_targetILNS1_3genE5ELNS1_11target_archE942ELNS1_3gpuE9ELNS1_3repE0EEENS1_38merge_mergepath_config_static_selectorELNS0_4arch9wavefront6targetE0EEEvSK_: ; @_ZN7rocprim17ROCPRIM_400000_NS6detail17trampoline_kernelINS0_14default_configENS1_38merge_sort_block_merge_config_selectorIjNS0_10empty_typeEEEZZNS1_27merge_sort_block_merge_implIS3_N6thrust23THRUST_200600_302600_NS6detail15normal_iteratorINS9_10device_ptrIjEEEEPS5_m9comp_mod3IjEEE10hipError_tT0_T1_T2_jT3_P12ihipStream_tbPNSt15iterator_traitsISJ_E10value_typeEPNSP_ISK_E10value_typeEPSL_NS1_7vsmem_tEENKUlT_SJ_SK_SL_E_clISE_PjSF_SF_EESI_SY_SJ_SK_SL_EUlSY_E0_NS1_11comp_targetILNS1_3genE5ELNS1_11target_archE942ELNS1_3gpuE9ELNS1_3repE0EEENS1_38merge_mergepath_config_static_selectorELNS0_4arch9wavefront6targetE0EEEvSK_
; %bb.0:
	.section	.rodata,"a",@progbits
	.p2align	6, 0x0
	.amdhsa_kernel _ZN7rocprim17ROCPRIM_400000_NS6detail17trampoline_kernelINS0_14default_configENS1_38merge_sort_block_merge_config_selectorIjNS0_10empty_typeEEEZZNS1_27merge_sort_block_merge_implIS3_N6thrust23THRUST_200600_302600_NS6detail15normal_iteratorINS9_10device_ptrIjEEEEPS5_m9comp_mod3IjEEE10hipError_tT0_T1_T2_jT3_P12ihipStream_tbPNSt15iterator_traitsISJ_E10value_typeEPNSP_ISK_E10value_typeEPSL_NS1_7vsmem_tEENKUlT_SJ_SK_SL_E_clISE_PjSF_SF_EESI_SY_SJ_SK_SL_EUlSY_E0_NS1_11comp_targetILNS1_3genE5ELNS1_11target_archE942ELNS1_3gpuE9ELNS1_3repE0EEENS1_38merge_mergepath_config_static_selectorELNS0_4arch9wavefront6targetE0EEEvSK_
		.amdhsa_group_segment_fixed_size 0
		.amdhsa_private_segment_fixed_size 0
		.amdhsa_kernarg_size 80
		.amdhsa_user_sgpr_count 6
		.amdhsa_user_sgpr_private_segment_buffer 1
		.amdhsa_user_sgpr_dispatch_ptr 0
		.amdhsa_user_sgpr_queue_ptr 0
		.amdhsa_user_sgpr_kernarg_segment_ptr 1
		.amdhsa_user_sgpr_dispatch_id 0
		.amdhsa_user_sgpr_flat_scratch_init 0
		.amdhsa_user_sgpr_private_segment_size 0
		.amdhsa_wavefront_size32 1
		.amdhsa_uses_dynamic_stack 0
		.amdhsa_system_sgpr_private_segment_wavefront_offset 0
		.amdhsa_system_sgpr_workgroup_id_x 1
		.amdhsa_system_sgpr_workgroup_id_y 0
		.amdhsa_system_sgpr_workgroup_id_z 0
		.amdhsa_system_sgpr_workgroup_info 0
		.amdhsa_system_vgpr_workitem_id 0
		.amdhsa_next_free_vgpr 1
		.amdhsa_next_free_sgpr 1
		.amdhsa_reserve_vcc 0
		.amdhsa_reserve_flat_scratch 0
		.amdhsa_float_round_mode_32 0
		.amdhsa_float_round_mode_16_64 0
		.amdhsa_float_denorm_mode_32 3
		.amdhsa_float_denorm_mode_16_64 3
		.amdhsa_dx10_clamp 1
		.amdhsa_ieee_mode 1
		.amdhsa_fp16_overflow 0
		.amdhsa_workgroup_processor_mode 1
		.amdhsa_memory_ordered 1
		.amdhsa_forward_progress 1
		.amdhsa_shared_vgpr_count 0
		.amdhsa_exception_fp_ieee_invalid_op 0
		.amdhsa_exception_fp_denorm_src 0
		.amdhsa_exception_fp_ieee_div_zero 0
		.amdhsa_exception_fp_ieee_overflow 0
		.amdhsa_exception_fp_ieee_underflow 0
		.amdhsa_exception_fp_ieee_inexact 0
		.amdhsa_exception_int_div_zero 0
	.end_amdhsa_kernel
	.section	.text._ZN7rocprim17ROCPRIM_400000_NS6detail17trampoline_kernelINS0_14default_configENS1_38merge_sort_block_merge_config_selectorIjNS0_10empty_typeEEEZZNS1_27merge_sort_block_merge_implIS3_N6thrust23THRUST_200600_302600_NS6detail15normal_iteratorINS9_10device_ptrIjEEEEPS5_m9comp_mod3IjEEE10hipError_tT0_T1_T2_jT3_P12ihipStream_tbPNSt15iterator_traitsISJ_E10value_typeEPNSP_ISK_E10value_typeEPSL_NS1_7vsmem_tEENKUlT_SJ_SK_SL_E_clISE_PjSF_SF_EESI_SY_SJ_SK_SL_EUlSY_E0_NS1_11comp_targetILNS1_3genE5ELNS1_11target_archE942ELNS1_3gpuE9ELNS1_3repE0EEENS1_38merge_mergepath_config_static_selectorELNS0_4arch9wavefront6targetE0EEEvSK_,"axG",@progbits,_ZN7rocprim17ROCPRIM_400000_NS6detail17trampoline_kernelINS0_14default_configENS1_38merge_sort_block_merge_config_selectorIjNS0_10empty_typeEEEZZNS1_27merge_sort_block_merge_implIS3_N6thrust23THRUST_200600_302600_NS6detail15normal_iteratorINS9_10device_ptrIjEEEEPS5_m9comp_mod3IjEEE10hipError_tT0_T1_T2_jT3_P12ihipStream_tbPNSt15iterator_traitsISJ_E10value_typeEPNSP_ISK_E10value_typeEPSL_NS1_7vsmem_tEENKUlT_SJ_SK_SL_E_clISE_PjSF_SF_EESI_SY_SJ_SK_SL_EUlSY_E0_NS1_11comp_targetILNS1_3genE5ELNS1_11target_archE942ELNS1_3gpuE9ELNS1_3repE0EEENS1_38merge_mergepath_config_static_selectorELNS0_4arch9wavefront6targetE0EEEvSK_,comdat
.Lfunc_end850:
	.size	_ZN7rocprim17ROCPRIM_400000_NS6detail17trampoline_kernelINS0_14default_configENS1_38merge_sort_block_merge_config_selectorIjNS0_10empty_typeEEEZZNS1_27merge_sort_block_merge_implIS3_N6thrust23THRUST_200600_302600_NS6detail15normal_iteratorINS9_10device_ptrIjEEEEPS5_m9comp_mod3IjEEE10hipError_tT0_T1_T2_jT3_P12ihipStream_tbPNSt15iterator_traitsISJ_E10value_typeEPNSP_ISK_E10value_typeEPSL_NS1_7vsmem_tEENKUlT_SJ_SK_SL_E_clISE_PjSF_SF_EESI_SY_SJ_SK_SL_EUlSY_E0_NS1_11comp_targetILNS1_3genE5ELNS1_11target_archE942ELNS1_3gpuE9ELNS1_3repE0EEENS1_38merge_mergepath_config_static_selectorELNS0_4arch9wavefront6targetE0EEEvSK_, .Lfunc_end850-_ZN7rocprim17ROCPRIM_400000_NS6detail17trampoline_kernelINS0_14default_configENS1_38merge_sort_block_merge_config_selectorIjNS0_10empty_typeEEEZZNS1_27merge_sort_block_merge_implIS3_N6thrust23THRUST_200600_302600_NS6detail15normal_iteratorINS9_10device_ptrIjEEEEPS5_m9comp_mod3IjEEE10hipError_tT0_T1_T2_jT3_P12ihipStream_tbPNSt15iterator_traitsISJ_E10value_typeEPNSP_ISK_E10value_typeEPSL_NS1_7vsmem_tEENKUlT_SJ_SK_SL_E_clISE_PjSF_SF_EESI_SY_SJ_SK_SL_EUlSY_E0_NS1_11comp_targetILNS1_3genE5ELNS1_11target_archE942ELNS1_3gpuE9ELNS1_3repE0EEENS1_38merge_mergepath_config_static_selectorELNS0_4arch9wavefront6targetE0EEEvSK_
                                        ; -- End function
	.set _ZN7rocprim17ROCPRIM_400000_NS6detail17trampoline_kernelINS0_14default_configENS1_38merge_sort_block_merge_config_selectorIjNS0_10empty_typeEEEZZNS1_27merge_sort_block_merge_implIS3_N6thrust23THRUST_200600_302600_NS6detail15normal_iteratorINS9_10device_ptrIjEEEEPS5_m9comp_mod3IjEEE10hipError_tT0_T1_T2_jT3_P12ihipStream_tbPNSt15iterator_traitsISJ_E10value_typeEPNSP_ISK_E10value_typeEPSL_NS1_7vsmem_tEENKUlT_SJ_SK_SL_E_clISE_PjSF_SF_EESI_SY_SJ_SK_SL_EUlSY_E0_NS1_11comp_targetILNS1_3genE5ELNS1_11target_archE942ELNS1_3gpuE9ELNS1_3repE0EEENS1_38merge_mergepath_config_static_selectorELNS0_4arch9wavefront6targetE0EEEvSK_.num_vgpr, 0
	.set _ZN7rocprim17ROCPRIM_400000_NS6detail17trampoline_kernelINS0_14default_configENS1_38merge_sort_block_merge_config_selectorIjNS0_10empty_typeEEEZZNS1_27merge_sort_block_merge_implIS3_N6thrust23THRUST_200600_302600_NS6detail15normal_iteratorINS9_10device_ptrIjEEEEPS5_m9comp_mod3IjEEE10hipError_tT0_T1_T2_jT3_P12ihipStream_tbPNSt15iterator_traitsISJ_E10value_typeEPNSP_ISK_E10value_typeEPSL_NS1_7vsmem_tEENKUlT_SJ_SK_SL_E_clISE_PjSF_SF_EESI_SY_SJ_SK_SL_EUlSY_E0_NS1_11comp_targetILNS1_3genE5ELNS1_11target_archE942ELNS1_3gpuE9ELNS1_3repE0EEENS1_38merge_mergepath_config_static_selectorELNS0_4arch9wavefront6targetE0EEEvSK_.num_agpr, 0
	.set _ZN7rocprim17ROCPRIM_400000_NS6detail17trampoline_kernelINS0_14default_configENS1_38merge_sort_block_merge_config_selectorIjNS0_10empty_typeEEEZZNS1_27merge_sort_block_merge_implIS3_N6thrust23THRUST_200600_302600_NS6detail15normal_iteratorINS9_10device_ptrIjEEEEPS5_m9comp_mod3IjEEE10hipError_tT0_T1_T2_jT3_P12ihipStream_tbPNSt15iterator_traitsISJ_E10value_typeEPNSP_ISK_E10value_typeEPSL_NS1_7vsmem_tEENKUlT_SJ_SK_SL_E_clISE_PjSF_SF_EESI_SY_SJ_SK_SL_EUlSY_E0_NS1_11comp_targetILNS1_3genE5ELNS1_11target_archE942ELNS1_3gpuE9ELNS1_3repE0EEENS1_38merge_mergepath_config_static_selectorELNS0_4arch9wavefront6targetE0EEEvSK_.numbered_sgpr, 0
	.set _ZN7rocprim17ROCPRIM_400000_NS6detail17trampoline_kernelINS0_14default_configENS1_38merge_sort_block_merge_config_selectorIjNS0_10empty_typeEEEZZNS1_27merge_sort_block_merge_implIS3_N6thrust23THRUST_200600_302600_NS6detail15normal_iteratorINS9_10device_ptrIjEEEEPS5_m9comp_mod3IjEEE10hipError_tT0_T1_T2_jT3_P12ihipStream_tbPNSt15iterator_traitsISJ_E10value_typeEPNSP_ISK_E10value_typeEPSL_NS1_7vsmem_tEENKUlT_SJ_SK_SL_E_clISE_PjSF_SF_EESI_SY_SJ_SK_SL_EUlSY_E0_NS1_11comp_targetILNS1_3genE5ELNS1_11target_archE942ELNS1_3gpuE9ELNS1_3repE0EEENS1_38merge_mergepath_config_static_selectorELNS0_4arch9wavefront6targetE0EEEvSK_.num_named_barrier, 0
	.set _ZN7rocprim17ROCPRIM_400000_NS6detail17trampoline_kernelINS0_14default_configENS1_38merge_sort_block_merge_config_selectorIjNS0_10empty_typeEEEZZNS1_27merge_sort_block_merge_implIS3_N6thrust23THRUST_200600_302600_NS6detail15normal_iteratorINS9_10device_ptrIjEEEEPS5_m9comp_mod3IjEEE10hipError_tT0_T1_T2_jT3_P12ihipStream_tbPNSt15iterator_traitsISJ_E10value_typeEPNSP_ISK_E10value_typeEPSL_NS1_7vsmem_tEENKUlT_SJ_SK_SL_E_clISE_PjSF_SF_EESI_SY_SJ_SK_SL_EUlSY_E0_NS1_11comp_targetILNS1_3genE5ELNS1_11target_archE942ELNS1_3gpuE9ELNS1_3repE0EEENS1_38merge_mergepath_config_static_selectorELNS0_4arch9wavefront6targetE0EEEvSK_.private_seg_size, 0
	.set _ZN7rocprim17ROCPRIM_400000_NS6detail17trampoline_kernelINS0_14default_configENS1_38merge_sort_block_merge_config_selectorIjNS0_10empty_typeEEEZZNS1_27merge_sort_block_merge_implIS3_N6thrust23THRUST_200600_302600_NS6detail15normal_iteratorINS9_10device_ptrIjEEEEPS5_m9comp_mod3IjEEE10hipError_tT0_T1_T2_jT3_P12ihipStream_tbPNSt15iterator_traitsISJ_E10value_typeEPNSP_ISK_E10value_typeEPSL_NS1_7vsmem_tEENKUlT_SJ_SK_SL_E_clISE_PjSF_SF_EESI_SY_SJ_SK_SL_EUlSY_E0_NS1_11comp_targetILNS1_3genE5ELNS1_11target_archE942ELNS1_3gpuE9ELNS1_3repE0EEENS1_38merge_mergepath_config_static_selectorELNS0_4arch9wavefront6targetE0EEEvSK_.uses_vcc, 0
	.set _ZN7rocprim17ROCPRIM_400000_NS6detail17trampoline_kernelINS0_14default_configENS1_38merge_sort_block_merge_config_selectorIjNS0_10empty_typeEEEZZNS1_27merge_sort_block_merge_implIS3_N6thrust23THRUST_200600_302600_NS6detail15normal_iteratorINS9_10device_ptrIjEEEEPS5_m9comp_mod3IjEEE10hipError_tT0_T1_T2_jT3_P12ihipStream_tbPNSt15iterator_traitsISJ_E10value_typeEPNSP_ISK_E10value_typeEPSL_NS1_7vsmem_tEENKUlT_SJ_SK_SL_E_clISE_PjSF_SF_EESI_SY_SJ_SK_SL_EUlSY_E0_NS1_11comp_targetILNS1_3genE5ELNS1_11target_archE942ELNS1_3gpuE9ELNS1_3repE0EEENS1_38merge_mergepath_config_static_selectorELNS0_4arch9wavefront6targetE0EEEvSK_.uses_flat_scratch, 0
	.set _ZN7rocprim17ROCPRIM_400000_NS6detail17trampoline_kernelINS0_14default_configENS1_38merge_sort_block_merge_config_selectorIjNS0_10empty_typeEEEZZNS1_27merge_sort_block_merge_implIS3_N6thrust23THRUST_200600_302600_NS6detail15normal_iteratorINS9_10device_ptrIjEEEEPS5_m9comp_mod3IjEEE10hipError_tT0_T1_T2_jT3_P12ihipStream_tbPNSt15iterator_traitsISJ_E10value_typeEPNSP_ISK_E10value_typeEPSL_NS1_7vsmem_tEENKUlT_SJ_SK_SL_E_clISE_PjSF_SF_EESI_SY_SJ_SK_SL_EUlSY_E0_NS1_11comp_targetILNS1_3genE5ELNS1_11target_archE942ELNS1_3gpuE9ELNS1_3repE0EEENS1_38merge_mergepath_config_static_selectorELNS0_4arch9wavefront6targetE0EEEvSK_.has_dyn_sized_stack, 0
	.set _ZN7rocprim17ROCPRIM_400000_NS6detail17trampoline_kernelINS0_14default_configENS1_38merge_sort_block_merge_config_selectorIjNS0_10empty_typeEEEZZNS1_27merge_sort_block_merge_implIS3_N6thrust23THRUST_200600_302600_NS6detail15normal_iteratorINS9_10device_ptrIjEEEEPS5_m9comp_mod3IjEEE10hipError_tT0_T1_T2_jT3_P12ihipStream_tbPNSt15iterator_traitsISJ_E10value_typeEPNSP_ISK_E10value_typeEPSL_NS1_7vsmem_tEENKUlT_SJ_SK_SL_E_clISE_PjSF_SF_EESI_SY_SJ_SK_SL_EUlSY_E0_NS1_11comp_targetILNS1_3genE5ELNS1_11target_archE942ELNS1_3gpuE9ELNS1_3repE0EEENS1_38merge_mergepath_config_static_selectorELNS0_4arch9wavefront6targetE0EEEvSK_.has_recursion, 0
	.set _ZN7rocprim17ROCPRIM_400000_NS6detail17trampoline_kernelINS0_14default_configENS1_38merge_sort_block_merge_config_selectorIjNS0_10empty_typeEEEZZNS1_27merge_sort_block_merge_implIS3_N6thrust23THRUST_200600_302600_NS6detail15normal_iteratorINS9_10device_ptrIjEEEEPS5_m9comp_mod3IjEEE10hipError_tT0_T1_T2_jT3_P12ihipStream_tbPNSt15iterator_traitsISJ_E10value_typeEPNSP_ISK_E10value_typeEPSL_NS1_7vsmem_tEENKUlT_SJ_SK_SL_E_clISE_PjSF_SF_EESI_SY_SJ_SK_SL_EUlSY_E0_NS1_11comp_targetILNS1_3genE5ELNS1_11target_archE942ELNS1_3gpuE9ELNS1_3repE0EEENS1_38merge_mergepath_config_static_selectorELNS0_4arch9wavefront6targetE0EEEvSK_.has_indirect_call, 0
	.section	.AMDGPU.csdata,"",@progbits
; Kernel info:
; codeLenInByte = 0
; TotalNumSgprs: 0
; NumVgprs: 0
; ScratchSize: 0
; MemoryBound: 0
; FloatMode: 240
; IeeeMode: 1
; LDSByteSize: 0 bytes/workgroup (compile time only)
; SGPRBlocks: 0
; VGPRBlocks: 0
; NumSGPRsForWavesPerEU: 1
; NumVGPRsForWavesPerEU: 1
; Occupancy: 16
; WaveLimiterHint : 0
; COMPUTE_PGM_RSRC2:SCRATCH_EN: 0
; COMPUTE_PGM_RSRC2:USER_SGPR: 6
; COMPUTE_PGM_RSRC2:TRAP_HANDLER: 0
; COMPUTE_PGM_RSRC2:TGID_X_EN: 1
; COMPUTE_PGM_RSRC2:TGID_Y_EN: 0
; COMPUTE_PGM_RSRC2:TGID_Z_EN: 0
; COMPUTE_PGM_RSRC2:TIDIG_COMP_CNT: 0
	.section	.text._ZN7rocprim17ROCPRIM_400000_NS6detail17trampoline_kernelINS0_14default_configENS1_38merge_sort_block_merge_config_selectorIjNS0_10empty_typeEEEZZNS1_27merge_sort_block_merge_implIS3_N6thrust23THRUST_200600_302600_NS6detail15normal_iteratorINS9_10device_ptrIjEEEEPS5_m9comp_mod3IjEEE10hipError_tT0_T1_T2_jT3_P12ihipStream_tbPNSt15iterator_traitsISJ_E10value_typeEPNSP_ISK_E10value_typeEPSL_NS1_7vsmem_tEENKUlT_SJ_SK_SL_E_clISE_PjSF_SF_EESI_SY_SJ_SK_SL_EUlSY_E0_NS1_11comp_targetILNS1_3genE4ELNS1_11target_archE910ELNS1_3gpuE8ELNS1_3repE0EEENS1_38merge_mergepath_config_static_selectorELNS0_4arch9wavefront6targetE0EEEvSK_,"axG",@progbits,_ZN7rocprim17ROCPRIM_400000_NS6detail17trampoline_kernelINS0_14default_configENS1_38merge_sort_block_merge_config_selectorIjNS0_10empty_typeEEEZZNS1_27merge_sort_block_merge_implIS3_N6thrust23THRUST_200600_302600_NS6detail15normal_iteratorINS9_10device_ptrIjEEEEPS5_m9comp_mod3IjEEE10hipError_tT0_T1_T2_jT3_P12ihipStream_tbPNSt15iterator_traitsISJ_E10value_typeEPNSP_ISK_E10value_typeEPSL_NS1_7vsmem_tEENKUlT_SJ_SK_SL_E_clISE_PjSF_SF_EESI_SY_SJ_SK_SL_EUlSY_E0_NS1_11comp_targetILNS1_3genE4ELNS1_11target_archE910ELNS1_3gpuE8ELNS1_3repE0EEENS1_38merge_mergepath_config_static_selectorELNS0_4arch9wavefront6targetE0EEEvSK_,comdat
	.protected	_ZN7rocprim17ROCPRIM_400000_NS6detail17trampoline_kernelINS0_14default_configENS1_38merge_sort_block_merge_config_selectorIjNS0_10empty_typeEEEZZNS1_27merge_sort_block_merge_implIS3_N6thrust23THRUST_200600_302600_NS6detail15normal_iteratorINS9_10device_ptrIjEEEEPS5_m9comp_mod3IjEEE10hipError_tT0_T1_T2_jT3_P12ihipStream_tbPNSt15iterator_traitsISJ_E10value_typeEPNSP_ISK_E10value_typeEPSL_NS1_7vsmem_tEENKUlT_SJ_SK_SL_E_clISE_PjSF_SF_EESI_SY_SJ_SK_SL_EUlSY_E0_NS1_11comp_targetILNS1_3genE4ELNS1_11target_archE910ELNS1_3gpuE8ELNS1_3repE0EEENS1_38merge_mergepath_config_static_selectorELNS0_4arch9wavefront6targetE0EEEvSK_ ; -- Begin function _ZN7rocprim17ROCPRIM_400000_NS6detail17trampoline_kernelINS0_14default_configENS1_38merge_sort_block_merge_config_selectorIjNS0_10empty_typeEEEZZNS1_27merge_sort_block_merge_implIS3_N6thrust23THRUST_200600_302600_NS6detail15normal_iteratorINS9_10device_ptrIjEEEEPS5_m9comp_mod3IjEEE10hipError_tT0_T1_T2_jT3_P12ihipStream_tbPNSt15iterator_traitsISJ_E10value_typeEPNSP_ISK_E10value_typeEPSL_NS1_7vsmem_tEENKUlT_SJ_SK_SL_E_clISE_PjSF_SF_EESI_SY_SJ_SK_SL_EUlSY_E0_NS1_11comp_targetILNS1_3genE4ELNS1_11target_archE910ELNS1_3gpuE8ELNS1_3repE0EEENS1_38merge_mergepath_config_static_selectorELNS0_4arch9wavefront6targetE0EEEvSK_
	.globl	_ZN7rocprim17ROCPRIM_400000_NS6detail17trampoline_kernelINS0_14default_configENS1_38merge_sort_block_merge_config_selectorIjNS0_10empty_typeEEEZZNS1_27merge_sort_block_merge_implIS3_N6thrust23THRUST_200600_302600_NS6detail15normal_iteratorINS9_10device_ptrIjEEEEPS5_m9comp_mod3IjEEE10hipError_tT0_T1_T2_jT3_P12ihipStream_tbPNSt15iterator_traitsISJ_E10value_typeEPNSP_ISK_E10value_typeEPSL_NS1_7vsmem_tEENKUlT_SJ_SK_SL_E_clISE_PjSF_SF_EESI_SY_SJ_SK_SL_EUlSY_E0_NS1_11comp_targetILNS1_3genE4ELNS1_11target_archE910ELNS1_3gpuE8ELNS1_3repE0EEENS1_38merge_mergepath_config_static_selectorELNS0_4arch9wavefront6targetE0EEEvSK_
	.p2align	8
	.type	_ZN7rocprim17ROCPRIM_400000_NS6detail17trampoline_kernelINS0_14default_configENS1_38merge_sort_block_merge_config_selectorIjNS0_10empty_typeEEEZZNS1_27merge_sort_block_merge_implIS3_N6thrust23THRUST_200600_302600_NS6detail15normal_iteratorINS9_10device_ptrIjEEEEPS5_m9comp_mod3IjEEE10hipError_tT0_T1_T2_jT3_P12ihipStream_tbPNSt15iterator_traitsISJ_E10value_typeEPNSP_ISK_E10value_typeEPSL_NS1_7vsmem_tEENKUlT_SJ_SK_SL_E_clISE_PjSF_SF_EESI_SY_SJ_SK_SL_EUlSY_E0_NS1_11comp_targetILNS1_3genE4ELNS1_11target_archE910ELNS1_3gpuE8ELNS1_3repE0EEENS1_38merge_mergepath_config_static_selectorELNS0_4arch9wavefront6targetE0EEEvSK_,@function
_ZN7rocprim17ROCPRIM_400000_NS6detail17trampoline_kernelINS0_14default_configENS1_38merge_sort_block_merge_config_selectorIjNS0_10empty_typeEEEZZNS1_27merge_sort_block_merge_implIS3_N6thrust23THRUST_200600_302600_NS6detail15normal_iteratorINS9_10device_ptrIjEEEEPS5_m9comp_mod3IjEEE10hipError_tT0_T1_T2_jT3_P12ihipStream_tbPNSt15iterator_traitsISJ_E10value_typeEPNSP_ISK_E10value_typeEPSL_NS1_7vsmem_tEENKUlT_SJ_SK_SL_E_clISE_PjSF_SF_EESI_SY_SJ_SK_SL_EUlSY_E0_NS1_11comp_targetILNS1_3genE4ELNS1_11target_archE910ELNS1_3gpuE8ELNS1_3repE0EEENS1_38merge_mergepath_config_static_selectorELNS0_4arch9wavefront6targetE0EEEvSK_: ; @_ZN7rocprim17ROCPRIM_400000_NS6detail17trampoline_kernelINS0_14default_configENS1_38merge_sort_block_merge_config_selectorIjNS0_10empty_typeEEEZZNS1_27merge_sort_block_merge_implIS3_N6thrust23THRUST_200600_302600_NS6detail15normal_iteratorINS9_10device_ptrIjEEEEPS5_m9comp_mod3IjEEE10hipError_tT0_T1_T2_jT3_P12ihipStream_tbPNSt15iterator_traitsISJ_E10value_typeEPNSP_ISK_E10value_typeEPSL_NS1_7vsmem_tEENKUlT_SJ_SK_SL_E_clISE_PjSF_SF_EESI_SY_SJ_SK_SL_EUlSY_E0_NS1_11comp_targetILNS1_3genE4ELNS1_11target_archE910ELNS1_3gpuE8ELNS1_3repE0EEENS1_38merge_mergepath_config_static_selectorELNS0_4arch9wavefront6targetE0EEEvSK_
; %bb.0:
	.section	.rodata,"a",@progbits
	.p2align	6, 0x0
	.amdhsa_kernel _ZN7rocprim17ROCPRIM_400000_NS6detail17trampoline_kernelINS0_14default_configENS1_38merge_sort_block_merge_config_selectorIjNS0_10empty_typeEEEZZNS1_27merge_sort_block_merge_implIS3_N6thrust23THRUST_200600_302600_NS6detail15normal_iteratorINS9_10device_ptrIjEEEEPS5_m9comp_mod3IjEEE10hipError_tT0_T1_T2_jT3_P12ihipStream_tbPNSt15iterator_traitsISJ_E10value_typeEPNSP_ISK_E10value_typeEPSL_NS1_7vsmem_tEENKUlT_SJ_SK_SL_E_clISE_PjSF_SF_EESI_SY_SJ_SK_SL_EUlSY_E0_NS1_11comp_targetILNS1_3genE4ELNS1_11target_archE910ELNS1_3gpuE8ELNS1_3repE0EEENS1_38merge_mergepath_config_static_selectorELNS0_4arch9wavefront6targetE0EEEvSK_
		.amdhsa_group_segment_fixed_size 0
		.amdhsa_private_segment_fixed_size 0
		.amdhsa_kernarg_size 80
		.amdhsa_user_sgpr_count 6
		.amdhsa_user_sgpr_private_segment_buffer 1
		.amdhsa_user_sgpr_dispatch_ptr 0
		.amdhsa_user_sgpr_queue_ptr 0
		.amdhsa_user_sgpr_kernarg_segment_ptr 1
		.amdhsa_user_sgpr_dispatch_id 0
		.amdhsa_user_sgpr_flat_scratch_init 0
		.amdhsa_user_sgpr_private_segment_size 0
		.amdhsa_wavefront_size32 1
		.amdhsa_uses_dynamic_stack 0
		.amdhsa_system_sgpr_private_segment_wavefront_offset 0
		.amdhsa_system_sgpr_workgroup_id_x 1
		.amdhsa_system_sgpr_workgroup_id_y 0
		.amdhsa_system_sgpr_workgroup_id_z 0
		.amdhsa_system_sgpr_workgroup_info 0
		.amdhsa_system_vgpr_workitem_id 0
		.amdhsa_next_free_vgpr 1
		.amdhsa_next_free_sgpr 1
		.amdhsa_reserve_vcc 0
		.amdhsa_reserve_flat_scratch 0
		.amdhsa_float_round_mode_32 0
		.amdhsa_float_round_mode_16_64 0
		.amdhsa_float_denorm_mode_32 3
		.amdhsa_float_denorm_mode_16_64 3
		.amdhsa_dx10_clamp 1
		.amdhsa_ieee_mode 1
		.amdhsa_fp16_overflow 0
		.amdhsa_workgroup_processor_mode 1
		.amdhsa_memory_ordered 1
		.amdhsa_forward_progress 1
		.amdhsa_shared_vgpr_count 0
		.amdhsa_exception_fp_ieee_invalid_op 0
		.amdhsa_exception_fp_denorm_src 0
		.amdhsa_exception_fp_ieee_div_zero 0
		.amdhsa_exception_fp_ieee_overflow 0
		.amdhsa_exception_fp_ieee_underflow 0
		.amdhsa_exception_fp_ieee_inexact 0
		.amdhsa_exception_int_div_zero 0
	.end_amdhsa_kernel
	.section	.text._ZN7rocprim17ROCPRIM_400000_NS6detail17trampoline_kernelINS0_14default_configENS1_38merge_sort_block_merge_config_selectorIjNS0_10empty_typeEEEZZNS1_27merge_sort_block_merge_implIS3_N6thrust23THRUST_200600_302600_NS6detail15normal_iteratorINS9_10device_ptrIjEEEEPS5_m9comp_mod3IjEEE10hipError_tT0_T1_T2_jT3_P12ihipStream_tbPNSt15iterator_traitsISJ_E10value_typeEPNSP_ISK_E10value_typeEPSL_NS1_7vsmem_tEENKUlT_SJ_SK_SL_E_clISE_PjSF_SF_EESI_SY_SJ_SK_SL_EUlSY_E0_NS1_11comp_targetILNS1_3genE4ELNS1_11target_archE910ELNS1_3gpuE8ELNS1_3repE0EEENS1_38merge_mergepath_config_static_selectorELNS0_4arch9wavefront6targetE0EEEvSK_,"axG",@progbits,_ZN7rocprim17ROCPRIM_400000_NS6detail17trampoline_kernelINS0_14default_configENS1_38merge_sort_block_merge_config_selectorIjNS0_10empty_typeEEEZZNS1_27merge_sort_block_merge_implIS3_N6thrust23THRUST_200600_302600_NS6detail15normal_iteratorINS9_10device_ptrIjEEEEPS5_m9comp_mod3IjEEE10hipError_tT0_T1_T2_jT3_P12ihipStream_tbPNSt15iterator_traitsISJ_E10value_typeEPNSP_ISK_E10value_typeEPSL_NS1_7vsmem_tEENKUlT_SJ_SK_SL_E_clISE_PjSF_SF_EESI_SY_SJ_SK_SL_EUlSY_E0_NS1_11comp_targetILNS1_3genE4ELNS1_11target_archE910ELNS1_3gpuE8ELNS1_3repE0EEENS1_38merge_mergepath_config_static_selectorELNS0_4arch9wavefront6targetE0EEEvSK_,comdat
.Lfunc_end851:
	.size	_ZN7rocprim17ROCPRIM_400000_NS6detail17trampoline_kernelINS0_14default_configENS1_38merge_sort_block_merge_config_selectorIjNS0_10empty_typeEEEZZNS1_27merge_sort_block_merge_implIS3_N6thrust23THRUST_200600_302600_NS6detail15normal_iteratorINS9_10device_ptrIjEEEEPS5_m9comp_mod3IjEEE10hipError_tT0_T1_T2_jT3_P12ihipStream_tbPNSt15iterator_traitsISJ_E10value_typeEPNSP_ISK_E10value_typeEPSL_NS1_7vsmem_tEENKUlT_SJ_SK_SL_E_clISE_PjSF_SF_EESI_SY_SJ_SK_SL_EUlSY_E0_NS1_11comp_targetILNS1_3genE4ELNS1_11target_archE910ELNS1_3gpuE8ELNS1_3repE0EEENS1_38merge_mergepath_config_static_selectorELNS0_4arch9wavefront6targetE0EEEvSK_, .Lfunc_end851-_ZN7rocprim17ROCPRIM_400000_NS6detail17trampoline_kernelINS0_14default_configENS1_38merge_sort_block_merge_config_selectorIjNS0_10empty_typeEEEZZNS1_27merge_sort_block_merge_implIS3_N6thrust23THRUST_200600_302600_NS6detail15normal_iteratorINS9_10device_ptrIjEEEEPS5_m9comp_mod3IjEEE10hipError_tT0_T1_T2_jT3_P12ihipStream_tbPNSt15iterator_traitsISJ_E10value_typeEPNSP_ISK_E10value_typeEPSL_NS1_7vsmem_tEENKUlT_SJ_SK_SL_E_clISE_PjSF_SF_EESI_SY_SJ_SK_SL_EUlSY_E0_NS1_11comp_targetILNS1_3genE4ELNS1_11target_archE910ELNS1_3gpuE8ELNS1_3repE0EEENS1_38merge_mergepath_config_static_selectorELNS0_4arch9wavefront6targetE0EEEvSK_
                                        ; -- End function
	.set _ZN7rocprim17ROCPRIM_400000_NS6detail17trampoline_kernelINS0_14default_configENS1_38merge_sort_block_merge_config_selectorIjNS0_10empty_typeEEEZZNS1_27merge_sort_block_merge_implIS3_N6thrust23THRUST_200600_302600_NS6detail15normal_iteratorINS9_10device_ptrIjEEEEPS5_m9comp_mod3IjEEE10hipError_tT0_T1_T2_jT3_P12ihipStream_tbPNSt15iterator_traitsISJ_E10value_typeEPNSP_ISK_E10value_typeEPSL_NS1_7vsmem_tEENKUlT_SJ_SK_SL_E_clISE_PjSF_SF_EESI_SY_SJ_SK_SL_EUlSY_E0_NS1_11comp_targetILNS1_3genE4ELNS1_11target_archE910ELNS1_3gpuE8ELNS1_3repE0EEENS1_38merge_mergepath_config_static_selectorELNS0_4arch9wavefront6targetE0EEEvSK_.num_vgpr, 0
	.set _ZN7rocprim17ROCPRIM_400000_NS6detail17trampoline_kernelINS0_14default_configENS1_38merge_sort_block_merge_config_selectorIjNS0_10empty_typeEEEZZNS1_27merge_sort_block_merge_implIS3_N6thrust23THRUST_200600_302600_NS6detail15normal_iteratorINS9_10device_ptrIjEEEEPS5_m9comp_mod3IjEEE10hipError_tT0_T1_T2_jT3_P12ihipStream_tbPNSt15iterator_traitsISJ_E10value_typeEPNSP_ISK_E10value_typeEPSL_NS1_7vsmem_tEENKUlT_SJ_SK_SL_E_clISE_PjSF_SF_EESI_SY_SJ_SK_SL_EUlSY_E0_NS1_11comp_targetILNS1_3genE4ELNS1_11target_archE910ELNS1_3gpuE8ELNS1_3repE0EEENS1_38merge_mergepath_config_static_selectorELNS0_4arch9wavefront6targetE0EEEvSK_.num_agpr, 0
	.set _ZN7rocprim17ROCPRIM_400000_NS6detail17trampoline_kernelINS0_14default_configENS1_38merge_sort_block_merge_config_selectorIjNS0_10empty_typeEEEZZNS1_27merge_sort_block_merge_implIS3_N6thrust23THRUST_200600_302600_NS6detail15normal_iteratorINS9_10device_ptrIjEEEEPS5_m9comp_mod3IjEEE10hipError_tT0_T1_T2_jT3_P12ihipStream_tbPNSt15iterator_traitsISJ_E10value_typeEPNSP_ISK_E10value_typeEPSL_NS1_7vsmem_tEENKUlT_SJ_SK_SL_E_clISE_PjSF_SF_EESI_SY_SJ_SK_SL_EUlSY_E0_NS1_11comp_targetILNS1_3genE4ELNS1_11target_archE910ELNS1_3gpuE8ELNS1_3repE0EEENS1_38merge_mergepath_config_static_selectorELNS0_4arch9wavefront6targetE0EEEvSK_.numbered_sgpr, 0
	.set _ZN7rocprim17ROCPRIM_400000_NS6detail17trampoline_kernelINS0_14default_configENS1_38merge_sort_block_merge_config_selectorIjNS0_10empty_typeEEEZZNS1_27merge_sort_block_merge_implIS3_N6thrust23THRUST_200600_302600_NS6detail15normal_iteratorINS9_10device_ptrIjEEEEPS5_m9comp_mod3IjEEE10hipError_tT0_T1_T2_jT3_P12ihipStream_tbPNSt15iterator_traitsISJ_E10value_typeEPNSP_ISK_E10value_typeEPSL_NS1_7vsmem_tEENKUlT_SJ_SK_SL_E_clISE_PjSF_SF_EESI_SY_SJ_SK_SL_EUlSY_E0_NS1_11comp_targetILNS1_3genE4ELNS1_11target_archE910ELNS1_3gpuE8ELNS1_3repE0EEENS1_38merge_mergepath_config_static_selectorELNS0_4arch9wavefront6targetE0EEEvSK_.num_named_barrier, 0
	.set _ZN7rocprim17ROCPRIM_400000_NS6detail17trampoline_kernelINS0_14default_configENS1_38merge_sort_block_merge_config_selectorIjNS0_10empty_typeEEEZZNS1_27merge_sort_block_merge_implIS3_N6thrust23THRUST_200600_302600_NS6detail15normal_iteratorINS9_10device_ptrIjEEEEPS5_m9comp_mod3IjEEE10hipError_tT0_T1_T2_jT3_P12ihipStream_tbPNSt15iterator_traitsISJ_E10value_typeEPNSP_ISK_E10value_typeEPSL_NS1_7vsmem_tEENKUlT_SJ_SK_SL_E_clISE_PjSF_SF_EESI_SY_SJ_SK_SL_EUlSY_E0_NS1_11comp_targetILNS1_3genE4ELNS1_11target_archE910ELNS1_3gpuE8ELNS1_3repE0EEENS1_38merge_mergepath_config_static_selectorELNS0_4arch9wavefront6targetE0EEEvSK_.private_seg_size, 0
	.set _ZN7rocprim17ROCPRIM_400000_NS6detail17trampoline_kernelINS0_14default_configENS1_38merge_sort_block_merge_config_selectorIjNS0_10empty_typeEEEZZNS1_27merge_sort_block_merge_implIS3_N6thrust23THRUST_200600_302600_NS6detail15normal_iteratorINS9_10device_ptrIjEEEEPS5_m9comp_mod3IjEEE10hipError_tT0_T1_T2_jT3_P12ihipStream_tbPNSt15iterator_traitsISJ_E10value_typeEPNSP_ISK_E10value_typeEPSL_NS1_7vsmem_tEENKUlT_SJ_SK_SL_E_clISE_PjSF_SF_EESI_SY_SJ_SK_SL_EUlSY_E0_NS1_11comp_targetILNS1_3genE4ELNS1_11target_archE910ELNS1_3gpuE8ELNS1_3repE0EEENS1_38merge_mergepath_config_static_selectorELNS0_4arch9wavefront6targetE0EEEvSK_.uses_vcc, 0
	.set _ZN7rocprim17ROCPRIM_400000_NS6detail17trampoline_kernelINS0_14default_configENS1_38merge_sort_block_merge_config_selectorIjNS0_10empty_typeEEEZZNS1_27merge_sort_block_merge_implIS3_N6thrust23THRUST_200600_302600_NS6detail15normal_iteratorINS9_10device_ptrIjEEEEPS5_m9comp_mod3IjEEE10hipError_tT0_T1_T2_jT3_P12ihipStream_tbPNSt15iterator_traitsISJ_E10value_typeEPNSP_ISK_E10value_typeEPSL_NS1_7vsmem_tEENKUlT_SJ_SK_SL_E_clISE_PjSF_SF_EESI_SY_SJ_SK_SL_EUlSY_E0_NS1_11comp_targetILNS1_3genE4ELNS1_11target_archE910ELNS1_3gpuE8ELNS1_3repE0EEENS1_38merge_mergepath_config_static_selectorELNS0_4arch9wavefront6targetE0EEEvSK_.uses_flat_scratch, 0
	.set _ZN7rocprim17ROCPRIM_400000_NS6detail17trampoline_kernelINS0_14default_configENS1_38merge_sort_block_merge_config_selectorIjNS0_10empty_typeEEEZZNS1_27merge_sort_block_merge_implIS3_N6thrust23THRUST_200600_302600_NS6detail15normal_iteratorINS9_10device_ptrIjEEEEPS5_m9comp_mod3IjEEE10hipError_tT0_T1_T2_jT3_P12ihipStream_tbPNSt15iterator_traitsISJ_E10value_typeEPNSP_ISK_E10value_typeEPSL_NS1_7vsmem_tEENKUlT_SJ_SK_SL_E_clISE_PjSF_SF_EESI_SY_SJ_SK_SL_EUlSY_E0_NS1_11comp_targetILNS1_3genE4ELNS1_11target_archE910ELNS1_3gpuE8ELNS1_3repE0EEENS1_38merge_mergepath_config_static_selectorELNS0_4arch9wavefront6targetE0EEEvSK_.has_dyn_sized_stack, 0
	.set _ZN7rocprim17ROCPRIM_400000_NS6detail17trampoline_kernelINS0_14default_configENS1_38merge_sort_block_merge_config_selectorIjNS0_10empty_typeEEEZZNS1_27merge_sort_block_merge_implIS3_N6thrust23THRUST_200600_302600_NS6detail15normal_iteratorINS9_10device_ptrIjEEEEPS5_m9comp_mod3IjEEE10hipError_tT0_T1_T2_jT3_P12ihipStream_tbPNSt15iterator_traitsISJ_E10value_typeEPNSP_ISK_E10value_typeEPSL_NS1_7vsmem_tEENKUlT_SJ_SK_SL_E_clISE_PjSF_SF_EESI_SY_SJ_SK_SL_EUlSY_E0_NS1_11comp_targetILNS1_3genE4ELNS1_11target_archE910ELNS1_3gpuE8ELNS1_3repE0EEENS1_38merge_mergepath_config_static_selectorELNS0_4arch9wavefront6targetE0EEEvSK_.has_recursion, 0
	.set _ZN7rocprim17ROCPRIM_400000_NS6detail17trampoline_kernelINS0_14default_configENS1_38merge_sort_block_merge_config_selectorIjNS0_10empty_typeEEEZZNS1_27merge_sort_block_merge_implIS3_N6thrust23THRUST_200600_302600_NS6detail15normal_iteratorINS9_10device_ptrIjEEEEPS5_m9comp_mod3IjEEE10hipError_tT0_T1_T2_jT3_P12ihipStream_tbPNSt15iterator_traitsISJ_E10value_typeEPNSP_ISK_E10value_typeEPSL_NS1_7vsmem_tEENKUlT_SJ_SK_SL_E_clISE_PjSF_SF_EESI_SY_SJ_SK_SL_EUlSY_E0_NS1_11comp_targetILNS1_3genE4ELNS1_11target_archE910ELNS1_3gpuE8ELNS1_3repE0EEENS1_38merge_mergepath_config_static_selectorELNS0_4arch9wavefront6targetE0EEEvSK_.has_indirect_call, 0
	.section	.AMDGPU.csdata,"",@progbits
; Kernel info:
; codeLenInByte = 0
; TotalNumSgprs: 0
; NumVgprs: 0
; ScratchSize: 0
; MemoryBound: 0
; FloatMode: 240
; IeeeMode: 1
; LDSByteSize: 0 bytes/workgroup (compile time only)
; SGPRBlocks: 0
; VGPRBlocks: 0
; NumSGPRsForWavesPerEU: 1
; NumVGPRsForWavesPerEU: 1
; Occupancy: 16
; WaveLimiterHint : 0
; COMPUTE_PGM_RSRC2:SCRATCH_EN: 0
; COMPUTE_PGM_RSRC2:USER_SGPR: 6
; COMPUTE_PGM_RSRC2:TRAP_HANDLER: 0
; COMPUTE_PGM_RSRC2:TGID_X_EN: 1
; COMPUTE_PGM_RSRC2:TGID_Y_EN: 0
; COMPUTE_PGM_RSRC2:TGID_Z_EN: 0
; COMPUTE_PGM_RSRC2:TIDIG_COMP_CNT: 0
	.section	.text._ZN7rocprim17ROCPRIM_400000_NS6detail17trampoline_kernelINS0_14default_configENS1_38merge_sort_block_merge_config_selectorIjNS0_10empty_typeEEEZZNS1_27merge_sort_block_merge_implIS3_N6thrust23THRUST_200600_302600_NS6detail15normal_iteratorINS9_10device_ptrIjEEEEPS5_m9comp_mod3IjEEE10hipError_tT0_T1_T2_jT3_P12ihipStream_tbPNSt15iterator_traitsISJ_E10value_typeEPNSP_ISK_E10value_typeEPSL_NS1_7vsmem_tEENKUlT_SJ_SK_SL_E_clISE_PjSF_SF_EESI_SY_SJ_SK_SL_EUlSY_E0_NS1_11comp_targetILNS1_3genE3ELNS1_11target_archE908ELNS1_3gpuE7ELNS1_3repE0EEENS1_38merge_mergepath_config_static_selectorELNS0_4arch9wavefront6targetE0EEEvSK_,"axG",@progbits,_ZN7rocprim17ROCPRIM_400000_NS6detail17trampoline_kernelINS0_14default_configENS1_38merge_sort_block_merge_config_selectorIjNS0_10empty_typeEEEZZNS1_27merge_sort_block_merge_implIS3_N6thrust23THRUST_200600_302600_NS6detail15normal_iteratorINS9_10device_ptrIjEEEEPS5_m9comp_mod3IjEEE10hipError_tT0_T1_T2_jT3_P12ihipStream_tbPNSt15iterator_traitsISJ_E10value_typeEPNSP_ISK_E10value_typeEPSL_NS1_7vsmem_tEENKUlT_SJ_SK_SL_E_clISE_PjSF_SF_EESI_SY_SJ_SK_SL_EUlSY_E0_NS1_11comp_targetILNS1_3genE3ELNS1_11target_archE908ELNS1_3gpuE7ELNS1_3repE0EEENS1_38merge_mergepath_config_static_selectorELNS0_4arch9wavefront6targetE0EEEvSK_,comdat
	.protected	_ZN7rocprim17ROCPRIM_400000_NS6detail17trampoline_kernelINS0_14default_configENS1_38merge_sort_block_merge_config_selectorIjNS0_10empty_typeEEEZZNS1_27merge_sort_block_merge_implIS3_N6thrust23THRUST_200600_302600_NS6detail15normal_iteratorINS9_10device_ptrIjEEEEPS5_m9comp_mod3IjEEE10hipError_tT0_T1_T2_jT3_P12ihipStream_tbPNSt15iterator_traitsISJ_E10value_typeEPNSP_ISK_E10value_typeEPSL_NS1_7vsmem_tEENKUlT_SJ_SK_SL_E_clISE_PjSF_SF_EESI_SY_SJ_SK_SL_EUlSY_E0_NS1_11comp_targetILNS1_3genE3ELNS1_11target_archE908ELNS1_3gpuE7ELNS1_3repE0EEENS1_38merge_mergepath_config_static_selectorELNS0_4arch9wavefront6targetE0EEEvSK_ ; -- Begin function _ZN7rocprim17ROCPRIM_400000_NS6detail17trampoline_kernelINS0_14default_configENS1_38merge_sort_block_merge_config_selectorIjNS0_10empty_typeEEEZZNS1_27merge_sort_block_merge_implIS3_N6thrust23THRUST_200600_302600_NS6detail15normal_iteratorINS9_10device_ptrIjEEEEPS5_m9comp_mod3IjEEE10hipError_tT0_T1_T2_jT3_P12ihipStream_tbPNSt15iterator_traitsISJ_E10value_typeEPNSP_ISK_E10value_typeEPSL_NS1_7vsmem_tEENKUlT_SJ_SK_SL_E_clISE_PjSF_SF_EESI_SY_SJ_SK_SL_EUlSY_E0_NS1_11comp_targetILNS1_3genE3ELNS1_11target_archE908ELNS1_3gpuE7ELNS1_3repE0EEENS1_38merge_mergepath_config_static_selectorELNS0_4arch9wavefront6targetE0EEEvSK_
	.globl	_ZN7rocprim17ROCPRIM_400000_NS6detail17trampoline_kernelINS0_14default_configENS1_38merge_sort_block_merge_config_selectorIjNS0_10empty_typeEEEZZNS1_27merge_sort_block_merge_implIS3_N6thrust23THRUST_200600_302600_NS6detail15normal_iteratorINS9_10device_ptrIjEEEEPS5_m9comp_mod3IjEEE10hipError_tT0_T1_T2_jT3_P12ihipStream_tbPNSt15iterator_traitsISJ_E10value_typeEPNSP_ISK_E10value_typeEPSL_NS1_7vsmem_tEENKUlT_SJ_SK_SL_E_clISE_PjSF_SF_EESI_SY_SJ_SK_SL_EUlSY_E0_NS1_11comp_targetILNS1_3genE3ELNS1_11target_archE908ELNS1_3gpuE7ELNS1_3repE0EEENS1_38merge_mergepath_config_static_selectorELNS0_4arch9wavefront6targetE0EEEvSK_
	.p2align	8
	.type	_ZN7rocprim17ROCPRIM_400000_NS6detail17trampoline_kernelINS0_14default_configENS1_38merge_sort_block_merge_config_selectorIjNS0_10empty_typeEEEZZNS1_27merge_sort_block_merge_implIS3_N6thrust23THRUST_200600_302600_NS6detail15normal_iteratorINS9_10device_ptrIjEEEEPS5_m9comp_mod3IjEEE10hipError_tT0_T1_T2_jT3_P12ihipStream_tbPNSt15iterator_traitsISJ_E10value_typeEPNSP_ISK_E10value_typeEPSL_NS1_7vsmem_tEENKUlT_SJ_SK_SL_E_clISE_PjSF_SF_EESI_SY_SJ_SK_SL_EUlSY_E0_NS1_11comp_targetILNS1_3genE3ELNS1_11target_archE908ELNS1_3gpuE7ELNS1_3repE0EEENS1_38merge_mergepath_config_static_selectorELNS0_4arch9wavefront6targetE0EEEvSK_,@function
_ZN7rocprim17ROCPRIM_400000_NS6detail17trampoline_kernelINS0_14default_configENS1_38merge_sort_block_merge_config_selectorIjNS0_10empty_typeEEEZZNS1_27merge_sort_block_merge_implIS3_N6thrust23THRUST_200600_302600_NS6detail15normal_iteratorINS9_10device_ptrIjEEEEPS5_m9comp_mod3IjEEE10hipError_tT0_T1_T2_jT3_P12ihipStream_tbPNSt15iterator_traitsISJ_E10value_typeEPNSP_ISK_E10value_typeEPSL_NS1_7vsmem_tEENKUlT_SJ_SK_SL_E_clISE_PjSF_SF_EESI_SY_SJ_SK_SL_EUlSY_E0_NS1_11comp_targetILNS1_3genE3ELNS1_11target_archE908ELNS1_3gpuE7ELNS1_3repE0EEENS1_38merge_mergepath_config_static_selectorELNS0_4arch9wavefront6targetE0EEEvSK_: ; @_ZN7rocprim17ROCPRIM_400000_NS6detail17trampoline_kernelINS0_14default_configENS1_38merge_sort_block_merge_config_selectorIjNS0_10empty_typeEEEZZNS1_27merge_sort_block_merge_implIS3_N6thrust23THRUST_200600_302600_NS6detail15normal_iteratorINS9_10device_ptrIjEEEEPS5_m9comp_mod3IjEEE10hipError_tT0_T1_T2_jT3_P12ihipStream_tbPNSt15iterator_traitsISJ_E10value_typeEPNSP_ISK_E10value_typeEPSL_NS1_7vsmem_tEENKUlT_SJ_SK_SL_E_clISE_PjSF_SF_EESI_SY_SJ_SK_SL_EUlSY_E0_NS1_11comp_targetILNS1_3genE3ELNS1_11target_archE908ELNS1_3gpuE7ELNS1_3repE0EEENS1_38merge_mergepath_config_static_selectorELNS0_4arch9wavefront6targetE0EEEvSK_
; %bb.0:
	.section	.rodata,"a",@progbits
	.p2align	6, 0x0
	.amdhsa_kernel _ZN7rocprim17ROCPRIM_400000_NS6detail17trampoline_kernelINS0_14default_configENS1_38merge_sort_block_merge_config_selectorIjNS0_10empty_typeEEEZZNS1_27merge_sort_block_merge_implIS3_N6thrust23THRUST_200600_302600_NS6detail15normal_iteratorINS9_10device_ptrIjEEEEPS5_m9comp_mod3IjEEE10hipError_tT0_T1_T2_jT3_P12ihipStream_tbPNSt15iterator_traitsISJ_E10value_typeEPNSP_ISK_E10value_typeEPSL_NS1_7vsmem_tEENKUlT_SJ_SK_SL_E_clISE_PjSF_SF_EESI_SY_SJ_SK_SL_EUlSY_E0_NS1_11comp_targetILNS1_3genE3ELNS1_11target_archE908ELNS1_3gpuE7ELNS1_3repE0EEENS1_38merge_mergepath_config_static_selectorELNS0_4arch9wavefront6targetE0EEEvSK_
		.amdhsa_group_segment_fixed_size 0
		.amdhsa_private_segment_fixed_size 0
		.amdhsa_kernarg_size 80
		.amdhsa_user_sgpr_count 6
		.amdhsa_user_sgpr_private_segment_buffer 1
		.amdhsa_user_sgpr_dispatch_ptr 0
		.amdhsa_user_sgpr_queue_ptr 0
		.amdhsa_user_sgpr_kernarg_segment_ptr 1
		.amdhsa_user_sgpr_dispatch_id 0
		.amdhsa_user_sgpr_flat_scratch_init 0
		.amdhsa_user_sgpr_private_segment_size 0
		.amdhsa_wavefront_size32 1
		.amdhsa_uses_dynamic_stack 0
		.amdhsa_system_sgpr_private_segment_wavefront_offset 0
		.amdhsa_system_sgpr_workgroup_id_x 1
		.amdhsa_system_sgpr_workgroup_id_y 0
		.amdhsa_system_sgpr_workgroup_id_z 0
		.amdhsa_system_sgpr_workgroup_info 0
		.amdhsa_system_vgpr_workitem_id 0
		.amdhsa_next_free_vgpr 1
		.amdhsa_next_free_sgpr 1
		.amdhsa_reserve_vcc 0
		.amdhsa_reserve_flat_scratch 0
		.amdhsa_float_round_mode_32 0
		.amdhsa_float_round_mode_16_64 0
		.amdhsa_float_denorm_mode_32 3
		.amdhsa_float_denorm_mode_16_64 3
		.amdhsa_dx10_clamp 1
		.amdhsa_ieee_mode 1
		.amdhsa_fp16_overflow 0
		.amdhsa_workgroup_processor_mode 1
		.amdhsa_memory_ordered 1
		.amdhsa_forward_progress 1
		.amdhsa_shared_vgpr_count 0
		.amdhsa_exception_fp_ieee_invalid_op 0
		.amdhsa_exception_fp_denorm_src 0
		.amdhsa_exception_fp_ieee_div_zero 0
		.amdhsa_exception_fp_ieee_overflow 0
		.amdhsa_exception_fp_ieee_underflow 0
		.amdhsa_exception_fp_ieee_inexact 0
		.amdhsa_exception_int_div_zero 0
	.end_amdhsa_kernel
	.section	.text._ZN7rocprim17ROCPRIM_400000_NS6detail17trampoline_kernelINS0_14default_configENS1_38merge_sort_block_merge_config_selectorIjNS0_10empty_typeEEEZZNS1_27merge_sort_block_merge_implIS3_N6thrust23THRUST_200600_302600_NS6detail15normal_iteratorINS9_10device_ptrIjEEEEPS5_m9comp_mod3IjEEE10hipError_tT0_T1_T2_jT3_P12ihipStream_tbPNSt15iterator_traitsISJ_E10value_typeEPNSP_ISK_E10value_typeEPSL_NS1_7vsmem_tEENKUlT_SJ_SK_SL_E_clISE_PjSF_SF_EESI_SY_SJ_SK_SL_EUlSY_E0_NS1_11comp_targetILNS1_3genE3ELNS1_11target_archE908ELNS1_3gpuE7ELNS1_3repE0EEENS1_38merge_mergepath_config_static_selectorELNS0_4arch9wavefront6targetE0EEEvSK_,"axG",@progbits,_ZN7rocprim17ROCPRIM_400000_NS6detail17trampoline_kernelINS0_14default_configENS1_38merge_sort_block_merge_config_selectorIjNS0_10empty_typeEEEZZNS1_27merge_sort_block_merge_implIS3_N6thrust23THRUST_200600_302600_NS6detail15normal_iteratorINS9_10device_ptrIjEEEEPS5_m9comp_mod3IjEEE10hipError_tT0_T1_T2_jT3_P12ihipStream_tbPNSt15iterator_traitsISJ_E10value_typeEPNSP_ISK_E10value_typeEPSL_NS1_7vsmem_tEENKUlT_SJ_SK_SL_E_clISE_PjSF_SF_EESI_SY_SJ_SK_SL_EUlSY_E0_NS1_11comp_targetILNS1_3genE3ELNS1_11target_archE908ELNS1_3gpuE7ELNS1_3repE0EEENS1_38merge_mergepath_config_static_selectorELNS0_4arch9wavefront6targetE0EEEvSK_,comdat
.Lfunc_end852:
	.size	_ZN7rocprim17ROCPRIM_400000_NS6detail17trampoline_kernelINS0_14default_configENS1_38merge_sort_block_merge_config_selectorIjNS0_10empty_typeEEEZZNS1_27merge_sort_block_merge_implIS3_N6thrust23THRUST_200600_302600_NS6detail15normal_iteratorINS9_10device_ptrIjEEEEPS5_m9comp_mod3IjEEE10hipError_tT0_T1_T2_jT3_P12ihipStream_tbPNSt15iterator_traitsISJ_E10value_typeEPNSP_ISK_E10value_typeEPSL_NS1_7vsmem_tEENKUlT_SJ_SK_SL_E_clISE_PjSF_SF_EESI_SY_SJ_SK_SL_EUlSY_E0_NS1_11comp_targetILNS1_3genE3ELNS1_11target_archE908ELNS1_3gpuE7ELNS1_3repE0EEENS1_38merge_mergepath_config_static_selectorELNS0_4arch9wavefront6targetE0EEEvSK_, .Lfunc_end852-_ZN7rocprim17ROCPRIM_400000_NS6detail17trampoline_kernelINS0_14default_configENS1_38merge_sort_block_merge_config_selectorIjNS0_10empty_typeEEEZZNS1_27merge_sort_block_merge_implIS3_N6thrust23THRUST_200600_302600_NS6detail15normal_iteratorINS9_10device_ptrIjEEEEPS5_m9comp_mod3IjEEE10hipError_tT0_T1_T2_jT3_P12ihipStream_tbPNSt15iterator_traitsISJ_E10value_typeEPNSP_ISK_E10value_typeEPSL_NS1_7vsmem_tEENKUlT_SJ_SK_SL_E_clISE_PjSF_SF_EESI_SY_SJ_SK_SL_EUlSY_E0_NS1_11comp_targetILNS1_3genE3ELNS1_11target_archE908ELNS1_3gpuE7ELNS1_3repE0EEENS1_38merge_mergepath_config_static_selectorELNS0_4arch9wavefront6targetE0EEEvSK_
                                        ; -- End function
	.set _ZN7rocprim17ROCPRIM_400000_NS6detail17trampoline_kernelINS0_14default_configENS1_38merge_sort_block_merge_config_selectorIjNS0_10empty_typeEEEZZNS1_27merge_sort_block_merge_implIS3_N6thrust23THRUST_200600_302600_NS6detail15normal_iteratorINS9_10device_ptrIjEEEEPS5_m9comp_mod3IjEEE10hipError_tT0_T1_T2_jT3_P12ihipStream_tbPNSt15iterator_traitsISJ_E10value_typeEPNSP_ISK_E10value_typeEPSL_NS1_7vsmem_tEENKUlT_SJ_SK_SL_E_clISE_PjSF_SF_EESI_SY_SJ_SK_SL_EUlSY_E0_NS1_11comp_targetILNS1_3genE3ELNS1_11target_archE908ELNS1_3gpuE7ELNS1_3repE0EEENS1_38merge_mergepath_config_static_selectorELNS0_4arch9wavefront6targetE0EEEvSK_.num_vgpr, 0
	.set _ZN7rocprim17ROCPRIM_400000_NS6detail17trampoline_kernelINS0_14default_configENS1_38merge_sort_block_merge_config_selectorIjNS0_10empty_typeEEEZZNS1_27merge_sort_block_merge_implIS3_N6thrust23THRUST_200600_302600_NS6detail15normal_iteratorINS9_10device_ptrIjEEEEPS5_m9comp_mod3IjEEE10hipError_tT0_T1_T2_jT3_P12ihipStream_tbPNSt15iterator_traitsISJ_E10value_typeEPNSP_ISK_E10value_typeEPSL_NS1_7vsmem_tEENKUlT_SJ_SK_SL_E_clISE_PjSF_SF_EESI_SY_SJ_SK_SL_EUlSY_E0_NS1_11comp_targetILNS1_3genE3ELNS1_11target_archE908ELNS1_3gpuE7ELNS1_3repE0EEENS1_38merge_mergepath_config_static_selectorELNS0_4arch9wavefront6targetE0EEEvSK_.num_agpr, 0
	.set _ZN7rocprim17ROCPRIM_400000_NS6detail17trampoline_kernelINS0_14default_configENS1_38merge_sort_block_merge_config_selectorIjNS0_10empty_typeEEEZZNS1_27merge_sort_block_merge_implIS3_N6thrust23THRUST_200600_302600_NS6detail15normal_iteratorINS9_10device_ptrIjEEEEPS5_m9comp_mod3IjEEE10hipError_tT0_T1_T2_jT3_P12ihipStream_tbPNSt15iterator_traitsISJ_E10value_typeEPNSP_ISK_E10value_typeEPSL_NS1_7vsmem_tEENKUlT_SJ_SK_SL_E_clISE_PjSF_SF_EESI_SY_SJ_SK_SL_EUlSY_E0_NS1_11comp_targetILNS1_3genE3ELNS1_11target_archE908ELNS1_3gpuE7ELNS1_3repE0EEENS1_38merge_mergepath_config_static_selectorELNS0_4arch9wavefront6targetE0EEEvSK_.numbered_sgpr, 0
	.set _ZN7rocprim17ROCPRIM_400000_NS6detail17trampoline_kernelINS0_14default_configENS1_38merge_sort_block_merge_config_selectorIjNS0_10empty_typeEEEZZNS1_27merge_sort_block_merge_implIS3_N6thrust23THRUST_200600_302600_NS6detail15normal_iteratorINS9_10device_ptrIjEEEEPS5_m9comp_mod3IjEEE10hipError_tT0_T1_T2_jT3_P12ihipStream_tbPNSt15iterator_traitsISJ_E10value_typeEPNSP_ISK_E10value_typeEPSL_NS1_7vsmem_tEENKUlT_SJ_SK_SL_E_clISE_PjSF_SF_EESI_SY_SJ_SK_SL_EUlSY_E0_NS1_11comp_targetILNS1_3genE3ELNS1_11target_archE908ELNS1_3gpuE7ELNS1_3repE0EEENS1_38merge_mergepath_config_static_selectorELNS0_4arch9wavefront6targetE0EEEvSK_.num_named_barrier, 0
	.set _ZN7rocprim17ROCPRIM_400000_NS6detail17trampoline_kernelINS0_14default_configENS1_38merge_sort_block_merge_config_selectorIjNS0_10empty_typeEEEZZNS1_27merge_sort_block_merge_implIS3_N6thrust23THRUST_200600_302600_NS6detail15normal_iteratorINS9_10device_ptrIjEEEEPS5_m9comp_mod3IjEEE10hipError_tT0_T1_T2_jT3_P12ihipStream_tbPNSt15iterator_traitsISJ_E10value_typeEPNSP_ISK_E10value_typeEPSL_NS1_7vsmem_tEENKUlT_SJ_SK_SL_E_clISE_PjSF_SF_EESI_SY_SJ_SK_SL_EUlSY_E0_NS1_11comp_targetILNS1_3genE3ELNS1_11target_archE908ELNS1_3gpuE7ELNS1_3repE0EEENS1_38merge_mergepath_config_static_selectorELNS0_4arch9wavefront6targetE0EEEvSK_.private_seg_size, 0
	.set _ZN7rocprim17ROCPRIM_400000_NS6detail17trampoline_kernelINS0_14default_configENS1_38merge_sort_block_merge_config_selectorIjNS0_10empty_typeEEEZZNS1_27merge_sort_block_merge_implIS3_N6thrust23THRUST_200600_302600_NS6detail15normal_iteratorINS9_10device_ptrIjEEEEPS5_m9comp_mod3IjEEE10hipError_tT0_T1_T2_jT3_P12ihipStream_tbPNSt15iterator_traitsISJ_E10value_typeEPNSP_ISK_E10value_typeEPSL_NS1_7vsmem_tEENKUlT_SJ_SK_SL_E_clISE_PjSF_SF_EESI_SY_SJ_SK_SL_EUlSY_E0_NS1_11comp_targetILNS1_3genE3ELNS1_11target_archE908ELNS1_3gpuE7ELNS1_3repE0EEENS1_38merge_mergepath_config_static_selectorELNS0_4arch9wavefront6targetE0EEEvSK_.uses_vcc, 0
	.set _ZN7rocprim17ROCPRIM_400000_NS6detail17trampoline_kernelINS0_14default_configENS1_38merge_sort_block_merge_config_selectorIjNS0_10empty_typeEEEZZNS1_27merge_sort_block_merge_implIS3_N6thrust23THRUST_200600_302600_NS6detail15normal_iteratorINS9_10device_ptrIjEEEEPS5_m9comp_mod3IjEEE10hipError_tT0_T1_T2_jT3_P12ihipStream_tbPNSt15iterator_traitsISJ_E10value_typeEPNSP_ISK_E10value_typeEPSL_NS1_7vsmem_tEENKUlT_SJ_SK_SL_E_clISE_PjSF_SF_EESI_SY_SJ_SK_SL_EUlSY_E0_NS1_11comp_targetILNS1_3genE3ELNS1_11target_archE908ELNS1_3gpuE7ELNS1_3repE0EEENS1_38merge_mergepath_config_static_selectorELNS0_4arch9wavefront6targetE0EEEvSK_.uses_flat_scratch, 0
	.set _ZN7rocprim17ROCPRIM_400000_NS6detail17trampoline_kernelINS0_14default_configENS1_38merge_sort_block_merge_config_selectorIjNS0_10empty_typeEEEZZNS1_27merge_sort_block_merge_implIS3_N6thrust23THRUST_200600_302600_NS6detail15normal_iteratorINS9_10device_ptrIjEEEEPS5_m9comp_mod3IjEEE10hipError_tT0_T1_T2_jT3_P12ihipStream_tbPNSt15iterator_traitsISJ_E10value_typeEPNSP_ISK_E10value_typeEPSL_NS1_7vsmem_tEENKUlT_SJ_SK_SL_E_clISE_PjSF_SF_EESI_SY_SJ_SK_SL_EUlSY_E0_NS1_11comp_targetILNS1_3genE3ELNS1_11target_archE908ELNS1_3gpuE7ELNS1_3repE0EEENS1_38merge_mergepath_config_static_selectorELNS0_4arch9wavefront6targetE0EEEvSK_.has_dyn_sized_stack, 0
	.set _ZN7rocprim17ROCPRIM_400000_NS6detail17trampoline_kernelINS0_14default_configENS1_38merge_sort_block_merge_config_selectorIjNS0_10empty_typeEEEZZNS1_27merge_sort_block_merge_implIS3_N6thrust23THRUST_200600_302600_NS6detail15normal_iteratorINS9_10device_ptrIjEEEEPS5_m9comp_mod3IjEEE10hipError_tT0_T1_T2_jT3_P12ihipStream_tbPNSt15iterator_traitsISJ_E10value_typeEPNSP_ISK_E10value_typeEPSL_NS1_7vsmem_tEENKUlT_SJ_SK_SL_E_clISE_PjSF_SF_EESI_SY_SJ_SK_SL_EUlSY_E0_NS1_11comp_targetILNS1_3genE3ELNS1_11target_archE908ELNS1_3gpuE7ELNS1_3repE0EEENS1_38merge_mergepath_config_static_selectorELNS0_4arch9wavefront6targetE0EEEvSK_.has_recursion, 0
	.set _ZN7rocprim17ROCPRIM_400000_NS6detail17trampoline_kernelINS0_14default_configENS1_38merge_sort_block_merge_config_selectorIjNS0_10empty_typeEEEZZNS1_27merge_sort_block_merge_implIS3_N6thrust23THRUST_200600_302600_NS6detail15normal_iteratorINS9_10device_ptrIjEEEEPS5_m9comp_mod3IjEEE10hipError_tT0_T1_T2_jT3_P12ihipStream_tbPNSt15iterator_traitsISJ_E10value_typeEPNSP_ISK_E10value_typeEPSL_NS1_7vsmem_tEENKUlT_SJ_SK_SL_E_clISE_PjSF_SF_EESI_SY_SJ_SK_SL_EUlSY_E0_NS1_11comp_targetILNS1_3genE3ELNS1_11target_archE908ELNS1_3gpuE7ELNS1_3repE0EEENS1_38merge_mergepath_config_static_selectorELNS0_4arch9wavefront6targetE0EEEvSK_.has_indirect_call, 0
	.section	.AMDGPU.csdata,"",@progbits
; Kernel info:
; codeLenInByte = 0
; TotalNumSgprs: 0
; NumVgprs: 0
; ScratchSize: 0
; MemoryBound: 0
; FloatMode: 240
; IeeeMode: 1
; LDSByteSize: 0 bytes/workgroup (compile time only)
; SGPRBlocks: 0
; VGPRBlocks: 0
; NumSGPRsForWavesPerEU: 1
; NumVGPRsForWavesPerEU: 1
; Occupancy: 16
; WaveLimiterHint : 0
; COMPUTE_PGM_RSRC2:SCRATCH_EN: 0
; COMPUTE_PGM_RSRC2:USER_SGPR: 6
; COMPUTE_PGM_RSRC2:TRAP_HANDLER: 0
; COMPUTE_PGM_RSRC2:TGID_X_EN: 1
; COMPUTE_PGM_RSRC2:TGID_Y_EN: 0
; COMPUTE_PGM_RSRC2:TGID_Z_EN: 0
; COMPUTE_PGM_RSRC2:TIDIG_COMP_CNT: 0
	.section	.text._ZN7rocprim17ROCPRIM_400000_NS6detail17trampoline_kernelINS0_14default_configENS1_38merge_sort_block_merge_config_selectorIjNS0_10empty_typeEEEZZNS1_27merge_sort_block_merge_implIS3_N6thrust23THRUST_200600_302600_NS6detail15normal_iteratorINS9_10device_ptrIjEEEEPS5_m9comp_mod3IjEEE10hipError_tT0_T1_T2_jT3_P12ihipStream_tbPNSt15iterator_traitsISJ_E10value_typeEPNSP_ISK_E10value_typeEPSL_NS1_7vsmem_tEENKUlT_SJ_SK_SL_E_clISE_PjSF_SF_EESI_SY_SJ_SK_SL_EUlSY_E0_NS1_11comp_targetILNS1_3genE2ELNS1_11target_archE906ELNS1_3gpuE6ELNS1_3repE0EEENS1_38merge_mergepath_config_static_selectorELNS0_4arch9wavefront6targetE0EEEvSK_,"axG",@progbits,_ZN7rocprim17ROCPRIM_400000_NS6detail17trampoline_kernelINS0_14default_configENS1_38merge_sort_block_merge_config_selectorIjNS0_10empty_typeEEEZZNS1_27merge_sort_block_merge_implIS3_N6thrust23THRUST_200600_302600_NS6detail15normal_iteratorINS9_10device_ptrIjEEEEPS5_m9comp_mod3IjEEE10hipError_tT0_T1_T2_jT3_P12ihipStream_tbPNSt15iterator_traitsISJ_E10value_typeEPNSP_ISK_E10value_typeEPSL_NS1_7vsmem_tEENKUlT_SJ_SK_SL_E_clISE_PjSF_SF_EESI_SY_SJ_SK_SL_EUlSY_E0_NS1_11comp_targetILNS1_3genE2ELNS1_11target_archE906ELNS1_3gpuE6ELNS1_3repE0EEENS1_38merge_mergepath_config_static_selectorELNS0_4arch9wavefront6targetE0EEEvSK_,comdat
	.protected	_ZN7rocprim17ROCPRIM_400000_NS6detail17trampoline_kernelINS0_14default_configENS1_38merge_sort_block_merge_config_selectorIjNS0_10empty_typeEEEZZNS1_27merge_sort_block_merge_implIS3_N6thrust23THRUST_200600_302600_NS6detail15normal_iteratorINS9_10device_ptrIjEEEEPS5_m9comp_mod3IjEEE10hipError_tT0_T1_T2_jT3_P12ihipStream_tbPNSt15iterator_traitsISJ_E10value_typeEPNSP_ISK_E10value_typeEPSL_NS1_7vsmem_tEENKUlT_SJ_SK_SL_E_clISE_PjSF_SF_EESI_SY_SJ_SK_SL_EUlSY_E0_NS1_11comp_targetILNS1_3genE2ELNS1_11target_archE906ELNS1_3gpuE6ELNS1_3repE0EEENS1_38merge_mergepath_config_static_selectorELNS0_4arch9wavefront6targetE0EEEvSK_ ; -- Begin function _ZN7rocprim17ROCPRIM_400000_NS6detail17trampoline_kernelINS0_14default_configENS1_38merge_sort_block_merge_config_selectorIjNS0_10empty_typeEEEZZNS1_27merge_sort_block_merge_implIS3_N6thrust23THRUST_200600_302600_NS6detail15normal_iteratorINS9_10device_ptrIjEEEEPS5_m9comp_mod3IjEEE10hipError_tT0_T1_T2_jT3_P12ihipStream_tbPNSt15iterator_traitsISJ_E10value_typeEPNSP_ISK_E10value_typeEPSL_NS1_7vsmem_tEENKUlT_SJ_SK_SL_E_clISE_PjSF_SF_EESI_SY_SJ_SK_SL_EUlSY_E0_NS1_11comp_targetILNS1_3genE2ELNS1_11target_archE906ELNS1_3gpuE6ELNS1_3repE0EEENS1_38merge_mergepath_config_static_selectorELNS0_4arch9wavefront6targetE0EEEvSK_
	.globl	_ZN7rocprim17ROCPRIM_400000_NS6detail17trampoline_kernelINS0_14default_configENS1_38merge_sort_block_merge_config_selectorIjNS0_10empty_typeEEEZZNS1_27merge_sort_block_merge_implIS3_N6thrust23THRUST_200600_302600_NS6detail15normal_iteratorINS9_10device_ptrIjEEEEPS5_m9comp_mod3IjEEE10hipError_tT0_T1_T2_jT3_P12ihipStream_tbPNSt15iterator_traitsISJ_E10value_typeEPNSP_ISK_E10value_typeEPSL_NS1_7vsmem_tEENKUlT_SJ_SK_SL_E_clISE_PjSF_SF_EESI_SY_SJ_SK_SL_EUlSY_E0_NS1_11comp_targetILNS1_3genE2ELNS1_11target_archE906ELNS1_3gpuE6ELNS1_3repE0EEENS1_38merge_mergepath_config_static_selectorELNS0_4arch9wavefront6targetE0EEEvSK_
	.p2align	8
	.type	_ZN7rocprim17ROCPRIM_400000_NS6detail17trampoline_kernelINS0_14default_configENS1_38merge_sort_block_merge_config_selectorIjNS0_10empty_typeEEEZZNS1_27merge_sort_block_merge_implIS3_N6thrust23THRUST_200600_302600_NS6detail15normal_iteratorINS9_10device_ptrIjEEEEPS5_m9comp_mod3IjEEE10hipError_tT0_T1_T2_jT3_P12ihipStream_tbPNSt15iterator_traitsISJ_E10value_typeEPNSP_ISK_E10value_typeEPSL_NS1_7vsmem_tEENKUlT_SJ_SK_SL_E_clISE_PjSF_SF_EESI_SY_SJ_SK_SL_EUlSY_E0_NS1_11comp_targetILNS1_3genE2ELNS1_11target_archE906ELNS1_3gpuE6ELNS1_3repE0EEENS1_38merge_mergepath_config_static_selectorELNS0_4arch9wavefront6targetE0EEEvSK_,@function
_ZN7rocprim17ROCPRIM_400000_NS6detail17trampoline_kernelINS0_14default_configENS1_38merge_sort_block_merge_config_selectorIjNS0_10empty_typeEEEZZNS1_27merge_sort_block_merge_implIS3_N6thrust23THRUST_200600_302600_NS6detail15normal_iteratorINS9_10device_ptrIjEEEEPS5_m9comp_mod3IjEEE10hipError_tT0_T1_T2_jT3_P12ihipStream_tbPNSt15iterator_traitsISJ_E10value_typeEPNSP_ISK_E10value_typeEPSL_NS1_7vsmem_tEENKUlT_SJ_SK_SL_E_clISE_PjSF_SF_EESI_SY_SJ_SK_SL_EUlSY_E0_NS1_11comp_targetILNS1_3genE2ELNS1_11target_archE906ELNS1_3gpuE6ELNS1_3repE0EEENS1_38merge_mergepath_config_static_selectorELNS0_4arch9wavefront6targetE0EEEvSK_: ; @_ZN7rocprim17ROCPRIM_400000_NS6detail17trampoline_kernelINS0_14default_configENS1_38merge_sort_block_merge_config_selectorIjNS0_10empty_typeEEEZZNS1_27merge_sort_block_merge_implIS3_N6thrust23THRUST_200600_302600_NS6detail15normal_iteratorINS9_10device_ptrIjEEEEPS5_m9comp_mod3IjEEE10hipError_tT0_T1_T2_jT3_P12ihipStream_tbPNSt15iterator_traitsISJ_E10value_typeEPNSP_ISK_E10value_typeEPSL_NS1_7vsmem_tEENKUlT_SJ_SK_SL_E_clISE_PjSF_SF_EESI_SY_SJ_SK_SL_EUlSY_E0_NS1_11comp_targetILNS1_3genE2ELNS1_11target_archE906ELNS1_3gpuE6ELNS1_3repE0EEENS1_38merge_mergepath_config_static_selectorELNS0_4arch9wavefront6targetE0EEEvSK_
; %bb.0:
	.section	.rodata,"a",@progbits
	.p2align	6, 0x0
	.amdhsa_kernel _ZN7rocprim17ROCPRIM_400000_NS6detail17trampoline_kernelINS0_14default_configENS1_38merge_sort_block_merge_config_selectorIjNS0_10empty_typeEEEZZNS1_27merge_sort_block_merge_implIS3_N6thrust23THRUST_200600_302600_NS6detail15normal_iteratorINS9_10device_ptrIjEEEEPS5_m9comp_mod3IjEEE10hipError_tT0_T1_T2_jT3_P12ihipStream_tbPNSt15iterator_traitsISJ_E10value_typeEPNSP_ISK_E10value_typeEPSL_NS1_7vsmem_tEENKUlT_SJ_SK_SL_E_clISE_PjSF_SF_EESI_SY_SJ_SK_SL_EUlSY_E0_NS1_11comp_targetILNS1_3genE2ELNS1_11target_archE906ELNS1_3gpuE6ELNS1_3repE0EEENS1_38merge_mergepath_config_static_selectorELNS0_4arch9wavefront6targetE0EEEvSK_
		.amdhsa_group_segment_fixed_size 0
		.amdhsa_private_segment_fixed_size 0
		.amdhsa_kernarg_size 80
		.amdhsa_user_sgpr_count 6
		.amdhsa_user_sgpr_private_segment_buffer 1
		.amdhsa_user_sgpr_dispatch_ptr 0
		.amdhsa_user_sgpr_queue_ptr 0
		.amdhsa_user_sgpr_kernarg_segment_ptr 1
		.amdhsa_user_sgpr_dispatch_id 0
		.amdhsa_user_sgpr_flat_scratch_init 0
		.amdhsa_user_sgpr_private_segment_size 0
		.amdhsa_wavefront_size32 1
		.amdhsa_uses_dynamic_stack 0
		.amdhsa_system_sgpr_private_segment_wavefront_offset 0
		.amdhsa_system_sgpr_workgroup_id_x 1
		.amdhsa_system_sgpr_workgroup_id_y 0
		.amdhsa_system_sgpr_workgroup_id_z 0
		.amdhsa_system_sgpr_workgroup_info 0
		.amdhsa_system_vgpr_workitem_id 0
		.amdhsa_next_free_vgpr 1
		.amdhsa_next_free_sgpr 1
		.amdhsa_reserve_vcc 0
		.amdhsa_reserve_flat_scratch 0
		.amdhsa_float_round_mode_32 0
		.amdhsa_float_round_mode_16_64 0
		.amdhsa_float_denorm_mode_32 3
		.amdhsa_float_denorm_mode_16_64 3
		.amdhsa_dx10_clamp 1
		.amdhsa_ieee_mode 1
		.amdhsa_fp16_overflow 0
		.amdhsa_workgroup_processor_mode 1
		.amdhsa_memory_ordered 1
		.amdhsa_forward_progress 1
		.amdhsa_shared_vgpr_count 0
		.amdhsa_exception_fp_ieee_invalid_op 0
		.amdhsa_exception_fp_denorm_src 0
		.amdhsa_exception_fp_ieee_div_zero 0
		.amdhsa_exception_fp_ieee_overflow 0
		.amdhsa_exception_fp_ieee_underflow 0
		.amdhsa_exception_fp_ieee_inexact 0
		.amdhsa_exception_int_div_zero 0
	.end_amdhsa_kernel
	.section	.text._ZN7rocprim17ROCPRIM_400000_NS6detail17trampoline_kernelINS0_14default_configENS1_38merge_sort_block_merge_config_selectorIjNS0_10empty_typeEEEZZNS1_27merge_sort_block_merge_implIS3_N6thrust23THRUST_200600_302600_NS6detail15normal_iteratorINS9_10device_ptrIjEEEEPS5_m9comp_mod3IjEEE10hipError_tT0_T1_T2_jT3_P12ihipStream_tbPNSt15iterator_traitsISJ_E10value_typeEPNSP_ISK_E10value_typeEPSL_NS1_7vsmem_tEENKUlT_SJ_SK_SL_E_clISE_PjSF_SF_EESI_SY_SJ_SK_SL_EUlSY_E0_NS1_11comp_targetILNS1_3genE2ELNS1_11target_archE906ELNS1_3gpuE6ELNS1_3repE0EEENS1_38merge_mergepath_config_static_selectorELNS0_4arch9wavefront6targetE0EEEvSK_,"axG",@progbits,_ZN7rocprim17ROCPRIM_400000_NS6detail17trampoline_kernelINS0_14default_configENS1_38merge_sort_block_merge_config_selectorIjNS0_10empty_typeEEEZZNS1_27merge_sort_block_merge_implIS3_N6thrust23THRUST_200600_302600_NS6detail15normal_iteratorINS9_10device_ptrIjEEEEPS5_m9comp_mod3IjEEE10hipError_tT0_T1_T2_jT3_P12ihipStream_tbPNSt15iterator_traitsISJ_E10value_typeEPNSP_ISK_E10value_typeEPSL_NS1_7vsmem_tEENKUlT_SJ_SK_SL_E_clISE_PjSF_SF_EESI_SY_SJ_SK_SL_EUlSY_E0_NS1_11comp_targetILNS1_3genE2ELNS1_11target_archE906ELNS1_3gpuE6ELNS1_3repE0EEENS1_38merge_mergepath_config_static_selectorELNS0_4arch9wavefront6targetE0EEEvSK_,comdat
.Lfunc_end853:
	.size	_ZN7rocprim17ROCPRIM_400000_NS6detail17trampoline_kernelINS0_14default_configENS1_38merge_sort_block_merge_config_selectorIjNS0_10empty_typeEEEZZNS1_27merge_sort_block_merge_implIS3_N6thrust23THRUST_200600_302600_NS6detail15normal_iteratorINS9_10device_ptrIjEEEEPS5_m9comp_mod3IjEEE10hipError_tT0_T1_T2_jT3_P12ihipStream_tbPNSt15iterator_traitsISJ_E10value_typeEPNSP_ISK_E10value_typeEPSL_NS1_7vsmem_tEENKUlT_SJ_SK_SL_E_clISE_PjSF_SF_EESI_SY_SJ_SK_SL_EUlSY_E0_NS1_11comp_targetILNS1_3genE2ELNS1_11target_archE906ELNS1_3gpuE6ELNS1_3repE0EEENS1_38merge_mergepath_config_static_selectorELNS0_4arch9wavefront6targetE0EEEvSK_, .Lfunc_end853-_ZN7rocprim17ROCPRIM_400000_NS6detail17trampoline_kernelINS0_14default_configENS1_38merge_sort_block_merge_config_selectorIjNS0_10empty_typeEEEZZNS1_27merge_sort_block_merge_implIS3_N6thrust23THRUST_200600_302600_NS6detail15normal_iteratorINS9_10device_ptrIjEEEEPS5_m9comp_mod3IjEEE10hipError_tT0_T1_T2_jT3_P12ihipStream_tbPNSt15iterator_traitsISJ_E10value_typeEPNSP_ISK_E10value_typeEPSL_NS1_7vsmem_tEENKUlT_SJ_SK_SL_E_clISE_PjSF_SF_EESI_SY_SJ_SK_SL_EUlSY_E0_NS1_11comp_targetILNS1_3genE2ELNS1_11target_archE906ELNS1_3gpuE6ELNS1_3repE0EEENS1_38merge_mergepath_config_static_selectorELNS0_4arch9wavefront6targetE0EEEvSK_
                                        ; -- End function
	.set _ZN7rocprim17ROCPRIM_400000_NS6detail17trampoline_kernelINS0_14default_configENS1_38merge_sort_block_merge_config_selectorIjNS0_10empty_typeEEEZZNS1_27merge_sort_block_merge_implIS3_N6thrust23THRUST_200600_302600_NS6detail15normal_iteratorINS9_10device_ptrIjEEEEPS5_m9comp_mod3IjEEE10hipError_tT0_T1_T2_jT3_P12ihipStream_tbPNSt15iterator_traitsISJ_E10value_typeEPNSP_ISK_E10value_typeEPSL_NS1_7vsmem_tEENKUlT_SJ_SK_SL_E_clISE_PjSF_SF_EESI_SY_SJ_SK_SL_EUlSY_E0_NS1_11comp_targetILNS1_3genE2ELNS1_11target_archE906ELNS1_3gpuE6ELNS1_3repE0EEENS1_38merge_mergepath_config_static_selectorELNS0_4arch9wavefront6targetE0EEEvSK_.num_vgpr, 0
	.set _ZN7rocprim17ROCPRIM_400000_NS6detail17trampoline_kernelINS0_14default_configENS1_38merge_sort_block_merge_config_selectorIjNS0_10empty_typeEEEZZNS1_27merge_sort_block_merge_implIS3_N6thrust23THRUST_200600_302600_NS6detail15normal_iteratorINS9_10device_ptrIjEEEEPS5_m9comp_mod3IjEEE10hipError_tT0_T1_T2_jT3_P12ihipStream_tbPNSt15iterator_traitsISJ_E10value_typeEPNSP_ISK_E10value_typeEPSL_NS1_7vsmem_tEENKUlT_SJ_SK_SL_E_clISE_PjSF_SF_EESI_SY_SJ_SK_SL_EUlSY_E0_NS1_11comp_targetILNS1_3genE2ELNS1_11target_archE906ELNS1_3gpuE6ELNS1_3repE0EEENS1_38merge_mergepath_config_static_selectorELNS0_4arch9wavefront6targetE0EEEvSK_.num_agpr, 0
	.set _ZN7rocprim17ROCPRIM_400000_NS6detail17trampoline_kernelINS0_14default_configENS1_38merge_sort_block_merge_config_selectorIjNS0_10empty_typeEEEZZNS1_27merge_sort_block_merge_implIS3_N6thrust23THRUST_200600_302600_NS6detail15normal_iteratorINS9_10device_ptrIjEEEEPS5_m9comp_mod3IjEEE10hipError_tT0_T1_T2_jT3_P12ihipStream_tbPNSt15iterator_traitsISJ_E10value_typeEPNSP_ISK_E10value_typeEPSL_NS1_7vsmem_tEENKUlT_SJ_SK_SL_E_clISE_PjSF_SF_EESI_SY_SJ_SK_SL_EUlSY_E0_NS1_11comp_targetILNS1_3genE2ELNS1_11target_archE906ELNS1_3gpuE6ELNS1_3repE0EEENS1_38merge_mergepath_config_static_selectorELNS0_4arch9wavefront6targetE0EEEvSK_.numbered_sgpr, 0
	.set _ZN7rocprim17ROCPRIM_400000_NS6detail17trampoline_kernelINS0_14default_configENS1_38merge_sort_block_merge_config_selectorIjNS0_10empty_typeEEEZZNS1_27merge_sort_block_merge_implIS3_N6thrust23THRUST_200600_302600_NS6detail15normal_iteratorINS9_10device_ptrIjEEEEPS5_m9comp_mod3IjEEE10hipError_tT0_T1_T2_jT3_P12ihipStream_tbPNSt15iterator_traitsISJ_E10value_typeEPNSP_ISK_E10value_typeEPSL_NS1_7vsmem_tEENKUlT_SJ_SK_SL_E_clISE_PjSF_SF_EESI_SY_SJ_SK_SL_EUlSY_E0_NS1_11comp_targetILNS1_3genE2ELNS1_11target_archE906ELNS1_3gpuE6ELNS1_3repE0EEENS1_38merge_mergepath_config_static_selectorELNS0_4arch9wavefront6targetE0EEEvSK_.num_named_barrier, 0
	.set _ZN7rocprim17ROCPRIM_400000_NS6detail17trampoline_kernelINS0_14default_configENS1_38merge_sort_block_merge_config_selectorIjNS0_10empty_typeEEEZZNS1_27merge_sort_block_merge_implIS3_N6thrust23THRUST_200600_302600_NS6detail15normal_iteratorINS9_10device_ptrIjEEEEPS5_m9comp_mod3IjEEE10hipError_tT0_T1_T2_jT3_P12ihipStream_tbPNSt15iterator_traitsISJ_E10value_typeEPNSP_ISK_E10value_typeEPSL_NS1_7vsmem_tEENKUlT_SJ_SK_SL_E_clISE_PjSF_SF_EESI_SY_SJ_SK_SL_EUlSY_E0_NS1_11comp_targetILNS1_3genE2ELNS1_11target_archE906ELNS1_3gpuE6ELNS1_3repE0EEENS1_38merge_mergepath_config_static_selectorELNS0_4arch9wavefront6targetE0EEEvSK_.private_seg_size, 0
	.set _ZN7rocprim17ROCPRIM_400000_NS6detail17trampoline_kernelINS0_14default_configENS1_38merge_sort_block_merge_config_selectorIjNS0_10empty_typeEEEZZNS1_27merge_sort_block_merge_implIS3_N6thrust23THRUST_200600_302600_NS6detail15normal_iteratorINS9_10device_ptrIjEEEEPS5_m9comp_mod3IjEEE10hipError_tT0_T1_T2_jT3_P12ihipStream_tbPNSt15iterator_traitsISJ_E10value_typeEPNSP_ISK_E10value_typeEPSL_NS1_7vsmem_tEENKUlT_SJ_SK_SL_E_clISE_PjSF_SF_EESI_SY_SJ_SK_SL_EUlSY_E0_NS1_11comp_targetILNS1_3genE2ELNS1_11target_archE906ELNS1_3gpuE6ELNS1_3repE0EEENS1_38merge_mergepath_config_static_selectorELNS0_4arch9wavefront6targetE0EEEvSK_.uses_vcc, 0
	.set _ZN7rocprim17ROCPRIM_400000_NS6detail17trampoline_kernelINS0_14default_configENS1_38merge_sort_block_merge_config_selectorIjNS0_10empty_typeEEEZZNS1_27merge_sort_block_merge_implIS3_N6thrust23THRUST_200600_302600_NS6detail15normal_iteratorINS9_10device_ptrIjEEEEPS5_m9comp_mod3IjEEE10hipError_tT0_T1_T2_jT3_P12ihipStream_tbPNSt15iterator_traitsISJ_E10value_typeEPNSP_ISK_E10value_typeEPSL_NS1_7vsmem_tEENKUlT_SJ_SK_SL_E_clISE_PjSF_SF_EESI_SY_SJ_SK_SL_EUlSY_E0_NS1_11comp_targetILNS1_3genE2ELNS1_11target_archE906ELNS1_3gpuE6ELNS1_3repE0EEENS1_38merge_mergepath_config_static_selectorELNS0_4arch9wavefront6targetE0EEEvSK_.uses_flat_scratch, 0
	.set _ZN7rocprim17ROCPRIM_400000_NS6detail17trampoline_kernelINS0_14default_configENS1_38merge_sort_block_merge_config_selectorIjNS0_10empty_typeEEEZZNS1_27merge_sort_block_merge_implIS3_N6thrust23THRUST_200600_302600_NS6detail15normal_iteratorINS9_10device_ptrIjEEEEPS5_m9comp_mod3IjEEE10hipError_tT0_T1_T2_jT3_P12ihipStream_tbPNSt15iterator_traitsISJ_E10value_typeEPNSP_ISK_E10value_typeEPSL_NS1_7vsmem_tEENKUlT_SJ_SK_SL_E_clISE_PjSF_SF_EESI_SY_SJ_SK_SL_EUlSY_E0_NS1_11comp_targetILNS1_3genE2ELNS1_11target_archE906ELNS1_3gpuE6ELNS1_3repE0EEENS1_38merge_mergepath_config_static_selectorELNS0_4arch9wavefront6targetE0EEEvSK_.has_dyn_sized_stack, 0
	.set _ZN7rocprim17ROCPRIM_400000_NS6detail17trampoline_kernelINS0_14default_configENS1_38merge_sort_block_merge_config_selectorIjNS0_10empty_typeEEEZZNS1_27merge_sort_block_merge_implIS3_N6thrust23THRUST_200600_302600_NS6detail15normal_iteratorINS9_10device_ptrIjEEEEPS5_m9comp_mod3IjEEE10hipError_tT0_T1_T2_jT3_P12ihipStream_tbPNSt15iterator_traitsISJ_E10value_typeEPNSP_ISK_E10value_typeEPSL_NS1_7vsmem_tEENKUlT_SJ_SK_SL_E_clISE_PjSF_SF_EESI_SY_SJ_SK_SL_EUlSY_E0_NS1_11comp_targetILNS1_3genE2ELNS1_11target_archE906ELNS1_3gpuE6ELNS1_3repE0EEENS1_38merge_mergepath_config_static_selectorELNS0_4arch9wavefront6targetE0EEEvSK_.has_recursion, 0
	.set _ZN7rocprim17ROCPRIM_400000_NS6detail17trampoline_kernelINS0_14default_configENS1_38merge_sort_block_merge_config_selectorIjNS0_10empty_typeEEEZZNS1_27merge_sort_block_merge_implIS3_N6thrust23THRUST_200600_302600_NS6detail15normal_iteratorINS9_10device_ptrIjEEEEPS5_m9comp_mod3IjEEE10hipError_tT0_T1_T2_jT3_P12ihipStream_tbPNSt15iterator_traitsISJ_E10value_typeEPNSP_ISK_E10value_typeEPSL_NS1_7vsmem_tEENKUlT_SJ_SK_SL_E_clISE_PjSF_SF_EESI_SY_SJ_SK_SL_EUlSY_E0_NS1_11comp_targetILNS1_3genE2ELNS1_11target_archE906ELNS1_3gpuE6ELNS1_3repE0EEENS1_38merge_mergepath_config_static_selectorELNS0_4arch9wavefront6targetE0EEEvSK_.has_indirect_call, 0
	.section	.AMDGPU.csdata,"",@progbits
; Kernel info:
; codeLenInByte = 0
; TotalNumSgprs: 0
; NumVgprs: 0
; ScratchSize: 0
; MemoryBound: 0
; FloatMode: 240
; IeeeMode: 1
; LDSByteSize: 0 bytes/workgroup (compile time only)
; SGPRBlocks: 0
; VGPRBlocks: 0
; NumSGPRsForWavesPerEU: 1
; NumVGPRsForWavesPerEU: 1
; Occupancy: 16
; WaveLimiterHint : 0
; COMPUTE_PGM_RSRC2:SCRATCH_EN: 0
; COMPUTE_PGM_RSRC2:USER_SGPR: 6
; COMPUTE_PGM_RSRC2:TRAP_HANDLER: 0
; COMPUTE_PGM_RSRC2:TGID_X_EN: 1
; COMPUTE_PGM_RSRC2:TGID_Y_EN: 0
; COMPUTE_PGM_RSRC2:TGID_Z_EN: 0
; COMPUTE_PGM_RSRC2:TIDIG_COMP_CNT: 0
	.section	.text._ZN7rocprim17ROCPRIM_400000_NS6detail17trampoline_kernelINS0_14default_configENS1_38merge_sort_block_merge_config_selectorIjNS0_10empty_typeEEEZZNS1_27merge_sort_block_merge_implIS3_N6thrust23THRUST_200600_302600_NS6detail15normal_iteratorINS9_10device_ptrIjEEEEPS5_m9comp_mod3IjEEE10hipError_tT0_T1_T2_jT3_P12ihipStream_tbPNSt15iterator_traitsISJ_E10value_typeEPNSP_ISK_E10value_typeEPSL_NS1_7vsmem_tEENKUlT_SJ_SK_SL_E_clISE_PjSF_SF_EESI_SY_SJ_SK_SL_EUlSY_E0_NS1_11comp_targetILNS1_3genE9ELNS1_11target_archE1100ELNS1_3gpuE3ELNS1_3repE0EEENS1_38merge_mergepath_config_static_selectorELNS0_4arch9wavefront6targetE0EEEvSK_,"axG",@progbits,_ZN7rocprim17ROCPRIM_400000_NS6detail17trampoline_kernelINS0_14default_configENS1_38merge_sort_block_merge_config_selectorIjNS0_10empty_typeEEEZZNS1_27merge_sort_block_merge_implIS3_N6thrust23THRUST_200600_302600_NS6detail15normal_iteratorINS9_10device_ptrIjEEEEPS5_m9comp_mod3IjEEE10hipError_tT0_T1_T2_jT3_P12ihipStream_tbPNSt15iterator_traitsISJ_E10value_typeEPNSP_ISK_E10value_typeEPSL_NS1_7vsmem_tEENKUlT_SJ_SK_SL_E_clISE_PjSF_SF_EESI_SY_SJ_SK_SL_EUlSY_E0_NS1_11comp_targetILNS1_3genE9ELNS1_11target_archE1100ELNS1_3gpuE3ELNS1_3repE0EEENS1_38merge_mergepath_config_static_selectorELNS0_4arch9wavefront6targetE0EEEvSK_,comdat
	.protected	_ZN7rocprim17ROCPRIM_400000_NS6detail17trampoline_kernelINS0_14default_configENS1_38merge_sort_block_merge_config_selectorIjNS0_10empty_typeEEEZZNS1_27merge_sort_block_merge_implIS3_N6thrust23THRUST_200600_302600_NS6detail15normal_iteratorINS9_10device_ptrIjEEEEPS5_m9comp_mod3IjEEE10hipError_tT0_T1_T2_jT3_P12ihipStream_tbPNSt15iterator_traitsISJ_E10value_typeEPNSP_ISK_E10value_typeEPSL_NS1_7vsmem_tEENKUlT_SJ_SK_SL_E_clISE_PjSF_SF_EESI_SY_SJ_SK_SL_EUlSY_E0_NS1_11comp_targetILNS1_3genE9ELNS1_11target_archE1100ELNS1_3gpuE3ELNS1_3repE0EEENS1_38merge_mergepath_config_static_selectorELNS0_4arch9wavefront6targetE0EEEvSK_ ; -- Begin function _ZN7rocprim17ROCPRIM_400000_NS6detail17trampoline_kernelINS0_14default_configENS1_38merge_sort_block_merge_config_selectorIjNS0_10empty_typeEEEZZNS1_27merge_sort_block_merge_implIS3_N6thrust23THRUST_200600_302600_NS6detail15normal_iteratorINS9_10device_ptrIjEEEEPS5_m9comp_mod3IjEEE10hipError_tT0_T1_T2_jT3_P12ihipStream_tbPNSt15iterator_traitsISJ_E10value_typeEPNSP_ISK_E10value_typeEPSL_NS1_7vsmem_tEENKUlT_SJ_SK_SL_E_clISE_PjSF_SF_EESI_SY_SJ_SK_SL_EUlSY_E0_NS1_11comp_targetILNS1_3genE9ELNS1_11target_archE1100ELNS1_3gpuE3ELNS1_3repE0EEENS1_38merge_mergepath_config_static_selectorELNS0_4arch9wavefront6targetE0EEEvSK_
	.globl	_ZN7rocprim17ROCPRIM_400000_NS6detail17trampoline_kernelINS0_14default_configENS1_38merge_sort_block_merge_config_selectorIjNS0_10empty_typeEEEZZNS1_27merge_sort_block_merge_implIS3_N6thrust23THRUST_200600_302600_NS6detail15normal_iteratorINS9_10device_ptrIjEEEEPS5_m9comp_mod3IjEEE10hipError_tT0_T1_T2_jT3_P12ihipStream_tbPNSt15iterator_traitsISJ_E10value_typeEPNSP_ISK_E10value_typeEPSL_NS1_7vsmem_tEENKUlT_SJ_SK_SL_E_clISE_PjSF_SF_EESI_SY_SJ_SK_SL_EUlSY_E0_NS1_11comp_targetILNS1_3genE9ELNS1_11target_archE1100ELNS1_3gpuE3ELNS1_3repE0EEENS1_38merge_mergepath_config_static_selectorELNS0_4arch9wavefront6targetE0EEEvSK_
	.p2align	8
	.type	_ZN7rocprim17ROCPRIM_400000_NS6detail17trampoline_kernelINS0_14default_configENS1_38merge_sort_block_merge_config_selectorIjNS0_10empty_typeEEEZZNS1_27merge_sort_block_merge_implIS3_N6thrust23THRUST_200600_302600_NS6detail15normal_iteratorINS9_10device_ptrIjEEEEPS5_m9comp_mod3IjEEE10hipError_tT0_T1_T2_jT3_P12ihipStream_tbPNSt15iterator_traitsISJ_E10value_typeEPNSP_ISK_E10value_typeEPSL_NS1_7vsmem_tEENKUlT_SJ_SK_SL_E_clISE_PjSF_SF_EESI_SY_SJ_SK_SL_EUlSY_E0_NS1_11comp_targetILNS1_3genE9ELNS1_11target_archE1100ELNS1_3gpuE3ELNS1_3repE0EEENS1_38merge_mergepath_config_static_selectorELNS0_4arch9wavefront6targetE0EEEvSK_,@function
_ZN7rocprim17ROCPRIM_400000_NS6detail17trampoline_kernelINS0_14default_configENS1_38merge_sort_block_merge_config_selectorIjNS0_10empty_typeEEEZZNS1_27merge_sort_block_merge_implIS3_N6thrust23THRUST_200600_302600_NS6detail15normal_iteratorINS9_10device_ptrIjEEEEPS5_m9comp_mod3IjEEE10hipError_tT0_T1_T2_jT3_P12ihipStream_tbPNSt15iterator_traitsISJ_E10value_typeEPNSP_ISK_E10value_typeEPSL_NS1_7vsmem_tEENKUlT_SJ_SK_SL_E_clISE_PjSF_SF_EESI_SY_SJ_SK_SL_EUlSY_E0_NS1_11comp_targetILNS1_3genE9ELNS1_11target_archE1100ELNS1_3gpuE3ELNS1_3repE0EEENS1_38merge_mergepath_config_static_selectorELNS0_4arch9wavefront6targetE0EEEvSK_: ; @_ZN7rocprim17ROCPRIM_400000_NS6detail17trampoline_kernelINS0_14default_configENS1_38merge_sort_block_merge_config_selectorIjNS0_10empty_typeEEEZZNS1_27merge_sort_block_merge_implIS3_N6thrust23THRUST_200600_302600_NS6detail15normal_iteratorINS9_10device_ptrIjEEEEPS5_m9comp_mod3IjEEE10hipError_tT0_T1_T2_jT3_P12ihipStream_tbPNSt15iterator_traitsISJ_E10value_typeEPNSP_ISK_E10value_typeEPSL_NS1_7vsmem_tEENKUlT_SJ_SK_SL_E_clISE_PjSF_SF_EESI_SY_SJ_SK_SL_EUlSY_E0_NS1_11comp_targetILNS1_3genE9ELNS1_11target_archE1100ELNS1_3gpuE3ELNS1_3repE0EEENS1_38merge_mergepath_config_static_selectorELNS0_4arch9wavefront6targetE0EEEvSK_
; %bb.0:
	.section	.rodata,"a",@progbits
	.p2align	6, 0x0
	.amdhsa_kernel _ZN7rocprim17ROCPRIM_400000_NS6detail17trampoline_kernelINS0_14default_configENS1_38merge_sort_block_merge_config_selectorIjNS0_10empty_typeEEEZZNS1_27merge_sort_block_merge_implIS3_N6thrust23THRUST_200600_302600_NS6detail15normal_iteratorINS9_10device_ptrIjEEEEPS5_m9comp_mod3IjEEE10hipError_tT0_T1_T2_jT3_P12ihipStream_tbPNSt15iterator_traitsISJ_E10value_typeEPNSP_ISK_E10value_typeEPSL_NS1_7vsmem_tEENKUlT_SJ_SK_SL_E_clISE_PjSF_SF_EESI_SY_SJ_SK_SL_EUlSY_E0_NS1_11comp_targetILNS1_3genE9ELNS1_11target_archE1100ELNS1_3gpuE3ELNS1_3repE0EEENS1_38merge_mergepath_config_static_selectorELNS0_4arch9wavefront6targetE0EEEvSK_
		.amdhsa_group_segment_fixed_size 0
		.amdhsa_private_segment_fixed_size 0
		.amdhsa_kernarg_size 80
		.amdhsa_user_sgpr_count 6
		.amdhsa_user_sgpr_private_segment_buffer 1
		.amdhsa_user_sgpr_dispatch_ptr 0
		.amdhsa_user_sgpr_queue_ptr 0
		.amdhsa_user_sgpr_kernarg_segment_ptr 1
		.amdhsa_user_sgpr_dispatch_id 0
		.amdhsa_user_sgpr_flat_scratch_init 0
		.amdhsa_user_sgpr_private_segment_size 0
		.amdhsa_wavefront_size32 1
		.amdhsa_uses_dynamic_stack 0
		.amdhsa_system_sgpr_private_segment_wavefront_offset 0
		.amdhsa_system_sgpr_workgroup_id_x 1
		.amdhsa_system_sgpr_workgroup_id_y 0
		.amdhsa_system_sgpr_workgroup_id_z 0
		.amdhsa_system_sgpr_workgroup_info 0
		.amdhsa_system_vgpr_workitem_id 0
		.amdhsa_next_free_vgpr 1
		.amdhsa_next_free_sgpr 1
		.amdhsa_reserve_vcc 0
		.amdhsa_reserve_flat_scratch 0
		.amdhsa_float_round_mode_32 0
		.amdhsa_float_round_mode_16_64 0
		.amdhsa_float_denorm_mode_32 3
		.amdhsa_float_denorm_mode_16_64 3
		.amdhsa_dx10_clamp 1
		.amdhsa_ieee_mode 1
		.amdhsa_fp16_overflow 0
		.amdhsa_workgroup_processor_mode 1
		.amdhsa_memory_ordered 1
		.amdhsa_forward_progress 1
		.amdhsa_shared_vgpr_count 0
		.amdhsa_exception_fp_ieee_invalid_op 0
		.amdhsa_exception_fp_denorm_src 0
		.amdhsa_exception_fp_ieee_div_zero 0
		.amdhsa_exception_fp_ieee_overflow 0
		.amdhsa_exception_fp_ieee_underflow 0
		.amdhsa_exception_fp_ieee_inexact 0
		.amdhsa_exception_int_div_zero 0
	.end_amdhsa_kernel
	.section	.text._ZN7rocprim17ROCPRIM_400000_NS6detail17trampoline_kernelINS0_14default_configENS1_38merge_sort_block_merge_config_selectorIjNS0_10empty_typeEEEZZNS1_27merge_sort_block_merge_implIS3_N6thrust23THRUST_200600_302600_NS6detail15normal_iteratorINS9_10device_ptrIjEEEEPS5_m9comp_mod3IjEEE10hipError_tT0_T1_T2_jT3_P12ihipStream_tbPNSt15iterator_traitsISJ_E10value_typeEPNSP_ISK_E10value_typeEPSL_NS1_7vsmem_tEENKUlT_SJ_SK_SL_E_clISE_PjSF_SF_EESI_SY_SJ_SK_SL_EUlSY_E0_NS1_11comp_targetILNS1_3genE9ELNS1_11target_archE1100ELNS1_3gpuE3ELNS1_3repE0EEENS1_38merge_mergepath_config_static_selectorELNS0_4arch9wavefront6targetE0EEEvSK_,"axG",@progbits,_ZN7rocprim17ROCPRIM_400000_NS6detail17trampoline_kernelINS0_14default_configENS1_38merge_sort_block_merge_config_selectorIjNS0_10empty_typeEEEZZNS1_27merge_sort_block_merge_implIS3_N6thrust23THRUST_200600_302600_NS6detail15normal_iteratorINS9_10device_ptrIjEEEEPS5_m9comp_mod3IjEEE10hipError_tT0_T1_T2_jT3_P12ihipStream_tbPNSt15iterator_traitsISJ_E10value_typeEPNSP_ISK_E10value_typeEPSL_NS1_7vsmem_tEENKUlT_SJ_SK_SL_E_clISE_PjSF_SF_EESI_SY_SJ_SK_SL_EUlSY_E0_NS1_11comp_targetILNS1_3genE9ELNS1_11target_archE1100ELNS1_3gpuE3ELNS1_3repE0EEENS1_38merge_mergepath_config_static_selectorELNS0_4arch9wavefront6targetE0EEEvSK_,comdat
.Lfunc_end854:
	.size	_ZN7rocprim17ROCPRIM_400000_NS6detail17trampoline_kernelINS0_14default_configENS1_38merge_sort_block_merge_config_selectorIjNS0_10empty_typeEEEZZNS1_27merge_sort_block_merge_implIS3_N6thrust23THRUST_200600_302600_NS6detail15normal_iteratorINS9_10device_ptrIjEEEEPS5_m9comp_mod3IjEEE10hipError_tT0_T1_T2_jT3_P12ihipStream_tbPNSt15iterator_traitsISJ_E10value_typeEPNSP_ISK_E10value_typeEPSL_NS1_7vsmem_tEENKUlT_SJ_SK_SL_E_clISE_PjSF_SF_EESI_SY_SJ_SK_SL_EUlSY_E0_NS1_11comp_targetILNS1_3genE9ELNS1_11target_archE1100ELNS1_3gpuE3ELNS1_3repE0EEENS1_38merge_mergepath_config_static_selectorELNS0_4arch9wavefront6targetE0EEEvSK_, .Lfunc_end854-_ZN7rocprim17ROCPRIM_400000_NS6detail17trampoline_kernelINS0_14default_configENS1_38merge_sort_block_merge_config_selectorIjNS0_10empty_typeEEEZZNS1_27merge_sort_block_merge_implIS3_N6thrust23THRUST_200600_302600_NS6detail15normal_iteratorINS9_10device_ptrIjEEEEPS5_m9comp_mod3IjEEE10hipError_tT0_T1_T2_jT3_P12ihipStream_tbPNSt15iterator_traitsISJ_E10value_typeEPNSP_ISK_E10value_typeEPSL_NS1_7vsmem_tEENKUlT_SJ_SK_SL_E_clISE_PjSF_SF_EESI_SY_SJ_SK_SL_EUlSY_E0_NS1_11comp_targetILNS1_3genE9ELNS1_11target_archE1100ELNS1_3gpuE3ELNS1_3repE0EEENS1_38merge_mergepath_config_static_selectorELNS0_4arch9wavefront6targetE0EEEvSK_
                                        ; -- End function
	.set _ZN7rocprim17ROCPRIM_400000_NS6detail17trampoline_kernelINS0_14default_configENS1_38merge_sort_block_merge_config_selectorIjNS0_10empty_typeEEEZZNS1_27merge_sort_block_merge_implIS3_N6thrust23THRUST_200600_302600_NS6detail15normal_iteratorINS9_10device_ptrIjEEEEPS5_m9comp_mod3IjEEE10hipError_tT0_T1_T2_jT3_P12ihipStream_tbPNSt15iterator_traitsISJ_E10value_typeEPNSP_ISK_E10value_typeEPSL_NS1_7vsmem_tEENKUlT_SJ_SK_SL_E_clISE_PjSF_SF_EESI_SY_SJ_SK_SL_EUlSY_E0_NS1_11comp_targetILNS1_3genE9ELNS1_11target_archE1100ELNS1_3gpuE3ELNS1_3repE0EEENS1_38merge_mergepath_config_static_selectorELNS0_4arch9wavefront6targetE0EEEvSK_.num_vgpr, 0
	.set _ZN7rocprim17ROCPRIM_400000_NS6detail17trampoline_kernelINS0_14default_configENS1_38merge_sort_block_merge_config_selectorIjNS0_10empty_typeEEEZZNS1_27merge_sort_block_merge_implIS3_N6thrust23THRUST_200600_302600_NS6detail15normal_iteratorINS9_10device_ptrIjEEEEPS5_m9comp_mod3IjEEE10hipError_tT0_T1_T2_jT3_P12ihipStream_tbPNSt15iterator_traitsISJ_E10value_typeEPNSP_ISK_E10value_typeEPSL_NS1_7vsmem_tEENKUlT_SJ_SK_SL_E_clISE_PjSF_SF_EESI_SY_SJ_SK_SL_EUlSY_E0_NS1_11comp_targetILNS1_3genE9ELNS1_11target_archE1100ELNS1_3gpuE3ELNS1_3repE0EEENS1_38merge_mergepath_config_static_selectorELNS0_4arch9wavefront6targetE0EEEvSK_.num_agpr, 0
	.set _ZN7rocprim17ROCPRIM_400000_NS6detail17trampoline_kernelINS0_14default_configENS1_38merge_sort_block_merge_config_selectorIjNS0_10empty_typeEEEZZNS1_27merge_sort_block_merge_implIS3_N6thrust23THRUST_200600_302600_NS6detail15normal_iteratorINS9_10device_ptrIjEEEEPS5_m9comp_mod3IjEEE10hipError_tT0_T1_T2_jT3_P12ihipStream_tbPNSt15iterator_traitsISJ_E10value_typeEPNSP_ISK_E10value_typeEPSL_NS1_7vsmem_tEENKUlT_SJ_SK_SL_E_clISE_PjSF_SF_EESI_SY_SJ_SK_SL_EUlSY_E0_NS1_11comp_targetILNS1_3genE9ELNS1_11target_archE1100ELNS1_3gpuE3ELNS1_3repE0EEENS1_38merge_mergepath_config_static_selectorELNS0_4arch9wavefront6targetE0EEEvSK_.numbered_sgpr, 0
	.set _ZN7rocprim17ROCPRIM_400000_NS6detail17trampoline_kernelINS0_14default_configENS1_38merge_sort_block_merge_config_selectorIjNS0_10empty_typeEEEZZNS1_27merge_sort_block_merge_implIS3_N6thrust23THRUST_200600_302600_NS6detail15normal_iteratorINS9_10device_ptrIjEEEEPS5_m9comp_mod3IjEEE10hipError_tT0_T1_T2_jT3_P12ihipStream_tbPNSt15iterator_traitsISJ_E10value_typeEPNSP_ISK_E10value_typeEPSL_NS1_7vsmem_tEENKUlT_SJ_SK_SL_E_clISE_PjSF_SF_EESI_SY_SJ_SK_SL_EUlSY_E0_NS1_11comp_targetILNS1_3genE9ELNS1_11target_archE1100ELNS1_3gpuE3ELNS1_3repE0EEENS1_38merge_mergepath_config_static_selectorELNS0_4arch9wavefront6targetE0EEEvSK_.num_named_barrier, 0
	.set _ZN7rocprim17ROCPRIM_400000_NS6detail17trampoline_kernelINS0_14default_configENS1_38merge_sort_block_merge_config_selectorIjNS0_10empty_typeEEEZZNS1_27merge_sort_block_merge_implIS3_N6thrust23THRUST_200600_302600_NS6detail15normal_iteratorINS9_10device_ptrIjEEEEPS5_m9comp_mod3IjEEE10hipError_tT0_T1_T2_jT3_P12ihipStream_tbPNSt15iterator_traitsISJ_E10value_typeEPNSP_ISK_E10value_typeEPSL_NS1_7vsmem_tEENKUlT_SJ_SK_SL_E_clISE_PjSF_SF_EESI_SY_SJ_SK_SL_EUlSY_E0_NS1_11comp_targetILNS1_3genE9ELNS1_11target_archE1100ELNS1_3gpuE3ELNS1_3repE0EEENS1_38merge_mergepath_config_static_selectorELNS0_4arch9wavefront6targetE0EEEvSK_.private_seg_size, 0
	.set _ZN7rocprim17ROCPRIM_400000_NS6detail17trampoline_kernelINS0_14default_configENS1_38merge_sort_block_merge_config_selectorIjNS0_10empty_typeEEEZZNS1_27merge_sort_block_merge_implIS3_N6thrust23THRUST_200600_302600_NS6detail15normal_iteratorINS9_10device_ptrIjEEEEPS5_m9comp_mod3IjEEE10hipError_tT0_T1_T2_jT3_P12ihipStream_tbPNSt15iterator_traitsISJ_E10value_typeEPNSP_ISK_E10value_typeEPSL_NS1_7vsmem_tEENKUlT_SJ_SK_SL_E_clISE_PjSF_SF_EESI_SY_SJ_SK_SL_EUlSY_E0_NS1_11comp_targetILNS1_3genE9ELNS1_11target_archE1100ELNS1_3gpuE3ELNS1_3repE0EEENS1_38merge_mergepath_config_static_selectorELNS0_4arch9wavefront6targetE0EEEvSK_.uses_vcc, 0
	.set _ZN7rocprim17ROCPRIM_400000_NS6detail17trampoline_kernelINS0_14default_configENS1_38merge_sort_block_merge_config_selectorIjNS0_10empty_typeEEEZZNS1_27merge_sort_block_merge_implIS3_N6thrust23THRUST_200600_302600_NS6detail15normal_iteratorINS9_10device_ptrIjEEEEPS5_m9comp_mod3IjEEE10hipError_tT0_T1_T2_jT3_P12ihipStream_tbPNSt15iterator_traitsISJ_E10value_typeEPNSP_ISK_E10value_typeEPSL_NS1_7vsmem_tEENKUlT_SJ_SK_SL_E_clISE_PjSF_SF_EESI_SY_SJ_SK_SL_EUlSY_E0_NS1_11comp_targetILNS1_3genE9ELNS1_11target_archE1100ELNS1_3gpuE3ELNS1_3repE0EEENS1_38merge_mergepath_config_static_selectorELNS0_4arch9wavefront6targetE0EEEvSK_.uses_flat_scratch, 0
	.set _ZN7rocprim17ROCPRIM_400000_NS6detail17trampoline_kernelINS0_14default_configENS1_38merge_sort_block_merge_config_selectorIjNS0_10empty_typeEEEZZNS1_27merge_sort_block_merge_implIS3_N6thrust23THRUST_200600_302600_NS6detail15normal_iteratorINS9_10device_ptrIjEEEEPS5_m9comp_mod3IjEEE10hipError_tT0_T1_T2_jT3_P12ihipStream_tbPNSt15iterator_traitsISJ_E10value_typeEPNSP_ISK_E10value_typeEPSL_NS1_7vsmem_tEENKUlT_SJ_SK_SL_E_clISE_PjSF_SF_EESI_SY_SJ_SK_SL_EUlSY_E0_NS1_11comp_targetILNS1_3genE9ELNS1_11target_archE1100ELNS1_3gpuE3ELNS1_3repE0EEENS1_38merge_mergepath_config_static_selectorELNS0_4arch9wavefront6targetE0EEEvSK_.has_dyn_sized_stack, 0
	.set _ZN7rocprim17ROCPRIM_400000_NS6detail17trampoline_kernelINS0_14default_configENS1_38merge_sort_block_merge_config_selectorIjNS0_10empty_typeEEEZZNS1_27merge_sort_block_merge_implIS3_N6thrust23THRUST_200600_302600_NS6detail15normal_iteratorINS9_10device_ptrIjEEEEPS5_m9comp_mod3IjEEE10hipError_tT0_T1_T2_jT3_P12ihipStream_tbPNSt15iterator_traitsISJ_E10value_typeEPNSP_ISK_E10value_typeEPSL_NS1_7vsmem_tEENKUlT_SJ_SK_SL_E_clISE_PjSF_SF_EESI_SY_SJ_SK_SL_EUlSY_E0_NS1_11comp_targetILNS1_3genE9ELNS1_11target_archE1100ELNS1_3gpuE3ELNS1_3repE0EEENS1_38merge_mergepath_config_static_selectorELNS0_4arch9wavefront6targetE0EEEvSK_.has_recursion, 0
	.set _ZN7rocprim17ROCPRIM_400000_NS6detail17trampoline_kernelINS0_14default_configENS1_38merge_sort_block_merge_config_selectorIjNS0_10empty_typeEEEZZNS1_27merge_sort_block_merge_implIS3_N6thrust23THRUST_200600_302600_NS6detail15normal_iteratorINS9_10device_ptrIjEEEEPS5_m9comp_mod3IjEEE10hipError_tT0_T1_T2_jT3_P12ihipStream_tbPNSt15iterator_traitsISJ_E10value_typeEPNSP_ISK_E10value_typeEPSL_NS1_7vsmem_tEENKUlT_SJ_SK_SL_E_clISE_PjSF_SF_EESI_SY_SJ_SK_SL_EUlSY_E0_NS1_11comp_targetILNS1_3genE9ELNS1_11target_archE1100ELNS1_3gpuE3ELNS1_3repE0EEENS1_38merge_mergepath_config_static_selectorELNS0_4arch9wavefront6targetE0EEEvSK_.has_indirect_call, 0
	.section	.AMDGPU.csdata,"",@progbits
; Kernel info:
; codeLenInByte = 0
; TotalNumSgprs: 0
; NumVgprs: 0
; ScratchSize: 0
; MemoryBound: 0
; FloatMode: 240
; IeeeMode: 1
; LDSByteSize: 0 bytes/workgroup (compile time only)
; SGPRBlocks: 0
; VGPRBlocks: 0
; NumSGPRsForWavesPerEU: 1
; NumVGPRsForWavesPerEU: 1
; Occupancy: 16
; WaveLimiterHint : 0
; COMPUTE_PGM_RSRC2:SCRATCH_EN: 0
; COMPUTE_PGM_RSRC2:USER_SGPR: 6
; COMPUTE_PGM_RSRC2:TRAP_HANDLER: 0
; COMPUTE_PGM_RSRC2:TGID_X_EN: 1
; COMPUTE_PGM_RSRC2:TGID_Y_EN: 0
; COMPUTE_PGM_RSRC2:TGID_Z_EN: 0
; COMPUTE_PGM_RSRC2:TIDIG_COMP_CNT: 0
	.section	.text._ZN7rocprim17ROCPRIM_400000_NS6detail17trampoline_kernelINS0_14default_configENS1_38merge_sort_block_merge_config_selectorIjNS0_10empty_typeEEEZZNS1_27merge_sort_block_merge_implIS3_N6thrust23THRUST_200600_302600_NS6detail15normal_iteratorINS9_10device_ptrIjEEEEPS5_m9comp_mod3IjEEE10hipError_tT0_T1_T2_jT3_P12ihipStream_tbPNSt15iterator_traitsISJ_E10value_typeEPNSP_ISK_E10value_typeEPSL_NS1_7vsmem_tEENKUlT_SJ_SK_SL_E_clISE_PjSF_SF_EESI_SY_SJ_SK_SL_EUlSY_E0_NS1_11comp_targetILNS1_3genE8ELNS1_11target_archE1030ELNS1_3gpuE2ELNS1_3repE0EEENS1_38merge_mergepath_config_static_selectorELNS0_4arch9wavefront6targetE0EEEvSK_,"axG",@progbits,_ZN7rocprim17ROCPRIM_400000_NS6detail17trampoline_kernelINS0_14default_configENS1_38merge_sort_block_merge_config_selectorIjNS0_10empty_typeEEEZZNS1_27merge_sort_block_merge_implIS3_N6thrust23THRUST_200600_302600_NS6detail15normal_iteratorINS9_10device_ptrIjEEEEPS5_m9comp_mod3IjEEE10hipError_tT0_T1_T2_jT3_P12ihipStream_tbPNSt15iterator_traitsISJ_E10value_typeEPNSP_ISK_E10value_typeEPSL_NS1_7vsmem_tEENKUlT_SJ_SK_SL_E_clISE_PjSF_SF_EESI_SY_SJ_SK_SL_EUlSY_E0_NS1_11comp_targetILNS1_3genE8ELNS1_11target_archE1030ELNS1_3gpuE2ELNS1_3repE0EEENS1_38merge_mergepath_config_static_selectorELNS0_4arch9wavefront6targetE0EEEvSK_,comdat
	.protected	_ZN7rocprim17ROCPRIM_400000_NS6detail17trampoline_kernelINS0_14default_configENS1_38merge_sort_block_merge_config_selectorIjNS0_10empty_typeEEEZZNS1_27merge_sort_block_merge_implIS3_N6thrust23THRUST_200600_302600_NS6detail15normal_iteratorINS9_10device_ptrIjEEEEPS5_m9comp_mod3IjEEE10hipError_tT0_T1_T2_jT3_P12ihipStream_tbPNSt15iterator_traitsISJ_E10value_typeEPNSP_ISK_E10value_typeEPSL_NS1_7vsmem_tEENKUlT_SJ_SK_SL_E_clISE_PjSF_SF_EESI_SY_SJ_SK_SL_EUlSY_E0_NS1_11comp_targetILNS1_3genE8ELNS1_11target_archE1030ELNS1_3gpuE2ELNS1_3repE0EEENS1_38merge_mergepath_config_static_selectorELNS0_4arch9wavefront6targetE0EEEvSK_ ; -- Begin function _ZN7rocprim17ROCPRIM_400000_NS6detail17trampoline_kernelINS0_14default_configENS1_38merge_sort_block_merge_config_selectorIjNS0_10empty_typeEEEZZNS1_27merge_sort_block_merge_implIS3_N6thrust23THRUST_200600_302600_NS6detail15normal_iteratorINS9_10device_ptrIjEEEEPS5_m9comp_mod3IjEEE10hipError_tT0_T1_T2_jT3_P12ihipStream_tbPNSt15iterator_traitsISJ_E10value_typeEPNSP_ISK_E10value_typeEPSL_NS1_7vsmem_tEENKUlT_SJ_SK_SL_E_clISE_PjSF_SF_EESI_SY_SJ_SK_SL_EUlSY_E0_NS1_11comp_targetILNS1_3genE8ELNS1_11target_archE1030ELNS1_3gpuE2ELNS1_3repE0EEENS1_38merge_mergepath_config_static_selectorELNS0_4arch9wavefront6targetE0EEEvSK_
	.globl	_ZN7rocprim17ROCPRIM_400000_NS6detail17trampoline_kernelINS0_14default_configENS1_38merge_sort_block_merge_config_selectorIjNS0_10empty_typeEEEZZNS1_27merge_sort_block_merge_implIS3_N6thrust23THRUST_200600_302600_NS6detail15normal_iteratorINS9_10device_ptrIjEEEEPS5_m9comp_mod3IjEEE10hipError_tT0_T1_T2_jT3_P12ihipStream_tbPNSt15iterator_traitsISJ_E10value_typeEPNSP_ISK_E10value_typeEPSL_NS1_7vsmem_tEENKUlT_SJ_SK_SL_E_clISE_PjSF_SF_EESI_SY_SJ_SK_SL_EUlSY_E0_NS1_11comp_targetILNS1_3genE8ELNS1_11target_archE1030ELNS1_3gpuE2ELNS1_3repE0EEENS1_38merge_mergepath_config_static_selectorELNS0_4arch9wavefront6targetE0EEEvSK_
	.p2align	8
	.type	_ZN7rocprim17ROCPRIM_400000_NS6detail17trampoline_kernelINS0_14default_configENS1_38merge_sort_block_merge_config_selectorIjNS0_10empty_typeEEEZZNS1_27merge_sort_block_merge_implIS3_N6thrust23THRUST_200600_302600_NS6detail15normal_iteratorINS9_10device_ptrIjEEEEPS5_m9comp_mod3IjEEE10hipError_tT0_T1_T2_jT3_P12ihipStream_tbPNSt15iterator_traitsISJ_E10value_typeEPNSP_ISK_E10value_typeEPSL_NS1_7vsmem_tEENKUlT_SJ_SK_SL_E_clISE_PjSF_SF_EESI_SY_SJ_SK_SL_EUlSY_E0_NS1_11comp_targetILNS1_3genE8ELNS1_11target_archE1030ELNS1_3gpuE2ELNS1_3repE0EEENS1_38merge_mergepath_config_static_selectorELNS0_4arch9wavefront6targetE0EEEvSK_,@function
_ZN7rocprim17ROCPRIM_400000_NS6detail17trampoline_kernelINS0_14default_configENS1_38merge_sort_block_merge_config_selectorIjNS0_10empty_typeEEEZZNS1_27merge_sort_block_merge_implIS3_N6thrust23THRUST_200600_302600_NS6detail15normal_iteratorINS9_10device_ptrIjEEEEPS5_m9comp_mod3IjEEE10hipError_tT0_T1_T2_jT3_P12ihipStream_tbPNSt15iterator_traitsISJ_E10value_typeEPNSP_ISK_E10value_typeEPSL_NS1_7vsmem_tEENKUlT_SJ_SK_SL_E_clISE_PjSF_SF_EESI_SY_SJ_SK_SL_EUlSY_E0_NS1_11comp_targetILNS1_3genE8ELNS1_11target_archE1030ELNS1_3gpuE2ELNS1_3repE0EEENS1_38merge_mergepath_config_static_selectorELNS0_4arch9wavefront6targetE0EEEvSK_: ; @_ZN7rocprim17ROCPRIM_400000_NS6detail17trampoline_kernelINS0_14default_configENS1_38merge_sort_block_merge_config_selectorIjNS0_10empty_typeEEEZZNS1_27merge_sort_block_merge_implIS3_N6thrust23THRUST_200600_302600_NS6detail15normal_iteratorINS9_10device_ptrIjEEEEPS5_m9comp_mod3IjEEE10hipError_tT0_T1_T2_jT3_P12ihipStream_tbPNSt15iterator_traitsISJ_E10value_typeEPNSP_ISK_E10value_typeEPSL_NS1_7vsmem_tEENKUlT_SJ_SK_SL_E_clISE_PjSF_SF_EESI_SY_SJ_SK_SL_EUlSY_E0_NS1_11comp_targetILNS1_3genE8ELNS1_11target_archE1030ELNS1_3gpuE2ELNS1_3repE0EEENS1_38merge_mergepath_config_static_selectorELNS0_4arch9wavefront6targetE0EEEvSK_
; %bb.0:
	s_clause 0x1
	s_load_dwordx2 s[22:23], s[4:5], 0x50
	s_load_dword s0, s[4:5], 0x38
	s_add_u32 s20, s4, 0x50
	s_addc_u32 s21, s5, 0
	s_waitcnt lgkmcnt(0)
	s_mul_i32 s1, s23, s8
	s_add_i32 s1, s1, s7
	s_mul_i32 s1, s1, s22
	s_add_i32 s18, s1, s6
	s_cmp_ge_u32 s18, s0
	s_cbranch_scc1 .LBB855_35
; %bb.1:
	s_clause 0x1
	s_load_dwordx2 s[0:1], s[4:5], 0x48
	s_load_dwordx4 s[8:11], s[4:5], 0x28
	s_mov_b32 s19, 0
	s_lshl_b64 s[2:3], s[18:19], 3
	s_waitcnt lgkmcnt(0)
	s_add_u32 s0, s0, s2
	s_addc_u32 s1, s1, s3
	s_lshl_b64 s[16:17], s[18:19], 10
	s_load_dwordx4 s[12:15], s[0:1], 0x0
	s_lshr_b64 s[0:1], s[10:11], 9
	s_mov_b32 s1, s19
	s_and_b32 s0, s0, -2
	s_sub_i32 s29, 0, s0
	s_and_b32 s0, s18, s29
	s_lshl_b64 s[24:25], s[0:1], 10
	s_sub_u32 s23, s16, s24
	s_subb_u32 s30, s17, s25
	s_lshl_b64 s[26:27], s[0:1], 11
	s_load_dwordx4 s[0:3], s[4:5], 0x8
	s_add_u32 s7, s26, s10
	s_addc_u32 s28, s27, s11
	s_add_u32 s23, s7, s23
	s_addc_u32 s26, s28, s30
	s_waitcnt lgkmcnt(0)
	s_sub_u32 s27, s23, s14
	s_subb_u32 s15, s26, s15
	s_add_u32 s30, s27, 0x400
	s_addc_u32 s31, s15, 0
	v_cmp_lt_u64_e64 s15, s[8:9], s[30:31]
	s_and_b32 s15, s15, exec_lo
	s_cselect_b32 s27, s8, s30
	s_or_b32 s15, s18, s29
	s_cmp_lg_u32 s15, -1
	s_mov_b32 s15, -1
	s_cbranch_scc1 .LBB855_3
; %bb.2:
	s_sub_u32 s24, s7, s24
	s_subb_u32 s25, s28, s25
	v_cmp_lt_u64_e64 s7, s[8:9], s[24:25]
	s_and_b32 s7, s7, exec_lo
	s_cselect_b32 s14, s8, s24
	s_add_u32 s10, s24, s10
	s_addc_u32 s11, s25, s11
	v_cmp_lt_u64_e64 s7, s[8:9], s[10:11]
	s_and_b32 s7, s7, exec_lo
	s_cselect_b32 s27, s8, s10
.LBB855_3:
	s_lshr_b64 s[24:25], s[8:9], 10
	v_mov_b32_e32 v3, 0
	s_cmp_lg_u64 s[24:25], s[18:19]
	v_lshlrev_b32_e32 v8, 2, v0
	s_cselect_b32 s7, -1, 0
	s_sub_u32 s10, s23, s12
	s_subb_u32 s11, s26, s13
	global_load_dword v1, v3, s[20:21] offset:14
	v_cmp_lt_u64_e64 s23, s[8:9], s[10:11]
                                        ; implicit-def: $vgpr7
	s_and_b32 s23, s23, exec_lo
	s_cselect_b32 s28, s8, s10
	s_cselect_b32 s29, s9, s11
	s_sub_i32 s9, s14, s12
	s_lshl_b64 s[12:13], s[12:13], 2
	s_sub_i32 s10, s27, s28
	s_add_u32 s12, s0, s12
	s_addc_u32 s13, s1, s13
	s_lshl_b64 s[26:27], s[28:29], 2
	s_add_u32 s11, s0, s26
	s_addc_u32 s1, s1, s27
	s_cmp_lt_u32 s6, s22
	s_cselect_b32 s0, 12, 18
	s_add_u32 s20, s20, s0
	s_addc_u32 s21, s21, 0
	s_cmp_eq_u64 s[24:25], s[18:19]
	global_load_ushort v2, v3, s[20:21]
	s_waitcnt vmcnt(1)
	v_lshrrev_b32_e32 v4, 16, v1
	v_and_b32_e32 v1, 0xffff, v1
	v_mul_lo_u32 v1, v1, v4
                                        ; implicit-def: $vgpr4
	s_waitcnt vmcnt(0)
	v_mul_lo_u32 v5, v1, v2
                                        ; implicit-def: $vgpr2
	v_add_nc_u32_e32 v1, v5, v0
	s_cbranch_scc0 .LBB855_25
; %bb.4:
	s_andn2_b32 vcc_lo, exec_lo, s15
	s_cbranch_vccz .LBB855_26
.LBB855_5:
	s_load_dwordx2 s[4:5], s[4:5], 0x40
	v_mov_b32_e32 v1, 0
	s_and_saveexec_b32 s6, s19
	s_cbranch_execz .LBB855_7
.LBB855_6:
	v_mov_b32_e32 v6, 0
	v_mov_b32_e32 v3, v6
	v_lshlrev_b64 v[9:10], 2, v[2:3]
	v_add_co_u32 v3, vcc_lo, s12, v9
	v_add_co_ci_u32_e64 v9, null, s13, v10, vcc_lo
	v_sub_co_u32 v5, vcc_lo, v2, s9
	v_lshlrev_b64 v[1:2], 2, v[5:6]
	v_add_co_u32 v1, s0, s11, v1
	v_add_co_ci_u32_e64 v2, null, s1, v2, s0
	v_cndmask_b32_e32 v1, v1, v3, vcc_lo
	v_cndmask_b32_e32 v2, v2, v9, vcc_lo
	global_load_dword v1, v[1:2], off
.LBB855_7:
	s_or_b32 exec_lo, exec_lo, s6
	v_lshlrev_b32_e32 v9, 1, v0
	s_mov_b32 s0, exec_lo
	s_waitcnt vmcnt(0)
	ds_write2st64_b32 v8, v4, v1 offset1:8
	s_waitcnt lgkmcnt(0)
	s_barrier
	v_min_u32_e32 v3, v7, v9
	buffer_gl0_inv
	v_sub_nc_u32_e64 v2, v3, s10 clamp
	v_min_u32_e32 v5, s9, v3
	v_cmpx_lt_u32_e64 v2, v5
	s_cbranch_execz .LBB855_11
; %bb.8:
	v_lshlrev_b32_e32 v6, 2, v3
	s_mov_b32 s1, 0
	v_lshl_add_u32 v6, s9, 2, v6
	s_inst_prefetch 0x1
	.p2align	6
.LBB855_9:                              ; =>This Inner Loop Header: Depth=1
	v_add_nc_u32_e32 v10, v5, v2
	v_lshrrev_b32_e32 v14, 1, v10
	v_not_b32_e32 v10, v14
	v_lshlrev_b32_e32 v11, 2, v14
	v_lshl_add_u32 v12, v10, 2, v6
	ds_read_b32 v10, v11
	ds_read_b32 v12, v12
	s_waitcnt lgkmcnt(1)
	v_ashrrev_i32_e32 v11, 31, v10
	s_waitcnt lgkmcnt(0)
	v_ashrrev_i32_e32 v13, 31, v12
	v_lshlrev_b64 v[10:11], 2, v[10:11]
	v_lshlrev_b64 v[12:13], 2, v[12:13]
	v_add_co_u32 v10, vcc_lo, s4, v10
	v_add_co_ci_u32_e64 v11, null, s5, v11, vcc_lo
	v_add_co_u32 v12, vcc_lo, s4, v12
	v_add_co_ci_u32_e64 v13, null, s5, v13, vcc_lo
	s_clause 0x1
	global_load_dword v12, v[12:13], off
	global_load_dword v10, v[10:11], off
	v_add_nc_u32_e32 v11, 1, v14
	s_waitcnt vmcnt(0)
	v_cmp_lt_u32_e32 vcc_lo, v12, v10
	v_cndmask_b32_e32 v5, v5, v14, vcc_lo
	v_cndmask_b32_e32 v2, v11, v2, vcc_lo
	v_cmp_ge_u32_e32 vcc_lo, v2, v5
	s_or_b32 s1, vcc_lo, s1
	s_andn2_b32 exec_lo, exec_lo, s1
	s_cbranch_execnz .LBB855_9
; %bb.10:
	s_inst_prefetch 0x2
	s_or_b32 exec_lo, exec_lo, s1
.LBB855_11:
	s_or_b32 exec_lo, exec_lo, s0
	v_sub_nc_u32_e32 v3, v3, v2
	v_cmp_ge_u32_e32 vcc_lo, s9, v2
	v_add_nc_u32_e32 v10, s9, v3
	v_cmp_le_u32_e64 s0, v10, v7
	s_or_b32 s0, vcc_lo, s0
	s_and_saveexec_b32 s1, s0
	s_cbranch_execz .LBB855_23
; %bb.12:
	s_mov_b32 s6, exec_lo
	v_cmp_le_u32_e32 vcc_lo, s9, v2
                                        ; implicit-def: $vgpr3
	v_cmpx_gt_u32_e64 s9, v2
; %bb.13:
	v_lshlrev_b32_e32 v1, 2, v2
	ds_read_b32 v3, v1
; %bb.14:
	s_or_b32 exec_lo, exec_lo, s6
	v_cmp_ge_u32_e64 s6, v10, v7
	s_mov_b32 s10, exec_lo
                                        ; implicit-def: $vgpr5
	v_cmpx_lt_u32_e64 v10, v7
; %bb.15:
	v_lshlrev_b32_e32 v1, 2, v10
	ds_read_b32 v5, v1
; %bb.16:
	s_or_b32 exec_lo, exec_lo, s10
	s_nor_b32 s10, vcc_lo, s6
	s_and_saveexec_b32 s0, s10
	s_cbranch_execz .LBB855_18
; %bb.17:
	s_waitcnt lgkmcnt(0)
	v_ashrrev_i32_e32 v6, 31, v5
	v_ashrrev_i32_e32 v4, 31, v3
	s_andn2_b32 s6, s6, exec_lo
	v_lshlrev_b64 v[11:12], 2, v[5:6]
	v_lshlrev_b64 v[13:14], 2, v[3:4]
	v_add_co_u32 v11, vcc_lo, s4, v11
	v_add_co_ci_u32_e64 v12, null, s5, v12, vcc_lo
	v_add_co_u32 v13, vcc_lo, s4, v13
	v_add_co_ci_u32_e64 v14, null, s5, v14, vcc_lo
	s_clause 0x1
	global_load_dword v1, v[11:12], off
	global_load_dword v4, v[13:14], off
	s_waitcnt vmcnt(0)
	v_cmp_ge_u32_e32 vcc_lo, v1, v4
	s_and_b32 s10, vcc_lo, exec_lo
	s_or_b32 s6, s6, s10
.LBB855_18:
	s_or_b32 exec_lo, exec_lo, s0
	v_cndmask_b32_e64 v1, v10, v2, s6
	v_cndmask_b32_e64 v6, v7, s9, s6
	s_mov_b32 s0, exec_lo
	v_add_nc_u32_e32 v4, 1, v1
	v_add_nc_u32_e32 v1, -1, v6
	v_cndmask_b32_e64 v10, v4, v10, s6
	v_min_u32_e32 v1, v4, v1
	v_lshlrev_b32_e32 v1, 2, v1
	ds_read_b32 v6, v1
	s_waitcnt lgkmcnt(0)
	v_cndmask_b32_e64 v1, v3, v6, s6
	v_cmpx_lt_u32_e64 v10, v7
	s_cbranch_execz .LBB855_22
; %bb.19:
	v_cndmask_b32_e64 v2, v2, v4, s6
	v_cndmask_b32_e64 v6, v6, v5, s6
	v_cmp_gt_u32_e32 vcc_lo, s9, v2
	s_and_saveexec_b32 s9, vcc_lo
	s_cbranch_execz .LBB855_21
; %bb.20:
	v_ashrrev_i32_e32 v7, 31, v6
	v_ashrrev_i32_e32 v2, 31, v1
	v_lshlrev_b64 v[10:11], 2, v[6:7]
	v_lshlrev_b64 v[12:13], 2, v[1:2]
	v_add_co_u32 v10, vcc_lo, s4, v10
	v_add_co_ci_u32_e64 v11, null, s5, v11, vcc_lo
	v_add_co_u32 v12, vcc_lo, s4, v12
	v_add_co_ci_u32_e64 v13, null, s5, v13, vcc_lo
	s_clause 0x1
	global_load_dword v2, v[10:11], off
	global_load_dword v4, v[12:13], off
	s_waitcnt vmcnt(0)
	v_cmp_lt_u32_e32 vcc_lo, v2, v4
	v_cndmask_b32_e32 v6, v1, v6, vcc_lo
.LBB855_21:
	s_or_b32 exec_lo, exec_lo, s9
	v_mov_b32_e32 v1, v6
.LBB855_22:
	s_or_b32 exec_lo, exec_lo, s0
	v_cndmask_b32_e64 v4, v5, v3, s6
.LBB855_23:
	s_or_b32 exec_lo, exec_lo, s1
	v_lshrrev_b32_e32 v2, 2, v0
	v_or_b32_e32 v3, 0x200, v0
	v_lshrrev_b32_e32 v5, 3, v0
	s_lshl_b64 s[0:1], s[16:17], 2
	v_and_b32_e32 v2, 0x7c, v2
	v_lshrrev_b32_e32 v6, 3, v3
	v_and_b32_e32 v5, 60, v5
	s_add_u32 s0, s2, s0
	s_barrier
	v_lshl_add_u32 v2, v9, 2, v2
	v_and_b32_e32 v6, 0x7c, v6
	buffer_gl0_inv
	s_barrier
	buffer_gl0_inv
	s_addc_u32 s1, s3, s1
	ds_write2_b32 v2, v4, v1 offset1:1
	v_add_co_u32 v1, s0, s0, v8
	v_add_nc_u32_e32 v5, v5, v8
	v_add_nc_u32_e32 v6, v6, v8
	v_add_co_ci_u32_e64 v2, null, s1, 0, s0
	s_and_b32 vcc_lo, exec_lo, s7
	s_waitcnt lgkmcnt(0)
	s_cbranch_vccz .LBB855_29
; %bb.24:
	s_barrier
	buffer_gl0_inv
	ds_read_b32 v7, v5
	ds_read_b32 v4, v6 offset:2048
	s_mov_b32 s0, -1
	s_waitcnt lgkmcnt(1)
	global_store_dword v[1:2], v7, off
	s_cbranch_execz .LBB855_30
	s_branch .LBB855_33
.LBB855_25:
	v_sub_co_u32 v2, vcc_lo, v0, s9
	v_add_co_u32 v4, s0, s12, v8
	v_add_co_ci_u32_e64 v6, null, s13, 0, s0
	v_lshlrev_b64 v[2:3], 2, v[2:3]
	s_mov_b32 s19, -1
	v_add_co_u32 v2, s0, s11, v2
	v_add_co_ci_u32_e64 v3, null, s1, v3, s0
	s_add_i32 s0, s9, s10
	v_cndmask_b32_e32 v2, v2, v4, vcc_lo
	v_mov_b32_e32 v7, s0
	v_cndmask_b32_e32 v3, v3, v6, vcc_lo
	global_load_dword v4, v[2:3], off
	v_add_nc_u32_e32 v2, v5, v0
	s_cbranch_execnz .LBB855_5
.LBB855_26:
	s_waitcnt vmcnt(0)
	v_mov_b32_e32 v4, 0
	s_add_i32 s6, s9, s10
	s_mov_b32 s14, exec_lo
	v_cmpx_gt_u32_e64 s6, v0
	s_cbranch_execz .LBB855_28
; %bb.27:
	v_sub_co_u32 v2, vcc_lo, v0, s9
	v_mov_b32_e32 v3, 0
	v_add_co_u32 v4, s0, s12, v8
	v_add_co_ci_u32_e64 v5, null, s13, 0, s0
	v_lshlrev_b64 v[2:3], 2, v[2:3]
	v_add_co_u32 v2, s0, s11, v2
	v_add_co_ci_u32_e64 v3, null, s1, v3, s0
	v_cndmask_b32_e32 v2, v2, v4, vcc_lo
	v_cndmask_b32_e32 v3, v3, v5, vcc_lo
	global_load_dword v4, v[2:3], off
.LBB855_28:
	s_or_b32 exec_lo, exec_lo, s14
	v_cmp_gt_u32_e64 s19, s6, v1
	v_mov_b32_e32 v7, s6
	v_mov_b32_e32 v2, v1
	s_load_dwordx2 s[4:5], s[4:5], 0x40
	v_mov_b32_e32 v1, 0
	s_and_saveexec_b32 s6, s19
	s_cbranch_execnz .LBB855_6
	s_branch .LBB855_7
.LBB855_29:
	s_mov_b32 s0, 0
                                        ; implicit-def: $vgpr4
.LBB855_30:
	s_barrier
	s_waitcnt lgkmcnt(0)
	s_waitcnt_vscnt null, 0x0
	buffer_gl0_inv
	ds_read_b32 v4, v6 offset:2048
	s_sub_i32 s0, s8, s16
	s_mov_b32 s1, exec_lo
	v_cmpx_gt_u32_e64 s0, v0
	s_cbranch_execz .LBB855_32
; %bb.31:
	ds_read_b32 v0, v5
	s_waitcnt lgkmcnt(0)
	global_store_dword v[1:2], v0, off
.LBB855_32:
	s_or_b32 exec_lo, exec_lo, s1
	v_cmp_gt_u32_e64 s0, s0, v3
.LBB855_33:
	s_and_saveexec_b32 s1, s0
	s_cbranch_execz .LBB855_35
; %bb.34:
	v_add_co_u32 v0, vcc_lo, 0x800, v1
	v_add_co_ci_u32_e64 v1, null, 0, v2, vcc_lo
	s_waitcnt lgkmcnt(0)
	global_store_dword v[0:1], v4, off
.LBB855_35:
	s_endpgm
	.section	.rodata,"a",@progbits
	.p2align	6, 0x0
	.amdhsa_kernel _ZN7rocprim17ROCPRIM_400000_NS6detail17trampoline_kernelINS0_14default_configENS1_38merge_sort_block_merge_config_selectorIjNS0_10empty_typeEEEZZNS1_27merge_sort_block_merge_implIS3_N6thrust23THRUST_200600_302600_NS6detail15normal_iteratorINS9_10device_ptrIjEEEEPS5_m9comp_mod3IjEEE10hipError_tT0_T1_T2_jT3_P12ihipStream_tbPNSt15iterator_traitsISJ_E10value_typeEPNSP_ISK_E10value_typeEPSL_NS1_7vsmem_tEENKUlT_SJ_SK_SL_E_clISE_PjSF_SF_EESI_SY_SJ_SK_SL_EUlSY_E0_NS1_11comp_targetILNS1_3genE8ELNS1_11target_archE1030ELNS1_3gpuE2ELNS1_3repE0EEENS1_38merge_mergepath_config_static_selectorELNS0_4arch9wavefront6targetE0EEEvSK_
		.amdhsa_group_segment_fixed_size 4224
		.amdhsa_private_segment_fixed_size 0
		.amdhsa_kernarg_size 336
		.amdhsa_user_sgpr_count 6
		.amdhsa_user_sgpr_private_segment_buffer 1
		.amdhsa_user_sgpr_dispatch_ptr 0
		.amdhsa_user_sgpr_queue_ptr 0
		.amdhsa_user_sgpr_kernarg_segment_ptr 1
		.amdhsa_user_sgpr_dispatch_id 0
		.amdhsa_user_sgpr_flat_scratch_init 0
		.amdhsa_user_sgpr_private_segment_size 0
		.amdhsa_wavefront_size32 1
		.amdhsa_uses_dynamic_stack 0
		.amdhsa_system_sgpr_private_segment_wavefront_offset 0
		.amdhsa_system_sgpr_workgroup_id_x 1
		.amdhsa_system_sgpr_workgroup_id_y 1
		.amdhsa_system_sgpr_workgroup_id_z 1
		.amdhsa_system_sgpr_workgroup_info 0
		.amdhsa_system_vgpr_workitem_id 0
		.amdhsa_next_free_vgpr 15
		.amdhsa_next_free_sgpr 32
		.amdhsa_reserve_vcc 1
		.amdhsa_reserve_flat_scratch 0
		.amdhsa_float_round_mode_32 0
		.amdhsa_float_round_mode_16_64 0
		.amdhsa_float_denorm_mode_32 3
		.amdhsa_float_denorm_mode_16_64 3
		.amdhsa_dx10_clamp 1
		.amdhsa_ieee_mode 1
		.amdhsa_fp16_overflow 0
		.amdhsa_workgroup_processor_mode 1
		.amdhsa_memory_ordered 1
		.amdhsa_forward_progress 1
		.amdhsa_shared_vgpr_count 0
		.amdhsa_exception_fp_ieee_invalid_op 0
		.amdhsa_exception_fp_denorm_src 0
		.amdhsa_exception_fp_ieee_div_zero 0
		.amdhsa_exception_fp_ieee_overflow 0
		.amdhsa_exception_fp_ieee_underflow 0
		.amdhsa_exception_fp_ieee_inexact 0
		.amdhsa_exception_int_div_zero 0
	.end_amdhsa_kernel
	.section	.text._ZN7rocprim17ROCPRIM_400000_NS6detail17trampoline_kernelINS0_14default_configENS1_38merge_sort_block_merge_config_selectorIjNS0_10empty_typeEEEZZNS1_27merge_sort_block_merge_implIS3_N6thrust23THRUST_200600_302600_NS6detail15normal_iteratorINS9_10device_ptrIjEEEEPS5_m9comp_mod3IjEEE10hipError_tT0_T1_T2_jT3_P12ihipStream_tbPNSt15iterator_traitsISJ_E10value_typeEPNSP_ISK_E10value_typeEPSL_NS1_7vsmem_tEENKUlT_SJ_SK_SL_E_clISE_PjSF_SF_EESI_SY_SJ_SK_SL_EUlSY_E0_NS1_11comp_targetILNS1_3genE8ELNS1_11target_archE1030ELNS1_3gpuE2ELNS1_3repE0EEENS1_38merge_mergepath_config_static_selectorELNS0_4arch9wavefront6targetE0EEEvSK_,"axG",@progbits,_ZN7rocprim17ROCPRIM_400000_NS6detail17trampoline_kernelINS0_14default_configENS1_38merge_sort_block_merge_config_selectorIjNS0_10empty_typeEEEZZNS1_27merge_sort_block_merge_implIS3_N6thrust23THRUST_200600_302600_NS6detail15normal_iteratorINS9_10device_ptrIjEEEEPS5_m9comp_mod3IjEEE10hipError_tT0_T1_T2_jT3_P12ihipStream_tbPNSt15iterator_traitsISJ_E10value_typeEPNSP_ISK_E10value_typeEPSL_NS1_7vsmem_tEENKUlT_SJ_SK_SL_E_clISE_PjSF_SF_EESI_SY_SJ_SK_SL_EUlSY_E0_NS1_11comp_targetILNS1_3genE8ELNS1_11target_archE1030ELNS1_3gpuE2ELNS1_3repE0EEENS1_38merge_mergepath_config_static_selectorELNS0_4arch9wavefront6targetE0EEEvSK_,comdat
.Lfunc_end855:
	.size	_ZN7rocprim17ROCPRIM_400000_NS6detail17trampoline_kernelINS0_14default_configENS1_38merge_sort_block_merge_config_selectorIjNS0_10empty_typeEEEZZNS1_27merge_sort_block_merge_implIS3_N6thrust23THRUST_200600_302600_NS6detail15normal_iteratorINS9_10device_ptrIjEEEEPS5_m9comp_mod3IjEEE10hipError_tT0_T1_T2_jT3_P12ihipStream_tbPNSt15iterator_traitsISJ_E10value_typeEPNSP_ISK_E10value_typeEPSL_NS1_7vsmem_tEENKUlT_SJ_SK_SL_E_clISE_PjSF_SF_EESI_SY_SJ_SK_SL_EUlSY_E0_NS1_11comp_targetILNS1_3genE8ELNS1_11target_archE1030ELNS1_3gpuE2ELNS1_3repE0EEENS1_38merge_mergepath_config_static_selectorELNS0_4arch9wavefront6targetE0EEEvSK_, .Lfunc_end855-_ZN7rocprim17ROCPRIM_400000_NS6detail17trampoline_kernelINS0_14default_configENS1_38merge_sort_block_merge_config_selectorIjNS0_10empty_typeEEEZZNS1_27merge_sort_block_merge_implIS3_N6thrust23THRUST_200600_302600_NS6detail15normal_iteratorINS9_10device_ptrIjEEEEPS5_m9comp_mod3IjEEE10hipError_tT0_T1_T2_jT3_P12ihipStream_tbPNSt15iterator_traitsISJ_E10value_typeEPNSP_ISK_E10value_typeEPSL_NS1_7vsmem_tEENKUlT_SJ_SK_SL_E_clISE_PjSF_SF_EESI_SY_SJ_SK_SL_EUlSY_E0_NS1_11comp_targetILNS1_3genE8ELNS1_11target_archE1030ELNS1_3gpuE2ELNS1_3repE0EEENS1_38merge_mergepath_config_static_selectorELNS0_4arch9wavefront6targetE0EEEvSK_
                                        ; -- End function
	.set _ZN7rocprim17ROCPRIM_400000_NS6detail17trampoline_kernelINS0_14default_configENS1_38merge_sort_block_merge_config_selectorIjNS0_10empty_typeEEEZZNS1_27merge_sort_block_merge_implIS3_N6thrust23THRUST_200600_302600_NS6detail15normal_iteratorINS9_10device_ptrIjEEEEPS5_m9comp_mod3IjEEE10hipError_tT0_T1_T2_jT3_P12ihipStream_tbPNSt15iterator_traitsISJ_E10value_typeEPNSP_ISK_E10value_typeEPSL_NS1_7vsmem_tEENKUlT_SJ_SK_SL_E_clISE_PjSF_SF_EESI_SY_SJ_SK_SL_EUlSY_E0_NS1_11comp_targetILNS1_3genE8ELNS1_11target_archE1030ELNS1_3gpuE2ELNS1_3repE0EEENS1_38merge_mergepath_config_static_selectorELNS0_4arch9wavefront6targetE0EEEvSK_.num_vgpr, 15
	.set _ZN7rocprim17ROCPRIM_400000_NS6detail17trampoline_kernelINS0_14default_configENS1_38merge_sort_block_merge_config_selectorIjNS0_10empty_typeEEEZZNS1_27merge_sort_block_merge_implIS3_N6thrust23THRUST_200600_302600_NS6detail15normal_iteratorINS9_10device_ptrIjEEEEPS5_m9comp_mod3IjEEE10hipError_tT0_T1_T2_jT3_P12ihipStream_tbPNSt15iterator_traitsISJ_E10value_typeEPNSP_ISK_E10value_typeEPSL_NS1_7vsmem_tEENKUlT_SJ_SK_SL_E_clISE_PjSF_SF_EESI_SY_SJ_SK_SL_EUlSY_E0_NS1_11comp_targetILNS1_3genE8ELNS1_11target_archE1030ELNS1_3gpuE2ELNS1_3repE0EEENS1_38merge_mergepath_config_static_selectorELNS0_4arch9wavefront6targetE0EEEvSK_.num_agpr, 0
	.set _ZN7rocprim17ROCPRIM_400000_NS6detail17trampoline_kernelINS0_14default_configENS1_38merge_sort_block_merge_config_selectorIjNS0_10empty_typeEEEZZNS1_27merge_sort_block_merge_implIS3_N6thrust23THRUST_200600_302600_NS6detail15normal_iteratorINS9_10device_ptrIjEEEEPS5_m9comp_mod3IjEEE10hipError_tT0_T1_T2_jT3_P12ihipStream_tbPNSt15iterator_traitsISJ_E10value_typeEPNSP_ISK_E10value_typeEPSL_NS1_7vsmem_tEENKUlT_SJ_SK_SL_E_clISE_PjSF_SF_EESI_SY_SJ_SK_SL_EUlSY_E0_NS1_11comp_targetILNS1_3genE8ELNS1_11target_archE1030ELNS1_3gpuE2ELNS1_3repE0EEENS1_38merge_mergepath_config_static_selectorELNS0_4arch9wavefront6targetE0EEEvSK_.numbered_sgpr, 32
	.set _ZN7rocprim17ROCPRIM_400000_NS6detail17trampoline_kernelINS0_14default_configENS1_38merge_sort_block_merge_config_selectorIjNS0_10empty_typeEEEZZNS1_27merge_sort_block_merge_implIS3_N6thrust23THRUST_200600_302600_NS6detail15normal_iteratorINS9_10device_ptrIjEEEEPS5_m9comp_mod3IjEEE10hipError_tT0_T1_T2_jT3_P12ihipStream_tbPNSt15iterator_traitsISJ_E10value_typeEPNSP_ISK_E10value_typeEPSL_NS1_7vsmem_tEENKUlT_SJ_SK_SL_E_clISE_PjSF_SF_EESI_SY_SJ_SK_SL_EUlSY_E0_NS1_11comp_targetILNS1_3genE8ELNS1_11target_archE1030ELNS1_3gpuE2ELNS1_3repE0EEENS1_38merge_mergepath_config_static_selectorELNS0_4arch9wavefront6targetE0EEEvSK_.num_named_barrier, 0
	.set _ZN7rocprim17ROCPRIM_400000_NS6detail17trampoline_kernelINS0_14default_configENS1_38merge_sort_block_merge_config_selectorIjNS0_10empty_typeEEEZZNS1_27merge_sort_block_merge_implIS3_N6thrust23THRUST_200600_302600_NS6detail15normal_iteratorINS9_10device_ptrIjEEEEPS5_m9comp_mod3IjEEE10hipError_tT0_T1_T2_jT3_P12ihipStream_tbPNSt15iterator_traitsISJ_E10value_typeEPNSP_ISK_E10value_typeEPSL_NS1_7vsmem_tEENKUlT_SJ_SK_SL_E_clISE_PjSF_SF_EESI_SY_SJ_SK_SL_EUlSY_E0_NS1_11comp_targetILNS1_3genE8ELNS1_11target_archE1030ELNS1_3gpuE2ELNS1_3repE0EEENS1_38merge_mergepath_config_static_selectorELNS0_4arch9wavefront6targetE0EEEvSK_.private_seg_size, 0
	.set _ZN7rocprim17ROCPRIM_400000_NS6detail17trampoline_kernelINS0_14default_configENS1_38merge_sort_block_merge_config_selectorIjNS0_10empty_typeEEEZZNS1_27merge_sort_block_merge_implIS3_N6thrust23THRUST_200600_302600_NS6detail15normal_iteratorINS9_10device_ptrIjEEEEPS5_m9comp_mod3IjEEE10hipError_tT0_T1_T2_jT3_P12ihipStream_tbPNSt15iterator_traitsISJ_E10value_typeEPNSP_ISK_E10value_typeEPSL_NS1_7vsmem_tEENKUlT_SJ_SK_SL_E_clISE_PjSF_SF_EESI_SY_SJ_SK_SL_EUlSY_E0_NS1_11comp_targetILNS1_3genE8ELNS1_11target_archE1030ELNS1_3gpuE2ELNS1_3repE0EEENS1_38merge_mergepath_config_static_selectorELNS0_4arch9wavefront6targetE0EEEvSK_.uses_vcc, 1
	.set _ZN7rocprim17ROCPRIM_400000_NS6detail17trampoline_kernelINS0_14default_configENS1_38merge_sort_block_merge_config_selectorIjNS0_10empty_typeEEEZZNS1_27merge_sort_block_merge_implIS3_N6thrust23THRUST_200600_302600_NS6detail15normal_iteratorINS9_10device_ptrIjEEEEPS5_m9comp_mod3IjEEE10hipError_tT0_T1_T2_jT3_P12ihipStream_tbPNSt15iterator_traitsISJ_E10value_typeEPNSP_ISK_E10value_typeEPSL_NS1_7vsmem_tEENKUlT_SJ_SK_SL_E_clISE_PjSF_SF_EESI_SY_SJ_SK_SL_EUlSY_E0_NS1_11comp_targetILNS1_3genE8ELNS1_11target_archE1030ELNS1_3gpuE2ELNS1_3repE0EEENS1_38merge_mergepath_config_static_selectorELNS0_4arch9wavefront6targetE0EEEvSK_.uses_flat_scratch, 0
	.set _ZN7rocprim17ROCPRIM_400000_NS6detail17trampoline_kernelINS0_14default_configENS1_38merge_sort_block_merge_config_selectorIjNS0_10empty_typeEEEZZNS1_27merge_sort_block_merge_implIS3_N6thrust23THRUST_200600_302600_NS6detail15normal_iteratorINS9_10device_ptrIjEEEEPS5_m9comp_mod3IjEEE10hipError_tT0_T1_T2_jT3_P12ihipStream_tbPNSt15iterator_traitsISJ_E10value_typeEPNSP_ISK_E10value_typeEPSL_NS1_7vsmem_tEENKUlT_SJ_SK_SL_E_clISE_PjSF_SF_EESI_SY_SJ_SK_SL_EUlSY_E0_NS1_11comp_targetILNS1_3genE8ELNS1_11target_archE1030ELNS1_3gpuE2ELNS1_3repE0EEENS1_38merge_mergepath_config_static_selectorELNS0_4arch9wavefront6targetE0EEEvSK_.has_dyn_sized_stack, 0
	.set _ZN7rocprim17ROCPRIM_400000_NS6detail17trampoline_kernelINS0_14default_configENS1_38merge_sort_block_merge_config_selectorIjNS0_10empty_typeEEEZZNS1_27merge_sort_block_merge_implIS3_N6thrust23THRUST_200600_302600_NS6detail15normal_iteratorINS9_10device_ptrIjEEEEPS5_m9comp_mod3IjEEE10hipError_tT0_T1_T2_jT3_P12ihipStream_tbPNSt15iterator_traitsISJ_E10value_typeEPNSP_ISK_E10value_typeEPSL_NS1_7vsmem_tEENKUlT_SJ_SK_SL_E_clISE_PjSF_SF_EESI_SY_SJ_SK_SL_EUlSY_E0_NS1_11comp_targetILNS1_3genE8ELNS1_11target_archE1030ELNS1_3gpuE2ELNS1_3repE0EEENS1_38merge_mergepath_config_static_selectorELNS0_4arch9wavefront6targetE0EEEvSK_.has_recursion, 0
	.set _ZN7rocprim17ROCPRIM_400000_NS6detail17trampoline_kernelINS0_14default_configENS1_38merge_sort_block_merge_config_selectorIjNS0_10empty_typeEEEZZNS1_27merge_sort_block_merge_implIS3_N6thrust23THRUST_200600_302600_NS6detail15normal_iteratorINS9_10device_ptrIjEEEEPS5_m9comp_mod3IjEEE10hipError_tT0_T1_T2_jT3_P12ihipStream_tbPNSt15iterator_traitsISJ_E10value_typeEPNSP_ISK_E10value_typeEPSL_NS1_7vsmem_tEENKUlT_SJ_SK_SL_E_clISE_PjSF_SF_EESI_SY_SJ_SK_SL_EUlSY_E0_NS1_11comp_targetILNS1_3genE8ELNS1_11target_archE1030ELNS1_3gpuE2ELNS1_3repE0EEENS1_38merge_mergepath_config_static_selectorELNS0_4arch9wavefront6targetE0EEEvSK_.has_indirect_call, 0
	.section	.AMDGPU.csdata,"",@progbits
; Kernel info:
; codeLenInByte = 1776
; TotalNumSgprs: 34
; NumVgprs: 15
; ScratchSize: 0
; MemoryBound: 0
; FloatMode: 240
; IeeeMode: 1
; LDSByteSize: 4224 bytes/workgroup (compile time only)
; SGPRBlocks: 0
; VGPRBlocks: 1
; NumSGPRsForWavesPerEU: 34
; NumVGPRsForWavesPerEU: 15
; Occupancy: 16
; WaveLimiterHint : 1
; COMPUTE_PGM_RSRC2:SCRATCH_EN: 0
; COMPUTE_PGM_RSRC2:USER_SGPR: 6
; COMPUTE_PGM_RSRC2:TRAP_HANDLER: 0
; COMPUTE_PGM_RSRC2:TGID_X_EN: 1
; COMPUTE_PGM_RSRC2:TGID_Y_EN: 1
; COMPUTE_PGM_RSRC2:TGID_Z_EN: 1
; COMPUTE_PGM_RSRC2:TIDIG_COMP_CNT: 0
	.section	.text._ZN7rocprim17ROCPRIM_400000_NS6detail17trampoline_kernelINS0_14default_configENS1_38merge_sort_block_merge_config_selectorIjNS0_10empty_typeEEEZZNS1_27merge_sort_block_merge_implIS3_N6thrust23THRUST_200600_302600_NS6detail15normal_iteratorINS9_10device_ptrIjEEEEPS5_m9comp_mod3IjEEE10hipError_tT0_T1_T2_jT3_P12ihipStream_tbPNSt15iterator_traitsISJ_E10value_typeEPNSP_ISK_E10value_typeEPSL_NS1_7vsmem_tEENKUlT_SJ_SK_SL_E_clISE_PjSF_SF_EESI_SY_SJ_SK_SL_EUlSY_E1_NS1_11comp_targetILNS1_3genE0ELNS1_11target_archE4294967295ELNS1_3gpuE0ELNS1_3repE0EEENS1_36merge_oddeven_config_static_selectorELNS0_4arch9wavefront6targetE0EEEvSK_,"axG",@progbits,_ZN7rocprim17ROCPRIM_400000_NS6detail17trampoline_kernelINS0_14default_configENS1_38merge_sort_block_merge_config_selectorIjNS0_10empty_typeEEEZZNS1_27merge_sort_block_merge_implIS3_N6thrust23THRUST_200600_302600_NS6detail15normal_iteratorINS9_10device_ptrIjEEEEPS5_m9comp_mod3IjEEE10hipError_tT0_T1_T2_jT3_P12ihipStream_tbPNSt15iterator_traitsISJ_E10value_typeEPNSP_ISK_E10value_typeEPSL_NS1_7vsmem_tEENKUlT_SJ_SK_SL_E_clISE_PjSF_SF_EESI_SY_SJ_SK_SL_EUlSY_E1_NS1_11comp_targetILNS1_3genE0ELNS1_11target_archE4294967295ELNS1_3gpuE0ELNS1_3repE0EEENS1_36merge_oddeven_config_static_selectorELNS0_4arch9wavefront6targetE0EEEvSK_,comdat
	.protected	_ZN7rocprim17ROCPRIM_400000_NS6detail17trampoline_kernelINS0_14default_configENS1_38merge_sort_block_merge_config_selectorIjNS0_10empty_typeEEEZZNS1_27merge_sort_block_merge_implIS3_N6thrust23THRUST_200600_302600_NS6detail15normal_iteratorINS9_10device_ptrIjEEEEPS5_m9comp_mod3IjEEE10hipError_tT0_T1_T2_jT3_P12ihipStream_tbPNSt15iterator_traitsISJ_E10value_typeEPNSP_ISK_E10value_typeEPSL_NS1_7vsmem_tEENKUlT_SJ_SK_SL_E_clISE_PjSF_SF_EESI_SY_SJ_SK_SL_EUlSY_E1_NS1_11comp_targetILNS1_3genE0ELNS1_11target_archE4294967295ELNS1_3gpuE0ELNS1_3repE0EEENS1_36merge_oddeven_config_static_selectorELNS0_4arch9wavefront6targetE0EEEvSK_ ; -- Begin function _ZN7rocprim17ROCPRIM_400000_NS6detail17trampoline_kernelINS0_14default_configENS1_38merge_sort_block_merge_config_selectorIjNS0_10empty_typeEEEZZNS1_27merge_sort_block_merge_implIS3_N6thrust23THRUST_200600_302600_NS6detail15normal_iteratorINS9_10device_ptrIjEEEEPS5_m9comp_mod3IjEEE10hipError_tT0_T1_T2_jT3_P12ihipStream_tbPNSt15iterator_traitsISJ_E10value_typeEPNSP_ISK_E10value_typeEPSL_NS1_7vsmem_tEENKUlT_SJ_SK_SL_E_clISE_PjSF_SF_EESI_SY_SJ_SK_SL_EUlSY_E1_NS1_11comp_targetILNS1_3genE0ELNS1_11target_archE4294967295ELNS1_3gpuE0ELNS1_3repE0EEENS1_36merge_oddeven_config_static_selectorELNS0_4arch9wavefront6targetE0EEEvSK_
	.globl	_ZN7rocprim17ROCPRIM_400000_NS6detail17trampoline_kernelINS0_14default_configENS1_38merge_sort_block_merge_config_selectorIjNS0_10empty_typeEEEZZNS1_27merge_sort_block_merge_implIS3_N6thrust23THRUST_200600_302600_NS6detail15normal_iteratorINS9_10device_ptrIjEEEEPS5_m9comp_mod3IjEEE10hipError_tT0_T1_T2_jT3_P12ihipStream_tbPNSt15iterator_traitsISJ_E10value_typeEPNSP_ISK_E10value_typeEPSL_NS1_7vsmem_tEENKUlT_SJ_SK_SL_E_clISE_PjSF_SF_EESI_SY_SJ_SK_SL_EUlSY_E1_NS1_11comp_targetILNS1_3genE0ELNS1_11target_archE4294967295ELNS1_3gpuE0ELNS1_3repE0EEENS1_36merge_oddeven_config_static_selectorELNS0_4arch9wavefront6targetE0EEEvSK_
	.p2align	8
	.type	_ZN7rocprim17ROCPRIM_400000_NS6detail17trampoline_kernelINS0_14default_configENS1_38merge_sort_block_merge_config_selectorIjNS0_10empty_typeEEEZZNS1_27merge_sort_block_merge_implIS3_N6thrust23THRUST_200600_302600_NS6detail15normal_iteratorINS9_10device_ptrIjEEEEPS5_m9comp_mod3IjEEE10hipError_tT0_T1_T2_jT3_P12ihipStream_tbPNSt15iterator_traitsISJ_E10value_typeEPNSP_ISK_E10value_typeEPSL_NS1_7vsmem_tEENKUlT_SJ_SK_SL_E_clISE_PjSF_SF_EESI_SY_SJ_SK_SL_EUlSY_E1_NS1_11comp_targetILNS1_3genE0ELNS1_11target_archE4294967295ELNS1_3gpuE0ELNS1_3repE0EEENS1_36merge_oddeven_config_static_selectorELNS0_4arch9wavefront6targetE0EEEvSK_,@function
_ZN7rocprim17ROCPRIM_400000_NS6detail17trampoline_kernelINS0_14default_configENS1_38merge_sort_block_merge_config_selectorIjNS0_10empty_typeEEEZZNS1_27merge_sort_block_merge_implIS3_N6thrust23THRUST_200600_302600_NS6detail15normal_iteratorINS9_10device_ptrIjEEEEPS5_m9comp_mod3IjEEE10hipError_tT0_T1_T2_jT3_P12ihipStream_tbPNSt15iterator_traitsISJ_E10value_typeEPNSP_ISK_E10value_typeEPSL_NS1_7vsmem_tEENKUlT_SJ_SK_SL_E_clISE_PjSF_SF_EESI_SY_SJ_SK_SL_EUlSY_E1_NS1_11comp_targetILNS1_3genE0ELNS1_11target_archE4294967295ELNS1_3gpuE0ELNS1_3repE0EEENS1_36merge_oddeven_config_static_selectorELNS0_4arch9wavefront6targetE0EEEvSK_: ; @_ZN7rocprim17ROCPRIM_400000_NS6detail17trampoline_kernelINS0_14default_configENS1_38merge_sort_block_merge_config_selectorIjNS0_10empty_typeEEEZZNS1_27merge_sort_block_merge_implIS3_N6thrust23THRUST_200600_302600_NS6detail15normal_iteratorINS9_10device_ptrIjEEEEPS5_m9comp_mod3IjEEE10hipError_tT0_T1_T2_jT3_P12ihipStream_tbPNSt15iterator_traitsISJ_E10value_typeEPNSP_ISK_E10value_typeEPSL_NS1_7vsmem_tEENKUlT_SJ_SK_SL_E_clISE_PjSF_SF_EESI_SY_SJ_SK_SL_EUlSY_E1_NS1_11comp_targetILNS1_3genE0ELNS1_11target_archE4294967295ELNS1_3gpuE0ELNS1_3repE0EEENS1_36merge_oddeven_config_static_selectorELNS0_4arch9wavefront6targetE0EEEvSK_
; %bb.0:
	.section	.rodata,"a",@progbits
	.p2align	6, 0x0
	.amdhsa_kernel _ZN7rocprim17ROCPRIM_400000_NS6detail17trampoline_kernelINS0_14default_configENS1_38merge_sort_block_merge_config_selectorIjNS0_10empty_typeEEEZZNS1_27merge_sort_block_merge_implIS3_N6thrust23THRUST_200600_302600_NS6detail15normal_iteratorINS9_10device_ptrIjEEEEPS5_m9comp_mod3IjEEE10hipError_tT0_T1_T2_jT3_P12ihipStream_tbPNSt15iterator_traitsISJ_E10value_typeEPNSP_ISK_E10value_typeEPSL_NS1_7vsmem_tEENKUlT_SJ_SK_SL_E_clISE_PjSF_SF_EESI_SY_SJ_SK_SL_EUlSY_E1_NS1_11comp_targetILNS1_3genE0ELNS1_11target_archE4294967295ELNS1_3gpuE0ELNS1_3repE0EEENS1_36merge_oddeven_config_static_selectorELNS0_4arch9wavefront6targetE0EEEvSK_
		.amdhsa_group_segment_fixed_size 0
		.amdhsa_private_segment_fixed_size 0
		.amdhsa_kernarg_size 56
		.amdhsa_user_sgpr_count 6
		.amdhsa_user_sgpr_private_segment_buffer 1
		.amdhsa_user_sgpr_dispatch_ptr 0
		.amdhsa_user_sgpr_queue_ptr 0
		.amdhsa_user_sgpr_kernarg_segment_ptr 1
		.amdhsa_user_sgpr_dispatch_id 0
		.amdhsa_user_sgpr_flat_scratch_init 0
		.amdhsa_user_sgpr_private_segment_size 0
		.amdhsa_wavefront_size32 1
		.amdhsa_uses_dynamic_stack 0
		.amdhsa_system_sgpr_private_segment_wavefront_offset 0
		.amdhsa_system_sgpr_workgroup_id_x 1
		.amdhsa_system_sgpr_workgroup_id_y 0
		.amdhsa_system_sgpr_workgroup_id_z 0
		.amdhsa_system_sgpr_workgroup_info 0
		.amdhsa_system_vgpr_workitem_id 0
		.amdhsa_next_free_vgpr 1
		.amdhsa_next_free_sgpr 1
		.amdhsa_reserve_vcc 0
		.amdhsa_reserve_flat_scratch 0
		.amdhsa_float_round_mode_32 0
		.amdhsa_float_round_mode_16_64 0
		.amdhsa_float_denorm_mode_32 3
		.amdhsa_float_denorm_mode_16_64 3
		.amdhsa_dx10_clamp 1
		.amdhsa_ieee_mode 1
		.amdhsa_fp16_overflow 0
		.amdhsa_workgroup_processor_mode 1
		.amdhsa_memory_ordered 1
		.amdhsa_forward_progress 1
		.amdhsa_shared_vgpr_count 0
		.amdhsa_exception_fp_ieee_invalid_op 0
		.amdhsa_exception_fp_denorm_src 0
		.amdhsa_exception_fp_ieee_div_zero 0
		.amdhsa_exception_fp_ieee_overflow 0
		.amdhsa_exception_fp_ieee_underflow 0
		.amdhsa_exception_fp_ieee_inexact 0
		.amdhsa_exception_int_div_zero 0
	.end_amdhsa_kernel
	.section	.text._ZN7rocprim17ROCPRIM_400000_NS6detail17trampoline_kernelINS0_14default_configENS1_38merge_sort_block_merge_config_selectorIjNS0_10empty_typeEEEZZNS1_27merge_sort_block_merge_implIS3_N6thrust23THRUST_200600_302600_NS6detail15normal_iteratorINS9_10device_ptrIjEEEEPS5_m9comp_mod3IjEEE10hipError_tT0_T1_T2_jT3_P12ihipStream_tbPNSt15iterator_traitsISJ_E10value_typeEPNSP_ISK_E10value_typeEPSL_NS1_7vsmem_tEENKUlT_SJ_SK_SL_E_clISE_PjSF_SF_EESI_SY_SJ_SK_SL_EUlSY_E1_NS1_11comp_targetILNS1_3genE0ELNS1_11target_archE4294967295ELNS1_3gpuE0ELNS1_3repE0EEENS1_36merge_oddeven_config_static_selectorELNS0_4arch9wavefront6targetE0EEEvSK_,"axG",@progbits,_ZN7rocprim17ROCPRIM_400000_NS6detail17trampoline_kernelINS0_14default_configENS1_38merge_sort_block_merge_config_selectorIjNS0_10empty_typeEEEZZNS1_27merge_sort_block_merge_implIS3_N6thrust23THRUST_200600_302600_NS6detail15normal_iteratorINS9_10device_ptrIjEEEEPS5_m9comp_mod3IjEEE10hipError_tT0_T1_T2_jT3_P12ihipStream_tbPNSt15iterator_traitsISJ_E10value_typeEPNSP_ISK_E10value_typeEPSL_NS1_7vsmem_tEENKUlT_SJ_SK_SL_E_clISE_PjSF_SF_EESI_SY_SJ_SK_SL_EUlSY_E1_NS1_11comp_targetILNS1_3genE0ELNS1_11target_archE4294967295ELNS1_3gpuE0ELNS1_3repE0EEENS1_36merge_oddeven_config_static_selectorELNS0_4arch9wavefront6targetE0EEEvSK_,comdat
.Lfunc_end856:
	.size	_ZN7rocprim17ROCPRIM_400000_NS6detail17trampoline_kernelINS0_14default_configENS1_38merge_sort_block_merge_config_selectorIjNS0_10empty_typeEEEZZNS1_27merge_sort_block_merge_implIS3_N6thrust23THRUST_200600_302600_NS6detail15normal_iteratorINS9_10device_ptrIjEEEEPS5_m9comp_mod3IjEEE10hipError_tT0_T1_T2_jT3_P12ihipStream_tbPNSt15iterator_traitsISJ_E10value_typeEPNSP_ISK_E10value_typeEPSL_NS1_7vsmem_tEENKUlT_SJ_SK_SL_E_clISE_PjSF_SF_EESI_SY_SJ_SK_SL_EUlSY_E1_NS1_11comp_targetILNS1_3genE0ELNS1_11target_archE4294967295ELNS1_3gpuE0ELNS1_3repE0EEENS1_36merge_oddeven_config_static_selectorELNS0_4arch9wavefront6targetE0EEEvSK_, .Lfunc_end856-_ZN7rocprim17ROCPRIM_400000_NS6detail17trampoline_kernelINS0_14default_configENS1_38merge_sort_block_merge_config_selectorIjNS0_10empty_typeEEEZZNS1_27merge_sort_block_merge_implIS3_N6thrust23THRUST_200600_302600_NS6detail15normal_iteratorINS9_10device_ptrIjEEEEPS5_m9comp_mod3IjEEE10hipError_tT0_T1_T2_jT3_P12ihipStream_tbPNSt15iterator_traitsISJ_E10value_typeEPNSP_ISK_E10value_typeEPSL_NS1_7vsmem_tEENKUlT_SJ_SK_SL_E_clISE_PjSF_SF_EESI_SY_SJ_SK_SL_EUlSY_E1_NS1_11comp_targetILNS1_3genE0ELNS1_11target_archE4294967295ELNS1_3gpuE0ELNS1_3repE0EEENS1_36merge_oddeven_config_static_selectorELNS0_4arch9wavefront6targetE0EEEvSK_
                                        ; -- End function
	.set _ZN7rocprim17ROCPRIM_400000_NS6detail17trampoline_kernelINS0_14default_configENS1_38merge_sort_block_merge_config_selectorIjNS0_10empty_typeEEEZZNS1_27merge_sort_block_merge_implIS3_N6thrust23THRUST_200600_302600_NS6detail15normal_iteratorINS9_10device_ptrIjEEEEPS5_m9comp_mod3IjEEE10hipError_tT0_T1_T2_jT3_P12ihipStream_tbPNSt15iterator_traitsISJ_E10value_typeEPNSP_ISK_E10value_typeEPSL_NS1_7vsmem_tEENKUlT_SJ_SK_SL_E_clISE_PjSF_SF_EESI_SY_SJ_SK_SL_EUlSY_E1_NS1_11comp_targetILNS1_3genE0ELNS1_11target_archE4294967295ELNS1_3gpuE0ELNS1_3repE0EEENS1_36merge_oddeven_config_static_selectorELNS0_4arch9wavefront6targetE0EEEvSK_.num_vgpr, 0
	.set _ZN7rocprim17ROCPRIM_400000_NS6detail17trampoline_kernelINS0_14default_configENS1_38merge_sort_block_merge_config_selectorIjNS0_10empty_typeEEEZZNS1_27merge_sort_block_merge_implIS3_N6thrust23THRUST_200600_302600_NS6detail15normal_iteratorINS9_10device_ptrIjEEEEPS5_m9comp_mod3IjEEE10hipError_tT0_T1_T2_jT3_P12ihipStream_tbPNSt15iterator_traitsISJ_E10value_typeEPNSP_ISK_E10value_typeEPSL_NS1_7vsmem_tEENKUlT_SJ_SK_SL_E_clISE_PjSF_SF_EESI_SY_SJ_SK_SL_EUlSY_E1_NS1_11comp_targetILNS1_3genE0ELNS1_11target_archE4294967295ELNS1_3gpuE0ELNS1_3repE0EEENS1_36merge_oddeven_config_static_selectorELNS0_4arch9wavefront6targetE0EEEvSK_.num_agpr, 0
	.set _ZN7rocprim17ROCPRIM_400000_NS6detail17trampoline_kernelINS0_14default_configENS1_38merge_sort_block_merge_config_selectorIjNS0_10empty_typeEEEZZNS1_27merge_sort_block_merge_implIS3_N6thrust23THRUST_200600_302600_NS6detail15normal_iteratorINS9_10device_ptrIjEEEEPS5_m9comp_mod3IjEEE10hipError_tT0_T1_T2_jT3_P12ihipStream_tbPNSt15iterator_traitsISJ_E10value_typeEPNSP_ISK_E10value_typeEPSL_NS1_7vsmem_tEENKUlT_SJ_SK_SL_E_clISE_PjSF_SF_EESI_SY_SJ_SK_SL_EUlSY_E1_NS1_11comp_targetILNS1_3genE0ELNS1_11target_archE4294967295ELNS1_3gpuE0ELNS1_3repE0EEENS1_36merge_oddeven_config_static_selectorELNS0_4arch9wavefront6targetE0EEEvSK_.numbered_sgpr, 0
	.set _ZN7rocprim17ROCPRIM_400000_NS6detail17trampoline_kernelINS0_14default_configENS1_38merge_sort_block_merge_config_selectorIjNS0_10empty_typeEEEZZNS1_27merge_sort_block_merge_implIS3_N6thrust23THRUST_200600_302600_NS6detail15normal_iteratorINS9_10device_ptrIjEEEEPS5_m9comp_mod3IjEEE10hipError_tT0_T1_T2_jT3_P12ihipStream_tbPNSt15iterator_traitsISJ_E10value_typeEPNSP_ISK_E10value_typeEPSL_NS1_7vsmem_tEENKUlT_SJ_SK_SL_E_clISE_PjSF_SF_EESI_SY_SJ_SK_SL_EUlSY_E1_NS1_11comp_targetILNS1_3genE0ELNS1_11target_archE4294967295ELNS1_3gpuE0ELNS1_3repE0EEENS1_36merge_oddeven_config_static_selectorELNS0_4arch9wavefront6targetE0EEEvSK_.num_named_barrier, 0
	.set _ZN7rocprim17ROCPRIM_400000_NS6detail17trampoline_kernelINS0_14default_configENS1_38merge_sort_block_merge_config_selectorIjNS0_10empty_typeEEEZZNS1_27merge_sort_block_merge_implIS3_N6thrust23THRUST_200600_302600_NS6detail15normal_iteratorINS9_10device_ptrIjEEEEPS5_m9comp_mod3IjEEE10hipError_tT0_T1_T2_jT3_P12ihipStream_tbPNSt15iterator_traitsISJ_E10value_typeEPNSP_ISK_E10value_typeEPSL_NS1_7vsmem_tEENKUlT_SJ_SK_SL_E_clISE_PjSF_SF_EESI_SY_SJ_SK_SL_EUlSY_E1_NS1_11comp_targetILNS1_3genE0ELNS1_11target_archE4294967295ELNS1_3gpuE0ELNS1_3repE0EEENS1_36merge_oddeven_config_static_selectorELNS0_4arch9wavefront6targetE0EEEvSK_.private_seg_size, 0
	.set _ZN7rocprim17ROCPRIM_400000_NS6detail17trampoline_kernelINS0_14default_configENS1_38merge_sort_block_merge_config_selectorIjNS0_10empty_typeEEEZZNS1_27merge_sort_block_merge_implIS3_N6thrust23THRUST_200600_302600_NS6detail15normal_iteratorINS9_10device_ptrIjEEEEPS5_m9comp_mod3IjEEE10hipError_tT0_T1_T2_jT3_P12ihipStream_tbPNSt15iterator_traitsISJ_E10value_typeEPNSP_ISK_E10value_typeEPSL_NS1_7vsmem_tEENKUlT_SJ_SK_SL_E_clISE_PjSF_SF_EESI_SY_SJ_SK_SL_EUlSY_E1_NS1_11comp_targetILNS1_3genE0ELNS1_11target_archE4294967295ELNS1_3gpuE0ELNS1_3repE0EEENS1_36merge_oddeven_config_static_selectorELNS0_4arch9wavefront6targetE0EEEvSK_.uses_vcc, 0
	.set _ZN7rocprim17ROCPRIM_400000_NS6detail17trampoline_kernelINS0_14default_configENS1_38merge_sort_block_merge_config_selectorIjNS0_10empty_typeEEEZZNS1_27merge_sort_block_merge_implIS3_N6thrust23THRUST_200600_302600_NS6detail15normal_iteratorINS9_10device_ptrIjEEEEPS5_m9comp_mod3IjEEE10hipError_tT0_T1_T2_jT3_P12ihipStream_tbPNSt15iterator_traitsISJ_E10value_typeEPNSP_ISK_E10value_typeEPSL_NS1_7vsmem_tEENKUlT_SJ_SK_SL_E_clISE_PjSF_SF_EESI_SY_SJ_SK_SL_EUlSY_E1_NS1_11comp_targetILNS1_3genE0ELNS1_11target_archE4294967295ELNS1_3gpuE0ELNS1_3repE0EEENS1_36merge_oddeven_config_static_selectorELNS0_4arch9wavefront6targetE0EEEvSK_.uses_flat_scratch, 0
	.set _ZN7rocprim17ROCPRIM_400000_NS6detail17trampoline_kernelINS0_14default_configENS1_38merge_sort_block_merge_config_selectorIjNS0_10empty_typeEEEZZNS1_27merge_sort_block_merge_implIS3_N6thrust23THRUST_200600_302600_NS6detail15normal_iteratorINS9_10device_ptrIjEEEEPS5_m9comp_mod3IjEEE10hipError_tT0_T1_T2_jT3_P12ihipStream_tbPNSt15iterator_traitsISJ_E10value_typeEPNSP_ISK_E10value_typeEPSL_NS1_7vsmem_tEENKUlT_SJ_SK_SL_E_clISE_PjSF_SF_EESI_SY_SJ_SK_SL_EUlSY_E1_NS1_11comp_targetILNS1_3genE0ELNS1_11target_archE4294967295ELNS1_3gpuE0ELNS1_3repE0EEENS1_36merge_oddeven_config_static_selectorELNS0_4arch9wavefront6targetE0EEEvSK_.has_dyn_sized_stack, 0
	.set _ZN7rocprim17ROCPRIM_400000_NS6detail17trampoline_kernelINS0_14default_configENS1_38merge_sort_block_merge_config_selectorIjNS0_10empty_typeEEEZZNS1_27merge_sort_block_merge_implIS3_N6thrust23THRUST_200600_302600_NS6detail15normal_iteratorINS9_10device_ptrIjEEEEPS5_m9comp_mod3IjEEE10hipError_tT0_T1_T2_jT3_P12ihipStream_tbPNSt15iterator_traitsISJ_E10value_typeEPNSP_ISK_E10value_typeEPSL_NS1_7vsmem_tEENKUlT_SJ_SK_SL_E_clISE_PjSF_SF_EESI_SY_SJ_SK_SL_EUlSY_E1_NS1_11comp_targetILNS1_3genE0ELNS1_11target_archE4294967295ELNS1_3gpuE0ELNS1_3repE0EEENS1_36merge_oddeven_config_static_selectorELNS0_4arch9wavefront6targetE0EEEvSK_.has_recursion, 0
	.set _ZN7rocprim17ROCPRIM_400000_NS6detail17trampoline_kernelINS0_14default_configENS1_38merge_sort_block_merge_config_selectorIjNS0_10empty_typeEEEZZNS1_27merge_sort_block_merge_implIS3_N6thrust23THRUST_200600_302600_NS6detail15normal_iteratorINS9_10device_ptrIjEEEEPS5_m9comp_mod3IjEEE10hipError_tT0_T1_T2_jT3_P12ihipStream_tbPNSt15iterator_traitsISJ_E10value_typeEPNSP_ISK_E10value_typeEPSL_NS1_7vsmem_tEENKUlT_SJ_SK_SL_E_clISE_PjSF_SF_EESI_SY_SJ_SK_SL_EUlSY_E1_NS1_11comp_targetILNS1_3genE0ELNS1_11target_archE4294967295ELNS1_3gpuE0ELNS1_3repE0EEENS1_36merge_oddeven_config_static_selectorELNS0_4arch9wavefront6targetE0EEEvSK_.has_indirect_call, 0
	.section	.AMDGPU.csdata,"",@progbits
; Kernel info:
; codeLenInByte = 0
; TotalNumSgprs: 0
; NumVgprs: 0
; ScratchSize: 0
; MemoryBound: 0
; FloatMode: 240
; IeeeMode: 1
; LDSByteSize: 0 bytes/workgroup (compile time only)
; SGPRBlocks: 0
; VGPRBlocks: 0
; NumSGPRsForWavesPerEU: 1
; NumVGPRsForWavesPerEU: 1
; Occupancy: 16
; WaveLimiterHint : 0
; COMPUTE_PGM_RSRC2:SCRATCH_EN: 0
; COMPUTE_PGM_RSRC2:USER_SGPR: 6
; COMPUTE_PGM_RSRC2:TRAP_HANDLER: 0
; COMPUTE_PGM_RSRC2:TGID_X_EN: 1
; COMPUTE_PGM_RSRC2:TGID_Y_EN: 0
; COMPUTE_PGM_RSRC2:TGID_Z_EN: 0
; COMPUTE_PGM_RSRC2:TIDIG_COMP_CNT: 0
	.section	.text._ZN7rocprim17ROCPRIM_400000_NS6detail17trampoline_kernelINS0_14default_configENS1_38merge_sort_block_merge_config_selectorIjNS0_10empty_typeEEEZZNS1_27merge_sort_block_merge_implIS3_N6thrust23THRUST_200600_302600_NS6detail15normal_iteratorINS9_10device_ptrIjEEEEPS5_m9comp_mod3IjEEE10hipError_tT0_T1_T2_jT3_P12ihipStream_tbPNSt15iterator_traitsISJ_E10value_typeEPNSP_ISK_E10value_typeEPSL_NS1_7vsmem_tEENKUlT_SJ_SK_SL_E_clISE_PjSF_SF_EESI_SY_SJ_SK_SL_EUlSY_E1_NS1_11comp_targetILNS1_3genE10ELNS1_11target_archE1201ELNS1_3gpuE5ELNS1_3repE0EEENS1_36merge_oddeven_config_static_selectorELNS0_4arch9wavefront6targetE0EEEvSK_,"axG",@progbits,_ZN7rocprim17ROCPRIM_400000_NS6detail17trampoline_kernelINS0_14default_configENS1_38merge_sort_block_merge_config_selectorIjNS0_10empty_typeEEEZZNS1_27merge_sort_block_merge_implIS3_N6thrust23THRUST_200600_302600_NS6detail15normal_iteratorINS9_10device_ptrIjEEEEPS5_m9comp_mod3IjEEE10hipError_tT0_T1_T2_jT3_P12ihipStream_tbPNSt15iterator_traitsISJ_E10value_typeEPNSP_ISK_E10value_typeEPSL_NS1_7vsmem_tEENKUlT_SJ_SK_SL_E_clISE_PjSF_SF_EESI_SY_SJ_SK_SL_EUlSY_E1_NS1_11comp_targetILNS1_3genE10ELNS1_11target_archE1201ELNS1_3gpuE5ELNS1_3repE0EEENS1_36merge_oddeven_config_static_selectorELNS0_4arch9wavefront6targetE0EEEvSK_,comdat
	.protected	_ZN7rocprim17ROCPRIM_400000_NS6detail17trampoline_kernelINS0_14default_configENS1_38merge_sort_block_merge_config_selectorIjNS0_10empty_typeEEEZZNS1_27merge_sort_block_merge_implIS3_N6thrust23THRUST_200600_302600_NS6detail15normal_iteratorINS9_10device_ptrIjEEEEPS5_m9comp_mod3IjEEE10hipError_tT0_T1_T2_jT3_P12ihipStream_tbPNSt15iterator_traitsISJ_E10value_typeEPNSP_ISK_E10value_typeEPSL_NS1_7vsmem_tEENKUlT_SJ_SK_SL_E_clISE_PjSF_SF_EESI_SY_SJ_SK_SL_EUlSY_E1_NS1_11comp_targetILNS1_3genE10ELNS1_11target_archE1201ELNS1_3gpuE5ELNS1_3repE0EEENS1_36merge_oddeven_config_static_selectorELNS0_4arch9wavefront6targetE0EEEvSK_ ; -- Begin function _ZN7rocprim17ROCPRIM_400000_NS6detail17trampoline_kernelINS0_14default_configENS1_38merge_sort_block_merge_config_selectorIjNS0_10empty_typeEEEZZNS1_27merge_sort_block_merge_implIS3_N6thrust23THRUST_200600_302600_NS6detail15normal_iteratorINS9_10device_ptrIjEEEEPS5_m9comp_mod3IjEEE10hipError_tT0_T1_T2_jT3_P12ihipStream_tbPNSt15iterator_traitsISJ_E10value_typeEPNSP_ISK_E10value_typeEPSL_NS1_7vsmem_tEENKUlT_SJ_SK_SL_E_clISE_PjSF_SF_EESI_SY_SJ_SK_SL_EUlSY_E1_NS1_11comp_targetILNS1_3genE10ELNS1_11target_archE1201ELNS1_3gpuE5ELNS1_3repE0EEENS1_36merge_oddeven_config_static_selectorELNS0_4arch9wavefront6targetE0EEEvSK_
	.globl	_ZN7rocprim17ROCPRIM_400000_NS6detail17trampoline_kernelINS0_14default_configENS1_38merge_sort_block_merge_config_selectorIjNS0_10empty_typeEEEZZNS1_27merge_sort_block_merge_implIS3_N6thrust23THRUST_200600_302600_NS6detail15normal_iteratorINS9_10device_ptrIjEEEEPS5_m9comp_mod3IjEEE10hipError_tT0_T1_T2_jT3_P12ihipStream_tbPNSt15iterator_traitsISJ_E10value_typeEPNSP_ISK_E10value_typeEPSL_NS1_7vsmem_tEENKUlT_SJ_SK_SL_E_clISE_PjSF_SF_EESI_SY_SJ_SK_SL_EUlSY_E1_NS1_11comp_targetILNS1_3genE10ELNS1_11target_archE1201ELNS1_3gpuE5ELNS1_3repE0EEENS1_36merge_oddeven_config_static_selectorELNS0_4arch9wavefront6targetE0EEEvSK_
	.p2align	8
	.type	_ZN7rocprim17ROCPRIM_400000_NS6detail17trampoline_kernelINS0_14default_configENS1_38merge_sort_block_merge_config_selectorIjNS0_10empty_typeEEEZZNS1_27merge_sort_block_merge_implIS3_N6thrust23THRUST_200600_302600_NS6detail15normal_iteratorINS9_10device_ptrIjEEEEPS5_m9comp_mod3IjEEE10hipError_tT0_T1_T2_jT3_P12ihipStream_tbPNSt15iterator_traitsISJ_E10value_typeEPNSP_ISK_E10value_typeEPSL_NS1_7vsmem_tEENKUlT_SJ_SK_SL_E_clISE_PjSF_SF_EESI_SY_SJ_SK_SL_EUlSY_E1_NS1_11comp_targetILNS1_3genE10ELNS1_11target_archE1201ELNS1_3gpuE5ELNS1_3repE0EEENS1_36merge_oddeven_config_static_selectorELNS0_4arch9wavefront6targetE0EEEvSK_,@function
_ZN7rocprim17ROCPRIM_400000_NS6detail17trampoline_kernelINS0_14default_configENS1_38merge_sort_block_merge_config_selectorIjNS0_10empty_typeEEEZZNS1_27merge_sort_block_merge_implIS3_N6thrust23THRUST_200600_302600_NS6detail15normal_iteratorINS9_10device_ptrIjEEEEPS5_m9comp_mod3IjEEE10hipError_tT0_T1_T2_jT3_P12ihipStream_tbPNSt15iterator_traitsISJ_E10value_typeEPNSP_ISK_E10value_typeEPSL_NS1_7vsmem_tEENKUlT_SJ_SK_SL_E_clISE_PjSF_SF_EESI_SY_SJ_SK_SL_EUlSY_E1_NS1_11comp_targetILNS1_3genE10ELNS1_11target_archE1201ELNS1_3gpuE5ELNS1_3repE0EEENS1_36merge_oddeven_config_static_selectorELNS0_4arch9wavefront6targetE0EEEvSK_: ; @_ZN7rocprim17ROCPRIM_400000_NS6detail17trampoline_kernelINS0_14default_configENS1_38merge_sort_block_merge_config_selectorIjNS0_10empty_typeEEEZZNS1_27merge_sort_block_merge_implIS3_N6thrust23THRUST_200600_302600_NS6detail15normal_iteratorINS9_10device_ptrIjEEEEPS5_m9comp_mod3IjEEE10hipError_tT0_T1_T2_jT3_P12ihipStream_tbPNSt15iterator_traitsISJ_E10value_typeEPNSP_ISK_E10value_typeEPSL_NS1_7vsmem_tEENKUlT_SJ_SK_SL_E_clISE_PjSF_SF_EESI_SY_SJ_SK_SL_EUlSY_E1_NS1_11comp_targetILNS1_3genE10ELNS1_11target_archE1201ELNS1_3gpuE5ELNS1_3repE0EEENS1_36merge_oddeven_config_static_selectorELNS0_4arch9wavefront6targetE0EEEvSK_
; %bb.0:
	.section	.rodata,"a",@progbits
	.p2align	6, 0x0
	.amdhsa_kernel _ZN7rocprim17ROCPRIM_400000_NS6detail17trampoline_kernelINS0_14default_configENS1_38merge_sort_block_merge_config_selectorIjNS0_10empty_typeEEEZZNS1_27merge_sort_block_merge_implIS3_N6thrust23THRUST_200600_302600_NS6detail15normal_iteratorINS9_10device_ptrIjEEEEPS5_m9comp_mod3IjEEE10hipError_tT0_T1_T2_jT3_P12ihipStream_tbPNSt15iterator_traitsISJ_E10value_typeEPNSP_ISK_E10value_typeEPSL_NS1_7vsmem_tEENKUlT_SJ_SK_SL_E_clISE_PjSF_SF_EESI_SY_SJ_SK_SL_EUlSY_E1_NS1_11comp_targetILNS1_3genE10ELNS1_11target_archE1201ELNS1_3gpuE5ELNS1_3repE0EEENS1_36merge_oddeven_config_static_selectorELNS0_4arch9wavefront6targetE0EEEvSK_
		.amdhsa_group_segment_fixed_size 0
		.amdhsa_private_segment_fixed_size 0
		.amdhsa_kernarg_size 56
		.amdhsa_user_sgpr_count 6
		.amdhsa_user_sgpr_private_segment_buffer 1
		.amdhsa_user_sgpr_dispatch_ptr 0
		.amdhsa_user_sgpr_queue_ptr 0
		.amdhsa_user_sgpr_kernarg_segment_ptr 1
		.amdhsa_user_sgpr_dispatch_id 0
		.amdhsa_user_sgpr_flat_scratch_init 0
		.amdhsa_user_sgpr_private_segment_size 0
		.amdhsa_wavefront_size32 1
		.amdhsa_uses_dynamic_stack 0
		.amdhsa_system_sgpr_private_segment_wavefront_offset 0
		.amdhsa_system_sgpr_workgroup_id_x 1
		.amdhsa_system_sgpr_workgroup_id_y 0
		.amdhsa_system_sgpr_workgroup_id_z 0
		.amdhsa_system_sgpr_workgroup_info 0
		.amdhsa_system_vgpr_workitem_id 0
		.amdhsa_next_free_vgpr 1
		.amdhsa_next_free_sgpr 1
		.amdhsa_reserve_vcc 0
		.amdhsa_reserve_flat_scratch 0
		.amdhsa_float_round_mode_32 0
		.amdhsa_float_round_mode_16_64 0
		.amdhsa_float_denorm_mode_32 3
		.amdhsa_float_denorm_mode_16_64 3
		.amdhsa_dx10_clamp 1
		.amdhsa_ieee_mode 1
		.amdhsa_fp16_overflow 0
		.amdhsa_workgroup_processor_mode 1
		.amdhsa_memory_ordered 1
		.amdhsa_forward_progress 1
		.amdhsa_shared_vgpr_count 0
		.amdhsa_exception_fp_ieee_invalid_op 0
		.amdhsa_exception_fp_denorm_src 0
		.amdhsa_exception_fp_ieee_div_zero 0
		.amdhsa_exception_fp_ieee_overflow 0
		.amdhsa_exception_fp_ieee_underflow 0
		.amdhsa_exception_fp_ieee_inexact 0
		.amdhsa_exception_int_div_zero 0
	.end_amdhsa_kernel
	.section	.text._ZN7rocprim17ROCPRIM_400000_NS6detail17trampoline_kernelINS0_14default_configENS1_38merge_sort_block_merge_config_selectorIjNS0_10empty_typeEEEZZNS1_27merge_sort_block_merge_implIS3_N6thrust23THRUST_200600_302600_NS6detail15normal_iteratorINS9_10device_ptrIjEEEEPS5_m9comp_mod3IjEEE10hipError_tT0_T1_T2_jT3_P12ihipStream_tbPNSt15iterator_traitsISJ_E10value_typeEPNSP_ISK_E10value_typeEPSL_NS1_7vsmem_tEENKUlT_SJ_SK_SL_E_clISE_PjSF_SF_EESI_SY_SJ_SK_SL_EUlSY_E1_NS1_11comp_targetILNS1_3genE10ELNS1_11target_archE1201ELNS1_3gpuE5ELNS1_3repE0EEENS1_36merge_oddeven_config_static_selectorELNS0_4arch9wavefront6targetE0EEEvSK_,"axG",@progbits,_ZN7rocprim17ROCPRIM_400000_NS6detail17trampoline_kernelINS0_14default_configENS1_38merge_sort_block_merge_config_selectorIjNS0_10empty_typeEEEZZNS1_27merge_sort_block_merge_implIS3_N6thrust23THRUST_200600_302600_NS6detail15normal_iteratorINS9_10device_ptrIjEEEEPS5_m9comp_mod3IjEEE10hipError_tT0_T1_T2_jT3_P12ihipStream_tbPNSt15iterator_traitsISJ_E10value_typeEPNSP_ISK_E10value_typeEPSL_NS1_7vsmem_tEENKUlT_SJ_SK_SL_E_clISE_PjSF_SF_EESI_SY_SJ_SK_SL_EUlSY_E1_NS1_11comp_targetILNS1_3genE10ELNS1_11target_archE1201ELNS1_3gpuE5ELNS1_3repE0EEENS1_36merge_oddeven_config_static_selectorELNS0_4arch9wavefront6targetE0EEEvSK_,comdat
.Lfunc_end857:
	.size	_ZN7rocprim17ROCPRIM_400000_NS6detail17trampoline_kernelINS0_14default_configENS1_38merge_sort_block_merge_config_selectorIjNS0_10empty_typeEEEZZNS1_27merge_sort_block_merge_implIS3_N6thrust23THRUST_200600_302600_NS6detail15normal_iteratorINS9_10device_ptrIjEEEEPS5_m9comp_mod3IjEEE10hipError_tT0_T1_T2_jT3_P12ihipStream_tbPNSt15iterator_traitsISJ_E10value_typeEPNSP_ISK_E10value_typeEPSL_NS1_7vsmem_tEENKUlT_SJ_SK_SL_E_clISE_PjSF_SF_EESI_SY_SJ_SK_SL_EUlSY_E1_NS1_11comp_targetILNS1_3genE10ELNS1_11target_archE1201ELNS1_3gpuE5ELNS1_3repE0EEENS1_36merge_oddeven_config_static_selectorELNS0_4arch9wavefront6targetE0EEEvSK_, .Lfunc_end857-_ZN7rocprim17ROCPRIM_400000_NS6detail17trampoline_kernelINS0_14default_configENS1_38merge_sort_block_merge_config_selectorIjNS0_10empty_typeEEEZZNS1_27merge_sort_block_merge_implIS3_N6thrust23THRUST_200600_302600_NS6detail15normal_iteratorINS9_10device_ptrIjEEEEPS5_m9comp_mod3IjEEE10hipError_tT0_T1_T2_jT3_P12ihipStream_tbPNSt15iterator_traitsISJ_E10value_typeEPNSP_ISK_E10value_typeEPSL_NS1_7vsmem_tEENKUlT_SJ_SK_SL_E_clISE_PjSF_SF_EESI_SY_SJ_SK_SL_EUlSY_E1_NS1_11comp_targetILNS1_3genE10ELNS1_11target_archE1201ELNS1_3gpuE5ELNS1_3repE0EEENS1_36merge_oddeven_config_static_selectorELNS0_4arch9wavefront6targetE0EEEvSK_
                                        ; -- End function
	.set _ZN7rocprim17ROCPRIM_400000_NS6detail17trampoline_kernelINS0_14default_configENS1_38merge_sort_block_merge_config_selectorIjNS0_10empty_typeEEEZZNS1_27merge_sort_block_merge_implIS3_N6thrust23THRUST_200600_302600_NS6detail15normal_iteratorINS9_10device_ptrIjEEEEPS5_m9comp_mod3IjEEE10hipError_tT0_T1_T2_jT3_P12ihipStream_tbPNSt15iterator_traitsISJ_E10value_typeEPNSP_ISK_E10value_typeEPSL_NS1_7vsmem_tEENKUlT_SJ_SK_SL_E_clISE_PjSF_SF_EESI_SY_SJ_SK_SL_EUlSY_E1_NS1_11comp_targetILNS1_3genE10ELNS1_11target_archE1201ELNS1_3gpuE5ELNS1_3repE0EEENS1_36merge_oddeven_config_static_selectorELNS0_4arch9wavefront6targetE0EEEvSK_.num_vgpr, 0
	.set _ZN7rocprim17ROCPRIM_400000_NS6detail17trampoline_kernelINS0_14default_configENS1_38merge_sort_block_merge_config_selectorIjNS0_10empty_typeEEEZZNS1_27merge_sort_block_merge_implIS3_N6thrust23THRUST_200600_302600_NS6detail15normal_iteratorINS9_10device_ptrIjEEEEPS5_m9comp_mod3IjEEE10hipError_tT0_T1_T2_jT3_P12ihipStream_tbPNSt15iterator_traitsISJ_E10value_typeEPNSP_ISK_E10value_typeEPSL_NS1_7vsmem_tEENKUlT_SJ_SK_SL_E_clISE_PjSF_SF_EESI_SY_SJ_SK_SL_EUlSY_E1_NS1_11comp_targetILNS1_3genE10ELNS1_11target_archE1201ELNS1_3gpuE5ELNS1_3repE0EEENS1_36merge_oddeven_config_static_selectorELNS0_4arch9wavefront6targetE0EEEvSK_.num_agpr, 0
	.set _ZN7rocprim17ROCPRIM_400000_NS6detail17trampoline_kernelINS0_14default_configENS1_38merge_sort_block_merge_config_selectorIjNS0_10empty_typeEEEZZNS1_27merge_sort_block_merge_implIS3_N6thrust23THRUST_200600_302600_NS6detail15normal_iteratorINS9_10device_ptrIjEEEEPS5_m9comp_mod3IjEEE10hipError_tT0_T1_T2_jT3_P12ihipStream_tbPNSt15iterator_traitsISJ_E10value_typeEPNSP_ISK_E10value_typeEPSL_NS1_7vsmem_tEENKUlT_SJ_SK_SL_E_clISE_PjSF_SF_EESI_SY_SJ_SK_SL_EUlSY_E1_NS1_11comp_targetILNS1_3genE10ELNS1_11target_archE1201ELNS1_3gpuE5ELNS1_3repE0EEENS1_36merge_oddeven_config_static_selectorELNS0_4arch9wavefront6targetE0EEEvSK_.numbered_sgpr, 0
	.set _ZN7rocprim17ROCPRIM_400000_NS6detail17trampoline_kernelINS0_14default_configENS1_38merge_sort_block_merge_config_selectorIjNS0_10empty_typeEEEZZNS1_27merge_sort_block_merge_implIS3_N6thrust23THRUST_200600_302600_NS6detail15normal_iteratorINS9_10device_ptrIjEEEEPS5_m9comp_mod3IjEEE10hipError_tT0_T1_T2_jT3_P12ihipStream_tbPNSt15iterator_traitsISJ_E10value_typeEPNSP_ISK_E10value_typeEPSL_NS1_7vsmem_tEENKUlT_SJ_SK_SL_E_clISE_PjSF_SF_EESI_SY_SJ_SK_SL_EUlSY_E1_NS1_11comp_targetILNS1_3genE10ELNS1_11target_archE1201ELNS1_3gpuE5ELNS1_3repE0EEENS1_36merge_oddeven_config_static_selectorELNS0_4arch9wavefront6targetE0EEEvSK_.num_named_barrier, 0
	.set _ZN7rocprim17ROCPRIM_400000_NS6detail17trampoline_kernelINS0_14default_configENS1_38merge_sort_block_merge_config_selectorIjNS0_10empty_typeEEEZZNS1_27merge_sort_block_merge_implIS3_N6thrust23THRUST_200600_302600_NS6detail15normal_iteratorINS9_10device_ptrIjEEEEPS5_m9comp_mod3IjEEE10hipError_tT0_T1_T2_jT3_P12ihipStream_tbPNSt15iterator_traitsISJ_E10value_typeEPNSP_ISK_E10value_typeEPSL_NS1_7vsmem_tEENKUlT_SJ_SK_SL_E_clISE_PjSF_SF_EESI_SY_SJ_SK_SL_EUlSY_E1_NS1_11comp_targetILNS1_3genE10ELNS1_11target_archE1201ELNS1_3gpuE5ELNS1_3repE0EEENS1_36merge_oddeven_config_static_selectorELNS0_4arch9wavefront6targetE0EEEvSK_.private_seg_size, 0
	.set _ZN7rocprim17ROCPRIM_400000_NS6detail17trampoline_kernelINS0_14default_configENS1_38merge_sort_block_merge_config_selectorIjNS0_10empty_typeEEEZZNS1_27merge_sort_block_merge_implIS3_N6thrust23THRUST_200600_302600_NS6detail15normal_iteratorINS9_10device_ptrIjEEEEPS5_m9comp_mod3IjEEE10hipError_tT0_T1_T2_jT3_P12ihipStream_tbPNSt15iterator_traitsISJ_E10value_typeEPNSP_ISK_E10value_typeEPSL_NS1_7vsmem_tEENKUlT_SJ_SK_SL_E_clISE_PjSF_SF_EESI_SY_SJ_SK_SL_EUlSY_E1_NS1_11comp_targetILNS1_3genE10ELNS1_11target_archE1201ELNS1_3gpuE5ELNS1_3repE0EEENS1_36merge_oddeven_config_static_selectorELNS0_4arch9wavefront6targetE0EEEvSK_.uses_vcc, 0
	.set _ZN7rocprim17ROCPRIM_400000_NS6detail17trampoline_kernelINS0_14default_configENS1_38merge_sort_block_merge_config_selectorIjNS0_10empty_typeEEEZZNS1_27merge_sort_block_merge_implIS3_N6thrust23THRUST_200600_302600_NS6detail15normal_iteratorINS9_10device_ptrIjEEEEPS5_m9comp_mod3IjEEE10hipError_tT0_T1_T2_jT3_P12ihipStream_tbPNSt15iterator_traitsISJ_E10value_typeEPNSP_ISK_E10value_typeEPSL_NS1_7vsmem_tEENKUlT_SJ_SK_SL_E_clISE_PjSF_SF_EESI_SY_SJ_SK_SL_EUlSY_E1_NS1_11comp_targetILNS1_3genE10ELNS1_11target_archE1201ELNS1_3gpuE5ELNS1_3repE0EEENS1_36merge_oddeven_config_static_selectorELNS0_4arch9wavefront6targetE0EEEvSK_.uses_flat_scratch, 0
	.set _ZN7rocprim17ROCPRIM_400000_NS6detail17trampoline_kernelINS0_14default_configENS1_38merge_sort_block_merge_config_selectorIjNS0_10empty_typeEEEZZNS1_27merge_sort_block_merge_implIS3_N6thrust23THRUST_200600_302600_NS6detail15normal_iteratorINS9_10device_ptrIjEEEEPS5_m9comp_mod3IjEEE10hipError_tT0_T1_T2_jT3_P12ihipStream_tbPNSt15iterator_traitsISJ_E10value_typeEPNSP_ISK_E10value_typeEPSL_NS1_7vsmem_tEENKUlT_SJ_SK_SL_E_clISE_PjSF_SF_EESI_SY_SJ_SK_SL_EUlSY_E1_NS1_11comp_targetILNS1_3genE10ELNS1_11target_archE1201ELNS1_3gpuE5ELNS1_3repE0EEENS1_36merge_oddeven_config_static_selectorELNS0_4arch9wavefront6targetE0EEEvSK_.has_dyn_sized_stack, 0
	.set _ZN7rocprim17ROCPRIM_400000_NS6detail17trampoline_kernelINS0_14default_configENS1_38merge_sort_block_merge_config_selectorIjNS0_10empty_typeEEEZZNS1_27merge_sort_block_merge_implIS3_N6thrust23THRUST_200600_302600_NS6detail15normal_iteratorINS9_10device_ptrIjEEEEPS5_m9comp_mod3IjEEE10hipError_tT0_T1_T2_jT3_P12ihipStream_tbPNSt15iterator_traitsISJ_E10value_typeEPNSP_ISK_E10value_typeEPSL_NS1_7vsmem_tEENKUlT_SJ_SK_SL_E_clISE_PjSF_SF_EESI_SY_SJ_SK_SL_EUlSY_E1_NS1_11comp_targetILNS1_3genE10ELNS1_11target_archE1201ELNS1_3gpuE5ELNS1_3repE0EEENS1_36merge_oddeven_config_static_selectorELNS0_4arch9wavefront6targetE0EEEvSK_.has_recursion, 0
	.set _ZN7rocprim17ROCPRIM_400000_NS6detail17trampoline_kernelINS0_14default_configENS1_38merge_sort_block_merge_config_selectorIjNS0_10empty_typeEEEZZNS1_27merge_sort_block_merge_implIS3_N6thrust23THRUST_200600_302600_NS6detail15normal_iteratorINS9_10device_ptrIjEEEEPS5_m9comp_mod3IjEEE10hipError_tT0_T1_T2_jT3_P12ihipStream_tbPNSt15iterator_traitsISJ_E10value_typeEPNSP_ISK_E10value_typeEPSL_NS1_7vsmem_tEENKUlT_SJ_SK_SL_E_clISE_PjSF_SF_EESI_SY_SJ_SK_SL_EUlSY_E1_NS1_11comp_targetILNS1_3genE10ELNS1_11target_archE1201ELNS1_3gpuE5ELNS1_3repE0EEENS1_36merge_oddeven_config_static_selectorELNS0_4arch9wavefront6targetE0EEEvSK_.has_indirect_call, 0
	.section	.AMDGPU.csdata,"",@progbits
; Kernel info:
; codeLenInByte = 0
; TotalNumSgprs: 0
; NumVgprs: 0
; ScratchSize: 0
; MemoryBound: 0
; FloatMode: 240
; IeeeMode: 1
; LDSByteSize: 0 bytes/workgroup (compile time only)
; SGPRBlocks: 0
; VGPRBlocks: 0
; NumSGPRsForWavesPerEU: 1
; NumVGPRsForWavesPerEU: 1
; Occupancy: 16
; WaveLimiterHint : 0
; COMPUTE_PGM_RSRC2:SCRATCH_EN: 0
; COMPUTE_PGM_RSRC2:USER_SGPR: 6
; COMPUTE_PGM_RSRC2:TRAP_HANDLER: 0
; COMPUTE_PGM_RSRC2:TGID_X_EN: 1
; COMPUTE_PGM_RSRC2:TGID_Y_EN: 0
; COMPUTE_PGM_RSRC2:TGID_Z_EN: 0
; COMPUTE_PGM_RSRC2:TIDIG_COMP_CNT: 0
	.section	.text._ZN7rocprim17ROCPRIM_400000_NS6detail17trampoline_kernelINS0_14default_configENS1_38merge_sort_block_merge_config_selectorIjNS0_10empty_typeEEEZZNS1_27merge_sort_block_merge_implIS3_N6thrust23THRUST_200600_302600_NS6detail15normal_iteratorINS9_10device_ptrIjEEEEPS5_m9comp_mod3IjEEE10hipError_tT0_T1_T2_jT3_P12ihipStream_tbPNSt15iterator_traitsISJ_E10value_typeEPNSP_ISK_E10value_typeEPSL_NS1_7vsmem_tEENKUlT_SJ_SK_SL_E_clISE_PjSF_SF_EESI_SY_SJ_SK_SL_EUlSY_E1_NS1_11comp_targetILNS1_3genE5ELNS1_11target_archE942ELNS1_3gpuE9ELNS1_3repE0EEENS1_36merge_oddeven_config_static_selectorELNS0_4arch9wavefront6targetE0EEEvSK_,"axG",@progbits,_ZN7rocprim17ROCPRIM_400000_NS6detail17trampoline_kernelINS0_14default_configENS1_38merge_sort_block_merge_config_selectorIjNS0_10empty_typeEEEZZNS1_27merge_sort_block_merge_implIS3_N6thrust23THRUST_200600_302600_NS6detail15normal_iteratorINS9_10device_ptrIjEEEEPS5_m9comp_mod3IjEEE10hipError_tT0_T1_T2_jT3_P12ihipStream_tbPNSt15iterator_traitsISJ_E10value_typeEPNSP_ISK_E10value_typeEPSL_NS1_7vsmem_tEENKUlT_SJ_SK_SL_E_clISE_PjSF_SF_EESI_SY_SJ_SK_SL_EUlSY_E1_NS1_11comp_targetILNS1_3genE5ELNS1_11target_archE942ELNS1_3gpuE9ELNS1_3repE0EEENS1_36merge_oddeven_config_static_selectorELNS0_4arch9wavefront6targetE0EEEvSK_,comdat
	.protected	_ZN7rocprim17ROCPRIM_400000_NS6detail17trampoline_kernelINS0_14default_configENS1_38merge_sort_block_merge_config_selectorIjNS0_10empty_typeEEEZZNS1_27merge_sort_block_merge_implIS3_N6thrust23THRUST_200600_302600_NS6detail15normal_iteratorINS9_10device_ptrIjEEEEPS5_m9comp_mod3IjEEE10hipError_tT0_T1_T2_jT3_P12ihipStream_tbPNSt15iterator_traitsISJ_E10value_typeEPNSP_ISK_E10value_typeEPSL_NS1_7vsmem_tEENKUlT_SJ_SK_SL_E_clISE_PjSF_SF_EESI_SY_SJ_SK_SL_EUlSY_E1_NS1_11comp_targetILNS1_3genE5ELNS1_11target_archE942ELNS1_3gpuE9ELNS1_3repE0EEENS1_36merge_oddeven_config_static_selectorELNS0_4arch9wavefront6targetE0EEEvSK_ ; -- Begin function _ZN7rocprim17ROCPRIM_400000_NS6detail17trampoline_kernelINS0_14default_configENS1_38merge_sort_block_merge_config_selectorIjNS0_10empty_typeEEEZZNS1_27merge_sort_block_merge_implIS3_N6thrust23THRUST_200600_302600_NS6detail15normal_iteratorINS9_10device_ptrIjEEEEPS5_m9comp_mod3IjEEE10hipError_tT0_T1_T2_jT3_P12ihipStream_tbPNSt15iterator_traitsISJ_E10value_typeEPNSP_ISK_E10value_typeEPSL_NS1_7vsmem_tEENKUlT_SJ_SK_SL_E_clISE_PjSF_SF_EESI_SY_SJ_SK_SL_EUlSY_E1_NS1_11comp_targetILNS1_3genE5ELNS1_11target_archE942ELNS1_3gpuE9ELNS1_3repE0EEENS1_36merge_oddeven_config_static_selectorELNS0_4arch9wavefront6targetE0EEEvSK_
	.globl	_ZN7rocprim17ROCPRIM_400000_NS6detail17trampoline_kernelINS0_14default_configENS1_38merge_sort_block_merge_config_selectorIjNS0_10empty_typeEEEZZNS1_27merge_sort_block_merge_implIS3_N6thrust23THRUST_200600_302600_NS6detail15normal_iteratorINS9_10device_ptrIjEEEEPS5_m9comp_mod3IjEEE10hipError_tT0_T1_T2_jT3_P12ihipStream_tbPNSt15iterator_traitsISJ_E10value_typeEPNSP_ISK_E10value_typeEPSL_NS1_7vsmem_tEENKUlT_SJ_SK_SL_E_clISE_PjSF_SF_EESI_SY_SJ_SK_SL_EUlSY_E1_NS1_11comp_targetILNS1_3genE5ELNS1_11target_archE942ELNS1_3gpuE9ELNS1_3repE0EEENS1_36merge_oddeven_config_static_selectorELNS0_4arch9wavefront6targetE0EEEvSK_
	.p2align	8
	.type	_ZN7rocprim17ROCPRIM_400000_NS6detail17trampoline_kernelINS0_14default_configENS1_38merge_sort_block_merge_config_selectorIjNS0_10empty_typeEEEZZNS1_27merge_sort_block_merge_implIS3_N6thrust23THRUST_200600_302600_NS6detail15normal_iteratorINS9_10device_ptrIjEEEEPS5_m9comp_mod3IjEEE10hipError_tT0_T1_T2_jT3_P12ihipStream_tbPNSt15iterator_traitsISJ_E10value_typeEPNSP_ISK_E10value_typeEPSL_NS1_7vsmem_tEENKUlT_SJ_SK_SL_E_clISE_PjSF_SF_EESI_SY_SJ_SK_SL_EUlSY_E1_NS1_11comp_targetILNS1_3genE5ELNS1_11target_archE942ELNS1_3gpuE9ELNS1_3repE0EEENS1_36merge_oddeven_config_static_selectorELNS0_4arch9wavefront6targetE0EEEvSK_,@function
_ZN7rocprim17ROCPRIM_400000_NS6detail17trampoline_kernelINS0_14default_configENS1_38merge_sort_block_merge_config_selectorIjNS0_10empty_typeEEEZZNS1_27merge_sort_block_merge_implIS3_N6thrust23THRUST_200600_302600_NS6detail15normal_iteratorINS9_10device_ptrIjEEEEPS5_m9comp_mod3IjEEE10hipError_tT0_T1_T2_jT3_P12ihipStream_tbPNSt15iterator_traitsISJ_E10value_typeEPNSP_ISK_E10value_typeEPSL_NS1_7vsmem_tEENKUlT_SJ_SK_SL_E_clISE_PjSF_SF_EESI_SY_SJ_SK_SL_EUlSY_E1_NS1_11comp_targetILNS1_3genE5ELNS1_11target_archE942ELNS1_3gpuE9ELNS1_3repE0EEENS1_36merge_oddeven_config_static_selectorELNS0_4arch9wavefront6targetE0EEEvSK_: ; @_ZN7rocprim17ROCPRIM_400000_NS6detail17trampoline_kernelINS0_14default_configENS1_38merge_sort_block_merge_config_selectorIjNS0_10empty_typeEEEZZNS1_27merge_sort_block_merge_implIS3_N6thrust23THRUST_200600_302600_NS6detail15normal_iteratorINS9_10device_ptrIjEEEEPS5_m9comp_mod3IjEEE10hipError_tT0_T1_T2_jT3_P12ihipStream_tbPNSt15iterator_traitsISJ_E10value_typeEPNSP_ISK_E10value_typeEPSL_NS1_7vsmem_tEENKUlT_SJ_SK_SL_E_clISE_PjSF_SF_EESI_SY_SJ_SK_SL_EUlSY_E1_NS1_11comp_targetILNS1_3genE5ELNS1_11target_archE942ELNS1_3gpuE9ELNS1_3repE0EEENS1_36merge_oddeven_config_static_selectorELNS0_4arch9wavefront6targetE0EEEvSK_
; %bb.0:
	.section	.rodata,"a",@progbits
	.p2align	6, 0x0
	.amdhsa_kernel _ZN7rocprim17ROCPRIM_400000_NS6detail17trampoline_kernelINS0_14default_configENS1_38merge_sort_block_merge_config_selectorIjNS0_10empty_typeEEEZZNS1_27merge_sort_block_merge_implIS3_N6thrust23THRUST_200600_302600_NS6detail15normal_iteratorINS9_10device_ptrIjEEEEPS5_m9comp_mod3IjEEE10hipError_tT0_T1_T2_jT3_P12ihipStream_tbPNSt15iterator_traitsISJ_E10value_typeEPNSP_ISK_E10value_typeEPSL_NS1_7vsmem_tEENKUlT_SJ_SK_SL_E_clISE_PjSF_SF_EESI_SY_SJ_SK_SL_EUlSY_E1_NS1_11comp_targetILNS1_3genE5ELNS1_11target_archE942ELNS1_3gpuE9ELNS1_3repE0EEENS1_36merge_oddeven_config_static_selectorELNS0_4arch9wavefront6targetE0EEEvSK_
		.amdhsa_group_segment_fixed_size 0
		.amdhsa_private_segment_fixed_size 0
		.amdhsa_kernarg_size 56
		.amdhsa_user_sgpr_count 6
		.amdhsa_user_sgpr_private_segment_buffer 1
		.amdhsa_user_sgpr_dispatch_ptr 0
		.amdhsa_user_sgpr_queue_ptr 0
		.amdhsa_user_sgpr_kernarg_segment_ptr 1
		.amdhsa_user_sgpr_dispatch_id 0
		.amdhsa_user_sgpr_flat_scratch_init 0
		.amdhsa_user_sgpr_private_segment_size 0
		.amdhsa_wavefront_size32 1
		.amdhsa_uses_dynamic_stack 0
		.amdhsa_system_sgpr_private_segment_wavefront_offset 0
		.amdhsa_system_sgpr_workgroup_id_x 1
		.amdhsa_system_sgpr_workgroup_id_y 0
		.amdhsa_system_sgpr_workgroup_id_z 0
		.amdhsa_system_sgpr_workgroup_info 0
		.amdhsa_system_vgpr_workitem_id 0
		.amdhsa_next_free_vgpr 1
		.amdhsa_next_free_sgpr 1
		.amdhsa_reserve_vcc 0
		.amdhsa_reserve_flat_scratch 0
		.amdhsa_float_round_mode_32 0
		.amdhsa_float_round_mode_16_64 0
		.amdhsa_float_denorm_mode_32 3
		.amdhsa_float_denorm_mode_16_64 3
		.amdhsa_dx10_clamp 1
		.amdhsa_ieee_mode 1
		.amdhsa_fp16_overflow 0
		.amdhsa_workgroup_processor_mode 1
		.amdhsa_memory_ordered 1
		.amdhsa_forward_progress 1
		.amdhsa_shared_vgpr_count 0
		.amdhsa_exception_fp_ieee_invalid_op 0
		.amdhsa_exception_fp_denorm_src 0
		.amdhsa_exception_fp_ieee_div_zero 0
		.amdhsa_exception_fp_ieee_overflow 0
		.amdhsa_exception_fp_ieee_underflow 0
		.amdhsa_exception_fp_ieee_inexact 0
		.amdhsa_exception_int_div_zero 0
	.end_amdhsa_kernel
	.section	.text._ZN7rocprim17ROCPRIM_400000_NS6detail17trampoline_kernelINS0_14default_configENS1_38merge_sort_block_merge_config_selectorIjNS0_10empty_typeEEEZZNS1_27merge_sort_block_merge_implIS3_N6thrust23THRUST_200600_302600_NS6detail15normal_iteratorINS9_10device_ptrIjEEEEPS5_m9comp_mod3IjEEE10hipError_tT0_T1_T2_jT3_P12ihipStream_tbPNSt15iterator_traitsISJ_E10value_typeEPNSP_ISK_E10value_typeEPSL_NS1_7vsmem_tEENKUlT_SJ_SK_SL_E_clISE_PjSF_SF_EESI_SY_SJ_SK_SL_EUlSY_E1_NS1_11comp_targetILNS1_3genE5ELNS1_11target_archE942ELNS1_3gpuE9ELNS1_3repE0EEENS1_36merge_oddeven_config_static_selectorELNS0_4arch9wavefront6targetE0EEEvSK_,"axG",@progbits,_ZN7rocprim17ROCPRIM_400000_NS6detail17trampoline_kernelINS0_14default_configENS1_38merge_sort_block_merge_config_selectorIjNS0_10empty_typeEEEZZNS1_27merge_sort_block_merge_implIS3_N6thrust23THRUST_200600_302600_NS6detail15normal_iteratorINS9_10device_ptrIjEEEEPS5_m9comp_mod3IjEEE10hipError_tT0_T1_T2_jT3_P12ihipStream_tbPNSt15iterator_traitsISJ_E10value_typeEPNSP_ISK_E10value_typeEPSL_NS1_7vsmem_tEENKUlT_SJ_SK_SL_E_clISE_PjSF_SF_EESI_SY_SJ_SK_SL_EUlSY_E1_NS1_11comp_targetILNS1_3genE5ELNS1_11target_archE942ELNS1_3gpuE9ELNS1_3repE0EEENS1_36merge_oddeven_config_static_selectorELNS0_4arch9wavefront6targetE0EEEvSK_,comdat
.Lfunc_end858:
	.size	_ZN7rocprim17ROCPRIM_400000_NS6detail17trampoline_kernelINS0_14default_configENS1_38merge_sort_block_merge_config_selectorIjNS0_10empty_typeEEEZZNS1_27merge_sort_block_merge_implIS3_N6thrust23THRUST_200600_302600_NS6detail15normal_iteratorINS9_10device_ptrIjEEEEPS5_m9comp_mod3IjEEE10hipError_tT0_T1_T2_jT3_P12ihipStream_tbPNSt15iterator_traitsISJ_E10value_typeEPNSP_ISK_E10value_typeEPSL_NS1_7vsmem_tEENKUlT_SJ_SK_SL_E_clISE_PjSF_SF_EESI_SY_SJ_SK_SL_EUlSY_E1_NS1_11comp_targetILNS1_3genE5ELNS1_11target_archE942ELNS1_3gpuE9ELNS1_3repE0EEENS1_36merge_oddeven_config_static_selectorELNS0_4arch9wavefront6targetE0EEEvSK_, .Lfunc_end858-_ZN7rocprim17ROCPRIM_400000_NS6detail17trampoline_kernelINS0_14default_configENS1_38merge_sort_block_merge_config_selectorIjNS0_10empty_typeEEEZZNS1_27merge_sort_block_merge_implIS3_N6thrust23THRUST_200600_302600_NS6detail15normal_iteratorINS9_10device_ptrIjEEEEPS5_m9comp_mod3IjEEE10hipError_tT0_T1_T2_jT3_P12ihipStream_tbPNSt15iterator_traitsISJ_E10value_typeEPNSP_ISK_E10value_typeEPSL_NS1_7vsmem_tEENKUlT_SJ_SK_SL_E_clISE_PjSF_SF_EESI_SY_SJ_SK_SL_EUlSY_E1_NS1_11comp_targetILNS1_3genE5ELNS1_11target_archE942ELNS1_3gpuE9ELNS1_3repE0EEENS1_36merge_oddeven_config_static_selectorELNS0_4arch9wavefront6targetE0EEEvSK_
                                        ; -- End function
	.set _ZN7rocprim17ROCPRIM_400000_NS6detail17trampoline_kernelINS0_14default_configENS1_38merge_sort_block_merge_config_selectorIjNS0_10empty_typeEEEZZNS1_27merge_sort_block_merge_implIS3_N6thrust23THRUST_200600_302600_NS6detail15normal_iteratorINS9_10device_ptrIjEEEEPS5_m9comp_mod3IjEEE10hipError_tT0_T1_T2_jT3_P12ihipStream_tbPNSt15iterator_traitsISJ_E10value_typeEPNSP_ISK_E10value_typeEPSL_NS1_7vsmem_tEENKUlT_SJ_SK_SL_E_clISE_PjSF_SF_EESI_SY_SJ_SK_SL_EUlSY_E1_NS1_11comp_targetILNS1_3genE5ELNS1_11target_archE942ELNS1_3gpuE9ELNS1_3repE0EEENS1_36merge_oddeven_config_static_selectorELNS0_4arch9wavefront6targetE0EEEvSK_.num_vgpr, 0
	.set _ZN7rocprim17ROCPRIM_400000_NS6detail17trampoline_kernelINS0_14default_configENS1_38merge_sort_block_merge_config_selectorIjNS0_10empty_typeEEEZZNS1_27merge_sort_block_merge_implIS3_N6thrust23THRUST_200600_302600_NS6detail15normal_iteratorINS9_10device_ptrIjEEEEPS5_m9comp_mod3IjEEE10hipError_tT0_T1_T2_jT3_P12ihipStream_tbPNSt15iterator_traitsISJ_E10value_typeEPNSP_ISK_E10value_typeEPSL_NS1_7vsmem_tEENKUlT_SJ_SK_SL_E_clISE_PjSF_SF_EESI_SY_SJ_SK_SL_EUlSY_E1_NS1_11comp_targetILNS1_3genE5ELNS1_11target_archE942ELNS1_3gpuE9ELNS1_3repE0EEENS1_36merge_oddeven_config_static_selectorELNS0_4arch9wavefront6targetE0EEEvSK_.num_agpr, 0
	.set _ZN7rocprim17ROCPRIM_400000_NS6detail17trampoline_kernelINS0_14default_configENS1_38merge_sort_block_merge_config_selectorIjNS0_10empty_typeEEEZZNS1_27merge_sort_block_merge_implIS3_N6thrust23THRUST_200600_302600_NS6detail15normal_iteratorINS9_10device_ptrIjEEEEPS5_m9comp_mod3IjEEE10hipError_tT0_T1_T2_jT3_P12ihipStream_tbPNSt15iterator_traitsISJ_E10value_typeEPNSP_ISK_E10value_typeEPSL_NS1_7vsmem_tEENKUlT_SJ_SK_SL_E_clISE_PjSF_SF_EESI_SY_SJ_SK_SL_EUlSY_E1_NS1_11comp_targetILNS1_3genE5ELNS1_11target_archE942ELNS1_3gpuE9ELNS1_3repE0EEENS1_36merge_oddeven_config_static_selectorELNS0_4arch9wavefront6targetE0EEEvSK_.numbered_sgpr, 0
	.set _ZN7rocprim17ROCPRIM_400000_NS6detail17trampoline_kernelINS0_14default_configENS1_38merge_sort_block_merge_config_selectorIjNS0_10empty_typeEEEZZNS1_27merge_sort_block_merge_implIS3_N6thrust23THRUST_200600_302600_NS6detail15normal_iteratorINS9_10device_ptrIjEEEEPS5_m9comp_mod3IjEEE10hipError_tT0_T1_T2_jT3_P12ihipStream_tbPNSt15iterator_traitsISJ_E10value_typeEPNSP_ISK_E10value_typeEPSL_NS1_7vsmem_tEENKUlT_SJ_SK_SL_E_clISE_PjSF_SF_EESI_SY_SJ_SK_SL_EUlSY_E1_NS1_11comp_targetILNS1_3genE5ELNS1_11target_archE942ELNS1_3gpuE9ELNS1_3repE0EEENS1_36merge_oddeven_config_static_selectorELNS0_4arch9wavefront6targetE0EEEvSK_.num_named_barrier, 0
	.set _ZN7rocprim17ROCPRIM_400000_NS6detail17trampoline_kernelINS0_14default_configENS1_38merge_sort_block_merge_config_selectorIjNS0_10empty_typeEEEZZNS1_27merge_sort_block_merge_implIS3_N6thrust23THRUST_200600_302600_NS6detail15normal_iteratorINS9_10device_ptrIjEEEEPS5_m9comp_mod3IjEEE10hipError_tT0_T1_T2_jT3_P12ihipStream_tbPNSt15iterator_traitsISJ_E10value_typeEPNSP_ISK_E10value_typeEPSL_NS1_7vsmem_tEENKUlT_SJ_SK_SL_E_clISE_PjSF_SF_EESI_SY_SJ_SK_SL_EUlSY_E1_NS1_11comp_targetILNS1_3genE5ELNS1_11target_archE942ELNS1_3gpuE9ELNS1_3repE0EEENS1_36merge_oddeven_config_static_selectorELNS0_4arch9wavefront6targetE0EEEvSK_.private_seg_size, 0
	.set _ZN7rocprim17ROCPRIM_400000_NS6detail17trampoline_kernelINS0_14default_configENS1_38merge_sort_block_merge_config_selectorIjNS0_10empty_typeEEEZZNS1_27merge_sort_block_merge_implIS3_N6thrust23THRUST_200600_302600_NS6detail15normal_iteratorINS9_10device_ptrIjEEEEPS5_m9comp_mod3IjEEE10hipError_tT0_T1_T2_jT3_P12ihipStream_tbPNSt15iterator_traitsISJ_E10value_typeEPNSP_ISK_E10value_typeEPSL_NS1_7vsmem_tEENKUlT_SJ_SK_SL_E_clISE_PjSF_SF_EESI_SY_SJ_SK_SL_EUlSY_E1_NS1_11comp_targetILNS1_3genE5ELNS1_11target_archE942ELNS1_3gpuE9ELNS1_3repE0EEENS1_36merge_oddeven_config_static_selectorELNS0_4arch9wavefront6targetE0EEEvSK_.uses_vcc, 0
	.set _ZN7rocprim17ROCPRIM_400000_NS6detail17trampoline_kernelINS0_14default_configENS1_38merge_sort_block_merge_config_selectorIjNS0_10empty_typeEEEZZNS1_27merge_sort_block_merge_implIS3_N6thrust23THRUST_200600_302600_NS6detail15normal_iteratorINS9_10device_ptrIjEEEEPS5_m9comp_mod3IjEEE10hipError_tT0_T1_T2_jT3_P12ihipStream_tbPNSt15iterator_traitsISJ_E10value_typeEPNSP_ISK_E10value_typeEPSL_NS1_7vsmem_tEENKUlT_SJ_SK_SL_E_clISE_PjSF_SF_EESI_SY_SJ_SK_SL_EUlSY_E1_NS1_11comp_targetILNS1_3genE5ELNS1_11target_archE942ELNS1_3gpuE9ELNS1_3repE0EEENS1_36merge_oddeven_config_static_selectorELNS0_4arch9wavefront6targetE0EEEvSK_.uses_flat_scratch, 0
	.set _ZN7rocprim17ROCPRIM_400000_NS6detail17trampoline_kernelINS0_14default_configENS1_38merge_sort_block_merge_config_selectorIjNS0_10empty_typeEEEZZNS1_27merge_sort_block_merge_implIS3_N6thrust23THRUST_200600_302600_NS6detail15normal_iteratorINS9_10device_ptrIjEEEEPS5_m9comp_mod3IjEEE10hipError_tT0_T1_T2_jT3_P12ihipStream_tbPNSt15iterator_traitsISJ_E10value_typeEPNSP_ISK_E10value_typeEPSL_NS1_7vsmem_tEENKUlT_SJ_SK_SL_E_clISE_PjSF_SF_EESI_SY_SJ_SK_SL_EUlSY_E1_NS1_11comp_targetILNS1_3genE5ELNS1_11target_archE942ELNS1_3gpuE9ELNS1_3repE0EEENS1_36merge_oddeven_config_static_selectorELNS0_4arch9wavefront6targetE0EEEvSK_.has_dyn_sized_stack, 0
	.set _ZN7rocprim17ROCPRIM_400000_NS6detail17trampoline_kernelINS0_14default_configENS1_38merge_sort_block_merge_config_selectorIjNS0_10empty_typeEEEZZNS1_27merge_sort_block_merge_implIS3_N6thrust23THRUST_200600_302600_NS6detail15normal_iteratorINS9_10device_ptrIjEEEEPS5_m9comp_mod3IjEEE10hipError_tT0_T1_T2_jT3_P12ihipStream_tbPNSt15iterator_traitsISJ_E10value_typeEPNSP_ISK_E10value_typeEPSL_NS1_7vsmem_tEENKUlT_SJ_SK_SL_E_clISE_PjSF_SF_EESI_SY_SJ_SK_SL_EUlSY_E1_NS1_11comp_targetILNS1_3genE5ELNS1_11target_archE942ELNS1_3gpuE9ELNS1_3repE0EEENS1_36merge_oddeven_config_static_selectorELNS0_4arch9wavefront6targetE0EEEvSK_.has_recursion, 0
	.set _ZN7rocprim17ROCPRIM_400000_NS6detail17trampoline_kernelINS0_14default_configENS1_38merge_sort_block_merge_config_selectorIjNS0_10empty_typeEEEZZNS1_27merge_sort_block_merge_implIS3_N6thrust23THRUST_200600_302600_NS6detail15normal_iteratorINS9_10device_ptrIjEEEEPS5_m9comp_mod3IjEEE10hipError_tT0_T1_T2_jT3_P12ihipStream_tbPNSt15iterator_traitsISJ_E10value_typeEPNSP_ISK_E10value_typeEPSL_NS1_7vsmem_tEENKUlT_SJ_SK_SL_E_clISE_PjSF_SF_EESI_SY_SJ_SK_SL_EUlSY_E1_NS1_11comp_targetILNS1_3genE5ELNS1_11target_archE942ELNS1_3gpuE9ELNS1_3repE0EEENS1_36merge_oddeven_config_static_selectorELNS0_4arch9wavefront6targetE0EEEvSK_.has_indirect_call, 0
	.section	.AMDGPU.csdata,"",@progbits
; Kernel info:
; codeLenInByte = 0
; TotalNumSgprs: 0
; NumVgprs: 0
; ScratchSize: 0
; MemoryBound: 0
; FloatMode: 240
; IeeeMode: 1
; LDSByteSize: 0 bytes/workgroup (compile time only)
; SGPRBlocks: 0
; VGPRBlocks: 0
; NumSGPRsForWavesPerEU: 1
; NumVGPRsForWavesPerEU: 1
; Occupancy: 16
; WaveLimiterHint : 0
; COMPUTE_PGM_RSRC2:SCRATCH_EN: 0
; COMPUTE_PGM_RSRC2:USER_SGPR: 6
; COMPUTE_PGM_RSRC2:TRAP_HANDLER: 0
; COMPUTE_PGM_RSRC2:TGID_X_EN: 1
; COMPUTE_PGM_RSRC2:TGID_Y_EN: 0
; COMPUTE_PGM_RSRC2:TGID_Z_EN: 0
; COMPUTE_PGM_RSRC2:TIDIG_COMP_CNT: 0
	.section	.text._ZN7rocprim17ROCPRIM_400000_NS6detail17trampoline_kernelINS0_14default_configENS1_38merge_sort_block_merge_config_selectorIjNS0_10empty_typeEEEZZNS1_27merge_sort_block_merge_implIS3_N6thrust23THRUST_200600_302600_NS6detail15normal_iteratorINS9_10device_ptrIjEEEEPS5_m9comp_mod3IjEEE10hipError_tT0_T1_T2_jT3_P12ihipStream_tbPNSt15iterator_traitsISJ_E10value_typeEPNSP_ISK_E10value_typeEPSL_NS1_7vsmem_tEENKUlT_SJ_SK_SL_E_clISE_PjSF_SF_EESI_SY_SJ_SK_SL_EUlSY_E1_NS1_11comp_targetILNS1_3genE4ELNS1_11target_archE910ELNS1_3gpuE8ELNS1_3repE0EEENS1_36merge_oddeven_config_static_selectorELNS0_4arch9wavefront6targetE0EEEvSK_,"axG",@progbits,_ZN7rocprim17ROCPRIM_400000_NS6detail17trampoline_kernelINS0_14default_configENS1_38merge_sort_block_merge_config_selectorIjNS0_10empty_typeEEEZZNS1_27merge_sort_block_merge_implIS3_N6thrust23THRUST_200600_302600_NS6detail15normal_iteratorINS9_10device_ptrIjEEEEPS5_m9comp_mod3IjEEE10hipError_tT0_T1_T2_jT3_P12ihipStream_tbPNSt15iterator_traitsISJ_E10value_typeEPNSP_ISK_E10value_typeEPSL_NS1_7vsmem_tEENKUlT_SJ_SK_SL_E_clISE_PjSF_SF_EESI_SY_SJ_SK_SL_EUlSY_E1_NS1_11comp_targetILNS1_3genE4ELNS1_11target_archE910ELNS1_3gpuE8ELNS1_3repE0EEENS1_36merge_oddeven_config_static_selectorELNS0_4arch9wavefront6targetE0EEEvSK_,comdat
	.protected	_ZN7rocprim17ROCPRIM_400000_NS6detail17trampoline_kernelINS0_14default_configENS1_38merge_sort_block_merge_config_selectorIjNS0_10empty_typeEEEZZNS1_27merge_sort_block_merge_implIS3_N6thrust23THRUST_200600_302600_NS6detail15normal_iteratorINS9_10device_ptrIjEEEEPS5_m9comp_mod3IjEEE10hipError_tT0_T1_T2_jT3_P12ihipStream_tbPNSt15iterator_traitsISJ_E10value_typeEPNSP_ISK_E10value_typeEPSL_NS1_7vsmem_tEENKUlT_SJ_SK_SL_E_clISE_PjSF_SF_EESI_SY_SJ_SK_SL_EUlSY_E1_NS1_11comp_targetILNS1_3genE4ELNS1_11target_archE910ELNS1_3gpuE8ELNS1_3repE0EEENS1_36merge_oddeven_config_static_selectorELNS0_4arch9wavefront6targetE0EEEvSK_ ; -- Begin function _ZN7rocprim17ROCPRIM_400000_NS6detail17trampoline_kernelINS0_14default_configENS1_38merge_sort_block_merge_config_selectorIjNS0_10empty_typeEEEZZNS1_27merge_sort_block_merge_implIS3_N6thrust23THRUST_200600_302600_NS6detail15normal_iteratorINS9_10device_ptrIjEEEEPS5_m9comp_mod3IjEEE10hipError_tT0_T1_T2_jT3_P12ihipStream_tbPNSt15iterator_traitsISJ_E10value_typeEPNSP_ISK_E10value_typeEPSL_NS1_7vsmem_tEENKUlT_SJ_SK_SL_E_clISE_PjSF_SF_EESI_SY_SJ_SK_SL_EUlSY_E1_NS1_11comp_targetILNS1_3genE4ELNS1_11target_archE910ELNS1_3gpuE8ELNS1_3repE0EEENS1_36merge_oddeven_config_static_selectorELNS0_4arch9wavefront6targetE0EEEvSK_
	.globl	_ZN7rocprim17ROCPRIM_400000_NS6detail17trampoline_kernelINS0_14default_configENS1_38merge_sort_block_merge_config_selectorIjNS0_10empty_typeEEEZZNS1_27merge_sort_block_merge_implIS3_N6thrust23THRUST_200600_302600_NS6detail15normal_iteratorINS9_10device_ptrIjEEEEPS5_m9comp_mod3IjEEE10hipError_tT0_T1_T2_jT3_P12ihipStream_tbPNSt15iterator_traitsISJ_E10value_typeEPNSP_ISK_E10value_typeEPSL_NS1_7vsmem_tEENKUlT_SJ_SK_SL_E_clISE_PjSF_SF_EESI_SY_SJ_SK_SL_EUlSY_E1_NS1_11comp_targetILNS1_3genE4ELNS1_11target_archE910ELNS1_3gpuE8ELNS1_3repE0EEENS1_36merge_oddeven_config_static_selectorELNS0_4arch9wavefront6targetE0EEEvSK_
	.p2align	8
	.type	_ZN7rocprim17ROCPRIM_400000_NS6detail17trampoline_kernelINS0_14default_configENS1_38merge_sort_block_merge_config_selectorIjNS0_10empty_typeEEEZZNS1_27merge_sort_block_merge_implIS3_N6thrust23THRUST_200600_302600_NS6detail15normal_iteratorINS9_10device_ptrIjEEEEPS5_m9comp_mod3IjEEE10hipError_tT0_T1_T2_jT3_P12ihipStream_tbPNSt15iterator_traitsISJ_E10value_typeEPNSP_ISK_E10value_typeEPSL_NS1_7vsmem_tEENKUlT_SJ_SK_SL_E_clISE_PjSF_SF_EESI_SY_SJ_SK_SL_EUlSY_E1_NS1_11comp_targetILNS1_3genE4ELNS1_11target_archE910ELNS1_3gpuE8ELNS1_3repE0EEENS1_36merge_oddeven_config_static_selectorELNS0_4arch9wavefront6targetE0EEEvSK_,@function
_ZN7rocprim17ROCPRIM_400000_NS6detail17trampoline_kernelINS0_14default_configENS1_38merge_sort_block_merge_config_selectorIjNS0_10empty_typeEEEZZNS1_27merge_sort_block_merge_implIS3_N6thrust23THRUST_200600_302600_NS6detail15normal_iteratorINS9_10device_ptrIjEEEEPS5_m9comp_mod3IjEEE10hipError_tT0_T1_T2_jT3_P12ihipStream_tbPNSt15iterator_traitsISJ_E10value_typeEPNSP_ISK_E10value_typeEPSL_NS1_7vsmem_tEENKUlT_SJ_SK_SL_E_clISE_PjSF_SF_EESI_SY_SJ_SK_SL_EUlSY_E1_NS1_11comp_targetILNS1_3genE4ELNS1_11target_archE910ELNS1_3gpuE8ELNS1_3repE0EEENS1_36merge_oddeven_config_static_selectorELNS0_4arch9wavefront6targetE0EEEvSK_: ; @_ZN7rocprim17ROCPRIM_400000_NS6detail17trampoline_kernelINS0_14default_configENS1_38merge_sort_block_merge_config_selectorIjNS0_10empty_typeEEEZZNS1_27merge_sort_block_merge_implIS3_N6thrust23THRUST_200600_302600_NS6detail15normal_iteratorINS9_10device_ptrIjEEEEPS5_m9comp_mod3IjEEE10hipError_tT0_T1_T2_jT3_P12ihipStream_tbPNSt15iterator_traitsISJ_E10value_typeEPNSP_ISK_E10value_typeEPSL_NS1_7vsmem_tEENKUlT_SJ_SK_SL_E_clISE_PjSF_SF_EESI_SY_SJ_SK_SL_EUlSY_E1_NS1_11comp_targetILNS1_3genE4ELNS1_11target_archE910ELNS1_3gpuE8ELNS1_3repE0EEENS1_36merge_oddeven_config_static_selectorELNS0_4arch9wavefront6targetE0EEEvSK_
; %bb.0:
	.section	.rodata,"a",@progbits
	.p2align	6, 0x0
	.amdhsa_kernel _ZN7rocprim17ROCPRIM_400000_NS6detail17trampoline_kernelINS0_14default_configENS1_38merge_sort_block_merge_config_selectorIjNS0_10empty_typeEEEZZNS1_27merge_sort_block_merge_implIS3_N6thrust23THRUST_200600_302600_NS6detail15normal_iteratorINS9_10device_ptrIjEEEEPS5_m9comp_mod3IjEEE10hipError_tT0_T1_T2_jT3_P12ihipStream_tbPNSt15iterator_traitsISJ_E10value_typeEPNSP_ISK_E10value_typeEPSL_NS1_7vsmem_tEENKUlT_SJ_SK_SL_E_clISE_PjSF_SF_EESI_SY_SJ_SK_SL_EUlSY_E1_NS1_11comp_targetILNS1_3genE4ELNS1_11target_archE910ELNS1_3gpuE8ELNS1_3repE0EEENS1_36merge_oddeven_config_static_selectorELNS0_4arch9wavefront6targetE0EEEvSK_
		.amdhsa_group_segment_fixed_size 0
		.amdhsa_private_segment_fixed_size 0
		.amdhsa_kernarg_size 56
		.amdhsa_user_sgpr_count 6
		.amdhsa_user_sgpr_private_segment_buffer 1
		.amdhsa_user_sgpr_dispatch_ptr 0
		.amdhsa_user_sgpr_queue_ptr 0
		.amdhsa_user_sgpr_kernarg_segment_ptr 1
		.amdhsa_user_sgpr_dispatch_id 0
		.amdhsa_user_sgpr_flat_scratch_init 0
		.amdhsa_user_sgpr_private_segment_size 0
		.amdhsa_wavefront_size32 1
		.amdhsa_uses_dynamic_stack 0
		.amdhsa_system_sgpr_private_segment_wavefront_offset 0
		.amdhsa_system_sgpr_workgroup_id_x 1
		.amdhsa_system_sgpr_workgroup_id_y 0
		.amdhsa_system_sgpr_workgroup_id_z 0
		.amdhsa_system_sgpr_workgroup_info 0
		.amdhsa_system_vgpr_workitem_id 0
		.amdhsa_next_free_vgpr 1
		.amdhsa_next_free_sgpr 1
		.amdhsa_reserve_vcc 0
		.amdhsa_reserve_flat_scratch 0
		.amdhsa_float_round_mode_32 0
		.amdhsa_float_round_mode_16_64 0
		.amdhsa_float_denorm_mode_32 3
		.amdhsa_float_denorm_mode_16_64 3
		.amdhsa_dx10_clamp 1
		.amdhsa_ieee_mode 1
		.amdhsa_fp16_overflow 0
		.amdhsa_workgroup_processor_mode 1
		.amdhsa_memory_ordered 1
		.amdhsa_forward_progress 1
		.amdhsa_shared_vgpr_count 0
		.amdhsa_exception_fp_ieee_invalid_op 0
		.amdhsa_exception_fp_denorm_src 0
		.amdhsa_exception_fp_ieee_div_zero 0
		.amdhsa_exception_fp_ieee_overflow 0
		.amdhsa_exception_fp_ieee_underflow 0
		.amdhsa_exception_fp_ieee_inexact 0
		.amdhsa_exception_int_div_zero 0
	.end_amdhsa_kernel
	.section	.text._ZN7rocprim17ROCPRIM_400000_NS6detail17trampoline_kernelINS0_14default_configENS1_38merge_sort_block_merge_config_selectorIjNS0_10empty_typeEEEZZNS1_27merge_sort_block_merge_implIS3_N6thrust23THRUST_200600_302600_NS6detail15normal_iteratorINS9_10device_ptrIjEEEEPS5_m9comp_mod3IjEEE10hipError_tT0_T1_T2_jT3_P12ihipStream_tbPNSt15iterator_traitsISJ_E10value_typeEPNSP_ISK_E10value_typeEPSL_NS1_7vsmem_tEENKUlT_SJ_SK_SL_E_clISE_PjSF_SF_EESI_SY_SJ_SK_SL_EUlSY_E1_NS1_11comp_targetILNS1_3genE4ELNS1_11target_archE910ELNS1_3gpuE8ELNS1_3repE0EEENS1_36merge_oddeven_config_static_selectorELNS0_4arch9wavefront6targetE0EEEvSK_,"axG",@progbits,_ZN7rocprim17ROCPRIM_400000_NS6detail17trampoline_kernelINS0_14default_configENS1_38merge_sort_block_merge_config_selectorIjNS0_10empty_typeEEEZZNS1_27merge_sort_block_merge_implIS3_N6thrust23THRUST_200600_302600_NS6detail15normal_iteratorINS9_10device_ptrIjEEEEPS5_m9comp_mod3IjEEE10hipError_tT0_T1_T2_jT3_P12ihipStream_tbPNSt15iterator_traitsISJ_E10value_typeEPNSP_ISK_E10value_typeEPSL_NS1_7vsmem_tEENKUlT_SJ_SK_SL_E_clISE_PjSF_SF_EESI_SY_SJ_SK_SL_EUlSY_E1_NS1_11comp_targetILNS1_3genE4ELNS1_11target_archE910ELNS1_3gpuE8ELNS1_3repE0EEENS1_36merge_oddeven_config_static_selectorELNS0_4arch9wavefront6targetE0EEEvSK_,comdat
.Lfunc_end859:
	.size	_ZN7rocprim17ROCPRIM_400000_NS6detail17trampoline_kernelINS0_14default_configENS1_38merge_sort_block_merge_config_selectorIjNS0_10empty_typeEEEZZNS1_27merge_sort_block_merge_implIS3_N6thrust23THRUST_200600_302600_NS6detail15normal_iteratorINS9_10device_ptrIjEEEEPS5_m9comp_mod3IjEEE10hipError_tT0_T1_T2_jT3_P12ihipStream_tbPNSt15iterator_traitsISJ_E10value_typeEPNSP_ISK_E10value_typeEPSL_NS1_7vsmem_tEENKUlT_SJ_SK_SL_E_clISE_PjSF_SF_EESI_SY_SJ_SK_SL_EUlSY_E1_NS1_11comp_targetILNS1_3genE4ELNS1_11target_archE910ELNS1_3gpuE8ELNS1_3repE0EEENS1_36merge_oddeven_config_static_selectorELNS0_4arch9wavefront6targetE0EEEvSK_, .Lfunc_end859-_ZN7rocprim17ROCPRIM_400000_NS6detail17trampoline_kernelINS0_14default_configENS1_38merge_sort_block_merge_config_selectorIjNS0_10empty_typeEEEZZNS1_27merge_sort_block_merge_implIS3_N6thrust23THRUST_200600_302600_NS6detail15normal_iteratorINS9_10device_ptrIjEEEEPS5_m9comp_mod3IjEEE10hipError_tT0_T1_T2_jT3_P12ihipStream_tbPNSt15iterator_traitsISJ_E10value_typeEPNSP_ISK_E10value_typeEPSL_NS1_7vsmem_tEENKUlT_SJ_SK_SL_E_clISE_PjSF_SF_EESI_SY_SJ_SK_SL_EUlSY_E1_NS1_11comp_targetILNS1_3genE4ELNS1_11target_archE910ELNS1_3gpuE8ELNS1_3repE0EEENS1_36merge_oddeven_config_static_selectorELNS0_4arch9wavefront6targetE0EEEvSK_
                                        ; -- End function
	.set _ZN7rocprim17ROCPRIM_400000_NS6detail17trampoline_kernelINS0_14default_configENS1_38merge_sort_block_merge_config_selectorIjNS0_10empty_typeEEEZZNS1_27merge_sort_block_merge_implIS3_N6thrust23THRUST_200600_302600_NS6detail15normal_iteratorINS9_10device_ptrIjEEEEPS5_m9comp_mod3IjEEE10hipError_tT0_T1_T2_jT3_P12ihipStream_tbPNSt15iterator_traitsISJ_E10value_typeEPNSP_ISK_E10value_typeEPSL_NS1_7vsmem_tEENKUlT_SJ_SK_SL_E_clISE_PjSF_SF_EESI_SY_SJ_SK_SL_EUlSY_E1_NS1_11comp_targetILNS1_3genE4ELNS1_11target_archE910ELNS1_3gpuE8ELNS1_3repE0EEENS1_36merge_oddeven_config_static_selectorELNS0_4arch9wavefront6targetE0EEEvSK_.num_vgpr, 0
	.set _ZN7rocprim17ROCPRIM_400000_NS6detail17trampoline_kernelINS0_14default_configENS1_38merge_sort_block_merge_config_selectorIjNS0_10empty_typeEEEZZNS1_27merge_sort_block_merge_implIS3_N6thrust23THRUST_200600_302600_NS6detail15normal_iteratorINS9_10device_ptrIjEEEEPS5_m9comp_mod3IjEEE10hipError_tT0_T1_T2_jT3_P12ihipStream_tbPNSt15iterator_traitsISJ_E10value_typeEPNSP_ISK_E10value_typeEPSL_NS1_7vsmem_tEENKUlT_SJ_SK_SL_E_clISE_PjSF_SF_EESI_SY_SJ_SK_SL_EUlSY_E1_NS1_11comp_targetILNS1_3genE4ELNS1_11target_archE910ELNS1_3gpuE8ELNS1_3repE0EEENS1_36merge_oddeven_config_static_selectorELNS0_4arch9wavefront6targetE0EEEvSK_.num_agpr, 0
	.set _ZN7rocprim17ROCPRIM_400000_NS6detail17trampoline_kernelINS0_14default_configENS1_38merge_sort_block_merge_config_selectorIjNS0_10empty_typeEEEZZNS1_27merge_sort_block_merge_implIS3_N6thrust23THRUST_200600_302600_NS6detail15normal_iteratorINS9_10device_ptrIjEEEEPS5_m9comp_mod3IjEEE10hipError_tT0_T1_T2_jT3_P12ihipStream_tbPNSt15iterator_traitsISJ_E10value_typeEPNSP_ISK_E10value_typeEPSL_NS1_7vsmem_tEENKUlT_SJ_SK_SL_E_clISE_PjSF_SF_EESI_SY_SJ_SK_SL_EUlSY_E1_NS1_11comp_targetILNS1_3genE4ELNS1_11target_archE910ELNS1_3gpuE8ELNS1_3repE0EEENS1_36merge_oddeven_config_static_selectorELNS0_4arch9wavefront6targetE0EEEvSK_.numbered_sgpr, 0
	.set _ZN7rocprim17ROCPRIM_400000_NS6detail17trampoline_kernelINS0_14default_configENS1_38merge_sort_block_merge_config_selectorIjNS0_10empty_typeEEEZZNS1_27merge_sort_block_merge_implIS3_N6thrust23THRUST_200600_302600_NS6detail15normal_iteratorINS9_10device_ptrIjEEEEPS5_m9comp_mod3IjEEE10hipError_tT0_T1_T2_jT3_P12ihipStream_tbPNSt15iterator_traitsISJ_E10value_typeEPNSP_ISK_E10value_typeEPSL_NS1_7vsmem_tEENKUlT_SJ_SK_SL_E_clISE_PjSF_SF_EESI_SY_SJ_SK_SL_EUlSY_E1_NS1_11comp_targetILNS1_3genE4ELNS1_11target_archE910ELNS1_3gpuE8ELNS1_3repE0EEENS1_36merge_oddeven_config_static_selectorELNS0_4arch9wavefront6targetE0EEEvSK_.num_named_barrier, 0
	.set _ZN7rocprim17ROCPRIM_400000_NS6detail17trampoline_kernelINS0_14default_configENS1_38merge_sort_block_merge_config_selectorIjNS0_10empty_typeEEEZZNS1_27merge_sort_block_merge_implIS3_N6thrust23THRUST_200600_302600_NS6detail15normal_iteratorINS9_10device_ptrIjEEEEPS5_m9comp_mod3IjEEE10hipError_tT0_T1_T2_jT3_P12ihipStream_tbPNSt15iterator_traitsISJ_E10value_typeEPNSP_ISK_E10value_typeEPSL_NS1_7vsmem_tEENKUlT_SJ_SK_SL_E_clISE_PjSF_SF_EESI_SY_SJ_SK_SL_EUlSY_E1_NS1_11comp_targetILNS1_3genE4ELNS1_11target_archE910ELNS1_3gpuE8ELNS1_3repE0EEENS1_36merge_oddeven_config_static_selectorELNS0_4arch9wavefront6targetE0EEEvSK_.private_seg_size, 0
	.set _ZN7rocprim17ROCPRIM_400000_NS6detail17trampoline_kernelINS0_14default_configENS1_38merge_sort_block_merge_config_selectorIjNS0_10empty_typeEEEZZNS1_27merge_sort_block_merge_implIS3_N6thrust23THRUST_200600_302600_NS6detail15normal_iteratorINS9_10device_ptrIjEEEEPS5_m9comp_mod3IjEEE10hipError_tT0_T1_T2_jT3_P12ihipStream_tbPNSt15iterator_traitsISJ_E10value_typeEPNSP_ISK_E10value_typeEPSL_NS1_7vsmem_tEENKUlT_SJ_SK_SL_E_clISE_PjSF_SF_EESI_SY_SJ_SK_SL_EUlSY_E1_NS1_11comp_targetILNS1_3genE4ELNS1_11target_archE910ELNS1_3gpuE8ELNS1_3repE0EEENS1_36merge_oddeven_config_static_selectorELNS0_4arch9wavefront6targetE0EEEvSK_.uses_vcc, 0
	.set _ZN7rocprim17ROCPRIM_400000_NS6detail17trampoline_kernelINS0_14default_configENS1_38merge_sort_block_merge_config_selectorIjNS0_10empty_typeEEEZZNS1_27merge_sort_block_merge_implIS3_N6thrust23THRUST_200600_302600_NS6detail15normal_iteratorINS9_10device_ptrIjEEEEPS5_m9comp_mod3IjEEE10hipError_tT0_T1_T2_jT3_P12ihipStream_tbPNSt15iterator_traitsISJ_E10value_typeEPNSP_ISK_E10value_typeEPSL_NS1_7vsmem_tEENKUlT_SJ_SK_SL_E_clISE_PjSF_SF_EESI_SY_SJ_SK_SL_EUlSY_E1_NS1_11comp_targetILNS1_3genE4ELNS1_11target_archE910ELNS1_3gpuE8ELNS1_3repE0EEENS1_36merge_oddeven_config_static_selectorELNS0_4arch9wavefront6targetE0EEEvSK_.uses_flat_scratch, 0
	.set _ZN7rocprim17ROCPRIM_400000_NS6detail17trampoline_kernelINS0_14default_configENS1_38merge_sort_block_merge_config_selectorIjNS0_10empty_typeEEEZZNS1_27merge_sort_block_merge_implIS3_N6thrust23THRUST_200600_302600_NS6detail15normal_iteratorINS9_10device_ptrIjEEEEPS5_m9comp_mod3IjEEE10hipError_tT0_T1_T2_jT3_P12ihipStream_tbPNSt15iterator_traitsISJ_E10value_typeEPNSP_ISK_E10value_typeEPSL_NS1_7vsmem_tEENKUlT_SJ_SK_SL_E_clISE_PjSF_SF_EESI_SY_SJ_SK_SL_EUlSY_E1_NS1_11comp_targetILNS1_3genE4ELNS1_11target_archE910ELNS1_3gpuE8ELNS1_3repE0EEENS1_36merge_oddeven_config_static_selectorELNS0_4arch9wavefront6targetE0EEEvSK_.has_dyn_sized_stack, 0
	.set _ZN7rocprim17ROCPRIM_400000_NS6detail17trampoline_kernelINS0_14default_configENS1_38merge_sort_block_merge_config_selectorIjNS0_10empty_typeEEEZZNS1_27merge_sort_block_merge_implIS3_N6thrust23THRUST_200600_302600_NS6detail15normal_iteratorINS9_10device_ptrIjEEEEPS5_m9comp_mod3IjEEE10hipError_tT0_T1_T2_jT3_P12ihipStream_tbPNSt15iterator_traitsISJ_E10value_typeEPNSP_ISK_E10value_typeEPSL_NS1_7vsmem_tEENKUlT_SJ_SK_SL_E_clISE_PjSF_SF_EESI_SY_SJ_SK_SL_EUlSY_E1_NS1_11comp_targetILNS1_3genE4ELNS1_11target_archE910ELNS1_3gpuE8ELNS1_3repE0EEENS1_36merge_oddeven_config_static_selectorELNS0_4arch9wavefront6targetE0EEEvSK_.has_recursion, 0
	.set _ZN7rocprim17ROCPRIM_400000_NS6detail17trampoline_kernelINS0_14default_configENS1_38merge_sort_block_merge_config_selectorIjNS0_10empty_typeEEEZZNS1_27merge_sort_block_merge_implIS3_N6thrust23THRUST_200600_302600_NS6detail15normal_iteratorINS9_10device_ptrIjEEEEPS5_m9comp_mod3IjEEE10hipError_tT0_T1_T2_jT3_P12ihipStream_tbPNSt15iterator_traitsISJ_E10value_typeEPNSP_ISK_E10value_typeEPSL_NS1_7vsmem_tEENKUlT_SJ_SK_SL_E_clISE_PjSF_SF_EESI_SY_SJ_SK_SL_EUlSY_E1_NS1_11comp_targetILNS1_3genE4ELNS1_11target_archE910ELNS1_3gpuE8ELNS1_3repE0EEENS1_36merge_oddeven_config_static_selectorELNS0_4arch9wavefront6targetE0EEEvSK_.has_indirect_call, 0
	.section	.AMDGPU.csdata,"",@progbits
; Kernel info:
; codeLenInByte = 0
; TotalNumSgprs: 0
; NumVgprs: 0
; ScratchSize: 0
; MemoryBound: 0
; FloatMode: 240
; IeeeMode: 1
; LDSByteSize: 0 bytes/workgroup (compile time only)
; SGPRBlocks: 0
; VGPRBlocks: 0
; NumSGPRsForWavesPerEU: 1
; NumVGPRsForWavesPerEU: 1
; Occupancy: 16
; WaveLimiterHint : 0
; COMPUTE_PGM_RSRC2:SCRATCH_EN: 0
; COMPUTE_PGM_RSRC2:USER_SGPR: 6
; COMPUTE_PGM_RSRC2:TRAP_HANDLER: 0
; COMPUTE_PGM_RSRC2:TGID_X_EN: 1
; COMPUTE_PGM_RSRC2:TGID_Y_EN: 0
; COMPUTE_PGM_RSRC2:TGID_Z_EN: 0
; COMPUTE_PGM_RSRC2:TIDIG_COMP_CNT: 0
	.section	.text._ZN7rocprim17ROCPRIM_400000_NS6detail17trampoline_kernelINS0_14default_configENS1_38merge_sort_block_merge_config_selectorIjNS0_10empty_typeEEEZZNS1_27merge_sort_block_merge_implIS3_N6thrust23THRUST_200600_302600_NS6detail15normal_iteratorINS9_10device_ptrIjEEEEPS5_m9comp_mod3IjEEE10hipError_tT0_T1_T2_jT3_P12ihipStream_tbPNSt15iterator_traitsISJ_E10value_typeEPNSP_ISK_E10value_typeEPSL_NS1_7vsmem_tEENKUlT_SJ_SK_SL_E_clISE_PjSF_SF_EESI_SY_SJ_SK_SL_EUlSY_E1_NS1_11comp_targetILNS1_3genE3ELNS1_11target_archE908ELNS1_3gpuE7ELNS1_3repE0EEENS1_36merge_oddeven_config_static_selectorELNS0_4arch9wavefront6targetE0EEEvSK_,"axG",@progbits,_ZN7rocprim17ROCPRIM_400000_NS6detail17trampoline_kernelINS0_14default_configENS1_38merge_sort_block_merge_config_selectorIjNS0_10empty_typeEEEZZNS1_27merge_sort_block_merge_implIS3_N6thrust23THRUST_200600_302600_NS6detail15normal_iteratorINS9_10device_ptrIjEEEEPS5_m9comp_mod3IjEEE10hipError_tT0_T1_T2_jT3_P12ihipStream_tbPNSt15iterator_traitsISJ_E10value_typeEPNSP_ISK_E10value_typeEPSL_NS1_7vsmem_tEENKUlT_SJ_SK_SL_E_clISE_PjSF_SF_EESI_SY_SJ_SK_SL_EUlSY_E1_NS1_11comp_targetILNS1_3genE3ELNS1_11target_archE908ELNS1_3gpuE7ELNS1_3repE0EEENS1_36merge_oddeven_config_static_selectorELNS0_4arch9wavefront6targetE0EEEvSK_,comdat
	.protected	_ZN7rocprim17ROCPRIM_400000_NS6detail17trampoline_kernelINS0_14default_configENS1_38merge_sort_block_merge_config_selectorIjNS0_10empty_typeEEEZZNS1_27merge_sort_block_merge_implIS3_N6thrust23THRUST_200600_302600_NS6detail15normal_iteratorINS9_10device_ptrIjEEEEPS5_m9comp_mod3IjEEE10hipError_tT0_T1_T2_jT3_P12ihipStream_tbPNSt15iterator_traitsISJ_E10value_typeEPNSP_ISK_E10value_typeEPSL_NS1_7vsmem_tEENKUlT_SJ_SK_SL_E_clISE_PjSF_SF_EESI_SY_SJ_SK_SL_EUlSY_E1_NS1_11comp_targetILNS1_3genE3ELNS1_11target_archE908ELNS1_3gpuE7ELNS1_3repE0EEENS1_36merge_oddeven_config_static_selectorELNS0_4arch9wavefront6targetE0EEEvSK_ ; -- Begin function _ZN7rocprim17ROCPRIM_400000_NS6detail17trampoline_kernelINS0_14default_configENS1_38merge_sort_block_merge_config_selectorIjNS0_10empty_typeEEEZZNS1_27merge_sort_block_merge_implIS3_N6thrust23THRUST_200600_302600_NS6detail15normal_iteratorINS9_10device_ptrIjEEEEPS5_m9comp_mod3IjEEE10hipError_tT0_T1_T2_jT3_P12ihipStream_tbPNSt15iterator_traitsISJ_E10value_typeEPNSP_ISK_E10value_typeEPSL_NS1_7vsmem_tEENKUlT_SJ_SK_SL_E_clISE_PjSF_SF_EESI_SY_SJ_SK_SL_EUlSY_E1_NS1_11comp_targetILNS1_3genE3ELNS1_11target_archE908ELNS1_3gpuE7ELNS1_3repE0EEENS1_36merge_oddeven_config_static_selectorELNS0_4arch9wavefront6targetE0EEEvSK_
	.globl	_ZN7rocprim17ROCPRIM_400000_NS6detail17trampoline_kernelINS0_14default_configENS1_38merge_sort_block_merge_config_selectorIjNS0_10empty_typeEEEZZNS1_27merge_sort_block_merge_implIS3_N6thrust23THRUST_200600_302600_NS6detail15normal_iteratorINS9_10device_ptrIjEEEEPS5_m9comp_mod3IjEEE10hipError_tT0_T1_T2_jT3_P12ihipStream_tbPNSt15iterator_traitsISJ_E10value_typeEPNSP_ISK_E10value_typeEPSL_NS1_7vsmem_tEENKUlT_SJ_SK_SL_E_clISE_PjSF_SF_EESI_SY_SJ_SK_SL_EUlSY_E1_NS1_11comp_targetILNS1_3genE3ELNS1_11target_archE908ELNS1_3gpuE7ELNS1_3repE0EEENS1_36merge_oddeven_config_static_selectorELNS0_4arch9wavefront6targetE0EEEvSK_
	.p2align	8
	.type	_ZN7rocprim17ROCPRIM_400000_NS6detail17trampoline_kernelINS0_14default_configENS1_38merge_sort_block_merge_config_selectorIjNS0_10empty_typeEEEZZNS1_27merge_sort_block_merge_implIS3_N6thrust23THRUST_200600_302600_NS6detail15normal_iteratorINS9_10device_ptrIjEEEEPS5_m9comp_mod3IjEEE10hipError_tT0_T1_T2_jT3_P12ihipStream_tbPNSt15iterator_traitsISJ_E10value_typeEPNSP_ISK_E10value_typeEPSL_NS1_7vsmem_tEENKUlT_SJ_SK_SL_E_clISE_PjSF_SF_EESI_SY_SJ_SK_SL_EUlSY_E1_NS1_11comp_targetILNS1_3genE3ELNS1_11target_archE908ELNS1_3gpuE7ELNS1_3repE0EEENS1_36merge_oddeven_config_static_selectorELNS0_4arch9wavefront6targetE0EEEvSK_,@function
_ZN7rocprim17ROCPRIM_400000_NS6detail17trampoline_kernelINS0_14default_configENS1_38merge_sort_block_merge_config_selectorIjNS0_10empty_typeEEEZZNS1_27merge_sort_block_merge_implIS3_N6thrust23THRUST_200600_302600_NS6detail15normal_iteratorINS9_10device_ptrIjEEEEPS5_m9comp_mod3IjEEE10hipError_tT0_T1_T2_jT3_P12ihipStream_tbPNSt15iterator_traitsISJ_E10value_typeEPNSP_ISK_E10value_typeEPSL_NS1_7vsmem_tEENKUlT_SJ_SK_SL_E_clISE_PjSF_SF_EESI_SY_SJ_SK_SL_EUlSY_E1_NS1_11comp_targetILNS1_3genE3ELNS1_11target_archE908ELNS1_3gpuE7ELNS1_3repE0EEENS1_36merge_oddeven_config_static_selectorELNS0_4arch9wavefront6targetE0EEEvSK_: ; @_ZN7rocprim17ROCPRIM_400000_NS6detail17trampoline_kernelINS0_14default_configENS1_38merge_sort_block_merge_config_selectorIjNS0_10empty_typeEEEZZNS1_27merge_sort_block_merge_implIS3_N6thrust23THRUST_200600_302600_NS6detail15normal_iteratorINS9_10device_ptrIjEEEEPS5_m9comp_mod3IjEEE10hipError_tT0_T1_T2_jT3_P12ihipStream_tbPNSt15iterator_traitsISJ_E10value_typeEPNSP_ISK_E10value_typeEPSL_NS1_7vsmem_tEENKUlT_SJ_SK_SL_E_clISE_PjSF_SF_EESI_SY_SJ_SK_SL_EUlSY_E1_NS1_11comp_targetILNS1_3genE3ELNS1_11target_archE908ELNS1_3gpuE7ELNS1_3repE0EEENS1_36merge_oddeven_config_static_selectorELNS0_4arch9wavefront6targetE0EEEvSK_
; %bb.0:
	.section	.rodata,"a",@progbits
	.p2align	6, 0x0
	.amdhsa_kernel _ZN7rocprim17ROCPRIM_400000_NS6detail17trampoline_kernelINS0_14default_configENS1_38merge_sort_block_merge_config_selectorIjNS0_10empty_typeEEEZZNS1_27merge_sort_block_merge_implIS3_N6thrust23THRUST_200600_302600_NS6detail15normal_iteratorINS9_10device_ptrIjEEEEPS5_m9comp_mod3IjEEE10hipError_tT0_T1_T2_jT3_P12ihipStream_tbPNSt15iterator_traitsISJ_E10value_typeEPNSP_ISK_E10value_typeEPSL_NS1_7vsmem_tEENKUlT_SJ_SK_SL_E_clISE_PjSF_SF_EESI_SY_SJ_SK_SL_EUlSY_E1_NS1_11comp_targetILNS1_3genE3ELNS1_11target_archE908ELNS1_3gpuE7ELNS1_3repE0EEENS1_36merge_oddeven_config_static_selectorELNS0_4arch9wavefront6targetE0EEEvSK_
		.amdhsa_group_segment_fixed_size 0
		.amdhsa_private_segment_fixed_size 0
		.amdhsa_kernarg_size 56
		.amdhsa_user_sgpr_count 6
		.amdhsa_user_sgpr_private_segment_buffer 1
		.amdhsa_user_sgpr_dispatch_ptr 0
		.amdhsa_user_sgpr_queue_ptr 0
		.amdhsa_user_sgpr_kernarg_segment_ptr 1
		.amdhsa_user_sgpr_dispatch_id 0
		.amdhsa_user_sgpr_flat_scratch_init 0
		.amdhsa_user_sgpr_private_segment_size 0
		.amdhsa_wavefront_size32 1
		.amdhsa_uses_dynamic_stack 0
		.amdhsa_system_sgpr_private_segment_wavefront_offset 0
		.amdhsa_system_sgpr_workgroup_id_x 1
		.amdhsa_system_sgpr_workgroup_id_y 0
		.amdhsa_system_sgpr_workgroup_id_z 0
		.amdhsa_system_sgpr_workgroup_info 0
		.amdhsa_system_vgpr_workitem_id 0
		.amdhsa_next_free_vgpr 1
		.amdhsa_next_free_sgpr 1
		.amdhsa_reserve_vcc 0
		.amdhsa_reserve_flat_scratch 0
		.amdhsa_float_round_mode_32 0
		.amdhsa_float_round_mode_16_64 0
		.amdhsa_float_denorm_mode_32 3
		.amdhsa_float_denorm_mode_16_64 3
		.amdhsa_dx10_clamp 1
		.amdhsa_ieee_mode 1
		.amdhsa_fp16_overflow 0
		.amdhsa_workgroup_processor_mode 1
		.amdhsa_memory_ordered 1
		.amdhsa_forward_progress 1
		.amdhsa_shared_vgpr_count 0
		.amdhsa_exception_fp_ieee_invalid_op 0
		.amdhsa_exception_fp_denorm_src 0
		.amdhsa_exception_fp_ieee_div_zero 0
		.amdhsa_exception_fp_ieee_overflow 0
		.amdhsa_exception_fp_ieee_underflow 0
		.amdhsa_exception_fp_ieee_inexact 0
		.amdhsa_exception_int_div_zero 0
	.end_amdhsa_kernel
	.section	.text._ZN7rocprim17ROCPRIM_400000_NS6detail17trampoline_kernelINS0_14default_configENS1_38merge_sort_block_merge_config_selectorIjNS0_10empty_typeEEEZZNS1_27merge_sort_block_merge_implIS3_N6thrust23THRUST_200600_302600_NS6detail15normal_iteratorINS9_10device_ptrIjEEEEPS5_m9comp_mod3IjEEE10hipError_tT0_T1_T2_jT3_P12ihipStream_tbPNSt15iterator_traitsISJ_E10value_typeEPNSP_ISK_E10value_typeEPSL_NS1_7vsmem_tEENKUlT_SJ_SK_SL_E_clISE_PjSF_SF_EESI_SY_SJ_SK_SL_EUlSY_E1_NS1_11comp_targetILNS1_3genE3ELNS1_11target_archE908ELNS1_3gpuE7ELNS1_3repE0EEENS1_36merge_oddeven_config_static_selectorELNS0_4arch9wavefront6targetE0EEEvSK_,"axG",@progbits,_ZN7rocprim17ROCPRIM_400000_NS6detail17trampoline_kernelINS0_14default_configENS1_38merge_sort_block_merge_config_selectorIjNS0_10empty_typeEEEZZNS1_27merge_sort_block_merge_implIS3_N6thrust23THRUST_200600_302600_NS6detail15normal_iteratorINS9_10device_ptrIjEEEEPS5_m9comp_mod3IjEEE10hipError_tT0_T1_T2_jT3_P12ihipStream_tbPNSt15iterator_traitsISJ_E10value_typeEPNSP_ISK_E10value_typeEPSL_NS1_7vsmem_tEENKUlT_SJ_SK_SL_E_clISE_PjSF_SF_EESI_SY_SJ_SK_SL_EUlSY_E1_NS1_11comp_targetILNS1_3genE3ELNS1_11target_archE908ELNS1_3gpuE7ELNS1_3repE0EEENS1_36merge_oddeven_config_static_selectorELNS0_4arch9wavefront6targetE0EEEvSK_,comdat
.Lfunc_end860:
	.size	_ZN7rocprim17ROCPRIM_400000_NS6detail17trampoline_kernelINS0_14default_configENS1_38merge_sort_block_merge_config_selectorIjNS0_10empty_typeEEEZZNS1_27merge_sort_block_merge_implIS3_N6thrust23THRUST_200600_302600_NS6detail15normal_iteratorINS9_10device_ptrIjEEEEPS5_m9comp_mod3IjEEE10hipError_tT0_T1_T2_jT3_P12ihipStream_tbPNSt15iterator_traitsISJ_E10value_typeEPNSP_ISK_E10value_typeEPSL_NS1_7vsmem_tEENKUlT_SJ_SK_SL_E_clISE_PjSF_SF_EESI_SY_SJ_SK_SL_EUlSY_E1_NS1_11comp_targetILNS1_3genE3ELNS1_11target_archE908ELNS1_3gpuE7ELNS1_3repE0EEENS1_36merge_oddeven_config_static_selectorELNS0_4arch9wavefront6targetE0EEEvSK_, .Lfunc_end860-_ZN7rocprim17ROCPRIM_400000_NS6detail17trampoline_kernelINS0_14default_configENS1_38merge_sort_block_merge_config_selectorIjNS0_10empty_typeEEEZZNS1_27merge_sort_block_merge_implIS3_N6thrust23THRUST_200600_302600_NS6detail15normal_iteratorINS9_10device_ptrIjEEEEPS5_m9comp_mod3IjEEE10hipError_tT0_T1_T2_jT3_P12ihipStream_tbPNSt15iterator_traitsISJ_E10value_typeEPNSP_ISK_E10value_typeEPSL_NS1_7vsmem_tEENKUlT_SJ_SK_SL_E_clISE_PjSF_SF_EESI_SY_SJ_SK_SL_EUlSY_E1_NS1_11comp_targetILNS1_3genE3ELNS1_11target_archE908ELNS1_3gpuE7ELNS1_3repE0EEENS1_36merge_oddeven_config_static_selectorELNS0_4arch9wavefront6targetE0EEEvSK_
                                        ; -- End function
	.set _ZN7rocprim17ROCPRIM_400000_NS6detail17trampoline_kernelINS0_14default_configENS1_38merge_sort_block_merge_config_selectorIjNS0_10empty_typeEEEZZNS1_27merge_sort_block_merge_implIS3_N6thrust23THRUST_200600_302600_NS6detail15normal_iteratorINS9_10device_ptrIjEEEEPS5_m9comp_mod3IjEEE10hipError_tT0_T1_T2_jT3_P12ihipStream_tbPNSt15iterator_traitsISJ_E10value_typeEPNSP_ISK_E10value_typeEPSL_NS1_7vsmem_tEENKUlT_SJ_SK_SL_E_clISE_PjSF_SF_EESI_SY_SJ_SK_SL_EUlSY_E1_NS1_11comp_targetILNS1_3genE3ELNS1_11target_archE908ELNS1_3gpuE7ELNS1_3repE0EEENS1_36merge_oddeven_config_static_selectorELNS0_4arch9wavefront6targetE0EEEvSK_.num_vgpr, 0
	.set _ZN7rocprim17ROCPRIM_400000_NS6detail17trampoline_kernelINS0_14default_configENS1_38merge_sort_block_merge_config_selectorIjNS0_10empty_typeEEEZZNS1_27merge_sort_block_merge_implIS3_N6thrust23THRUST_200600_302600_NS6detail15normal_iteratorINS9_10device_ptrIjEEEEPS5_m9comp_mod3IjEEE10hipError_tT0_T1_T2_jT3_P12ihipStream_tbPNSt15iterator_traitsISJ_E10value_typeEPNSP_ISK_E10value_typeEPSL_NS1_7vsmem_tEENKUlT_SJ_SK_SL_E_clISE_PjSF_SF_EESI_SY_SJ_SK_SL_EUlSY_E1_NS1_11comp_targetILNS1_3genE3ELNS1_11target_archE908ELNS1_3gpuE7ELNS1_3repE0EEENS1_36merge_oddeven_config_static_selectorELNS0_4arch9wavefront6targetE0EEEvSK_.num_agpr, 0
	.set _ZN7rocprim17ROCPRIM_400000_NS6detail17trampoline_kernelINS0_14default_configENS1_38merge_sort_block_merge_config_selectorIjNS0_10empty_typeEEEZZNS1_27merge_sort_block_merge_implIS3_N6thrust23THRUST_200600_302600_NS6detail15normal_iteratorINS9_10device_ptrIjEEEEPS5_m9comp_mod3IjEEE10hipError_tT0_T1_T2_jT3_P12ihipStream_tbPNSt15iterator_traitsISJ_E10value_typeEPNSP_ISK_E10value_typeEPSL_NS1_7vsmem_tEENKUlT_SJ_SK_SL_E_clISE_PjSF_SF_EESI_SY_SJ_SK_SL_EUlSY_E1_NS1_11comp_targetILNS1_3genE3ELNS1_11target_archE908ELNS1_3gpuE7ELNS1_3repE0EEENS1_36merge_oddeven_config_static_selectorELNS0_4arch9wavefront6targetE0EEEvSK_.numbered_sgpr, 0
	.set _ZN7rocprim17ROCPRIM_400000_NS6detail17trampoline_kernelINS0_14default_configENS1_38merge_sort_block_merge_config_selectorIjNS0_10empty_typeEEEZZNS1_27merge_sort_block_merge_implIS3_N6thrust23THRUST_200600_302600_NS6detail15normal_iteratorINS9_10device_ptrIjEEEEPS5_m9comp_mod3IjEEE10hipError_tT0_T1_T2_jT3_P12ihipStream_tbPNSt15iterator_traitsISJ_E10value_typeEPNSP_ISK_E10value_typeEPSL_NS1_7vsmem_tEENKUlT_SJ_SK_SL_E_clISE_PjSF_SF_EESI_SY_SJ_SK_SL_EUlSY_E1_NS1_11comp_targetILNS1_3genE3ELNS1_11target_archE908ELNS1_3gpuE7ELNS1_3repE0EEENS1_36merge_oddeven_config_static_selectorELNS0_4arch9wavefront6targetE0EEEvSK_.num_named_barrier, 0
	.set _ZN7rocprim17ROCPRIM_400000_NS6detail17trampoline_kernelINS0_14default_configENS1_38merge_sort_block_merge_config_selectorIjNS0_10empty_typeEEEZZNS1_27merge_sort_block_merge_implIS3_N6thrust23THRUST_200600_302600_NS6detail15normal_iteratorINS9_10device_ptrIjEEEEPS5_m9comp_mod3IjEEE10hipError_tT0_T1_T2_jT3_P12ihipStream_tbPNSt15iterator_traitsISJ_E10value_typeEPNSP_ISK_E10value_typeEPSL_NS1_7vsmem_tEENKUlT_SJ_SK_SL_E_clISE_PjSF_SF_EESI_SY_SJ_SK_SL_EUlSY_E1_NS1_11comp_targetILNS1_3genE3ELNS1_11target_archE908ELNS1_3gpuE7ELNS1_3repE0EEENS1_36merge_oddeven_config_static_selectorELNS0_4arch9wavefront6targetE0EEEvSK_.private_seg_size, 0
	.set _ZN7rocprim17ROCPRIM_400000_NS6detail17trampoline_kernelINS0_14default_configENS1_38merge_sort_block_merge_config_selectorIjNS0_10empty_typeEEEZZNS1_27merge_sort_block_merge_implIS3_N6thrust23THRUST_200600_302600_NS6detail15normal_iteratorINS9_10device_ptrIjEEEEPS5_m9comp_mod3IjEEE10hipError_tT0_T1_T2_jT3_P12ihipStream_tbPNSt15iterator_traitsISJ_E10value_typeEPNSP_ISK_E10value_typeEPSL_NS1_7vsmem_tEENKUlT_SJ_SK_SL_E_clISE_PjSF_SF_EESI_SY_SJ_SK_SL_EUlSY_E1_NS1_11comp_targetILNS1_3genE3ELNS1_11target_archE908ELNS1_3gpuE7ELNS1_3repE0EEENS1_36merge_oddeven_config_static_selectorELNS0_4arch9wavefront6targetE0EEEvSK_.uses_vcc, 0
	.set _ZN7rocprim17ROCPRIM_400000_NS6detail17trampoline_kernelINS0_14default_configENS1_38merge_sort_block_merge_config_selectorIjNS0_10empty_typeEEEZZNS1_27merge_sort_block_merge_implIS3_N6thrust23THRUST_200600_302600_NS6detail15normal_iteratorINS9_10device_ptrIjEEEEPS5_m9comp_mod3IjEEE10hipError_tT0_T1_T2_jT3_P12ihipStream_tbPNSt15iterator_traitsISJ_E10value_typeEPNSP_ISK_E10value_typeEPSL_NS1_7vsmem_tEENKUlT_SJ_SK_SL_E_clISE_PjSF_SF_EESI_SY_SJ_SK_SL_EUlSY_E1_NS1_11comp_targetILNS1_3genE3ELNS1_11target_archE908ELNS1_3gpuE7ELNS1_3repE0EEENS1_36merge_oddeven_config_static_selectorELNS0_4arch9wavefront6targetE0EEEvSK_.uses_flat_scratch, 0
	.set _ZN7rocprim17ROCPRIM_400000_NS6detail17trampoline_kernelINS0_14default_configENS1_38merge_sort_block_merge_config_selectorIjNS0_10empty_typeEEEZZNS1_27merge_sort_block_merge_implIS3_N6thrust23THRUST_200600_302600_NS6detail15normal_iteratorINS9_10device_ptrIjEEEEPS5_m9comp_mod3IjEEE10hipError_tT0_T1_T2_jT3_P12ihipStream_tbPNSt15iterator_traitsISJ_E10value_typeEPNSP_ISK_E10value_typeEPSL_NS1_7vsmem_tEENKUlT_SJ_SK_SL_E_clISE_PjSF_SF_EESI_SY_SJ_SK_SL_EUlSY_E1_NS1_11comp_targetILNS1_3genE3ELNS1_11target_archE908ELNS1_3gpuE7ELNS1_3repE0EEENS1_36merge_oddeven_config_static_selectorELNS0_4arch9wavefront6targetE0EEEvSK_.has_dyn_sized_stack, 0
	.set _ZN7rocprim17ROCPRIM_400000_NS6detail17trampoline_kernelINS0_14default_configENS1_38merge_sort_block_merge_config_selectorIjNS0_10empty_typeEEEZZNS1_27merge_sort_block_merge_implIS3_N6thrust23THRUST_200600_302600_NS6detail15normal_iteratorINS9_10device_ptrIjEEEEPS5_m9comp_mod3IjEEE10hipError_tT0_T1_T2_jT3_P12ihipStream_tbPNSt15iterator_traitsISJ_E10value_typeEPNSP_ISK_E10value_typeEPSL_NS1_7vsmem_tEENKUlT_SJ_SK_SL_E_clISE_PjSF_SF_EESI_SY_SJ_SK_SL_EUlSY_E1_NS1_11comp_targetILNS1_3genE3ELNS1_11target_archE908ELNS1_3gpuE7ELNS1_3repE0EEENS1_36merge_oddeven_config_static_selectorELNS0_4arch9wavefront6targetE0EEEvSK_.has_recursion, 0
	.set _ZN7rocprim17ROCPRIM_400000_NS6detail17trampoline_kernelINS0_14default_configENS1_38merge_sort_block_merge_config_selectorIjNS0_10empty_typeEEEZZNS1_27merge_sort_block_merge_implIS3_N6thrust23THRUST_200600_302600_NS6detail15normal_iteratorINS9_10device_ptrIjEEEEPS5_m9comp_mod3IjEEE10hipError_tT0_T1_T2_jT3_P12ihipStream_tbPNSt15iterator_traitsISJ_E10value_typeEPNSP_ISK_E10value_typeEPSL_NS1_7vsmem_tEENKUlT_SJ_SK_SL_E_clISE_PjSF_SF_EESI_SY_SJ_SK_SL_EUlSY_E1_NS1_11comp_targetILNS1_3genE3ELNS1_11target_archE908ELNS1_3gpuE7ELNS1_3repE0EEENS1_36merge_oddeven_config_static_selectorELNS0_4arch9wavefront6targetE0EEEvSK_.has_indirect_call, 0
	.section	.AMDGPU.csdata,"",@progbits
; Kernel info:
; codeLenInByte = 0
; TotalNumSgprs: 0
; NumVgprs: 0
; ScratchSize: 0
; MemoryBound: 0
; FloatMode: 240
; IeeeMode: 1
; LDSByteSize: 0 bytes/workgroup (compile time only)
; SGPRBlocks: 0
; VGPRBlocks: 0
; NumSGPRsForWavesPerEU: 1
; NumVGPRsForWavesPerEU: 1
; Occupancy: 16
; WaveLimiterHint : 0
; COMPUTE_PGM_RSRC2:SCRATCH_EN: 0
; COMPUTE_PGM_RSRC2:USER_SGPR: 6
; COMPUTE_PGM_RSRC2:TRAP_HANDLER: 0
; COMPUTE_PGM_RSRC2:TGID_X_EN: 1
; COMPUTE_PGM_RSRC2:TGID_Y_EN: 0
; COMPUTE_PGM_RSRC2:TGID_Z_EN: 0
; COMPUTE_PGM_RSRC2:TIDIG_COMP_CNT: 0
	.section	.text._ZN7rocprim17ROCPRIM_400000_NS6detail17trampoline_kernelINS0_14default_configENS1_38merge_sort_block_merge_config_selectorIjNS0_10empty_typeEEEZZNS1_27merge_sort_block_merge_implIS3_N6thrust23THRUST_200600_302600_NS6detail15normal_iteratorINS9_10device_ptrIjEEEEPS5_m9comp_mod3IjEEE10hipError_tT0_T1_T2_jT3_P12ihipStream_tbPNSt15iterator_traitsISJ_E10value_typeEPNSP_ISK_E10value_typeEPSL_NS1_7vsmem_tEENKUlT_SJ_SK_SL_E_clISE_PjSF_SF_EESI_SY_SJ_SK_SL_EUlSY_E1_NS1_11comp_targetILNS1_3genE2ELNS1_11target_archE906ELNS1_3gpuE6ELNS1_3repE0EEENS1_36merge_oddeven_config_static_selectorELNS0_4arch9wavefront6targetE0EEEvSK_,"axG",@progbits,_ZN7rocprim17ROCPRIM_400000_NS6detail17trampoline_kernelINS0_14default_configENS1_38merge_sort_block_merge_config_selectorIjNS0_10empty_typeEEEZZNS1_27merge_sort_block_merge_implIS3_N6thrust23THRUST_200600_302600_NS6detail15normal_iteratorINS9_10device_ptrIjEEEEPS5_m9comp_mod3IjEEE10hipError_tT0_T1_T2_jT3_P12ihipStream_tbPNSt15iterator_traitsISJ_E10value_typeEPNSP_ISK_E10value_typeEPSL_NS1_7vsmem_tEENKUlT_SJ_SK_SL_E_clISE_PjSF_SF_EESI_SY_SJ_SK_SL_EUlSY_E1_NS1_11comp_targetILNS1_3genE2ELNS1_11target_archE906ELNS1_3gpuE6ELNS1_3repE0EEENS1_36merge_oddeven_config_static_selectorELNS0_4arch9wavefront6targetE0EEEvSK_,comdat
	.protected	_ZN7rocprim17ROCPRIM_400000_NS6detail17trampoline_kernelINS0_14default_configENS1_38merge_sort_block_merge_config_selectorIjNS0_10empty_typeEEEZZNS1_27merge_sort_block_merge_implIS3_N6thrust23THRUST_200600_302600_NS6detail15normal_iteratorINS9_10device_ptrIjEEEEPS5_m9comp_mod3IjEEE10hipError_tT0_T1_T2_jT3_P12ihipStream_tbPNSt15iterator_traitsISJ_E10value_typeEPNSP_ISK_E10value_typeEPSL_NS1_7vsmem_tEENKUlT_SJ_SK_SL_E_clISE_PjSF_SF_EESI_SY_SJ_SK_SL_EUlSY_E1_NS1_11comp_targetILNS1_3genE2ELNS1_11target_archE906ELNS1_3gpuE6ELNS1_3repE0EEENS1_36merge_oddeven_config_static_selectorELNS0_4arch9wavefront6targetE0EEEvSK_ ; -- Begin function _ZN7rocprim17ROCPRIM_400000_NS6detail17trampoline_kernelINS0_14default_configENS1_38merge_sort_block_merge_config_selectorIjNS0_10empty_typeEEEZZNS1_27merge_sort_block_merge_implIS3_N6thrust23THRUST_200600_302600_NS6detail15normal_iteratorINS9_10device_ptrIjEEEEPS5_m9comp_mod3IjEEE10hipError_tT0_T1_T2_jT3_P12ihipStream_tbPNSt15iterator_traitsISJ_E10value_typeEPNSP_ISK_E10value_typeEPSL_NS1_7vsmem_tEENKUlT_SJ_SK_SL_E_clISE_PjSF_SF_EESI_SY_SJ_SK_SL_EUlSY_E1_NS1_11comp_targetILNS1_3genE2ELNS1_11target_archE906ELNS1_3gpuE6ELNS1_3repE0EEENS1_36merge_oddeven_config_static_selectorELNS0_4arch9wavefront6targetE0EEEvSK_
	.globl	_ZN7rocprim17ROCPRIM_400000_NS6detail17trampoline_kernelINS0_14default_configENS1_38merge_sort_block_merge_config_selectorIjNS0_10empty_typeEEEZZNS1_27merge_sort_block_merge_implIS3_N6thrust23THRUST_200600_302600_NS6detail15normal_iteratorINS9_10device_ptrIjEEEEPS5_m9comp_mod3IjEEE10hipError_tT0_T1_T2_jT3_P12ihipStream_tbPNSt15iterator_traitsISJ_E10value_typeEPNSP_ISK_E10value_typeEPSL_NS1_7vsmem_tEENKUlT_SJ_SK_SL_E_clISE_PjSF_SF_EESI_SY_SJ_SK_SL_EUlSY_E1_NS1_11comp_targetILNS1_3genE2ELNS1_11target_archE906ELNS1_3gpuE6ELNS1_3repE0EEENS1_36merge_oddeven_config_static_selectorELNS0_4arch9wavefront6targetE0EEEvSK_
	.p2align	8
	.type	_ZN7rocprim17ROCPRIM_400000_NS6detail17trampoline_kernelINS0_14default_configENS1_38merge_sort_block_merge_config_selectorIjNS0_10empty_typeEEEZZNS1_27merge_sort_block_merge_implIS3_N6thrust23THRUST_200600_302600_NS6detail15normal_iteratorINS9_10device_ptrIjEEEEPS5_m9comp_mod3IjEEE10hipError_tT0_T1_T2_jT3_P12ihipStream_tbPNSt15iterator_traitsISJ_E10value_typeEPNSP_ISK_E10value_typeEPSL_NS1_7vsmem_tEENKUlT_SJ_SK_SL_E_clISE_PjSF_SF_EESI_SY_SJ_SK_SL_EUlSY_E1_NS1_11comp_targetILNS1_3genE2ELNS1_11target_archE906ELNS1_3gpuE6ELNS1_3repE0EEENS1_36merge_oddeven_config_static_selectorELNS0_4arch9wavefront6targetE0EEEvSK_,@function
_ZN7rocprim17ROCPRIM_400000_NS6detail17trampoline_kernelINS0_14default_configENS1_38merge_sort_block_merge_config_selectorIjNS0_10empty_typeEEEZZNS1_27merge_sort_block_merge_implIS3_N6thrust23THRUST_200600_302600_NS6detail15normal_iteratorINS9_10device_ptrIjEEEEPS5_m9comp_mod3IjEEE10hipError_tT0_T1_T2_jT3_P12ihipStream_tbPNSt15iterator_traitsISJ_E10value_typeEPNSP_ISK_E10value_typeEPSL_NS1_7vsmem_tEENKUlT_SJ_SK_SL_E_clISE_PjSF_SF_EESI_SY_SJ_SK_SL_EUlSY_E1_NS1_11comp_targetILNS1_3genE2ELNS1_11target_archE906ELNS1_3gpuE6ELNS1_3repE0EEENS1_36merge_oddeven_config_static_selectorELNS0_4arch9wavefront6targetE0EEEvSK_: ; @_ZN7rocprim17ROCPRIM_400000_NS6detail17trampoline_kernelINS0_14default_configENS1_38merge_sort_block_merge_config_selectorIjNS0_10empty_typeEEEZZNS1_27merge_sort_block_merge_implIS3_N6thrust23THRUST_200600_302600_NS6detail15normal_iteratorINS9_10device_ptrIjEEEEPS5_m9comp_mod3IjEEE10hipError_tT0_T1_T2_jT3_P12ihipStream_tbPNSt15iterator_traitsISJ_E10value_typeEPNSP_ISK_E10value_typeEPSL_NS1_7vsmem_tEENKUlT_SJ_SK_SL_E_clISE_PjSF_SF_EESI_SY_SJ_SK_SL_EUlSY_E1_NS1_11comp_targetILNS1_3genE2ELNS1_11target_archE906ELNS1_3gpuE6ELNS1_3repE0EEENS1_36merge_oddeven_config_static_selectorELNS0_4arch9wavefront6targetE0EEEvSK_
; %bb.0:
	.section	.rodata,"a",@progbits
	.p2align	6, 0x0
	.amdhsa_kernel _ZN7rocprim17ROCPRIM_400000_NS6detail17trampoline_kernelINS0_14default_configENS1_38merge_sort_block_merge_config_selectorIjNS0_10empty_typeEEEZZNS1_27merge_sort_block_merge_implIS3_N6thrust23THRUST_200600_302600_NS6detail15normal_iteratorINS9_10device_ptrIjEEEEPS5_m9comp_mod3IjEEE10hipError_tT0_T1_T2_jT3_P12ihipStream_tbPNSt15iterator_traitsISJ_E10value_typeEPNSP_ISK_E10value_typeEPSL_NS1_7vsmem_tEENKUlT_SJ_SK_SL_E_clISE_PjSF_SF_EESI_SY_SJ_SK_SL_EUlSY_E1_NS1_11comp_targetILNS1_3genE2ELNS1_11target_archE906ELNS1_3gpuE6ELNS1_3repE0EEENS1_36merge_oddeven_config_static_selectorELNS0_4arch9wavefront6targetE0EEEvSK_
		.amdhsa_group_segment_fixed_size 0
		.amdhsa_private_segment_fixed_size 0
		.amdhsa_kernarg_size 56
		.amdhsa_user_sgpr_count 6
		.amdhsa_user_sgpr_private_segment_buffer 1
		.amdhsa_user_sgpr_dispatch_ptr 0
		.amdhsa_user_sgpr_queue_ptr 0
		.amdhsa_user_sgpr_kernarg_segment_ptr 1
		.amdhsa_user_sgpr_dispatch_id 0
		.amdhsa_user_sgpr_flat_scratch_init 0
		.amdhsa_user_sgpr_private_segment_size 0
		.amdhsa_wavefront_size32 1
		.amdhsa_uses_dynamic_stack 0
		.amdhsa_system_sgpr_private_segment_wavefront_offset 0
		.amdhsa_system_sgpr_workgroup_id_x 1
		.amdhsa_system_sgpr_workgroup_id_y 0
		.amdhsa_system_sgpr_workgroup_id_z 0
		.amdhsa_system_sgpr_workgroup_info 0
		.amdhsa_system_vgpr_workitem_id 0
		.amdhsa_next_free_vgpr 1
		.amdhsa_next_free_sgpr 1
		.amdhsa_reserve_vcc 0
		.amdhsa_reserve_flat_scratch 0
		.amdhsa_float_round_mode_32 0
		.amdhsa_float_round_mode_16_64 0
		.amdhsa_float_denorm_mode_32 3
		.amdhsa_float_denorm_mode_16_64 3
		.amdhsa_dx10_clamp 1
		.amdhsa_ieee_mode 1
		.amdhsa_fp16_overflow 0
		.amdhsa_workgroup_processor_mode 1
		.amdhsa_memory_ordered 1
		.amdhsa_forward_progress 1
		.amdhsa_shared_vgpr_count 0
		.amdhsa_exception_fp_ieee_invalid_op 0
		.amdhsa_exception_fp_denorm_src 0
		.amdhsa_exception_fp_ieee_div_zero 0
		.amdhsa_exception_fp_ieee_overflow 0
		.amdhsa_exception_fp_ieee_underflow 0
		.amdhsa_exception_fp_ieee_inexact 0
		.amdhsa_exception_int_div_zero 0
	.end_amdhsa_kernel
	.section	.text._ZN7rocprim17ROCPRIM_400000_NS6detail17trampoline_kernelINS0_14default_configENS1_38merge_sort_block_merge_config_selectorIjNS0_10empty_typeEEEZZNS1_27merge_sort_block_merge_implIS3_N6thrust23THRUST_200600_302600_NS6detail15normal_iteratorINS9_10device_ptrIjEEEEPS5_m9comp_mod3IjEEE10hipError_tT0_T1_T2_jT3_P12ihipStream_tbPNSt15iterator_traitsISJ_E10value_typeEPNSP_ISK_E10value_typeEPSL_NS1_7vsmem_tEENKUlT_SJ_SK_SL_E_clISE_PjSF_SF_EESI_SY_SJ_SK_SL_EUlSY_E1_NS1_11comp_targetILNS1_3genE2ELNS1_11target_archE906ELNS1_3gpuE6ELNS1_3repE0EEENS1_36merge_oddeven_config_static_selectorELNS0_4arch9wavefront6targetE0EEEvSK_,"axG",@progbits,_ZN7rocprim17ROCPRIM_400000_NS6detail17trampoline_kernelINS0_14default_configENS1_38merge_sort_block_merge_config_selectorIjNS0_10empty_typeEEEZZNS1_27merge_sort_block_merge_implIS3_N6thrust23THRUST_200600_302600_NS6detail15normal_iteratorINS9_10device_ptrIjEEEEPS5_m9comp_mod3IjEEE10hipError_tT0_T1_T2_jT3_P12ihipStream_tbPNSt15iterator_traitsISJ_E10value_typeEPNSP_ISK_E10value_typeEPSL_NS1_7vsmem_tEENKUlT_SJ_SK_SL_E_clISE_PjSF_SF_EESI_SY_SJ_SK_SL_EUlSY_E1_NS1_11comp_targetILNS1_3genE2ELNS1_11target_archE906ELNS1_3gpuE6ELNS1_3repE0EEENS1_36merge_oddeven_config_static_selectorELNS0_4arch9wavefront6targetE0EEEvSK_,comdat
.Lfunc_end861:
	.size	_ZN7rocprim17ROCPRIM_400000_NS6detail17trampoline_kernelINS0_14default_configENS1_38merge_sort_block_merge_config_selectorIjNS0_10empty_typeEEEZZNS1_27merge_sort_block_merge_implIS3_N6thrust23THRUST_200600_302600_NS6detail15normal_iteratorINS9_10device_ptrIjEEEEPS5_m9comp_mod3IjEEE10hipError_tT0_T1_T2_jT3_P12ihipStream_tbPNSt15iterator_traitsISJ_E10value_typeEPNSP_ISK_E10value_typeEPSL_NS1_7vsmem_tEENKUlT_SJ_SK_SL_E_clISE_PjSF_SF_EESI_SY_SJ_SK_SL_EUlSY_E1_NS1_11comp_targetILNS1_3genE2ELNS1_11target_archE906ELNS1_3gpuE6ELNS1_3repE0EEENS1_36merge_oddeven_config_static_selectorELNS0_4arch9wavefront6targetE0EEEvSK_, .Lfunc_end861-_ZN7rocprim17ROCPRIM_400000_NS6detail17trampoline_kernelINS0_14default_configENS1_38merge_sort_block_merge_config_selectorIjNS0_10empty_typeEEEZZNS1_27merge_sort_block_merge_implIS3_N6thrust23THRUST_200600_302600_NS6detail15normal_iteratorINS9_10device_ptrIjEEEEPS5_m9comp_mod3IjEEE10hipError_tT0_T1_T2_jT3_P12ihipStream_tbPNSt15iterator_traitsISJ_E10value_typeEPNSP_ISK_E10value_typeEPSL_NS1_7vsmem_tEENKUlT_SJ_SK_SL_E_clISE_PjSF_SF_EESI_SY_SJ_SK_SL_EUlSY_E1_NS1_11comp_targetILNS1_3genE2ELNS1_11target_archE906ELNS1_3gpuE6ELNS1_3repE0EEENS1_36merge_oddeven_config_static_selectorELNS0_4arch9wavefront6targetE0EEEvSK_
                                        ; -- End function
	.set _ZN7rocprim17ROCPRIM_400000_NS6detail17trampoline_kernelINS0_14default_configENS1_38merge_sort_block_merge_config_selectorIjNS0_10empty_typeEEEZZNS1_27merge_sort_block_merge_implIS3_N6thrust23THRUST_200600_302600_NS6detail15normal_iteratorINS9_10device_ptrIjEEEEPS5_m9comp_mod3IjEEE10hipError_tT0_T1_T2_jT3_P12ihipStream_tbPNSt15iterator_traitsISJ_E10value_typeEPNSP_ISK_E10value_typeEPSL_NS1_7vsmem_tEENKUlT_SJ_SK_SL_E_clISE_PjSF_SF_EESI_SY_SJ_SK_SL_EUlSY_E1_NS1_11comp_targetILNS1_3genE2ELNS1_11target_archE906ELNS1_3gpuE6ELNS1_3repE0EEENS1_36merge_oddeven_config_static_selectorELNS0_4arch9wavefront6targetE0EEEvSK_.num_vgpr, 0
	.set _ZN7rocprim17ROCPRIM_400000_NS6detail17trampoline_kernelINS0_14default_configENS1_38merge_sort_block_merge_config_selectorIjNS0_10empty_typeEEEZZNS1_27merge_sort_block_merge_implIS3_N6thrust23THRUST_200600_302600_NS6detail15normal_iteratorINS9_10device_ptrIjEEEEPS5_m9comp_mod3IjEEE10hipError_tT0_T1_T2_jT3_P12ihipStream_tbPNSt15iterator_traitsISJ_E10value_typeEPNSP_ISK_E10value_typeEPSL_NS1_7vsmem_tEENKUlT_SJ_SK_SL_E_clISE_PjSF_SF_EESI_SY_SJ_SK_SL_EUlSY_E1_NS1_11comp_targetILNS1_3genE2ELNS1_11target_archE906ELNS1_3gpuE6ELNS1_3repE0EEENS1_36merge_oddeven_config_static_selectorELNS0_4arch9wavefront6targetE0EEEvSK_.num_agpr, 0
	.set _ZN7rocprim17ROCPRIM_400000_NS6detail17trampoline_kernelINS0_14default_configENS1_38merge_sort_block_merge_config_selectorIjNS0_10empty_typeEEEZZNS1_27merge_sort_block_merge_implIS3_N6thrust23THRUST_200600_302600_NS6detail15normal_iteratorINS9_10device_ptrIjEEEEPS5_m9comp_mod3IjEEE10hipError_tT0_T1_T2_jT3_P12ihipStream_tbPNSt15iterator_traitsISJ_E10value_typeEPNSP_ISK_E10value_typeEPSL_NS1_7vsmem_tEENKUlT_SJ_SK_SL_E_clISE_PjSF_SF_EESI_SY_SJ_SK_SL_EUlSY_E1_NS1_11comp_targetILNS1_3genE2ELNS1_11target_archE906ELNS1_3gpuE6ELNS1_3repE0EEENS1_36merge_oddeven_config_static_selectorELNS0_4arch9wavefront6targetE0EEEvSK_.numbered_sgpr, 0
	.set _ZN7rocprim17ROCPRIM_400000_NS6detail17trampoline_kernelINS0_14default_configENS1_38merge_sort_block_merge_config_selectorIjNS0_10empty_typeEEEZZNS1_27merge_sort_block_merge_implIS3_N6thrust23THRUST_200600_302600_NS6detail15normal_iteratorINS9_10device_ptrIjEEEEPS5_m9comp_mod3IjEEE10hipError_tT0_T1_T2_jT3_P12ihipStream_tbPNSt15iterator_traitsISJ_E10value_typeEPNSP_ISK_E10value_typeEPSL_NS1_7vsmem_tEENKUlT_SJ_SK_SL_E_clISE_PjSF_SF_EESI_SY_SJ_SK_SL_EUlSY_E1_NS1_11comp_targetILNS1_3genE2ELNS1_11target_archE906ELNS1_3gpuE6ELNS1_3repE0EEENS1_36merge_oddeven_config_static_selectorELNS0_4arch9wavefront6targetE0EEEvSK_.num_named_barrier, 0
	.set _ZN7rocprim17ROCPRIM_400000_NS6detail17trampoline_kernelINS0_14default_configENS1_38merge_sort_block_merge_config_selectorIjNS0_10empty_typeEEEZZNS1_27merge_sort_block_merge_implIS3_N6thrust23THRUST_200600_302600_NS6detail15normal_iteratorINS9_10device_ptrIjEEEEPS5_m9comp_mod3IjEEE10hipError_tT0_T1_T2_jT3_P12ihipStream_tbPNSt15iterator_traitsISJ_E10value_typeEPNSP_ISK_E10value_typeEPSL_NS1_7vsmem_tEENKUlT_SJ_SK_SL_E_clISE_PjSF_SF_EESI_SY_SJ_SK_SL_EUlSY_E1_NS1_11comp_targetILNS1_3genE2ELNS1_11target_archE906ELNS1_3gpuE6ELNS1_3repE0EEENS1_36merge_oddeven_config_static_selectorELNS0_4arch9wavefront6targetE0EEEvSK_.private_seg_size, 0
	.set _ZN7rocprim17ROCPRIM_400000_NS6detail17trampoline_kernelINS0_14default_configENS1_38merge_sort_block_merge_config_selectorIjNS0_10empty_typeEEEZZNS1_27merge_sort_block_merge_implIS3_N6thrust23THRUST_200600_302600_NS6detail15normal_iteratorINS9_10device_ptrIjEEEEPS5_m9comp_mod3IjEEE10hipError_tT0_T1_T2_jT3_P12ihipStream_tbPNSt15iterator_traitsISJ_E10value_typeEPNSP_ISK_E10value_typeEPSL_NS1_7vsmem_tEENKUlT_SJ_SK_SL_E_clISE_PjSF_SF_EESI_SY_SJ_SK_SL_EUlSY_E1_NS1_11comp_targetILNS1_3genE2ELNS1_11target_archE906ELNS1_3gpuE6ELNS1_3repE0EEENS1_36merge_oddeven_config_static_selectorELNS0_4arch9wavefront6targetE0EEEvSK_.uses_vcc, 0
	.set _ZN7rocprim17ROCPRIM_400000_NS6detail17trampoline_kernelINS0_14default_configENS1_38merge_sort_block_merge_config_selectorIjNS0_10empty_typeEEEZZNS1_27merge_sort_block_merge_implIS3_N6thrust23THRUST_200600_302600_NS6detail15normal_iteratorINS9_10device_ptrIjEEEEPS5_m9comp_mod3IjEEE10hipError_tT0_T1_T2_jT3_P12ihipStream_tbPNSt15iterator_traitsISJ_E10value_typeEPNSP_ISK_E10value_typeEPSL_NS1_7vsmem_tEENKUlT_SJ_SK_SL_E_clISE_PjSF_SF_EESI_SY_SJ_SK_SL_EUlSY_E1_NS1_11comp_targetILNS1_3genE2ELNS1_11target_archE906ELNS1_3gpuE6ELNS1_3repE0EEENS1_36merge_oddeven_config_static_selectorELNS0_4arch9wavefront6targetE0EEEvSK_.uses_flat_scratch, 0
	.set _ZN7rocprim17ROCPRIM_400000_NS6detail17trampoline_kernelINS0_14default_configENS1_38merge_sort_block_merge_config_selectorIjNS0_10empty_typeEEEZZNS1_27merge_sort_block_merge_implIS3_N6thrust23THRUST_200600_302600_NS6detail15normal_iteratorINS9_10device_ptrIjEEEEPS5_m9comp_mod3IjEEE10hipError_tT0_T1_T2_jT3_P12ihipStream_tbPNSt15iterator_traitsISJ_E10value_typeEPNSP_ISK_E10value_typeEPSL_NS1_7vsmem_tEENKUlT_SJ_SK_SL_E_clISE_PjSF_SF_EESI_SY_SJ_SK_SL_EUlSY_E1_NS1_11comp_targetILNS1_3genE2ELNS1_11target_archE906ELNS1_3gpuE6ELNS1_3repE0EEENS1_36merge_oddeven_config_static_selectorELNS0_4arch9wavefront6targetE0EEEvSK_.has_dyn_sized_stack, 0
	.set _ZN7rocprim17ROCPRIM_400000_NS6detail17trampoline_kernelINS0_14default_configENS1_38merge_sort_block_merge_config_selectorIjNS0_10empty_typeEEEZZNS1_27merge_sort_block_merge_implIS3_N6thrust23THRUST_200600_302600_NS6detail15normal_iteratorINS9_10device_ptrIjEEEEPS5_m9comp_mod3IjEEE10hipError_tT0_T1_T2_jT3_P12ihipStream_tbPNSt15iterator_traitsISJ_E10value_typeEPNSP_ISK_E10value_typeEPSL_NS1_7vsmem_tEENKUlT_SJ_SK_SL_E_clISE_PjSF_SF_EESI_SY_SJ_SK_SL_EUlSY_E1_NS1_11comp_targetILNS1_3genE2ELNS1_11target_archE906ELNS1_3gpuE6ELNS1_3repE0EEENS1_36merge_oddeven_config_static_selectorELNS0_4arch9wavefront6targetE0EEEvSK_.has_recursion, 0
	.set _ZN7rocprim17ROCPRIM_400000_NS6detail17trampoline_kernelINS0_14default_configENS1_38merge_sort_block_merge_config_selectorIjNS0_10empty_typeEEEZZNS1_27merge_sort_block_merge_implIS3_N6thrust23THRUST_200600_302600_NS6detail15normal_iteratorINS9_10device_ptrIjEEEEPS5_m9comp_mod3IjEEE10hipError_tT0_T1_T2_jT3_P12ihipStream_tbPNSt15iterator_traitsISJ_E10value_typeEPNSP_ISK_E10value_typeEPSL_NS1_7vsmem_tEENKUlT_SJ_SK_SL_E_clISE_PjSF_SF_EESI_SY_SJ_SK_SL_EUlSY_E1_NS1_11comp_targetILNS1_3genE2ELNS1_11target_archE906ELNS1_3gpuE6ELNS1_3repE0EEENS1_36merge_oddeven_config_static_selectorELNS0_4arch9wavefront6targetE0EEEvSK_.has_indirect_call, 0
	.section	.AMDGPU.csdata,"",@progbits
; Kernel info:
; codeLenInByte = 0
; TotalNumSgprs: 0
; NumVgprs: 0
; ScratchSize: 0
; MemoryBound: 0
; FloatMode: 240
; IeeeMode: 1
; LDSByteSize: 0 bytes/workgroup (compile time only)
; SGPRBlocks: 0
; VGPRBlocks: 0
; NumSGPRsForWavesPerEU: 1
; NumVGPRsForWavesPerEU: 1
; Occupancy: 16
; WaveLimiterHint : 0
; COMPUTE_PGM_RSRC2:SCRATCH_EN: 0
; COMPUTE_PGM_RSRC2:USER_SGPR: 6
; COMPUTE_PGM_RSRC2:TRAP_HANDLER: 0
; COMPUTE_PGM_RSRC2:TGID_X_EN: 1
; COMPUTE_PGM_RSRC2:TGID_Y_EN: 0
; COMPUTE_PGM_RSRC2:TGID_Z_EN: 0
; COMPUTE_PGM_RSRC2:TIDIG_COMP_CNT: 0
	.section	.text._ZN7rocprim17ROCPRIM_400000_NS6detail17trampoline_kernelINS0_14default_configENS1_38merge_sort_block_merge_config_selectorIjNS0_10empty_typeEEEZZNS1_27merge_sort_block_merge_implIS3_N6thrust23THRUST_200600_302600_NS6detail15normal_iteratorINS9_10device_ptrIjEEEEPS5_m9comp_mod3IjEEE10hipError_tT0_T1_T2_jT3_P12ihipStream_tbPNSt15iterator_traitsISJ_E10value_typeEPNSP_ISK_E10value_typeEPSL_NS1_7vsmem_tEENKUlT_SJ_SK_SL_E_clISE_PjSF_SF_EESI_SY_SJ_SK_SL_EUlSY_E1_NS1_11comp_targetILNS1_3genE9ELNS1_11target_archE1100ELNS1_3gpuE3ELNS1_3repE0EEENS1_36merge_oddeven_config_static_selectorELNS0_4arch9wavefront6targetE0EEEvSK_,"axG",@progbits,_ZN7rocprim17ROCPRIM_400000_NS6detail17trampoline_kernelINS0_14default_configENS1_38merge_sort_block_merge_config_selectorIjNS0_10empty_typeEEEZZNS1_27merge_sort_block_merge_implIS3_N6thrust23THRUST_200600_302600_NS6detail15normal_iteratorINS9_10device_ptrIjEEEEPS5_m9comp_mod3IjEEE10hipError_tT0_T1_T2_jT3_P12ihipStream_tbPNSt15iterator_traitsISJ_E10value_typeEPNSP_ISK_E10value_typeEPSL_NS1_7vsmem_tEENKUlT_SJ_SK_SL_E_clISE_PjSF_SF_EESI_SY_SJ_SK_SL_EUlSY_E1_NS1_11comp_targetILNS1_3genE9ELNS1_11target_archE1100ELNS1_3gpuE3ELNS1_3repE0EEENS1_36merge_oddeven_config_static_selectorELNS0_4arch9wavefront6targetE0EEEvSK_,comdat
	.protected	_ZN7rocprim17ROCPRIM_400000_NS6detail17trampoline_kernelINS0_14default_configENS1_38merge_sort_block_merge_config_selectorIjNS0_10empty_typeEEEZZNS1_27merge_sort_block_merge_implIS3_N6thrust23THRUST_200600_302600_NS6detail15normal_iteratorINS9_10device_ptrIjEEEEPS5_m9comp_mod3IjEEE10hipError_tT0_T1_T2_jT3_P12ihipStream_tbPNSt15iterator_traitsISJ_E10value_typeEPNSP_ISK_E10value_typeEPSL_NS1_7vsmem_tEENKUlT_SJ_SK_SL_E_clISE_PjSF_SF_EESI_SY_SJ_SK_SL_EUlSY_E1_NS1_11comp_targetILNS1_3genE9ELNS1_11target_archE1100ELNS1_3gpuE3ELNS1_3repE0EEENS1_36merge_oddeven_config_static_selectorELNS0_4arch9wavefront6targetE0EEEvSK_ ; -- Begin function _ZN7rocprim17ROCPRIM_400000_NS6detail17trampoline_kernelINS0_14default_configENS1_38merge_sort_block_merge_config_selectorIjNS0_10empty_typeEEEZZNS1_27merge_sort_block_merge_implIS3_N6thrust23THRUST_200600_302600_NS6detail15normal_iteratorINS9_10device_ptrIjEEEEPS5_m9comp_mod3IjEEE10hipError_tT0_T1_T2_jT3_P12ihipStream_tbPNSt15iterator_traitsISJ_E10value_typeEPNSP_ISK_E10value_typeEPSL_NS1_7vsmem_tEENKUlT_SJ_SK_SL_E_clISE_PjSF_SF_EESI_SY_SJ_SK_SL_EUlSY_E1_NS1_11comp_targetILNS1_3genE9ELNS1_11target_archE1100ELNS1_3gpuE3ELNS1_3repE0EEENS1_36merge_oddeven_config_static_selectorELNS0_4arch9wavefront6targetE0EEEvSK_
	.globl	_ZN7rocprim17ROCPRIM_400000_NS6detail17trampoline_kernelINS0_14default_configENS1_38merge_sort_block_merge_config_selectorIjNS0_10empty_typeEEEZZNS1_27merge_sort_block_merge_implIS3_N6thrust23THRUST_200600_302600_NS6detail15normal_iteratorINS9_10device_ptrIjEEEEPS5_m9comp_mod3IjEEE10hipError_tT0_T1_T2_jT3_P12ihipStream_tbPNSt15iterator_traitsISJ_E10value_typeEPNSP_ISK_E10value_typeEPSL_NS1_7vsmem_tEENKUlT_SJ_SK_SL_E_clISE_PjSF_SF_EESI_SY_SJ_SK_SL_EUlSY_E1_NS1_11comp_targetILNS1_3genE9ELNS1_11target_archE1100ELNS1_3gpuE3ELNS1_3repE0EEENS1_36merge_oddeven_config_static_selectorELNS0_4arch9wavefront6targetE0EEEvSK_
	.p2align	8
	.type	_ZN7rocprim17ROCPRIM_400000_NS6detail17trampoline_kernelINS0_14default_configENS1_38merge_sort_block_merge_config_selectorIjNS0_10empty_typeEEEZZNS1_27merge_sort_block_merge_implIS3_N6thrust23THRUST_200600_302600_NS6detail15normal_iteratorINS9_10device_ptrIjEEEEPS5_m9comp_mod3IjEEE10hipError_tT0_T1_T2_jT3_P12ihipStream_tbPNSt15iterator_traitsISJ_E10value_typeEPNSP_ISK_E10value_typeEPSL_NS1_7vsmem_tEENKUlT_SJ_SK_SL_E_clISE_PjSF_SF_EESI_SY_SJ_SK_SL_EUlSY_E1_NS1_11comp_targetILNS1_3genE9ELNS1_11target_archE1100ELNS1_3gpuE3ELNS1_3repE0EEENS1_36merge_oddeven_config_static_selectorELNS0_4arch9wavefront6targetE0EEEvSK_,@function
_ZN7rocprim17ROCPRIM_400000_NS6detail17trampoline_kernelINS0_14default_configENS1_38merge_sort_block_merge_config_selectorIjNS0_10empty_typeEEEZZNS1_27merge_sort_block_merge_implIS3_N6thrust23THRUST_200600_302600_NS6detail15normal_iteratorINS9_10device_ptrIjEEEEPS5_m9comp_mod3IjEEE10hipError_tT0_T1_T2_jT3_P12ihipStream_tbPNSt15iterator_traitsISJ_E10value_typeEPNSP_ISK_E10value_typeEPSL_NS1_7vsmem_tEENKUlT_SJ_SK_SL_E_clISE_PjSF_SF_EESI_SY_SJ_SK_SL_EUlSY_E1_NS1_11comp_targetILNS1_3genE9ELNS1_11target_archE1100ELNS1_3gpuE3ELNS1_3repE0EEENS1_36merge_oddeven_config_static_selectorELNS0_4arch9wavefront6targetE0EEEvSK_: ; @_ZN7rocprim17ROCPRIM_400000_NS6detail17trampoline_kernelINS0_14default_configENS1_38merge_sort_block_merge_config_selectorIjNS0_10empty_typeEEEZZNS1_27merge_sort_block_merge_implIS3_N6thrust23THRUST_200600_302600_NS6detail15normal_iteratorINS9_10device_ptrIjEEEEPS5_m9comp_mod3IjEEE10hipError_tT0_T1_T2_jT3_P12ihipStream_tbPNSt15iterator_traitsISJ_E10value_typeEPNSP_ISK_E10value_typeEPSL_NS1_7vsmem_tEENKUlT_SJ_SK_SL_E_clISE_PjSF_SF_EESI_SY_SJ_SK_SL_EUlSY_E1_NS1_11comp_targetILNS1_3genE9ELNS1_11target_archE1100ELNS1_3gpuE3ELNS1_3repE0EEENS1_36merge_oddeven_config_static_selectorELNS0_4arch9wavefront6targetE0EEEvSK_
; %bb.0:
	.section	.rodata,"a",@progbits
	.p2align	6, 0x0
	.amdhsa_kernel _ZN7rocprim17ROCPRIM_400000_NS6detail17trampoline_kernelINS0_14default_configENS1_38merge_sort_block_merge_config_selectorIjNS0_10empty_typeEEEZZNS1_27merge_sort_block_merge_implIS3_N6thrust23THRUST_200600_302600_NS6detail15normal_iteratorINS9_10device_ptrIjEEEEPS5_m9comp_mod3IjEEE10hipError_tT0_T1_T2_jT3_P12ihipStream_tbPNSt15iterator_traitsISJ_E10value_typeEPNSP_ISK_E10value_typeEPSL_NS1_7vsmem_tEENKUlT_SJ_SK_SL_E_clISE_PjSF_SF_EESI_SY_SJ_SK_SL_EUlSY_E1_NS1_11comp_targetILNS1_3genE9ELNS1_11target_archE1100ELNS1_3gpuE3ELNS1_3repE0EEENS1_36merge_oddeven_config_static_selectorELNS0_4arch9wavefront6targetE0EEEvSK_
		.amdhsa_group_segment_fixed_size 0
		.amdhsa_private_segment_fixed_size 0
		.amdhsa_kernarg_size 56
		.amdhsa_user_sgpr_count 6
		.amdhsa_user_sgpr_private_segment_buffer 1
		.amdhsa_user_sgpr_dispatch_ptr 0
		.amdhsa_user_sgpr_queue_ptr 0
		.amdhsa_user_sgpr_kernarg_segment_ptr 1
		.amdhsa_user_sgpr_dispatch_id 0
		.amdhsa_user_sgpr_flat_scratch_init 0
		.amdhsa_user_sgpr_private_segment_size 0
		.amdhsa_wavefront_size32 1
		.amdhsa_uses_dynamic_stack 0
		.amdhsa_system_sgpr_private_segment_wavefront_offset 0
		.amdhsa_system_sgpr_workgroup_id_x 1
		.amdhsa_system_sgpr_workgroup_id_y 0
		.amdhsa_system_sgpr_workgroup_id_z 0
		.amdhsa_system_sgpr_workgroup_info 0
		.amdhsa_system_vgpr_workitem_id 0
		.amdhsa_next_free_vgpr 1
		.amdhsa_next_free_sgpr 1
		.amdhsa_reserve_vcc 0
		.amdhsa_reserve_flat_scratch 0
		.amdhsa_float_round_mode_32 0
		.amdhsa_float_round_mode_16_64 0
		.amdhsa_float_denorm_mode_32 3
		.amdhsa_float_denorm_mode_16_64 3
		.amdhsa_dx10_clamp 1
		.amdhsa_ieee_mode 1
		.amdhsa_fp16_overflow 0
		.amdhsa_workgroup_processor_mode 1
		.amdhsa_memory_ordered 1
		.amdhsa_forward_progress 1
		.amdhsa_shared_vgpr_count 0
		.amdhsa_exception_fp_ieee_invalid_op 0
		.amdhsa_exception_fp_denorm_src 0
		.amdhsa_exception_fp_ieee_div_zero 0
		.amdhsa_exception_fp_ieee_overflow 0
		.amdhsa_exception_fp_ieee_underflow 0
		.amdhsa_exception_fp_ieee_inexact 0
		.amdhsa_exception_int_div_zero 0
	.end_amdhsa_kernel
	.section	.text._ZN7rocprim17ROCPRIM_400000_NS6detail17trampoline_kernelINS0_14default_configENS1_38merge_sort_block_merge_config_selectorIjNS0_10empty_typeEEEZZNS1_27merge_sort_block_merge_implIS3_N6thrust23THRUST_200600_302600_NS6detail15normal_iteratorINS9_10device_ptrIjEEEEPS5_m9comp_mod3IjEEE10hipError_tT0_T1_T2_jT3_P12ihipStream_tbPNSt15iterator_traitsISJ_E10value_typeEPNSP_ISK_E10value_typeEPSL_NS1_7vsmem_tEENKUlT_SJ_SK_SL_E_clISE_PjSF_SF_EESI_SY_SJ_SK_SL_EUlSY_E1_NS1_11comp_targetILNS1_3genE9ELNS1_11target_archE1100ELNS1_3gpuE3ELNS1_3repE0EEENS1_36merge_oddeven_config_static_selectorELNS0_4arch9wavefront6targetE0EEEvSK_,"axG",@progbits,_ZN7rocprim17ROCPRIM_400000_NS6detail17trampoline_kernelINS0_14default_configENS1_38merge_sort_block_merge_config_selectorIjNS0_10empty_typeEEEZZNS1_27merge_sort_block_merge_implIS3_N6thrust23THRUST_200600_302600_NS6detail15normal_iteratorINS9_10device_ptrIjEEEEPS5_m9comp_mod3IjEEE10hipError_tT0_T1_T2_jT3_P12ihipStream_tbPNSt15iterator_traitsISJ_E10value_typeEPNSP_ISK_E10value_typeEPSL_NS1_7vsmem_tEENKUlT_SJ_SK_SL_E_clISE_PjSF_SF_EESI_SY_SJ_SK_SL_EUlSY_E1_NS1_11comp_targetILNS1_3genE9ELNS1_11target_archE1100ELNS1_3gpuE3ELNS1_3repE0EEENS1_36merge_oddeven_config_static_selectorELNS0_4arch9wavefront6targetE0EEEvSK_,comdat
.Lfunc_end862:
	.size	_ZN7rocprim17ROCPRIM_400000_NS6detail17trampoline_kernelINS0_14default_configENS1_38merge_sort_block_merge_config_selectorIjNS0_10empty_typeEEEZZNS1_27merge_sort_block_merge_implIS3_N6thrust23THRUST_200600_302600_NS6detail15normal_iteratorINS9_10device_ptrIjEEEEPS5_m9comp_mod3IjEEE10hipError_tT0_T1_T2_jT3_P12ihipStream_tbPNSt15iterator_traitsISJ_E10value_typeEPNSP_ISK_E10value_typeEPSL_NS1_7vsmem_tEENKUlT_SJ_SK_SL_E_clISE_PjSF_SF_EESI_SY_SJ_SK_SL_EUlSY_E1_NS1_11comp_targetILNS1_3genE9ELNS1_11target_archE1100ELNS1_3gpuE3ELNS1_3repE0EEENS1_36merge_oddeven_config_static_selectorELNS0_4arch9wavefront6targetE0EEEvSK_, .Lfunc_end862-_ZN7rocprim17ROCPRIM_400000_NS6detail17trampoline_kernelINS0_14default_configENS1_38merge_sort_block_merge_config_selectorIjNS0_10empty_typeEEEZZNS1_27merge_sort_block_merge_implIS3_N6thrust23THRUST_200600_302600_NS6detail15normal_iteratorINS9_10device_ptrIjEEEEPS5_m9comp_mod3IjEEE10hipError_tT0_T1_T2_jT3_P12ihipStream_tbPNSt15iterator_traitsISJ_E10value_typeEPNSP_ISK_E10value_typeEPSL_NS1_7vsmem_tEENKUlT_SJ_SK_SL_E_clISE_PjSF_SF_EESI_SY_SJ_SK_SL_EUlSY_E1_NS1_11comp_targetILNS1_3genE9ELNS1_11target_archE1100ELNS1_3gpuE3ELNS1_3repE0EEENS1_36merge_oddeven_config_static_selectorELNS0_4arch9wavefront6targetE0EEEvSK_
                                        ; -- End function
	.set _ZN7rocprim17ROCPRIM_400000_NS6detail17trampoline_kernelINS0_14default_configENS1_38merge_sort_block_merge_config_selectorIjNS0_10empty_typeEEEZZNS1_27merge_sort_block_merge_implIS3_N6thrust23THRUST_200600_302600_NS6detail15normal_iteratorINS9_10device_ptrIjEEEEPS5_m9comp_mod3IjEEE10hipError_tT0_T1_T2_jT3_P12ihipStream_tbPNSt15iterator_traitsISJ_E10value_typeEPNSP_ISK_E10value_typeEPSL_NS1_7vsmem_tEENKUlT_SJ_SK_SL_E_clISE_PjSF_SF_EESI_SY_SJ_SK_SL_EUlSY_E1_NS1_11comp_targetILNS1_3genE9ELNS1_11target_archE1100ELNS1_3gpuE3ELNS1_3repE0EEENS1_36merge_oddeven_config_static_selectorELNS0_4arch9wavefront6targetE0EEEvSK_.num_vgpr, 0
	.set _ZN7rocprim17ROCPRIM_400000_NS6detail17trampoline_kernelINS0_14default_configENS1_38merge_sort_block_merge_config_selectorIjNS0_10empty_typeEEEZZNS1_27merge_sort_block_merge_implIS3_N6thrust23THRUST_200600_302600_NS6detail15normal_iteratorINS9_10device_ptrIjEEEEPS5_m9comp_mod3IjEEE10hipError_tT0_T1_T2_jT3_P12ihipStream_tbPNSt15iterator_traitsISJ_E10value_typeEPNSP_ISK_E10value_typeEPSL_NS1_7vsmem_tEENKUlT_SJ_SK_SL_E_clISE_PjSF_SF_EESI_SY_SJ_SK_SL_EUlSY_E1_NS1_11comp_targetILNS1_3genE9ELNS1_11target_archE1100ELNS1_3gpuE3ELNS1_3repE0EEENS1_36merge_oddeven_config_static_selectorELNS0_4arch9wavefront6targetE0EEEvSK_.num_agpr, 0
	.set _ZN7rocprim17ROCPRIM_400000_NS6detail17trampoline_kernelINS0_14default_configENS1_38merge_sort_block_merge_config_selectorIjNS0_10empty_typeEEEZZNS1_27merge_sort_block_merge_implIS3_N6thrust23THRUST_200600_302600_NS6detail15normal_iteratorINS9_10device_ptrIjEEEEPS5_m9comp_mod3IjEEE10hipError_tT0_T1_T2_jT3_P12ihipStream_tbPNSt15iterator_traitsISJ_E10value_typeEPNSP_ISK_E10value_typeEPSL_NS1_7vsmem_tEENKUlT_SJ_SK_SL_E_clISE_PjSF_SF_EESI_SY_SJ_SK_SL_EUlSY_E1_NS1_11comp_targetILNS1_3genE9ELNS1_11target_archE1100ELNS1_3gpuE3ELNS1_3repE0EEENS1_36merge_oddeven_config_static_selectorELNS0_4arch9wavefront6targetE0EEEvSK_.numbered_sgpr, 0
	.set _ZN7rocprim17ROCPRIM_400000_NS6detail17trampoline_kernelINS0_14default_configENS1_38merge_sort_block_merge_config_selectorIjNS0_10empty_typeEEEZZNS1_27merge_sort_block_merge_implIS3_N6thrust23THRUST_200600_302600_NS6detail15normal_iteratorINS9_10device_ptrIjEEEEPS5_m9comp_mod3IjEEE10hipError_tT0_T1_T2_jT3_P12ihipStream_tbPNSt15iterator_traitsISJ_E10value_typeEPNSP_ISK_E10value_typeEPSL_NS1_7vsmem_tEENKUlT_SJ_SK_SL_E_clISE_PjSF_SF_EESI_SY_SJ_SK_SL_EUlSY_E1_NS1_11comp_targetILNS1_3genE9ELNS1_11target_archE1100ELNS1_3gpuE3ELNS1_3repE0EEENS1_36merge_oddeven_config_static_selectorELNS0_4arch9wavefront6targetE0EEEvSK_.num_named_barrier, 0
	.set _ZN7rocprim17ROCPRIM_400000_NS6detail17trampoline_kernelINS0_14default_configENS1_38merge_sort_block_merge_config_selectorIjNS0_10empty_typeEEEZZNS1_27merge_sort_block_merge_implIS3_N6thrust23THRUST_200600_302600_NS6detail15normal_iteratorINS9_10device_ptrIjEEEEPS5_m9comp_mod3IjEEE10hipError_tT0_T1_T2_jT3_P12ihipStream_tbPNSt15iterator_traitsISJ_E10value_typeEPNSP_ISK_E10value_typeEPSL_NS1_7vsmem_tEENKUlT_SJ_SK_SL_E_clISE_PjSF_SF_EESI_SY_SJ_SK_SL_EUlSY_E1_NS1_11comp_targetILNS1_3genE9ELNS1_11target_archE1100ELNS1_3gpuE3ELNS1_3repE0EEENS1_36merge_oddeven_config_static_selectorELNS0_4arch9wavefront6targetE0EEEvSK_.private_seg_size, 0
	.set _ZN7rocprim17ROCPRIM_400000_NS6detail17trampoline_kernelINS0_14default_configENS1_38merge_sort_block_merge_config_selectorIjNS0_10empty_typeEEEZZNS1_27merge_sort_block_merge_implIS3_N6thrust23THRUST_200600_302600_NS6detail15normal_iteratorINS9_10device_ptrIjEEEEPS5_m9comp_mod3IjEEE10hipError_tT0_T1_T2_jT3_P12ihipStream_tbPNSt15iterator_traitsISJ_E10value_typeEPNSP_ISK_E10value_typeEPSL_NS1_7vsmem_tEENKUlT_SJ_SK_SL_E_clISE_PjSF_SF_EESI_SY_SJ_SK_SL_EUlSY_E1_NS1_11comp_targetILNS1_3genE9ELNS1_11target_archE1100ELNS1_3gpuE3ELNS1_3repE0EEENS1_36merge_oddeven_config_static_selectorELNS0_4arch9wavefront6targetE0EEEvSK_.uses_vcc, 0
	.set _ZN7rocprim17ROCPRIM_400000_NS6detail17trampoline_kernelINS0_14default_configENS1_38merge_sort_block_merge_config_selectorIjNS0_10empty_typeEEEZZNS1_27merge_sort_block_merge_implIS3_N6thrust23THRUST_200600_302600_NS6detail15normal_iteratorINS9_10device_ptrIjEEEEPS5_m9comp_mod3IjEEE10hipError_tT0_T1_T2_jT3_P12ihipStream_tbPNSt15iterator_traitsISJ_E10value_typeEPNSP_ISK_E10value_typeEPSL_NS1_7vsmem_tEENKUlT_SJ_SK_SL_E_clISE_PjSF_SF_EESI_SY_SJ_SK_SL_EUlSY_E1_NS1_11comp_targetILNS1_3genE9ELNS1_11target_archE1100ELNS1_3gpuE3ELNS1_3repE0EEENS1_36merge_oddeven_config_static_selectorELNS0_4arch9wavefront6targetE0EEEvSK_.uses_flat_scratch, 0
	.set _ZN7rocprim17ROCPRIM_400000_NS6detail17trampoline_kernelINS0_14default_configENS1_38merge_sort_block_merge_config_selectorIjNS0_10empty_typeEEEZZNS1_27merge_sort_block_merge_implIS3_N6thrust23THRUST_200600_302600_NS6detail15normal_iteratorINS9_10device_ptrIjEEEEPS5_m9comp_mod3IjEEE10hipError_tT0_T1_T2_jT3_P12ihipStream_tbPNSt15iterator_traitsISJ_E10value_typeEPNSP_ISK_E10value_typeEPSL_NS1_7vsmem_tEENKUlT_SJ_SK_SL_E_clISE_PjSF_SF_EESI_SY_SJ_SK_SL_EUlSY_E1_NS1_11comp_targetILNS1_3genE9ELNS1_11target_archE1100ELNS1_3gpuE3ELNS1_3repE0EEENS1_36merge_oddeven_config_static_selectorELNS0_4arch9wavefront6targetE0EEEvSK_.has_dyn_sized_stack, 0
	.set _ZN7rocprim17ROCPRIM_400000_NS6detail17trampoline_kernelINS0_14default_configENS1_38merge_sort_block_merge_config_selectorIjNS0_10empty_typeEEEZZNS1_27merge_sort_block_merge_implIS3_N6thrust23THRUST_200600_302600_NS6detail15normal_iteratorINS9_10device_ptrIjEEEEPS5_m9comp_mod3IjEEE10hipError_tT0_T1_T2_jT3_P12ihipStream_tbPNSt15iterator_traitsISJ_E10value_typeEPNSP_ISK_E10value_typeEPSL_NS1_7vsmem_tEENKUlT_SJ_SK_SL_E_clISE_PjSF_SF_EESI_SY_SJ_SK_SL_EUlSY_E1_NS1_11comp_targetILNS1_3genE9ELNS1_11target_archE1100ELNS1_3gpuE3ELNS1_3repE0EEENS1_36merge_oddeven_config_static_selectorELNS0_4arch9wavefront6targetE0EEEvSK_.has_recursion, 0
	.set _ZN7rocprim17ROCPRIM_400000_NS6detail17trampoline_kernelINS0_14default_configENS1_38merge_sort_block_merge_config_selectorIjNS0_10empty_typeEEEZZNS1_27merge_sort_block_merge_implIS3_N6thrust23THRUST_200600_302600_NS6detail15normal_iteratorINS9_10device_ptrIjEEEEPS5_m9comp_mod3IjEEE10hipError_tT0_T1_T2_jT3_P12ihipStream_tbPNSt15iterator_traitsISJ_E10value_typeEPNSP_ISK_E10value_typeEPSL_NS1_7vsmem_tEENKUlT_SJ_SK_SL_E_clISE_PjSF_SF_EESI_SY_SJ_SK_SL_EUlSY_E1_NS1_11comp_targetILNS1_3genE9ELNS1_11target_archE1100ELNS1_3gpuE3ELNS1_3repE0EEENS1_36merge_oddeven_config_static_selectorELNS0_4arch9wavefront6targetE0EEEvSK_.has_indirect_call, 0
	.section	.AMDGPU.csdata,"",@progbits
; Kernel info:
; codeLenInByte = 0
; TotalNumSgprs: 0
; NumVgprs: 0
; ScratchSize: 0
; MemoryBound: 0
; FloatMode: 240
; IeeeMode: 1
; LDSByteSize: 0 bytes/workgroup (compile time only)
; SGPRBlocks: 0
; VGPRBlocks: 0
; NumSGPRsForWavesPerEU: 1
; NumVGPRsForWavesPerEU: 1
; Occupancy: 16
; WaveLimiterHint : 0
; COMPUTE_PGM_RSRC2:SCRATCH_EN: 0
; COMPUTE_PGM_RSRC2:USER_SGPR: 6
; COMPUTE_PGM_RSRC2:TRAP_HANDLER: 0
; COMPUTE_PGM_RSRC2:TGID_X_EN: 1
; COMPUTE_PGM_RSRC2:TGID_Y_EN: 0
; COMPUTE_PGM_RSRC2:TGID_Z_EN: 0
; COMPUTE_PGM_RSRC2:TIDIG_COMP_CNT: 0
	.section	.text._ZN7rocprim17ROCPRIM_400000_NS6detail17trampoline_kernelINS0_14default_configENS1_38merge_sort_block_merge_config_selectorIjNS0_10empty_typeEEEZZNS1_27merge_sort_block_merge_implIS3_N6thrust23THRUST_200600_302600_NS6detail15normal_iteratorINS9_10device_ptrIjEEEEPS5_m9comp_mod3IjEEE10hipError_tT0_T1_T2_jT3_P12ihipStream_tbPNSt15iterator_traitsISJ_E10value_typeEPNSP_ISK_E10value_typeEPSL_NS1_7vsmem_tEENKUlT_SJ_SK_SL_E_clISE_PjSF_SF_EESI_SY_SJ_SK_SL_EUlSY_E1_NS1_11comp_targetILNS1_3genE8ELNS1_11target_archE1030ELNS1_3gpuE2ELNS1_3repE0EEENS1_36merge_oddeven_config_static_selectorELNS0_4arch9wavefront6targetE0EEEvSK_,"axG",@progbits,_ZN7rocprim17ROCPRIM_400000_NS6detail17trampoline_kernelINS0_14default_configENS1_38merge_sort_block_merge_config_selectorIjNS0_10empty_typeEEEZZNS1_27merge_sort_block_merge_implIS3_N6thrust23THRUST_200600_302600_NS6detail15normal_iteratorINS9_10device_ptrIjEEEEPS5_m9comp_mod3IjEEE10hipError_tT0_T1_T2_jT3_P12ihipStream_tbPNSt15iterator_traitsISJ_E10value_typeEPNSP_ISK_E10value_typeEPSL_NS1_7vsmem_tEENKUlT_SJ_SK_SL_E_clISE_PjSF_SF_EESI_SY_SJ_SK_SL_EUlSY_E1_NS1_11comp_targetILNS1_3genE8ELNS1_11target_archE1030ELNS1_3gpuE2ELNS1_3repE0EEENS1_36merge_oddeven_config_static_selectorELNS0_4arch9wavefront6targetE0EEEvSK_,comdat
	.protected	_ZN7rocprim17ROCPRIM_400000_NS6detail17trampoline_kernelINS0_14default_configENS1_38merge_sort_block_merge_config_selectorIjNS0_10empty_typeEEEZZNS1_27merge_sort_block_merge_implIS3_N6thrust23THRUST_200600_302600_NS6detail15normal_iteratorINS9_10device_ptrIjEEEEPS5_m9comp_mod3IjEEE10hipError_tT0_T1_T2_jT3_P12ihipStream_tbPNSt15iterator_traitsISJ_E10value_typeEPNSP_ISK_E10value_typeEPSL_NS1_7vsmem_tEENKUlT_SJ_SK_SL_E_clISE_PjSF_SF_EESI_SY_SJ_SK_SL_EUlSY_E1_NS1_11comp_targetILNS1_3genE8ELNS1_11target_archE1030ELNS1_3gpuE2ELNS1_3repE0EEENS1_36merge_oddeven_config_static_selectorELNS0_4arch9wavefront6targetE0EEEvSK_ ; -- Begin function _ZN7rocprim17ROCPRIM_400000_NS6detail17trampoline_kernelINS0_14default_configENS1_38merge_sort_block_merge_config_selectorIjNS0_10empty_typeEEEZZNS1_27merge_sort_block_merge_implIS3_N6thrust23THRUST_200600_302600_NS6detail15normal_iteratorINS9_10device_ptrIjEEEEPS5_m9comp_mod3IjEEE10hipError_tT0_T1_T2_jT3_P12ihipStream_tbPNSt15iterator_traitsISJ_E10value_typeEPNSP_ISK_E10value_typeEPSL_NS1_7vsmem_tEENKUlT_SJ_SK_SL_E_clISE_PjSF_SF_EESI_SY_SJ_SK_SL_EUlSY_E1_NS1_11comp_targetILNS1_3genE8ELNS1_11target_archE1030ELNS1_3gpuE2ELNS1_3repE0EEENS1_36merge_oddeven_config_static_selectorELNS0_4arch9wavefront6targetE0EEEvSK_
	.globl	_ZN7rocprim17ROCPRIM_400000_NS6detail17trampoline_kernelINS0_14default_configENS1_38merge_sort_block_merge_config_selectorIjNS0_10empty_typeEEEZZNS1_27merge_sort_block_merge_implIS3_N6thrust23THRUST_200600_302600_NS6detail15normal_iteratorINS9_10device_ptrIjEEEEPS5_m9comp_mod3IjEEE10hipError_tT0_T1_T2_jT3_P12ihipStream_tbPNSt15iterator_traitsISJ_E10value_typeEPNSP_ISK_E10value_typeEPSL_NS1_7vsmem_tEENKUlT_SJ_SK_SL_E_clISE_PjSF_SF_EESI_SY_SJ_SK_SL_EUlSY_E1_NS1_11comp_targetILNS1_3genE8ELNS1_11target_archE1030ELNS1_3gpuE2ELNS1_3repE0EEENS1_36merge_oddeven_config_static_selectorELNS0_4arch9wavefront6targetE0EEEvSK_
	.p2align	8
	.type	_ZN7rocprim17ROCPRIM_400000_NS6detail17trampoline_kernelINS0_14default_configENS1_38merge_sort_block_merge_config_selectorIjNS0_10empty_typeEEEZZNS1_27merge_sort_block_merge_implIS3_N6thrust23THRUST_200600_302600_NS6detail15normal_iteratorINS9_10device_ptrIjEEEEPS5_m9comp_mod3IjEEE10hipError_tT0_T1_T2_jT3_P12ihipStream_tbPNSt15iterator_traitsISJ_E10value_typeEPNSP_ISK_E10value_typeEPSL_NS1_7vsmem_tEENKUlT_SJ_SK_SL_E_clISE_PjSF_SF_EESI_SY_SJ_SK_SL_EUlSY_E1_NS1_11comp_targetILNS1_3genE8ELNS1_11target_archE1030ELNS1_3gpuE2ELNS1_3repE0EEENS1_36merge_oddeven_config_static_selectorELNS0_4arch9wavefront6targetE0EEEvSK_,@function
_ZN7rocprim17ROCPRIM_400000_NS6detail17trampoline_kernelINS0_14default_configENS1_38merge_sort_block_merge_config_selectorIjNS0_10empty_typeEEEZZNS1_27merge_sort_block_merge_implIS3_N6thrust23THRUST_200600_302600_NS6detail15normal_iteratorINS9_10device_ptrIjEEEEPS5_m9comp_mod3IjEEE10hipError_tT0_T1_T2_jT3_P12ihipStream_tbPNSt15iterator_traitsISJ_E10value_typeEPNSP_ISK_E10value_typeEPSL_NS1_7vsmem_tEENKUlT_SJ_SK_SL_E_clISE_PjSF_SF_EESI_SY_SJ_SK_SL_EUlSY_E1_NS1_11comp_targetILNS1_3genE8ELNS1_11target_archE1030ELNS1_3gpuE2ELNS1_3repE0EEENS1_36merge_oddeven_config_static_selectorELNS0_4arch9wavefront6targetE0EEEvSK_: ; @_ZN7rocprim17ROCPRIM_400000_NS6detail17trampoline_kernelINS0_14default_configENS1_38merge_sort_block_merge_config_selectorIjNS0_10empty_typeEEEZZNS1_27merge_sort_block_merge_implIS3_N6thrust23THRUST_200600_302600_NS6detail15normal_iteratorINS9_10device_ptrIjEEEEPS5_m9comp_mod3IjEEE10hipError_tT0_T1_T2_jT3_P12ihipStream_tbPNSt15iterator_traitsISJ_E10value_typeEPNSP_ISK_E10value_typeEPSL_NS1_7vsmem_tEENKUlT_SJ_SK_SL_E_clISE_PjSF_SF_EESI_SY_SJ_SK_SL_EUlSY_E1_NS1_11comp_targetILNS1_3genE8ELNS1_11target_archE1030ELNS1_3gpuE2ELNS1_3repE0EEENS1_36merge_oddeven_config_static_selectorELNS0_4arch9wavefront6targetE0EEEvSK_
; %bb.0:
	s_load_dword s7, s[4:5], 0x20
	s_waitcnt lgkmcnt(0)
	s_lshr_b32 s0, s7, 8
	s_cmp_lg_u32 s6, s0
	s_cselect_b32 s2, -1, 0
	s_cmp_eq_u32 s6, s0
	s_cselect_b32 s14, -1, 0
	s_lshl_b32 s12, s6, 8
	s_sub_i32 s0, s7, s12
	v_cmp_gt_u32_e64 s0, s0, v0
	s_or_b32 s1, s2, s0
	s_and_saveexec_b32 s3, s1
	s_cbranch_execz .LBB863_28
; %bb.1:
	s_clause 0x1
	s_load_dwordx4 s[8:11], s[4:5], 0x0
	s_load_dword s15, s[4:5], 0x28
	s_mov_b32 s13, 0
	v_lshlrev_b32_e32 v1, 2, v0
	s_lshl_b64 s[16:17], s[12:13], 2
	v_add_nc_u32_e32 v4, s12, v0
	s_waitcnt lgkmcnt(0)
	s_add_u32 s16, s8, s16
	s_addc_u32 s17, s9, s17
	s_lshr_b32 s1, s15, 8
	global_load_dword v1, v1, s[16:17]
	s_sub_i32 s3, 0, s1
	s_and_b32 s3, s6, s3
	s_and_b32 s6, s3, s1
	s_cmp_lg_u32 s6, 0
	s_cselect_b32 s1, -1, 0
	s_lshl_b32 s16, s3, 8
	s_sub_i32 s3, 0, s15
	s_cmp_eq_u32 s6, 0
	s_cselect_b32 s6, s15, s3
	s_add_i32 s6, s6, s16
	s_cmp_lt_u32 s6, s7
	s_cbranch_scc1 .LBB863_3
; %bb.2:
	v_cmp_gt_u32_e32 vcc_lo, s7, v4
	s_or_b32 s3, vcc_lo, s2
	s_and_b32 s13, s3, exec_lo
	s_cbranch_execz .LBB863_4
	s_branch .LBB863_26
.LBB863_3:
.LBB863_4:
	s_load_dwordx2 s[2:3], s[4:5], 0x30
	s_waitcnt vmcnt(0)
	v_ashrrev_i32_e32 v2, 31, v1
	s_min_u32 s4, s6, s7
	s_add_i32 s5, s16, s4
	s_add_i32 s12, s4, s15
	v_lshlrev_b64 v[2:3], 2, v[1:2]
	v_subrev_nc_u32_e32 v0, s5, v4
	s_min_u32 s5, s16, s4
	v_add_nc_u32_e32 v0, s5, v0
	s_min_u32 s5, s12, s7
	s_waitcnt lgkmcnt(0)
	v_add_co_u32 v2, vcc_lo, s2, v2
	v_add_co_ci_u32_e64 v3, null, s3, v3, vcc_lo
	s_and_b32 vcc_lo, exec_lo, s14
	s_cbranch_vccz .LBB863_13
; %bb.5:
                                        ; implicit-def: $vgpr4
	s_and_saveexec_b32 s7, s0
	s_cbranch_execz .LBB863_16
; %bb.6:
	v_mov_b32_e32 v8, s4
	s_cmp_ge_u32 s6, s5
	s_cbranch_scc1 .LBB863_15
; %bb.7:
	v_mov_b32_e32 v9, s5
	v_mov_b32_e32 v8, s4
	;; [unrolled: 1-line block ×3, first 2 shown]
	s_mov_b32 s0, 0
	s_branch .LBB863_9
.LBB863_8:                              ;   in Loop: Header=BB863_9 Depth=1
	v_add_nc_u32_e32 v6, 1, v4
	v_cndmask_b32_e64 v9, v4, v9, s12
	v_cndmask_b32_e64 v8, v8, v6, s12
	v_cmp_ge_u32_e32 vcc_lo, v8, v9
	s_or_b32 s0, vcc_lo, s0
	s_andn2_b32 exec_lo, exec_lo, s0
	s_cbranch_execz .LBB863_14
.LBB863_9:                              ; =>This Inner Loop Header: Depth=1
	v_add_nc_u32_e32 v4, v8, v9
	s_mov_b32 s14, -1
                                        ; implicit-def: $sgpr12
	v_lshrrev_b32_e32 v4, 1, v4
	v_lshlrev_b64 v[6:7], 2, v[4:5]
	v_add_co_u32 v6, vcc_lo, s8, v6
	v_add_co_ci_u32_e64 v7, null, s9, v7, vcc_lo
	s_andn2_b32 vcc_lo, exec_lo, s1
	global_load_dword v6, v[6:7], off
	s_waitcnt vmcnt(0)
	v_ashrrev_i32_e32 v7, 31, v6
	s_cbranch_vccnz .LBB863_11
; %bb.10:                               ;   in Loop: Header=BB863_9 Depth=1
	v_lshlrev_b64 v[10:11], 2, v[6:7]
	s_mov_b32 s14, 0
	v_add_co_u32 v10, vcc_lo, s2, v10
	v_add_co_ci_u32_e64 v11, null, s3, v11, vcc_lo
	s_clause 0x1
	global_load_dword v12, v[2:3], off
	global_load_dword v10, v[10:11], off
	s_waitcnt vmcnt(0)
	v_cmp_ge_u32_e64 s12, v12, v10
.LBB863_11:                             ;   in Loop: Header=BB863_9 Depth=1
	s_andn2_b32 vcc_lo, exec_lo, s14
	s_cbranch_vccnz .LBB863_8
; %bb.12:                               ;   in Loop: Header=BB863_9 Depth=1
	v_lshlrev_b64 v[6:7], 2, v[6:7]
	s_andn2_b32 s12, s12, exec_lo
	v_add_co_u32 v6, vcc_lo, s2, v6
	v_add_co_ci_u32_e64 v7, null, s3, v7, vcc_lo
	s_clause 0x1
	global_load_dword v6, v[6:7], off
	global_load_dword v7, v[2:3], off
	s_waitcnt vmcnt(0)
	v_cmp_lt_u32_e32 vcc_lo, v6, v7
	s_and_b32 s14, vcc_lo, exec_lo
	s_or_b32 s12, s12, s14
	s_branch .LBB863_8
.LBB863_13:
                                        ; implicit-def: $vgpr4
	s_cbranch_execnz .LBB863_17
	s_branch .LBB863_26
.LBB863_14:
	s_or_b32 exec_lo, exec_lo, s0
.LBB863_15:
	v_add_nc_u32_e32 v4, v8, v0
	s_or_b32 s13, s13, exec_lo
.LBB863_16:
	s_or_b32 exec_lo, exec_lo, s7
	s_branch .LBB863_26
.LBB863_17:
	v_mov_b32_e32 v8, s4
	s_cmp_ge_u32 s6, s5
	s_cbranch_scc1 .LBB863_25
; %bb.18:
	v_mov_b32_e32 v9, s5
	v_mov_b32_e32 v8, s4
	;; [unrolled: 1-line block ×3, first 2 shown]
	s_mov_b32 s0, 0
	s_branch .LBB863_20
.LBB863_19:                             ;   in Loop: Header=BB863_20 Depth=1
	v_add_nc_u32_e32 v6, 1, v4
	v_cndmask_b32_e64 v9, v4, v9, s4
	v_cndmask_b32_e64 v8, v8, v6, s4
	v_cmp_ge_u32_e32 vcc_lo, v8, v9
	s_or_b32 s0, vcc_lo, s0
	s_andn2_b32 exec_lo, exec_lo, s0
	s_cbranch_execz .LBB863_24
.LBB863_20:                             ; =>This Inner Loop Header: Depth=1
	v_add_nc_u32_e32 v4, v8, v9
	s_mov_b32 s5, -1
                                        ; implicit-def: $sgpr4
	v_lshrrev_b32_e32 v4, 1, v4
	v_lshlrev_b64 v[6:7], 2, v[4:5]
	v_add_co_u32 v6, vcc_lo, s8, v6
	v_add_co_ci_u32_e64 v7, null, s9, v7, vcc_lo
	s_andn2_b32 vcc_lo, exec_lo, s1
	global_load_dword v6, v[6:7], off
	s_waitcnt vmcnt(0)
	v_ashrrev_i32_e32 v7, 31, v6
	s_cbranch_vccnz .LBB863_22
; %bb.21:                               ;   in Loop: Header=BB863_20 Depth=1
	v_lshlrev_b64 v[10:11], 2, v[6:7]
	s_mov_b32 s5, 0
	v_add_co_u32 v10, vcc_lo, s2, v10
	v_add_co_ci_u32_e64 v11, null, s3, v11, vcc_lo
	s_clause 0x1
	global_load_dword v12, v[2:3], off
	global_load_dword v10, v[10:11], off
	s_waitcnt vmcnt(0)
	v_cmp_ge_u32_e64 s4, v12, v10
.LBB863_22:                             ;   in Loop: Header=BB863_20 Depth=1
	s_andn2_b32 vcc_lo, exec_lo, s5
	s_cbranch_vccnz .LBB863_19
; %bb.23:                               ;   in Loop: Header=BB863_20 Depth=1
	v_lshlrev_b64 v[6:7], 2, v[6:7]
	s_andn2_b32 s4, s4, exec_lo
	v_add_co_u32 v6, vcc_lo, s2, v6
	v_add_co_ci_u32_e64 v7, null, s3, v7, vcc_lo
	s_clause 0x1
	global_load_dword v6, v[6:7], off
	global_load_dword v7, v[2:3], off
	s_waitcnt vmcnt(0)
	v_cmp_lt_u32_e32 vcc_lo, v6, v7
	s_and_b32 s5, vcc_lo, exec_lo
	s_or_b32 s4, s4, s5
	s_branch .LBB863_19
.LBB863_24:
	s_or_b32 exec_lo, exec_lo, s0
.LBB863_25:
	v_add_nc_u32_e32 v4, v8, v0
	s_mov_b32 s13, -1
.LBB863_26:
	s_and_b32 exec_lo, exec_lo, s13
	s_cbranch_execz .LBB863_28
; %bb.27:
	v_mov_b32_e32 v5, 0
	v_lshlrev_b64 v[2:3], 2, v[4:5]
	v_add_co_u32 v2, vcc_lo, s10, v2
	v_add_co_ci_u32_e64 v3, null, s11, v3, vcc_lo
	s_waitcnt vmcnt(0)
	global_store_dword v[2:3], v1, off
.LBB863_28:
	s_endpgm
	.section	.rodata,"a",@progbits
	.p2align	6, 0x0
	.amdhsa_kernel _ZN7rocprim17ROCPRIM_400000_NS6detail17trampoline_kernelINS0_14default_configENS1_38merge_sort_block_merge_config_selectorIjNS0_10empty_typeEEEZZNS1_27merge_sort_block_merge_implIS3_N6thrust23THRUST_200600_302600_NS6detail15normal_iteratorINS9_10device_ptrIjEEEEPS5_m9comp_mod3IjEEE10hipError_tT0_T1_T2_jT3_P12ihipStream_tbPNSt15iterator_traitsISJ_E10value_typeEPNSP_ISK_E10value_typeEPSL_NS1_7vsmem_tEENKUlT_SJ_SK_SL_E_clISE_PjSF_SF_EESI_SY_SJ_SK_SL_EUlSY_E1_NS1_11comp_targetILNS1_3genE8ELNS1_11target_archE1030ELNS1_3gpuE2ELNS1_3repE0EEENS1_36merge_oddeven_config_static_selectorELNS0_4arch9wavefront6targetE0EEEvSK_
		.amdhsa_group_segment_fixed_size 0
		.amdhsa_private_segment_fixed_size 0
		.amdhsa_kernarg_size 56
		.amdhsa_user_sgpr_count 6
		.amdhsa_user_sgpr_private_segment_buffer 1
		.amdhsa_user_sgpr_dispatch_ptr 0
		.amdhsa_user_sgpr_queue_ptr 0
		.amdhsa_user_sgpr_kernarg_segment_ptr 1
		.amdhsa_user_sgpr_dispatch_id 0
		.amdhsa_user_sgpr_flat_scratch_init 0
		.amdhsa_user_sgpr_private_segment_size 0
		.amdhsa_wavefront_size32 1
		.amdhsa_uses_dynamic_stack 0
		.amdhsa_system_sgpr_private_segment_wavefront_offset 0
		.amdhsa_system_sgpr_workgroup_id_x 1
		.amdhsa_system_sgpr_workgroup_id_y 0
		.amdhsa_system_sgpr_workgroup_id_z 0
		.amdhsa_system_sgpr_workgroup_info 0
		.amdhsa_system_vgpr_workitem_id 0
		.amdhsa_next_free_vgpr 13
		.amdhsa_next_free_sgpr 18
		.amdhsa_reserve_vcc 1
		.amdhsa_reserve_flat_scratch 0
		.amdhsa_float_round_mode_32 0
		.amdhsa_float_round_mode_16_64 0
		.amdhsa_float_denorm_mode_32 3
		.amdhsa_float_denorm_mode_16_64 3
		.amdhsa_dx10_clamp 1
		.amdhsa_ieee_mode 1
		.amdhsa_fp16_overflow 0
		.amdhsa_workgroup_processor_mode 1
		.amdhsa_memory_ordered 1
		.amdhsa_forward_progress 1
		.amdhsa_shared_vgpr_count 0
		.amdhsa_exception_fp_ieee_invalid_op 0
		.amdhsa_exception_fp_denorm_src 0
		.amdhsa_exception_fp_ieee_div_zero 0
		.amdhsa_exception_fp_ieee_overflow 0
		.amdhsa_exception_fp_ieee_underflow 0
		.amdhsa_exception_fp_ieee_inexact 0
		.amdhsa_exception_int_div_zero 0
	.end_amdhsa_kernel
	.section	.text._ZN7rocprim17ROCPRIM_400000_NS6detail17trampoline_kernelINS0_14default_configENS1_38merge_sort_block_merge_config_selectorIjNS0_10empty_typeEEEZZNS1_27merge_sort_block_merge_implIS3_N6thrust23THRUST_200600_302600_NS6detail15normal_iteratorINS9_10device_ptrIjEEEEPS5_m9comp_mod3IjEEE10hipError_tT0_T1_T2_jT3_P12ihipStream_tbPNSt15iterator_traitsISJ_E10value_typeEPNSP_ISK_E10value_typeEPSL_NS1_7vsmem_tEENKUlT_SJ_SK_SL_E_clISE_PjSF_SF_EESI_SY_SJ_SK_SL_EUlSY_E1_NS1_11comp_targetILNS1_3genE8ELNS1_11target_archE1030ELNS1_3gpuE2ELNS1_3repE0EEENS1_36merge_oddeven_config_static_selectorELNS0_4arch9wavefront6targetE0EEEvSK_,"axG",@progbits,_ZN7rocprim17ROCPRIM_400000_NS6detail17trampoline_kernelINS0_14default_configENS1_38merge_sort_block_merge_config_selectorIjNS0_10empty_typeEEEZZNS1_27merge_sort_block_merge_implIS3_N6thrust23THRUST_200600_302600_NS6detail15normal_iteratorINS9_10device_ptrIjEEEEPS5_m9comp_mod3IjEEE10hipError_tT0_T1_T2_jT3_P12ihipStream_tbPNSt15iterator_traitsISJ_E10value_typeEPNSP_ISK_E10value_typeEPSL_NS1_7vsmem_tEENKUlT_SJ_SK_SL_E_clISE_PjSF_SF_EESI_SY_SJ_SK_SL_EUlSY_E1_NS1_11comp_targetILNS1_3genE8ELNS1_11target_archE1030ELNS1_3gpuE2ELNS1_3repE0EEENS1_36merge_oddeven_config_static_selectorELNS0_4arch9wavefront6targetE0EEEvSK_,comdat
.Lfunc_end863:
	.size	_ZN7rocprim17ROCPRIM_400000_NS6detail17trampoline_kernelINS0_14default_configENS1_38merge_sort_block_merge_config_selectorIjNS0_10empty_typeEEEZZNS1_27merge_sort_block_merge_implIS3_N6thrust23THRUST_200600_302600_NS6detail15normal_iteratorINS9_10device_ptrIjEEEEPS5_m9comp_mod3IjEEE10hipError_tT0_T1_T2_jT3_P12ihipStream_tbPNSt15iterator_traitsISJ_E10value_typeEPNSP_ISK_E10value_typeEPSL_NS1_7vsmem_tEENKUlT_SJ_SK_SL_E_clISE_PjSF_SF_EESI_SY_SJ_SK_SL_EUlSY_E1_NS1_11comp_targetILNS1_3genE8ELNS1_11target_archE1030ELNS1_3gpuE2ELNS1_3repE0EEENS1_36merge_oddeven_config_static_selectorELNS0_4arch9wavefront6targetE0EEEvSK_, .Lfunc_end863-_ZN7rocprim17ROCPRIM_400000_NS6detail17trampoline_kernelINS0_14default_configENS1_38merge_sort_block_merge_config_selectorIjNS0_10empty_typeEEEZZNS1_27merge_sort_block_merge_implIS3_N6thrust23THRUST_200600_302600_NS6detail15normal_iteratorINS9_10device_ptrIjEEEEPS5_m9comp_mod3IjEEE10hipError_tT0_T1_T2_jT3_P12ihipStream_tbPNSt15iterator_traitsISJ_E10value_typeEPNSP_ISK_E10value_typeEPSL_NS1_7vsmem_tEENKUlT_SJ_SK_SL_E_clISE_PjSF_SF_EESI_SY_SJ_SK_SL_EUlSY_E1_NS1_11comp_targetILNS1_3genE8ELNS1_11target_archE1030ELNS1_3gpuE2ELNS1_3repE0EEENS1_36merge_oddeven_config_static_selectorELNS0_4arch9wavefront6targetE0EEEvSK_
                                        ; -- End function
	.set _ZN7rocprim17ROCPRIM_400000_NS6detail17trampoline_kernelINS0_14default_configENS1_38merge_sort_block_merge_config_selectorIjNS0_10empty_typeEEEZZNS1_27merge_sort_block_merge_implIS3_N6thrust23THRUST_200600_302600_NS6detail15normal_iteratorINS9_10device_ptrIjEEEEPS5_m9comp_mod3IjEEE10hipError_tT0_T1_T2_jT3_P12ihipStream_tbPNSt15iterator_traitsISJ_E10value_typeEPNSP_ISK_E10value_typeEPSL_NS1_7vsmem_tEENKUlT_SJ_SK_SL_E_clISE_PjSF_SF_EESI_SY_SJ_SK_SL_EUlSY_E1_NS1_11comp_targetILNS1_3genE8ELNS1_11target_archE1030ELNS1_3gpuE2ELNS1_3repE0EEENS1_36merge_oddeven_config_static_selectorELNS0_4arch9wavefront6targetE0EEEvSK_.num_vgpr, 13
	.set _ZN7rocprim17ROCPRIM_400000_NS6detail17trampoline_kernelINS0_14default_configENS1_38merge_sort_block_merge_config_selectorIjNS0_10empty_typeEEEZZNS1_27merge_sort_block_merge_implIS3_N6thrust23THRUST_200600_302600_NS6detail15normal_iteratorINS9_10device_ptrIjEEEEPS5_m9comp_mod3IjEEE10hipError_tT0_T1_T2_jT3_P12ihipStream_tbPNSt15iterator_traitsISJ_E10value_typeEPNSP_ISK_E10value_typeEPSL_NS1_7vsmem_tEENKUlT_SJ_SK_SL_E_clISE_PjSF_SF_EESI_SY_SJ_SK_SL_EUlSY_E1_NS1_11comp_targetILNS1_3genE8ELNS1_11target_archE1030ELNS1_3gpuE2ELNS1_3repE0EEENS1_36merge_oddeven_config_static_selectorELNS0_4arch9wavefront6targetE0EEEvSK_.num_agpr, 0
	.set _ZN7rocprim17ROCPRIM_400000_NS6detail17trampoline_kernelINS0_14default_configENS1_38merge_sort_block_merge_config_selectorIjNS0_10empty_typeEEEZZNS1_27merge_sort_block_merge_implIS3_N6thrust23THRUST_200600_302600_NS6detail15normal_iteratorINS9_10device_ptrIjEEEEPS5_m9comp_mod3IjEEE10hipError_tT0_T1_T2_jT3_P12ihipStream_tbPNSt15iterator_traitsISJ_E10value_typeEPNSP_ISK_E10value_typeEPSL_NS1_7vsmem_tEENKUlT_SJ_SK_SL_E_clISE_PjSF_SF_EESI_SY_SJ_SK_SL_EUlSY_E1_NS1_11comp_targetILNS1_3genE8ELNS1_11target_archE1030ELNS1_3gpuE2ELNS1_3repE0EEENS1_36merge_oddeven_config_static_selectorELNS0_4arch9wavefront6targetE0EEEvSK_.numbered_sgpr, 18
	.set _ZN7rocprim17ROCPRIM_400000_NS6detail17trampoline_kernelINS0_14default_configENS1_38merge_sort_block_merge_config_selectorIjNS0_10empty_typeEEEZZNS1_27merge_sort_block_merge_implIS3_N6thrust23THRUST_200600_302600_NS6detail15normal_iteratorINS9_10device_ptrIjEEEEPS5_m9comp_mod3IjEEE10hipError_tT0_T1_T2_jT3_P12ihipStream_tbPNSt15iterator_traitsISJ_E10value_typeEPNSP_ISK_E10value_typeEPSL_NS1_7vsmem_tEENKUlT_SJ_SK_SL_E_clISE_PjSF_SF_EESI_SY_SJ_SK_SL_EUlSY_E1_NS1_11comp_targetILNS1_3genE8ELNS1_11target_archE1030ELNS1_3gpuE2ELNS1_3repE0EEENS1_36merge_oddeven_config_static_selectorELNS0_4arch9wavefront6targetE0EEEvSK_.num_named_barrier, 0
	.set _ZN7rocprim17ROCPRIM_400000_NS6detail17trampoline_kernelINS0_14default_configENS1_38merge_sort_block_merge_config_selectorIjNS0_10empty_typeEEEZZNS1_27merge_sort_block_merge_implIS3_N6thrust23THRUST_200600_302600_NS6detail15normal_iteratorINS9_10device_ptrIjEEEEPS5_m9comp_mod3IjEEE10hipError_tT0_T1_T2_jT3_P12ihipStream_tbPNSt15iterator_traitsISJ_E10value_typeEPNSP_ISK_E10value_typeEPSL_NS1_7vsmem_tEENKUlT_SJ_SK_SL_E_clISE_PjSF_SF_EESI_SY_SJ_SK_SL_EUlSY_E1_NS1_11comp_targetILNS1_3genE8ELNS1_11target_archE1030ELNS1_3gpuE2ELNS1_3repE0EEENS1_36merge_oddeven_config_static_selectorELNS0_4arch9wavefront6targetE0EEEvSK_.private_seg_size, 0
	.set _ZN7rocprim17ROCPRIM_400000_NS6detail17trampoline_kernelINS0_14default_configENS1_38merge_sort_block_merge_config_selectorIjNS0_10empty_typeEEEZZNS1_27merge_sort_block_merge_implIS3_N6thrust23THRUST_200600_302600_NS6detail15normal_iteratorINS9_10device_ptrIjEEEEPS5_m9comp_mod3IjEEE10hipError_tT0_T1_T2_jT3_P12ihipStream_tbPNSt15iterator_traitsISJ_E10value_typeEPNSP_ISK_E10value_typeEPSL_NS1_7vsmem_tEENKUlT_SJ_SK_SL_E_clISE_PjSF_SF_EESI_SY_SJ_SK_SL_EUlSY_E1_NS1_11comp_targetILNS1_3genE8ELNS1_11target_archE1030ELNS1_3gpuE2ELNS1_3repE0EEENS1_36merge_oddeven_config_static_selectorELNS0_4arch9wavefront6targetE0EEEvSK_.uses_vcc, 1
	.set _ZN7rocprim17ROCPRIM_400000_NS6detail17trampoline_kernelINS0_14default_configENS1_38merge_sort_block_merge_config_selectorIjNS0_10empty_typeEEEZZNS1_27merge_sort_block_merge_implIS3_N6thrust23THRUST_200600_302600_NS6detail15normal_iteratorINS9_10device_ptrIjEEEEPS5_m9comp_mod3IjEEE10hipError_tT0_T1_T2_jT3_P12ihipStream_tbPNSt15iterator_traitsISJ_E10value_typeEPNSP_ISK_E10value_typeEPSL_NS1_7vsmem_tEENKUlT_SJ_SK_SL_E_clISE_PjSF_SF_EESI_SY_SJ_SK_SL_EUlSY_E1_NS1_11comp_targetILNS1_3genE8ELNS1_11target_archE1030ELNS1_3gpuE2ELNS1_3repE0EEENS1_36merge_oddeven_config_static_selectorELNS0_4arch9wavefront6targetE0EEEvSK_.uses_flat_scratch, 0
	.set _ZN7rocprim17ROCPRIM_400000_NS6detail17trampoline_kernelINS0_14default_configENS1_38merge_sort_block_merge_config_selectorIjNS0_10empty_typeEEEZZNS1_27merge_sort_block_merge_implIS3_N6thrust23THRUST_200600_302600_NS6detail15normal_iteratorINS9_10device_ptrIjEEEEPS5_m9comp_mod3IjEEE10hipError_tT0_T1_T2_jT3_P12ihipStream_tbPNSt15iterator_traitsISJ_E10value_typeEPNSP_ISK_E10value_typeEPSL_NS1_7vsmem_tEENKUlT_SJ_SK_SL_E_clISE_PjSF_SF_EESI_SY_SJ_SK_SL_EUlSY_E1_NS1_11comp_targetILNS1_3genE8ELNS1_11target_archE1030ELNS1_3gpuE2ELNS1_3repE0EEENS1_36merge_oddeven_config_static_selectorELNS0_4arch9wavefront6targetE0EEEvSK_.has_dyn_sized_stack, 0
	.set _ZN7rocprim17ROCPRIM_400000_NS6detail17trampoline_kernelINS0_14default_configENS1_38merge_sort_block_merge_config_selectorIjNS0_10empty_typeEEEZZNS1_27merge_sort_block_merge_implIS3_N6thrust23THRUST_200600_302600_NS6detail15normal_iteratorINS9_10device_ptrIjEEEEPS5_m9comp_mod3IjEEE10hipError_tT0_T1_T2_jT3_P12ihipStream_tbPNSt15iterator_traitsISJ_E10value_typeEPNSP_ISK_E10value_typeEPSL_NS1_7vsmem_tEENKUlT_SJ_SK_SL_E_clISE_PjSF_SF_EESI_SY_SJ_SK_SL_EUlSY_E1_NS1_11comp_targetILNS1_3genE8ELNS1_11target_archE1030ELNS1_3gpuE2ELNS1_3repE0EEENS1_36merge_oddeven_config_static_selectorELNS0_4arch9wavefront6targetE0EEEvSK_.has_recursion, 0
	.set _ZN7rocprim17ROCPRIM_400000_NS6detail17trampoline_kernelINS0_14default_configENS1_38merge_sort_block_merge_config_selectorIjNS0_10empty_typeEEEZZNS1_27merge_sort_block_merge_implIS3_N6thrust23THRUST_200600_302600_NS6detail15normal_iteratorINS9_10device_ptrIjEEEEPS5_m9comp_mod3IjEEE10hipError_tT0_T1_T2_jT3_P12ihipStream_tbPNSt15iterator_traitsISJ_E10value_typeEPNSP_ISK_E10value_typeEPSL_NS1_7vsmem_tEENKUlT_SJ_SK_SL_E_clISE_PjSF_SF_EESI_SY_SJ_SK_SL_EUlSY_E1_NS1_11comp_targetILNS1_3genE8ELNS1_11target_archE1030ELNS1_3gpuE2ELNS1_3repE0EEENS1_36merge_oddeven_config_static_selectorELNS0_4arch9wavefront6targetE0EEEvSK_.has_indirect_call, 0
	.section	.AMDGPU.csdata,"",@progbits
; Kernel info:
; codeLenInByte = 896
; TotalNumSgprs: 20
; NumVgprs: 13
; ScratchSize: 0
; MemoryBound: 0
; FloatMode: 240
; IeeeMode: 1
; LDSByteSize: 0 bytes/workgroup (compile time only)
; SGPRBlocks: 0
; VGPRBlocks: 1
; NumSGPRsForWavesPerEU: 20
; NumVGPRsForWavesPerEU: 13
; Occupancy: 16
; WaveLimiterHint : 1
; COMPUTE_PGM_RSRC2:SCRATCH_EN: 0
; COMPUTE_PGM_RSRC2:USER_SGPR: 6
; COMPUTE_PGM_RSRC2:TRAP_HANDLER: 0
; COMPUTE_PGM_RSRC2:TGID_X_EN: 1
; COMPUTE_PGM_RSRC2:TGID_Y_EN: 0
; COMPUTE_PGM_RSRC2:TGID_Z_EN: 0
; COMPUTE_PGM_RSRC2:TIDIG_COMP_CNT: 0
	.section	.text._ZN7rocprim17ROCPRIM_400000_NS6detail17trampoline_kernelINS0_14default_configENS1_37merge_sort_block_sort_config_selectorItNS0_10empty_typeEEEZNS1_21merge_sort_block_sortIS3_N6thrust23THRUST_200600_302600_NS6detail15normal_iteratorINS9_10device_ptrItEEEESE_PS5_SF_9comp_mod3ItEEE10hipError_tT0_T1_T2_T3_mRjT4_P12ihipStream_tbNS1_7vsmem_tEEUlT_E_NS1_11comp_targetILNS1_3genE0ELNS1_11target_archE4294967295ELNS1_3gpuE0ELNS1_3repE0EEENS1_30default_config_static_selectorELNS0_4arch9wavefront6targetE0EEEvSK_,"axG",@progbits,_ZN7rocprim17ROCPRIM_400000_NS6detail17trampoline_kernelINS0_14default_configENS1_37merge_sort_block_sort_config_selectorItNS0_10empty_typeEEEZNS1_21merge_sort_block_sortIS3_N6thrust23THRUST_200600_302600_NS6detail15normal_iteratorINS9_10device_ptrItEEEESE_PS5_SF_9comp_mod3ItEEE10hipError_tT0_T1_T2_T3_mRjT4_P12ihipStream_tbNS1_7vsmem_tEEUlT_E_NS1_11comp_targetILNS1_3genE0ELNS1_11target_archE4294967295ELNS1_3gpuE0ELNS1_3repE0EEENS1_30default_config_static_selectorELNS0_4arch9wavefront6targetE0EEEvSK_,comdat
	.protected	_ZN7rocprim17ROCPRIM_400000_NS6detail17trampoline_kernelINS0_14default_configENS1_37merge_sort_block_sort_config_selectorItNS0_10empty_typeEEEZNS1_21merge_sort_block_sortIS3_N6thrust23THRUST_200600_302600_NS6detail15normal_iteratorINS9_10device_ptrItEEEESE_PS5_SF_9comp_mod3ItEEE10hipError_tT0_T1_T2_T3_mRjT4_P12ihipStream_tbNS1_7vsmem_tEEUlT_E_NS1_11comp_targetILNS1_3genE0ELNS1_11target_archE4294967295ELNS1_3gpuE0ELNS1_3repE0EEENS1_30default_config_static_selectorELNS0_4arch9wavefront6targetE0EEEvSK_ ; -- Begin function _ZN7rocprim17ROCPRIM_400000_NS6detail17trampoline_kernelINS0_14default_configENS1_37merge_sort_block_sort_config_selectorItNS0_10empty_typeEEEZNS1_21merge_sort_block_sortIS3_N6thrust23THRUST_200600_302600_NS6detail15normal_iteratorINS9_10device_ptrItEEEESE_PS5_SF_9comp_mod3ItEEE10hipError_tT0_T1_T2_T3_mRjT4_P12ihipStream_tbNS1_7vsmem_tEEUlT_E_NS1_11comp_targetILNS1_3genE0ELNS1_11target_archE4294967295ELNS1_3gpuE0ELNS1_3repE0EEENS1_30default_config_static_selectorELNS0_4arch9wavefront6targetE0EEEvSK_
	.globl	_ZN7rocprim17ROCPRIM_400000_NS6detail17trampoline_kernelINS0_14default_configENS1_37merge_sort_block_sort_config_selectorItNS0_10empty_typeEEEZNS1_21merge_sort_block_sortIS3_N6thrust23THRUST_200600_302600_NS6detail15normal_iteratorINS9_10device_ptrItEEEESE_PS5_SF_9comp_mod3ItEEE10hipError_tT0_T1_T2_T3_mRjT4_P12ihipStream_tbNS1_7vsmem_tEEUlT_E_NS1_11comp_targetILNS1_3genE0ELNS1_11target_archE4294967295ELNS1_3gpuE0ELNS1_3repE0EEENS1_30default_config_static_selectorELNS0_4arch9wavefront6targetE0EEEvSK_
	.p2align	8
	.type	_ZN7rocprim17ROCPRIM_400000_NS6detail17trampoline_kernelINS0_14default_configENS1_37merge_sort_block_sort_config_selectorItNS0_10empty_typeEEEZNS1_21merge_sort_block_sortIS3_N6thrust23THRUST_200600_302600_NS6detail15normal_iteratorINS9_10device_ptrItEEEESE_PS5_SF_9comp_mod3ItEEE10hipError_tT0_T1_T2_T3_mRjT4_P12ihipStream_tbNS1_7vsmem_tEEUlT_E_NS1_11comp_targetILNS1_3genE0ELNS1_11target_archE4294967295ELNS1_3gpuE0ELNS1_3repE0EEENS1_30default_config_static_selectorELNS0_4arch9wavefront6targetE0EEEvSK_,@function
_ZN7rocprim17ROCPRIM_400000_NS6detail17trampoline_kernelINS0_14default_configENS1_37merge_sort_block_sort_config_selectorItNS0_10empty_typeEEEZNS1_21merge_sort_block_sortIS3_N6thrust23THRUST_200600_302600_NS6detail15normal_iteratorINS9_10device_ptrItEEEESE_PS5_SF_9comp_mod3ItEEE10hipError_tT0_T1_T2_T3_mRjT4_P12ihipStream_tbNS1_7vsmem_tEEUlT_E_NS1_11comp_targetILNS1_3genE0ELNS1_11target_archE4294967295ELNS1_3gpuE0ELNS1_3repE0EEENS1_30default_config_static_selectorELNS0_4arch9wavefront6targetE0EEEvSK_: ; @_ZN7rocprim17ROCPRIM_400000_NS6detail17trampoline_kernelINS0_14default_configENS1_37merge_sort_block_sort_config_selectorItNS0_10empty_typeEEEZNS1_21merge_sort_block_sortIS3_N6thrust23THRUST_200600_302600_NS6detail15normal_iteratorINS9_10device_ptrItEEEESE_PS5_SF_9comp_mod3ItEEE10hipError_tT0_T1_T2_T3_mRjT4_P12ihipStream_tbNS1_7vsmem_tEEUlT_E_NS1_11comp_targetILNS1_3genE0ELNS1_11target_archE4294967295ELNS1_3gpuE0ELNS1_3repE0EEENS1_30default_config_static_selectorELNS0_4arch9wavefront6targetE0EEEvSK_
; %bb.0:
	.section	.rodata,"a",@progbits
	.p2align	6, 0x0
	.amdhsa_kernel _ZN7rocprim17ROCPRIM_400000_NS6detail17trampoline_kernelINS0_14default_configENS1_37merge_sort_block_sort_config_selectorItNS0_10empty_typeEEEZNS1_21merge_sort_block_sortIS3_N6thrust23THRUST_200600_302600_NS6detail15normal_iteratorINS9_10device_ptrItEEEESE_PS5_SF_9comp_mod3ItEEE10hipError_tT0_T1_T2_T3_mRjT4_P12ihipStream_tbNS1_7vsmem_tEEUlT_E_NS1_11comp_targetILNS1_3genE0ELNS1_11target_archE4294967295ELNS1_3gpuE0ELNS1_3repE0EEENS1_30default_config_static_selectorELNS0_4arch9wavefront6targetE0EEEvSK_
		.amdhsa_group_segment_fixed_size 0
		.amdhsa_private_segment_fixed_size 0
		.amdhsa_kernarg_size 64
		.amdhsa_user_sgpr_count 6
		.amdhsa_user_sgpr_private_segment_buffer 1
		.amdhsa_user_sgpr_dispatch_ptr 0
		.amdhsa_user_sgpr_queue_ptr 0
		.amdhsa_user_sgpr_kernarg_segment_ptr 1
		.amdhsa_user_sgpr_dispatch_id 0
		.amdhsa_user_sgpr_flat_scratch_init 0
		.amdhsa_user_sgpr_private_segment_size 0
		.amdhsa_wavefront_size32 1
		.amdhsa_uses_dynamic_stack 0
		.amdhsa_system_sgpr_private_segment_wavefront_offset 0
		.amdhsa_system_sgpr_workgroup_id_x 1
		.amdhsa_system_sgpr_workgroup_id_y 0
		.amdhsa_system_sgpr_workgroup_id_z 0
		.amdhsa_system_sgpr_workgroup_info 0
		.amdhsa_system_vgpr_workitem_id 0
		.amdhsa_next_free_vgpr 1
		.amdhsa_next_free_sgpr 1
		.amdhsa_reserve_vcc 0
		.amdhsa_reserve_flat_scratch 0
		.amdhsa_float_round_mode_32 0
		.amdhsa_float_round_mode_16_64 0
		.amdhsa_float_denorm_mode_32 3
		.amdhsa_float_denorm_mode_16_64 3
		.amdhsa_dx10_clamp 1
		.amdhsa_ieee_mode 1
		.amdhsa_fp16_overflow 0
		.amdhsa_workgroup_processor_mode 1
		.amdhsa_memory_ordered 1
		.amdhsa_forward_progress 1
		.amdhsa_shared_vgpr_count 0
		.amdhsa_exception_fp_ieee_invalid_op 0
		.amdhsa_exception_fp_denorm_src 0
		.amdhsa_exception_fp_ieee_div_zero 0
		.amdhsa_exception_fp_ieee_overflow 0
		.amdhsa_exception_fp_ieee_underflow 0
		.amdhsa_exception_fp_ieee_inexact 0
		.amdhsa_exception_int_div_zero 0
	.end_amdhsa_kernel
	.section	.text._ZN7rocprim17ROCPRIM_400000_NS6detail17trampoline_kernelINS0_14default_configENS1_37merge_sort_block_sort_config_selectorItNS0_10empty_typeEEEZNS1_21merge_sort_block_sortIS3_N6thrust23THRUST_200600_302600_NS6detail15normal_iteratorINS9_10device_ptrItEEEESE_PS5_SF_9comp_mod3ItEEE10hipError_tT0_T1_T2_T3_mRjT4_P12ihipStream_tbNS1_7vsmem_tEEUlT_E_NS1_11comp_targetILNS1_3genE0ELNS1_11target_archE4294967295ELNS1_3gpuE0ELNS1_3repE0EEENS1_30default_config_static_selectorELNS0_4arch9wavefront6targetE0EEEvSK_,"axG",@progbits,_ZN7rocprim17ROCPRIM_400000_NS6detail17trampoline_kernelINS0_14default_configENS1_37merge_sort_block_sort_config_selectorItNS0_10empty_typeEEEZNS1_21merge_sort_block_sortIS3_N6thrust23THRUST_200600_302600_NS6detail15normal_iteratorINS9_10device_ptrItEEEESE_PS5_SF_9comp_mod3ItEEE10hipError_tT0_T1_T2_T3_mRjT4_P12ihipStream_tbNS1_7vsmem_tEEUlT_E_NS1_11comp_targetILNS1_3genE0ELNS1_11target_archE4294967295ELNS1_3gpuE0ELNS1_3repE0EEENS1_30default_config_static_selectorELNS0_4arch9wavefront6targetE0EEEvSK_,comdat
.Lfunc_end864:
	.size	_ZN7rocprim17ROCPRIM_400000_NS6detail17trampoline_kernelINS0_14default_configENS1_37merge_sort_block_sort_config_selectorItNS0_10empty_typeEEEZNS1_21merge_sort_block_sortIS3_N6thrust23THRUST_200600_302600_NS6detail15normal_iteratorINS9_10device_ptrItEEEESE_PS5_SF_9comp_mod3ItEEE10hipError_tT0_T1_T2_T3_mRjT4_P12ihipStream_tbNS1_7vsmem_tEEUlT_E_NS1_11comp_targetILNS1_3genE0ELNS1_11target_archE4294967295ELNS1_3gpuE0ELNS1_3repE0EEENS1_30default_config_static_selectorELNS0_4arch9wavefront6targetE0EEEvSK_, .Lfunc_end864-_ZN7rocprim17ROCPRIM_400000_NS6detail17trampoline_kernelINS0_14default_configENS1_37merge_sort_block_sort_config_selectorItNS0_10empty_typeEEEZNS1_21merge_sort_block_sortIS3_N6thrust23THRUST_200600_302600_NS6detail15normal_iteratorINS9_10device_ptrItEEEESE_PS5_SF_9comp_mod3ItEEE10hipError_tT0_T1_T2_T3_mRjT4_P12ihipStream_tbNS1_7vsmem_tEEUlT_E_NS1_11comp_targetILNS1_3genE0ELNS1_11target_archE4294967295ELNS1_3gpuE0ELNS1_3repE0EEENS1_30default_config_static_selectorELNS0_4arch9wavefront6targetE0EEEvSK_
                                        ; -- End function
	.set _ZN7rocprim17ROCPRIM_400000_NS6detail17trampoline_kernelINS0_14default_configENS1_37merge_sort_block_sort_config_selectorItNS0_10empty_typeEEEZNS1_21merge_sort_block_sortIS3_N6thrust23THRUST_200600_302600_NS6detail15normal_iteratorINS9_10device_ptrItEEEESE_PS5_SF_9comp_mod3ItEEE10hipError_tT0_T1_T2_T3_mRjT4_P12ihipStream_tbNS1_7vsmem_tEEUlT_E_NS1_11comp_targetILNS1_3genE0ELNS1_11target_archE4294967295ELNS1_3gpuE0ELNS1_3repE0EEENS1_30default_config_static_selectorELNS0_4arch9wavefront6targetE0EEEvSK_.num_vgpr, 0
	.set _ZN7rocprim17ROCPRIM_400000_NS6detail17trampoline_kernelINS0_14default_configENS1_37merge_sort_block_sort_config_selectorItNS0_10empty_typeEEEZNS1_21merge_sort_block_sortIS3_N6thrust23THRUST_200600_302600_NS6detail15normal_iteratorINS9_10device_ptrItEEEESE_PS5_SF_9comp_mod3ItEEE10hipError_tT0_T1_T2_T3_mRjT4_P12ihipStream_tbNS1_7vsmem_tEEUlT_E_NS1_11comp_targetILNS1_3genE0ELNS1_11target_archE4294967295ELNS1_3gpuE0ELNS1_3repE0EEENS1_30default_config_static_selectorELNS0_4arch9wavefront6targetE0EEEvSK_.num_agpr, 0
	.set _ZN7rocprim17ROCPRIM_400000_NS6detail17trampoline_kernelINS0_14default_configENS1_37merge_sort_block_sort_config_selectorItNS0_10empty_typeEEEZNS1_21merge_sort_block_sortIS3_N6thrust23THRUST_200600_302600_NS6detail15normal_iteratorINS9_10device_ptrItEEEESE_PS5_SF_9comp_mod3ItEEE10hipError_tT0_T1_T2_T3_mRjT4_P12ihipStream_tbNS1_7vsmem_tEEUlT_E_NS1_11comp_targetILNS1_3genE0ELNS1_11target_archE4294967295ELNS1_3gpuE0ELNS1_3repE0EEENS1_30default_config_static_selectorELNS0_4arch9wavefront6targetE0EEEvSK_.numbered_sgpr, 0
	.set _ZN7rocprim17ROCPRIM_400000_NS6detail17trampoline_kernelINS0_14default_configENS1_37merge_sort_block_sort_config_selectorItNS0_10empty_typeEEEZNS1_21merge_sort_block_sortIS3_N6thrust23THRUST_200600_302600_NS6detail15normal_iteratorINS9_10device_ptrItEEEESE_PS5_SF_9comp_mod3ItEEE10hipError_tT0_T1_T2_T3_mRjT4_P12ihipStream_tbNS1_7vsmem_tEEUlT_E_NS1_11comp_targetILNS1_3genE0ELNS1_11target_archE4294967295ELNS1_3gpuE0ELNS1_3repE0EEENS1_30default_config_static_selectorELNS0_4arch9wavefront6targetE0EEEvSK_.num_named_barrier, 0
	.set _ZN7rocprim17ROCPRIM_400000_NS6detail17trampoline_kernelINS0_14default_configENS1_37merge_sort_block_sort_config_selectorItNS0_10empty_typeEEEZNS1_21merge_sort_block_sortIS3_N6thrust23THRUST_200600_302600_NS6detail15normal_iteratorINS9_10device_ptrItEEEESE_PS5_SF_9comp_mod3ItEEE10hipError_tT0_T1_T2_T3_mRjT4_P12ihipStream_tbNS1_7vsmem_tEEUlT_E_NS1_11comp_targetILNS1_3genE0ELNS1_11target_archE4294967295ELNS1_3gpuE0ELNS1_3repE0EEENS1_30default_config_static_selectorELNS0_4arch9wavefront6targetE0EEEvSK_.private_seg_size, 0
	.set _ZN7rocprim17ROCPRIM_400000_NS6detail17trampoline_kernelINS0_14default_configENS1_37merge_sort_block_sort_config_selectorItNS0_10empty_typeEEEZNS1_21merge_sort_block_sortIS3_N6thrust23THRUST_200600_302600_NS6detail15normal_iteratorINS9_10device_ptrItEEEESE_PS5_SF_9comp_mod3ItEEE10hipError_tT0_T1_T2_T3_mRjT4_P12ihipStream_tbNS1_7vsmem_tEEUlT_E_NS1_11comp_targetILNS1_3genE0ELNS1_11target_archE4294967295ELNS1_3gpuE0ELNS1_3repE0EEENS1_30default_config_static_selectorELNS0_4arch9wavefront6targetE0EEEvSK_.uses_vcc, 0
	.set _ZN7rocprim17ROCPRIM_400000_NS6detail17trampoline_kernelINS0_14default_configENS1_37merge_sort_block_sort_config_selectorItNS0_10empty_typeEEEZNS1_21merge_sort_block_sortIS3_N6thrust23THRUST_200600_302600_NS6detail15normal_iteratorINS9_10device_ptrItEEEESE_PS5_SF_9comp_mod3ItEEE10hipError_tT0_T1_T2_T3_mRjT4_P12ihipStream_tbNS1_7vsmem_tEEUlT_E_NS1_11comp_targetILNS1_3genE0ELNS1_11target_archE4294967295ELNS1_3gpuE0ELNS1_3repE0EEENS1_30default_config_static_selectorELNS0_4arch9wavefront6targetE0EEEvSK_.uses_flat_scratch, 0
	.set _ZN7rocprim17ROCPRIM_400000_NS6detail17trampoline_kernelINS0_14default_configENS1_37merge_sort_block_sort_config_selectorItNS0_10empty_typeEEEZNS1_21merge_sort_block_sortIS3_N6thrust23THRUST_200600_302600_NS6detail15normal_iteratorINS9_10device_ptrItEEEESE_PS5_SF_9comp_mod3ItEEE10hipError_tT0_T1_T2_T3_mRjT4_P12ihipStream_tbNS1_7vsmem_tEEUlT_E_NS1_11comp_targetILNS1_3genE0ELNS1_11target_archE4294967295ELNS1_3gpuE0ELNS1_3repE0EEENS1_30default_config_static_selectorELNS0_4arch9wavefront6targetE0EEEvSK_.has_dyn_sized_stack, 0
	.set _ZN7rocprim17ROCPRIM_400000_NS6detail17trampoline_kernelINS0_14default_configENS1_37merge_sort_block_sort_config_selectorItNS0_10empty_typeEEEZNS1_21merge_sort_block_sortIS3_N6thrust23THRUST_200600_302600_NS6detail15normal_iteratorINS9_10device_ptrItEEEESE_PS5_SF_9comp_mod3ItEEE10hipError_tT0_T1_T2_T3_mRjT4_P12ihipStream_tbNS1_7vsmem_tEEUlT_E_NS1_11comp_targetILNS1_3genE0ELNS1_11target_archE4294967295ELNS1_3gpuE0ELNS1_3repE0EEENS1_30default_config_static_selectorELNS0_4arch9wavefront6targetE0EEEvSK_.has_recursion, 0
	.set _ZN7rocprim17ROCPRIM_400000_NS6detail17trampoline_kernelINS0_14default_configENS1_37merge_sort_block_sort_config_selectorItNS0_10empty_typeEEEZNS1_21merge_sort_block_sortIS3_N6thrust23THRUST_200600_302600_NS6detail15normal_iteratorINS9_10device_ptrItEEEESE_PS5_SF_9comp_mod3ItEEE10hipError_tT0_T1_T2_T3_mRjT4_P12ihipStream_tbNS1_7vsmem_tEEUlT_E_NS1_11comp_targetILNS1_3genE0ELNS1_11target_archE4294967295ELNS1_3gpuE0ELNS1_3repE0EEENS1_30default_config_static_selectorELNS0_4arch9wavefront6targetE0EEEvSK_.has_indirect_call, 0
	.section	.AMDGPU.csdata,"",@progbits
; Kernel info:
; codeLenInByte = 0
; TotalNumSgprs: 0
; NumVgprs: 0
; ScratchSize: 0
; MemoryBound: 0
; FloatMode: 240
; IeeeMode: 1
; LDSByteSize: 0 bytes/workgroup (compile time only)
; SGPRBlocks: 0
; VGPRBlocks: 0
; NumSGPRsForWavesPerEU: 1
; NumVGPRsForWavesPerEU: 1
; Occupancy: 16
; WaveLimiterHint : 0
; COMPUTE_PGM_RSRC2:SCRATCH_EN: 0
; COMPUTE_PGM_RSRC2:USER_SGPR: 6
; COMPUTE_PGM_RSRC2:TRAP_HANDLER: 0
; COMPUTE_PGM_RSRC2:TGID_X_EN: 1
; COMPUTE_PGM_RSRC2:TGID_Y_EN: 0
; COMPUTE_PGM_RSRC2:TGID_Z_EN: 0
; COMPUTE_PGM_RSRC2:TIDIG_COMP_CNT: 0
	.section	.text._ZN7rocprim17ROCPRIM_400000_NS6detail17trampoline_kernelINS0_14default_configENS1_37merge_sort_block_sort_config_selectorItNS0_10empty_typeEEEZNS1_21merge_sort_block_sortIS3_N6thrust23THRUST_200600_302600_NS6detail15normal_iteratorINS9_10device_ptrItEEEESE_PS5_SF_9comp_mod3ItEEE10hipError_tT0_T1_T2_T3_mRjT4_P12ihipStream_tbNS1_7vsmem_tEEUlT_E_NS1_11comp_targetILNS1_3genE5ELNS1_11target_archE942ELNS1_3gpuE9ELNS1_3repE0EEENS1_30default_config_static_selectorELNS0_4arch9wavefront6targetE0EEEvSK_,"axG",@progbits,_ZN7rocprim17ROCPRIM_400000_NS6detail17trampoline_kernelINS0_14default_configENS1_37merge_sort_block_sort_config_selectorItNS0_10empty_typeEEEZNS1_21merge_sort_block_sortIS3_N6thrust23THRUST_200600_302600_NS6detail15normal_iteratorINS9_10device_ptrItEEEESE_PS5_SF_9comp_mod3ItEEE10hipError_tT0_T1_T2_T3_mRjT4_P12ihipStream_tbNS1_7vsmem_tEEUlT_E_NS1_11comp_targetILNS1_3genE5ELNS1_11target_archE942ELNS1_3gpuE9ELNS1_3repE0EEENS1_30default_config_static_selectorELNS0_4arch9wavefront6targetE0EEEvSK_,comdat
	.protected	_ZN7rocprim17ROCPRIM_400000_NS6detail17trampoline_kernelINS0_14default_configENS1_37merge_sort_block_sort_config_selectorItNS0_10empty_typeEEEZNS1_21merge_sort_block_sortIS3_N6thrust23THRUST_200600_302600_NS6detail15normal_iteratorINS9_10device_ptrItEEEESE_PS5_SF_9comp_mod3ItEEE10hipError_tT0_T1_T2_T3_mRjT4_P12ihipStream_tbNS1_7vsmem_tEEUlT_E_NS1_11comp_targetILNS1_3genE5ELNS1_11target_archE942ELNS1_3gpuE9ELNS1_3repE0EEENS1_30default_config_static_selectorELNS0_4arch9wavefront6targetE0EEEvSK_ ; -- Begin function _ZN7rocprim17ROCPRIM_400000_NS6detail17trampoline_kernelINS0_14default_configENS1_37merge_sort_block_sort_config_selectorItNS0_10empty_typeEEEZNS1_21merge_sort_block_sortIS3_N6thrust23THRUST_200600_302600_NS6detail15normal_iteratorINS9_10device_ptrItEEEESE_PS5_SF_9comp_mod3ItEEE10hipError_tT0_T1_T2_T3_mRjT4_P12ihipStream_tbNS1_7vsmem_tEEUlT_E_NS1_11comp_targetILNS1_3genE5ELNS1_11target_archE942ELNS1_3gpuE9ELNS1_3repE0EEENS1_30default_config_static_selectorELNS0_4arch9wavefront6targetE0EEEvSK_
	.globl	_ZN7rocprim17ROCPRIM_400000_NS6detail17trampoline_kernelINS0_14default_configENS1_37merge_sort_block_sort_config_selectorItNS0_10empty_typeEEEZNS1_21merge_sort_block_sortIS3_N6thrust23THRUST_200600_302600_NS6detail15normal_iteratorINS9_10device_ptrItEEEESE_PS5_SF_9comp_mod3ItEEE10hipError_tT0_T1_T2_T3_mRjT4_P12ihipStream_tbNS1_7vsmem_tEEUlT_E_NS1_11comp_targetILNS1_3genE5ELNS1_11target_archE942ELNS1_3gpuE9ELNS1_3repE0EEENS1_30default_config_static_selectorELNS0_4arch9wavefront6targetE0EEEvSK_
	.p2align	8
	.type	_ZN7rocprim17ROCPRIM_400000_NS6detail17trampoline_kernelINS0_14default_configENS1_37merge_sort_block_sort_config_selectorItNS0_10empty_typeEEEZNS1_21merge_sort_block_sortIS3_N6thrust23THRUST_200600_302600_NS6detail15normal_iteratorINS9_10device_ptrItEEEESE_PS5_SF_9comp_mod3ItEEE10hipError_tT0_T1_T2_T3_mRjT4_P12ihipStream_tbNS1_7vsmem_tEEUlT_E_NS1_11comp_targetILNS1_3genE5ELNS1_11target_archE942ELNS1_3gpuE9ELNS1_3repE0EEENS1_30default_config_static_selectorELNS0_4arch9wavefront6targetE0EEEvSK_,@function
_ZN7rocprim17ROCPRIM_400000_NS6detail17trampoline_kernelINS0_14default_configENS1_37merge_sort_block_sort_config_selectorItNS0_10empty_typeEEEZNS1_21merge_sort_block_sortIS3_N6thrust23THRUST_200600_302600_NS6detail15normal_iteratorINS9_10device_ptrItEEEESE_PS5_SF_9comp_mod3ItEEE10hipError_tT0_T1_T2_T3_mRjT4_P12ihipStream_tbNS1_7vsmem_tEEUlT_E_NS1_11comp_targetILNS1_3genE5ELNS1_11target_archE942ELNS1_3gpuE9ELNS1_3repE0EEENS1_30default_config_static_selectorELNS0_4arch9wavefront6targetE0EEEvSK_: ; @_ZN7rocprim17ROCPRIM_400000_NS6detail17trampoline_kernelINS0_14default_configENS1_37merge_sort_block_sort_config_selectorItNS0_10empty_typeEEEZNS1_21merge_sort_block_sortIS3_N6thrust23THRUST_200600_302600_NS6detail15normal_iteratorINS9_10device_ptrItEEEESE_PS5_SF_9comp_mod3ItEEE10hipError_tT0_T1_T2_T3_mRjT4_P12ihipStream_tbNS1_7vsmem_tEEUlT_E_NS1_11comp_targetILNS1_3genE5ELNS1_11target_archE942ELNS1_3gpuE9ELNS1_3repE0EEENS1_30default_config_static_selectorELNS0_4arch9wavefront6targetE0EEEvSK_
; %bb.0:
	.section	.rodata,"a",@progbits
	.p2align	6, 0x0
	.amdhsa_kernel _ZN7rocprim17ROCPRIM_400000_NS6detail17trampoline_kernelINS0_14default_configENS1_37merge_sort_block_sort_config_selectorItNS0_10empty_typeEEEZNS1_21merge_sort_block_sortIS3_N6thrust23THRUST_200600_302600_NS6detail15normal_iteratorINS9_10device_ptrItEEEESE_PS5_SF_9comp_mod3ItEEE10hipError_tT0_T1_T2_T3_mRjT4_P12ihipStream_tbNS1_7vsmem_tEEUlT_E_NS1_11comp_targetILNS1_3genE5ELNS1_11target_archE942ELNS1_3gpuE9ELNS1_3repE0EEENS1_30default_config_static_selectorELNS0_4arch9wavefront6targetE0EEEvSK_
		.amdhsa_group_segment_fixed_size 0
		.amdhsa_private_segment_fixed_size 0
		.amdhsa_kernarg_size 64
		.amdhsa_user_sgpr_count 6
		.amdhsa_user_sgpr_private_segment_buffer 1
		.amdhsa_user_sgpr_dispatch_ptr 0
		.amdhsa_user_sgpr_queue_ptr 0
		.amdhsa_user_sgpr_kernarg_segment_ptr 1
		.amdhsa_user_sgpr_dispatch_id 0
		.amdhsa_user_sgpr_flat_scratch_init 0
		.amdhsa_user_sgpr_private_segment_size 0
		.amdhsa_wavefront_size32 1
		.amdhsa_uses_dynamic_stack 0
		.amdhsa_system_sgpr_private_segment_wavefront_offset 0
		.amdhsa_system_sgpr_workgroup_id_x 1
		.amdhsa_system_sgpr_workgroup_id_y 0
		.amdhsa_system_sgpr_workgroup_id_z 0
		.amdhsa_system_sgpr_workgroup_info 0
		.amdhsa_system_vgpr_workitem_id 0
		.amdhsa_next_free_vgpr 1
		.amdhsa_next_free_sgpr 1
		.amdhsa_reserve_vcc 0
		.amdhsa_reserve_flat_scratch 0
		.amdhsa_float_round_mode_32 0
		.amdhsa_float_round_mode_16_64 0
		.amdhsa_float_denorm_mode_32 3
		.amdhsa_float_denorm_mode_16_64 3
		.amdhsa_dx10_clamp 1
		.amdhsa_ieee_mode 1
		.amdhsa_fp16_overflow 0
		.amdhsa_workgroup_processor_mode 1
		.amdhsa_memory_ordered 1
		.amdhsa_forward_progress 1
		.amdhsa_shared_vgpr_count 0
		.amdhsa_exception_fp_ieee_invalid_op 0
		.amdhsa_exception_fp_denorm_src 0
		.amdhsa_exception_fp_ieee_div_zero 0
		.amdhsa_exception_fp_ieee_overflow 0
		.amdhsa_exception_fp_ieee_underflow 0
		.amdhsa_exception_fp_ieee_inexact 0
		.amdhsa_exception_int_div_zero 0
	.end_amdhsa_kernel
	.section	.text._ZN7rocprim17ROCPRIM_400000_NS6detail17trampoline_kernelINS0_14default_configENS1_37merge_sort_block_sort_config_selectorItNS0_10empty_typeEEEZNS1_21merge_sort_block_sortIS3_N6thrust23THRUST_200600_302600_NS6detail15normal_iteratorINS9_10device_ptrItEEEESE_PS5_SF_9comp_mod3ItEEE10hipError_tT0_T1_T2_T3_mRjT4_P12ihipStream_tbNS1_7vsmem_tEEUlT_E_NS1_11comp_targetILNS1_3genE5ELNS1_11target_archE942ELNS1_3gpuE9ELNS1_3repE0EEENS1_30default_config_static_selectorELNS0_4arch9wavefront6targetE0EEEvSK_,"axG",@progbits,_ZN7rocprim17ROCPRIM_400000_NS6detail17trampoline_kernelINS0_14default_configENS1_37merge_sort_block_sort_config_selectorItNS0_10empty_typeEEEZNS1_21merge_sort_block_sortIS3_N6thrust23THRUST_200600_302600_NS6detail15normal_iteratorINS9_10device_ptrItEEEESE_PS5_SF_9comp_mod3ItEEE10hipError_tT0_T1_T2_T3_mRjT4_P12ihipStream_tbNS1_7vsmem_tEEUlT_E_NS1_11comp_targetILNS1_3genE5ELNS1_11target_archE942ELNS1_3gpuE9ELNS1_3repE0EEENS1_30default_config_static_selectorELNS0_4arch9wavefront6targetE0EEEvSK_,comdat
.Lfunc_end865:
	.size	_ZN7rocprim17ROCPRIM_400000_NS6detail17trampoline_kernelINS0_14default_configENS1_37merge_sort_block_sort_config_selectorItNS0_10empty_typeEEEZNS1_21merge_sort_block_sortIS3_N6thrust23THRUST_200600_302600_NS6detail15normal_iteratorINS9_10device_ptrItEEEESE_PS5_SF_9comp_mod3ItEEE10hipError_tT0_T1_T2_T3_mRjT4_P12ihipStream_tbNS1_7vsmem_tEEUlT_E_NS1_11comp_targetILNS1_3genE5ELNS1_11target_archE942ELNS1_3gpuE9ELNS1_3repE0EEENS1_30default_config_static_selectorELNS0_4arch9wavefront6targetE0EEEvSK_, .Lfunc_end865-_ZN7rocprim17ROCPRIM_400000_NS6detail17trampoline_kernelINS0_14default_configENS1_37merge_sort_block_sort_config_selectorItNS0_10empty_typeEEEZNS1_21merge_sort_block_sortIS3_N6thrust23THRUST_200600_302600_NS6detail15normal_iteratorINS9_10device_ptrItEEEESE_PS5_SF_9comp_mod3ItEEE10hipError_tT0_T1_T2_T3_mRjT4_P12ihipStream_tbNS1_7vsmem_tEEUlT_E_NS1_11comp_targetILNS1_3genE5ELNS1_11target_archE942ELNS1_3gpuE9ELNS1_3repE0EEENS1_30default_config_static_selectorELNS0_4arch9wavefront6targetE0EEEvSK_
                                        ; -- End function
	.set _ZN7rocprim17ROCPRIM_400000_NS6detail17trampoline_kernelINS0_14default_configENS1_37merge_sort_block_sort_config_selectorItNS0_10empty_typeEEEZNS1_21merge_sort_block_sortIS3_N6thrust23THRUST_200600_302600_NS6detail15normal_iteratorINS9_10device_ptrItEEEESE_PS5_SF_9comp_mod3ItEEE10hipError_tT0_T1_T2_T3_mRjT4_P12ihipStream_tbNS1_7vsmem_tEEUlT_E_NS1_11comp_targetILNS1_3genE5ELNS1_11target_archE942ELNS1_3gpuE9ELNS1_3repE0EEENS1_30default_config_static_selectorELNS0_4arch9wavefront6targetE0EEEvSK_.num_vgpr, 0
	.set _ZN7rocprim17ROCPRIM_400000_NS6detail17trampoline_kernelINS0_14default_configENS1_37merge_sort_block_sort_config_selectorItNS0_10empty_typeEEEZNS1_21merge_sort_block_sortIS3_N6thrust23THRUST_200600_302600_NS6detail15normal_iteratorINS9_10device_ptrItEEEESE_PS5_SF_9comp_mod3ItEEE10hipError_tT0_T1_T2_T3_mRjT4_P12ihipStream_tbNS1_7vsmem_tEEUlT_E_NS1_11comp_targetILNS1_3genE5ELNS1_11target_archE942ELNS1_3gpuE9ELNS1_3repE0EEENS1_30default_config_static_selectorELNS0_4arch9wavefront6targetE0EEEvSK_.num_agpr, 0
	.set _ZN7rocprim17ROCPRIM_400000_NS6detail17trampoline_kernelINS0_14default_configENS1_37merge_sort_block_sort_config_selectorItNS0_10empty_typeEEEZNS1_21merge_sort_block_sortIS3_N6thrust23THRUST_200600_302600_NS6detail15normal_iteratorINS9_10device_ptrItEEEESE_PS5_SF_9comp_mod3ItEEE10hipError_tT0_T1_T2_T3_mRjT4_P12ihipStream_tbNS1_7vsmem_tEEUlT_E_NS1_11comp_targetILNS1_3genE5ELNS1_11target_archE942ELNS1_3gpuE9ELNS1_3repE0EEENS1_30default_config_static_selectorELNS0_4arch9wavefront6targetE0EEEvSK_.numbered_sgpr, 0
	.set _ZN7rocprim17ROCPRIM_400000_NS6detail17trampoline_kernelINS0_14default_configENS1_37merge_sort_block_sort_config_selectorItNS0_10empty_typeEEEZNS1_21merge_sort_block_sortIS3_N6thrust23THRUST_200600_302600_NS6detail15normal_iteratorINS9_10device_ptrItEEEESE_PS5_SF_9comp_mod3ItEEE10hipError_tT0_T1_T2_T3_mRjT4_P12ihipStream_tbNS1_7vsmem_tEEUlT_E_NS1_11comp_targetILNS1_3genE5ELNS1_11target_archE942ELNS1_3gpuE9ELNS1_3repE0EEENS1_30default_config_static_selectorELNS0_4arch9wavefront6targetE0EEEvSK_.num_named_barrier, 0
	.set _ZN7rocprim17ROCPRIM_400000_NS6detail17trampoline_kernelINS0_14default_configENS1_37merge_sort_block_sort_config_selectorItNS0_10empty_typeEEEZNS1_21merge_sort_block_sortIS3_N6thrust23THRUST_200600_302600_NS6detail15normal_iteratorINS9_10device_ptrItEEEESE_PS5_SF_9comp_mod3ItEEE10hipError_tT0_T1_T2_T3_mRjT4_P12ihipStream_tbNS1_7vsmem_tEEUlT_E_NS1_11comp_targetILNS1_3genE5ELNS1_11target_archE942ELNS1_3gpuE9ELNS1_3repE0EEENS1_30default_config_static_selectorELNS0_4arch9wavefront6targetE0EEEvSK_.private_seg_size, 0
	.set _ZN7rocprim17ROCPRIM_400000_NS6detail17trampoline_kernelINS0_14default_configENS1_37merge_sort_block_sort_config_selectorItNS0_10empty_typeEEEZNS1_21merge_sort_block_sortIS3_N6thrust23THRUST_200600_302600_NS6detail15normal_iteratorINS9_10device_ptrItEEEESE_PS5_SF_9comp_mod3ItEEE10hipError_tT0_T1_T2_T3_mRjT4_P12ihipStream_tbNS1_7vsmem_tEEUlT_E_NS1_11comp_targetILNS1_3genE5ELNS1_11target_archE942ELNS1_3gpuE9ELNS1_3repE0EEENS1_30default_config_static_selectorELNS0_4arch9wavefront6targetE0EEEvSK_.uses_vcc, 0
	.set _ZN7rocprim17ROCPRIM_400000_NS6detail17trampoline_kernelINS0_14default_configENS1_37merge_sort_block_sort_config_selectorItNS0_10empty_typeEEEZNS1_21merge_sort_block_sortIS3_N6thrust23THRUST_200600_302600_NS6detail15normal_iteratorINS9_10device_ptrItEEEESE_PS5_SF_9comp_mod3ItEEE10hipError_tT0_T1_T2_T3_mRjT4_P12ihipStream_tbNS1_7vsmem_tEEUlT_E_NS1_11comp_targetILNS1_3genE5ELNS1_11target_archE942ELNS1_3gpuE9ELNS1_3repE0EEENS1_30default_config_static_selectorELNS0_4arch9wavefront6targetE0EEEvSK_.uses_flat_scratch, 0
	.set _ZN7rocprim17ROCPRIM_400000_NS6detail17trampoline_kernelINS0_14default_configENS1_37merge_sort_block_sort_config_selectorItNS0_10empty_typeEEEZNS1_21merge_sort_block_sortIS3_N6thrust23THRUST_200600_302600_NS6detail15normal_iteratorINS9_10device_ptrItEEEESE_PS5_SF_9comp_mod3ItEEE10hipError_tT0_T1_T2_T3_mRjT4_P12ihipStream_tbNS1_7vsmem_tEEUlT_E_NS1_11comp_targetILNS1_3genE5ELNS1_11target_archE942ELNS1_3gpuE9ELNS1_3repE0EEENS1_30default_config_static_selectorELNS0_4arch9wavefront6targetE0EEEvSK_.has_dyn_sized_stack, 0
	.set _ZN7rocprim17ROCPRIM_400000_NS6detail17trampoline_kernelINS0_14default_configENS1_37merge_sort_block_sort_config_selectorItNS0_10empty_typeEEEZNS1_21merge_sort_block_sortIS3_N6thrust23THRUST_200600_302600_NS6detail15normal_iteratorINS9_10device_ptrItEEEESE_PS5_SF_9comp_mod3ItEEE10hipError_tT0_T1_T2_T3_mRjT4_P12ihipStream_tbNS1_7vsmem_tEEUlT_E_NS1_11comp_targetILNS1_3genE5ELNS1_11target_archE942ELNS1_3gpuE9ELNS1_3repE0EEENS1_30default_config_static_selectorELNS0_4arch9wavefront6targetE0EEEvSK_.has_recursion, 0
	.set _ZN7rocprim17ROCPRIM_400000_NS6detail17trampoline_kernelINS0_14default_configENS1_37merge_sort_block_sort_config_selectorItNS0_10empty_typeEEEZNS1_21merge_sort_block_sortIS3_N6thrust23THRUST_200600_302600_NS6detail15normal_iteratorINS9_10device_ptrItEEEESE_PS5_SF_9comp_mod3ItEEE10hipError_tT0_T1_T2_T3_mRjT4_P12ihipStream_tbNS1_7vsmem_tEEUlT_E_NS1_11comp_targetILNS1_3genE5ELNS1_11target_archE942ELNS1_3gpuE9ELNS1_3repE0EEENS1_30default_config_static_selectorELNS0_4arch9wavefront6targetE0EEEvSK_.has_indirect_call, 0
	.section	.AMDGPU.csdata,"",@progbits
; Kernel info:
; codeLenInByte = 0
; TotalNumSgprs: 0
; NumVgprs: 0
; ScratchSize: 0
; MemoryBound: 0
; FloatMode: 240
; IeeeMode: 1
; LDSByteSize: 0 bytes/workgroup (compile time only)
; SGPRBlocks: 0
; VGPRBlocks: 0
; NumSGPRsForWavesPerEU: 1
; NumVGPRsForWavesPerEU: 1
; Occupancy: 16
; WaveLimiterHint : 0
; COMPUTE_PGM_RSRC2:SCRATCH_EN: 0
; COMPUTE_PGM_RSRC2:USER_SGPR: 6
; COMPUTE_PGM_RSRC2:TRAP_HANDLER: 0
; COMPUTE_PGM_RSRC2:TGID_X_EN: 1
; COMPUTE_PGM_RSRC2:TGID_Y_EN: 0
; COMPUTE_PGM_RSRC2:TGID_Z_EN: 0
; COMPUTE_PGM_RSRC2:TIDIG_COMP_CNT: 0
	.section	.text._ZN7rocprim17ROCPRIM_400000_NS6detail17trampoline_kernelINS0_14default_configENS1_37merge_sort_block_sort_config_selectorItNS0_10empty_typeEEEZNS1_21merge_sort_block_sortIS3_N6thrust23THRUST_200600_302600_NS6detail15normal_iteratorINS9_10device_ptrItEEEESE_PS5_SF_9comp_mod3ItEEE10hipError_tT0_T1_T2_T3_mRjT4_P12ihipStream_tbNS1_7vsmem_tEEUlT_E_NS1_11comp_targetILNS1_3genE4ELNS1_11target_archE910ELNS1_3gpuE8ELNS1_3repE0EEENS1_30default_config_static_selectorELNS0_4arch9wavefront6targetE0EEEvSK_,"axG",@progbits,_ZN7rocprim17ROCPRIM_400000_NS6detail17trampoline_kernelINS0_14default_configENS1_37merge_sort_block_sort_config_selectorItNS0_10empty_typeEEEZNS1_21merge_sort_block_sortIS3_N6thrust23THRUST_200600_302600_NS6detail15normal_iteratorINS9_10device_ptrItEEEESE_PS5_SF_9comp_mod3ItEEE10hipError_tT0_T1_T2_T3_mRjT4_P12ihipStream_tbNS1_7vsmem_tEEUlT_E_NS1_11comp_targetILNS1_3genE4ELNS1_11target_archE910ELNS1_3gpuE8ELNS1_3repE0EEENS1_30default_config_static_selectorELNS0_4arch9wavefront6targetE0EEEvSK_,comdat
	.protected	_ZN7rocprim17ROCPRIM_400000_NS6detail17trampoline_kernelINS0_14default_configENS1_37merge_sort_block_sort_config_selectorItNS0_10empty_typeEEEZNS1_21merge_sort_block_sortIS3_N6thrust23THRUST_200600_302600_NS6detail15normal_iteratorINS9_10device_ptrItEEEESE_PS5_SF_9comp_mod3ItEEE10hipError_tT0_T1_T2_T3_mRjT4_P12ihipStream_tbNS1_7vsmem_tEEUlT_E_NS1_11comp_targetILNS1_3genE4ELNS1_11target_archE910ELNS1_3gpuE8ELNS1_3repE0EEENS1_30default_config_static_selectorELNS0_4arch9wavefront6targetE0EEEvSK_ ; -- Begin function _ZN7rocprim17ROCPRIM_400000_NS6detail17trampoline_kernelINS0_14default_configENS1_37merge_sort_block_sort_config_selectorItNS0_10empty_typeEEEZNS1_21merge_sort_block_sortIS3_N6thrust23THRUST_200600_302600_NS6detail15normal_iteratorINS9_10device_ptrItEEEESE_PS5_SF_9comp_mod3ItEEE10hipError_tT0_T1_T2_T3_mRjT4_P12ihipStream_tbNS1_7vsmem_tEEUlT_E_NS1_11comp_targetILNS1_3genE4ELNS1_11target_archE910ELNS1_3gpuE8ELNS1_3repE0EEENS1_30default_config_static_selectorELNS0_4arch9wavefront6targetE0EEEvSK_
	.globl	_ZN7rocprim17ROCPRIM_400000_NS6detail17trampoline_kernelINS0_14default_configENS1_37merge_sort_block_sort_config_selectorItNS0_10empty_typeEEEZNS1_21merge_sort_block_sortIS3_N6thrust23THRUST_200600_302600_NS6detail15normal_iteratorINS9_10device_ptrItEEEESE_PS5_SF_9comp_mod3ItEEE10hipError_tT0_T1_T2_T3_mRjT4_P12ihipStream_tbNS1_7vsmem_tEEUlT_E_NS1_11comp_targetILNS1_3genE4ELNS1_11target_archE910ELNS1_3gpuE8ELNS1_3repE0EEENS1_30default_config_static_selectorELNS0_4arch9wavefront6targetE0EEEvSK_
	.p2align	8
	.type	_ZN7rocprim17ROCPRIM_400000_NS6detail17trampoline_kernelINS0_14default_configENS1_37merge_sort_block_sort_config_selectorItNS0_10empty_typeEEEZNS1_21merge_sort_block_sortIS3_N6thrust23THRUST_200600_302600_NS6detail15normal_iteratorINS9_10device_ptrItEEEESE_PS5_SF_9comp_mod3ItEEE10hipError_tT0_T1_T2_T3_mRjT4_P12ihipStream_tbNS1_7vsmem_tEEUlT_E_NS1_11comp_targetILNS1_3genE4ELNS1_11target_archE910ELNS1_3gpuE8ELNS1_3repE0EEENS1_30default_config_static_selectorELNS0_4arch9wavefront6targetE0EEEvSK_,@function
_ZN7rocprim17ROCPRIM_400000_NS6detail17trampoline_kernelINS0_14default_configENS1_37merge_sort_block_sort_config_selectorItNS0_10empty_typeEEEZNS1_21merge_sort_block_sortIS3_N6thrust23THRUST_200600_302600_NS6detail15normal_iteratorINS9_10device_ptrItEEEESE_PS5_SF_9comp_mod3ItEEE10hipError_tT0_T1_T2_T3_mRjT4_P12ihipStream_tbNS1_7vsmem_tEEUlT_E_NS1_11comp_targetILNS1_3genE4ELNS1_11target_archE910ELNS1_3gpuE8ELNS1_3repE0EEENS1_30default_config_static_selectorELNS0_4arch9wavefront6targetE0EEEvSK_: ; @_ZN7rocprim17ROCPRIM_400000_NS6detail17trampoline_kernelINS0_14default_configENS1_37merge_sort_block_sort_config_selectorItNS0_10empty_typeEEEZNS1_21merge_sort_block_sortIS3_N6thrust23THRUST_200600_302600_NS6detail15normal_iteratorINS9_10device_ptrItEEEESE_PS5_SF_9comp_mod3ItEEE10hipError_tT0_T1_T2_T3_mRjT4_P12ihipStream_tbNS1_7vsmem_tEEUlT_E_NS1_11comp_targetILNS1_3genE4ELNS1_11target_archE910ELNS1_3gpuE8ELNS1_3repE0EEENS1_30default_config_static_selectorELNS0_4arch9wavefront6targetE0EEEvSK_
; %bb.0:
	.section	.rodata,"a",@progbits
	.p2align	6, 0x0
	.amdhsa_kernel _ZN7rocprim17ROCPRIM_400000_NS6detail17trampoline_kernelINS0_14default_configENS1_37merge_sort_block_sort_config_selectorItNS0_10empty_typeEEEZNS1_21merge_sort_block_sortIS3_N6thrust23THRUST_200600_302600_NS6detail15normal_iteratorINS9_10device_ptrItEEEESE_PS5_SF_9comp_mod3ItEEE10hipError_tT0_T1_T2_T3_mRjT4_P12ihipStream_tbNS1_7vsmem_tEEUlT_E_NS1_11comp_targetILNS1_3genE4ELNS1_11target_archE910ELNS1_3gpuE8ELNS1_3repE0EEENS1_30default_config_static_selectorELNS0_4arch9wavefront6targetE0EEEvSK_
		.amdhsa_group_segment_fixed_size 0
		.amdhsa_private_segment_fixed_size 0
		.amdhsa_kernarg_size 64
		.amdhsa_user_sgpr_count 6
		.amdhsa_user_sgpr_private_segment_buffer 1
		.amdhsa_user_sgpr_dispatch_ptr 0
		.amdhsa_user_sgpr_queue_ptr 0
		.amdhsa_user_sgpr_kernarg_segment_ptr 1
		.amdhsa_user_sgpr_dispatch_id 0
		.amdhsa_user_sgpr_flat_scratch_init 0
		.amdhsa_user_sgpr_private_segment_size 0
		.amdhsa_wavefront_size32 1
		.amdhsa_uses_dynamic_stack 0
		.amdhsa_system_sgpr_private_segment_wavefront_offset 0
		.amdhsa_system_sgpr_workgroup_id_x 1
		.amdhsa_system_sgpr_workgroup_id_y 0
		.amdhsa_system_sgpr_workgroup_id_z 0
		.amdhsa_system_sgpr_workgroup_info 0
		.amdhsa_system_vgpr_workitem_id 0
		.amdhsa_next_free_vgpr 1
		.amdhsa_next_free_sgpr 1
		.amdhsa_reserve_vcc 0
		.amdhsa_reserve_flat_scratch 0
		.amdhsa_float_round_mode_32 0
		.amdhsa_float_round_mode_16_64 0
		.amdhsa_float_denorm_mode_32 3
		.amdhsa_float_denorm_mode_16_64 3
		.amdhsa_dx10_clamp 1
		.amdhsa_ieee_mode 1
		.amdhsa_fp16_overflow 0
		.amdhsa_workgroup_processor_mode 1
		.amdhsa_memory_ordered 1
		.amdhsa_forward_progress 1
		.amdhsa_shared_vgpr_count 0
		.amdhsa_exception_fp_ieee_invalid_op 0
		.amdhsa_exception_fp_denorm_src 0
		.amdhsa_exception_fp_ieee_div_zero 0
		.amdhsa_exception_fp_ieee_overflow 0
		.amdhsa_exception_fp_ieee_underflow 0
		.amdhsa_exception_fp_ieee_inexact 0
		.amdhsa_exception_int_div_zero 0
	.end_amdhsa_kernel
	.section	.text._ZN7rocprim17ROCPRIM_400000_NS6detail17trampoline_kernelINS0_14default_configENS1_37merge_sort_block_sort_config_selectorItNS0_10empty_typeEEEZNS1_21merge_sort_block_sortIS3_N6thrust23THRUST_200600_302600_NS6detail15normal_iteratorINS9_10device_ptrItEEEESE_PS5_SF_9comp_mod3ItEEE10hipError_tT0_T1_T2_T3_mRjT4_P12ihipStream_tbNS1_7vsmem_tEEUlT_E_NS1_11comp_targetILNS1_3genE4ELNS1_11target_archE910ELNS1_3gpuE8ELNS1_3repE0EEENS1_30default_config_static_selectorELNS0_4arch9wavefront6targetE0EEEvSK_,"axG",@progbits,_ZN7rocprim17ROCPRIM_400000_NS6detail17trampoline_kernelINS0_14default_configENS1_37merge_sort_block_sort_config_selectorItNS0_10empty_typeEEEZNS1_21merge_sort_block_sortIS3_N6thrust23THRUST_200600_302600_NS6detail15normal_iteratorINS9_10device_ptrItEEEESE_PS5_SF_9comp_mod3ItEEE10hipError_tT0_T1_T2_T3_mRjT4_P12ihipStream_tbNS1_7vsmem_tEEUlT_E_NS1_11comp_targetILNS1_3genE4ELNS1_11target_archE910ELNS1_3gpuE8ELNS1_3repE0EEENS1_30default_config_static_selectorELNS0_4arch9wavefront6targetE0EEEvSK_,comdat
.Lfunc_end866:
	.size	_ZN7rocprim17ROCPRIM_400000_NS6detail17trampoline_kernelINS0_14default_configENS1_37merge_sort_block_sort_config_selectorItNS0_10empty_typeEEEZNS1_21merge_sort_block_sortIS3_N6thrust23THRUST_200600_302600_NS6detail15normal_iteratorINS9_10device_ptrItEEEESE_PS5_SF_9comp_mod3ItEEE10hipError_tT0_T1_T2_T3_mRjT4_P12ihipStream_tbNS1_7vsmem_tEEUlT_E_NS1_11comp_targetILNS1_3genE4ELNS1_11target_archE910ELNS1_3gpuE8ELNS1_3repE0EEENS1_30default_config_static_selectorELNS0_4arch9wavefront6targetE0EEEvSK_, .Lfunc_end866-_ZN7rocprim17ROCPRIM_400000_NS6detail17trampoline_kernelINS0_14default_configENS1_37merge_sort_block_sort_config_selectorItNS0_10empty_typeEEEZNS1_21merge_sort_block_sortIS3_N6thrust23THRUST_200600_302600_NS6detail15normal_iteratorINS9_10device_ptrItEEEESE_PS5_SF_9comp_mod3ItEEE10hipError_tT0_T1_T2_T3_mRjT4_P12ihipStream_tbNS1_7vsmem_tEEUlT_E_NS1_11comp_targetILNS1_3genE4ELNS1_11target_archE910ELNS1_3gpuE8ELNS1_3repE0EEENS1_30default_config_static_selectorELNS0_4arch9wavefront6targetE0EEEvSK_
                                        ; -- End function
	.set _ZN7rocprim17ROCPRIM_400000_NS6detail17trampoline_kernelINS0_14default_configENS1_37merge_sort_block_sort_config_selectorItNS0_10empty_typeEEEZNS1_21merge_sort_block_sortIS3_N6thrust23THRUST_200600_302600_NS6detail15normal_iteratorINS9_10device_ptrItEEEESE_PS5_SF_9comp_mod3ItEEE10hipError_tT0_T1_T2_T3_mRjT4_P12ihipStream_tbNS1_7vsmem_tEEUlT_E_NS1_11comp_targetILNS1_3genE4ELNS1_11target_archE910ELNS1_3gpuE8ELNS1_3repE0EEENS1_30default_config_static_selectorELNS0_4arch9wavefront6targetE0EEEvSK_.num_vgpr, 0
	.set _ZN7rocprim17ROCPRIM_400000_NS6detail17trampoline_kernelINS0_14default_configENS1_37merge_sort_block_sort_config_selectorItNS0_10empty_typeEEEZNS1_21merge_sort_block_sortIS3_N6thrust23THRUST_200600_302600_NS6detail15normal_iteratorINS9_10device_ptrItEEEESE_PS5_SF_9comp_mod3ItEEE10hipError_tT0_T1_T2_T3_mRjT4_P12ihipStream_tbNS1_7vsmem_tEEUlT_E_NS1_11comp_targetILNS1_3genE4ELNS1_11target_archE910ELNS1_3gpuE8ELNS1_3repE0EEENS1_30default_config_static_selectorELNS0_4arch9wavefront6targetE0EEEvSK_.num_agpr, 0
	.set _ZN7rocprim17ROCPRIM_400000_NS6detail17trampoline_kernelINS0_14default_configENS1_37merge_sort_block_sort_config_selectorItNS0_10empty_typeEEEZNS1_21merge_sort_block_sortIS3_N6thrust23THRUST_200600_302600_NS6detail15normal_iteratorINS9_10device_ptrItEEEESE_PS5_SF_9comp_mod3ItEEE10hipError_tT0_T1_T2_T3_mRjT4_P12ihipStream_tbNS1_7vsmem_tEEUlT_E_NS1_11comp_targetILNS1_3genE4ELNS1_11target_archE910ELNS1_3gpuE8ELNS1_3repE0EEENS1_30default_config_static_selectorELNS0_4arch9wavefront6targetE0EEEvSK_.numbered_sgpr, 0
	.set _ZN7rocprim17ROCPRIM_400000_NS6detail17trampoline_kernelINS0_14default_configENS1_37merge_sort_block_sort_config_selectorItNS0_10empty_typeEEEZNS1_21merge_sort_block_sortIS3_N6thrust23THRUST_200600_302600_NS6detail15normal_iteratorINS9_10device_ptrItEEEESE_PS5_SF_9comp_mod3ItEEE10hipError_tT0_T1_T2_T3_mRjT4_P12ihipStream_tbNS1_7vsmem_tEEUlT_E_NS1_11comp_targetILNS1_3genE4ELNS1_11target_archE910ELNS1_3gpuE8ELNS1_3repE0EEENS1_30default_config_static_selectorELNS0_4arch9wavefront6targetE0EEEvSK_.num_named_barrier, 0
	.set _ZN7rocprim17ROCPRIM_400000_NS6detail17trampoline_kernelINS0_14default_configENS1_37merge_sort_block_sort_config_selectorItNS0_10empty_typeEEEZNS1_21merge_sort_block_sortIS3_N6thrust23THRUST_200600_302600_NS6detail15normal_iteratorINS9_10device_ptrItEEEESE_PS5_SF_9comp_mod3ItEEE10hipError_tT0_T1_T2_T3_mRjT4_P12ihipStream_tbNS1_7vsmem_tEEUlT_E_NS1_11comp_targetILNS1_3genE4ELNS1_11target_archE910ELNS1_3gpuE8ELNS1_3repE0EEENS1_30default_config_static_selectorELNS0_4arch9wavefront6targetE0EEEvSK_.private_seg_size, 0
	.set _ZN7rocprim17ROCPRIM_400000_NS6detail17trampoline_kernelINS0_14default_configENS1_37merge_sort_block_sort_config_selectorItNS0_10empty_typeEEEZNS1_21merge_sort_block_sortIS3_N6thrust23THRUST_200600_302600_NS6detail15normal_iteratorINS9_10device_ptrItEEEESE_PS5_SF_9comp_mod3ItEEE10hipError_tT0_T1_T2_T3_mRjT4_P12ihipStream_tbNS1_7vsmem_tEEUlT_E_NS1_11comp_targetILNS1_3genE4ELNS1_11target_archE910ELNS1_3gpuE8ELNS1_3repE0EEENS1_30default_config_static_selectorELNS0_4arch9wavefront6targetE0EEEvSK_.uses_vcc, 0
	.set _ZN7rocprim17ROCPRIM_400000_NS6detail17trampoline_kernelINS0_14default_configENS1_37merge_sort_block_sort_config_selectorItNS0_10empty_typeEEEZNS1_21merge_sort_block_sortIS3_N6thrust23THRUST_200600_302600_NS6detail15normal_iteratorINS9_10device_ptrItEEEESE_PS5_SF_9comp_mod3ItEEE10hipError_tT0_T1_T2_T3_mRjT4_P12ihipStream_tbNS1_7vsmem_tEEUlT_E_NS1_11comp_targetILNS1_3genE4ELNS1_11target_archE910ELNS1_3gpuE8ELNS1_3repE0EEENS1_30default_config_static_selectorELNS0_4arch9wavefront6targetE0EEEvSK_.uses_flat_scratch, 0
	.set _ZN7rocprim17ROCPRIM_400000_NS6detail17trampoline_kernelINS0_14default_configENS1_37merge_sort_block_sort_config_selectorItNS0_10empty_typeEEEZNS1_21merge_sort_block_sortIS3_N6thrust23THRUST_200600_302600_NS6detail15normal_iteratorINS9_10device_ptrItEEEESE_PS5_SF_9comp_mod3ItEEE10hipError_tT0_T1_T2_T3_mRjT4_P12ihipStream_tbNS1_7vsmem_tEEUlT_E_NS1_11comp_targetILNS1_3genE4ELNS1_11target_archE910ELNS1_3gpuE8ELNS1_3repE0EEENS1_30default_config_static_selectorELNS0_4arch9wavefront6targetE0EEEvSK_.has_dyn_sized_stack, 0
	.set _ZN7rocprim17ROCPRIM_400000_NS6detail17trampoline_kernelINS0_14default_configENS1_37merge_sort_block_sort_config_selectorItNS0_10empty_typeEEEZNS1_21merge_sort_block_sortIS3_N6thrust23THRUST_200600_302600_NS6detail15normal_iteratorINS9_10device_ptrItEEEESE_PS5_SF_9comp_mod3ItEEE10hipError_tT0_T1_T2_T3_mRjT4_P12ihipStream_tbNS1_7vsmem_tEEUlT_E_NS1_11comp_targetILNS1_3genE4ELNS1_11target_archE910ELNS1_3gpuE8ELNS1_3repE0EEENS1_30default_config_static_selectorELNS0_4arch9wavefront6targetE0EEEvSK_.has_recursion, 0
	.set _ZN7rocprim17ROCPRIM_400000_NS6detail17trampoline_kernelINS0_14default_configENS1_37merge_sort_block_sort_config_selectorItNS0_10empty_typeEEEZNS1_21merge_sort_block_sortIS3_N6thrust23THRUST_200600_302600_NS6detail15normal_iteratorINS9_10device_ptrItEEEESE_PS5_SF_9comp_mod3ItEEE10hipError_tT0_T1_T2_T3_mRjT4_P12ihipStream_tbNS1_7vsmem_tEEUlT_E_NS1_11comp_targetILNS1_3genE4ELNS1_11target_archE910ELNS1_3gpuE8ELNS1_3repE0EEENS1_30default_config_static_selectorELNS0_4arch9wavefront6targetE0EEEvSK_.has_indirect_call, 0
	.section	.AMDGPU.csdata,"",@progbits
; Kernel info:
; codeLenInByte = 0
; TotalNumSgprs: 0
; NumVgprs: 0
; ScratchSize: 0
; MemoryBound: 0
; FloatMode: 240
; IeeeMode: 1
; LDSByteSize: 0 bytes/workgroup (compile time only)
; SGPRBlocks: 0
; VGPRBlocks: 0
; NumSGPRsForWavesPerEU: 1
; NumVGPRsForWavesPerEU: 1
; Occupancy: 16
; WaveLimiterHint : 0
; COMPUTE_PGM_RSRC2:SCRATCH_EN: 0
; COMPUTE_PGM_RSRC2:USER_SGPR: 6
; COMPUTE_PGM_RSRC2:TRAP_HANDLER: 0
; COMPUTE_PGM_RSRC2:TGID_X_EN: 1
; COMPUTE_PGM_RSRC2:TGID_Y_EN: 0
; COMPUTE_PGM_RSRC2:TGID_Z_EN: 0
; COMPUTE_PGM_RSRC2:TIDIG_COMP_CNT: 0
	.section	.text._ZN7rocprim17ROCPRIM_400000_NS6detail17trampoline_kernelINS0_14default_configENS1_37merge_sort_block_sort_config_selectorItNS0_10empty_typeEEEZNS1_21merge_sort_block_sortIS3_N6thrust23THRUST_200600_302600_NS6detail15normal_iteratorINS9_10device_ptrItEEEESE_PS5_SF_9comp_mod3ItEEE10hipError_tT0_T1_T2_T3_mRjT4_P12ihipStream_tbNS1_7vsmem_tEEUlT_E_NS1_11comp_targetILNS1_3genE3ELNS1_11target_archE908ELNS1_3gpuE7ELNS1_3repE0EEENS1_30default_config_static_selectorELNS0_4arch9wavefront6targetE0EEEvSK_,"axG",@progbits,_ZN7rocprim17ROCPRIM_400000_NS6detail17trampoline_kernelINS0_14default_configENS1_37merge_sort_block_sort_config_selectorItNS0_10empty_typeEEEZNS1_21merge_sort_block_sortIS3_N6thrust23THRUST_200600_302600_NS6detail15normal_iteratorINS9_10device_ptrItEEEESE_PS5_SF_9comp_mod3ItEEE10hipError_tT0_T1_T2_T3_mRjT4_P12ihipStream_tbNS1_7vsmem_tEEUlT_E_NS1_11comp_targetILNS1_3genE3ELNS1_11target_archE908ELNS1_3gpuE7ELNS1_3repE0EEENS1_30default_config_static_selectorELNS0_4arch9wavefront6targetE0EEEvSK_,comdat
	.protected	_ZN7rocprim17ROCPRIM_400000_NS6detail17trampoline_kernelINS0_14default_configENS1_37merge_sort_block_sort_config_selectorItNS0_10empty_typeEEEZNS1_21merge_sort_block_sortIS3_N6thrust23THRUST_200600_302600_NS6detail15normal_iteratorINS9_10device_ptrItEEEESE_PS5_SF_9comp_mod3ItEEE10hipError_tT0_T1_T2_T3_mRjT4_P12ihipStream_tbNS1_7vsmem_tEEUlT_E_NS1_11comp_targetILNS1_3genE3ELNS1_11target_archE908ELNS1_3gpuE7ELNS1_3repE0EEENS1_30default_config_static_selectorELNS0_4arch9wavefront6targetE0EEEvSK_ ; -- Begin function _ZN7rocprim17ROCPRIM_400000_NS6detail17trampoline_kernelINS0_14default_configENS1_37merge_sort_block_sort_config_selectorItNS0_10empty_typeEEEZNS1_21merge_sort_block_sortIS3_N6thrust23THRUST_200600_302600_NS6detail15normal_iteratorINS9_10device_ptrItEEEESE_PS5_SF_9comp_mod3ItEEE10hipError_tT0_T1_T2_T3_mRjT4_P12ihipStream_tbNS1_7vsmem_tEEUlT_E_NS1_11comp_targetILNS1_3genE3ELNS1_11target_archE908ELNS1_3gpuE7ELNS1_3repE0EEENS1_30default_config_static_selectorELNS0_4arch9wavefront6targetE0EEEvSK_
	.globl	_ZN7rocprim17ROCPRIM_400000_NS6detail17trampoline_kernelINS0_14default_configENS1_37merge_sort_block_sort_config_selectorItNS0_10empty_typeEEEZNS1_21merge_sort_block_sortIS3_N6thrust23THRUST_200600_302600_NS6detail15normal_iteratorINS9_10device_ptrItEEEESE_PS5_SF_9comp_mod3ItEEE10hipError_tT0_T1_T2_T3_mRjT4_P12ihipStream_tbNS1_7vsmem_tEEUlT_E_NS1_11comp_targetILNS1_3genE3ELNS1_11target_archE908ELNS1_3gpuE7ELNS1_3repE0EEENS1_30default_config_static_selectorELNS0_4arch9wavefront6targetE0EEEvSK_
	.p2align	8
	.type	_ZN7rocprim17ROCPRIM_400000_NS6detail17trampoline_kernelINS0_14default_configENS1_37merge_sort_block_sort_config_selectorItNS0_10empty_typeEEEZNS1_21merge_sort_block_sortIS3_N6thrust23THRUST_200600_302600_NS6detail15normal_iteratorINS9_10device_ptrItEEEESE_PS5_SF_9comp_mod3ItEEE10hipError_tT0_T1_T2_T3_mRjT4_P12ihipStream_tbNS1_7vsmem_tEEUlT_E_NS1_11comp_targetILNS1_3genE3ELNS1_11target_archE908ELNS1_3gpuE7ELNS1_3repE0EEENS1_30default_config_static_selectorELNS0_4arch9wavefront6targetE0EEEvSK_,@function
_ZN7rocprim17ROCPRIM_400000_NS6detail17trampoline_kernelINS0_14default_configENS1_37merge_sort_block_sort_config_selectorItNS0_10empty_typeEEEZNS1_21merge_sort_block_sortIS3_N6thrust23THRUST_200600_302600_NS6detail15normal_iteratorINS9_10device_ptrItEEEESE_PS5_SF_9comp_mod3ItEEE10hipError_tT0_T1_T2_T3_mRjT4_P12ihipStream_tbNS1_7vsmem_tEEUlT_E_NS1_11comp_targetILNS1_3genE3ELNS1_11target_archE908ELNS1_3gpuE7ELNS1_3repE0EEENS1_30default_config_static_selectorELNS0_4arch9wavefront6targetE0EEEvSK_: ; @_ZN7rocprim17ROCPRIM_400000_NS6detail17trampoline_kernelINS0_14default_configENS1_37merge_sort_block_sort_config_selectorItNS0_10empty_typeEEEZNS1_21merge_sort_block_sortIS3_N6thrust23THRUST_200600_302600_NS6detail15normal_iteratorINS9_10device_ptrItEEEESE_PS5_SF_9comp_mod3ItEEE10hipError_tT0_T1_T2_T3_mRjT4_P12ihipStream_tbNS1_7vsmem_tEEUlT_E_NS1_11comp_targetILNS1_3genE3ELNS1_11target_archE908ELNS1_3gpuE7ELNS1_3repE0EEENS1_30default_config_static_selectorELNS0_4arch9wavefront6targetE0EEEvSK_
; %bb.0:
	.section	.rodata,"a",@progbits
	.p2align	6, 0x0
	.amdhsa_kernel _ZN7rocprim17ROCPRIM_400000_NS6detail17trampoline_kernelINS0_14default_configENS1_37merge_sort_block_sort_config_selectorItNS0_10empty_typeEEEZNS1_21merge_sort_block_sortIS3_N6thrust23THRUST_200600_302600_NS6detail15normal_iteratorINS9_10device_ptrItEEEESE_PS5_SF_9comp_mod3ItEEE10hipError_tT0_T1_T2_T3_mRjT4_P12ihipStream_tbNS1_7vsmem_tEEUlT_E_NS1_11comp_targetILNS1_3genE3ELNS1_11target_archE908ELNS1_3gpuE7ELNS1_3repE0EEENS1_30default_config_static_selectorELNS0_4arch9wavefront6targetE0EEEvSK_
		.amdhsa_group_segment_fixed_size 0
		.amdhsa_private_segment_fixed_size 0
		.amdhsa_kernarg_size 64
		.amdhsa_user_sgpr_count 6
		.amdhsa_user_sgpr_private_segment_buffer 1
		.amdhsa_user_sgpr_dispatch_ptr 0
		.amdhsa_user_sgpr_queue_ptr 0
		.amdhsa_user_sgpr_kernarg_segment_ptr 1
		.amdhsa_user_sgpr_dispatch_id 0
		.amdhsa_user_sgpr_flat_scratch_init 0
		.amdhsa_user_sgpr_private_segment_size 0
		.amdhsa_wavefront_size32 1
		.amdhsa_uses_dynamic_stack 0
		.amdhsa_system_sgpr_private_segment_wavefront_offset 0
		.amdhsa_system_sgpr_workgroup_id_x 1
		.amdhsa_system_sgpr_workgroup_id_y 0
		.amdhsa_system_sgpr_workgroup_id_z 0
		.amdhsa_system_sgpr_workgroup_info 0
		.amdhsa_system_vgpr_workitem_id 0
		.amdhsa_next_free_vgpr 1
		.amdhsa_next_free_sgpr 1
		.amdhsa_reserve_vcc 0
		.amdhsa_reserve_flat_scratch 0
		.amdhsa_float_round_mode_32 0
		.amdhsa_float_round_mode_16_64 0
		.amdhsa_float_denorm_mode_32 3
		.amdhsa_float_denorm_mode_16_64 3
		.amdhsa_dx10_clamp 1
		.amdhsa_ieee_mode 1
		.amdhsa_fp16_overflow 0
		.amdhsa_workgroup_processor_mode 1
		.amdhsa_memory_ordered 1
		.amdhsa_forward_progress 1
		.amdhsa_shared_vgpr_count 0
		.amdhsa_exception_fp_ieee_invalid_op 0
		.amdhsa_exception_fp_denorm_src 0
		.amdhsa_exception_fp_ieee_div_zero 0
		.amdhsa_exception_fp_ieee_overflow 0
		.amdhsa_exception_fp_ieee_underflow 0
		.amdhsa_exception_fp_ieee_inexact 0
		.amdhsa_exception_int_div_zero 0
	.end_amdhsa_kernel
	.section	.text._ZN7rocprim17ROCPRIM_400000_NS6detail17trampoline_kernelINS0_14default_configENS1_37merge_sort_block_sort_config_selectorItNS0_10empty_typeEEEZNS1_21merge_sort_block_sortIS3_N6thrust23THRUST_200600_302600_NS6detail15normal_iteratorINS9_10device_ptrItEEEESE_PS5_SF_9comp_mod3ItEEE10hipError_tT0_T1_T2_T3_mRjT4_P12ihipStream_tbNS1_7vsmem_tEEUlT_E_NS1_11comp_targetILNS1_3genE3ELNS1_11target_archE908ELNS1_3gpuE7ELNS1_3repE0EEENS1_30default_config_static_selectorELNS0_4arch9wavefront6targetE0EEEvSK_,"axG",@progbits,_ZN7rocprim17ROCPRIM_400000_NS6detail17trampoline_kernelINS0_14default_configENS1_37merge_sort_block_sort_config_selectorItNS0_10empty_typeEEEZNS1_21merge_sort_block_sortIS3_N6thrust23THRUST_200600_302600_NS6detail15normal_iteratorINS9_10device_ptrItEEEESE_PS5_SF_9comp_mod3ItEEE10hipError_tT0_T1_T2_T3_mRjT4_P12ihipStream_tbNS1_7vsmem_tEEUlT_E_NS1_11comp_targetILNS1_3genE3ELNS1_11target_archE908ELNS1_3gpuE7ELNS1_3repE0EEENS1_30default_config_static_selectorELNS0_4arch9wavefront6targetE0EEEvSK_,comdat
.Lfunc_end867:
	.size	_ZN7rocprim17ROCPRIM_400000_NS6detail17trampoline_kernelINS0_14default_configENS1_37merge_sort_block_sort_config_selectorItNS0_10empty_typeEEEZNS1_21merge_sort_block_sortIS3_N6thrust23THRUST_200600_302600_NS6detail15normal_iteratorINS9_10device_ptrItEEEESE_PS5_SF_9comp_mod3ItEEE10hipError_tT0_T1_T2_T3_mRjT4_P12ihipStream_tbNS1_7vsmem_tEEUlT_E_NS1_11comp_targetILNS1_3genE3ELNS1_11target_archE908ELNS1_3gpuE7ELNS1_3repE0EEENS1_30default_config_static_selectorELNS0_4arch9wavefront6targetE0EEEvSK_, .Lfunc_end867-_ZN7rocprim17ROCPRIM_400000_NS6detail17trampoline_kernelINS0_14default_configENS1_37merge_sort_block_sort_config_selectorItNS0_10empty_typeEEEZNS1_21merge_sort_block_sortIS3_N6thrust23THRUST_200600_302600_NS6detail15normal_iteratorINS9_10device_ptrItEEEESE_PS5_SF_9comp_mod3ItEEE10hipError_tT0_T1_T2_T3_mRjT4_P12ihipStream_tbNS1_7vsmem_tEEUlT_E_NS1_11comp_targetILNS1_3genE3ELNS1_11target_archE908ELNS1_3gpuE7ELNS1_3repE0EEENS1_30default_config_static_selectorELNS0_4arch9wavefront6targetE0EEEvSK_
                                        ; -- End function
	.set _ZN7rocprim17ROCPRIM_400000_NS6detail17trampoline_kernelINS0_14default_configENS1_37merge_sort_block_sort_config_selectorItNS0_10empty_typeEEEZNS1_21merge_sort_block_sortIS3_N6thrust23THRUST_200600_302600_NS6detail15normal_iteratorINS9_10device_ptrItEEEESE_PS5_SF_9comp_mod3ItEEE10hipError_tT0_T1_T2_T3_mRjT4_P12ihipStream_tbNS1_7vsmem_tEEUlT_E_NS1_11comp_targetILNS1_3genE3ELNS1_11target_archE908ELNS1_3gpuE7ELNS1_3repE0EEENS1_30default_config_static_selectorELNS0_4arch9wavefront6targetE0EEEvSK_.num_vgpr, 0
	.set _ZN7rocprim17ROCPRIM_400000_NS6detail17trampoline_kernelINS0_14default_configENS1_37merge_sort_block_sort_config_selectorItNS0_10empty_typeEEEZNS1_21merge_sort_block_sortIS3_N6thrust23THRUST_200600_302600_NS6detail15normal_iteratorINS9_10device_ptrItEEEESE_PS5_SF_9comp_mod3ItEEE10hipError_tT0_T1_T2_T3_mRjT4_P12ihipStream_tbNS1_7vsmem_tEEUlT_E_NS1_11comp_targetILNS1_3genE3ELNS1_11target_archE908ELNS1_3gpuE7ELNS1_3repE0EEENS1_30default_config_static_selectorELNS0_4arch9wavefront6targetE0EEEvSK_.num_agpr, 0
	.set _ZN7rocprim17ROCPRIM_400000_NS6detail17trampoline_kernelINS0_14default_configENS1_37merge_sort_block_sort_config_selectorItNS0_10empty_typeEEEZNS1_21merge_sort_block_sortIS3_N6thrust23THRUST_200600_302600_NS6detail15normal_iteratorINS9_10device_ptrItEEEESE_PS5_SF_9comp_mod3ItEEE10hipError_tT0_T1_T2_T3_mRjT4_P12ihipStream_tbNS1_7vsmem_tEEUlT_E_NS1_11comp_targetILNS1_3genE3ELNS1_11target_archE908ELNS1_3gpuE7ELNS1_3repE0EEENS1_30default_config_static_selectorELNS0_4arch9wavefront6targetE0EEEvSK_.numbered_sgpr, 0
	.set _ZN7rocprim17ROCPRIM_400000_NS6detail17trampoline_kernelINS0_14default_configENS1_37merge_sort_block_sort_config_selectorItNS0_10empty_typeEEEZNS1_21merge_sort_block_sortIS3_N6thrust23THRUST_200600_302600_NS6detail15normal_iteratorINS9_10device_ptrItEEEESE_PS5_SF_9comp_mod3ItEEE10hipError_tT0_T1_T2_T3_mRjT4_P12ihipStream_tbNS1_7vsmem_tEEUlT_E_NS1_11comp_targetILNS1_3genE3ELNS1_11target_archE908ELNS1_3gpuE7ELNS1_3repE0EEENS1_30default_config_static_selectorELNS0_4arch9wavefront6targetE0EEEvSK_.num_named_barrier, 0
	.set _ZN7rocprim17ROCPRIM_400000_NS6detail17trampoline_kernelINS0_14default_configENS1_37merge_sort_block_sort_config_selectorItNS0_10empty_typeEEEZNS1_21merge_sort_block_sortIS3_N6thrust23THRUST_200600_302600_NS6detail15normal_iteratorINS9_10device_ptrItEEEESE_PS5_SF_9comp_mod3ItEEE10hipError_tT0_T1_T2_T3_mRjT4_P12ihipStream_tbNS1_7vsmem_tEEUlT_E_NS1_11comp_targetILNS1_3genE3ELNS1_11target_archE908ELNS1_3gpuE7ELNS1_3repE0EEENS1_30default_config_static_selectorELNS0_4arch9wavefront6targetE0EEEvSK_.private_seg_size, 0
	.set _ZN7rocprim17ROCPRIM_400000_NS6detail17trampoline_kernelINS0_14default_configENS1_37merge_sort_block_sort_config_selectorItNS0_10empty_typeEEEZNS1_21merge_sort_block_sortIS3_N6thrust23THRUST_200600_302600_NS6detail15normal_iteratorINS9_10device_ptrItEEEESE_PS5_SF_9comp_mod3ItEEE10hipError_tT0_T1_T2_T3_mRjT4_P12ihipStream_tbNS1_7vsmem_tEEUlT_E_NS1_11comp_targetILNS1_3genE3ELNS1_11target_archE908ELNS1_3gpuE7ELNS1_3repE0EEENS1_30default_config_static_selectorELNS0_4arch9wavefront6targetE0EEEvSK_.uses_vcc, 0
	.set _ZN7rocprim17ROCPRIM_400000_NS6detail17trampoline_kernelINS0_14default_configENS1_37merge_sort_block_sort_config_selectorItNS0_10empty_typeEEEZNS1_21merge_sort_block_sortIS3_N6thrust23THRUST_200600_302600_NS6detail15normal_iteratorINS9_10device_ptrItEEEESE_PS5_SF_9comp_mod3ItEEE10hipError_tT0_T1_T2_T3_mRjT4_P12ihipStream_tbNS1_7vsmem_tEEUlT_E_NS1_11comp_targetILNS1_3genE3ELNS1_11target_archE908ELNS1_3gpuE7ELNS1_3repE0EEENS1_30default_config_static_selectorELNS0_4arch9wavefront6targetE0EEEvSK_.uses_flat_scratch, 0
	.set _ZN7rocprim17ROCPRIM_400000_NS6detail17trampoline_kernelINS0_14default_configENS1_37merge_sort_block_sort_config_selectorItNS0_10empty_typeEEEZNS1_21merge_sort_block_sortIS3_N6thrust23THRUST_200600_302600_NS6detail15normal_iteratorINS9_10device_ptrItEEEESE_PS5_SF_9comp_mod3ItEEE10hipError_tT0_T1_T2_T3_mRjT4_P12ihipStream_tbNS1_7vsmem_tEEUlT_E_NS1_11comp_targetILNS1_3genE3ELNS1_11target_archE908ELNS1_3gpuE7ELNS1_3repE0EEENS1_30default_config_static_selectorELNS0_4arch9wavefront6targetE0EEEvSK_.has_dyn_sized_stack, 0
	.set _ZN7rocprim17ROCPRIM_400000_NS6detail17trampoline_kernelINS0_14default_configENS1_37merge_sort_block_sort_config_selectorItNS0_10empty_typeEEEZNS1_21merge_sort_block_sortIS3_N6thrust23THRUST_200600_302600_NS6detail15normal_iteratorINS9_10device_ptrItEEEESE_PS5_SF_9comp_mod3ItEEE10hipError_tT0_T1_T2_T3_mRjT4_P12ihipStream_tbNS1_7vsmem_tEEUlT_E_NS1_11comp_targetILNS1_3genE3ELNS1_11target_archE908ELNS1_3gpuE7ELNS1_3repE0EEENS1_30default_config_static_selectorELNS0_4arch9wavefront6targetE0EEEvSK_.has_recursion, 0
	.set _ZN7rocprim17ROCPRIM_400000_NS6detail17trampoline_kernelINS0_14default_configENS1_37merge_sort_block_sort_config_selectorItNS0_10empty_typeEEEZNS1_21merge_sort_block_sortIS3_N6thrust23THRUST_200600_302600_NS6detail15normal_iteratorINS9_10device_ptrItEEEESE_PS5_SF_9comp_mod3ItEEE10hipError_tT0_T1_T2_T3_mRjT4_P12ihipStream_tbNS1_7vsmem_tEEUlT_E_NS1_11comp_targetILNS1_3genE3ELNS1_11target_archE908ELNS1_3gpuE7ELNS1_3repE0EEENS1_30default_config_static_selectorELNS0_4arch9wavefront6targetE0EEEvSK_.has_indirect_call, 0
	.section	.AMDGPU.csdata,"",@progbits
; Kernel info:
; codeLenInByte = 0
; TotalNumSgprs: 0
; NumVgprs: 0
; ScratchSize: 0
; MemoryBound: 0
; FloatMode: 240
; IeeeMode: 1
; LDSByteSize: 0 bytes/workgroup (compile time only)
; SGPRBlocks: 0
; VGPRBlocks: 0
; NumSGPRsForWavesPerEU: 1
; NumVGPRsForWavesPerEU: 1
; Occupancy: 16
; WaveLimiterHint : 0
; COMPUTE_PGM_RSRC2:SCRATCH_EN: 0
; COMPUTE_PGM_RSRC2:USER_SGPR: 6
; COMPUTE_PGM_RSRC2:TRAP_HANDLER: 0
; COMPUTE_PGM_RSRC2:TGID_X_EN: 1
; COMPUTE_PGM_RSRC2:TGID_Y_EN: 0
; COMPUTE_PGM_RSRC2:TGID_Z_EN: 0
; COMPUTE_PGM_RSRC2:TIDIG_COMP_CNT: 0
	.section	.text._ZN7rocprim17ROCPRIM_400000_NS6detail17trampoline_kernelINS0_14default_configENS1_37merge_sort_block_sort_config_selectorItNS0_10empty_typeEEEZNS1_21merge_sort_block_sortIS3_N6thrust23THRUST_200600_302600_NS6detail15normal_iteratorINS9_10device_ptrItEEEESE_PS5_SF_9comp_mod3ItEEE10hipError_tT0_T1_T2_T3_mRjT4_P12ihipStream_tbNS1_7vsmem_tEEUlT_E_NS1_11comp_targetILNS1_3genE2ELNS1_11target_archE906ELNS1_3gpuE6ELNS1_3repE0EEENS1_30default_config_static_selectorELNS0_4arch9wavefront6targetE0EEEvSK_,"axG",@progbits,_ZN7rocprim17ROCPRIM_400000_NS6detail17trampoline_kernelINS0_14default_configENS1_37merge_sort_block_sort_config_selectorItNS0_10empty_typeEEEZNS1_21merge_sort_block_sortIS3_N6thrust23THRUST_200600_302600_NS6detail15normal_iteratorINS9_10device_ptrItEEEESE_PS5_SF_9comp_mod3ItEEE10hipError_tT0_T1_T2_T3_mRjT4_P12ihipStream_tbNS1_7vsmem_tEEUlT_E_NS1_11comp_targetILNS1_3genE2ELNS1_11target_archE906ELNS1_3gpuE6ELNS1_3repE0EEENS1_30default_config_static_selectorELNS0_4arch9wavefront6targetE0EEEvSK_,comdat
	.protected	_ZN7rocprim17ROCPRIM_400000_NS6detail17trampoline_kernelINS0_14default_configENS1_37merge_sort_block_sort_config_selectorItNS0_10empty_typeEEEZNS1_21merge_sort_block_sortIS3_N6thrust23THRUST_200600_302600_NS6detail15normal_iteratorINS9_10device_ptrItEEEESE_PS5_SF_9comp_mod3ItEEE10hipError_tT0_T1_T2_T3_mRjT4_P12ihipStream_tbNS1_7vsmem_tEEUlT_E_NS1_11comp_targetILNS1_3genE2ELNS1_11target_archE906ELNS1_3gpuE6ELNS1_3repE0EEENS1_30default_config_static_selectorELNS0_4arch9wavefront6targetE0EEEvSK_ ; -- Begin function _ZN7rocprim17ROCPRIM_400000_NS6detail17trampoline_kernelINS0_14default_configENS1_37merge_sort_block_sort_config_selectorItNS0_10empty_typeEEEZNS1_21merge_sort_block_sortIS3_N6thrust23THRUST_200600_302600_NS6detail15normal_iteratorINS9_10device_ptrItEEEESE_PS5_SF_9comp_mod3ItEEE10hipError_tT0_T1_T2_T3_mRjT4_P12ihipStream_tbNS1_7vsmem_tEEUlT_E_NS1_11comp_targetILNS1_3genE2ELNS1_11target_archE906ELNS1_3gpuE6ELNS1_3repE0EEENS1_30default_config_static_selectorELNS0_4arch9wavefront6targetE0EEEvSK_
	.globl	_ZN7rocprim17ROCPRIM_400000_NS6detail17trampoline_kernelINS0_14default_configENS1_37merge_sort_block_sort_config_selectorItNS0_10empty_typeEEEZNS1_21merge_sort_block_sortIS3_N6thrust23THRUST_200600_302600_NS6detail15normal_iteratorINS9_10device_ptrItEEEESE_PS5_SF_9comp_mod3ItEEE10hipError_tT0_T1_T2_T3_mRjT4_P12ihipStream_tbNS1_7vsmem_tEEUlT_E_NS1_11comp_targetILNS1_3genE2ELNS1_11target_archE906ELNS1_3gpuE6ELNS1_3repE0EEENS1_30default_config_static_selectorELNS0_4arch9wavefront6targetE0EEEvSK_
	.p2align	8
	.type	_ZN7rocprim17ROCPRIM_400000_NS6detail17trampoline_kernelINS0_14default_configENS1_37merge_sort_block_sort_config_selectorItNS0_10empty_typeEEEZNS1_21merge_sort_block_sortIS3_N6thrust23THRUST_200600_302600_NS6detail15normal_iteratorINS9_10device_ptrItEEEESE_PS5_SF_9comp_mod3ItEEE10hipError_tT0_T1_T2_T3_mRjT4_P12ihipStream_tbNS1_7vsmem_tEEUlT_E_NS1_11comp_targetILNS1_3genE2ELNS1_11target_archE906ELNS1_3gpuE6ELNS1_3repE0EEENS1_30default_config_static_selectorELNS0_4arch9wavefront6targetE0EEEvSK_,@function
_ZN7rocprim17ROCPRIM_400000_NS6detail17trampoline_kernelINS0_14default_configENS1_37merge_sort_block_sort_config_selectorItNS0_10empty_typeEEEZNS1_21merge_sort_block_sortIS3_N6thrust23THRUST_200600_302600_NS6detail15normal_iteratorINS9_10device_ptrItEEEESE_PS5_SF_9comp_mod3ItEEE10hipError_tT0_T1_T2_T3_mRjT4_P12ihipStream_tbNS1_7vsmem_tEEUlT_E_NS1_11comp_targetILNS1_3genE2ELNS1_11target_archE906ELNS1_3gpuE6ELNS1_3repE0EEENS1_30default_config_static_selectorELNS0_4arch9wavefront6targetE0EEEvSK_: ; @_ZN7rocprim17ROCPRIM_400000_NS6detail17trampoline_kernelINS0_14default_configENS1_37merge_sort_block_sort_config_selectorItNS0_10empty_typeEEEZNS1_21merge_sort_block_sortIS3_N6thrust23THRUST_200600_302600_NS6detail15normal_iteratorINS9_10device_ptrItEEEESE_PS5_SF_9comp_mod3ItEEE10hipError_tT0_T1_T2_T3_mRjT4_P12ihipStream_tbNS1_7vsmem_tEEUlT_E_NS1_11comp_targetILNS1_3genE2ELNS1_11target_archE906ELNS1_3gpuE6ELNS1_3repE0EEENS1_30default_config_static_selectorELNS0_4arch9wavefront6targetE0EEEvSK_
; %bb.0:
	.section	.rodata,"a",@progbits
	.p2align	6, 0x0
	.amdhsa_kernel _ZN7rocprim17ROCPRIM_400000_NS6detail17trampoline_kernelINS0_14default_configENS1_37merge_sort_block_sort_config_selectorItNS0_10empty_typeEEEZNS1_21merge_sort_block_sortIS3_N6thrust23THRUST_200600_302600_NS6detail15normal_iteratorINS9_10device_ptrItEEEESE_PS5_SF_9comp_mod3ItEEE10hipError_tT0_T1_T2_T3_mRjT4_P12ihipStream_tbNS1_7vsmem_tEEUlT_E_NS1_11comp_targetILNS1_3genE2ELNS1_11target_archE906ELNS1_3gpuE6ELNS1_3repE0EEENS1_30default_config_static_selectorELNS0_4arch9wavefront6targetE0EEEvSK_
		.amdhsa_group_segment_fixed_size 0
		.amdhsa_private_segment_fixed_size 0
		.amdhsa_kernarg_size 64
		.amdhsa_user_sgpr_count 6
		.amdhsa_user_sgpr_private_segment_buffer 1
		.amdhsa_user_sgpr_dispatch_ptr 0
		.amdhsa_user_sgpr_queue_ptr 0
		.amdhsa_user_sgpr_kernarg_segment_ptr 1
		.amdhsa_user_sgpr_dispatch_id 0
		.amdhsa_user_sgpr_flat_scratch_init 0
		.amdhsa_user_sgpr_private_segment_size 0
		.amdhsa_wavefront_size32 1
		.amdhsa_uses_dynamic_stack 0
		.amdhsa_system_sgpr_private_segment_wavefront_offset 0
		.amdhsa_system_sgpr_workgroup_id_x 1
		.amdhsa_system_sgpr_workgroup_id_y 0
		.amdhsa_system_sgpr_workgroup_id_z 0
		.amdhsa_system_sgpr_workgroup_info 0
		.amdhsa_system_vgpr_workitem_id 0
		.amdhsa_next_free_vgpr 1
		.amdhsa_next_free_sgpr 1
		.amdhsa_reserve_vcc 0
		.amdhsa_reserve_flat_scratch 0
		.amdhsa_float_round_mode_32 0
		.amdhsa_float_round_mode_16_64 0
		.amdhsa_float_denorm_mode_32 3
		.amdhsa_float_denorm_mode_16_64 3
		.amdhsa_dx10_clamp 1
		.amdhsa_ieee_mode 1
		.amdhsa_fp16_overflow 0
		.amdhsa_workgroup_processor_mode 1
		.amdhsa_memory_ordered 1
		.amdhsa_forward_progress 1
		.amdhsa_shared_vgpr_count 0
		.amdhsa_exception_fp_ieee_invalid_op 0
		.amdhsa_exception_fp_denorm_src 0
		.amdhsa_exception_fp_ieee_div_zero 0
		.amdhsa_exception_fp_ieee_overflow 0
		.amdhsa_exception_fp_ieee_underflow 0
		.amdhsa_exception_fp_ieee_inexact 0
		.amdhsa_exception_int_div_zero 0
	.end_amdhsa_kernel
	.section	.text._ZN7rocprim17ROCPRIM_400000_NS6detail17trampoline_kernelINS0_14default_configENS1_37merge_sort_block_sort_config_selectorItNS0_10empty_typeEEEZNS1_21merge_sort_block_sortIS3_N6thrust23THRUST_200600_302600_NS6detail15normal_iteratorINS9_10device_ptrItEEEESE_PS5_SF_9comp_mod3ItEEE10hipError_tT0_T1_T2_T3_mRjT4_P12ihipStream_tbNS1_7vsmem_tEEUlT_E_NS1_11comp_targetILNS1_3genE2ELNS1_11target_archE906ELNS1_3gpuE6ELNS1_3repE0EEENS1_30default_config_static_selectorELNS0_4arch9wavefront6targetE0EEEvSK_,"axG",@progbits,_ZN7rocprim17ROCPRIM_400000_NS6detail17trampoline_kernelINS0_14default_configENS1_37merge_sort_block_sort_config_selectorItNS0_10empty_typeEEEZNS1_21merge_sort_block_sortIS3_N6thrust23THRUST_200600_302600_NS6detail15normal_iteratorINS9_10device_ptrItEEEESE_PS5_SF_9comp_mod3ItEEE10hipError_tT0_T1_T2_T3_mRjT4_P12ihipStream_tbNS1_7vsmem_tEEUlT_E_NS1_11comp_targetILNS1_3genE2ELNS1_11target_archE906ELNS1_3gpuE6ELNS1_3repE0EEENS1_30default_config_static_selectorELNS0_4arch9wavefront6targetE0EEEvSK_,comdat
.Lfunc_end868:
	.size	_ZN7rocprim17ROCPRIM_400000_NS6detail17trampoline_kernelINS0_14default_configENS1_37merge_sort_block_sort_config_selectorItNS0_10empty_typeEEEZNS1_21merge_sort_block_sortIS3_N6thrust23THRUST_200600_302600_NS6detail15normal_iteratorINS9_10device_ptrItEEEESE_PS5_SF_9comp_mod3ItEEE10hipError_tT0_T1_T2_T3_mRjT4_P12ihipStream_tbNS1_7vsmem_tEEUlT_E_NS1_11comp_targetILNS1_3genE2ELNS1_11target_archE906ELNS1_3gpuE6ELNS1_3repE0EEENS1_30default_config_static_selectorELNS0_4arch9wavefront6targetE0EEEvSK_, .Lfunc_end868-_ZN7rocprim17ROCPRIM_400000_NS6detail17trampoline_kernelINS0_14default_configENS1_37merge_sort_block_sort_config_selectorItNS0_10empty_typeEEEZNS1_21merge_sort_block_sortIS3_N6thrust23THRUST_200600_302600_NS6detail15normal_iteratorINS9_10device_ptrItEEEESE_PS5_SF_9comp_mod3ItEEE10hipError_tT0_T1_T2_T3_mRjT4_P12ihipStream_tbNS1_7vsmem_tEEUlT_E_NS1_11comp_targetILNS1_3genE2ELNS1_11target_archE906ELNS1_3gpuE6ELNS1_3repE0EEENS1_30default_config_static_selectorELNS0_4arch9wavefront6targetE0EEEvSK_
                                        ; -- End function
	.set _ZN7rocprim17ROCPRIM_400000_NS6detail17trampoline_kernelINS0_14default_configENS1_37merge_sort_block_sort_config_selectorItNS0_10empty_typeEEEZNS1_21merge_sort_block_sortIS3_N6thrust23THRUST_200600_302600_NS6detail15normal_iteratorINS9_10device_ptrItEEEESE_PS5_SF_9comp_mod3ItEEE10hipError_tT0_T1_T2_T3_mRjT4_P12ihipStream_tbNS1_7vsmem_tEEUlT_E_NS1_11comp_targetILNS1_3genE2ELNS1_11target_archE906ELNS1_3gpuE6ELNS1_3repE0EEENS1_30default_config_static_selectorELNS0_4arch9wavefront6targetE0EEEvSK_.num_vgpr, 0
	.set _ZN7rocprim17ROCPRIM_400000_NS6detail17trampoline_kernelINS0_14default_configENS1_37merge_sort_block_sort_config_selectorItNS0_10empty_typeEEEZNS1_21merge_sort_block_sortIS3_N6thrust23THRUST_200600_302600_NS6detail15normal_iteratorINS9_10device_ptrItEEEESE_PS5_SF_9comp_mod3ItEEE10hipError_tT0_T1_T2_T3_mRjT4_P12ihipStream_tbNS1_7vsmem_tEEUlT_E_NS1_11comp_targetILNS1_3genE2ELNS1_11target_archE906ELNS1_3gpuE6ELNS1_3repE0EEENS1_30default_config_static_selectorELNS0_4arch9wavefront6targetE0EEEvSK_.num_agpr, 0
	.set _ZN7rocprim17ROCPRIM_400000_NS6detail17trampoline_kernelINS0_14default_configENS1_37merge_sort_block_sort_config_selectorItNS0_10empty_typeEEEZNS1_21merge_sort_block_sortIS3_N6thrust23THRUST_200600_302600_NS6detail15normal_iteratorINS9_10device_ptrItEEEESE_PS5_SF_9comp_mod3ItEEE10hipError_tT0_T1_T2_T3_mRjT4_P12ihipStream_tbNS1_7vsmem_tEEUlT_E_NS1_11comp_targetILNS1_3genE2ELNS1_11target_archE906ELNS1_3gpuE6ELNS1_3repE0EEENS1_30default_config_static_selectorELNS0_4arch9wavefront6targetE0EEEvSK_.numbered_sgpr, 0
	.set _ZN7rocprim17ROCPRIM_400000_NS6detail17trampoline_kernelINS0_14default_configENS1_37merge_sort_block_sort_config_selectorItNS0_10empty_typeEEEZNS1_21merge_sort_block_sortIS3_N6thrust23THRUST_200600_302600_NS6detail15normal_iteratorINS9_10device_ptrItEEEESE_PS5_SF_9comp_mod3ItEEE10hipError_tT0_T1_T2_T3_mRjT4_P12ihipStream_tbNS1_7vsmem_tEEUlT_E_NS1_11comp_targetILNS1_3genE2ELNS1_11target_archE906ELNS1_3gpuE6ELNS1_3repE0EEENS1_30default_config_static_selectorELNS0_4arch9wavefront6targetE0EEEvSK_.num_named_barrier, 0
	.set _ZN7rocprim17ROCPRIM_400000_NS6detail17trampoline_kernelINS0_14default_configENS1_37merge_sort_block_sort_config_selectorItNS0_10empty_typeEEEZNS1_21merge_sort_block_sortIS3_N6thrust23THRUST_200600_302600_NS6detail15normal_iteratorINS9_10device_ptrItEEEESE_PS5_SF_9comp_mod3ItEEE10hipError_tT0_T1_T2_T3_mRjT4_P12ihipStream_tbNS1_7vsmem_tEEUlT_E_NS1_11comp_targetILNS1_3genE2ELNS1_11target_archE906ELNS1_3gpuE6ELNS1_3repE0EEENS1_30default_config_static_selectorELNS0_4arch9wavefront6targetE0EEEvSK_.private_seg_size, 0
	.set _ZN7rocprim17ROCPRIM_400000_NS6detail17trampoline_kernelINS0_14default_configENS1_37merge_sort_block_sort_config_selectorItNS0_10empty_typeEEEZNS1_21merge_sort_block_sortIS3_N6thrust23THRUST_200600_302600_NS6detail15normal_iteratorINS9_10device_ptrItEEEESE_PS5_SF_9comp_mod3ItEEE10hipError_tT0_T1_T2_T3_mRjT4_P12ihipStream_tbNS1_7vsmem_tEEUlT_E_NS1_11comp_targetILNS1_3genE2ELNS1_11target_archE906ELNS1_3gpuE6ELNS1_3repE0EEENS1_30default_config_static_selectorELNS0_4arch9wavefront6targetE0EEEvSK_.uses_vcc, 0
	.set _ZN7rocprim17ROCPRIM_400000_NS6detail17trampoline_kernelINS0_14default_configENS1_37merge_sort_block_sort_config_selectorItNS0_10empty_typeEEEZNS1_21merge_sort_block_sortIS3_N6thrust23THRUST_200600_302600_NS6detail15normal_iteratorINS9_10device_ptrItEEEESE_PS5_SF_9comp_mod3ItEEE10hipError_tT0_T1_T2_T3_mRjT4_P12ihipStream_tbNS1_7vsmem_tEEUlT_E_NS1_11comp_targetILNS1_3genE2ELNS1_11target_archE906ELNS1_3gpuE6ELNS1_3repE0EEENS1_30default_config_static_selectorELNS0_4arch9wavefront6targetE0EEEvSK_.uses_flat_scratch, 0
	.set _ZN7rocprim17ROCPRIM_400000_NS6detail17trampoline_kernelINS0_14default_configENS1_37merge_sort_block_sort_config_selectorItNS0_10empty_typeEEEZNS1_21merge_sort_block_sortIS3_N6thrust23THRUST_200600_302600_NS6detail15normal_iteratorINS9_10device_ptrItEEEESE_PS5_SF_9comp_mod3ItEEE10hipError_tT0_T1_T2_T3_mRjT4_P12ihipStream_tbNS1_7vsmem_tEEUlT_E_NS1_11comp_targetILNS1_3genE2ELNS1_11target_archE906ELNS1_3gpuE6ELNS1_3repE0EEENS1_30default_config_static_selectorELNS0_4arch9wavefront6targetE0EEEvSK_.has_dyn_sized_stack, 0
	.set _ZN7rocprim17ROCPRIM_400000_NS6detail17trampoline_kernelINS0_14default_configENS1_37merge_sort_block_sort_config_selectorItNS0_10empty_typeEEEZNS1_21merge_sort_block_sortIS3_N6thrust23THRUST_200600_302600_NS6detail15normal_iteratorINS9_10device_ptrItEEEESE_PS5_SF_9comp_mod3ItEEE10hipError_tT0_T1_T2_T3_mRjT4_P12ihipStream_tbNS1_7vsmem_tEEUlT_E_NS1_11comp_targetILNS1_3genE2ELNS1_11target_archE906ELNS1_3gpuE6ELNS1_3repE0EEENS1_30default_config_static_selectorELNS0_4arch9wavefront6targetE0EEEvSK_.has_recursion, 0
	.set _ZN7rocprim17ROCPRIM_400000_NS6detail17trampoline_kernelINS0_14default_configENS1_37merge_sort_block_sort_config_selectorItNS0_10empty_typeEEEZNS1_21merge_sort_block_sortIS3_N6thrust23THRUST_200600_302600_NS6detail15normal_iteratorINS9_10device_ptrItEEEESE_PS5_SF_9comp_mod3ItEEE10hipError_tT0_T1_T2_T3_mRjT4_P12ihipStream_tbNS1_7vsmem_tEEUlT_E_NS1_11comp_targetILNS1_3genE2ELNS1_11target_archE906ELNS1_3gpuE6ELNS1_3repE0EEENS1_30default_config_static_selectorELNS0_4arch9wavefront6targetE0EEEvSK_.has_indirect_call, 0
	.section	.AMDGPU.csdata,"",@progbits
; Kernel info:
; codeLenInByte = 0
; TotalNumSgprs: 0
; NumVgprs: 0
; ScratchSize: 0
; MemoryBound: 0
; FloatMode: 240
; IeeeMode: 1
; LDSByteSize: 0 bytes/workgroup (compile time only)
; SGPRBlocks: 0
; VGPRBlocks: 0
; NumSGPRsForWavesPerEU: 1
; NumVGPRsForWavesPerEU: 1
; Occupancy: 16
; WaveLimiterHint : 0
; COMPUTE_PGM_RSRC2:SCRATCH_EN: 0
; COMPUTE_PGM_RSRC2:USER_SGPR: 6
; COMPUTE_PGM_RSRC2:TRAP_HANDLER: 0
; COMPUTE_PGM_RSRC2:TGID_X_EN: 1
; COMPUTE_PGM_RSRC2:TGID_Y_EN: 0
; COMPUTE_PGM_RSRC2:TGID_Z_EN: 0
; COMPUTE_PGM_RSRC2:TIDIG_COMP_CNT: 0
	.section	.text._ZN7rocprim17ROCPRIM_400000_NS6detail17trampoline_kernelINS0_14default_configENS1_37merge_sort_block_sort_config_selectorItNS0_10empty_typeEEEZNS1_21merge_sort_block_sortIS3_N6thrust23THRUST_200600_302600_NS6detail15normal_iteratorINS9_10device_ptrItEEEESE_PS5_SF_9comp_mod3ItEEE10hipError_tT0_T1_T2_T3_mRjT4_P12ihipStream_tbNS1_7vsmem_tEEUlT_E_NS1_11comp_targetILNS1_3genE10ELNS1_11target_archE1201ELNS1_3gpuE5ELNS1_3repE0EEENS1_30default_config_static_selectorELNS0_4arch9wavefront6targetE0EEEvSK_,"axG",@progbits,_ZN7rocprim17ROCPRIM_400000_NS6detail17trampoline_kernelINS0_14default_configENS1_37merge_sort_block_sort_config_selectorItNS0_10empty_typeEEEZNS1_21merge_sort_block_sortIS3_N6thrust23THRUST_200600_302600_NS6detail15normal_iteratorINS9_10device_ptrItEEEESE_PS5_SF_9comp_mod3ItEEE10hipError_tT0_T1_T2_T3_mRjT4_P12ihipStream_tbNS1_7vsmem_tEEUlT_E_NS1_11comp_targetILNS1_3genE10ELNS1_11target_archE1201ELNS1_3gpuE5ELNS1_3repE0EEENS1_30default_config_static_selectorELNS0_4arch9wavefront6targetE0EEEvSK_,comdat
	.protected	_ZN7rocprim17ROCPRIM_400000_NS6detail17trampoline_kernelINS0_14default_configENS1_37merge_sort_block_sort_config_selectorItNS0_10empty_typeEEEZNS1_21merge_sort_block_sortIS3_N6thrust23THRUST_200600_302600_NS6detail15normal_iteratorINS9_10device_ptrItEEEESE_PS5_SF_9comp_mod3ItEEE10hipError_tT0_T1_T2_T3_mRjT4_P12ihipStream_tbNS1_7vsmem_tEEUlT_E_NS1_11comp_targetILNS1_3genE10ELNS1_11target_archE1201ELNS1_3gpuE5ELNS1_3repE0EEENS1_30default_config_static_selectorELNS0_4arch9wavefront6targetE0EEEvSK_ ; -- Begin function _ZN7rocprim17ROCPRIM_400000_NS6detail17trampoline_kernelINS0_14default_configENS1_37merge_sort_block_sort_config_selectorItNS0_10empty_typeEEEZNS1_21merge_sort_block_sortIS3_N6thrust23THRUST_200600_302600_NS6detail15normal_iteratorINS9_10device_ptrItEEEESE_PS5_SF_9comp_mod3ItEEE10hipError_tT0_T1_T2_T3_mRjT4_P12ihipStream_tbNS1_7vsmem_tEEUlT_E_NS1_11comp_targetILNS1_3genE10ELNS1_11target_archE1201ELNS1_3gpuE5ELNS1_3repE0EEENS1_30default_config_static_selectorELNS0_4arch9wavefront6targetE0EEEvSK_
	.globl	_ZN7rocprim17ROCPRIM_400000_NS6detail17trampoline_kernelINS0_14default_configENS1_37merge_sort_block_sort_config_selectorItNS0_10empty_typeEEEZNS1_21merge_sort_block_sortIS3_N6thrust23THRUST_200600_302600_NS6detail15normal_iteratorINS9_10device_ptrItEEEESE_PS5_SF_9comp_mod3ItEEE10hipError_tT0_T1_T2_T3_mRjT4_P12ihipStream_tbNS1_7vsmem_tEEUlT_E_NS1_11comp_targetILNS1_3genE10ELNS1_11target_archE1201ELNS1_3gpuE5ELNS1_3repE0EEENS1_30default_config_static_selectorELNS0_4arch9wavefront6targetE0EEEvSK_
	.p2align	8
	.type	_ZN7rocprim17ROCPRIM_400000_NS6detail17trampoline_kernelINS0_14default_configENS1_37merge_sort_block_sort_config_selectorItNS0_10empty_typeEEEZNS1_21merge_sort_block_sortIS3_N6thrust23THRUST_200600_302600_NS6detail15normal_iteratorINS9_10device_ptrItEEEESE_PS5_SF_9comp_mod3ItEEE10hipError_tT0_T1_T2_T3_mRjT4_P12ihipStream_tbNS1_7vsmem_tEEUlT_E_NS1_11comp_targetILNS1_3genE10ELNS1_11target_archE1201ELNS1_3gpuE5ELNS1_3repE0EEENS1_30default_config_static_selectorELNS0_4arch9wavefront6targetE0EEEvSK_,@function
_ZN7rocprim17ROCPRIM_400000_NS6detail17trampoline_kernelINS0_14default_configENS1_37merge_sort_block_sort_config_selectorItNS0_10empty_typeEEEZNS1_21merge_sort_block_sortIS3_N6thrust23THRUST_200600_302600_NS6detail15normal_iteratorINS9_10device_ptrItEEEESE_PS5_SF_9comp_mod3ItEEE10hipError_tT0_T1_T2_T3_mRjT4_P12ihipStream_tbNS1_7vsmem_tEEUlT_E_NS1_11comp_targetILNS1_3genE10ELNS1_11target_archE1201ELNS1_3gpuE5ELNS1_3repE0EEENS1_30default_config_static_selectorELNS0_4arch9wavefront6targetE0EEEvSK_: ; @_ZN7rocprim17ROCPRIM_400000_NS6detail17trampoline_kernelINS0_14default_configENS1_37merge_sort_block_sort_config_selectorItNS0_10empty_typeEEEZNS1_21merge_sort_block_sortIS3_N6thrust23THRUST_200600_302600_NS6detail15normal_iteratorINS9_10device_ptrItEEEESE_PS5_SF_9comp_mod3ItEEE10hipError_tT0_T1_T2_T3_mRjT4_P12ihipStream_tbNS1_7vsmem_tEEUlT_E_NS1_11comp_targetILNS1_3genE10ELNS1_11target_archE1201ELNS1_3gpuE5ELNS1_3repE0EEENS1_30default_config_static_selectorELNS0_4arch9wavefront6targetE0EEEvSK_
; %bb.0:
	.section	.rodata,"a",@progbits
	.p2align	6, 0x0
	.amdhsa_kernel _ZN7rocprim17ROCPRIM_400000_NS6detail17trampoline_kernelINS0_14default_configENS1_37merge_sort_block_sort_config_selectorItNS0_10empty_typeEEEZNS1_21merge_sort_block_sortIS3_N6thrust23THRUST_200600_302600_NS6detail15normal_iteratorINS9_10device_ptrItEEEESE_PS5_SF_9comp_mod3ItEEE10hipError_tT0_T1_T2_T3_mRjT4_P12ihipStream_tbNS1_7vsmem_tEEUlT_E_NS1_11comp_targetILNS1_3genE10ELNS1_11target_archE1201ELNS1_3gpuE5ELNS1_3repE0EEENS1_30default_config_static_selectorELNS0_4arch9wavefront6targetE0EEEvSK_
		.amdhsa_group_segment_fixed_size 0
		.amdhsa_private_segment_fixed_size 0
		.amdhsa_kernarg_size 64
		.amdhsa_user_sgpr_count 6
		.amdhsa_user_sgpr_private_segment_buffer 1
		.amdhsa_user_sgpr_dispatch_ptr 0
		.amdhsa_user_sgpr_queue_ptr 0
		.amdhsa_user_sgpr_kernarg_segment_ptr 1
		.amdhsa_user_sgpr_dispatch_id 0
		.amdhsa_user_sgpr_flat_scratch_init 0
		.amdhsa_user_sgpr_private_segment_size 0
		.amdhsa_wavefront_size32 1
		.amdhsa_uses_dynamic_stack 0
		.amdhsa_system_sgpr_private_segment_wavefront_offset 0
		.amdhsa_system_sgpr_workgroup_id_x 1
		.amdhsa_system_sgpr_workgroup_id_y 0
		.amdhsa_system_sgpr_workgroup_id_z 0
		.amdhsa_system_sgpr_workgroup_info 0
		.amdhsa_system_vgpr_workitem_id 0
		.amdhsa_next_free_vgpr 1
		.amdhsa_next_free_sgpr 1
		.amdhsa_reserve_vcc 0
		.amdhsa_reserve_flat_scratch 0
		.amdhsa_float_round_mode_32 0
		.amdhsa_float_round_mode_16_64 0
		.amdhsa_float_denorm_mode_32 3
		.amdhsa_float_denorm_mode_16_64 3
		.amdhsa_dx10_clamp 1
		.amdhsa_ieee_mode 1
		.amdhsa_fp16_overflow 0
		.amdhsa_workgroup_processor_mode 1
		.amdhsa_memory_ordered 1
		.amdhsa_forward_progress 1
		.amdhsa_shared_vgpr_count 0
		.amdhsa_exception_fp_ieee_invalid_op 0
		.amdhsa_exception_fp_denorm_src 0
		.amdhsa_exception_fp_ieee_div_zero 0
		.amdhsa_exception_fp_ieee_overflow 0
		.amdhsa_exception_fp_ieee_underflow 0
		.amdhsa_exception_fp_ieee_inexact 0
		.amdhsa_exception_int_div_zero 0
	.end_amdhsa_kernel
	.section	.text._ZN7rocprim17ROCPRIM_400000_NS6detail17trampoline_kernelINS0_14default_configENS1_37merge_sort_block_sort_config_selectorItNS0_10empty_typeEEEZNS1_21merge_sort_block_sortIS3_N6thrust23THRUST_200600_302600_NS6detail15normal_iteratorINS9_10device_ptrItEEEESE_PS5_SF_9comp_mod3ItEEE10hipError_tT0_T1_T2_T3_mRjT4_P12ihipStream_tbNS1_7vsmem_tEEUlT_E_NS1_11comp_targetILNS1_3genE10ELNS1_11target_archE1201ELNS1_3gpuE5ELNS1_3repE0EEENS1_30default_config_static_selectorELNS0_4arch9wavefront6targetE0EEEvSK_,"axG",@progbits,_ZN7rocprim17ROCPRIM_400000_NS6detail17trampoline_kernelINS0_14default_configENS1_37merge_sort_block_sort_config_selectorItNS0_10empty_typeEEEZNS1_21merge_sort_block_sortIS3_N6thrust23THRUST_200600_302600_NS6detail15normal_iteratorINS9_10device_ptrItEEEESE_PS5_SF_9comp_mod3ItEEE10hipError_tT0_T1_T2_T3_mRjT4_P12ihipStream_tbNS1_7vsmem_tEEUlT_E_NS1_11comp_targetILNS1_3genE10ELNS1_11target_archE1201ELNS1_3gpuE5ELNS1_3repE0EEENS1_30default_config_static_selectorELNS0_4arch9wavefront6targetE0EEEvSK_,comdat
.Lfunc_end869:
	.size	_ZN7rocprim17ROCPRIM_400000_NS6detail17trampoline_kernelINS0_14default_configENS1_37merge_sort_block_sort_config_selectorItNS0_10empty_typeEEEZNS1_21merge_sort_block_sortIS3_N6thrust23THRUST_200600_302600_NS6detail15normal_iteratorINS9_10device_ptrItEEEESE_PS5_SF_9comp_mod3ItEEE10hipError_tT0_T1_T2_T3_mRjT4_P12ihipStream_tbNS1_7vsmem_tEEUlT_E_NS1_11comp_targetILNS1_3genE10ELNS1_11target_archE1201ELNS1_3gpuE5ELNS1_3repE0EEENS1_30default_config_static_selectorELNS0_4arch9wavefront6targetE0EEEvSK_, .Lfunc_end869-_ZN7rocprim17ROCPRIM_400000_NS6detail17trampoline_kernelINS0_14default_configENS1_37merge_sort_block_sort_config_selectorItNS0_10empty_typeEEEZNS1_21merge_sort_block_sortIS3_N6thrust23THRUST_200600_302600_NS6detail15normal_iteratorINS9_10device_ptrItEEEESE_PS5_SF_9comp_mod3ItEEE10hipError_tT0_T1_T2_T3_mRjT4_P12ihipStream_tbNS1_7vsmem_tEEUlT_E_NS1_11comp_targetILNS1_3genE10ELNS1_11target_archE1201ELNS1_3gpuE5ELNS1_3repE0EEENS1_30default_config_static_selectorELNS0_4arch9wavefront6targetE0EEEvSK_
                                        ; -- End function
	.set _ZN7rocprim17ROCPRIM_400000_NS6detail17trampoline_kernelINS0_14default_configENS1_37merge_sort_block_sort_config_selectorItNS0_10empty_typeEEEZNS1_21merge_sort_block_sortIS3_N6thrust23THRUST_200600_302600_NS6detail15normal_iteratorINS9_10device_ptrItEEEESE_PS5_SF_9comp_mod3ItEEE10hipError_tT0_T1_T2_T3_mRjT4_P12ihipStream_tbNS1_7vsmem_tEEUlT_E_NS1_11comp_targetILNS1_3genE10ELNS1_11target_archE1201ELNS1_3gpuE5ELNS1_3repE0EEENS1_30default_config_static_selectorELNS0_4arch9wavefront6targetE0EEEvSK_.num_vgpr, 0
	.set _ZN7rocprim17ROCPRIM_400000_NS6detail17trampoline_kernelINS0_14default_configENS1_37merge_sort_block_sort_config_selectorItNS0_10empty_typeEEEZNS1_21merge_sort_block_sortIS3_N6thrust23THRUST_200600_302600_NS6detail15normal_iteratorINS9_10device_ptrItEEEESE_PS5_SF_9comp_mod3ItEEE10hipError_tT0_T1_T2_T3_mRjT4_P12ihipStream_tbNS1_7vsmem_tEEUlT_E_NS1_11comp_targetILNS1_3genE10ELNS1_11target_archE1201ELNS1_3gpuE5ELNS1_3repE0EEENS1_30default_config_static_selectorELNS0_4arch9wavefront6targetE0EEEvSK_.num_agpr, 0
	.set _ZN7rocprim17ROCPRIM_400000_NS6detail17trampoline_kernelINS0_14default_configENS1_37merge_sort_block_sort_config_selectorItNS0_10empty_typeEEEZNS1_21merge_sort_block_sortIS3_N6thrust23THRUST_200600_302600_NS6detail15normal_iteratorINS9_10device_ptrItEEEESE_PS5_SF_9comp_mod3ItEEE10hipError_tT0_T1_T2_T3_mRjT4_P12ihipStream_tbNS1_7vsmem_tEEUlT_E_NS1_11comp_targetILNS1_3genE10ELNS1_11target_archE1201ELNS1_3gpuE5ELNS1_3repE0EEENS1_30default_config_static_selectorELNS0_4arch9wavefront6targetE0EEEvSK_.numbered_sgpr, 0
	.set _ZN7rocprim17ROCPRIM_400000_NS6detail17trampoline_kernelINS0_14default_configENS1_37merge_sort_block_sort_config_selectorItNS0_10empty_typeEEEZNS1_21merge_sort_block_sortIS3_N6thrust23THRUST_200600_302600_NS6detail15normal_iteratorINS9_10device_ptrItEEEESE_PS5_SF_9comp_mod3ItEEE10hipError_tT0_T1_T2_T3_mRjT4_P12ihipStream_tbNS1_7vsmem_tEEUlT_E_NS1_11comp_targetILNS1_3genE10ELNS1_11target_archE1201ELNS1_3gpuE5ELNS1_3repE0EEENS1_30default_config_static_selectorELNS0_4arch9wavefront6targetE0EEEvSK_.num_named_barrier, 0
	.set _ZN7rocprim17ROCPRIM_400000_NS6detail17trampoline_kernelINS0_14default_configENS1_37merge_sort_block_sort_config_selectorItNS0_10empty_typeEEEZNS1_21merge_sort_block_sortIS3_N6thrust23THRUST_200600_302600_NS6detail15normal_iteratorINS9_10device_ptrItEEEESE_PS5_SF_9comp_mod3ItEEE10hipError_tT0_T1_T2_T3_mRjT4_P12ihipStream_tbNS1_7vsmem_tEEUlT_E_NS1_11comp_targetILNS1_3genE10ELNS1_11target_archE1201ELNS1_3gpuE5ELNS1_3repE0EEENS1_30default_config_static_selectorELNS0_4arch9wavefront6targetE0EEEvSK_.private_seg_size, 0
	.set _ZN7rocprim17ROCPRIM_400000_NS6detail17trampoline_kernelINS0_14default_configENS1_37merge_sort_block_sort_config_selectorItNS0_10empty_typeEEEZNS1_21merge_sort_block_sortIS3_N6thrust23THRUST_200600_302600_NS6detail15normal_iteratorINS9_10device_ptrItEEEESE_PS5_SF_9comp_mod3ItEEE10hipError_tT0_T1_T2_T3_mRjT4_P12ihipStream_tbNS1_7vsmem_tEEUlT_E_NS1_11comp_targetILNS1_3genE10ELNS1_11target_archE1201ELNS1_3gpuE5ELNS1_3repE0EEENS1_30default_config_static_selectorELNS0_4arch9wavefront6targetE0EEEvSK_.uses_vcc, 0
	.set _ZN7rocprim17ROCPRIM_400000_NS6detail17trampoline_kernelINS0_14default_configENS1_37merge_sort_block_sort_config_selectorItNS0_10empty_typeEEEZNS1_21merge_sort_block_sortIS3_N6thrust23THRUST_200600_302600_NS6detail15normal_iteratorINS9_10device_ptrItEEEESE_PS5_SF_9comp_mod3ItEEE10hipError_tT0_T1_T2_T3_mRjT4_P12ihipStream_tbNS1_7vsmem_tEEUlT_E_NS1_11comp_targetILNS1_3genE10ELNS1_11target_archE1201ELNS1_3gpuE5ELNS1_3repE0EEENS1_30default_config_static_selectorELNS0_4arch9wavefront6targetE0EEEvSK_.uses_flat_scratch, 0
	.set _ZN7rocprim17ROCPRIM_400000_NS6detail17trampoline_kernelINS0_14default_configENS1_37merge_sort_block_sort_config_selectorItNS0_10empty_typeEEEZNS1_21merge_sort_block_sortIS3_N6thrust23THRUST_200600_302600_NS6detail15normal_iteratorINS9_10device_ptrItEEEESE_PS5_SF_9comp_mod3ItEEE10hipError_tT0_T1_T2_T3_mRjT4_P12ihipStream_tbNS1_7vsmem_tEEUlT_E_NS1_11comp_targetILNS1_3genE10ELNS1_11target_archE1201ELNS1_3gpuE5ELNS1_3repE0EEENS1_30default_config_static_selectorELNS0_4arch9wavefront6targetE0EEEvSK_.has_dyn_sized_stack, 0
	.set _ZN7rocprim17ROCPRIM_400000_NS6detail17trampoline_kernelINS0_14default_configENS1_37merge_sort_block_sort_config_selectorItNS0_10empty_typeEEEZNS1_21merge_sort_block_sortIS3_N6thrust23THRUST_200600_302600_NS6detail15normal_iteratorINS9_10device_ptrItEEEESE_PS5_SF_9comp_mod3ItEEE10hipError_tT0_T1_T2_T3_mRjT4_P12ihipStream_tbNS1_7vsmem_tEEUlT_E_NS1_11comp_targetILNS1_3genE10ELNS1_11target_archE1201ELNS1_3gpuE5ELNS1_3repE0EEENS1_30default_config_static_selectorELNS0_4arch9wavefront6targetE0EEEvSK_.has_recursion, 0
	.set _ZN7rocprim17ROCPRIM_400000_NS6detail17trampoline_kernelINS0_14default_configENS1_37merge_sort_block_sort_config_selectorItNS0_10empty_typeEEEZNS1_21merge_sort_block_sortIS3_N6thrust23THRUST_200600_302600_NS6detail15normal_iteratorINS9_10device_ptrItEEEESE_PS5_SF_9comp_mod3ItEEE10hipError_tT0_T1_T2_T3_mRjT4_P12ihipStream_tbNS1_7vsmem_tEEUlT_E_NS1_11comp_targetILNS1_3genE10ELNS1_11target_archE1201ELNS1_3gpuE5ELNS1_3repE0EEENS1_30default_config_static_selectorELNS0_4arch9wavefront6targetE0EEEvSK_.has_indirect_call, 0
	.section	.AMDGPU.csdata,"",@progbits
; Kernel info:
; codeLenInByte = 0
; TotalNumSgprs: 0
; NumVgprs: 0
; ScratchSize: 0
; MemoryBound: 0
; FloatMode: 240
; IeeeMode: 1
; LDSByteSize: 0 bytes/workgroup (compile time only)
; SGPRBlocks: 0
; VGPRBlocks: 0
; NumSGPRsForWavesPerEU: 1
; NumVGPRsForWavesPerEU: 1
; Occupancy: 16
; WaveLimiterHint : 0
; COMPUTE_PGM_RSRC2:SCRATCH_EN: 0
; COMPUTE_PGM_RSRC2:USER_SGPR: 6
; COMPUTE_PGM_RSRC2:TRAP_HANDLER: 0
; COMPUTE_PGM_RSRC2:TGID_X_EN: 1
; COMPUTE_PGM_RSRC2:TGID_Y_EN: 0
; COMPUTE_PGM_RSRC2:TGID_Z_EN: 0
; COMPUTE_PGM_RSRC2:TIDIG_COMP_CNT: 0
	.section	.text._ZN7rocprim17ROCPRIM_400000_NS6detail17trampoline_kernelINS0_14default_configENS1_37merge_sort_block_sort_config_selectorItNS0_10empty_typeEEEZNS1_21merge_sort_block_sortIS3_N6thrust23THRUST_200600_302600_NS6detail15normal_iteratorINS9_10device_ptrItEEEESE_PS5_SF_9comp_mod3ItEEE10hipError_tT0_T1_T2_T3_mRjT4_P12ihipStream_tbNS1_7vsmem_tEEUlT_E_NS1_11comp_targetILNS1_3genE10ELNS1_11target_archE1200ELNS1_3gpuE4ELNS1_3repE0EEENS1_30default_config_static_selectorELNS0_4arch9wavefront6targetE0EEEvSK_,"axG",@progbits,_ZN7rocprim17ROCPRIM_400000_NS6detail17trampoline_kernelINS0_14default_configENS1_37merge_sort_block_sort_config_selectorItNS0_10empty_typeEEEZNS1_21merge_sort_block_sortIS3_N6thrust23THRUST_200600_302600_NS6detail15normal_iteratorINS9_10device_ptrItEEEESE_PS5_SF_9comp_mod3ItEEE10hipError_tT0_T1_T2_T3_mRjT4_P12ihipStream_tbNS1_7vsmem_tEEUlT_E_NS1_11comp_targetILNS1_3genE10ELNS1_11target_archE1200ELNS1_3gpuE4ELNS1_3repE0EEENS1_30default_config_static_selectorELNS0_4arch9wavefront6targetE0EEEvSK_,comdat
	.protected	_ZN7rocprim17ROCPRIM_400000_NS6detail17trampoline_kernelINS0_14default_configENS1_37merge_sort_block_sort_config_selectorItNS0_10empty_typeEEEZNS1_21merge_sort_block_sortIS3_N6thrust23THRUST_200600_302600_NS6detail15normal_iteratorINS9_10device_ptrItEEEESE_PS5_SF_9comp_mod3ItEEE10hipError_tT0_T1_T2_T3_mRjT4_P12ihipStream_tbNS1_7vsmem_tEEUlT_E_NS1_11comp_targetILNS1_3genE10ELNS1_11target_archE1200ELNS1_3gpuE4ELNS1_3repE0EEENS1_30default_config_static_selectorELNS0_4arch9wavefront6targetE0EEEvSK_ ; -- Begin function _ZN7rocprim17ROCPRIM_400000_NS6detail17trampoline_kernelINS0_14default_configENS1_37merge_sort_block_sort_config_selectorItNS0_10empty_typeEEEZNS1_21merge_sort_block_sortIS3_N6thrust23THRUST_200600_302600_NS6detail15normal_iteratorINS9_10device_ptrItEEEESE_PS5_SF_9comp_mod3ItEEE10hipError_tT0_T1_T2_T3_mRjT4_P12ihipStream_tbNS1_7vsmem_tEEUlT_E_NS1_11comp_targetILNS1_3genE10ELNS1_11target_archE1200ELNS1_3gpuE4ELNS1_3repE0EEENS1_30default_config_static_selectorELNS0_4arch9wavefront6targetE0EEEvSK_
	.globl	_ZN7rocprim17ROCPRIM_400000_NS6detail17trampoline_kernelINS0_14default_configENS1_37merge_sort_block_sort_config_selectorItNS0_10empty_typeEEEZNS1_21merge_sort_block_sortIS3_N6thrust23THRUST_200600_302600_NS6detail15normal_iteratorINS9_10device_ptrItEEEESE_PS5_SF_9comp_mod3ItEEE10hipError_tT0_T1_T2_T3_mRjT4_P12ihipStream_tbNS1_7vsmem_tEEUlT_E_NS1_11comp_targetILNS1_3genE10ELNS1_11target_archE1200ELNS1_3gpuE4ELNS1_3repE0EEENS1_30default_config_static_selectorELNS0_4arch9wavefront6targetE0EEEvSK_
	.p2align	8
	.type	_ZN7rocprim17ROCPRIM_400000_NS6detail17trampoline_kernelINS0_14default_configENS1_37merge_sort_block_sort_config_selectorItNS0_10empty_typeEEEZNS1_21merge_sort_block_sortIS3_N6thrust23THRUST_200600_302600_NS6detail15normal_iteratorINS9_10device_ptrItEEEESE_PS5_SF_9comp_mod3ItEEE10hipError_tT0_T1_T2_T3_mRjT4_P12ihipStream_tbNS1_7vsmem_tEEUlT_E_NS1_11comp_targetILNS1_3genE10ELNS1_11target_archE1200ELNS1_3gpuE4ELNS1_3repE0EEENS1_30default_config_static_selectorELNS0_4arch9wavefront6targetE0EEEvSK_,@function
_ZN7rocprim17ROCPRIM_400000_NS6detail17trampoline_kernelINS0_14default_configENS1_37merge_sort_block_sort_config_selectorItNS0_10empty_typeEEEZNS1_21merge_sort_block_sortIS3_N6thrust23THRUST_200600_302600_NS6detail15normal_iteratorINS9_10device_ptrItEEEESE_PS5_SF_9comp_mod3ItEEE10hipError_tT0_T1_T2_T3_mRjT4_P12ihipStream_tbNS1_7vsmem_tEEUlT_E_NS1_11comp_targetILNS1_3genE10ELNS1_11target_archE1200ELNS1_3gpuE4ELNS1_3repE0EEENS1_30default_config_static_selectorELNS0_4arch9wavefront6targetE0EEEvSK_: ; @_ZN7rocprim17ROCPRIM_400000_NS6detail17trampoline_kernelINS0_14default_configENS1_37merge_sort_block_sort_config_selectorItNS0_10empty_typeEEEZNS1_21merge_sort_block_sortIS3_N6thrust23THRUST_200600_302600_NS6detail15normal_iteratorINS9_10device_ptrItEEEESE_PS5_SF_9comp_mod3ItEEE10hipError_tT0_T1_T2_T3_mRjT4_P12ihipStream_tbNS1_7vsmem_tEEUlT_E_NS1_11comp_targetILNS1_3genE10ELNS1_11target_archE1200ELNS1_3gpuE4ELNS1_3repE0EEENS1_30default_config_static_selectorELNS0_4arch9wavefront6targetE0EEEvSK_
; %bb.0:
	.section	.rodata,"a",@progbits
	.p2align	6, 0x0
	.amdhsa_kernel _ZN7rocprim17ROCPRIM_400000_NS6detail17trampoline_kernelINS0_14default_configENS1_37merge_sort_block_sort_config_selectorItNS0_10empty_typeEEEZNS1_21merge_sort_block_sortIS3_N6thrust23THRUST_200600_302600_NS6detail15normal_iteratorINS9_10device_ptrItEEEESE_PS5_SF_9comp_mod3ItEEE10hipError_tT0_T1_T2_T3_mRjT4_P12ihipStream_tbNS1_7vsmem_tEEUlT_E_NS1_11comp_targetILNS1_3genE10ELNS1_11target_archE1200ELNS1_3gpuE4ELNS1_3repE0EEENS1_30default_config_static_selectorELNS0_4arch9wavefront6targetE0EEEvSK_
		.amdhsa_group_segment_fixed_size 0
		.amdhsa_private_segment_fixed_size 0
		.amdhsa_kernarg_size 64
		.amdhsa_user_sgpr_count 6
		.amdhsa_user_sgpr_private_segment_buffer 1
		.amdhsa_user_sgpr_dispatch_ptr 0
		.amdhsa_user_sgpr_queue_ptr 0
		.amdhsa_user_sgpr_kernarg_segment_ptr 1
		.amdhsa_user_sgpr_dispatch_id 0
		.amdhsa_user_sgpr_flat_scratch_init 0
		.amdhsa_user_sgpr_private_segment_size 0
		.amdhsa_wavefront_size32 1
		.amdhsa_uses_dynamic_stack 0
		.amdhsa_system_sgpr_private_segment_wavefront_offset 0
		.amdhsa_system_sgpr_workgroup_id_x 1
		.amdhsa_system_sgpr_workgroup_id_y 0
		.amdhsa_system_sgpr_workgroup_id_z 0
		.amdhsa_system_sgpr_workgroup_info 0
		.amdhsa_system_vgpr_workitem_id 0
		.amdhsa_next_free_vgpr 1
		.amdhsa_next_free_sgpr 1
		.amdhsa_reserve_vcc 0
		.amdhsa_reserve_flat_scratch 0
		.amdhsa_float_round_mode_32 0
		.amdhsa_float_round_mode_16_64 0
		.amdhsa_float_denorm_mode_32 3
		.amdhsa_float_denorm_mode_16_64 3
		.amdhsa_dx10_clamp 1
		.amdhsa_ieee_mode 1
		.amdhsa_fp16_overflow 0
		.amdhsa_workgroup_processor_mode 1
		.amdhsa_memory_ordered 1
		.amdhsa_forward_progress 1
		.amdhsa_shared_vgpr_count 0
		.amdhsa_exception_fp_ieee_invalid_op 0
		.amdhsa_exception_fp_denorm_src 0
		.amdhsa_exception_fp_ieee_div_zero 0
		.amdhsa_exception_fp_ieee_overflow 0
		.amdhsa_exception_fp_ieee_underflow 0
		.amdhsa_exception_fp_ieee_inexact 0
		.amdhsa_exception_int_div_zero 0
	.end_amdhsa_kernel
	.section	.text._ZN7rocprim17ROCPRIM_400000_NS6detail17trampoline_kernelINS0_14default_configENS1_37merge_sort_block_sort_config_selectorItNS0_10empty_typeEEEZNS1_21merge_sort_block_sortIS3_N6thrust23THRUST_200600_302600_NS6detail15normal_iteratorINS9_10device_ptrItEEEESE_PS5_SF_9comp_mod3ItEEE10hipError_tT0_T1_T2_T3_mRjT4_P12ihipStream_tbNS1_7vsmem_tEEUlT_E_NS1_11comp_targetILNS1_3genE10ELNS1_11target_archE1200ELNS1_3gpuE4ELNS1_3repE0EEENS1_30default_config_static_selectorELNS0_4arch9wavefront6targetE0EEEvSK_,"axG",@progbits,_ZN7rocprim17ROCPRIM_400000_NS6detail17trampoline_kernelINS0_14default_configENS1_37merge_sort_block_sort_config_selectorItNS0_10empty_typeEEEZNS1_21merge_sort_block_sortIS3_N6thrust23THRUST_200600_302600_NS6detail15normal_iteratorINS9_10device_ptrItEEEESE_PS5_SF_9comp_mod3ItEEE10hipError_tT0_T1_T2_T3_mRjT4_P12ihipStream_tbNS1_7vsmem_tEEUlT_E_NS1_11comp_targetILNS1_3genE10ELNS1_11target_archE1200ELNS1_3gpuE4ELNS1_3repE0EEENS1_30default_config_static_selectorELNS0_4arch9wavefront6targetE0EEEvSK_,comdat
.Lfunc_end870:
	.size	_ZN7rocprim17ROCPRIM_400000_NS6detail17trampoline_kernelINS0_14default_configENS1_37merge_sort_block_sort_config_selectorItNS0_10empty_typeEEEZNS1_21merge_sort_block_sortIS3_N6thrust23THRUST_200600_302600_NS6detail15normal_iteratorINS9_10device_ptrItEEEESE_PS5_SF_9comp_mod3ItEEE10hipError_tT0_T1_T2_T3_mRjT4_P12ihipStream_tbNS1_7vsmem_tEEUlT_E_NS1_11comp_targetILNS1_3genE10ELNS1_11target_archE1200ELNS1_3gpuE4ELNS1_3repE0EEENS1_30default_config_static_selectorELNS0_4arch9wavefront6targetE0EEEvSK_, .Lfunc_end870-_ZN7rocprim17ROCPRIM_400000_NS6detail17trampoline_kernelINS0_14default_configENS1_37merge_sort_block_sort_config_selectorItNS0_10empty_typeEEEZNS1_21merge_sort_block_sortIS3_N6thrust23THRUST_200600_302600_NS6detail15normal_iteratorINS9_10device_ptrItEEEESE_PS5_SF_9comp_mod3ItEEE10hipError_tT0_T1_T2_T3_mRjT4_P12ihipStream_tbNS1_7vsmem_tEEUlT_E_NS1_11comp_targetILNS1_3genE10ELNS1_11target_archE1200ELNS1_3gpuE4ELNS1_3repE0EEENS1_30default_config_static_selectorELNS0_4arch9wavefront6targetE0EEEvSK_
                                        ; -- End function
	.set _ZN7rocprim17ROCPRIM_400000_NS6detail17trampoline_kernelINS0_14default_configENS1_37merge_sort_block_sort_config_selectorItNS0_10empty_typeEEEZNS1_21merge_sort_block_sortIS3_N6thrust23THRUST_200600_302600_NS6detail15normal_iteratorINS9_10device_ptrItEEEESE_PS5_SF_9comp_mod3ItEEE10hipError_tT0_T1_T2_T3_mRjT4_P12ihipStream_tbNS1_7vsmem_tEEUlT_E_NS1_11comp_targetILNS1_3genE10ELNS1_11target_archE1200ELNS1_3gpuE4ELNS1_3repE0EEENS1_30default_config_static_selectorELNS0_4arch9wavefront6targetE0EEEvSK_.num_vgpr, 0
	.set _ZN7rocprim17ROCPRIM_400000_NS6detail17trampoline_kernelINS0_14default_configENS1_37merge_sort_block_sort_config_selectorItNS0_10empty_typeEEEZNS1_21merge_sort_block_sortIS3_N6thrust23THRUST_200600_302600_NS6detail15normal_iteratorINS9_10device_ptrItEEEESE_PS5_SF_9comp_mod3ItEEE10hipError_tT0_T1_T2_T3_mRjT4_P12ihipStream_tbNS1_7vsmem_tEEUlT_E_NS1_11comp_targetILNS1_3genE10ELNS1_11target_archE1200ELNS1_3gpuE4ELNS1_3repE0EEENS1_30default_config_static_selectorELNS0_4arch9wavefront6targetE0EEEvSK_.num_agpr, 0
	.set _ZN7rocprim17ROCPRIM_400000_NS6detail17trampoline_kernelINS0_14default_configENS1_37merge_sort_block_sort_config_selectorItNS0_10empty_typeEEEZNS1_21merge_sort_block_sortIS3_N6thrust23THRUST_200600_302600_NS6detail15normal_iteratorINS9_10device_ptrItEEEESE_PS5_SF_9comp_mod3ItEEE10hipError_tT0_T1_T2_T3_mRjT4_P12ihipStream_tbNS1_7vsmem_tEEUlT_E_NS1_11comp_targetILNS1_3genE10ELNS1_11target_archE1200ELNS1_3gpuE4ELNS1_3repE0EEENS1_30default_config_static_selectorELNS0_4arch9wavefront6targetE0EEEvSK_.numbered_sgpr, 0
	.set _ZN7rocprim17ROCPRIM_400000_NS6detail17trampoline_kernelINS0_14default_configENS1_37merge_sort_block_sort_config_selectorItNS0_10empty_typeEEEZNS1_21merge_sort_block_sortIS3_N6thrust23THRUST_200600_302600_NS6detail15normal_iteratorINS9_10device_ptrItEEEESE_PS5_SF_9comp_mod3ItEEE10hipError_tT0_T1_T2_T3_mRjT4_P12ihipStream_tbNS1_7vsmem_tEEUlT_E_NS1_11comp_targetILNS1_3genE10ELNS1_11target_archE1200ELNS1_3gpuE4ELNS1_3repE0EEENS1_30default_config_static_selectorELNS0_4arch9wavefront6targetE0EEEvSK_.num_named_barrier, 0
	.set _ZN7rocprim17ROCPRIM_400000_NS6detail17trampoline_kernelINS0_14default_configENS1_37merge_sort_block_sort_config_selectorItNS0_10empty_typeEEEZNS1_21merge_sort_block_sortIS3_N6thrust23THRUST_200600_302600_NS6detail15normal_iteratorINS9_10device_ptrItEEEESE_PS5_SF_9comp_mod3ItEEE10hipError_tT0_T1_T2_T3_mRjT4_P12ihipStream_tbNS1_7vsmem_tEEUlT_E_NS1_11comp_targetILNS1_3genE10ELNS1_11target_archE1200ELNS1_3gpuE4ELNS1_3repE0EEENS1_30default_config_static_selectorELNS0_4arch9wavefront6targetE0EEEvSK_.private_seg_size, 0
	.set _ZN7rocprim17ROCPRIM_400000_NS6detail17trampoline_kernelINS0_14default_configENS1_37merge_sort_block_sort_config_selectorItNS0_10empty_typeEEEZNS1_21merge_sort_block_sortIS3_N6thrust23THRUST_200600_302600_NS6detail15normal_iteratorINS9_10device_ptrItEEEESE_PS5_SF_9comp_mod3ItEEE10hipError_tT0_T1_T2_T3_mRjT4_P12ihipStream_tbNS1_7vsmem_tEEUlT_E_NS1_11comp_targetILNS1_3genE10ELNS1_11target_archE1200ELNS1_3gpuE4ELNS1_3repE0EEENS1_30default_config_static_selectorELNS0_4arch9wavefront6targetE0EEEvSK_.uses_vcc, 0
	.set _ZN7rocprim17ROCPRIM_400000_NS6detail17trampoline_kernelINS0_14default_configENS1_37merge_sort_block_sort_config_selectorItNS0_10empty_typeEEEZNS1_21merge_sort_block_sortIS3_N6thrust23THRUST_200600_302600_NS6detail15normal_iteratorINS9_10device_ptrItEEEESE_PS5_SF_9comp_mod3ItEEE10hipError_tT0_T1_T2_T3_mRjT4_P12ihipStream_tbNS1_7vsmem_tEEUlT_E_NS1_11comp_targetILNS1_3genE10ELNS1_11target_archE1200ELNS1_3gpuE4ELNS1_3repE0EEENS1_30default_config_static_selectorELNS0_4arch9wavefront6targetE0EEEvSK_.uses_flat_scratch, 0
	.set _ZN7rocprim17ROCPRIM_400000_NS6detail17trampoline_kernelINS0_14default_configENS1_37merge_sort_block_sort_config_selectorItNS0_10empty_typeEEEZNS1_21merge_sort_block_sortIS3_N6thrust23THRUST_200600_302600_NS6detail15normal_iteratorINS9_10device_ptrItEEEESE_PS5_SF_9comp_mod3ItEEE10hipError_tT0_T1_T2_T3_mRjT4_P12ihipStream_tbNS1_7vsmem_tEEUlT_E_NS1_11comp_targetILNS1_3genE10ELNS1_11target_archE1200ELNS1_3gpuE4ELNS1_3repE0EEENS1_30default_config_static_selectorELNS0_4arch9wavefront6targetE0EEEvSK_.has_dyn_sized_stack, 0
	.set _ZN7rocprim17ROCPRIM_400000_NS6detail17trampoline_kernelINS0_14default_configENS1_37merge_sort_block_sort_config_selectorItNS0_10empty_typeEEEZNS1_21merge_sort_block_sortIS3_N6thrust23THRUST_200600_302600_NS6detail15normal_iteratorINS9_10device_ptrItEEEESE_PS5_SF_9comp_mod3ItEEE10hipError_tT0_T1_T2_T3_mRjT4_P12ihipStream_tbNS1_7vsmem_tEEUlT_E_NS1_11comp_targetILNS1_3genE10ELNS1_11target_archE1200ELNS1_3gpuE4ELNS1_3repE0EEENS1_30default_config_static_selectorELNS0_4arch9wavefront6targetE0EEEvSK_.has_recursion, 0
	.set _ZN7rocprim17ROCPRIM_400000_NS6detail17trampoline_kernelINS0_14default_configENS1_37merge_sort_block_sort_config_selectorItNS0_10empty_typeEEEZNS1_21merge_sort_block_sortIS3_N6thrust23THRUST_200600_302600_NS6detail15normal_iteratorINS9_10device_ptrItEEEESE_PS5_SF_9comp_mod3ItEEE10hipError_tT0_T1_T2_T3_mRjT4_P12ihipStream_tbNS1_7vsmem_tEEUlT_E_NS1_11comp_targetILNS1_3genE10ELNS1_11target_archE1200ELNS1_3gpuE4ELNS1_3repE0EEENS1_30default_config_static_selectorELNS0_4arch9wavefront6targetE0EEEvSK_.has_indirect_call, 0
	.section	.AMDGPU.csdata,"",@progbits
; Kernel info:
; codeLenInByte = 0
; TotalNumSgprs: 0
; NumVgprs: 0
; ScratchSize: 0
; MemoryBound: 0
; FloatMode: 240
; IeeeMode: 1
; LDSByteSize: 0 bytes/workgroup (compile time only)
; SGPRBlocks: 0
; VGPRBlocks: 0
; NumSGPRsForWavesPerEU: 1
; NumVGPRsForWavesPerEU: 1
; Occupancy: 16
; WaveLimiterHint : 0
; COMPUTE_PGM_RSRC2:SCRATCH_EN: 0
; COMPUTE_PGM_RSRC2:USER_SGPR: 6
; COMPUTE_PGM_RSRC2:TRAP_HANDLER: 0
; COMPUTE_PGM_RSRC2:TGID_X_EN: 1
; COMPUTE_PGM_RSRC2:TGID_Y_EN: 0
; COMPUTE_PGM_RSRC2:TGID_Z_EN: 0
; COMPUTE_PGM_RSRC2:TIDIG_COMP_CNT: 0
	.section	.text._ZN7rocprim17ROCPRIM_400000_NS6detail17trampoline_kernelINS0_14default_configENS1_37merge_sort_block_sort_config_selectorItNS0_10empty_typeEEEZNS1_21merge_sort_block_sortIS3_N6thrust23THRUST_200600_302600_NS6detail15normal_iteratorINS9_10device_ptrItEEEESE_PS5_SF_9comp_mod3ItEEE10hipError_tT0_T1_T2_T3_mRjT4_P12ihipStream_tbNS1_7vsmem_tEEUlT_E_NS1_11comp_targetILNS1_3genE9ELNS1_11target_archE1100ELNS1_3gpuE3ELNS1_3repE0EEENS1_30default_config_static_selectorELNS0_4arch9wavefront6targetE0EEEvSK_,"axG",@progbits,_ZN7rocprim17ROCPRIM_400000_NS6detail17trampoline_kernelINS0_14default_configENS1_37merge_sort_block_sort_config_selectorItNS0_10empty_typeEEEZNS1_21merge_sort_block_sortIS3_N6thrust23THRUST_200600_302600_NS6detail15normal_iteratorINS9_10device_ptrItEEEESE_PS5_SF_9comp_mod3ItEEE10hipError_tT0_T1_T2_T3_mRjT4_P12ihipStream_tbNS1_7vsmem_tEEUlT_E_NS1_11comp_targetILNS1_3genE9ELNS1_11target_archE1100ELNS1_3gpuE3ELNS1_3repE0EEENS1_30default_config_static_selectorELNS0_4arch9wavefront6targetE0EEEvSK_,comdat
	.protected	_ZN7rocprim17ROCPRIM_400000_NS6detail17trampoline_kernelINS0_14default_configENS1_37merge_sort_block_sort_config_selectorItNS0_10empty_typeEEEZNS1_21merge_sort_block_sortIS3_N6thrust23THRUST_200600_302600_NS6detail15normal_iteratorINS9_10device_ptrItEEEESE_PS5_SF_9comp_mod3ItEEE10hipError_tT0_T1_T2_T3_mRjT4_P12ihipStream_tbNS1_7vsmem_tEEUlT_E_NS1_11comp_targetILNS1_3genE9ELNS1_11target_archE1100ELNS1_3gpuE3ELNS1_3repE0EEENS1_30default_config_static_selectorELNS0_4arch9wavefront6targetE0EEEvSK_ ; -- Begin function _ZN7rocprim17ROCPRIM_400000_NS6detail17trampoline_kernelINS0_14default_configENS1_37merge_sort_block_sort_config_selectorItNS0_10empty_typeEEEZNS1_21merge_sort_block_sortIS3_N6thrust23THRUST_200600_302600_NS6detail15normal_iteratorINS9_10device_ptrItEEEESE_PS5_SF_9comp_mod3ItEEE10hipError_tT0_T1_T2_T3_mRjT4_P12ihipStream_tbNS1_7vsmem_tEEUlT_E_NS1_11comp_targetILNS1_3genE9ELNS1_11target_archE1100ELNS1_3gpuE3ELNS1_3repE0EEENS1_30default_config_static_selectorELNS0_4arch9wavefront6targetE0EEEvSK_
	.globl	_ZN7rocprim17ROCPRIM_400000_NS6detail17trampoline_kernelINS0_14default_configENS1_37merge_sort_block_sort_config_selectorItNS0_10empty_typeEEEZNS1_21merge_sort_block_sortIS3_N6thrust23THRUST_200600_302600_NS6detail15normal_iteratorINS9_10device_ptrItEEEESE_PS5_SF_9comp_mod3ItEEE10hipError_tT0_T1_T2_T3_mRjT4_P12ihipStream_tbNS1_7vsmem_tEEUlT_E_NS1_11comp_targetILNS1_3genE9ELNS1_11target_archE1100ELNS1_3gpuE3ELNS1_3repE0EEENS1_30default_config_static_selectorELNS0_4arch9wavefront6targetE0EEEvSK_
	.p2align	8
	.type	_ZN7rocprim17ROCPRIM_400000_NS6detail17trampoline_kernelINS0_14default_configENS1_37merge_sort_block_sort_config_selectorItNS0_10empty_typeEEEZNS1_21merge_sort_block_sortIS3_N6thrust23THRUST_200600_302600_NS6detail15normal_iteratorINS9_10device_ptrItEEEESE_PS5_SF_9comp_mod3ItEEE10hipError_tT0_T1_T2_T3_mRjT4_P12ihipStream_tbNS1_7vsmem_tEEUlT_E_NS1_11comp_targetILNS1_3genE9ELNS1_11target_archE1100ELNS1_3gpuE3ELNS1_3repE0EEENS1_30default_config_static_selectorELNS0_4arch9wavefront6targetE0EEEvSK_,@function
_ZN7rocprim17ROCPRIM_400000_NS6detail17trampoline_kernelINS0_14default_configENS1_37merge_sort_block_sort_config_selectorItNS0_10empty_typeEEEZNS1_21merge_sort_block_sortIS3_N6thrust23THRUST_200600_302600_NS6detail15normal_iteratorINS9_10device_ptrItEEEESE_PS5_SF_9comp_mod3ItEEE10hipError_tT0_T1_T2_T3_mRjT4_P12ihipStream_tbNS1_7vsmem_tEEUlT_E_NS1_11comp_targetILNS1_3genE9ELNS1_11target_archE1100ELNS1_3gpuE3ELNS1_3repE0EEENS1_30default_config_static_selectorELNS0_4arch9wavefront6targetE0EEEvSK_: ; @_ZN7rocprim17ROCPRIM_400000_NS6detail17trampoline_kernelINS0_14default_configENS1_37merge_sort_block_sort_config_selectorItNS0_10empty_typeEEEZNS1_21merge_sort_block_sortIS3_N6thrust23THRUST_200600_302600_NS6detail15normal_iteratorINS9_10device_ptrItEEEESE_PS5_SF_9comp_mod3ItEEE10hipError_tT0_T1_T2_T3_mRjT4_P12ihipStream_tbNS1_7vsmem_tEEUlT_E_NS1_11comp_targetILNS1_3genE9ELNS1_11target_archE1100ELNS1_3gpuE3ELNS1_3repE0EEENS1_30default_config_static_selectorELNS0_4arch9wavefront6targetE0EEEvSK_
; %bb.0:
	.section	.rodata,"a",@progbits
	.p2align	6, 0x0
	.amdhsa_kernel _ZN7rocprim17ROCPRIM_400000_NS6detail17trampoline_kernelINS0_14default_configENS1_37merge_sort_block_sort_config_selectorItNS0_10empty_typeEEEZNS1_21merge_sort_block_sortIS3_N6thrust23THRUST_200600_302600_NS6detail15normal_iteratorINS9_10device_ptrItEEEESE_PS5_SF_9comp_mod3ItEEE10hipError_tT0_T1_T2_T3_mRjT4_P12ihipStream_tbNS1_7vsmem_tEEUlT_E_NS1_11comp_targetILNS1_3genE9ELNS1_11target_archE1100ELNS1_3gpuE3ELNS1_3repE0EEENS1_30default_config_static_selectorELNS0_4arch9wavefront6targetE0EEEvSK_
		.amdhsa_group_segment_fixed_size 0
		.amdhsa_private_segment_fixed_size 0
		.amdhsa_kernarg_size 64
		.amdhsa_user_sgpr_count 6
		.amdhsa_user_sgpr_private_segment_buffer 1
		.amdhsa_user_sgpr_dispatch_ptr 0
		.amdhsa_user_sgpr_queue_ptr 0
		.amdhsa_user_sgpr_kernarg_segment_ptr 1
		.amdhsa_user_sgpr_dispatch_id 0
		.amdhsa_user_sgpr_flat_scratch_init 0
		.amdhsa_user_sgpr_private_segment_size 0
		.amdhsa_wavefront_size32 1
		.amdhsa_uses_dynamic_stack 0
		.amdhsa_system_sgpr_private_segment_wavefront_offset 0
		.amdhsa_system_sgpr_workgroup_id_x 1
		.amdhsa_system_sgpr_workgroup_id_y 0
		.amdhsa_system_sgpr_workgroup_id_z 0
		.amdhsa_system_sgpr_workgroup_info 0
		.amdhsa_system_vgpr_workitem_id 0
		.amdhsa_next_free_vgpr 1
		.amdhsa_next_free_sgpr 1
		.amdhsa_reserve_vcc 0
		.amdhsa_reserve_flat_scratch 0
		.amdhsa_float_round_mode_32 0
		.amdhsa_float_round_mode_16_64 0
		.amdhsa_float_denorm_mode_32 3
		.amdhsa_float_denorm_mode_16_64 3
		.amdhsa_dx10_clamp 1
		.amdhsa_ieee_mode 1
		.amdhsa_fp16_overflow 0
		.amdhsa_workgroup_processor_mode 1
		.amdhsa_memory_ordered 1
		.amdhsa_forward_progress 1
		.amdhsa_shared_vgpr_count 0
		.amdhsa_exception_fp_ieee_invalid_op 0
		.amdhsa_exception_fp_denorm_src 0
		.amdhsa_exception_fp_ieee_div_zero 0
		.amdhsa_exception_fp_ieee_overflow 0
		.amdhsa_exception_fp_ieee_underflow 0
		.amdhsa_exception_fp_ieee_inexact 0
		.amdhsa_exception_int_div_zero 0
	.end_amdhsa_kernel
	.section	.text._ZN7rocprim17ROCPRIM_400000_NS6detail17trampoline_kernelINS0_14default_configENS1_37merge_sort_block_sort_config_selectorItNS0_10empty_typeEEEZNS1_21merge_sort_block_sortIS3_N6thrust23THRUST_200600_302600_NS6detail15normal_iteratorINS9_10device_ptrItEEEESE_PS5_SF_9comp_mod3ItEEE10hipError_tT0_T1_T2_T3_mRjT4_P12ihipStream_tbNS1_7vsmem_tEEUlT_E_NS1_11comp_targetILNS1_3genE9ELNS1_11target_archE1100ELNS1_3gpuE3ELNS1_3repE0EEENS1_30default_config_static_selectorELNS0_4arch9wavefront6targetE0EEEvSK_,"axG",@progbits,_ZN7rocprim17ROCPRIM_400000_NS6detail17trampoline_kernelINS0_14default_configENS1_37merge_sort_block_sort_config_selectorItNS0_10empty_typeEEEZNS1_21merge_sort_block_sortIS3_N6thrust23THRUST_200600_302600_NS6detail15normal_iteratorINS9_10device_ptrItEEEESE_PS5_SF_9comp_mod3ItEEE10hipError_tT0_T1_T2_T3_mRjT4_P12ihipStream_tbNS1_7vsmem_tEEUlT_E_NS1_11comp_targetILNS1_3genE9ELNS1_11target_archE1100ELNS1_3gpuE3ELNS1_3repE0EEENS1_30default_config_static_selectorELNS0_4arch9wavefront6targetE0EEEvSK_,comdat
.Lfunc_end871:
	.size	_ZN7rocprim17ROCPRIM_400000_NS6detail17trampoline_kernelINS0_14default_configENS1_37merge_sort_block_sort_config_selectorItNS0_10empty_typeEEEZNS1_21merge_sort_block_sortIS3_N6thrust23THRUST_200600_302600_NS6detail15normal_iteratorINS9_10device_ptrItEEEESE_PS5_SF_9comp_mod3ItEEE10hipError_tT0_T1_T2_T3_mRjT4_P12ihipStream_tbNS1_7vsmem_tEEUlT_E_NS1_11comp_targetILNS1_3genE9ELNS1_11target_archE1100ELNS1_3gpuE3ELNS1_3repE0EEENS1_30default_config_static_selectorELNS0_4arch9wavefront6targetE0EEEvSK_, .Lfunc_end871-_ZN7rocprim17ROCPRIM_400000_NS6detail17trampoline_kernelINS0_14default_configENS1_37merge_sort_block_sort_config_selectorItNS0_10empty_typeEEEZNS1_21merge_sort_block_sortIS3_N6thrust23THRUST_200600_302600_NS6detail15normal_iteratorINS9_10device_ptrItEEEESE_PS5_SF_9comp_mod3ItEEE10hipError_tT0_T1_T2_T3_mRjT4_P12ihipStream_tbNS1_7vsmem_tEEUlT_E_NS1_11comp_targetILNS1_3genE9ELNS1_11target_archE1100ELNS1_3gpuE3ELNS1_3repE0EEENS1_30default_config_static_selectorELNS0_4arch9wavefront6targetE0EEEvSK_
                                        ; -- End function
	.set _ZN7rocprim17ROCPRIM_400000_NS6detail17trampoline_kernelINS0_14default_configENS1_37merge_sort_block_sort_config_selectorItNS0_10empty_typeEEEZNS1_21merge_sort_block_sortIS3_N6thrust23THRUST_200600_302600_NS6detail15normal_iteratorINS9_10device_ptrItEEEESE_PS5_SF_9comp_mod3ItEEE10hipError_tT0_T1_T2_T3_mRjT4_P12ihipStream_tbNS1_7vsmem_tEEUlT_E_NS1_11comp_targetILNS1_3genE9ELNS1_11target_archE1100ELNS1_3gpuE3ELNS1_3repE0EEENS1_30default_config_static_selectorELNS0_4arch9wavefront6targetE0EEEvSK_.num_vgpr, 0
	.set _ZN7rocprim17ROCPRIM_400000_NS6detail17trampoline_kernelINS0_14default_configENS1_37merge_sort_block_sort_config_selectorItNS0_10empty_typeEEEZNS1_21merge_sort_block_sortIS3_N6thrust23THRUST_200600_302600_NS6detail15normal_iteratorINS9_10device_ptrItEEEESE_PS5_SF_9comp_mod3ItEEE10hipError_tT0_T1_T2_T3_mRjT4_P12ihipStream_tbNS1_7vsmem_tEEUlT_E_NS1_11comp_targetILNS1_3genE9ELNS1_11target_archE1100ELNS1_3gpuE3ELNS1_3repE0EEENS1_30default_config_static_selectorELNS0_4arch9wavefront6targetE0EEEvSK_.num_agpr, 0
	.set _ZN7rocprim17ROCPRIM_400000_NS6detail17trampoline_kernelINS0_14default_configENS1_37merge_sort_block_sort_config_selectorItNS0_10empty_typeEEEZNS1_21merge_sort_block_sortIS3_N6thrust23THRUST_200600_302600_NS6detail15normal_iteratorINS9_10device_ptrItEEEESE_PS5_SF_9comp_mod3ItEEE10hipError_tT0_T1_T2_T3_mRjT4_P12ihipStream_tbNS1_7vsmem_tEEUlT_E_NS1_11comp_targetILNS1_3genE9ELNS1_11target_archE1100ELNS1_3gpuE3ELNS1_3repE0EEENS1_30default_config_static_selectorELNS0_4arch9wavefront6targetE0EEEvSK_.numbered_sgpr, 0
	.set _ZN7rocprim17ROCPRIM_400000_NS6detail17trampoline_kernelINS0_14default_configENS1_37merge_sort_block_sort_config_selectorItNS0_10empty_typeEEEZNS1_21merge_sort_block_sortIS3_N6thrust23THRUST_200600_302600_NS6detail15normal_iteratorINS9_10device_ptrItEEEESE_PS5_SF_9comp_mod3ItEEE10hipError_tT0_T1_T2_T3_mRjT4_P12ihipStream_tbNS1_7vsmem_tEEUlT_E_NS1_11comp_targetILNS1_3genE9ELNS1_11target_archE1100ELNS1_3gpuE3ELNS1_3repE0EEENS1_30default_config_static_selectorELNS0_4arch9wavefront6targetE0EEEvSK_.num_named_barrier, 0
	.set _ZN7rocprim17ROCPRIM_400000_NS6detail17trampoline_kernelINS0_14default_configENS1_37merge_sort_block_sort_config_selectorItNS0_10empty_typeEEEZNS1_21merge_sort_block_sortIS3_N6thrust23THRUST_200600_302600_NS6detail15normal_iteratorINS9_10device_ptrItEEEESE_PS5_SF_9comp_mod3ItEEE10hipError_tT0_T1_T2_T3_mRjT4_P12ihipStream_tbNS1_7vsmem_tEEUlT_E_NS1_11comp_targetILNS1_3genE9ELNS1_11target_archE1100ELNS1_3gpuE3ELNS1_3repE0EEENS1_30default_config_static_selectorELNS0_4arch9wavefront6targetE0EEEvSK_.private_seg_size, 0
	.set _ZN7rocprim17ROCPRIM_400000_NS6detail17trampoline_kernelINS0_14default_configENS1_37merge_sort_block_sort_config_selectorItNS0_10empty_typeEEEZNS1_21merge_sort_block_sortIS3_N6thrust23THRUST_200600_302600_NS6detail15normal_iteratorINS9_10device_ptrItEEEESE_PS5_SF_9comp_mod3ItEEE10hipError_tT0_T1_T2_T3_mRjT4_P12ihipStream_tbNS1_7vsmem_tEEUlT_E_NS1_11comp_targetILNS1_3genE9ELNS1_11target_archE1100ELNS1_3gpuE3ELNS1_3repE0EEENS1_30default_config_static_selectorELNS0_4arch9wavefront6targetE0EEEvSK_.uses_vcc, 0
	.set _ZN7rocprim17ROCPRIM_400000_NS6detail17trampoline_kernelINS0_14default_configENS1_37merge_sort_block_sort_config_selectorItNS0_10empty_typeEEEZNS1_21merge_sort_block_sortIS3_N6thrust23THRUST_200600_302600_NS6detail15normal_iteratorINS9_10device_ptrItEEEESE_PS5_SF_9comp_mod3ItEEE10hipError_tT0_T1_T2_T3_mRjT4_P12ihipStream_tbNS1_7vsmem_tEEUlT_E_NS1_11comp_targetILNS1_3genE9ELNS1_11target_archE1100ELNS1_3gpuE3ELNS1_3repE0EEENS1_30default_config_static_selectorELNS0_4arch9wavefront6targetE0EEEvSK_.uses_flat_scratch, 0
	.set _ZN7rocprim17ROCPRIM_400000_NS6detail17trampoline_kernelINS0_14default_configENS1_37merge_sort_block_sort_config_selectorItNS0_10empty_typeEEEZNS1_21merge_sort_block_sortIS3_N6thrust23THRUST_200600_302600_NS6detail15normal_iteratorINS9_10device_ptrItEEEESE_PS5_SF_9comp_mod3ItEEE10hipError_tT0_T1_T2_T3_mRjT4_P12ihipStream_tbNS1_7vsmem_tEEUlT_E_NS1_11comp_targetILNS1_3genE9ELNS1_11target_archE1100ELNS1_3gpuE3ELNS1_3repE0EEENS1_30default_config_static_selectorELNS0_4arch9wavefront6targetE0EEEvSK_.has_dyn_sized_stack, 0
	.set _ZN7rocprim17ROCPRIM_400000_NS6detail17trampoline_kernelINS0_14default_configENS1_37merge_sort_block_sort_config_selectorItNS0_10empty_typeEEEZNS1_21merge_sort_block_sortIS3_N6thrust23THRUST_200600_302600_NS6detail15normal_iteratorINS9_10device_ptrItEEEESE_PS5_SF_9comp_mod3ItEEE10hipError_tT0_T1_T2_T3_mRjT4_P12ihipStream_tbNS1_7vsmem_tEEUlT_E_NS1_11comp_targetILNS1_3genE9ELNS1_11target_archE1100ELNS1_3gpuE3ELNS1_3repE0EEENS1_30default_config_static_selectorELNS0_4arch9wavefront6targetE0EEEvSK_.has_recursion, 0
	.set _ZN7rocprim17ROCPRIM_400000_NS6detail17trampoline_kernelINS0_14default_configENS1_37merge_sort_block_sort_config_selectorItNS0_10empty_typeEEEZNS1_21merge_sort_block_sortIS3_N6thrust23THRUST_200600_302600_NS6detail15normal_iteratorINS9_10device_ptrItEEEESE_PS5_SF_9comp_mod3ItEEE10hipError_tT0_T1_T2_T3_mRjT4_P12ihipStream_tbNS1_7vsmem_tEEUlT_E_NS1_11comp_targetILNS1_3genE9ELNS1_11target_archE1100ELNS1_3gpuE3ELNS1_3repE0EEENS1_30default_config_static_selectorELNS0_4arch9wavefront6targetE0EEEvSK_.has_indirect_call, 0
	.section	.AMDGPU.csdata,"",@progbits
; Kernel info:
; codeLenInByte = 0
; TotalNumSgprs: 0
; NumVgprs: 0
; ScratchSize: 0
; MemoryBound: 0
; FloatMode: 240
; IeeeMode: 1
; LDSByteSize: 0 bytes/workgroup (compile time only)
; SGPRBlocks: 0
; VGPRBlocks: 0
; NumSGPRsForWavesPerEU: 1
; NumVGPRsForWavesPerEU: 1
; Occupancy: 16
; WaveLimiterHint : 0
; COMPUTE_PGM_RSRC2:SCRATCH_EN: 0
; COMPUTE_PGM_RSRC2:USER_SGPR: 6
; COMPUTE_PGM_RSRC2:TRAP_HANDLER: 0
; COMPUTE_PGM_RSRC2:TGID_X_EN: 1
; COMPUTE_PGM_RSRC2:TGID_Y_EN: 0
; COMPUTE_PGM_RSRC2:TGID_Z_EN: 0
; COMPUTE_PGM_RSRC2:TIDIG_COMP_CNT: 0
	.text
	.p2align	2                               ; -- Begin function _ZN7rocprim17ROCPRIM_400000_NS6detail15block_sort_implItNS0_10empty_typeELj256ELj32ELNS0_4arch9wavefront6targetE0EvE4sortIN6thrust23THRUST_200600_302600_NS6detail15normal_iteratorINSA_10device_ptrItEEEESF_PS3_SG_9comp_mod3ItEEEvjbT_T0_T1_T2_T3_RNS7_12storage_typeE
	.type	_ZN7rocprim17ROCPRIM_400000_NS6detail15block_sort_implItNS0_10empty_typeELj256ELj32ELNS0_4arch9wavefront6targetE0EvE4sortIN6thrust23THRUST_200600_302600_NS6detail15normal_iteratorINSA_10device_ptrItEEEESF_PS3_SG_9comp_mod3ItEEEvjbT_T0_T1_T2_T3_RNS7_12storage_typeE,@function
_ZN7rocprim17ROCPRIM_400000_NS6detail15block_sort_implItNS0_10empty_typeELj256ELj32ELNS0_4arch9wavefront6targetE0EvE4sortIN6thrust23THRUST_200600_302600_NS6detail15normal_iteratorINSA_10device_ptrItEEEESF_PS3_SG_9comp_mod3ItEEEvjbT_T0_T1_T2_T3_RNS7_12storage_typeE: ; @_ZN7rocprim17ROCPRIM_400000_NS6detail15block_sort_implItNS0_10empty_typeELj256ELj32ELNS0_4arch9wavefront6targetE0EvE4sortIN6thrust23THRUST_200600_302600_NS6detail15normal_iteratorINSA_10device_ptrItEEEESF_PS3_SG_9comp_mod3ItEEEvjbT_T0_T1_T2_T3_RNS7_12storage_typeE
; %bb.0:
	s_waitcnt vmcnt(0) expcnt(0) lgkmcnt(0)
	s_or_saveexec_b32 s4, -1
	buffer_store_dword v106, off, s[0:3], s32 offset:136 ; 4-byte Folded Spill
	s_mov_b32 exec_lo, s4
	buffer_store_dword v40, off, s[0:3], s32 offset:132 ; 4-byte Folded Spill
	buffer_store_dword v41, off, s[0:3], s32 offset:128 ; 4-byte Folded Spill
	;; [unrolled: 1-line block ×33, first 2 shown]
	buffer_store_dword v105, off, s[0:3], s32 ; 4-byte Folded Spill
	v_writelane_b32 v106, s34, 0
	v_writelane_b32 v106, s35, 1
	;; [unrolled: 1-line block ×12, first 2 shown]
	v_and_b32_e32 v1, 1, v1
	v_and_b32_e32 v8, 0x3ff, v31
	v_bfe_u32 v113, v31, 10, 10
	v_bfe_u32 v114, v31, 20, 10
	s_mov_b32 s36, 0
	v_cmp_ne_u32_e32 vcc_lo, 1, v1
	v_lshlrev_b32_e32 v10, 1, v8
	v_lshrrev_b32_e32 v38, 5, v8
	v_add_nc_u32_e32 v48, 0x100, v8
	v_add_nc_u32_e32 v37, 0x200, v8
	v_add_nc_u32_e32 v1, 0x300, v8
	v_or_b32_e32 v12, 0x400, v8
	v_add_nc_u32_e32 v51, 0x500, v8
	v_add_nc_u32_e32 v13, 0x600, v8
	v_add_nc_u32_e32 v14, 0x700, v8
	v_or_b32_e32 v15, 0x800, v8
	;; [unrolled: 4-line block ×7, first 2 shown]
	v_add_nc_u32_e32 v36, 0x1d00, v8
	v_add_nc_u32_e32 v50, 0x1e00, v8
	;; [unrolled: 1-line block ×3, first 2 shown]
	v_lshlrev_b32_e32 v11, 5, v8
	v_and_b32_e32 v39, 0x3fe, v8
                                        ; implicit-def: $vgpr52
	s_and_saveexec_b32 s4, vcc_lo
	s_xor_b32 s21, exec_lo, s4
	s_cbranch_execz .LBB872_686
; %bb.1:
	v_add_co_u32 v2, vcc_lo, v2, v10
	v_add_co_ci_u32_e64 v3, null, 0, v3, vcc_lo
	v_lshrrev_b32_e32 v1, 5, v1
	v_add_co_u32 v52, vcc_lo, 0x800, v2
	v_add_co_ci_u32_e64 v53, null, 0, v3, vcc_lo
	s_clause 0x7
	flat_load_ushort v9, v[2:3]
	flat_load_ushort v64, v[2:3] offset:512
	flat_load_ushort v65, v[2:3] offset:1024
	flat_load_ushort v66, v[2:3] offset:1536
	flat_load_ushort v67, v[52:53]
	flat_load_ushort v68, v[52:53] offset:512
	flat_load_ushort v69, v[52:53] offset:1024
	flat_load_ushort v70, v[52:53] offset:1536
	v_add_co_u32 v52, vcc_lo, 0x1000, v2
	v_add_co_ci_u32_e64 v53, null, 0, v3, vcc_lo
	v_add_co_u32 v54, vcc_lo, 0x1800, v2
	v_add_co_ci_u32_e64 v55, null, 0, v3, vcc_lo
	s_clause 0x7
	flat_load_ushort v71, v[52:53]
	flat_load_ushort v80, v[52:53] offset:512
	flat_load_ushort v81, v[52:53] offset:1024
	flat_load_ushort v82, v[52:53] offset:1536
	flat_load_ushort v83, v[54:55]
	flat_load_ushort v84, v[54:55] offset:512
	flat_load_ushort v85, v[54:55] offset:1024
	flat_load_ushort v86, v[54:55] offset:1536
	v_add_co_u32 v52, vcc_lo, 0x2000, v2
	v_add_co_ci_u32_e64 v53, null, 0, v3, vcc_lo
	;; [unrolled: 13-line block ×3, first 2 shown]
	v_add_co_u32 v2, vcc_lo, 0x3800, v2
	v_add_co_ci_u32_e64 v3, null, 0, v3, vcc_lo
	s_clause 0x7
	flat_load_ushort v55, v[52:53]
	flat_load_ushort v102, v[52:53] offset:512
	flat_load_ushort v103, v[52:53] offset:1024
	;; [unrolled: 1-line block ×3, first 2 shown]
	flat_load_ushort v53, v[2:3]
	flat_load_ushort v112, v[2:3] offset:512
	flat_load_ushort v115, v[2:3] offset:1024
	;; [unrolled: 1-line block ×3, first 2 shown]
	v_lshrrev_b32_e32 v2, 5, v48
	v_lshrrev_b32_e32 v3, 5, v37
	v_and_b32_e32 v0, 30, v38
	v_lshrrev_b32_e32 v38, 5, v12
	v_lshrrev_b32_e32 v48, 5, v51
	v_lshrrev_b32_e32 v117, 5, v13
	v_lshrrev_b32_e32 v118, 5, v14
	v_lshrrev_b32_e32 v119, 5, v15
	v_lshrrev_b32_e32 v128, 5, v16
	v_lshrrev_b32_e32 v129, 5, v17
	v_lshrrev_b32_e32 v130, 5, v18
	v_lshrrev_b32_e32 v131, 5, v19
	v_lshrrev_b32_e32 v132, 5, v20
	v_lshrrev_b32_e32 v133, 5, v21
	v_lshrrev_b32_e32 v134, 5, v22
	v_lshrrev_b32_e32 v135, 5, v23
	v_lshrrev_b32_e32 v144, 5, v24
	v_lshrrev_b32_e32 v145, 5, v25
	v_lshrrev_b32_e32 v146, 5, v26
	v_lshrrev_b32_e32 v147, 5, v27
	v_lshrrev_b32_e32 v148, 5, v28
	v_lshrrev_b32_e32 v149, 5, v29
	v_lshrrev_b32_e32 v150, 5, v30
	v_lshrrev_b32_e32 v151, 5, v31
	v_lshrrev_b32_e32 v160, 5, v32
	v_lshrrev_b32_e32 v161, 5, v33
	v_lshrrev_b32_e32 v162, 5, v34
	v_lshrrev_b32_e32 v163, 5, v35
	v_lshrrev_b32_e32 v164, 5, v36
	v_lshrrev_b32_e32 v165, 5, v50
	v_lshrrev_b32_e32 v166, 5, v49
	v_and_b32_e32 v2, 62, v2
	v_and_b32_e32 v3, 62, v3
	;; [unrolled: 1-line block ×4, first 2 shown]
	v_add_lshl_u32 v37, v39, v11, 1
	v_add_lshl_u32 v0, v0, v8, 1
	v_and_b32_e32 v176, 0x7e, v48
	v_and_b32_e32 v117, 0x7e, v117
	;; [unrolled: 1-line block ×27, first 2 shown]
	v_add_lshl_u32 v38, v2, v8, 1
	v_add_lshl_u32 v39, v3, v8, 1
	v_add_lshl_u32 v48, v1, v8, 1
	v_add_lshl_u32 v2, v167, v12, 1
	v_add_lshl_u32 v3, v176, v51, 1
	v_add_lshl_u32 v12, v117, v13, 1
	v_add_lshl_u32 v13, v118, v14, 1
	v_add_lshl_u32 v14, v119, v15, 1
	v_add_lshl_u32 v15, v128, v16, 1
	v_add_lshl_u32 v16, v129, v17, 1
	v_add_lshl_u32 v17, v130, v18, 1
	v_add_lshl_u32 v18, v131, v19, 1
	v_add_lshl_u32 v19, v132, v20, 1
	v_add_lshl_u32 v20, v133, v21, 1
	v_add_lshl_u32 v21, v134, v22, 1
	v_add_lshl_u32 v22, v135, v23, 1
	v_add_lshl_u32 v23, v144, v24, 1
	v_add_lshl_u32 v24, v145, v25, 1
	v_add_lshl_u32 v25, v146, v26, 1
	v_add_lshl_u32 v26, v147, v27, 1
	v_add_lshl_u32 v27, v148, v28, 1
	v_add_lshl_u32 v28, v149, v29, 1
	v_add_lshl_u32 v29, v150, v30, 1
	v_add_lshl_u32 v30, v151, v31, 1
	v_add_lshl_u32 v31, v160, v32, 1
	v_add_lshl_u32 v32, v161, v33, 1
	v_add_lshl_u32 v33, v162, v34, 1
	v_add_lshl_u32 v34, v163, v35, 1
	v_add_lshl_u32 v35, v164, v36, 1
	v_add_lshl_u32 v36, v165, v50, 1
	v_add_lshl_u32 v1, v166, v49, 1
	s_mov_b32 s22, exec_lo
	s_waitcnt vmcnt(31) lgkmcnt(31)
	ds_write_b16 v0, v9
	s_waitcnt vmcnt(30) lgkmcnt(31)
	ds_write_b16 v38, v64 offset:512
	s_waitcnt vmcnt(29) lgkmcnt(31)
	ds_write_b16 v39, v65 offset:1024
	;; [unrolled: 2-line block ×3, first 2 shown]
	s_waitcnt vmcnt(27) lgkmcnt(31)
	ds_write_b16 v2, v67
	s_waitcnt vmcnt(26) lgkmcnt(31)
	ds_write_b16 v3, v68
	;; [unrolled: 2-line block ×28, first 2 shown]
	s_waitcnt lgkmcnt(0)
	s_waitcnt_vscnt null, 0x0
	s_barrier
	buffer_gl0_inv
	ds_read_u16 v193, v37
	ds_read_u16 v194, v37 offset:2
	ds_read_u16 v240, v37 offset:4
	;; [unrolled: 1-line block ×31, first 2 shown]
	s_waitcnt lgkmcnt(0)
	s_barrier
	buffer_gl0_inv
	s_load_dwordx2 s[4:5], s[8:9], 0x0
	v_mov_b32_e32 v9, 0
	s_waitcnt lgkmcnt(0)
	s_cmp_lt_u32 s13, s5
	s_cselect_b32 s5, 14, 20
	s_add_u32 s6, s8, s5
	s_addc_u32 s7, s9, 0
	s_cmp_lt_u32 s12, s4
	global_load_ushort v49, v9, s[6:7]
	s_cselect_b32 s4, 12, 18
	s_add_u32 s4, s8, s4
	s_addc_u32 s5, s9, 0
	global_load_ushort v50, v9, s[4:5]
	s_waitcnt vmcnt(1)
	v_mad_u32_u24 v49, v114, v49, v113
	s_waitcnt vmcnt(0)
	v_mul_lo_u32 v49, v49, v50
	v_add_lshl_u32 v49, v49, v8, 5
	v_cmpx_gt_u32_e32 0x2000, v49
	s_cbranch_execz .LBB872_3
; %bb.2:
	v_mov_b32_e32 v50, 1
	v_lshlrev_b32_sdwa v51, v50, v194 dst_sel:DWORD dst_unused:UNUSED_PAD src0_sel:DWORD src1_sel:WORD_0
	v_lshlrev_b32_sdwa v53, v50, v193 dst_sel:DWORD dst_unused:UNUSED_PAD src0_sel:DWORD src1_sel:WORD_0
	;; [unrolled: 1-line block ×5, first 2 shown]
	v_add_co_u32 v51, vcc_lo, v6, v51
	v_add_co_ci_u32_e64 v52, null, 0, v7, vcc_lo
	v_add_co_u32 v53, vcc_lo, v6, v53
	v_add_co_ci_u32_e64 v54, null, 0, v7, vcc_lo
	v_add_co_u32 v64, vcc_lo, v6, v55
	v_lshlrev_b32_sdwa v55, v50, v241 dst_sel:DWORD dst_unused:UNUSED_PAD src0_sel:DWORD src1_sel:WORD_0
	v_add_co_ci_u32_e64 v65, null, 0, v7, vcc_lo
	v_add_co_u32 v66, vcc_lo, v6, v66
	v_add_co_ci_u32_e64 v67, null, 0, v7, vcc_lo
	v_add_co_u32 v68, vcc_lo, v6, v55
	v_lshlrev_b32_sdwa v55, v50, v231 dst_sel:DWORD dst_unused:UNUSED_PAD src0_sel:DWORD src1_sel:WORD_0
	v_lshlrev_b32_sdwa v82, v50, v228 dst_sel:DWORD dst_unused:UNUSED_PAD src0_sel:DWORD src1_sel:WORD_0
	v_add_co_ci_u32_e64 v69, null, 0, v7, vcc_lo
	v_add_co_u32 v70, vcc_lo, v6, v70
	v_add_co_ci_u32_e64 v71, null, 0, v7, vcc_lo
	v_add_co_u32 v80, vcc_lo, v6, v55
	v_lshlrev_b32_sdwa v55, v50, v229 dst_sel:DWORD dst_unused:UNUSED_PAD src0_sel:DWORD src1_sel:WORD_0
	v_add_co_ci_u32_e64 v81, null, 0, v7, vcc_lo
	v_add_co_u32 v82, vcc_lo, v6, v82
	v_add_co_ci_u32_e64 v83, null, 0, v7, vcc_lo
	s_clause 0x7
	flat_load_ushort v96, v[51:52]
	flat_load_ushort v97, v[53:54]
	;; [unrolled: 1-line block ×8, first 2 shown]
	v_lshlrev_b32_sdwa v53, v50, v226 dst_sel:DWORD dst_unused:UNUSED_PAD src0_sel:DWORD src1_sel:WORD_0
	v_add_co_u32 v51, vcc_lo, v6, v55
	v_lshlrev_b32_sdwa v55, v50, v227 dst_sel:DWORD dst_unused:UNUSED_PAD src0_sel:DWORD src1_sel:WORD_0
	v_add_co_ci_u32_e64 v52, null, 0, v7, vcc_lo
	v_add_co_u32 v53, vcc_lo, v6, v53
	v_lshlrev_b32_sdwa v66, v50, v225 dst_sel:DWORD dst_unused:UNUSED_PAD src0_sel:DWORD src1_sel:WORD_0
	v_add_co_ci_u32_e64 v54, null, 0, v7, vcc_lo
	;; [unrolled: 3-line block ×4, first 2 shown]
	v_add_co_u32 v68, vcc_lo, v6, v55
	v_lshlrev_b32_sdwa v55, v50, v214 dst_sel:DWORD dst_unused:UNUSED_PAD src0_sel:DWORD src1_sel:WORD_0
	v_lshlrev_b32_sdwa v82, v50, v213 dst_sel:DWORD dst_unused:UNUSED_PAD src0_sel:DWORD src1_sel:WORD_0
	v_add_co_ci_u32_e64 v69, null, 0, v7, vcc_lo
	v_add_co_u32 v70, vcc_lo, v6, v70
	v_add_co_ci_u32_e64 v71, null, 0, v7, vcc_lo
	v_add_co_u32 v80, vcc_lo, v6, v55
	v_lshlrev_b32_sdwa v55, v50, v211 dst_sel:DWORD dst_unused:UNUSED_PAD src0_sel:DWORD src1_sel:WORD_0
	v_add_co_ci_u32_e64 v81, null, 0, v7, vcc_lo
	v_add_co_u32 v82, vcc_lo, v6, v82
	v_add_co_ci_u32_e64 v83, null, 0, v7, vcc_lo
	s_clause 0x7
	flat_load_ushort v112, v[51:52]
	flat_load_ushort v113, v[53:54]
	flat_load_ushort v114, v[64:65]
	flat_load_ushort v115, v[66:67]
	flat_load_ushort v116, v[68:69]
	flat_load_ushort v117, v[70:71]
	flat_load_ushort v118, v[80:81]
	flat_load_ushort v119, v[82:83]
	v_lshlrev_b32_sdwa v53, v50, v210 dst_sel:DWORD dst_unused:UNUSED_PAD src0_sel:DWORD src1_sel:WORD_0
	v_add_co_u32 v51, vcc_lo, v6, v55
	v_lshlrev_b32_sdwa v55, v50, v212 dst_sel:DWORD dst_unused:UNUSED_PAD src0_sel:DWORD src1_sel:WORD_0
	v_add_co_ci_u32_e64 v52, null, 0, v7, vcc_lo
	v_add_co_u32 v53, vcc_lo, v6, v53
	v_lshlrev_b32_sdwa v66, v50, v199 dst_sel:DWORD dst_unused:UNUSED_PAD src0_sel:DWORD src1_sel:WORD_0
	v_add_co_ci_u32_e64 v54, null, 0, v7, vcc_lo
	;; [unrolled: 3-line block ×6, first 2 shown]
	v_add_co_u32 v80, vcc_lo, v6, v55
	v_lshlrev_b32_sdwa v55, v50, v195 dst_sel:DWORD dst_unused:UNUSED_PAD src0_sel:DWORD src1_sel:WORD_0
	v_lshlrev_b32_sdwa v86, v50, v196 dst_sel:DWORD dst_unused:UNUSED_PAD src0_sel:DWORD src1_sel:WORD_0
	v_add_co_ci_u32_e64 v81, null, 0, v7, vcc_lo
	v_add_co_u32 v82, vcc_lo, v6, v82
	v_add_co_ci_u32_e64 v83, null, 0, v7, vcc_lo
	v_add_co_u32 v84, vcc_lo, v6, v55
	;; [unrolled: 2-line block ×3, first 2 shown]
	v_add_co_ci_u32_e64 v87, null, 0, v7, vcc_lo
	s_clause 0x9
	flat_load_ushort v55, v[51:52]
	flat_load_ushort v128, v[53:54]
	;; [unrolled: 1-line block ×10, first 2 shown]
	v_lshlrev_b32_sdwa v51, v50, v182 dst_sel:DWORD dst_unused:UNUSED_PAD src0_sel:DWORD src1_sel:WORD_0
	v_lshlrev_b32_sdwa v53, v50, v192 dst_sel:DWORD dst_unused:UNUSED_PAD src0_sel:DWORD src1_sel:WORD_0
	;; [unrolled: 1-line block ×5, first 2 shown]
	v_add_co_u32 v51, vcc_lo, v6, v51
	v_add_co_ci_u32_e64 v52, null, 0, v7, vcc_lo
	v_add_co_u32 v53, vcc_lo, v6, v53
	v_add_co_ci_u32_e64 v54, null, 0, v7, vcc_lo
	v_add_co_u32 v64, vcc_lo, v6, v64
	v_lshlrev_b32_sdwa v70, v50, v180 dst_sel:DWORD dst_unused:UNUSED_PAD src0_sel:DWORD src1_sel:WORD_0
	v_add_co_ci_u32_e64 v65, null, 0, v7, vcc_lo
	v_add_co_u32 v66, vcc_lo, v6, v66
	v_add_co_ci_u32_e64 v67, null, 0, v7, vcc_lo
	v_add_co_u32 v68, vcc_lo, v6, v68
	;; [unrolled: 2-line block ×3, first 2 shown]
	v_add_co_ci_u32_e64 v71, null, 0, v7, vcc_lo
	s_clause 0x5
	flat_load_ushort v150, v[51:52]
	flat_load_ushort v53, v[53:54]
	;; [unrolled: 1-line block ×6, first 2 shown]
	s_waitcnt vmcnt(30) lgkmcnt(30)
	v_cmp_lt_u16_e64 s4, v96, v97
	s_waitcnt vmcnt(28) lgkmcnt(28)
	v_cmp_lt_u16_e32 vcc_lo, v98, v99
	s_waitcnt vmcnt(26) lgkmcnt(26)
	v_cmp_lt_u16_e64 s5, v100, v101
	v_cndmask_b32_e64 v163, v194, v193, s4
	s_waitcnt vmcnt(24) lgkmcnt(24)
	v_cmp_lt_u16_e64 s6, v102, v103
	v_cndmask_b32_e32 v164, v242, v240, vcc_lo
	v_cndmask_b32_e32 v240, v240, v242, vcc_lo
	v_cndmask_b32_e64 v165, v241, v230, s5
	v_lshlrev_b32_sdwa v51, v50, v163 dst_sel:DWORD dst_unused:UNUSED_PAD src0_sel:DWORD src1_sel:WORD_0
	v_cndmask_b32_e64 v166, v231, v228, s6
	v_lshlrev_b32_sdwa v64, v50, v164 dst_sel:DWORD dst_unused:UNUSED_PAD src0_sel:DWORD src1_sel:WORD_0
	;; [unrolled: 2-line block ×3, first 2 shown]
	v_add_co_u32 v51, vcc_lo, v6, v51
	v_lshlrev_b32_sdwa v68, v50, v166 dst_sel:DWORD dst_unused:UNUSED_PAD src0_sel:DWORD src1_sel:WORD_0
	v_add_co_ci_u32_e64 v52, null, 0, v7, vcc_lo
	v_add_co_u32 v64, vcc_lo, v6, v64
	v_add_co_ci_u32_e64 v65, null, 0, v7, vcc_lo
	v_add_co_u32 v66, vcc_lo, v6, v66
	;; [unrolled: 2-line block ×3, first 2 shown]
	v_add_co_ci_u32_e64 v69, null, 0, v7, vcc_lo
	v_cndmask_b32_e64 v228, v228, v231, s6
	v_lshlrev_b32_sdwa v102, v50, v240 dst_sel:DWORD dst_unused:UNUSED_PAD src0_sel:DWORD src1_sel:WORD_0
	s_waitcnt vmcnt(22) lgkmcnt(22)
	v_cmp_lt_u16_e64 s7, v112, v113
	v_lshlrev_b32_sdwa v112, v50, v230 dst_sel:DWORD dst_unused:UNUSED_PAD src0_sel:DWORD src1_sel:WORD_0
	s_waitcnt vmcnt(20) lgkmcnt(20)
	v_cmp_lt_u16_e64 s10, v114, v115
	;; [unrolled: 3-line block ×3, first 2 shown]
	v_cndmask_b32_e64 v167, v229, v226, s7
	s_waitcnt vmcnt(16) lgkmcnt(16)
	v_cmp_lt_u16_e64 s14, v118, v119
	v_cndmask_b32_e64 v176, v227, v225, s10
	v_cndmask_b32_e64 v226, v226, v229, s7
	;; [unrolled: 1-line block ×3, first 2 shown]
	v_lshlrev_b32_sdwa v70, v50, v167 dst_sel:DWORD dst_unused:UNUSED_PAD src0_sel:DWORD src1_sel:WORD_0
	v_cndmask_b32_e64 v178, v214, v213, s14
	v_cndmask_b32_e64 v225, v225, v227, s10
	;; [unrolled: 1-line block ×3, first 2 shown]
	v_lshlrev_b32_sdwa v116, v50, v226 dst_sel:DWORD dst_unused:UNUSED_PAD src0_sel:DWORD src1_sel:WORD_0
	v_add_co_u32 v70, vcc_lo, v6, v70
	v_lshlrev_b32_sdwa v84, v50, v178 dst_sel:DWORD dst_unused:UNUSED_PAD src0_sel:DWORD src1_sel:WORD_0
	v_add_co_ci_u32_e64 v71, null, 0, v7, vcc_lo
	v_cndmask_b32_e64 v213, v213, v214, s14
	v_lshlrev_b32_sdwa v118, v50, v225 dst_sel:DWORD dst_unused:UNUSED_PAD src0_sel:DWORD src1_sel:WORD_0
	s_waitcnt vmcnt(14) lgkmcnt(14)
	v_cmp_lt_u16_e64 s15, v55, v128
	v_lshlrev_b32_sdwa v128, v50, v215 dst_sel:DWORD dst_unused:UNUSED_PAD src0_sel:DWORD src1_sel:WORD_0
	s_waitcnt vmcnt(12) lgkmcnt(12)
	v_cmp_lt_u16_e64 s16, v129, v130
	;; [unrolled: 3-line block ×3, first 2 shown]
	v_cndmask_b32_e64 v55, v211, v210, s15
	s_waitcnt vmcnt(8) lgkmcnt(8)
	v_cmp_lt_u16_e64 s18, v80, v81
	v_lshlrev_b32_sdwa v80, v50, v176 dst_sel:DWORD dst_unused:UNUSED_PAD src0_sel:DWORD src1_sel:WORD_0
	s_waitcnt vmcnt(6) lgkmcnt(6)
	v_cmp_lt_u16_e64 s19, v82, v83
	v_lshlrev_b32_sdwa v82, v50, v177 dst_sel:DWORD dst_unused:UNUSED_PAD src0_sel:DWORD src1_sel:WORD_0
	v_cndmask_b32_e64 v243, v212, v199, s16
	v_cndmask_b32_e64 v244, v209, v208, s17
	v_add_co_u32 v80, vcc_lo, v6, v80
	v_lshlrev_b32_sdwa v86, v50, v55 dst_sel:DWORD dst_unused:UNUSED_PAD src0_sel:DWORD src1_sel:WORD_0
	v_cndmask_b32_e64 v245, v198, v197, s18
	v_add_co_ci_u32_e64 v81, null, 0, v7, vcc_lo
	v_add_co_u32 v82, vcc_lo, v6, v82
	v_lshlrev_b32_sdwa v96, v50, v243 dst_sel:DWORD dst_unused:UNUSED_PAD src0_sel:DWORD src1_sel:WORD_0
	v_add_co_ci_u32_e64 v83, null, 0, v7, vcc_lo
	v_add_co_u32 v84, vcc_lo, v6, v84
	v_lshlrev_b32_sdwa v98, v50, v244 dst_sel:DWORD dst_unused:UNUSED_PAD src0_sel:DWORD src1_sel:WORD_0
	;; [unrolled: 3-line block ×3, first 2 shown]
	v_add_co_ci_u32_e64 v87, null, 0, v7, vcc_lo
	v_add_co_u32 v96, vcc_lo, v6, v96
	v_add_co_ci_u32_e64 v97, null, 0, v7, vcc_lo
	v_add_co_u32 v98, vcc_lo, v6, v98
	;; [unrolled: 2-line block ×5, first 2 shown]
	v_cndmask_b32_e64 v210, v210, v211, s15
	v_add_co_ci_u32_e64 v113, null, 0, v7, vcc_lo
	v_add_co_u32 v114, vcc_lo, v6, v114
	v_cndmask_b32_e64 v199, v199, v212, s16
	v_add_co_ci_u32_e64 v115, null, 0, v7, vcc_lo
	v_add_co_u32 v116, vcc_lo, v6, v116
	;; [unrolled: 3-line block ×3, first 2 shown]
	v_lshlrev_b32_sdwa v132, v50, v210 dst_sel:DWORD dst_unused:UNUSED_PAD src0_sel:DWORD src1_sel:WORD_0
	v_cndmask_b32_e64 v197, v197, v198, s18
	v_add_co_ci_u32_e64 v119, null, 0, v7, vcc_lo
	v_add_co_u32 v128, vcc_lo, v6, v128
	v_lshlrev_b32_sdwa v134, v50, v199 dst_sel:DWORD dst_unused:UNUSED_PAD src0_sel:DWORD src1_sel:WORD_0
	v_cndmask_b32_e64 v54, v195, v196, s19
	v_cndmask_b32_e64 v195, v196, v195, s19
	v_add_co_ci_u32_e64 v129, null, 0, v7, vcc_lo
	v_add_co_u32 v130, vcc_lo, v6, v130
	v_lshlrev_b32_sdwa v144, v50, v208 dst_sel:DWORD dst_unused:UNUSED_PAD src0_sel:DWORD src1_sel:WORD_0
	v_add_co_ci_u32_e64 v131, null, 0, v7, vcc_lo
	v_add_co_u32 v132, vcc_lo, v6, v132
	v_lshlrev_b32_sdwa v146, v50, v197 dst_sel:DWORD dst_unused:UNUSED_PAD src0_sel:DWORD src1_sel:WORD_0
	;; [unrolled: 3-line block ×3, first 2 shown]
	v_add_co_ci_u32_e64 v135, null, 0, v7, vcc_lo
	v_add_co_u32 v144, vcc_lo, v6, v144
	v_add_co_ci_u32_e64 v145, null, 0, v7, vcc_lo
	v_add_co_u32 v146, vcc_lo, v6, v146
	v_add_co_ci_u32_e64 v147, null, 0, v7, vcc_lo
	v_add_co_u32 v148, vcc_lo, v6, v148
	v_add_co_ci_u32_e64 v149, null, 0, v7, vcc_lo
	s_clause 0x17
	flat_load_ushort v102, v[102:103]
	flat_load_ushort v103, v[51:52]
	;; [unrolled: 1-line block ×24, first 2 shown]
	s_waitcnt vmcnt(28) lgkmcnt(28)
	v_cmp_lt_u16_e64 s5, v150, v53
	s_waitcnt vmcnt(26) lgkmcnt(26)
	v_cmp_lt_u16_e64 s6, v151, v160
	s_waitcnt vmcnt(24) lgkmcnt(24)
	v_cmp_lt_u16_e32 vcc_lo, v161, v162
	v_lshlrev_b32_sdwa v64, v50, v54 dst_sel:DWORD dst_unused:UNUSED_PAD src0_sel:DWORD src1_sel:WORD_0
	v_cndmask_b32_e64 v51, v193, v194, s4
	v_cndmask_b32_e64 v196, v192, v182, s5
	;; [unrolled: 1-line block ×3, first 2 shown]
	v_cndmask_b32_e32 v162, v180, v179, vcc_lo
	v_cndmask_b32_e64 v182, v182, v192, s5
	v_cndmask_b32_e64 v181, v181, v183, s6
	v_lshlrev_b32_sdwa v52, v50, v196 dst_sel:DWORD dst_unused:UNUSED_PAD src0_sel:DWORD src1_sel:WORD_0
	v_lshlrev_b32_sdwa v66, v50, v198 dst_sel:DWORD dst_unused:UNUSED_PAD src0_sel:DWORD src1_sel:WORD_0
	;; [unrolled: 1-line block ×5, first 2 shown]
	v_add_co_u32 v52, s4, v6, v52
	v_add_co_ci_u32_e64 v53, null, 0, v7, s4
	v_add_co_u32 v64, s4, v6, v64
	v_add_co_ci_u32_e64 v65, null, 0, v7, s4
	;; [unrolled: 2-line block ×6, first 2 shown]
	s_clause 0x5
	flat_load_ushort v183, v[52:53]
	flat_load_ushort v64, v[64:65]
	;; [unrolled: 1-line block ×6, first 2 shown]
	v_lshlrev_b32_sdwa v82, v50, v51 dst_sel:DWORD dst_unused:UNUSED_PAD src0_sel:DWORD src1_sel:WORD_0
	v_add_co_u32 v82, s4, v6, v82
	v_add_co_ci_u32_e64 v83, null, 0, v7, s4
	s_waitcnt vmcnt(28) lgkmcnt(28)
	v_cmp_lt_u16_e64 s4, v102, v103
	s_waitcnt vmcnt(26) lgkmcnt(26)
	v_cmp_lt_u16_e64 s5, v112, v113
	;; [unrolled: 2-line block ×3, first 2 shown]
	v_cndmask_b32_e64 v211, v240, v163, s4
	s_waitcnt vmcnt(22) lgkmcnt(22)
	v_cmp_lt_u16_e64 s7, v116, v117
	v_cndmask_b32_e64 v212, v230, v164, s5
	s_waitcnt vmcnt(20) lgkmcnt(20)
	v_cmp_lt_u16_e64 s10, v118, v119
	;; [unrolled: 3-line block ×3, first 2 shown]
	v_lshlrev_b32_sdwa v52, v50, v211 dst_sel:DWORD dst_unused:UNUSED_PAD src0_sel:DWORD src1_sel:WORD_0
	s_waitcnt vmcnt(16) lgkmcnt(16)
	v_cmp_lt_u16_e64 s14, v130, v131
	v_cndmask_b32_e64 v224, v226, v166, s7
	s_waitcnt vmcnt(14) lgkmcnt(14)
	v_cmp_lt_u16_e64 s15, v132, v84
	v_cndmask_b32_e64 v227, v225, v167, s10
	;; [unrolled: 3-line block ×3, first 2 shown]
	v_cndmask_b32_e64 v231, v213, v177, s14
	v_cndmask_b32_e64 v241, v210, v178, s15
	;; [unrolled: 1-line block ×12, first 2 shown]
	v_lshlrev_b32_sdwa v55, v50, v212 dst_sel:DWORD dst_unused:UNUSED_PAD src0_sel:DWORD src1_sel:WORD_0
	v_lshlrev_b32_sdwa v70, v50, v214 dst_sel:DWORD dst_unused:UNUSED_PAD src0_sel:DWORD src1_sel:WORD_0
	v_add_co_u32 v66, s4, v6, v52
	v_lshlrev_b32_sdwa v80, v50, v224 dst_sel:DWORD dst_unused:UNUSED_PAD src0_sel:DWORD src1_sel:WORD_0
	v_add_co_ci_u32_e64 v67, null, 0, v7, s4
	v_add_co_u32 v68, s4, v6, v55
	s_waitcnt vmcnt(10) lgkmcnt(10)
	v_cmp_lt_u16_e64 s17, v87, v96
	v_lshlrev_b32_sdwa v84, v50, v227 dst_sel:DWORD dst_unused:UNUSED_PAD src0_sel:DWORD src1_sel:WORD_0
	v_add_co_ci_u32_e64 v69, null, 0, v7, s4
	v_add_co_u32 v70, s4, v6, v70
	s_waitcnt vmcnt(8) lgkmcnt(8)
	v_cmp_lt_u16_e64 s18, v97, v98
	v_lshlrev_b32_sdwa v86, v50, v229 dst_sel:DWORD dst_unused:UNUSED_PAD src0_sel:DWORD src1_sel:WORD_0
	v_add_co_ci_u32_e64 v71, null, 0, v7, s4
	v_add_co_u32 v80, s4, v6, v80
	v_lshlrev_b32_sdwa v96, v50, v231 dst_sel:DWORD dst_unused:UNUSED_PAD src0_sel:DWORD src1_sel:WORD_0
	v_cndmask_b32_e64 v246, v208, v243, s17
	v_add_co_ci_u32_e64 v81, null, 0, v7, s4
	v_add_co_u32 v84, s4, v6, v84
	v_lshlrev_b32_sdwa v98, v50, v241 dst_sel:DWORD dst_unused:UNUSED_PAD src0_sel:DWORD src1_sel:WORD_0
	v_cndmask_b32_e64 v247, v197, v244, s18
	v_add_co_ci_u32_e64 v85, null, 0, v7, s4
	v_add_co_u32 v86, s4, v6, v86
	s_waitcnt vmcnt(6) lgkmcnt(6)
	v_cmp_lt_u16_e64 s19, v99, v100
	v_lshlrev_b32_sdwa v100, v50, v242 dst_sel:DWORD dst_unused:UNUSED_PAD src0_sel:DWORD src1_sel:WORD_0
	v_add_co_ci_u32_e64 v87, null, 0, v7, s4
	v_add_co_u32 v96, s4, v6, v96
	v_lshlrev_b32_sdwa v102, v50, v246 dst_sel:DWORD dst_unused:UNUSED_PAD src0_sel:DWORD src1_sel:WORD_0
	v_add_co_ci_u32_e64 v97, null, 0, v7, s4
	v_add_co_u32 v98, s4, v6, v98
	;; [unrolled: 3-line block ×9, first 2 shown]
	v_lshlrev_b32_sdwa v134, v50, v176 dst_sel:DWORD dst_unused:UNUSED_PAD src0_sel:DWORD src1_sel:WORD_0
	v_cndmask_b32_e64 v199, v243, v208, s17
	v_add_co_ci_u32_e64 v129, null, 0, v7, s4
	v_add_co_u32 v130, s4, v6, v130
	v_lshlrev_b32_sdwa v144, v50, v177 dst_sel:DWORD dst_unused:UNUSED_PAD src0_sel:DWORD src1_sel:WORD_0
	v_cndmask_b32_e64 v197, v244, v197, s18
	v_add_co_ci_u32_e64 v131, null, 0, v7, s4
	v_add_co_u32 v132, s4, v6, v132
	v_lshlrev_b32_sdwa v146, v50, v178 dst_sel:DWORD dst_unused:UNUSED_PAD src0_sel:DWORD src1_sel:WORD_0
	v_cndmask_b32_e64 v53, v195, v245, s19
	v_cndmask_b32_e64 v195, v245, v195, s19
	v_add_co_ci_u32_e64 v133, null, 0, v7, s4
	v_add_co_u32 v134, s4, v6, v134
	v_lshlrev_b32_sdwa v148, v50, v199 dst_sel:DWORD dst_unused:UNUSED_PAD src0_sel:DWORD src1_sel:WORD_0
	v_add_co_ci_u32_e64 v135, null, 0, v7, s4
	v_add_co_u32 v144, s4, v6, v144
	v_lshlrev_b32_sdwa v150, v50, v197 dst_sel:DWORD dst_unused:UNUSED_PAD src0_sel:DWORD src1_sel:WORD_0
	;; [unrolled: 3-line block ×3, first 2 shown]
	v_add_co_ci_u32_e64 v147, null, 0, v7, s4
	v_add_co_u32 v148, s4, v6, v148
	v_add_co_ci_u32_e64 v149, null, 0, v7, s4
	v_add_co_u32 v150, s4, v6, v150
	;; [unrolled: 2-line block ×3, first 2 shown]
	v_add_co_ci_u32_e64 v161, null, 0, v7, s4
	s_clause 0x17
	flat_load_ushort v114, v[114:115]
	flat_load_ushort v115, v[82:83]
	;; [unrolled: 1-line block ×24, first 2 shown]
	v_cndmask_b32_e32 v52, v179, v180, vcc_lo
	v_lshlrev_b32_sdwa v68, v50, v53 dst_sel:DWORD dst_unused:UNUSED_PAD src0_sel:DWORD src1_sel:WORD_0
	s_waitcnt vmcnt(26) lgkmcnt(26)
	v_cmp_lt_u16_e64 s4, v192, v193
	s_waitcnt vmcnt(24) lgkmcnt(24)
	v_cmp_lt_u16_e64 s5, v194, v209
	v_lshlrev_b32_sdwa v55, v50, v52 dst_sel:DWORD dst_unused:UNUSED_PAD src0_sel:DWORD src1_sel:WORD_0
	v_cndmask_b32_e64 v151, v182, v198, s4
	v_cndmask_b32_e64 v160, v181, v162, s5
	;; [unrolled: 1-line block ×3, first 2 shown]
	v_add_co_u32 v66, vcc_lo, v6, v55
	v_add_co_ci_u32_e64 v67, null, 0, v7, vcc_lo
	v_add_co_u32 v68, vcc_lo, v6, v68
	v_add_co_ci_u32_e64 v69, null, 0, v7, vcc_lo
	v_cmp_lt_u16_e32 vcc_lo, v183, v64
	v_lshlrev_b32_sdwa v70, v50, v151 dst_sel:DWORD dst_unused:UNUSED_PAD src0_sel:DWORD src1_sel:WORD_0
	v_lshlrev_b32_sdwa v80, v50, v160 dst_sel:DWORD dst_unused:UNUSED_PAD src0_sel:DWORD src1_sel:WORD_0
	v_cndmask_b32_e64 v64, v162, v181, s5
	v_lshlrev_b32_sdwa v83, v50, v179 dst_sel:DWORD dst_unused:UNUSED_PAD src0_sel:DWORD src1_sel:WORD_0
	v_cndmask_b32_e32 v150, v54, v196, vcc_lo
	v_cndmask_b32_e32 v161, v196, v54, vcc_lo
	v_lshlrev_b32_sdwa v113, v50, v64 dst_sel:DWORD dst_unused:UNUSED_PAD src0_sel:DWORD src1_sel:WORD_0
	v_lshlrev_b32_sdwa v54, v50, v150 dst_sel:DWORD dst_unused:UNUSED_PAD src0_sel:DWORD src1_sel:WORD_0
	;; [unrolled: 1-line block ×3, first 2 shown]
	v_add_co_u32 v54, vcc_lo, v6, v54
	v_add_co_ci_u32_e64 v55, null, 0, v7, vcc_lo
	v_add_co_u32 v70, vcc_lo, v6, v70
	v_add_co_ci_u32_e64 v71, null, 0, v7, vcc_lo
	v_add_co_u32 v80, vcc_lo, v6, v80
	s_clause 0x1
	flat_load_ushort v162, v[54:55]
	flat_load_ushort v180, v[68:69]
	v_add_co_ci_u32_e64 v81, null, 0, v7, vcc_lo
	v_add_co_u32 v54, vcc_lo, v6, v82
	v_add_co_ci_u32_e64 v55, null, 0, v7, vcc_lo
	v_add_co_u32 v68, vcc_lo, v6, v83
	;; [unrolled: 2-line block ×3, first 2 shown]
	v_add_co_ci_u32_e64 v83, null, 0, v7, vcc_lo
	s_clause 0x5
	flat_load_ushort v181, v[70:71]
	flat_load_ushort v54, v[54:55]
	;; [unrolled: 1-line block ×6, first 2 shown]
	s_waitcnt vmcnt(30) lgkmcnt(30)
	v_cmp_lt_u16_e32 vcc_lo, v114, v115
	s_waitcnt vmcnt(28) lgkmcnt(28)
	v_cmp_lt_u16_e64 s4, v116, v117
	s_waitcnt vmcnt(26) lgkmcnt(26)
	v_cmp_lt_u16_e64 s5, v118, v119
	v_cndmask_b32_e32 v194, v65, v51, vcc_lo
	s_waitcnt vmcnt(24) lgkmcnt(24)
	v_cmp_lt_u16_e64 s6, v128, v129
	v_cndmask_b32_e64 v196, v163, v211, s4
	s_waitcnt vmcnt(22) lgkmcnt(22)
	v_cmp_lt_u16_e64 s7, v130, v131
	v_cndmask_b32_e64 v198, v164, v212, s5
	s_waitcnt vmcnt(20) lgkmcnt(20)
	v_cmp_lt_u16_e64 s10, v132, v84
	v_lshlrev_b32_sdwa v66, v50, v194 dst_sel:DWORD dst_unused:UNUSED_PAD src0_sel:DWORD src1_sel:WORD_0
	v_cndmask_b32_e64 v208, v165, v214, s6
	s_waitcnt vmcnt(18) lgkmcnt(18)
	v_cmp_lt_u16_e64 s11, v85, v86
	v_lshlrev_b32_sdwa v68, v50, v196 dst_sel:DWORD dst_unused:UNUSED_PAD src0_sel:DWORD src1_sel:WORD_0
	;; [unrolled: 4-line block ×3, first 2 shown]
	v_cndmask_b32_e64 v210, v167, v227, s10
	v_cndmask_b32_e64 v163, v211, v163, s4
	v_add_co_u32 v66, s4, v6, v66
	s_waitcnt vmcnt(14) lgkmcnt(14)
	v_cmp_lt_u16_e64 s15, v97, v98
	v_lshlrev_b32_sdwa v80, v50, v208 dst_sel:DWORD dst_unused:UNUSED_PAD src0_sel:DWORD src1_sel:WORD_0
	v_cndmask_b32_e64 v213, v176, v229, s11
	v_add_co_ci_u32_e64 v67, null, 0, v7, s4
	v_add_co_u32 v68, s4, v6, v68
	s_waitcnt vmcnt(12) lgkmcnt(12)
	v_cmp_lt_u16_e64 s16, v99, v100
	v_lshlrev_b32_sdwa v82, v50, v209 dst_sel:DWORD dst_unused:UNUSED_PAD src0_sel:DWORD src1_sel:WORD_0
	v_cndmask_b32_e64 v215, v177, v231, s14
	v_add_co_ci_u32_e64 v69, null, 0, v7, s4
	;; [unrolled: 6-line block ×3, first 2 shown]
	v_add_co_u32 v80, s4, v6, v80
	v_lshlrev_b32_sdwa v86, v50, v213 dst_sel:DWORD dst_unused:UNUSED_PAD src0_sel:DWORD src1_sel:WORD_0
	v_cndmask_b32_e64 v226, v199, v242, s16
	v_add_co_ci_u32_e64 v81, null, 0, v7, s4
	v_add_co_u32 v82, s4, v6, v82
	v_lshlrev_b32_sdwa v96, v50, v215 dst_sel:DWORD dst_unused:UNUSED_PAD src0_sel:DWORD src1_sel:WORD_0
	v_cndmask_b32_e64 v228, v197, v246, s17
	v_add_co_ci_u32_e64 v83, null, 0, v7, s4
	v_add_co_u32 v84, s4, v6, v84
	v_lshlrev_b32_sdwa v98, v50, v225 dst_sel:DWORD dst_unused:UNUSED_PAD src0_sel:DWORD src1_sel:WORD_0
	v_add_co_ci_u32_e64 v85, null, 0, v7, s4
	v_add_co_u32 v86, s4, v6, v86
	v_lshlrev_b32_sdwa v100, v50, v226 dst_sel:DWORD dst_unused:UNUSED_PAD src0_sel:DWORD src1_sel:WORD_0
	v_cndmask_b32_e64 v164, v212, v164, s5
	v_add_co_ci_u32_e64 v87, null, 0, v7, s4
	v_add_co_u32 v96, s4, v6, v96
	v_lshlrev_b32_sdwa v102, v50, v228 dst_sel:DWORD dst_unused:UNUSED_PAD src0_sel:DWORD src1_sel:WORD_0
	v_cndmask_b32_e64 v165, v214, v165, s6
	v_add_co_ci_u32_e64 v97, null, 0, v7, s4
	v_add_co_u32 v98, s4, v6, v98
	s_waitcnt vmcnt(8) lgkmcnt(8)
	v_cmp_lt_u16_e64 s18, v103, v112
	v_lshlrev_b32_sdwa v112, v50, v163 dst_sel:DWORD dst_unused:UNUSED_PAD src0_sel:DWORD src1_sel:WORD_0
	v_cndmask_b32_e64 v166, v224, v166, s7
	v_add_co_ci_u32_e64 v99, null, 0, v7, s4
	v_add_co_u32 v100, s4, v6, v100
	v_lshlrev_b32_sdwa v114, v50, v164 dst_sel:DWORD dst_unused:UNUSED_PAD src0_sel:DWORD src1_sel:WORD_0
	v_cndmask_b32_e64 v167, v227, v167, s10
	v_add_co_ci_u32_e64 v101, null, 0, v7, s4
	v_add_co_u32 v102, s4, v6, v102
	;; [unrolled: 4-line block ×7, first 2 shown]
	v_lshlrev_b32_sdwa v134, v50, v178 dst_sel:DWORD dst_unused:UNUSED_PAD src0_sel:DWORD src1_sel:WORD_0
	v_cndmask_b32_e64 v55, v195, v247, s18
	v_cndmask_b32_e64 v195, v247, v195, s18
	v_add_co_ci_u32_e64 v129, null, 0, v7, s4
	v_add_co_u32 v130, s4, v6, v130
	v_lshlrev_b32_sdwa v144, v50, v199 dst_sel:DWORD dst_unused:UNUSED_PAD src0_sel:DWORD src1_sel:WORD_0
	v_add_co_ci_u32_e64 v131, null, 0, v7, s4
	v_add_co_u32 v132, s4, v6, v132
	v_lshlrev_b32_sdwa v146, v50, v197 dst_sel:DWORD dst_unused:UNUSED_PAD src0_sel:DWORD src1_sel:WORD_0
	;; [unrolled: 3-line block ×3, first 2 shown]
	v_add_co_ci_u32_e64 v135, null, 0, v7, s4
	v_add_co_u32 v144, s4, v6, v144
	v_add_co_ci_u32_e64 v145, null, 0, v7, s4
	v_add_co_u32 v146, s4, v6, v146
	;; [unrolled: 2-line block ×3, first 2 shown]
	v_add_co_ci_u32_e64 v149, null, 0, v7, s4
	s_clause 0x15
	flat_load_ushort v112, v[112:113]
	flat_load_ushort v113, v[66:67]
	;; [unrolled: 1-line block ×22, first 2 shown]
	v_cndmask_b32_e32 v51, v51, v65, vcc_lo
	v_lshlrev_b32_sdwa v65, v50, v55 dst_sel:DWORD dst_unused:UNUSED_PAD src0_sel:DWORD src1_sel:WORD_0
	s_waitcnt vmcnt(24) lgkmcnt(24)
	v_cmp_lt_u16_e64 s5, v182, v183
	v_lshlrev_b32_sdwa v67, v50, v51 dst_sel:DWORD dst_unused:UNUSED_PAD src0_sel:DWORD src1_sel:WORD_0
	v_add_co_u32 v65, vcc_lo, v6, v65
	v_add_co_ci_u32_e64 v66, null, 0, v7, vcc_lo
	v_cmp_lt_u16_e32 vcc_lo, v162, v180
	v_add_co_u32 v67, s4, v6, v67
	v_add_co_ci_u32_e64 v68, null, 0, v7, s4
	v_cmp_lt_u16_e64 s4, v181, v54
	v_cndmask_b32_e32 v162, v150, v53, vcc_lo
	v_cndmask_b32_e32 v180, v53, v150, vcc_lo
	s_waitcnt vmcnt(22) lgkmcnt(22)
	v_cmp_lt_u16_e32 vcc_lo, v192, v193
	v_cndmask_b32_e64 v182, v179, v160, s5
	v_cndmask_b32_e64 v181, v161, v151, s4
	v_lshlrev_b32_sdwa v53, v50, v162 dst_sel:DWORD dst_unused:UNUSED_PAD src0_sel:DWORD src1_sel:WORD_0
	v_lshlrev_b32_sdwa v69, v50, v180 dst_sel:DWORD dst_unused:UNUSED_PAD src0_sel:DWORD src1_sel:WORD_0
	v_cndmask_b32_e32 v183, v64, v52, vcc_lo
	v_cndmask_b32_e64 v161, v151, v161, s4
	v_lshlrev_b32_sdwa v80, v50, v181 dst_sel:DWORD dst_unused:UNUSED_PAD src0_sel:DWORD src1_sel:WORD_0
	v_add_co_u32 v53, s4, v6, v53
	v_lshlrev_b32_sdwa v82, v50, v182 dst_sel:DWORD dst_unused:UNUSED_PAD src0_sel:DWORD src1_sel:WORD_0
	v_cndmask_b32_e64 v160, v160, v179, s5
	v_add_co_ci_u32_e64 v54, null, 0, v7, s4
	v_add_co_u32 v69, s4, v6, v69
	v_lshlrev_b32_sdwa v84, v50, v183 dst_sel:DWORD dst_unused:UNUSED_PAD src0_sel:DWORD src1_sel:WORD_0
	v_add_co_ci_u32_e64 v70, null, 0, v7, s4
	v_add_co_u32 v80, s4, v6, v80
	v_lshlrev_b32_sdwa v86, v50, v161 dst_sel:DWORD dst_unused:UNUSED_PAD src0_sel:DWORD src1_sel:WORD_0
	;; [unrolled: 3-line block ×3, first 2 shown]
	v_add_co_ci_u32_e64 v83, null, 0, v7, s4
	v_add_co_u32 v84, s4, v6, v84
	v_add_co_ci_u32_e64 v85, null, 0, v7, s4
	v_add_co_u32 v86, s4, v6, v86
	;; [unrolled: 2-line block ×3, first 2 shown]
	v_add_co_ci_u32_e64 v97, null, 0, v7, s4
	s_clause 0x7
	flat_load_ushort v179, v[69:70]
	flat_load_ushort v192, v[65:66]
	;; [unrolled: 1-line block ×8, first 2 shown]
	s_waitcnt vmcnt(28) lgkmcnt(28)
	v_cmp_lt_u16_e64 s4, v112, v113
	s_waitcnt vmcnt(26) lgkmcnt(26)
	v_cmp_lt_u16_e64 s5, v114, v115
	;; [unrolled: 2-line block ×3, first 2 shown]
	v_cndmask_b32_e64 v229, v163, v194, s4
	s_waitcnt vmcnt(22) lgkmcnt(22)
	v_cmp_lt_u16_e64 s7, v117, v118
	v_cndmask_b32_e64 v230, v164, v196, s5
	s_waitcnt vmcnt(20) lgkmcnt(20)
	v_cmp_lt_u16_e64 s10, v119, v128
	;; [unrolled: 3-line block ×3, first 2 shown]
	v_lshlrev_b32_sdwa v53, v50, v229 dst_sel:DWORD dst_unused:UNUSED_PAD src0_sel:DWORD src1_sel:WORD_0
	v_cndmask_b32_e64 v240, v166, v208, s7
	s_waitcnt vmcnt(16) lgkmcnt(16)
	v_cmp_lt_u16_e64 s14, v131, v132
	v_lshlrev_b32_sdwa v66, v50, v230 dst_sel:DWORD dst_unused:UNUSED_PAD src0_sel:DWORD src1_sel:WORD_0
	v_cndmask_b32_e64 v241, v167, v209, s10
	s_waitcnt vmcnt(14) lgkmcnt(14)
	v_cmp_lt_u16_e64 s15, v133, v134
	v_lshlrev_b32_sdwa v71, v50, v231 dst_sel:DWORD dst_unused:UNUSED_PAD src0_sel:DWORD src1_sel:WORD_0
	v_cndmask_b32_e64 v242, v176, v210, s11
	v_cndmask_b32_e64 v65, v194, v163, s4
	v_add_co_u32 v69, s4, v6, v53
	s_waitcnt vmcnt(12) lgkmcnt(12)
	v_cmp_lt_u16_e64 s16, v135, v98
	v_lshlrev_b32_sdwa v84, v50, v240 dst_sel:DWORD dst_unused:UNUSED_PAD src0_sel:DWORD src1_sel:WORD_0
	v_cndmask_b32_e64 v243, v177, v213, s14
	v_add_co_ci_u32_e64 v70, null, 0, v7, s4
	v_add_co_u32 v80, s4, v6, v66
	s_waitcnt vmcnt(10) lgkmcnt(10)
	v_cmp_lt_u16_e64 s17, v99, v100
	v_lshlrev_b32_sdwa v86, v50, v241 dst_sel:DWORD dst_unused:UNUSED_PAD src0_sel:DWORD src1_sel:WORD_0
	v_cndmask_b32_e64 v244, v178, v215, s15
	v_add_co_ci_u32_e64 v81, null, 0, v7, s4
	v_add_co_u32 v82, s4, v6, v71
	v_lshlrev_b32_sdwa v96, v50, v242 dst_sel:DWORD dst_unused:UNUSED_PAD src0_sel:DWORD src1_sel:WORD_0
	v_cndmask_b32_e64 v245, v199, v225, s16
	v_add_co_ci_u32_e64 v83, null, 0, v7, s4
	v_add_co_u32 v84, s4, v6, v84
	;; [unrolled: 4-line block ×3, first 2 shown]
	v_lshlrev_b32_sdwa v100, v50, v244 dst_sel:DWORD dst_unused:UNUSED_PAD src0_sel:DWORD src1_sel:WORD_0
	v_add_co_ci_u32_e64 v87, null, 0, v7, s4
	v_add_co_u32 v96, s4, v6, v96
	s_waitcnt vmcnt(8) lgkmcnt(8)
	v_cmp_lt_u16_e64 s18, v101, v102
	v_lshlrev_b32_sdwa v102, v50, v245 dst_sel:DWORD dst_unused:UNUSED_PAD src0_sel:DWORD src1_sel:WORD_0
	v_cndmask_b32_e64 v163, v196, v164, s5
	v_add_co_ci_u32_e64 v97, null, 0, v7, s4
	v_add_co_u32 v98, s4, v6, v98
	v_lshlrev_b32_sdwa v112, v50, v246 dst_sel:DWORD dst_unused:UNUSED_PAD src0_sel:DWORD src1_sel:WORD_0
	v_cndmask_b32_e64 v164, v198, v165, s6
	v_add_co_ci_u32_e64 v99, null, 0, v7, s4
	v_add_co_u32 v100, s4, v6, v100
	;; [unrolled: 4-line block ×9, first 2 shown]
	v_lshlrev_b32_sdwa v144, v50, v177 dst_sel:DWORD dst_unused:UNUSED_PAD src0_sel:DWORD src1_sel:WORD_0
	v_cndmask_b32_e64 v54, v195, v228, s18
	v_cndmask_b32_e64 v195, v228, v195, s18
	v_add_co_ci_u32_e64 v131, null, 0, v7, s4
	v_add_co_u32 v132, s4, v6, v132
	v_lshlrev_b32_sdwa v146, v50, v178 dst_sel:DWORD dst_unused:UNUSED_PAD src0_sel:DWORD src1_sel:WORD_0
	v_add_co_ci_u32_e64 v133, null, 0, v7, s4
	v_add_co_u32 v134, s4, v6, v134
	v_lshlrev_b32_sdwa v148, v50, v194 dst_sel:DWORD dst_unused:UNUSED_PAD src0_sel:DWORD src1_sel:WORD_0
	;; [unrolled: 3-line block ×3, first 2 shown]
	v_add_co_ci_u32_e64 v145, null, 0, v7, s4
	v_add_co_u32 v146, s4, v6, v146
	v_add_co_ci_u32_e64 v147, null, 0, v7, s4
	v_add_co_u32 v148, s4, v6, v148
	;; [unrolled: 2-line block ×3, first 2 shown]
	v_add_co_ci_u32_e64 v151, null, 0, v7, s4
	s_clause 0x15
	flat_load_ushort v114, v[114:115]
	flat_load_ushort v115, v[67:68]
	;; [unrolled: 1-line block ×22, first 2 shown]
	v_cndmask_b32_e32 v53, v52, v64, vcc_lo
	s_waitcnt vmcnt(26) lgkmcnt(26)
	v_cmp_lt_u16_e64 s4, v193, v211
	v_lshlrev_b32_sdwa v64, v50, v54 dst_sel:DWORD dst_unused:UNUSED_PAD src0_sel:DWORD src1_sel:WORD_0
	v_lshlrev_b32_sdwa v52, v50, v53 dst_sel:DWORD dst_unused:UNUSED_PAD src0_sel:DWORD src1_sel:WORD_0
	v_cndmask_b32_e64 v150, v162, v181, s4
	v_cndmask_b32_e64 v162, v181, v162, s4
	s_waitcnt vmcnt(22) lgkmcnt(22)
	v_cmp_lt_u16_e64 s4, v224, v227
	v_add_co_u32 v68, s5, v6, v64
	v_add_co_u32 v66, vcc_lo, v6, v52
	v_add_co_ci_u32_e64 v67, null, 0, v7, vcc_lo
	v_cmp_lt_u16_e32 vcc_lo, v179, v192
	v_lshlrev_b32_sdwa v52, v50, v150 dst_sel:DWORD dst_unused:UNUSED_PAD src0_sel:DWORD src1_sel:WORD_0
	v_cndmask_b32_e64 v64, v183, v160, s4
	v_add_co_ci_u32_e64 v69, null, 0, v7, s5
	v_cndmask_b32_e32 v149, v180, v55, vcc_lo
	v_cndmask_b32_e32 v151, v55, v180, vcc_lo
	v_cmp_lt_u16_e32 vcc_lo, v212, v214
	v_cndmask_b32_e64 v180, v160, v183, s4
	v_lshlrev_b32_sdwa v55, v50, v149 dst_sel:DWORD dst_unused:UNUSED_PAD src0_sel:DWORD src1_sel:WORD_0
	v_lshlrev_b32_sdwa v82, v50, v151 dst_sel:DWORD dst_unused:UNUSED_PAD src0_sel:DWORD src1_sel:WORD_0
	v_cndmask_b32_e32 v179, v161, v182, vcc_lo
	v_cndmask_b32_e32 v161, v182, v161, vcc_lo
	v_add_co_u32 v70, vcc_lo, v6, v52
	v_add_co_ci_u32_e64 v71, null, 0, v7, vcc_lo
	v_lshlrev_b32_sdwa v52, v50, v179 dst_sel:DWORD dst_unused:UNUSED_PAD src0_sel:DWORD src1_sel:WORD_0
	v_add_co_u32 v80, vcc_lo, v6, v55
	v_lshlrev_b32_sdwa v55, v50, v162 dst_sel:DWORD dst_unused:UNUSED_PAD src0_sel:DWORD src1_sel:WORD_0
	v_add_co_ci_u32_e64 v81, null, 0, v7, vcc_lo
	v_add_co_u32 v82, vcc_lo, v6, v82
	v_lshlrev_b32_sdwa v96, v50, v180 dst_sel:DWORD dst_unused:UNUSED_PAD src0_sel:DWORD src1_sel:WORD_0
	v_add_co_ci_u32_e64 v83, null, 0, v7, vcc_lo
	;; [unrolled: 3-line block ×4, first 2 shown]
	v_add_co_u32 v96, vcc_lo, v6, v96
	v_add_co_ci_u32_e64 v97, null, 0, v7, vcc_lo
	v_add_co_u32 v98, vcc_lo, v6, v52
	v_add_co_ci_u32_e64 v99, null, 0, v7, vcc_lo
	;; [unrolled: 2-line block ×3, first 2 shown]
	s_clause 0x9
	flat_load_ushort v160, v[82:83]
	flat_load_ushort v181, v[68:69]
	;; [unrolled: 1-line block ×10, first 2 shown]
	s_waitcnt vmcnt(30) lgkmcnt(30)
	v_cmp_lt_u16_e32 vcc_lo, v114, v115
	s_waitcnt vmcnt(28) lgkmcnt(28)
	v_cmp_lt_u16_e64 s4, v116, v117
	s_waitcnt vmcnt(26) lgkmcnt(26)
	v_cmp_lt_u16_e64 s5, v118, v119
	v_cndmask_b32_e32 v208, v65, v51, vcc_lo
	s_waitcnt vmcnt(24) lgkmcnt(24)
	v_cmp_lt_u16_e64 s6, v128, v129
	v_cndmask_b32_e64 v209, v163, v229, s4
	s_waitcnt vmcnt(22) lgkmcnt(22)
	v_cmp_lt_u16_e64 s7, v130, v131
	v_cndmask_b32_e64 v210, v164, v230, s5
	s_waitcnt vmcnt(20) lgkmcnt(20)
	v_cmp_lt_u16_e64 s10, v132, v133
	v_lshlrev_b32_sdwa v52, v50, v208 dst_sel:DWORD dst_unused:UNUSED_PAD src0_sel:DWORD src1_sel:WORD_0
	v_cndmask_b32_e64 v211, v165, v231, s6
	s_waitcnt vmcnt(18) lgkmcnt(18)
	v_cmp_lt_u16_e64 s11, v134, v135
	v_lshlrev_b32_sdwa v68, v50, v209 dst_sel:DWORD dst_unused:UNUSED_PAD src0_sel:DWORD src1_sel:WORD_0
	v_cndmask_b32_e64 v212, v166, v240, s7
	s_waitcnt vmcnt(16) lgkmcnt(16)
	v_cmp_lt_u16_e64 s14, v144, v145
	v_lshlrev_b32_sdwa v70, v50, v210 dst_sel:DWORD dst_unused:UNUSED_PAD src0_sel:DWORD src1_sel:WORD_0
	v_cndmask_b32_e64 v213, v167, v241, s10
	s_waitcnt vmcnt(12) lgkmcnt(12)
	v_cmp_lt_u16_e64 s16, v148, v102
	v_cndmask_b32_e64 v148, v229, v163, s4
	v_add_co_u32 v66, s4, v6, v52
	v_cmp_lt_u16_e64 s15, v146, v147
	v_lshlrev_b32_sdwa v80, v50, v211 dst_sel:DWORD dst_unused:UNUSED_PAD src0_sel:DWORD src1_sel:WORD_0
	v_cndmask_b32_e64 v214, v176, v242, s11
	v_add_co_ci_u32_e64 v67, null, 0, v7, s4
	v_add_co_u32 v68, s4, v6, v68
	v_lshlrev_b32_sdwa v82, v50, v212 dst_sel:DWORD dst_unused:UNUSED_PAD src0_sel:DWORD src1_sel:WORD_0
	v_cndmask_b32_e64 v215, v177, v243, s14
	v_add_co_ci_u32_e64 v69, null, 0, v7, s4
	v_add_co_u32 v70, s4, v6, v70
	;; [unrolled: 4-line block ×4, first 2 shown]
	v_lshlrev_b32_sdwa v96, v50, v215 dst_sel:DWORD dst_unused:UNUSED_PAD src0_sel:DWORD src1_sel:WORD_0
	v_add_co_ci_u32_e64 v83, null, 0, v7, s4
	v_add_co_u32 v84, s4, v6, v84
	v_lshlrev_b32_sdwa v98, v50, v146 dst_sel:DWORD dst_unused:UNUSED_PAD src0_sel:DWORD src1_sel:WORD_0
	v_cndmask_b32_e64 v163, v230, v164, s5
	v_add_co_ci_u32_e64 v85, null, 0, v7, s4
	v_add_co_u32 v86, s4, v6, v86
	v_lshlrev_b32_sdwa v100, v50, v147 dst_sel:DWORD dst_unused:UNUSED_PAD src0_sel:DWORD src1_sel:WORD_0
	v_cndmask_b32_e64 v164, v231, v165, s6
	;; [unrolled: 4-line block ×5, first 2 shown]
	v_add_co_ci_u32_e64 v101, null, 0, v7, s4
	v_add_co_u32 v102, s4, v6, v102
	v_lshlrev_b32_sdwa v116, v50, v165 dst_sel:DWORD dst_unused:UNUSED_PAD src0_sel:DWORD src1_sel:WORD_0
	s_waitcnt vmcnt(10) lgkmcnt(10)
	v_cmp_lt_u16_e64 s17, v103, v112
	v_cndmask_b32_e64 v176, v243, v177, s14
	v_add_co_ci_u32_e64 v103, null, 0, v7, s4
	v_add_co_u32 v112, s4, v6, v52
	v_lshlrev_b32_sdwa v118, v50, v166 dst_sel:DWORD dst_unused:UNUSED_PAD src0_sel:DWORD src1_sel:WORD_0
	v_cndmask_b32_e64 v177, v244, v178, s15
	v_add_co_ci_u32_e64 v113, null, 0, v7, s4
	v_add_co_u32 v114, s4, v6, v114
	v_lshlrev_b32_sdwa v128, v50, v167 dst_sel:DWORD dst_unused:UNUSED_PAD src0_sel:DWORD src1_sel:WORD_0
	;; [unrolled: 4-line block ×4, first 2 shown]
	v_add_co_ci_u32_e64 v119, null, 0, v7, s4
	v_add_co_u32 v128, s4, v6, v128
	v_lshlrev_b32_sdwa v134, v50, v178 dst_sel:DWORD dst_unused:UNUSED_PAD src0_sel:DWORD src1_sel:WORD_0
	v_add_co_ci_u32_e64 v129, null, 0, v7, s4
	v_add_co_u32 v130, s4, v6, v130
	v_lshlrev_b32_sdwa v144, v50, v194 dst_sel:DWORD dst_unused:UNUSED_PAD src0_sel:DWORD src1_sel:WORD_0
	v_add_co_ci_u32_e64 v131, null, 0, v7, s4
	v_add_co_u32 v132, s4, v6, v132
	v_add_co_ci_u32_e64 v133, null, 0, v7, s4
	v_add_co_u32 v134, s4, v6, v134
	;; [unrolled: 2-line block ×3, first 2 shown]
	v_cndmask_b32_e64 v55, v195, v246, s17
	v_add_co_ci_u32_e64 v145, null, 0, v7, s4
	s_clause 0x13
	flat_load_ushort v195, v[102:103]
	flat_load_ushort v224, v[66:67]
	;; [unrolled: 1-line block ×20, first 2 shown]
	v_cndmask_b32_e32 v52, v51, v65, vcc_lo
	v_lshlrev_b32_sdwa v66, v50, v55 dst_sel:DWORD dst_unused:UNUSED_PAD src0_sel:DWORD src1_sel:WORD_0
	s_waitcnt vmcnt(24) lgkmcnt(24)
	v_cmp_lt_u16_e64 s5, v192, v193
	v_cmp_lt_u16_e64 s4, v182, v183
	v_lshlrev_b32_sdwa v51, v50, v52 dst_sel:DWORD dst_unused:UNUSED_PAD src0_sel:DWORD src1_sel:WORD_0
	v_add_co_u32 v65, vcc_lo, v6, v66
	v_add_co_ci_u32_e64 v66, null, 0, v7, vcc_lo
	v_cmp_lt_u16_e32 vcc_lo, v160, v181
	v_cndmask_b32_e64 v182, v162, v179, s5
	v_cndmask_b32_e64 v181, v150, v149, s4
	v_add_co_u32 v67, s6, v6, v51
	v_cndmask_b32_e32 v160, v151, v54, vcc_lo
	v_cndmask_b32_e64 v149, v149, v150, s4
	s_waitcnt vmcnt(22) lgkmcnt(22)
	v_cmp_lt_u16_e64 s4, v196, v197
	v_cndmask_b32_e32 v151, v54, v151, vcc_lo
	v_lshlrev_b32_sdwa v54, v50, v182 dst_sel:DWORD dst_unused:UNUSED_PAD src0_sel:DWORD src1_sel:WORD_0
	v_lshlrev_b32_sdwa v51, v50, v160 dst_sel:DWORD dst_unused:UNUSED_PAD src0_sel:DWORD src1_sel:WORD_0
	s_waitcnt vmcnt(20) lgkmcnt(20)
	v_cmp_lt_u16_e32 vcc_lo, v198, v199
	v_lshlrev_b32_sdwa v82, v50, v181 dst_sel:DWORD dst_unused:UNUSED_PAD src0_sel:DWORD src1_sel:WORD_0
	v_cndmask_b32_e64 v150, v179, v162, s5
	v_cndmask_b32_e64 v162, v161, v180, s4
	;; [unrolled: 1-line block ×3, first 2 shown]
	v_add_co_u32 v69, s4, v6, v51
	v_lshlrev_b32_sdwa v84, v50, v151 dst_sel:DWORD dst_unused:UNUSED_PAD src0_sel:DWORD src1_sel:WORD_0
	v_add_co_ci_u32_e64 v70, null, 0, v7, s4
	v_add_co_u32 v80, s4, v6, v54
	v_lshlrev_b32_sdwa v86, v50, v149 dst_sel:DWORD dst_unused:UNUSED_PAD src0_sel:DWORD src1_sel:WORD_0
	v_cndmask_b32_e32 v179, v64, v53, vcc_lo
	v_add_co_ci_u32_e64 v81, null, 0, v7, s4
	v_add_co_u32 v82, s4, v6, v82
	v_lshlrev_b32_sdwa v51, v50, v162 dst_sel:DWORD dst_unused:UNUSED_PAD src0_sel:DWORD src1_sel:WORD_0
	v_add_co_ci_u32_e64 v83, null, 0, v7, s4
	v_add_co_u32 v84, s4, v6, v84
	v_lshlrev_b32_sdwa v54, v50, v150 dst_sel:DWORD dst_unused:UNUSED_PAD src0_sel:DWORD src1_sel:WORD_0
	;; [unrolled: 3-line block ×4, first 2 shown]
	v_add_co_ci_u32_e64 v97, null, 0, v7, s4
	v_add_co_u32 v98, s4, v6, v54
	v_add_co_ci_u32_e64 v99, null, 0, v7, s4
	v_add_co_u32 v100, s4, v6, v100
	v_add_co_ci_u32_e64 v101, null, 0, v7, s4
	v_add_co_u32 v102, s4, v6, v51
	v_add_co_ci_u32_e64 v103, null, 0, v7, s4
	s_clause 0x9
	flat_load_ushort v180, v[84:85]
	flat_load_ushort v183, v[65:66]
	;; [unrolled: 1-line block ×10, first 2 shown]
	v_add_co_ci_u32_e64 v68, null, 0, v7, s6
	s_waitcnt vmcnt(28) lgkmcnt(28)
	v_cmp_lt_u16_e64 s4, v195, v224
	s_waitcnt vmcnt(26) lgkmcnt(26)
	v_cmp_lt_u16_e64 s5, v112, v113
	;; [unrolled: 2-line block ×3, first 2 shown]
	v_cndmask_b32_e64 v195, v148, v208, s4
	s_waitcnt vmcnt(22) lgkmcnt(22)
	v_cmp_lt_u16_e64 s7, v115, v116
	v_cndmask_b32_e64 v224, v163, v209, s5
	s_waitcnt vmcnt(20) lgkmcnt(20)
	v_cmp_lt_u16_e64 s10, v117, v118
	;; [unrolled: 3-line block ×3, first 2 shown]
	v_lshlrev_b32_sdwa v51, v50, v195 dst_sel:DWORD dst_unused:UNUSED_PAD src0_sel:DWORD src1_sel:WORD_0
	v_cndmask_b32_e64 v228, v165, v211, s7
	s_waitcnt vmcnt(16) lgkmcnt(16)
	v_cmp_lt_u16_e64 s14, v129, v130
	v_lshlrev_b32_sdwa v66, v50, v224 dst_sel:DWORD dst_unused:UNUSED_PAD src0_sel:DWORD src1_sel:WORD_0
	v_cndmask_b32_e64 v229, v166, v212, s10
	s_waitcnt vmcnt(14) lgkmcnt(14)
	v_cmp_lt_u16_e64 s15, v131, v132
	v_lshlrev_b32_sdwa v71, v50, v227 dst_sel:DWORD dst_unused:UNUSED_PAD src0_sel:DWORD src1_sel:WORD_0
	v_cndmask_b32_e64 v230, v167, v213, s11
	v_cndmask_b32_e64 v54, v208, v148, s4
	v_add_co_u32 v69, s4, v6, v51
	s_waitcnt vmcnt(12) lgkmcnt(12)
	v_cmp_lt_u16_e64 s16, v133, v134
	v_lshlrev_b32_sdwa v84, v50, v228 dst_sel:DWORD dst_unused:UNUSED_PAD src0_sel:DWORD src1_sel:WORD_0
	v_cndmask_b32_e64 v231, v176, v214, s14
	v_add_co_ci_u32_e64 v70, null, 0, v7, s4
	v_add_co_u32 v80, s4, v6, v66
	v_lshlrev_b32_sdwa v86, v50, v229 dst_sel:DWORD dst_unused:UNUSED_PAD src0_sel:DWORD src1_sel:WORD_0
	v_cndmask_b32_e64 v240, v177, v215, s15
	v_add_co_ci_u32_e64 v81, null, 0, v7, s4
	v_add_co_u32 v82, s4, v6, v71
	v_lshlrev_b32_sdwa v96, v50, v230 dst_sel:DWORD dst_unused:UNUSED_PAD src0_sel:DWORD src1_sel:WORD_0
	v_cndmask_b32_e64 v241, v178, v146, s16
	v_add_co_ci_u32_e64 v83, null, 0, v7, s4
	v_add_co_u32 v84, s4, v6, v84
	v_lshlrev_b32_sdwa v98, v50, v231 dst_sel:DWORD dst_unused:UNUSED_PAD src0_sel:DWORD src1_sel:WORD_0
	v_add_co_ci_u32_e64 v85, null, 0, v7, s4
	v_add_co_u32 v86, s4, v6, v86
	v_lshlrev_b32_sdwa v100, v50, v240 dst_sel:DWORD dst_unused:UNUSED_PAD src0_sel:DWORD src1_sel:WORD_0
	v_cndmask_b32_e64 v148, v209, v163, s5
	v_add_co_ci_u32_e64 v87, null, 0, v7, s4
	v_add_co_u32 v96, s4, v6, v96
	v_lshlrev_b32_sdwa v102, v50, v241 dst_sel:DWORD dst_unused:UNUSED_PAD src0_sel:DWORD src1_sel:WORD_0
	v_cndmask_b32_e64 v163, v210, v164, s6
	;; [unrolled: 4-line block ×6, first 2 shown]
	v_add_co_ci_u32_e64 v113, null, 0, v7, s4
	v_add_co_u32 v114, s4, v6, v114
	s_waitcnt vmcnt(10) lgkmcnt(10)
	v_cmp_lt_u16_e64 s17, v135, v144
	v_lshlrev_b32_sdwa v71, v50, v165 dst_sel:DWORD dst_unused:UNUSED_PAD src0_sel:DWORD src1_sel:WORD_0
	v_cndmask_b32_e64 v176, v215, v177, s15
	v_add_co_ci_u32_e64 v115, null, 0, v7, s4
	v_add_co_u32 v116, s4, v6, v51
	v_lshlrev_b32_sdwa v130, v50, v166 dst_sel:DWORD dst_unused:UNUSED_PAD src0_sel:DWORD src1_sel:WORD_0
	v_cndmask_b32_e64 v177, v146, v178, s16
	v_add_co_ci_u32_e64 v117, null, 0, v7, s4
	v_add_co_u32 v118, s4, v6, v66
	;; [unrolled: 4-line block ×3, first 2 shown]
	v_lshlrev_b32_sdwa v134, v50, v176 dst_sel:DWORD dst_unused:UNUSED_PAD src0_sel:DWORD src1_sel:WORD_0
	v_add_co_ci_u32_e64 v129, null, 0, v7, s4
	v_add_co_u32 v130, s4, v6, v130
	v_lshlrev_b32_sdwa v144, v50, v177 dst_sel:DWORD dst_unused:UNUSED_PAD src0_sel:DWORD src1_sel:WORD_0
	v_add_co_ci_u32_e64 v131, null, 0, v7, s4
	v_add_co_u32 v132, s4, v6, v132
	;; [unrolled: 3-line block ×3, first 2 shown]
	v_add_co_ci_u32_e64 v135, null, 0, v7, s4
	v_add_co_u32 v144, s4, v6, v144
	v_add_co_ci_u32_e64 v145, null, 0, v7, s4
	v_add_co_u32 v146, s4, v6, v146
	v_cndmask_b32_e64 v65, v194, v147, s17
	v_add_co_ci_u32_e64 v147, null, 0, v7, s4
	s_clause 0x13
	flat_load_ushort v112, v[112:113]
	flat_load_ushort v113, v[67:68]
	;; [unrolled: 1-line block ×20, first 2 shown]
	v_cndmask_b32_e32 v51, v53, v64, vcc_lo
	v_lshlrev_b32_sdwa v64, v50, v65 dst_sel:DWORD dst_unused:UNUSED_PAD src0_sel:DWORD src1_sel:WORD_0
	s_waitcnt vmcnt(24) lgkmcnt(24)
	v_cmp_lt_u16_e64 s5, v196, v197
	v_cmp_lt_u16_e64 s4, v192, v193
	s_waitcnt vmcnt(22) lgkmcnt(22)
	v_cmp_lt_u16_e64 s6, v198, v199
	v_lshlrev_b32_sdwa v53, v50, v51 dst_sel:DWORD dst_unused:UNUSED_PAD src0_sel:DWORD src1_sel:WORD_0
	v_cndmask_b32_e64 v192, v181, v182, s5
	v_cndmask_b32_e64 v193, v150, v162, s6
	v_add_co_u32 v66, vcc_lo, v6, v53
	v_add_co_ci_u32_e64 v67, null, 0, v7, vcc_lo
	v_add_co_u32 v68, vcc_lo, v6, v64
	v_add_co_ci_u32_e64 v69, null, 0, v7, vcc_lo
	v_cmp_lt_u16_e32 vcc_lo, v180, v183
	v_cndmask_b32_e64 v183, v149, v160, s4
	v_lshlrev_b32_sdwa v80, v50, v192 dst_sel:DWORD dst_unused:UNUSED_PAD src0_sel:DWORD src1_sel:WORD_0
	v_cndmask_b32_e64 v149, v160, v149, s4
	v_lshlrev_b32_sdwa v84, v50, v193 dst_sel:DWORD dst_unused:UNUSED_PAD src0_sel:DWORD src1_sel:WORD_0
	v_cndmask_b32_e32 v180, v151, v55, vcc_lo
	v_cndmask_b32_e32 v55, v55, v151, vcc_lo
	s_waitcnt vmcnt(20) lgkmcnt(20)
	v_cmp_lt_u16_e32 vcc_lo, v225, v226
	v_lshlrev_b32_sdwa v82, v50, v183 dst_sel:DWORD dst_unused:UNUSED_PAD src0_sel:DWORD src1_sel:WORD_0
	v_cndmask_b32_e64 v151, v182, v181, s5
	v_lshlrev_b32_sdwa v64, v50, v180 dst_sel:DWORD dst_unused:UNUSED_PAD src0_sel:DWORD src1_sel:WORD_0
	v_lshlrev_b32_sdwa v86, v50, v55 dst_sel:DWORD dst_unused:UNUSED_PAD src0_sel:DWORD src1_sel:WORD_0
	v_cndmask_b32_e32 v160, v161, v179, vcc_lo
	v_cndmask_b32_e32 v53, v179, v161, vcc_lo
	v_lshlrev_b32_sdwa v96, v50, v149 dst_sel:DWORD dst_unused:UNUSED_PAD src0_sel:DWORD src1_sel:WORD_0
	v_add_co_u32 v70, vcc_lo, v6, v64
	v_add_co_ci_u32_e64 v71, null, 0, v7, vcc_lo
	v_add_co_u32 v80, vcc_lo, v6, v80
	v_add_co_ci_u32_e64 v81, null, 0, v7, vcc_lo
	v_add_co_u32 v82, vcc_lo, v6, v82
	v_add_co_ci_u32_e64 v83, null, 0, v7, vcc_lo
	v_add_co_u32 v84, vcc_lo, v6, v84
	v_add_co_ci_u32_e64 v85, null, 0, v7, vcc_lo
	v_add_co_u32 v86, vcc_lo, v6, v86
	v_add_co_ci_u32_e64 v87, null, 0, v7, vcc_lo
	v_cndmask_b32_e64 v150, v162, v150, s6
	v_lshlrev_b32_sdwa v64, v50, v151 dst_sel:DWORD dst_unused:UNUSED_PAD src0_sel:DWORD src1_sel:WORD_0
	v_lshlrev_b32_sdwa v100, v50, v160 dst_sel:DWORD dst_unused:UNUSED_PAD src0_sel:DWORD src1_sel:WORD_0
	v_add_co_u32 v96, vcc_lo, v6, v96
	s_clause 0x1
	flat_load_ushort v161, v[86:87]
	flat_load_ushort v162, v[68:69]
	v_lshlrev_b32_sdwa v102, v50, v150 dst_sel:DWORD dst_unused:UNUSED_PAD src0_sel:DWORD src1_sel:WORD_0
	v_add_co_ci_u32_e64 v97, null, 0, v7, vcc_lo
	v_add_co_u32 v98, vcc_lo, v6, v64
	v_lshlrev_b32_sdwa v64, v50, v53 dst_sel:DWORD dst_unused:UNUSED_PAD src0_sel:DWORD src1_sel:WORD_0
	v_add_co_ci_u32_e64 v99, null, 0, v7, vcc_lo
	v_add_co_u32 v100, vcc_lo, v6, v100
	v_add_co_ci_u32_e64 v101, null, 0, v7, vcc_lo
	v_add_co_u32 v102, vcc_lo, v6, v102
	;; [unrolled: 2-line block ×3, first 2 shown]
	v_add_co_ci_u32_e64 v69, null, 0, v7, vcc_lo
	s_clause 0x9
	flat_load_ushort v179, v[96:97]
	flat_load_ushort v181, v[70:71]
	;; [unrolled: 1-line block ×10, first 2 shown]
	s_waitcnt vmcnt(30) lgkmcnt(30)
	v_cmp_lt_u16_e64 s4, v112, v113
	s_waitcnt vmcnt(28) lgkmcnt(28)
	v_cmp_lt_u16_e32 vcc_lo, v114, v115
	s_waitcnt vmcnt(26) lgkmcnt(26)
	v_cmp_lt_u16_e64 s5, v116, v117
	v_cndmask_b32_e64 v210, v54, v52, s4
	s_waitcnt vmcnt(24) lgkmcnt(24)
	v_cmp_lt_u16_e64 s6, v118, v119
	v_cndmask_b32_e32 v211, v148, v195, vcc_lo
	s_waitcnt vmcnt(22) lgkmcnt(22)
	v_cmp_lt_u16_e64 s7, v128, v129
	v_cndmask_b32_e64 v212, v163, v224, s5
	s_waitcnt vmcnt(20) lgkmcnt(20)
	v_cmp_lt_u16_e64 s10, v130, v131
	v_lshlrev_b32_sdwa v66, v50, v210 dst_sel:DWORD dst_unused:UNUSED_PAD src0_sel:DWORD src1_sel:WORD_0
	v_cndmask_b32_e64 v213, v164, v227, s6
	s_waitcnt vmcnt(18) lgkmcnt(18)
	v_cmp_lt_u16_e64 s11, v132, v133
	v_lshlrev_b32_sdwa v68, v50, v211 dst_sel:DWORD dst_unused:UNUSED_PAD src0_sel:DWORD src1_sel:WORD_0
	;; [unrolled: 4-line block ×3, first 2 shown]
	v_cndmask_b32_e64 v215, v166, v229, s10
	s_waitcnt vmcnt(14) lgkmcnt(14)
	v_cmp_lt_u16_e64 s15, v144, v145
	v_cndmask_b32_e32 v144, v195, v148, vcc_lo
	v_add_co_u32 v66, vcc_lo, v6, v66
	v_lshlrev_b32_sdwa v80, v50, v213 dst_sel:DWORD dst_unused:UNUSED_PAD src0_sel:DWORD src1_sel:WORD_0
	v_cndmask_b32_e64 v225, v167, v230, s11
	v_add_co_ci_u32_e64 v67, null, 0, v7, vcc_lo
	v_add_co_u32 v68, vcc_lo, v6, v68
	v_lshlrev_b32_sdwa v82, v50, v214 dst_sel:DWORD dst_unused:UNUSED_PAD src0_sel:DWORD src1_sel:WORD_0
	v_cndmask_b32_e64 v134, v176, v231, s14
	v_add_co_ci_u32_e64 v69, null, 0, v7, vcc_lo
	;; [unrolled: 4-line block ×3, first 2 shown]
	v_add_co_u32 v80, vcc_lo, v6, v80
	v_lshlrev_b32_sdwa v86, v50, v225 dst_sel:DWORD dst_unused:UNUSED_PAD src0_sel:DWORD src1_sel:WORD_0
	v_add_co_ci_u32_e64 v81, null, 0, v7, vcc_lo
	v_add_co_u32 v82, vcc_lo, v6, v82
	v_lshlrev_b32_sdwa v96, v50, v134 dst_sel:DWORD dst_unused:UNUSED_PAD src0_sel:DWORD src1_sel:WORD_0
	v_cndmask_b32_e64 v145, v224, v163, s5
	v_add_co_ci_u32_e64 v83, null, 0, v7, vcc_lo
	v_add_co_u32 v84, vcc_lo, v6, v84
	v_lshlrev_b32_sdwa v98, v50, v135 dst_sel:DWORD dst_unused:UNUSED_PAD src0_sel:DWORD src1_sel:WORD_0
	s_waitcnt vmcnt(12) lgkmcnt(12)
	v_cmp_lt_u16_e64 s16, v146, v147
	v_cndmask_b32_e64 v146, v227, v164, s6
	v_add_co_ci_u32_e64 v85, null, 0, v7, vcc_lo
	v_add_co_u32 v86, vcc_lo, v6, v86
	v_lshlrev_b32_sdwa v100, v50, v144 dst_sel:DWORD dst_unused:UNUSED_PAD src0_sel:DWORD src1_sel:WORD_0
	v_cndmask_b32_e64 v147, v228, v165, s7
	v_add_co_ci_u32_e64 v87, null, 0, v7, vcc_lo
	v_add_co_u32 v96, vcc_lo, v6, v96
	v_lshlrev_b32_sdwa v102, v50, v145 dst_sel:DWORD dst_unused:UNUSED_PAD src0_sel:DWORD src1_sel:WORD_0
	;; [unrolled: 4-line block ×7, first 2 shown]
	v_add_co_ci_u32_e64 v115, null, 0, v7, vcc_lo
	v_add_co_u32 v116, vcc_lo, v6, v116
	v_lshlrev_b32_sdwa v130, v50, v165 dst_sel:DWORD dst_unused:UNUSED_PAD src0_sel:DWORD src1_sel:WORD_0
	v_add_co_ci_u32_e64 v117, null, 0, v7, vcc_lo
	v_add_co_u32 v118, vcc_lo, v6, v118
	v_lshlrev_b32_sdwa v132, v50, v166 dst_sel:DWORD dst_unused:UNUSED_PAD src0_sel:DWORD src1_sel:WORD_0
	v_add_co_ci_u32_e64 v119, null, 0, v7, vcc_lo
	v_add_co_u32 v128, vcc_lo, v6, v128
	v_add_co_ci_u32_e64 v129, null, 0, v7, vcc_lo
	v_add_co_u32 v130, vcc_lo, v6, v130
	v_add_co_ci_u32_e64 v131, null, 0, v7, vcc_lo
	v_add_co_u32 v132, vcc_lo, v6, v132
	v_add_co_ci_u32_e64 v133, null, 0, v7, vcc_lo
	s_clause 0x11
	flat_load_ushort v100, v[100:101]
	flat_load_ushort v101, v[66:67]
	flat_load_ushort v102, v[102:103]
	flat_load_ushort v103, v[68:69]
	flat_load_ushort v112, v[112:113]
	flat_load_ushort v113, v[70:71]
	flat_load_ushort v114, v[114:115]
	flat_load_ushort v115, v[80:81]
	flat_load_ushort v116, v[116:117]
	flat_load_ushort v117, v[82:83]
	flat_load_ushort v118, v[118:119]
	flat_load_ushort v119, v[84:85]
	flat_load_ushort v128, v[128:129]
	flat_load_ushort v86, v[86:87]
	flat_load_ushort v87, v[130:131]
	flat_load_ushort v96, v[96:97]
	flat_load_ushort v97, v[132:133]
	flat_load_ushort v98, v[98:99]
	v_cndmask_b32_e64 v64, v178, v241, s16
	s_waitcnt vmcnt(26) lgkmcnt(26)
	v_cmp_lt_u16_e64 s5, v179, v181
	s_waitcnt vmcnt(24) lgkmcnt(24)
	v_cmp_lt_u16_e64 s6, v182, v194
	v_cndmask_b32_e64 v52, v52, v54, s4
	v_lshlrev_b32_sdwa v66, v50, v64 dst_sel:DWORD dst_unused:UNUSED_PAD src0_sel:DWORD src1_sel:WORD_0
	v_cndmask_b32_e64 v167, v192, v183, s6
	v_cndmask_b32_e64 v179, v183, v192, s6
	v_add_co_u32 v66, vcc_lo, v6, v66
	v_add_co_ci_u32_e64 v67, null, 0, v7, vcc_lo
	v_cmp_lt_u16_e32 vcc_lo, v161, v162
	v_cndmask_b32_e64 v162, v149, v180, s5
	v_cndmask_b32_e64 v149, v180, v149, s5
	s_waitcnt vmcnt(20) lgkmcnt(20)
	v_cmp_lt_u16_e64 s5, v198, v199
	v_lshlrev_b32_sdwa v82, v50, v179 dst_sel:DWORD dst_unused:UNUSED_PAD src0_sel:DWORD src1_sel:WORD_0
	v_cndmask_b32_e32 v176, v65, v55, vcc_lo
	v_cndmask_b32_e32 v161, v55, v65, vcc_lo
	v_lshlrev_b32_sdwa v70, v50, v149 dst_sel:DWORD dst_unused:UNUSED_PAD src0_sel:DWORD src1_sel:WORD_0
	v_cmp_lt_u16_e32 vcc_lo, v196, v197
	v_cndmask_b32_e64 v178, v150, v160, s5
	v_lshlrev_b32_sdwa v55, v50, v176 dst_sel:DWORD dst_unused:UNUSED_PAD src0_sel:DWORD src1_sel:WORD_0
	v_lshlrev_b32_sdwa v65, v50, v161 dst_sel:DWORD dst_unused:UNUSED_PAD src0_sel:DWORD src1_sel:WORD_0
	v_cndmask_b32_e64 v150, v160, v150, s5
	v_cndmask_b32_e32 v177, v151, v193, vcc_lo
	v_cndmask_b32_e32 v151, v193, v151, vcc_lo
	v_add_co_u32 v68, s6, v6, v55
	v_add_co_ci_u32_e64 v69, null, 0, v7, s6
	v_add_co_u32 v70, s6, v6, v70
	v_add_co_ci_u32_e64 v71, null, 0, v7, s6
	;; [unrolled: 2-line block ×3, first 2 shown]
	v_lshlrev_b32_sdwa v55, v50, v162 dst_sel:DWORD dst_unused:UNUSED_PAD src0_sel:DWORD src1_sel:WORD_0
	s_clause 0x3
	flat_load_ushort v180, v[68:69]
	flat_load_ushort v181, v[66:67]
	;; [unrolled: 1-line block ×4, first 2 shown]
	v_lshlrev_b32_sdwa v67, v50, v177 dst_sel:DWORD dst_unused:UNUSED_PAD src0_sel:DWORD src1_sel:WORD_0
	v_lshlrev_b32_sdwa v69, v50, v167 dst_sel:DWORD dst_unused:UNUSED_PAD src0_sel:DWORD src1_sel:WORD_0
	;; [unrolled: 1-line block ×3, first 2 shown]
	v_add_co_u32 v65, vcc_lo, v6, v55
	v_add_co_ci_u32_e64 v66, null, 0, v7, vcc_lo
	v_add_co_u32 v67, vcc_lo, v6, v67
	v_add_co_ci_u32_e64 v68, null, 0, v7, vcc_lo
	;; [unrolled: 2-line block ×4, first 2 shown]
	v_lshlrev_b32_sdwa v55, v50, v151 dst_sel:DWORD dst_unused:UNUSED_PAD src0_sel:DWORD src1_sel:WORD_0
	v_add_co_u32 v82, vcc_lo, v6, v82
	v_add_co_ci_u32_e64 v83, null, 0, v7, vcc_lo
	v_add_co_u32 v84, vcc_lo, v6, v55
	v_add_co_ci_u32_e64 v85, null, 0, v7, vcc_lo
	s_clause 0x5
	flat_load_ushort v183, v[82:83]
	flat_load_ushort v192, v[65:66]
	;; [unrolled: 1-line block ×6, first 2 shown]
	s_waitcnt vmcnt(28) lgkmcnt(28)
	v_cmp_lt_u16_e32 vcc_lo, v208, v209
	v_lshlrev_b32_sdwa v65, v50, v150 dst_sel:DWORD dst_unused:UNUSED_PAD src0_sel:DWORD src1_sel:WORD_0
	v_lshlrev_b32_sdwa v67, v50, v52 dst_sel:DWORD dst_unused:UNUSED_PAD src0_sel:DWORD src1_sel:WORD_0
	v_cndmask_b32_e32 v197, v53, v51, vcc_lo
	v_cndmask_b32_e32 v53, v51, v53, vcc_lo
	v_lshlrev_b32_sdwa v54, v50, v197 dst_sel:DWORD dst_unused:UNUSED_PAD src0_sel:DWORD src1_sel:WORD_0
	v_lshlrev_b32_sdwa v51, v50, v53 dst_sel:DWORD dst_unused:UNUSED_PAD src0_sel:DWORD src1_sel:WORD_0
	v_add_co_u32 v54, s4, v6, v54
	v_add_co_ci_u32_e64 v55, null, 0, v7, s4
	v_add_co_u32 v65, s4, v6, v65
	v_add_co_ci_u32_e64 v66, null, 0, v7, s4
	s_clause 0x1
	flat_load_ushort v54, v[54:55]
	flat_load_ushort v160, v[65:66]
	v_add_co_u32 v67, s4, v6, v67
	v_add_co_ci_u32_e64 v68, null, 0, v7, s4
	s_waitcnt vmcnt(28) lgkmcnt(28)
	v_cmp_lt_u16_e64 s4, v100, v101
	s_waitcnt vmcnt(26) lgkmcnt(26)
	v_cmp_lt_u16_e64 s5, v102, v103
	;; [unrolled: 2-line block ×3, first 2 shown]
	v_cndmask_b32_e64 v198, v144, v210, s4
	s_waitcnt vmcnt(22) lgkmcnt(22)
	v_cmp_lt_u16_e64 s7, v114, v115
	v_cndmask_b32_e64 v199, v145, v211, s5
	s_waitcnt vmcnt(20) lgkmcnt(20)
	v_cmp_lt_u16_e64 s10, v116, v117
	;; [unrolled: 3-line block ×3, first 2 shown]
	v_lshlrev_b32_sdwa v66, v50, v198 dst_sel:DWORD dst_unused:UNUSED_PAD src0_sel:DWORD src1_sel:WORD_0
	v_cndmask_b32_e64 v209, v147, v213, s7
	s_waitcnt vmcnt(16) lgkmcnt(16)
	v_cmp_lt_u16_e64 s14, v128, v86
	v_lshlrev_b32_sdwa v80, v50, v199 dst_sel:DWORD dst_unused:UNUSED_PAD src0_sel:DWORD src1_sel:WORD_0
	v_cndmask_b32_e64 v224, v148, v214, s10
	s_waitcnt vmcnt(14) lgkmcnt(14)
	v_cmp_lt_u16_e64 s15, v87, v96
	v_lshlrev_b32_sdwa v82, v50, v208 dst_sel:DWORD dst_unused:UNUSED_PAD src0_sel:DWORD src1_sel:WORD_0
	v_cndmask_b32_e64 v226, v163, v215, s11
	v_cndmask_b32_e64 v55, v210, v144, s4
	v_add_co_u32 v69, s4, v6, v66
	v_lshlrev_b32_sdwa v84, v50, v209 dst_sel:DWORD dst_unused:UNUSED_PAD src0_sel:DWORD src1_sel:WORD_0
	v_cndmask_b32_e64 v227, v164, v225, s14
	v_add_co_ci_u32_e64 v70, null, 0, v7, s4
	v_add_co_u32 v80, s4, v6, v80
	v_lshlrev_b32_sdwa v86, v50, v224 dst_sel:DWORD dst_unused:UNUSED_PAD src0_sel:DWORD src1_sel:WORD_0
	v_cndmask_b32_e64 v228, v165, v134, s15
	v_add_co_ci_u32_e64 v81, null, 0, v7, s4
	v_add_co_u32 v82, s4, v6, v82
	v_lshlrev_b32_sdwa v96, v50, v226 dst_sel:DWORD dst_unused:UNUSED_PAD src0_sel:DWORD src1_sel:WORD_0
	v_add_co_ci_u32_e64 v83, null, 0, v7, s4
	v_add_co_u32 v84, s4, v6, v84
	s_waitcnt vmcnt(12) lgkmcnt(12)
	v_cmp_lt_u16_e64 s16, v97, v98
	v_lshlrev_b32_sdwa v98, v50, v227 dst_sel:DWORD dst_unused:UNUSED_PAD src0_sel:DWORD src1_sel:WORD_0
	v_cndmask_b32_e64 v144, v211, v145, s5
	v_add_co_ci_u32_e64 v85, null, 0, v7, s4
	v_add_co_u32 v86, s4, v6, v86
	v_lshlrev_b32_sdwa v100, v50, v228 dst_sel:DWORD dst_unused:UNUSED_PAD src0_sel:DWORD src1_sel:WORD_0
	v_cndmask_b32_e64 v145, v212, v146, s6
	v_add_co_ci_u32_e64 v87, null, 0, v7, s4
	v_add_co_u32 v96, s4, v6, v96
	;; [unrolled: 4-line block ×8, first 2 shown]
	v_lshlrev_b32_sdwa v130, v50, v163 dst_sel:DWORD dst_unused:UNUSED_PAD src0_sel:DWORD src1_sel:WORD_0
	v_add_co_ci_u32_e64 v117, null, 0, v7, s4
	v_add_co_u32 v118, s4, v6, v118
	v_lshlrev_b32_sdwa v132, v50, v164 dst_sel:DWORD dst_unused:UNUSED_PAD src0_sel:DWORD src1_sel:WORD_0
	v_add_co_ci_u32_e64 v119, null, 0, v7, s4
	v_add_co_u32 v128, s4, v6, v128
	;; [unrolled: 3-line block ×3, first 2 shown]
	v_add_co_ci_u32_e64 v131, null, 0, v7, s4
	v_add_co_u32 v132, s4, v6, v132
	v_add_co_ci_u32_e64 v133, null, 0, v7, s4
	v_add_co_u32 v134, s4, v6, v134
	v_cndmask_b32_e64 v65, v166, v135, s16
	v_add_co_ci_u32_e64 v135, null, 0, v7, s4
	s_clause 0x11
	flat_load_ushort v102, v[102:103]
	flat_load_ushort v103, v[67:68]
	;; [unrolled: 1-line block ×18, first 2 shown]
	s_waitcnt vmcnt(28) lgkmcnt(28)
	v_cmp_lt_u16_e64 s4, v180, v181
	s_waitcnt vmcnt(26) lgkmcnt(26)
	v_cmp_lt_u16_e64 s5, v71, v182
	v_lshlrev_b32_sdwa v66, v50, v65 dst_sel:DWORD dst_unused:UNUSED_PAD src0_sel:DWORD src1_sel:WORD_0
	s_waitcnt vmcnt(20) lgkmcnt(20)
	v_cmp_lt_u16_e64 s6, v195, v196
	v_cndmask_b32_e64 v130, v176, v64, s4
	v_cndmask_b32_e64 v132, v64, v176, s4
	;; [unrolled: 1-line block ×3, first 2 shown]
	v_add_co_u32 v66, s4, v6, v66
	v_lshlrev_b32_sdwa v64, v50, v130 dst_sel:DWORD dst_unused:UNUSED_PAD src0_sel:DWORD src1_sel:WORD_0
	v_lshlrev_b32_sdwa v70, v50, v132 dst_sel:DWORD dst_unused:UNUSED_PAD src0_sel:DWORD src1_sel:WORD_0
	;; [unrolled: 1-line block ×3, first 2 shown]
	v_add_co_ci_u32_e64 v67, null, 0, v7, s4
	v_add_co_u32 v68, s4, v6, v64
	v_add_co_ci_u32_e64 v69, null, 0, v7, s4
	v_add_co_u32 v70, s4, v6, v70
	v_cndmask_b32_e64 v131, v149, v161, s5
	v_add_co_ci_u32_e64 v71, null, 0, v7, s4
	v_add_co_u32 v80, s4, v6, v80
	v_cmp_lt_u16_e64 s5, v193, v194
	v_add_co_ci_u32_e64 v81, null, 0, v7, s4
	v_cmp_lt_u16_e64 s4, v183, v192
	s_clause 0x3
	flat_load_ushort v134, v[70:71]
	flat_load_ushort v135, v[66:67]
	;; [unrolled: 1-line block ×4, first 2 shown]
	v_cndmask_b32_e64 v176, v167, v177, s5
	v_lshlrev_b32_sdwa v64, v50, v131 dst_sel:DWORD dst_unused:UNUSED_PAD src0_sel:DWORD src1_sel:WORD_0
	v_cndmask_b32_e64 v180, v151, v178, s6
	v_cndmask_b32_e64 v166, v179, v162, s4
	;; [unrolled: 1-line block ×3, first 2 shown]
	v_lshlrev_b32_sdwa v68, v50, v176 dst_sel:DWORD dst_unused:UNUSED_PAD src0_sel:DWORD src1_sel:WORD_0
	v_add_co_u32 v66, s4, v6, v64
	v_lshlrev_b32_sdwa v70, v50, v166 dst_sel:DWORD dst_unused:UNUSED_PAD src0_sel:DWORD src1_sel:WORD_0
	v_cndmask_b32_e64 v167, v177, v167, s5
	v_lshlrev_b32_sdwa v80, v50, v180 dst_sel:DWORD dst_unused:UNUSED_PAD src0_sel:DWORD src1_sel:WORD_0
	v_add_co_ci_u32_e64 v67, null, 0, v7, s4
	v_add_co_u32 v68, s4, v6, v68
	v_lshlrev_b32_sdwa v82, v50, v162 dst_sel:DWORD dst_unused:UNUSED_PAD src0_sel:DWORD src1_sel:WORD_0
	v_add_co_ci_u32_e64 v69, null, 0, v7, s4
	v_add_co_u32 v70, s4, v6, v70
	v_add_co_ci_u32_e64 v71, null, 0, v7, s4
	v_add_co_u32 v80, s4, v6, v80
	v_lshlrev_b32_sdwa v64, v50, v167 dst_sel:DWORD dst_unused:UNUSED_PAD src0_sel:DWORD src1_sel:WORD_0
	v_add_co_ci_u32_e64 v81, null, 0, v7, s4
	v_add_co_u32 v82, s4, v6, v82
	v_add_co_ci_u32_e64 v83, null, 0, v7, s4
	s_clause 0x1
	flat_load_ushort v177, v[68:69]
	flat_load_ushort v179, v[70:71]
	v_add_co_u32 v68, s4, v6, v64
	v_add_co_ci_u32_e64 v69, null, 0, v7, s4
	s_clause 0x3
	flat_load_ushort v181, v[82:83]
	flat_load_ushort v182, v[66:67]
	flat_load_ushort v183, v[80:81]
	flat_load_ushort v192, v[68:69]
	s_waitcnt vmcnt(28) lgkmcnt(28)
	v_cmp_lt_u16_e64 s4, v54, v160
	v_cndmask_b32_e64 v151, v178, v151, s6
	v_cndmask_b32_e64 v160, v150, v197, s4
	v_lshlrev_b32_sdwa v64, v50, v151 dst_sel:DWORD dst_unused:UNUSED_PAD src0_sel:DWORD src1_sel:WORD_0
	v_lshlrev_b32_sdwa v54, v50, v160 dst_sel:DWORD dst_unused:UNUSED_PAD src0_sel:DWORD src1_sel:WORD_0
	v_add_co_u32 v66, s5, v6, v54
	v_add_co_ci_u32_e64 v67, null, 0, v7, s5
	v_add_co_u32 v68, s5, v6, v64
	v_add_co_ci_u32_e64 v69, null, 0, v7, s5
	s_clause 0x1
	flat_load_ushort v178, v[66:67]
	flat_load_ushort v193, v[68:69]
	v_cndmask_b32_e64 v54, v197, v150, s4
	v_add_co_u32 v66, vcc_lo, v6, v51
	v_add_co_ci_u32_e64 v67, null, 0, v7, vcc_lo
	v_lshlrev_b32_sdwa v64, v50, v54 dst_sel:DWORD dst_unused:UNUSED_PAD src0_sel:DWORD src1_sel:WORD_0
	v_add_co_u32 v68, vcc_lo, v6, v64
	v_add_co_ci_u32_e64 v69, null, 0, v7, vcc_lo
	s_clause 0x1
	flat_load_ushort v51, v[66:67]
	flat_load_ushort v150, v[68:69]
	s_waitcnt vmcnt(30) lgkmcnt(30)
	v_cmp_lt_u16_e64 s4, v102, v103
	s_waitcnt vmcnt(28) lgkmcnt(28)
	v_cmp_lt_u16_e32 vcc_lo, v112, v113
	s_waitcnt vmcnt(26) lgkmcnt(26)
	v_cmp_lt_u16_e64 s5, v114, v115
	v_cndmask_b32_e64 v194, v55, v52, s4
	s_waitcnt vmcnt(24) lgkmcnt(24)
	v_cmp_lt_u16_e64 s6, v116, v117
	v_cndmask_b32_e32 v195, v144, v198, vcc_lo
	s_waitcnt vmcnt(22) lgkmcnt(22)
	v_cmp_lt_u16_e64 s7, v118, v84
	v_cndmask_b32_e64 v196, v145, v199, s5
	s_waitcnt vmcnt(20) lgkmcnt(20)
	v_cmp_lt_u16_e64 s10, v85, v86
	v_lshlrev_b32_sdwa v66, v50, v194 dst_sel:DWORD dst_unused:UNUSED_PAD src0_sel:DWORD src1_sel:WORD_0
	v_cndmask_b32_e64 v197, v146, v208, s6
	s_waitcnt vmcnt(18) lgkmcnt(18)
	v_cmp_lt_u16_e64 s11, v87, v96
	v_lshlrev_b32_sdwa v68, v50, v195 dst_sel:DWORD dst_unused:UNUSED_PAD src0_sel:DWORD src1_sel:WORD_0
	;; [unrolled: 4-line block ×3, first 2 shown]
	v_cndmask_b32_e64 v211, v148, v224, s10
	v_cndmask_b32_e32 v144, v198, v144, vcc_lo
	v_add_co_u32 v66, vcc_lo, v6, v66
	v_lshlrev_b32_sdwa v80, v50, v197 dst_sel:DWORD dst_unused:UNUSED_PAD src0_sel:DWORD src1_sel:WORD_0
	v_cndmask_b32_e64 v212, v163, v226, s11
	v_add_co_ci_u32_e64 v67, null, 0, v7, vcc_lo
	v_add_co_u32 v68, vcc_lo, v6, v68
	v_lshlrev_b32_sdwa v82, v50, v210 dst_sel:DWORD dst_unused:UNUSED_PAD src0_sel:DWORD src1_sel:WORD_0
	v_cndmask_b32_e64 v213, v164, v227, s14
	v_add_co_ci_u32_e64 v69, null, 0, v7, vcc_lo
	v_add_co_u32 v70, vcc_lo, v6, v70
	v_lshlrev_b32_sdwa v84, v50, v211 dst_sel:DWORD dst_unused:UNUSED_PAD src0_sel:DWORD src1_sel:WORD_0
	v_add_co_ci_u32_e64 v71, null, 0, v7, vcc_lo
	v_add_co_u32 v80, vcc_lo, v6, v80
	v_lshlrev_b32_sdwa v86, v50, v212 dst_sel:DWORD dst_unused:UNUSED_PAD src0_sel:DWORD src1_sel:WORD_0
	v_cndmask_b32_e64 v145, v199, v145, s5
	v_add_co_ci_u32_e64 v81, null, 0, v7, vcc_lo
	v_add_co_u32 v82, vcc_lo, v6, v82
	v_lshlrev_b32_sdwa v96, v50, v213 dst_sel:DWORD dst_unused:UNUSED_PAD src0_sel:DWORD src1_sel:WORD_0
	v_cndmask_b32_e64 v146, v208, v146, s6
	;; [unrolled: 4-line block ×3, first 2 shown]
	v_add_co_ci_u32_e64 v85, null, 0, v7, vcc_lo
	v_add_co_u32 v86, vcc_lo, v6, v86
	s_waitcnt vmcnt(14) lgkmcnt(14)
	v_cmp_lt_u16_e64 s15, v99, v100
	v_lshlrev_b32_sdwa v100, v50, v145 dst_sel:DWORD dst_unused:UNUSED_PAD src0_sel:DWORD src1_sel:WORD_0
	v_cndmask_b32_e64 v148, v224, v148, s10
	v_add_co_ci_u32_e64 v87, null, 0, v7, vcc_lo
	v_add_co_u32 v96, vcc_lo, v6, v96
	v_lshlrev_b32_sdwa v102, v50, v146 dst_sel:DWORD dst_unused:UNUSED_PAD src0_sel:DWORD src1_sel:WORD_0
	v_cndmask_b32_e64 v163, v226, v163, s11
	v_add_co_ci_u32_e64 v97, null, 0, v7, vcc_lo
	v_add_co_u32 v98, vcc_lo, v6, v98
	;; [unrolled: 4-line block ×3, first 2 shown]
	v_lshlrev_b32_sdwa v114, v50, v148 dst_sel:DWORD dst_unused:UNUSED_PAD src0_sel:DWORD src1_sel:WORD_0
	v_cndmask_b32_e64 v64, v165, v228, s15
	v_cndmask_b32_e64 v165, v228, v165, s15
	v_add_co_ci_u32_e64 v101, null, 0, v7, vcc_lo
	v_add_co_u32 v102, vcc_lo, v6, v102
	v_lshlrev_b32_sdwa v116, v50, v163 dst_sel:DWORD dst_unused:UNUSED_PAD src0_sel:DWORD src1_sel:WORD_0
	v_add_co_ci_u32_e64 v103, null, 0, v7, vcc_lo
	v_add_co_u32 v112, vcc_lo, v6, v112
	v_lshlrev_b32_sdwa v118, v50, v164 dst_sel:DWORD dst_unused:UNUSED_PAD src0_sel:DWORD src1_sel:WORD_0
	;; [unrolled: 3-line block ×3, first 2 shown]
	v_add_co_ci_u32_e64 v115, null, 0, v7, vcc_lo
	v_add_co_u32 v116, vcc_lo, v6, v116
	v_add_co_ci_u32_e64 v117, null, 0, v7, vcc_lo
	v_add_co_u32 v118, vcc_lo, v6, v118
	;; [unrolled: 2-line block ×3, first 2 shown]
	v_add_co_ci_u32_e64 v129, null, 0, v7, vcc_lo
	s_waitcnt vmcnt(12) lgkmcnt(12)
	v_cmp_lt_u16_e32 vcc_lo, v134, v135
	s_waitcnt vmcnt(10) lgkmcnt(10)
	v_cmp_lt_u16_e64 s5, v149, v161
	s_clause 0xf
	flat_load_ushort v98, v[98:99]
	flat_load_ushort v99, v[66:67]
	;; [unrolled: 1-line block ×16, first 2 shown]
	v_cndmask_b32_e32 v134, v132, v65, vcc_lo
	v_cndmask_b32_e32 v132, v65, v132, vcc_lo
	v_cndmask_b32_e64 v135, v133, v130, s5
	v_cndmask_b32_e64 v133, v130, v133, s5
	v_lshlrev_b32_sdwa v65, v50, v64 dst_sel:DWORD dst_unused:UNUSED_PAD src0_sel:DWORD src1_sel:WORD_0
	v_lshlrev_b32_sdwa v80, v50, v134 dst_sel:DWORD dst_unused:UNUSED_PAD src0_sel:DWORD src1_sel:WORD_0
	;; [unrolled: 1-line block ×3, first 2 shown]
	s_waitcnt vmcnt(22) lgkmcnt(22)
	v_cmp_lt_u16_e64 s5, v181, v182
	v_lshlrev_b32_sdwa v69, v50, v133 dst_sel:DWORD dst_unused:UNUSED_PAD src0_sel:DWORD src1_sel:WORD_0
	v_add_co_u32 v65, vcc_lo, v6, v65
	v_add_co_ci_u32_e64 v66, null, 0, v7, vcc_lo
	v_add_co_u32 v67, vcc_lo, v6, v67
	v_add_co_ci_u32_e64 v68, null, 0, v7, vcc_lo
	;; [unrolled: 2-line block ×4, first 2 shown]
	v_cmp_lt_u16_e32 vcc_lo, v177, v179
	v_cndmask_b32_e64 v161, v162, v131, s5
	s_clause 0x3
	flat_load_ushort v116, v[67:68]
	flat_load_ushort v117, v[65:66]
	flat_load_ushort v118, v[69:70]
	flat_load_ushort v119, v[80:81]
	v_lshlrev_b32_sdwa v65, v50, v135 dst_sel:DWORD dst_unused:UNUSED_PAD src0_sel:DWORD src1_sel:WORD_0
	v_cndmask_b32_e64 v162, v131, v162, s5
	v_cndmask_b32_e32 v149, v176, v166, vcc_lo
	v_cndmask_b32_e32 v166, v166, v176, vcc_lo
	s_waitcnt vmcnt(24) lgkmcnt(24)
	v_cmp_lt_u16_e32 vcc_lo, v183, v192
	v_lshlrev_b32_sdwa v69, v50, v161 dst_sel:DWORD dst_unused:UNUSED_PAD src0_sel:DWORD src1_sel:WORD_0
	v_add_co_u32 v65, s5, v6, v65
	v_lshlrev_b32_sdwa v67, v50, v166 dst_sel:DWORD dst_unused:UNUSED_PAD src0_sel:DWORD src1_sel:WORD_0
	v_lshlrev_b32_sdwa v80, v50, v162 dst_sel:DWORD dst_unused:UNUSED_PAD src0_sel:DWORD src1_sel:WORD_0
	v_add_co_ci_u32_e64 v66, null, 0, v7, s5
	v_cndmask_b32_e32 v176, v167, v180, vcc_lo
	v_add_co_u32 v67, s5, v6, v67
	v_add_co_ci_u32_e64 v68, null, 0, v7, s5
	v_add_co_u32 v69, s5, v6, v69
	v_add_co_ci_u32_e64 v70, null, 0, v7, s5
	v_add_co_u32 v80, s5, v6, v80
	v_lshlrev_b32_sdwa v82, v50, v176 dst_sel:DWORD dst_unused:UNUSED_PAD src0_sel:DWORD src1_sel:WORD_0
	v_add_co_ci_u32_e64 v81, null, 0, v7, s5
	v_lshlrev_b32_sdwa v97, v50, v149 dst_sel:DWORD dst_unused:UNUSED_PAD src0_sel:DWORD src1_sel:WORD_0
	s_clause 0x3
	flat_load_ushort v177, v[80:81]
	flat_load_ushort v179, v[65:66]
	;; [unrolled: 1-line block ×4, first 2 shown]
	v_add_co_u32 v82, s5, v6, v82
	v_add_co_ci_u32_e64 v83, null, 0, v7, s5
	v_add_co_u32 v65, s5, v6, v97
	v_add_co_ci_u32_e64 v66, null, 0, v7, s5
	s_waitcnt vmcnt(26) lgkmcnt(26)
	v_cmp_lt_u16_e64 s5, v178, v193
	s_clause 0x1
	flat_load_ushort v183, v[82:83]
	flat_load_ushort v192, v[65:66]
	v_cndmask_b32_e32 v167, v180, v167, vcc_lo
	v_cndmask_b32_e64 v178, v151, v160, s5
	v_cndmask_b32_e64 v151, v160, v151, s5
	v_lshlrev_b32_sdwa v67, v50, v167 dst_sel:DWORD dst_unused:UNUSED_PAD src0_sel:DWORD src1_sel:WORD_0
	v_lshlrev_b32_sdwa v65, v50, v178 dst_sel:DWORD dst_unused:UNUSED_PAD src0_sel:DWORD src1_sel:WORD_0
	v_add_co_u32 v65, vcc_lo, v6, v65
	v_add_co_ci_u32_e64 v66, null, 0, v7, vcc_lo
	v_add_co_u32 v67, vcc_lo, v6, v67
	v_add_co_ci_u32_e64 v68, null, 0, v7, vcc_lo
	s_waitcnt vmcnt(26) lgkmcnt(26)
	v_cmp_lt_u16_e32 vcc_lo, v51, v150
	s_clause 0x1
	flat_load_ushort v180, v[65:66]
	flat_load_ushort v193, v[67:68]
	v_lshlrev_b32_sdwa v67, v50, v151 dst_sel:DWORD dst_unused:UNUSED_PAD src0_sel:DWORD src1_sel:WORD_0
	v_cndmask_b32_e32 v150, v54, v53, vcc_lo
	v_lshlrev_b32_sdwa v51, v50, v150 dst_sel:DWORD dst_unused:UNUSED_PAD src0_sel:DWORD src1_sel:WORD_0
	v_add_co_u32 v65, s5, v6, v51
	v_add_co_ci_u32_e64 v66, null, 0, v7, s5
	v_add_co_u32 v67, s5, v6, v67
	v_add_co_ci_u32_e64 v68, null, 0, v7, s5
	s_clause 0x1
	flat_load_ushort v160, v[65:66]
	flat_load_ushort v198, v[67:68]
	v_cndmask_b32_e64 v51, v52, v55, s4
	v_lshlrev_b32_sdwa v52, v50, v51 dst_sel:DWORD dst_unused:UNUSED_PAD src0_sel:DWORD src1_sel:WORD_0
	v_add_co_u32 v66, s4, v6, v52
	v_add_co_ci_u32_e64 v67, null, 0, v7, s4
	s_waitcnt vmcnt(28) lgkmcnt(28)
	v_cmp_lt_u16_e64 s4, v98, v99
	s_waitcnt vmcnt(26) lgkmcnt(26)
	v_cmp_lt_u16_e64 s5, v100, v101
	;; [unrolled: 2-line block ×3, first 2 shown]
	v_cndmask_b32_e64 v199, v144, v194, s4
	s_waitcnt vmcnt(22) lgkmcnt(22)
	v_cmp_lt_u16_e64 s7, v103, v112
	v_cndmask_b32_e64 v208, v145, v195, s5
	s_waitcnt vmcnt(20) lgkmcnt(20)
	v_cmp_lt_u16_e64 s10, v113, v114
	;; [unrolled: 3-line block ×3, first 2 shown]
	v_lshlrev_b32_sdwa v52, v50, v199 dst_sel:DWORD dst_unused:UNUSED_PAD src0_sel:DWORD src1_sel:WORD_0
	v_cndmask_b32_e64 v214, v147, v197, s7
	s_waitcnt vmcnt(16) lgkmcnt(16)
	v_cmp_lt_u16_e64 s14, v85, v86
	v_lshlrev_b32_sdwa v70, v50, v208 dst_sel:DWORD dst_unused:UNUSED_PAD src0_sel:DWORD src1_sel:WORD_0
	v_cndmask_b32_e64 v215, v148, v210, s10
	v_cndmask_b32_e64 v55, v194, v144, s4
	s_waitcnt vmcnt(14) lgkmcnt(14)
	v_cmp_lt_u16_e64 s15, v87, v96
	v_lshlrev_b32_sdwa v80, v50, v209 dst_sel:DWORD dst_unused:UNUSED_PAD src0_sel:DWORD src1_sel:WORD_0
	v_cndmask_b32_e64 v224, v163, v211, s11
	v_cndmask_b32_e64 v144, v195, v145, s5
	v_add_co_u32 v68, s4, v6, v52
	v_lshlrev_b32_sdwa v82, v50, v214 dst_sel:DWORD dst_unused:UNUSED_PAD src0_sel:DWORD src1_sel:WORD_0
	v_cndmask_b32_e64 v225, v164, v212, s14
	v_cndmask_b32_e64 v145, v196, v146, s6
	v_add_co_ci_u32_e64 v69, null, 0, v7, s4
	v_add_co_u32 v70, s4, v6, v70
	v_lshlrev_b32_sdwa v84, v50, v215 dst_sel:DWORD dst_unused:UNUSED_PAD src0_sel:DWORD src1_sel:WORD_0
	v_lshlrev_b32_sdwa v100, v50, v55 dst_sel:DWORD dst_unused:UNUSED_PAD src0_sel:DWORD src1_sel:WORD_0
	v_cndmask_b32_e64 v65, v165, v213, s15
	v_cndmask_b32_e64 v146, v197, v147, s7
	v_add_co_ci_u32_e64 v71, null, 0, v7, s4
	v_add_co_u32 v80, s4, v6, v80
	v_lshlrev_b32_sdwa v86, v50, v224 dst_sel:DWORD dst_unused:UNUSED_PAD src0_sel:DWORD src1_sel:WORD_0
	v_lshlrev_b32_sdwa v102, v50, v144 dst_sel:DWORD dst_unused:UNUSED_PAD src0_sel:DWORD src1_sel:WORD_0
	v_cndmask_b32_e64 v147, v210, v148, s10
	v_add_co_ci_u32_e64 v81, null, 0, v7, s4
	v_add_co_u32 v82, s4, v6, v82
	v_lshlrev_b32_sdwa v96, v50, v225 dst_sel:DWORD dst_unused:UNUSED_PAD src0_sel:DWORD src1_sel:WORD_0
	v_lshlrev_b32_sdwa v52, v50, v145 dst_sel:DWORD dst_unused:UNUSED_PAD src0_sel:DWORD src1_sel:WORD_0
	v_cndmask_b32_e64 v148, v211, v163, s11
	v_add_co_ci_u32_e64 v83, null, 0, v7, s4
	v_add_co_u32 v84, s4, v6, v84
	v_add_co_u32 v100, s6, v6, v100
	v_lshlrev_b32_sdwa v98, v50, v65 dst_sel:DWORD dst_unused:UNUSED_PAD src0_sel:DWORD src1_sel:WORD_0
	v_lshlrev_b32_sdwa v114, v50, v146 dst_sel:DWORD dst_unused:UNUSED_PAD src0_sel:DWORD src1_sel:WORD_0
	v_cndmask_b32_e64 v163, v212, v164, s14
	v_add_co_ci_u32_e64 v85, null, 0, v7, s4
	v_add_co_u32 v86, s4, v6, v86
	v_add_co_ci_u32_e64 v101, null, 0, v7, s6
	v_add_co_u32 v102, s6, v6, v102
	v_lshlrev_b32_sdwa v128, v50, v147 dst_sel:DWORD dst_unused:UNUSED_PAD src0_sel:DWORD src1_sel:WORD_0
	v_cndmask_b32_e64 v164, v213, v165, s15
	v_add_co_ci_u32_e64 v87, null, 0, v7, s4
	v_add_co_u32 v96, s4, v6, v96
	v_add_co_ci_u32_e64 v103, null, 0, v7, s6
	v_add_co_u32 v112, s6, v6, v52
	v_lshlrev_b32_sdwa v129, v50, v148 dst_sel:DWORD dst_unused:UNUSED_PAD src0_sel:DWORD src1_sel:WORD_0
	v_add_co_ci_u32_e64 v97, null, 0, v7, s4
	v_add_co_u32 v98, s4, v6, v98
	v_add_co_ci_u32_e64 v113, null, 0, v7, s6
	v_add_co_u32 v114, s6, v6, v114
	v_lshlrev_b32_sdwa v130, v50, v163 dst_sel:DWORD dst_unused:UNUSED_PAD src0_sel:DWORD src1_sel:WORD_0
	v_add_co_ci_u32_e64 v99, null, 0, v7, s4
	s_waitcnt vmcnt(12) lgkmcnt(12)
	v_cmp_lt_u16_e64 s4, v116, v117
	v_add_co_ci_u32_e64 v115, null, 0, v7, s6
	v_add_co_u32 v116, s6, v6, v128
	v_lshlrev_b32_sdwa v131, v50, v164 dst_sel:DWORD dst_unused:UNUSED_PAD src0_sel:DWORD src1_sel:WORD_0
	s_waitcnt vmcnt(10) lgkmcnt(10)
	v_cmp_lt_u16_e64 s5, v118, v119
	v_add_co_ci_u32_e64 v117, null, 0, v7, s6
	v_add_co_u32 v118, s6, v6, v129
	v_add_co_ci_u32_e64 v119, null, 0, v7, s6
	v_add_co_u32 v128, s6, v6, v130
	;; [unrolled: 2-line block ×3, first 2 shown]
	v_add_co_ci_u32_e64 v131, null, 0, v7, s6
	s_waitcnt vmcnt(8) lgkmcnt(8)
	v_cmp_lt_u16_e64 s6, v177, v179
	v_cndmask_b32_e64 v165, v132, v64, s4
	s_waitcnt vmcnt(6) lgkmcnt(6)
	v_cmp_lt_u16_e64 s7, v181, v182
	v_cndmask_b32_e64 v194, v133, v134, s5
	v_cndmask_b32_e64 v132, v64, v132, s4
	v_cndmask_b32_e64 v177, v162, v135, s6
	v_lshlrev_b32_sdwa v52, v50, v165 dst_sel:DWORD dst_unused:UNUSED_PAD src0_sel:DWORD src1_sel:WORD_0
	v_cndmask_b32_e64 v179, v166, v161, s7
	v_lshlrev_b32_sdwa v64, v50, v194 dst_sel:DWORD dst_unused:UNUSED_PAD src0_sel:DWORD src1_sel:WORD_0
	s_clause 0xf
	flat_load_ushort v195, v[100:101]
	flat_load_ushort v196, v[66:67]
	;; [unrolled: 1-line block ×16, first 2 shown]
	v_lshlrev_b32_sdwa v70, v50, v177 dst_sel:DWORD dst_unused:UNUSED_PAD src0_sel:DWORD src1_sel:WORD_0
	v_cndmask_b32_e64 v133, v134, v133, s5
	v_add_co_u32 v66, s5, v6, v52
	s_waitcnt vmcnt(20) lgkmcnt(20)
	v_cmp_lt_u16_e64 s4, v183, v192
	v_lshlrev_b32_sdwa v80, v50, v179 dst_sel:DWORD dst_unused:UNUSED_PAD src0_sel:DWORD src1_sel:WORD_0
	v_cndmask_b32_e64 v134, v135, v162, s6
	v_add_co_ci_u32_e64 v67, null, 0, v7, s5
	v_add_co_u32 v68, s5, v6, v64
	v_lshlrev_b32_sdwa v82, v50, v132 dst_sel:DWORD dst_unused:UNUSED_PAD src0_sel:DWORD src1_sel:WORD_0
	v_cndmask_b32_e64 v135, v161, v166, s7
	v_add_co_ci_u32_e64 v69, null, 0, v7, s5
	v_add_co_u32 v70, s5, v6, v70
	;; [unrolled: 4-line block ×3, first 2 shown]
	v_lshlrev_b32_sdwa v52, v50, v134 dst_sel:DWORD dst_unused:UNUSED_PAD src0_sel:DWORD src1_sel:WORD_0
	v_add_co_ci_u32_e64 v81, null, 0, v7, s5
	v_add_co_u32 v82, s5, v6, v82
	v_lshlrev_b32_sdwa v64, v50, v135 dst_sel:DWORD dst_unused:UNUSED_PAD src0_sel:DWORD src1_sel:WORD_0
	v_add_co_ci_u32_e64 v83, null, 0, v7, s5
	v_add_co_u32 v84, s5, v6, v84
	;; [unrolled: 3-line block ×3, first 2 shown]
	v_add_co_ci_u32_e64 v87, null, 0, v7, s5
	v_add_co_u32 v96, s5, v6, v64
	v_add_co_ci_u32_e64 v97, null, 0, v7, s5
	v_add_co_u32 v100, s5, v6, v100
	v_add_co_ci_u32_e64 v101, null, 0, v7, s5
	s_waitcnt vmcnt(18) lgkmcnt(18)
	v_cmp_lt_u16_e64 s5, v180, v193
	s_clause 0x9
	flat_load_ushort v162, v[82:83]
	flat_load_ushort v98, v[98:99]
	;; [unrolled: 1-line block ×10, first 2 shown]
	v_cndmask_b32_e64 v149, v176, v149, s4
	v_cndmask_b32_e64 v180, v167, v178, s5
	;; [unrolled: 1-line block ×3, first 2 shown]
	v_lshlrev_b32_sdwa v64, v50, v149 dst_sel:DWORD dst_unused:UNUSED_PAD src0_sel:DWORD src1_sel:WORD_0
	v_lshlrev_b32_sdwa v52, v50, v180 dst_sel:DWORD dst_unused:UNUSED_PAD src0_sel:DWORD src1_sel:WORD_0
	v_add_co_u32 v66, s4, v6, v52
	v_add_co_ci_u32_e64 v67, null, 0, v7, s4
	v_add_co_u32 v68, s4, v6, v64
	v_add_co_ci_u32_e64 v69, null, 0, v7, s4
	s_waitcnt vmcnt(26) lgkmcnt(26)
	v_cmp_lt_u16_e64 s4, v160, v198
	s_clause 0x1
	flat_load_ushort v176, v[66:67]
	flat_load_ushort v193, v[68:69]
	v_lshlrev_b32_sdwa v64, v50, v167 dst_sel:DWORD dst_unused:UNUSED_PAD src0_sel:DWORD src1_sel:WORD_0
	v_cndmask_b32_e64 v160, v151, v150, s4
	v_lshlrev_b32_sdwa v52, v50, v160 dst_sel:DWORD dst_unused:UNUSED_PAD src0_sel:DWORD src1_sel:WORD_0
	v_add_co_u32 v66, s5, v6, v52
	v_add_co_ci_u32_e64 v67, null, 0, v7, s5
	v_add_co_u32 v68, s5, v6, v64
	v_add_co_ci_u32_e64 v69, null, 0, v7, s5
	s_clause 0x1
	flat_load_ushort v178, v[66:67]
	flat_load_ushort v197, v[68:69]
	v_cndmask_b32_e32 v52, v53, v54, vcc_lo
	v_cndmask_b32_e64 v53, v150, v151, s4
	v_lshlrev_b32_sdwa v54, v50, v52 dst_sel:DWORD dst_unused:UNUSED_PAD src0_sel:DWORD src1_sel:WORD_0
	v_lshlrev_b32_sdwa v64, v50, v53 dst_sel:DWORD dst_unused:UNUSED_PAD src0_sel:DWORD src1_sel:WORD_0
	v_add_co_u32 v66, vcc_lo, v6, v54
	v_add_co_ci_u32_e64 v67, null, 0, v7, vcc_lo
	v_add_co_u32 v68, vcc_lo, v6, v64
	v_add_co_ci_u32_e64 v69, null, 0, v7, vcc_lo
	s_clause 0x1
	flat_load_ushort v54, v[66:67]
	flat_load_ushort v150, v[68:69]
	s_waitcnt vmcnt(30) lgkmcnt(30)
	v_cmp_lt_u16_e64 s4, v195, v196
	s_waitcnt vmcnt(28) lgkmcnt(28)
	v_cmp_lt_u16_e32 vcc_lo, v102, v103
	s_waitcnt vmcnt(26) lgkmcnt(26)
	v_cmp_lt_u16_e64 s5, v112, v113
	v_cndmask_b32_e64 v151, v55, v51, s4
	s_waitcnt vmcnt(24) lgkmcnt(24)
	v_cmp_lt_u16_e64 s6, v114, v115
	v_cndmask_b32_e32 v195, v144, v199, vcc_lo
	s_waitcnt vmcnt(22) lgkmcnt(22)
	v_cmp_lt_u16_e64 s7, v116, v117
	v_cndmask_b32_e64 v196, v145, v208, s5
	s_waitcnt vmcnt(20) lgkmcnt(20)
	v_cmp_lt_u16_e64 s10, v118, v119
	v_lshlrev_b32_sdwa v66, v50, v151 dst_sel:DWORD dst_unused:UNUSED_PAD src0_sel:DWORD src1_sel:WORD_0
	v_cndmask_b32_e64 v198, v146, v209, s6
	s_waitcnt vmcnt(18) lgkmcnt(18)
	v_cmp_lt_u16_e64 s11, v128, v129
	v_lshlrev_b32_sdwa v68, v50, v195 dst_sel:DWORD dst_unused:UNUSED_PAD src0_sel:DWORD src1_sel:WORD_0
	v_cndmask_b32_e64 v210, v147, v214, s7
	s_waitcnt vmcnt(16) lgkmcnt(16)
	v_cmp_lt_u16_e64 s14, v130, v131
	v_lshlrev_b32_sdwa v70, v50, v196 dst_sel:DWORD dst_unused:UNUSED_PAD src0_sel:DWORD src1_sel:WORD_0
	v_cndmask_b32_e64 v211, v148, v215, s10
	v_cndmask_b32_e32 v129, v199, v144, vcc_lo
	v_add_co_u32 v66, vcc_lo, v6, v66
	v_lshlrev_b32_sdwa v80, v50, v198 dst_sel:DWORD dst_unused:UNUSED_PAD src0_sel:DWORD src1_sel:WORD_0
	v_cndmask_b32_e64 v128, v163, v224, s11
	v_add_co_ci_u32_e64 v67, null, 0, v7, vcc_lo
	v_add_co_u32 v68, vcc_lo, v6, v68
	v_lshlrev_b32_sdwa v82, v50, v210 dst_sel:DWORD dst_unused:UNUSED_PAD src0_sel:DWORD src1_sel:WORD_0
	v_cndmask_b32_e64 v64, v164, v225, s14
	v_add_co_ci_u32_e64 v69, null, 0, v7, vcc_lo
	v_add_co_u32 v70, vcc_lo, v6, v70
	v_lshlrev_b32_sdwa v84, v50, v211 dst_sel:DWORD dst_unused:UNUSED_PAD src0_sel:DWORD src1_sel:WORD_0
	v_add_co_ci_u32_e64 v71, null, 0, v7, vcc_lo
	v_add_co_u32 v80, vcc_lo, v6, v80
	v_lshlrev_b32_sdwa v86, v50, v128 dst_sel:DWORD dst_unused:UNUSED_PAD src0_sel:DWORD src1_sel:WORD_0
	v_cndmask_b32_e64 v130, v208, v145, s5
	v_add_co_ci_u32_e64 v81, null, 0, v7, vcc_lo
	v_add_co_u32 v82, vcc_lo, v6, v82
	v_lshlrev_b32_sdwa v96, v50, v64 dst_sel:DWORD dst_unused:UNUSED_PAD src0_sel:DWORD src1_sel:WORD_0
	v_cndmask_b32_e64 v131, v209, v146, s6
	;; [unrolled: 4-line block ×5, first 2 shown]
	v_add_co_ci_u32_e64 v97, null, 0, v7, vcc_lo
	s_waitcnt vmcnt(14) lgkmcnt(14)
	v_cmp_lt_u16_e32 vcc_lo, v162, v98
	v_add_co_u32 v98, s11, v6, v102
	v_lshlrev_b32_sdwa v113, v50, v144 dst_sel:DWORD dst_unused:UNUSED_PAD src0_sel:DWORD src1_sel:WORD_0
	v_cndmask_b32_e64 v147, v225, v164, s14
	s_waitcnt vmcnt(12) lgkmcnt(12)
	v_cmp_lt_u16_e64 s5, v99, v166
	s_waitcnt vmcnt(6) lgkmcnt(6)
	v_cmp_lt_u16_e64 s10, v100, v101
	v_add_co_ci_u32_e64 v99, null, 0, v7, s11
	v_add_co_u32 v100, s11, v6, v103
	v_lshlrev_b32_sdwa v114, v50, v145 dst_sel:DWORD dst_unused:UNUSED_PAD src0_sel:DWORD src1_sel:WORD_0
	v_add_co_ci_u32_e64 v101, null, 0, v7, s11
	v_add_co_u32 v102, s11, v6, v112
	v_lshlrev_b32_sdwa v116, v50, v146 dst_sel:DWORD dst_unused:UNUSED_PAD src0_sel:DWORD src1_sel:WORD_0
	v_cmp_lt_u16_e64 s6, v181, v182
	v_cndmask_b32_e32 v148, v132, v65, vcc_lo
	v_add_co_ci_u32_e64 v103, null, 0, v7, s11
	v_add_co_u32 v112, s11, v6, v113
	v_lshlrev_b32_sdwa v118, v50, v147 dst_sel:DWORD dst_unused:UNUSED_PAD src0_sel:DWORD src1_sel:WORD_0
	v_cmp_lt_u16_e64 s7, v183, v192
	v_cndmask_b32_e64 v162, v133, v165, s5
	v_add_co_ci_u32_e64 v113, null, 0, v7, s11
	v_add_co_u32 v114, s11, v6, v114
	v_cndmask_b32_e64 v163, v134, v194, s6
	v_add_co_ci_u32_e64 v115, null, 0, v7, s11
	v_add_co_u32 v116, s11, v6, v116
	v_cndmask_b32_e32 v132, v65, v132, vcc_lo
	v_lshlrev_b32_sdwa v65, v50, v148 dst_sel:DWORD dst_unused:UNUSED_PAD src0_sel:DWORD src1_sel:WORD_0
	v_cndmask_b32_e64 v164, v135, v177, s7
	v_add_co_ci_u32_e64 v117, null, 0, v7, s11
	v_add_co_u32 v118, s11, v6, v118
	v_cndmask_b32_e64 v133, v165, v133, s5
	v_cndmask_b32_e64 v135, v177, v135, s7
	s_clause 0x1
	flat_load_ushort v165, v[98:99]
	flat_load_ushort v177, v[66:67]
	v_lshlrev_b32_sdwa v67, v50, v162 dst_sel:DWORD dst_unused:UNUSED_PAD src0_sel:DWORD src1_sel:WORD_0
	v_cndmask_b32_e64 v166, v161, v179, s10
	v_add_co_ci_u32_e64 v119, null, 0, v7, s11
	v_cndmask_b32_e64 v161, v179, v161, s10
	s_clause 0xb
	flat_load_ushort v179, v[100:101]
	flat_load_ushort v181, v[68:69]
	;; [unrolled: 1-line block ×12, first 2 shown]
	v_lshlrev_b32_sdwa v69, v50, v163 dst_sel:DWORD dst_unused:UNUSED_PAD src0_sel:DWORD src1_sel:WORD_0
	v_add_co_u32 v65, s5, v6, v65
	v_lshlrev_b32_sdwa v80, v50, v164 dst_sel:DWORD dst_unused:UNUSED_PAD src0_sel:DWORD src1_sel:WORD_0
	v_add_co_ci_u32_e64 v66, null, 0, v7, s5
	v_add_co_u32 v67, s5, v6, v67
	v_lshlrev_b32_sdwa v82, v50, v166 dst_sel:DWORD dst_unused:UNUSED_PAD src0_sel:DWORD src1_sel:WORD_0
	v_cndmask_b32_e64 v134, v194, v134, s6
	v_add_co_ci_u32_e64 v68, null, 0, v7, s5
	v_add_co_u32 v69, s5, v6, v69
	s_waitcnt vmcnt(18) lgkmcnt(18)
	v_cmp_lt_u16_e32 vcc_lo, v176, v193
	v_lshlrev_b32_sdwa v84, v50, v132 dst_sel:DWORD dst_unused:UNUSED_PAD src0_sel:DWORD src1_sel:WORD_0
	v_add_co_ci_u32_e64 v70, null, 0, v7, s5
	v_add_co_u32 v80, s5, v6, v80
	v_lshlrev_b32_sdwa v86, v50, v133 dst_sel:DWORD dst_unused:UNUSED_PAD src0_sel:DWORD src1_sel:WORD_0
	v_add_co_ci_u32_e64 v81, null, 0, v7, s5
	v_add_co_u32 v82, s5, v6, v82
	v_lshlrev_b32_sdwa v98, v50, v134 dst_sel:DWORD dst_unused:UNUSED_PAD src0_sel:DWORD src1_sel:WORD_0
	v_cndmask_b32_e32 v176, v149, v180, vcc_lo
	v_add_co_ci_u32_e64 v83, null, 0, v7, s5
	v_add_co_u32 v84, s5, v6, v84
	v_lshlrev_b32_sdwa v100, v50, v135 dst_sel:DWORD dst_unused:UNUSED_PAD src0_sel:DWORD src1_sel:WORD_0
	v_add_co_ci_u32_e64 v85, null, 0, v7, s5
	v_add_co_u32 v86, s5, v6, v86
	v_lshlrev_b32_sdwa v102, v50, v161 dst_sel:DWORD dst_unused:UNUSED_PAD src0_sel:DWORD src1_sel:WORD_0
	;; [unrolled: 3-line block ×3, first 2 shown]
	v_add_co_ci_u32_e64 v99, null, 0, v7, s5
	v_add_co_u32 v100, s5, v6, v100
	v_add_co_ci_u32_e64 v101, null, 0, v7, s5
	v_add_co_u32 v102, s5, v6, v102
	;; [unrolled: 2-line block ×3, first 2 shown]
	v_add_co_ci_u32_e64 v113, null, 0, v7, s5
	s_waitcnt vmcnt(16) lgkmcnt(16)
	v_cmp_lt_u16_e64 s5, v178, v197
	v_cndmask_b32_e32 v149, v180, v149, vcc_lo
	s_clause 0xb
	flat_load_ushort v193, v[84:85]
	flat_load_ushort v194, v[96:97]
	;; [unrolled: 1-line block ×12, first 2 shown]
	v_cndmask_b32_e64 v178, v167, v160, s5
	v_lshlrev_b32_sdwa v67, v50, v149 dst_sel:DWORD dst_unused:UNUSED_PAD src0_sel:DWORD src1_sel:WORD_0
	v_cndmask_b32_e64 v160, v160, v167, s5
	v_lshlrev_b32_sdwa v65, v50, v178 dst_sel:DWORD dst_unused:UNUSED_PAD src0_sel:DWORD src1_sel:WORD_0
	v_add_co_u32 v65, vcc_lo, v6, v65
	v_add_co_ci_u32_e64 v66, null, 0, v7, vcc_lo
	v_add_co_u32 v67, vcc_lo, v6, v67
	v_add_co_ci_u32_e64 v68, null, 0, v7, vcc_lo
	s_clause 0x1
	flat_load_ushort v180, v[65:66]
	flat_load_ushort v197, v[67:68]
	s_waitcnt vmcnt(28) lgkmcnt(28)
	v_cmp_lt_u16_e32 vcc_lo, v54, v150
	v_lshlrev_b32_sdwa v67, v50, v160 dst_sel:DWORD dst_unused:UNUSED_PAD src0_sel:DWORD src1_sel:WORD_0
	v_cndmask_b32_e32 v150, v53, v52, vcc_lo
	v_lshlrev_b32_sdwa v54, v50, v150 dst_sel:DWORD dst_unused:UNUSED_PAD src0_sel:DWORD src1_sel:WORD_0
	v_add_co_u32 v65, s5, v6, v54
	v_add_co_ci_u32_e64 v66, null, 0, v7, s5
	v_add_co_u32 v67, s5, v6, v67
	v_add_co_ci_u32_e64 v68, null, 0, v7, s5
	s_clause 0x1
	flat_load_ushort v167, v[65:66]
	flat_load_ushort v209, v[67:68]
	v_cndmask_b32_e64 v54, v51, v55, s4
	v_lshlrev_b32_sdwa v51, v50, v54 dst_sel:DWORD dst_unused:UNUSED_PAD src0_sel:DWORD src1_sel:WORD_0
	v_add_co_u32 v66, s4, v6, v51
	v_add_co_ci_u32_e64 v67, null, 0, v7, s4
	s_waitcnt vmcnt(26) lgkmcnt(26)
	v_cmp_lt_u16_e64 s5, v179, v181
	s_waitcnt vmcnt(24) lgkmcnt(24)
	v_cmp_lt_u16_e64 s6, v182, v71
	v_cmp_lt_u16_e64 s4, v165, v177
	s_waitcnt vmcnt(22) lgkmcnt(22)
	v_cmp_lt_u16_e64 s7, v183, v192
	v_cndmask_b32_e64 v177, v130, v195, s5
	s_waitcnt vmcnt(20) lgkmcnt(20)
	v_cmp_lt_u16_e64 s10, v114, v115
	v_cndmask_b32_e64 v179, v131, v196, s6
	v_cndmask_b32_e64 v165, v129, v151, s4
	s_waitcnt vmcnt(18) lgkmcnt(18)
	v_cmp_lt_u16_e64 s11, v116, v117
	v_cndmask_b32_e64 v181, v144, v198, s7
	s_waitcnt vmcnt(16) lgkmcnt(16)
	v_cmp_lt_u16_e64 s14, v118, v119
	v_lshlrev_b32_sdwa v70, v50, v177 dst_sel:DWORD dst_unused:UNUSED_PAD src0_sel:DWORD src1_sel:WORD_0
	v_lshlrev_b32_sdwa v51, v50, v165 dst_sel:DWORD dst_unused:UNUSED_PAD src0_sel:DWORD src1_sel:WORD_0
	v_cndmask_b32_e64 v182, v145, v210, s10
	v_lshlrev_b32_sdwa v80, v50, v179 dst_sel:DWORD dst_unused:UNUSED_PAD src0_sel:DWORD src1_sel:WORD_0
	v_cndmask_b32_e64 v183, v146, v211, s11
	v_cndmask_b32_e64 v55, v151, v129, s4
	v_add_co_u32 v68, s4, v6, v51
	v_lshlrev_b32_sdwa v82, v50, v181 dst_sel:DWORD dst_unused:UNUSED_PAD src0_sel:DWORD src1_sel:WORD_0
	v_cndmask_b32_e64 v65, v147, v128, s14
	v_add_co_ci_u32_e64 v69, null, 0, v7, s4
	v_add_co_u32 v70, s4, v6, v70
	v_lshlrev_b32_sdwa v84, v50, v182 dst_sel:DWORD dst_unused:UNUSED_PAD src0_sel:DWORD src1_sel:WORD_0
	v_add_co_ci_u32_e64 v71, null, 0, v7, s4
	v_add_co_u32 v80, s4, v6, v80
	v_cndmask_b32_e64 v129, v195, v130, s5
	v_lshlrev_b32_sdwa v86, v50, v183 dst_sel:DWORD dst_unused:UNUSED_PAD src0_sel:DWORD src1_sel:WORD_0
	v_add_co_ci_u32_e64 v81, null, 0, v7, s4
	v_add_co_u32 v82, s4, v6, v82
	v_cndmask_b32_e64 v130, v196, v131, s6
	v_lshlrev_b32_sdwa v96, v50, v65 dst_sel:DWORD dst_unused:UNUSED_PAD src0_sel:DWORD src1_sel:WORD_0
	v_lshlrev_b32_sdwa v114, v50, v55 dst_sel:DWORD dst_unused:UNUSED_PAD src0_sel:DWORD src1_sel:WORD_0
	v_add_co_ci_u32_e64 v83, null, 0, v7, s4
	v_add_co_u32 v84, s4, v6, v84
	v_cndmask_b32_e64 v131, v198, v144, s7
	v_lshlrev_b32_sdwa v115, v50, v129 dst_sel:DWORD dst_unused:UNUSED_PAD src0_sel:DWORD src1_sel:WORD_0
	v_add_co_ci_u32_e64 v85, null, 0, v7, s4
	v_add_co_u32 v86, s4, v6, v86
	v_cndmask_b32_e64 v144, v210, v145, s10
	;; [unrolled: 4-line block ×3, first 2 shown]
	v_cndmask_b32_e64 v128, v128, v147, s14
	v_lshlrev_b32_sdwa v116, v50, v131 dst_sel:DWORD dst_unused:UNUSED_PAD src0_sel:DWORD src1_sel:WORD_0
	v_add_co_ci_u32_e64 v97, null, 0, v7, s4
	s_waitcnt vmcnt(14) lgkmcnt(14)
	v_cmp_lt_u16_e64 s4, v193, v194
	s_waitcnt vmcnt(10) lgkmcnt(10)
	v_cmp_lt_u16_e64 s6, v98, v99
	v_add_co_u32 v98, s14, v6, v114
	s_waitcnt vmcnt(8) lgkmcnt(8)
	v_cmp_lt_u16_e64 s7, v100, v101
	v_add_co_ci_u32_e64 v99, null, 0, v7, s14
	v_add_co_u32 v100, s14, v6, v115
	v_lshlrev_b32_sdwa v117, v50, v144 dst_sel:DWORD dst_unused:UNUSED_PAD src0_sel:DWORD src1_sel:WORD_0
	v_cmp_lt_u16_e64 s5, v199, v208
	s_waitcnt vmcnt(6) lgkmcnt(6)
	v_cmp_lt_u16_e64 s10, v102, v103
	v_add_co_ci_u32_e64 v101, null, 0, v7, s14
	v_add_co_u32 v102, s14, v6, v51
	v_lshlrev_b32_sdwa v118, v50, v145 dst_sel:DWORD dst_unused:UNUSED_PAD src0_sel:DWORD src1_sel:WORD_0
	v_cndmask_b32_e64 v146, v132, v64, s4
	s_waitcnt vmcnt(4) lgkmcnt(4)
	v_cmp_lt_u16_e64 s11, v112, v113
	v_add_co_ci_u32_e64 v103, null, 0, v7, s14
	v_add_co_u32 v112, s14, v6, v116
	v_lshlrev_b32_sdwa v119, v50, v128 dst_sel:DWORD dst_unused:UNUSED_PAD src0_sel:DWORD src1_sel:WORD_0
	v_cndmask_b32_e64 v147, v133, v148, s5
	v_add_co_ci_u32_e64 v113, null, 0, v7, s14
	v_add_co_u32 v114, s14, v6, v117
	v_cndmask_b32_e64 v151, v134, v162, s6
	v_add_co_ci_u32_e64 v115, null, 0, v7, s14
	v_add_co_u32 v116, s14, v6, v118
	v_lshlrev_b32_sdwa v51, v50, v146 dst_sel:DWORD dst_unused:UNUSED_PAD src0_sel:DWORD src1_sel:WORD_0
	v_cndmask_b32_e64 v192, v135, v163, s7
	v_add_co_ci_u32_e64 v117, null, 0, v7, s14
	v_add_co_u32 v118, s14, v6, v119
	v_cndmask_b32_e64 v193, v161, v164, s10
	v_cndmask_b32_e64 v64, v64, v132, s4
	;; [unrolled: 1-line block ×6, first 2 shown]
	s_clause 0x3
	flat_load_ushort v161, v[98:99]
	flat_load_ushort v162, v[66:67]
	;; [unrolled: 1-line block ×4, first 2 shown]
	v_lshlrev_b32_sdwa v68, v50, v147 dst_sel:DWORD dst_unused:UNUSED_PAD src0_sel:DWORD src1_sel:WORD_0
	v_cndmask_b32_e64 v194, v166, v176, s11
	v_add_co_ci_u32_e64 v119, null, 0, v7, s14
	v_cndmask_b32_e64 v148, v176, v166, s11
	s_waitcnt vmcnt(6) lgkmcnt(6)
	v_cmp_lt_u16_e64 s4, v180, v197
	s_clause 0x9
	flat_load_ushort v176, v[102:103]
	flat_load_ushort v180, v[70:71]
	;; [unrolled: 1-line block ×10, first 2 shown]
	v_lshlrev_b32_sdwa v70, v50, v151 dst_sel:DWORD dst_unused:UNUSED_PAD src0_sel:DWORD src1_sel:WORD_0
	v_add_co_u32 v66, s5, v6, v51
	v_lshlrev_b32_sdwa v80, v50, v192 dst_sel:DWORD dst_unused:UNUSED_PAD src0_sel:DWORD src1_sel:WORD_0
	v_add_co_ci_u32_e64 v67, null, 0, v7, s5
	v_add_co_u32 v68, s5, v6, v68
	v_lshlrev_b32_sdwa v82, v50, v194 dst_sel:DWORD dst_unused:UNUSED_PAD src0_sel:DWORD src1_sel:WORD_0
	v_add_co_ci_u32_e64 v69, null, 0, v7, s5
	;; [unrolled: 3-line block ×5, first 2 shown]
	v_add_co_u32 v84, s5, v6, v84
	v_lshlrev_b32_sdwa v51, v50, v133 dst_sel:DWORD dst_unused:UNUSED_PAD src0_sel:DWORD src1_sel:WORD_0
	v_cndmask_b32_e64 v166, v149, v178, s4
	v_add_co_ci_u32_e64 v85, null, 0, v7, s5
	v_add_co_u32 v86, s5, v6, v86
	v_lshlrev_b32_sdwa v102, v50, v134 dst_sel:DWORD dst_unused:UNUSED_PAD src0_sel:DWORD src1_sel:WORD_0
	v_add_co_ci_u32_e64 v87, null, 0, v7, s5
	v_add_co_u32 v98, s5, v6, v98
	v_lshlrev_b32_sdwa v112, v50, v135 dst_sel:DWORD dst_unused:UNUSED_PAD src0_sel:DWORD src1_sel:WORD_0
	;; [unrolled: 3-line block ×4, first 2 shown]
	v_add_co_ci_u32_e64 v103, null, 0, v7, s5
	v_add_co_u32 v112, s5, v6, v112
	v_add_co_ci_u32_e64 v113, null, 0, v7, s5
	v_add_co_u32 v114, s5, v6, v114
	v_add_co_ci_u32_e64 v115, null, 0, v7, s5
	v_add_co_u32 v116, s5, v6, v116
	v_add_co_ci_u32_e64 v117, null, 0, v7, s5
	s_waitcnt vmcnt(14) lgkmcnt(14)
	v_cmp_lt_u16_e64 s5, v167, v209
	s_clause 0xd
	flat_load_ushort v210, v[86:87]
	flat_load_ushort v211, v[96:97]
	;; [unrolled: 1-line block ×14, first 2 shown]
	v_cndmask_b32_e64 v149, v178, v149, s4
	v_cndmask_b32_e64 v167, v160, v150, s5
	v_lshlrev_b32_sdwa v68, v50, v149 dst_sel:DWORD dst_unused:UNUSED_PAD src0_sel:DWORD src1_sel:WORD_0
	v_lshlrev_b32_sdwa v51, v50, v167 dst_sel:DWORD dst_unused:UNUSED_PAD src0_sel:DWORD src1_sel:WORD_0
	v_add_co_u32 v66, s4, v6, v51
	v_add_co_ci_u32_e64 v67, null, 0, v7, s4
	v_add_co_u32 v68, s4, v6, v68
	v_add_co_ci_u32_e64 v69, null, 0, v7, s4
	s_clause 0x1
	flat_load_ushort v178, v[66:67]
	flat_load_ushort v209, v[68:69]
	v_cndmask_b32_e32 v51, v52, v53, vcc_lo
	v_cndmask_b32_e64 v53, v150, v160, s5
	v_lshlrev_b32_sdwa v52, v50, v51 dst_sel:DWORD dst_unused:UNUSED_PAD src0_sel:DWORD src1_sel:WORD_0
	v_lshlrev_b32_sdwa v66, v50, v53 dst_sel:DWORD dst_unused:UNUSED_PAD src0_sel:DWORD src1_sel:WORD_0
	v_add_co_u32 v67, vcc_lo, v6, v52
	v_add_co_ci_u32_e64 v68, null, 0, v7, vcc_lo
	v_add_co_u32 v69, vcc_lo, v6, v66
	v_add_co_ci_u32_e64 v70, null, 0, v7, vcc_lo
	s_waitcnt vmcnt(28) lgkmcnt(28)
	v_cmp_lt_u16_e32 vcc_lo, v161, v162
	s_waitcnt vmcnt(24) lgkmcnt(24)
	v_cmp_lt_u16_e64 s5, v176, v180
	v_cmp_lt_u16_e64 s4, v163, v164
	s_waitcnt vmcnt(22) lgkmcnt(22)
	v_cmp_lt_u16_e64 s6, v195, v196
	v_cndmask_b32_e32 v150, v55, v54, vcc_lo
	s_waitcnt vmcnt(20) lgkmcnt(20)
	v_cmp_lt_u16_e64 s7, v197, v198
	v_cndmask_b32_e64 v160, v129, v165, s4
	v_cndmask_b32_e64 v161, v130, v177, s5
	s_waitcnt vmcnt(18) lgkmcnt(18)
	v_cmp_lt_u16_e64 s10, v199, v208
	v_lshlrev_b32_sdwa v52, v50, v150 dst_sel:DWORD dst_unused:UNUSED_PAD src0_sel:DWORD src1_sel:WORD_0
	v_cndmask_b32_e64 v162, v131, v179, s6
	s_waitcnt vmcnt(16) lgkmcnt(16)
	v_cmp_lt_u16_e64 s11, v118, v119
	v_lshlrev_b32_sdwa v82, v50, v160 dst_sel:DWORD dst_unused:UNUSED_PAD src0_sel:DWORD src1_sel:WORD_0
	v_cndmask_b32_e64 v163, v144, v181, s7
	v_lshlrev_b32_sdwa v84, v50, v161 dst_sel:DWORD dst_unused:UNUSED_PAD src0_sel:DWORD src1_sel:WORD_0
	v_cndmask_b32_e64 v164, v145, v182, s10
	v_cndmask_b32_e64 v165, v165, v129, s4
	v_add_co_u32 v80, s4, v6, v52
	v_lshlrev_b32_sdwa v86, v50, v162 dst_sel:DWORD dst_unused:UNUSED_PAD src0_sel:DWORD src1_sel:WORD_0
	v_cndmask_b32_e64 v66, v128, v183, s11
	v_add_co_ci_u32_e64 v81, null, 0, v7, s4
	v_add_co_u32 v82, s4, v6, v82
	v_lshlrev_b32_sdwa v96, v50, v163 dst_sel:DWORD dst_unused:UNUSED_PAD src0_sel:DWORD src1_sel:WORD_0
	v_add_co_ci_u32_e64 v83, null, 0, v7, s4
	v_add_co_u32 v84, s4, v6, v84
	v_lshlrev_b32_sdwa v98, v50, v164 dst_sel:DWORD dst_unused:UNUSED_PAD src0_sel:DWORD src1_sel:WORD_0
	v_cndmask_b32_e64 v176, v177, v130, s5
	v_add_co_ci_u32_e64 v85, null, 0, v7, s4
	v_add_co_u32 v86, s4, v6, v86
	v_lshlrev_b32_sdwa v100, v50, v66 dst_sel:DWORD dst_unused:UNUSED_PAD src0_sel:DWORD src1_sel:WORD_0
	v_add_co_ci_u32_e64 v87, null, 0, v7, s4
	v_add_co_u32 v96, s4, v6, v96
	v_lshlrev_b32_sdwa v116, v50, v165 dst_sel:DWORD dst_unused:UNUSED_PAD src0_sel:DWORD src1_sel:WORD_0
	;; [unrolled: 3-line block ×3, first 2 shown]
	v_add_co_ci_u32_e64 v99, null, 0, v7, s4
	v_add_co_u32 v100, s4, v6, v100
	v_cndmask_b32_e64 v177, v179, v131, s6
	v_cndmask_b32_e64 v144, v181, v144, s7
	;; [unrolled: 1-line block ×4, first 2 shown]
	v_add_co_ci_u32_e64 v101, null, 0, v7, s4
	v_lshlrev_b32_sdwa v117, v50, v177 dst_sel:DWORD dst_unused:UNUSED_PAD src0_sel:DWORD src1_sel:WORD_0
	v_lshlrev_b32_sdwa v118, v50, v144 dst_sel:DWORD dst_unused:UNUSED_PAD src0_sel:DWORD src1_sel:WORD_0
	;; [unrolled: 1-line block ×4, first 2 shown]
	s_waitcnt vmcnt(14) lgkmcnt(14)
	v_cmp_lt_u16_e64 s4, v210, v211
	s_waitcnt vmcnt(12) lgkmcnt(12)
	v_cmp_lt_u16_e64 s5, v212, v213
	;; [unrolled: 2-line block ×3, first 2 shown]
	v_cndmask_b32_e64 v180, v64, v65, s4
	s_waitcnt vmcnt(8) lgkmcnt(8)
	v_cmp_lt_u16_e64 s7, v102, v71
	v_add_co_u32 v102, s15, v6, v116
	s_waitcnt vmcnt(6) lgkmcnt(6)
	v_cmp_lt_u16_e64 s10, v103, v112
	s_waitcnt vmcnt(4) lgkmcnt(4)
	v_cmp_lt_u16_e64 s11, v113, v224
	v_add_co_ci_u32_e64 v103, null, 0, v7, s15
	s_waitcnt vmcnt(2) lgkmcnt(2)
	v_cmp_lt_u16_e64 s14, v114, v115
	v_add_co_u32 v112, s15, v6, v52
	v_add_co_ci_u32_e64 v113, null, 0, v7, s15
	v_cndmask_b32_e64 v181, v132, v146, s5
	v_cndmask_b32_e64 v182, v133, v147, s6
	;; [unrolled: 1-line block ×13, first 2 shown]
	s_clause 0x5
	flat_load_ushort v147, v[67:68]
	flat_load_ushort v148, v[69:70]
	;; [unrolled: 1-line block ×6, first 2 shown]
	v_add_co_u32 v114, s15, v6, v117
	v_lshlrev_b32_sdwa v52, v50, v180 dst_sel:DWORD dst_unused:UNUSED_PAD src0_sel:DWORD src1_sel:WORD_0
	v_add_co_ci_u32_e64 v115, null, 0, v7, s15
	v_add_co_u32 v116, s15, v6, v118
	v_lshlrev_b32_sdwa v69, v50, v181 dst_sel:DWORD dst_unused:UNUSED_PAD src0_sel:DWORD src1_sel:WORD_0
	v_add_co_ci_u32_e64 v117, null, 0, v7, s15
	v_add_co_u32 v118, s15, v6, v119
	v_lshlrev_b32_sdwa v80, v50, v182 dst_sel:DWORD dst_unused:UNUSED_PAD src0_sel:DWORD src1_sel:WORD_0
	v_add_co_u32 v67, s5, v6, v52
	v_add_co_ci_u32_e64 v119, null, 0, v7, s15
	v_add_co_u32 v128, s15, v6, v128
	v_lshlrev_b32_sdwa v82, v50, v71 dst_sel:DWORD dst_unused:UNUSED_PAD src0_sel:DWORD src1_sel:WORD_0
	v_add_co_ci_u32_e64 v68, null, 0, v7, s5
	v_add_co_u32 v69, s5, v6, v69
	v_add_co_ci_u32_e64 v129, null, 0, v7, s15
	s_waitcnt vmcnt(6) lgkmcnt(6)
	v_cmp_lt_u16_e64 s4, v178, v209
	s_clause 0x7
	flat_load_ushort v178, v[114:115]
	flat_load_ushort v194, v[84:85]
	;; [unrolled: 1-line block ×8, first 2 shown]
	v_lshlrev_b32_sdwa v84, v50, v183 dst_sel:DWORD dst_unused:UNUSED_PAD src0_sel:DWORD src1_sel:WORD_0
	v_add_co_ci_u32_e64 v70, null, 0, v7, s5
	v_add_co_u32 v80, s5, v6, v80
	v_lshlrev_b32_sdwa v86, v50, v196 dst_sel:DWORD dst_unused:UNUSED_PAD src0_sel:DWORD src1_sel:WORD_0
	v_add_co_ci_u32_e64 v81, null, 0, v7, s5
	v_add_co_u32 v82, s5, v6, v82
	;; [unrolled: 3-line block ×6, first 2 shown]
	v_lshlrev_b32_sdwa v114, v50, v134 dst_sel:DWORD dst_unused:UNUSED_PAD src0_sel:DWORD src1_sel:WORD_0
	v_cndmask_b32_e64 v65, v149, v167, s4
	v_add_co_ci_u32_e64 v99, null, 0, v7, s5
	v_add_co_u32 v102, s5, v6, v102
	v_lshlrev_b32_sdwa v116, v50, v135 dst_sel:DWORD dst_unused:UNUSED_PAD src0_sel:DWORD src1_sel:WORD_0
	v_add_co_ci_u32_e64 v103, null, 0, v7, s5
	v_add_co_u32 v112, s5, v6, v52
	v_lshlrev_b32_sdwa v118, v50, v146 dst_sel:DWORD dst_unused:UNUSED_PAD src0_sel:DWORD src1_sel:WORD_0
	;; [unrolled: 3-line block ×4, first 2 shown]
	v_add_co_ci_u32_e64 v117, null, 0, v7, s5
	v_add_co_u32 v118, s5, v6, v118
	v_add_co_ci_u32_e64 v119, null, 0, v7, s5
	v_add_co_u32 v128, s5, v6, v128
	;; [unrolled: 2-line block ×3, first 2 shown]
	v_add_co_ci_u32_e64 v131, null, 0, v7, s5
	s_clause 0xf
	flat_load_ushort v212, v[98:99]
	flat_load_ushort v213, v[100:101]
	;; [unrolled: 1-line block ×16, first 2 shown]
	v_cndmask_b32_e32 v52, v54, v55, vcc_lo
	v_lshlrev_b32_sdwa v54, v50, v52 dst_sel:DWORD dst_unused:UNUSED_PAD src0_sel:DWORD src1_sel:WORD_0
	s_waitcnt vmcnt(28) lgkmcnt(28)
	v_cmp_lt_u16_e32 vcc_lo, v147, v148
	v_cndmask_b32_e64 v148, v167, v149, s4
	v_add_co_u32 v67, s4, v6, v54
	v_add_co_ci_u32_e64 v68, null, 0, v7, s4
	v_cndmask_b32_e32 v147, v53, v51, vcc_lo
	v_lshlrev_b32_sdwa v54, v50, v148 dst_sel:DWORD dst_unused:UNUSED_PAD src0_sel:DWORD src1_sel:WORD_0
	s_waitcnt vmcnt(24) lgkmcnt(24)
	v_cmp_lt_u16_e64 s5, v192, v193
	v_cndmask_b32_e32 v51, v51, v53, vcc_lo
	v_lshlrev_b32_sdwa v55, v50, v147 dst_sel:DWORD dst_unused:UNUSED_PAD src0_sel:DWORD src1_sel:WORD_0
	v_add_co_u32 v69, s4, v6, v55
	v_add_co_ci_u32_e64 v70, null, 0, v7, s4
	v_add_co_u32 v80, s4, v6, v54
	v_add_co_ci_u32_e64 v81, null, 0, v7, s4
	v_cmp_lt_u16_e64 s4, v151, v166
	v_cndmask_b32_e64 v151, v176, v160, s5
	s_waitcnt vmcnt(22) lgkmcnt(22)
	v_cmp_lt_u16_e64 s6, v178, v194
	s_waitcnt vmcnt(20) lgkmcnt(20)
	v_cmp_lt_u16_e64 s7, v198, v199
	v_cndmask_b32_e64 v149, v165, v150, s4
	s_waitcnt vmcnt(18) lgkmcnt(18)
	v_cmp_lt_u16_e64 s10, v208, v209
	v_cndmask_b32_e64 v166, v177, v161, s6
	;; [unrolled: 3-line block ×3, first 2 shown]
	v_lshlrev_b32_sdwa v55, v50, v149 dst_sel:DWORD dst_unused:UNUSED_PAD src0_sel:DWORD src1_sel:WORD_0
	v_cndmask_b32_e64 v167, v144, v162, s7
	v_cndmask_b32_e64 v150, v160, v176, s5
	v_lshlrev_b32_sdwa v84, v50, v151 dst_sel:DWORD dst_unused:UNUSED_PAD src0_sel:DWORD src1_sel:WORD_0
	v_cndmask_b32_e64 v178, v145, v163, s10
	v_cndmask_b32_e64 v160, v161, v177, s6
	v_lshlrev_b32_sdwa v86, v50, v166 dst_sel:DWORD dst_unused:UNUSED_PAD src0_sel:DWORD src1_sel:WORD_0
	v_cndmask_b32_e64 v192, v179, v164, s11
	v_lshlrev_b32_sdwa v130, v50, v54 dst_sel:DWORD dst_unused:UNUSED_PAD src0_sel:DWORD src1_sel:WORD_0
	v_add_co_u32 v82, s4, v6, v55
	v_cndmask_b32_e64 v144, v162, v144, s7
	v_lshlrev_b32_sdwa v96, v50, v167 dst_sel:DWORD dst_unused:UNUSED_PAD src0_sel:DWORD src1_sel:WORD_0
	v_lshlrev_b32_sdwa v131, v50, v150 dst_sel:DWORD dst_unused:UNUSED_PAD src0_sel:DWORD src1_sel:WORD_0
	v_add_co_ci_u32_e64 v83, null, 0, v7, s4
	v_add_co_u32 v84, s4, v6, v84
	v_cndmask_b32_e64 v145, v163, v145, s10
	v_lshlrev_b32_sdwa v98, v50, v178 dst_sel:DWORD dst_unused:UNUSED_PAD src0_sel:DWORD src1_sel:WORD_0
	v_lshlrev_b32_sdwa v162, v50, v160 dst_sel:DWORD dst_unused:UNUSED_PAD src0_sel:DWORD src1_sel:WORD_0
	v_add_co_ci_u32_e64 v85, null, 0, v7, s4
	;; [unrolled: 5-line block ×3, first 2 shown]
	v_add_co_u32 v96, s4, v6, v96
	v_lshlrev_b32_sdwa v164, v50, v145 dst_sel:DWORD dst_unused:UNUSED_PAD src0_sel:DWORD src1_sel:WORD_0
	v_add_co_ci_u32_e64 v97, null, 0, v7, s4
	v_add_co_u32 v98, s4, v6, v98
	v_lshlrev_b32_sdwa v165, v50, v161 dst_sel:DWORD dst_unused:UNUSED_PAD src0_sel:DWORD src1_sel:WORD_0
	v_add_co_ci_u32_e64 v99, null, 0, v7, s4
	v_add_co_u32 v100, s4, v6, v100
	v_add_co_ci_u32_e64 v101, null, 0, v7, s4
	s_waitcnt vmcnt(14) lgkmcnt(14)
	v_cmp_lt_u16_e64 s4, v212, v213
	s_waitcnt vmcnt(12) lgkmcnt(12)
	v_cmp_lt_u16_e64 s5, v102, v103
	v_add_co_u32 v102, s16, v6, v130
	s_waitcnt vmcnt(10) lgkmcnt(10)
	v_cmp_lt_u16_e64 s6, v112, v113
	v_add_co_ci_u32_e64 v103, null, 0, v7, s16
	v_add_co_u32 v112, s16, v6, v131
	s_waitcnt vmcnt(8) lgkmcnt(8)
	v_cmp_lt_u16_e64 s7, v114, v115
	v_add_co_ci_u32_e64 v113, null, 0, v7, s16
	;; [unrolled: 4-line block ×3, first 2 shown]
	v_add_co_u32 v116, s16, v6, v163
	s_waitcnt vmcnt(4) lgkmcnt(4)
	v_cmp_lt_u16_e64 s11, v118, v119
	s_waitcnt vmcnt(2) lgkmcnt(2)
	v_cmp_lt_u16_e64 s14, v214, v215
	v_add_co_ci_u32_e64 v117, null, 0, v7, s16
	v_add_co_u32 v118, s16, v6, v164
	s_waitcnt vmcnt(0) lgkmcnt(0)
	v_cmp_lt_u16_e64 s15, v128, v129
	v_add_co_ci_u32_e64 v119, null, 0, v7, s16
	v_add_co_u32 v128, s16, v6, v165
	v_cndmask_b32_e64 v176, v197, v66, s4
	v_cndmask_b32_e64 v177, v132, v180, s5
	;; [unrolled: 1-line block ×7, first 2 shown]
	v_add_co_ci_u32_e64 v129, null, 0, v7, s16
	v_cndmask_b32_e64 v162, v66, v197, s4
	v_cndmask_b32_e64 v132, v180, v132, s5
	;; [unrolled: 1-line block ×7, first 2 shown]
	s_clause 0xd
	flat_load_ushort v146, v[69:70]
	flat_load_ushort v163, v[80:81]
	flat_load_ushort v164, v[102:103]
	flat_load_ushort v165, v[67:68]
	flat_load_ushort v180, v[112:113]
	flat_load_ushort v181, v[82:83]
	flat_load_ushort v182, v[114:115]
	flat_load_ushort v183, v[84:85]
	flat_load_ushort v195, v[116:117]
	flat_load_ushort v196, v[86:87]
	flat_load_ushort v197, v[118:119]
	flat_load_ushort v208, v[96:97]
	flat_load_ushort v209, v[128:129]
	flat_load_ushort v210, v[98:99]
	v_lshlrev_b32_sdwa v67, v50, v176 dst_sel:DWORD dst_unused:UNUSED_PAD src0_sel:DWORD src1_sel:WORD_0
	v_lshlrev_b32_sdwa v69, v50, v177 dst_sel:DWORD dst_unused:UNUSED_PAD src0_sel:DWORD src1_sel:WORD_0
	v_lshlrev_b32_sdwa v80, v50, v179 dst_sel:DWORD dst_unused:UNUSED_PAD src0_sel:DWORD src1_sel:WORD_0
	v_lshlrev_b32_sdwa v82, v50, v193 dst_sel:DWORD dst_unused:UNUSED_PAD src0_sel:DWORD src1_sel:WORD_0
	v_lshlrev_b32_sdwa v84, v50, v194 dst_sel:DWORD dst_unused:UNUSED_PAD src0_sel:DWORD src1_sel:WORD_0
	v_add_co_u32 v67, s4, v6, v67
	v_add_co_ci_u32_e64 v68, null, 0, v7, s4
	v_add_co_u32 v69, s4, v6, v69
	v_cndmask_b32_e64 v55, v64, v65, s15
	v_add_co_ci_u32_e64 v70, null, 0, v7, s4
	v_add_co_u32 v80, s4, v6, v80
	v_lshlrev_b32_sdwa v86, v50, v199 dst_sel:DWORD dst_unused:UNUSED_PAD src0_sel:DWORD src1_sel:WORD_0
	v_add_co_ci_u32_e64 v81, null, 0, v7, s4
	v_add_co_u32 v82, s4, v6, v82
	v_lshlrev_b32_sdwa v96, v50, v198 dst_sel:DWORD dst_unused:UNUSED_PAD src0_sel:DWORD src1_sel:WORD_0
	;; [unrolled: 3-line block ×10, first 2 shown]
	v_add_co_ci_u32_e64 v117, null, 0, v7, s4
	v_add_co_u32 v118, s4, v6, v118
	v_add_co_ci_u32_e64 v119, null, 0, v7, s4
	v_add_co_u32 v128, s4, v6, v128
	;; [unrolled: 2-line block ×3, first 2 shown]
	v_add_co_ci_u32_e64 v131, null, 0, v7, s4
	s_clause 0xf
	flat_load_ushort v102, v[102:103]
	flat_load_ushort v100, v[100:101]
	;; [unrolled: 1-line block ×16, first 2 shown]
	v_lshlrev_b32_sdwa v69, v50, v51 dst_sel:DWORD dst_unused:UNUSED_PAD src0_sel:DWORD src1_sel:WORD_0
	s_waitcnt vmcnt(28) lgkmcnt(28)
	v_cmp_lt_u16_e64 s4, v146, v163
	v_cndmask_b32_e64 v163, v65, v64, s15
	v_cndmask_b32_e64 v146, v148, v147, s4
	v_lshlrev_b32_sdwa v67, v50, v163 dst_sel:DWORD dst_unused:UNUSED_PAD src0_sel:DWORD src1_sel:WORD_0
	v_cndmask_b32_e64 v53, v147, v148, s4
	s_waitcnt vmcnt(26) lgkmcnt(26)
	v_cmp_lt_u16_e64 s4, v164, v165
	s_waitcnt vmcnt(22) lgkmcnt(22)
	v_cmp_lt_u16_e64 s5, v182, v183
	v_lshlrev_b32_sdwa v64, v50, v146 dst_sel:DWORD dst_unused:UNUSED_PAD src0_sel:DWORD src1_sel:WORD_0
	s_waitcnt vmcnt(20) lgkmcnt(20)
	v_cmp_lt_u16_e64 s6, v195, v196
	v_lshlrev_b32_sdwa v80, v50, v53 dst_sel:DWORD dst_unused:UNUSED_PAD src0_sel:DWORD src1_sel:WORD_0
	v_cndmask_b32_e64 v164, v54, v52, s4
	s_waitcnt vmcnt(18) lgkmcnt(18)
	v_cmp_lt_u16_e64 s7, v197, v208
	v_add_co_u32 v64, vcc_lo, v6, v64
	v_add_co_ci_u32_e64 v65, null, 0, v7, vcc_lo
	v_add_co_u32 v67, vcc_lo, v6, v67
	v_add_co_ci_u32_e64 v68, null, 0, v7, vcc_lo
	;; [unrolled: 2-line block ×3, first 2 shown]
	s_clause 0x1
	flat_load_ushort v147, v[64:65]
	flat_load_ushort v148, v[67:68]
	v_add_co_u32 v67, vcc_lo, v6, v80
	v_add_co_ci_u32_e64 v68, null, 0, v7, vcc_lo
	v_cmp_lt_u16_e32 vcc_lo, v180, v181
	v_cndmask_b32_e64 v180, v160, v151, s5
	s_waitcnt vmcnt(18) lgkmcnt(18)
	v_cmp_lt_u16_e64 s10, v209, v210
	v_lshlrev_b32_sdwa v64, v50, v164 dst_sel:DWORD dst_unused:UNUSED_PAD src0_sel:DWORD src1_sel:WORD_0
	v_cndmask_b32_e64 v181, v144, v166, s6
	v_cndmask_b32_e32 v165, v150, v149, vcc_lo
	v_cndmask_b32_e64 v182, v145, v167, s7
	v_lshlrev_b32_sdwa v84, v50, v180 dst_sel:DWORD dst_unused:UNUSED_PAD src0_sel:DWORD src1_sel:WORD_0
	v_cndmask_b32_e64 v183, v161, v178, s10
	v_cndmask_b32_e32 v149, v149, v150, vcc_lo
	v_lshlrev_b32_sdwa v65, v50, v165 dst_sel:DWORD dst_unused:UNUSED_PAD src0_sel:DWORD src1_sel:WORD_0
	v_add_co_u32 v80, vcc_lo, v6, v64
	v_lshlrev_b32_sdwa v86, v50, v181 dst_sel:DWORD dst_unused:UNUSED_PAD src0_sel:DWORD src1_sel:WORD_0
	v_add_co_ci_u32_e64 v81, null, 0, v7, vcc_lo
	v_add_co_u32 v82, vcc_lo, v6, v65
	v_lshlrev_b32_sdwa v96, v50, v182 dst_sel:DWORD dst_unused:UNUSED_PAD src0_sel:DWORD src1_sel:WORD_0
	v_cndmask_b32_e64 v150, v151, v160, s5
	v_add_co_ci_u32_e64 v83, null, 0, v7, vcc_lo
	v_add_co_u32 v84, vcc_lo, v6, v84
	v_lshlrev_b32_sdwa v98, v50, v183 dst_sel:DWORD dst_unused:UNUSED_PAD src0_sel:DWORD src1_sel:WORD_0
	v_cndmask_b32_e64 v144, v166, v144, s6
	;; [unrolled: 4-line block ×4, first 2 shown]
	v_add_co_ci_u32_e64 v97, null, 0, v7, vcc_lo
	v_add_co_u32 v98, vcc_lo, v6, v98
	v_lshlrev_b32_sdwa v161, v50, v144 dst_sel:DWORD dst_unused:UNUSED_PAD src0_sel:DWORD src1_sel:WORD_0
	v_add_co_ci_u32_e64 v99, null, 0, v7, vcc_lo
	s_waitcnt vmcnt(16) lgkmcnt(16)
	v_cmp_lt_u16_e32 vcc_lo, v102, v100
	v_add_co_u32 v100, s16, v6, v131
	v_lshlrev_b32_sdwa v166, v50, v145 dst_sel:DWORD dst_unused:UNUSED_PAD src0_sel:DWORD src1_sel:WORD_0
	s_waitcnt vmcnt(14) lgkmcnt(14)
	v_cmp_lt_u16_e64 s5, v101, v103
	v_add_co_ci_u32_e64 v101, null, 0, v7, s16
	v_add_co_u32 v102, s16, v6, v160
	v_lshlrev_b32_sdwa v167, v50, v151 dst_sel:DWORD dst_unused:UNUSED_PAD src0_sel:DWORD src1_sel:WORD_0
	s_waitcnt vmcnt(12) lgkmcnt(12)
	v_cmp_lt_u16_e64 s6, v112, v113
	v_add_co_ci_u32_e64 v103, null, 0, v7, s16
	v_add_co_u32 v112, s16, v6, v161
	s_waitcnt vmcnt(10) lgkmcnt(10)
	v_cmp_lt_u16_e64 s7, v114, v115
	s_waitcnt vmcnt(8) lgkmcnt(8)
	v_cmp_lt_u16_e64 s10, v116, v117
	;; [unrolled: 2-line block ×4, first 2 shown]
	v_add_co_ci_u32_e64 v113, null, 0, v7, s16
	v_add_co_u32 v114, s16, v6, v166
	v_add_co_ci_u32_e64 v115, null, 0, v7, s16
	v_add_co_u32 v116, s16, v6, v167
	v_cndmask_b32_e32 v178, v162, v192, vcc_lo
	v_cndmask_b32_e64 v195, v132, v176, s5
	v_cndmask_b32_e64 v196, v133, v177, s6
	;; [unrolled: 1-line block ×6, first 2 shown]
	v_add_co_ci_u32_e64 v117, null, 0, v7, s16
	v_cndmask_b32_e32 v160, v192, v162, vcc_lo
	v_cndmask_b32_e64 v132, v176, v132, s5
	v_cndmask_b32_e64 v133, v177, v133, s6
	;; [unrolled: 1-line block ×6, first 2 shown]
	s_clause 0xb
	flat_load_ushort v71, v[69:70]
	flat_load_ushort v166, v[67:68]
	;; [unrolled: 1-line block ×12, first 2 shown]
	v_lshlrev_b32_sdwa v67, v50, v178 dst_sel:DWORD dst_unused:UNUSED_PAD src0_sel:DWORD src1_sel:WORD_0
	s_waitcnt vmcnt(14) lgkmcnt(14)
	v_cmp_lt_u16_e64 s15, v211, v130
	v_lshlrev_b32_sdwa v69, v50, v195 dst_sel:DWORD dst_unused:UNUSED_PAD src0_sel:DWORD src1_sel:WORD_0
	v_lshlrev_b32_sdwa v80, v50, v196 dst_sel:DWORD dst_unused:UNUSED_PAD src0_sel:DWORD src1_sel:WORD_0
	;; [unrolled: 1-line block ×3, first 2 shown]
	v_add_co_u32 v67, vcc_lo, v6, v67
	v_cndmask_b32_e64 v65, v66, v55, s15
	v_add_co_ci_u32_e64 v68, null, 0, v7, vcc_lo
	v_add_co_u32 v69, vcc_lo, v6, v69
	v_lshlrev_b32_sdwa v84, v50, v208 dst_sel:DWORD dst_unused:UNUSED_PAD src0_sel:DWORD src1_sel:WORD_0
	v_add_co_ci_u32_e64 v70, null, 0, v7, vcc_lo
	v_add_co_u32 v80, vcc_lo, v6, v80
	v_lshlrev_b32_sdwa v86, v50, v209 dst_sel:DWORD dst_unused:UNUSED_PAD src0_sel:DWORD src1_sel:WORD_0
	;; [unrolled: 3-line block ×11, first 2 shown]
	v_add_co_ci_u32_e64 v117, null, 0, v7, vcc_lo
	v_add_co_u32 v118, vcc_lo, v6, v118
	v_add_co_ci_u32_e64 v119, null, 0, v7, vcc_lo
	v_add_co_u32 v128, vcc_lo, v6, v128
	;; [unrolled: 2-line block ×3, first 2 shown]
	v_add_co_ci_u32_e64 v131, null, 0, v7, vcc_lo
	s_clause 0xf
	flat_load_ushort v102, v[102:103]
	flat_load_ushort v98, v[98:99]
	;; [unrolled: 1-line block ×16, first 2 shown]
	v_cndmask_b32_e64 v130, v55, v66, s15
	v_cndmask_b32_e64 v52, v52, v54, s4
	v_lshlrev_b32_sdwa v68, v50, v130 dst_sel:DWORD dst_unused:UNUSED_PAD src0_sel:DWORD src1_sel:WORD_0
	s_waitcnt vmcnt(28) lgkmcnt(28)
	v_cmp_lt_u16_e64 s5, v147, v148
	v_cndmask_b32_e64 v129, v163, v146, s5
	v_cndmask_b32_e64 v146, v146, v163, s5
	v_lshlrev_b32_sdwa v55, v50, v129 dst_sel:DWORD dst_unused:UNUSED_PAD src0_sel:DWORD src1_sel:WORD_0
	v_add_co_u32 v66, vcc_lo, v6, v55
	v_add_co_ci_u32_e64 v67, null, 0, v7, vcc_lo
	v_add_co_u32 v68, vcc_lo, v6, v68
	v_add_co_ci_u32_e64 v69, null, 0, v7, vcc_lo
	s_clause 0x1
	flat_load_ushort v131, v[66:67]
	flat_load_ushort v147, v[68:69]
	v_lshlrev_b32_sdwa v66, v50, v146 dst_sel:DWORD dst_unused:UNUSED_PAD src0_sel:DWORD src1_sel:WORD_0
	v_lshlrev_b32_sdwa v68, v50, v52 dst_sel:DWORD dst_unused:UNUSED_PAD src0_sel:DWORD src1_sel:WORD_0
	s_waitcnt vmcnt(28) lgkmcnt(28)
	v_cmp_lt_u16_e32 vcc_lo, v71, v166
	s_waitcnt vmcnt(24) lgkmcnt(24)
	v_cmp_lt_u16_e64 s5, v177, v179
	v_cndmask_b32_e32 v148, v53, v51, vcc_lo
	s_waitcnt vmcnt(22) lgkmcnt(22)
	v_cmp_lt_u16_e64 s6, v192, v193
	v_cndmask_b32_e32 v53, v51, v53, vcc_lo
	s_waitcnt vmcnt(20) lgkmcnt(20)
	v_cmp_lt_u16_e64 s7, v194, v198
	v_lshlrev_b32_sdwa v54, v50, v148 dst_sel:DWORD dst_unused:UNUSED_PAD src0_sel:DWORD src1_sel:WORD_0
	s_waitcnt vmcnt(18) lgkmcnt(18)
	v_cmp_lt_u16_e64 s10, v199, v210
	v_cndmask_b32_e64 v177, v145, v181, s7
	v_cndmask_b32_e64 v145, v181, v145, s7
	v_add_co_u32 v54, s4, v6, v54
	v_add_co_ci_u32_e64 v55, null, 0, v7, s4
	v_add_co_u32 v66, s4, v6, v66
	v_add_co_ci_u32_e64 v67, null, 0, v7, s4
	s_clause 0x1
	flat_load_ushort v54, v[54:55]
	flat_load_ushort v163, v[66:67]
	v_add_co_u32 v68, s4, v6, v68
	v_add_co_ci_u32_e64 v69, null, 0, v7, s4
	v_cmp_lt_u16_e64 s4, v167, v176
	v_cndmask_b32_e64 v167, v150, v165, s5
	v_cndmask_b32_e64 v176, v144, v180, s6
	;; [unrolled: 1-line block ×3, first 2 shown]
	v_lshlrev_b32_sdwa v82, v50, v177 dst_sel:DWORD dst_unused:UNUSED_PAD src0_sel:DWORD src1_sel:WORD_0
	v_cndmask_b32_e64 v166, v149, v164, s4
	v_lshlrev_b32_sdwa v70, v50, v167 dst_sel:DWORD dst_unused:UNUSED_PAD src0_sel:DWORD src1_sel:WORD_0
	v_lshlrev_b32_sdwa v80, v50, v176 dst_sel:DWORD dst_unused:UNUSED_PAD src0_sel:DWORD src1_sel:WORD_0
	v_cndmask_b32_e64 v55, v164, v149, s4
	v_cndmask_b32_e64 v149, v165, v150, s5
	v_lshlrev_b32_sdwa v66, v50, v166 dst_sel:DWORD dst_unused:UNUSED_PAD src0_sel:DWORD src1_sel:WORD_0
	v_lshlrev_b32_sdwa v84, v50, v179 dst_sel:DWORD dst_unused:UNUSED_PAD src0_sel:DWORD src1_sel:WORD_0
	v_cndmask_b32_e64 v144, v180, v144, s6
	v_lshlrev_b32_sdwa v97, v50, v55 dst_sel:DWORD dst_unused:UNUSED_PAD src0_sel:DWORD src1_sel:WORD_0
	v_lshlrev_b32_sdwa v100, v50, v149 dst_sel:DWORD dst_unused:UNUSED_PAD src0_sel:DWORD src1_sel:WORD_0
	v_add_co_u32 v66, s4, v6, v66
	v_add_co_ci_u32_e64 v67, null, 0, v7, s4
	v_add_co_u32 v70, s4, v6, v70
	v_add_co_ci_u32_e64 v71, null, 0, v7, s4
	;; [unrolled: 2-line block ×3, first 2 shown]
	v_add_co_u32 v82, s4, v6, v82
	v_cndmask_b32_e64 v150, v182, v151, s10
	v_add_co_ci_u32_e64 v83, null, 0, v7, s4
	v_add_co_u32 v84, s4, v6, v84
	v_lshlrev_b32_sdwa v101, v50, v144 dst_sel:DWORD dst_unused:UNUSED_PAD src0_sel:DWORD src1_sel:WORD_0
	v_add_co_ci_u32_e64 v85, null, 0, v7, s4
	v_lshlrev_b32_sdwa v151, v50, v145 dst_sel:DWORD dst_unused:UNUSED_PAD src0_sel:DWORD src1_sel:WORD_0
	v_lshlrev_b32_sdwa v164, v50, v150 dst_sel:DWORD dst_unused:UNUSED_PAD src0_sel:DWORD src1_sel:WORD_0
	s_waitcnt vmcnt(18) lgkmcnt(18)
	v_cmp_lt_u16_e64 s4, v102, v98
	s_waitcnt vmcnt(16) lgkmcnt(16)
	v_cmp_lt_u16_e64 s5, v99, v103
	;; [unrolled: 2-line block ×3, first 2 shown]
	v_cndmask_b32_e64 v165, v160, v183, s4
	s_waitcnt vmcnt(12) lgkmcnt(12)
	v_cmp_lt_u16_e64 s7, v114, v115
	v_cndmask_b32_e64 v180, v132, v178, s5
	s_waitcnt vmcnt(10) lgkmcnt(10)
	v_cmp_lt_u16_e64 s10, v116, v117
	;; [unrolled: 3-line block ×4, first 2 shown]
	v_add_co_u32 v86, s16, v6, v97
	s_waitcnt vmcnt(4) lgkmcnt(4)
	v_cmp_lt_u16_e64 s15, v87, v96
	v_add_co_ci_u32_e64 v87, null, 0, v7, s16
	v_add_co_u32 v96, s16, v6, v100
	v_add_co_ci_u32_e64 v97, null, 0, v7, s16
	v_add_co_u32 v98, s16, v6, v101
	;; [unrolled: 2-line block ×4, first 2 shown]
	v_cndmask_b32_e64 v192, v161, v197, s10
	v_cndmask_b32_e64 v119, v162, v209, s14
	v_add_co_ci_u32_e64 v103, null, 0, v7, s16
	v_cndmask_b32_e64 v151, v183, v160, s4
	v_cndmask_b32_e64 v132, v178, v132, s5
	;; [unrolled: 1-line block ×6, first 2 shown]
	s_clause 0x9
	flat_load_ushort v162, v[86:87]
	flat_load_ushort v164, v[68:69]
	;; [unrolled: 1-line block ×10, first 2 shown]
	v_lshlrev_b32_sdwa v66, v50, v165 dst_sel:DWORD dst_unused:UNUSED_PAD src0_sel:DWORD src1_sel:WORD_0
	v_lshlrev_b32_sdwa v68, v50, v180 dst_sel:DWORD dst_unused:UNUSED_PAD src0_sel:DWORD src1_sel:WORD_0
	;; [unrolled: 1-line block ×3, first 2 shown]
	v_cndmask_b32_e64 v118, v135, v208, s11
	v_lshlrev_b32_sdwa v80, v50, v182 dst_sel:DWORD dst_unused:UNUSED_PAD src0_sel:DWORD src1_sel:WORD_0
	v_add_co_u32 v66, s4, v6, v66
	v_cndmask_b32_e64 v128, v64, v65, s15
	v_add_co_ci_u32_e64 v67, null, 0, v7, s4
	v_add_co_u32 v68, s4, v6, v68
	v_lshlrev_b32_sdwa v82, v50, v192 dst_sel:DWORD dst_unused:UNUSED_PAD src0_sel:DWORD src1_sel:WORD_0
	v_add_co_ci_u32_e64 v69, null, 0, v7, s4
	v_add_co_u32 v70, s4, v6, v70
	v_lshlrev_b32_sdwa v86, v50, v118 dst_sel:DWORD dst_unused:UNUSED_PAD src0_sel:DWORD src1_sel:WORD_0
	;; [unrolled: 3-line block ×4, first 2 shown]
	v_add_co_ci_u32_e64 v83, null, 0, v7, s4
	v_add_co_u32 v86, s4, v6, v86
	v_add_co_ci_u32_e64 v87, null, 0, v7, s4
	v_add_co_u32 v96, s4, v6, v96
	v_lshlrev_b32_sdwa v100, v50, v151 dst_sel:DWORD dst_unused:UNUSED_PAD src0_sel:DWORD src1_sel:WORD_0
	v_add_co_ci_u32_e64 v97, null, 0, v7, s4
	v_add_co_u32 v98, s4, v6, v98
	v_lshlrev_b32_sdwa v102, v50, v132 dst_sel:DWORD dst_unused:UNUSED_PAD src0_sel:DWORD src1_sel:WORD_0
	v_add_co_ci_u32_e64 v99, null, 0, v7, s4
	v_lshlrev_b32_sdwa v103, v50, v133 dst_sel:DWORD dst_unused:UNUSED_PAD src0_sel:DWORD src1_sel:WORD_0
	v_cndmask_b32_e64 v135, v208, v135, s11
	v_add_co_u32 v100, s4, v6, v100
	v_lshlrev_b32_sdwa v112, v50, v134 dst_sel:DWORD dst_unused:UNUSED_PAD src0_sel:DWORD src1_sel:WORD_0
	v_add_co_ci_u32_e64 v101, null, 0, v7, s4
	s_clause 0x1
	flat_load_ushort v199, v[96:97]
	flat_load_ushort v208, v[98:99]
	v_add_co_u32 v96, s4, v6, v102
	v_lshlrev_b32_sdwa v113, v50, v160 dst_sel:DWORD dst_unused:UNUSED_PAD src0_sel:DWORD src1_sel:WORD_0
	v_add_co_ci_u32_e64 v97, null, 0, v7, s4
	v_add_co_u32 v98, s4, v6, v103
	v_lshlrev_b32_sdwa v114, v50, v135 dst_sel:DWORD dst_unused:UNUSED_PAD src0_sel:DWORD src1_sel:WORD_0
	v_add_co_ci_u32_e64 v99, null, 0, v7, s4
	;; [unrolled: 3-line block ×3, first 2 shown]
	v_add_co_u32 v112, s4, v6, v113
	v_add_co_ci_u32_e64 v113, null, 0, v7, s4
	v_add_co_u32 v114, s4, v6, v114
	v_add_co_ci_u32_e64 v115, null, 0, v7, s4
	;; [unrolled: 2-line block ×3, first 2 shown]
	s_clause 0xd
	flat_load_ushort v100, v[100:101]
	flat_load_ushort v84, v[84:85]
	;; [unrolled: 1-line block ×14, first 2 shown]
	s_waitcnt vmcnt(28) lgkmcnt(28)
	v_cmp_lt_u16_e64 s4, v131, v147
	v_cndmask_b32_e64 v147, v65, v64, s15
	v_cndmask_b32_e64 v131, v130, v129, s4
	v_lshlrev_b32_sdwa v66, v50, v147 dst_sel:DWORD dst_unused:UNUSED_PAD src0_sel:DWORD src1_sel:WORD_0
	v_cndmask_b32_e64 v130, v129, v130, s4
	v_lshlrev_b32_sdwa v64, v50, v131 dst_sel:DWORD dst_unused:UNUSED_PAD src0_sel:DWORD src1_sel:WORD_0
	v_add_co_u32 v64, s5, v6, v64
	v_add_co_ci_u32_e64 v65, null, 0, v7, s5
	v_add_co_u32 v66, s5, v6, v66
	v_add_co_ci_u32_e64 v67, null, 0, v7, s5
	s_clause 0x1
	flat_load_ushort v209, v[64:65]
	flat_load_ushort v210, v[66:67]
	v_lshlrev_b32_sdwa v66, v50, v130 dst_sel:DWORD dst_unused:UNUSED_PAD src0_sel:DWORD src1_sel:WORD_0
	s_waitcnt vmcnt(28) lgkmcnt(28)
	v_cmp_lt_u16_e64 s5, v54, v163
	v_cndmask_b32_e64 v163, v146, v148, s5
	v_lshlrev_b32_sdwa v54, v50, v163 dst_sel:DWORD dst_unused:UNUSED_PAD src0_sel:DWORD src1_sel:WORD_0
	v_add_co_u32 v64, s4, v6, v54
	v_add_co_ci_u32_e64 v65, null, 0, v7, s4
	v_add_co_u32 v66, s4, v6, v66
	v_add_co_ci_u32_e64 v67, null, 0, v7, s4
	s_clause 0x1
	flat_load_ushort v51, v[64:65]
	flat_load_ushort v211, v[66:67]
	v_cndmask_b32_e64 v54, v148, v146, s5
	v_lshlrev_b32_sdwa v64, v50, v53 dst_sel:DWORD dst_unused:UNUSED_PAD src0_sel:DWORD src1_sel:WORD_0
	v_lshlrev_b32_sdwa v66, v50, v54 dst_sel:DWORD dst_unused:UNUSED_PAD src0_sel:DWORD src1_sel:WORD_0
	v_add_co_u32 v64, vcc_lo, v6, v64
	v_add_co_ci_u32_e64 v65, null, 0, v7, vcc_lo
	v_add_co_u32 v66, vcc_lo, v6, v66
	v_add_co_ci_u32_e64 v67, null, 0, v7, vcc_lo
	s_clause 0x1
	flat_load_ushort v146, v[64:65]
	flat_load_ushort v148, v[66:67]
	s_waitcnt vmcnt(30) lgkmcnt(30)
	v_cmp_lt_u16_e64 s4, v162, v164
	s_waitcnt vmcnt(28) lgkmcnt(28)
	v_cmp_lt_u16_e32 vcc_lo, v178, v183
	s_waitcnt vmcnt(26) lgkmcnt(26)
	v_cmp_lt_u16_e64 s5, v193, v194
	v_cndmask_b32_e64 v162, v55, v52, s4
	s_waitcnt vmcnt(24) lgkmcnt(24)
	v_cmp_lt_u16_e64 s6, v195, v196
	v_cndmask_b32_e32 v164, v149, v166, vcc_lo
	s_waitcnt vmcnt(22) lgkmcnt(22)
	v_cmp_lt_u16_e64 s7, v197, v198
	v_cndmask_b32_e64 v178, v144, v167, s5
	v_lshlrev_b32_sdwa v65, v50, v162 dst_sel:DWORD dst_unused:UNUSED_PAD src0_sel:DWORD src1_sel:WORD_0
	v_cndmask_b32_e64 v183, v145, v176, s6
	v_lshlrev_b32_sdwa v67, v50, v164 dst_sel:DWORD dst_unused:UNUSED_PAD src0_sel:DWORD src1_sel:WORD_0
	;; [unrolled: 2-line block ×3, first 2 shown]
	v_cndmask_b32_e64 v144, v167, v144, s5
	v_add_co_u32 v65, s5, v6, v65
	v_lshlrev_b32_sdwa v80, v50, v183 dst_sel:DWORD dst_unused:UNUSED_PAD src0_sel:DWORD src1_sel:WORD_0
	v_cndmask_b32_e32 v149, v166, v149, vcc_lo
	v_add_co_ci_u32_e64 v66, null, 0, v7, s5
	v_add_co_u32 v67, s5, v6, v67
	v_lshlrev_b32_sdwa v82, v50, v193 dst_sel:DWORD dst_unused:UNUSED_PAD src0_sel:DWORD src1_sel:WORD_0
	v_add_co_ci_u32_e64 v68, null, 0, v7, s5
	v_add_co_u32 v69, s5, v6, v69
	v_cndmask_b32_e64 v145, v176, v145, s6
	v_add_co_ci_u32_e64 v70, null, 0, v7, s5
	v_add_co_u32 v80, s5, v6, v80
	v_lshlrev_b32_sdwa v87, v50, v149 dst_sel:DWORD dst_unused:UNUSED_PAD src0_sel:DWORD src1_sel:WORD_0
	v_cndmask_b32_e64 v150, v177, v150, s7
	v_add_co_ci_u32_e64 v81, null, 0, v7, s5
	v_add_co_u32 v82, s5, v6, v82
	v_lshlrev_b32_sdwa v114, v50, v144 dst_sel:DWORD dst_unused:UNUSED_PAD src0_sel:DWORD src1_sel:WORD_0
	v_add_co_ci_u32_e64 v83, null, 0, v7, s5
	v_lshlrev_b32_sdwa v115, v50, v145 dst_sel:DWORD dst_unused:UNUSED_PAD src0_sel:DWORD src1_sel:WORD_0
	v_lshlrev_b32_sdwa v116, v50, v150 dst_sel:DWORD dst_unused:UNUSED_PAD src0_sel:DWORD src1_sel:WORD_0
	s_waitcnt vmcnt(20) lgkmcnt(20)
	v_cmp_lt_u16_e32 vcc_lo, v199, v208
	v_cndmask_b32_e32 v64, v128, v119, vcc_lo
	v_cndmask_b32_e32 v196, v119, v128, vcc_lo
	s_waitcnt vmcnt(18) lgkmcnt(18)
	v_cmp_lt_u16_e64 s5, v100, v84
	v_add_co_u32 v84, vcc_lo, v6, v87
	s_waitcnt vmcnt(16) lgkmcnt(16)
	v_cmp_lt_u16_e64 s6, v85, v96
	s_waitcnt vmcnt(14) lgkmcnt(14)
	v_cmp_lt_u16_e64 s7, v97, v98
	v_add_co_ci_u32_e64 v85, null, 0, v7, vcc_lo
	v_cndmask_b32_e64 v166, v151, v179, s5
	s_waitcnt vmcnt(12) lgkmcnt(12)
	v_cmp_lt_u16_e64 s10, v99, v71
	s_waitcnt vmcnt(10) lgkmcnt(10)
	v_cmp_lt_u16_e64 s11, v101, v102
	;; [unrolled: 2-line block ×3, first 2 shown]
	v_cndmask_b32_e64 v167, v132, v165, s6
	s_waitcnt vmcnt(6) lgkmcnt(6)
	v_cmp_lt_u16_e64 s15, v113, v86
	v_add_co_u32 v86, vcc_lo, v6, v114
	v_add_co_ci_u32_e64 v87, null, 0, v7, vcc_lo
	v_add_co_u32 v96, vcc_lo, v6, v115
	v_add_co_ci_u32_e64 v97, null, 0, v7, vcc_lo
	v_add_co_u32 v98, vcc_lo, v6, v116
	v_cndmask_b32_e64 v176, v133, v180, s7
	v_cndmask_b32_e64 v71, v134, v181, s10
	;; [unrolled: 1-line block ×4, first 2 shown]
	v_add_co_ci_u32_e64 v99, null, 0, v7, vcc_lo
	v_cndmask_b32_e64 v151, v179, v151, s5
	v_cndmask_b32_e64 v132, v165, v132, s6
	;; [unrolled: 1-line block ×6, first 2 shown]
	s_clause 0x7
	flat_load_ushort v165, v[84:85]
	flat_load_ushort v179, v[65:66]
	;; [unrolled: 1-line block ×8, first 2 shown]
	v_lshlrev_b32_sdwa v65, v50, v166 dst_sel:DWORD dst_unused:UNUSED_PAD src0_sel:DWORD src1_sel:WORD_0
	v_lshlrev_b32_sdwa v67, v50, v167 dst_sel:DWORD dst_unused:UNUSED_PAD src0_sel:DWORD src1_sel:WORD_0
	;; [unrolled: 1-line block ×5, first 2 shown]
	v_add_co_u32 v65, vcc_lo, v6, v65
	v_add_co_ci_u32_e64 v66, null, 0, v7, vcc_lo
	v_add_co_u32 v67, vcc_lo, v6, v67
	v_cndmask_b32_e64 v195, v161, v118, s15
	v_add_co_ci_u32_e64 v68, null, 0, v7, vcc_lo
	v_add_co_u32 v69, vcc_lo, v6, v69
	v_lshlrev_b32_sdwa v86, v50, v194 dst_sel:DWORD dst_unused:UNUSED_PAD src0_sel:DWORD src1_sel:WORD_0
	v_add_co_ci_u32_e64 v70, null, 0, v7, vcc_lo
	v_add_co_u32 v80, vcc_lo, v6, v80
	v_lshlrev_b32_sdwa v96, v50, v196 dst_sel:DWORD dst_unused:UNUSED_PAD src0_sel:DWORD src1_sel:WORD_0
	;; [unrolled: 3-line block ×7, first 2 shown]
	v_cndmask_b32_e64 v161, v118, v161, s15
	v_add_co_ci_u32_e64 v101, null, 0, v7, vcc_lo
	v_add_co_u32 v102, vcc_lo, v6, v102
	v_lshlrev_b32_sdwa v116, v50, v160 dst_sel:DWORD dst_unused:UNUSED_PAD src0_sel:DWORD src1_sel:WORD_0
	v_add_co_ci_u32_e64 v103, null, 0, v7, vcc_lo
	v_add_co_u32 v112, vcc_lo, v6, v112
	v_lshlrev_b32_sdwa v118, v50, v135 dst_sel:DWORD dst_unused:UNUSED_PAD src0_sel:DWORD src1_sel:WORD_0
	;; [unrolled: 3-line block ×3, first 2 shown]
	v_add_co_ci_u32_e64 v115, null, 0, v7, vcc_lo
	v_add_co_u32 v116, vcc_lo, v6, v116
	v_add_co_ci_u32_e64 v117, null, 0, v7, vcc_lo
	v_add_co_u32 v118, vcc_lo, v6, v118
	;; [unrolled: 2-line block ×3, first 2 shown]
	v_add_co_ci_u32_e64 v129, null, 0, v7, vcc_lo
	s_clause 0xf
	flat_load_ushort v100, v[100:101]
	flat_load_ushort v101, v[82:83]
	;; [unrolled: 1-line block ×16, first 2 shown]
	s_waitcnt vmcnt(28) lgkmcnt(28)
	v_cmp_lt_u16_e32 vcc_lo, v209, v210
	v_lshlrev_b32_sdwa v67, v50, v64 dst_sel:DWORD dst_unused:UNUSED_PAD src0_sel:DWORD src1_sel:WORD_0
	v_cndmask_b32_e32 v199, v147, v131, vcc_lo
	v_cndmask_b32_e32 v147, v131, v147, vcc_lo
	v_lshlrev_b32_sdwa v65, v50, v199 dst_sel:DWORD dst_unused:UNUSED_PAD src0_sel:DWORD src1_sel:WORD_0
	v_add_co_u32 v65, s5, v6, v65
	v_add_co_ci_u32_e64 v66, null, 0, v7, s5
	v_add_co_u32 v67, s5, v6, v67
	v_add_co_ci_u32_e64 v68, null, 0, v7, s5
	s_clause 0x1
	flat_load_ushort v119, v[65:66]
	flat_load_ushort v128, v[67:68]
	v_lshlrev_b32_sdwa v67, v50, v147 dst_sel:DWORD dst_unused:UNUSED_PAD src0_sel:DWORD src1_sel:WORD_0
	s_waitcnt vmcnt(28) lgkmcnt(28)
	v_cmp_lt_u16_e64 s5, v51, v211
	v_cndmask_b32_e64 v208, v130, v163, s5
	v_lshlrev_b32_sdwa v51, v50, v208 dst_sel:DWORD dst_unused:UNUSED_PAD src0_sel:DWORD src1_sel:WORD_0
	v_add_co_u32 v65, vcc_lo, v6, v51
	v_add_co_ci_u32_e64 v66, null, 0, v7, vcc_lo
	v_add_co_u32 v67, vcc_lo, v6, v67
	v_add_co_ci_u32_e64 v68, null, 0, v7, vcc_lo
	s_clause 0x1
	flat_load_ushort v209, v[65:66]
	flat_load_ushort v210, v[67:68]
	s_waitcnt vmcnt(28) lgkmcnt(28)
	v_cmp_lt_u16_e32 vcc_lo, v146, v148
	v_cndmask_b32_e64 v148, v163, v130, s5
	v_cndmask_b32_e64 v51, v52, v55, s4
	v_cndmask_b32_e32 v146, v54, v53, vcc_lo
	v_lshlrev_b32_sdwa v52, v50, v148 dst_sel:DWORD dst_unused:UNUSED_PAD src0_sel:DWORD src1_sel:WORD_0
	v_lshlrev_b32_sdwa v65, v50, v146 dst_sel:DWORD dst_unused:UNUSED_PAD src0_sel:DWORD src1_sel:WORD_0
	v_add_co_u32 v65, s4, v6, v65
	v_add_co_ci_u32_e64 v66, null, 0, v7, s4
	v_add_co_u32 v67, s4, v6, v52
	v_add_co_ci_u32_e64 v68, null, 0, v7, s4
	s_clause 0x1
	flat_load_ushort v163, v[65:66]
	flat_load_ushort v211, v[67:68]
	v_lshlrev_b32_sdwa v52, v50, v51 dst_sel:DWORD dst_unused:UNUSED_PAD src0_sel:DWORD src1_sel:WORD_0
	v_add_co_u32 v65, s4, v6, v52
	v_add_co_ci_u32_e64 v66, null, 0, v7, s4
	s_waitcnt vmcnt(28) lgkmcnt(28)
	v_cmp_lt_u16_e64 s4, v165, v179
	s_waitcnt vmcnt(26) lgkmcnt(26)
	v_cmp_lt_u16_e64 s5, v180, v181
	;; [unrolled: 2-line block ×3, first 2 shown]
	v_cndmask_b32_e64 v165, v149, v162, s4
	s_waitcnt vmcnt(22) lgkmcnt(22)
	v_cmp_lt_u16_e64 s7, v197, v198
	v_cndmask_b32_e64 v179, v144, v164, s5
	v_cndmask_b32_e64 v55, v162, v149, s4
	v_cndmask_b32_e64 v180, v145, v178, s6
	v_lshlrev_b32_sdwa v52, v50, v165 dst_sel:DWORD dst_unused:UNUSED_PAD src0_sel:DWORD src1_sel:WORD_0
	v_cndmask_b32_e64 v181, v150, v183, s7
	v_lshlrev_b32_sdwa v69, v50, v179 dst_sel:DWORD dst_unused:UNUSED_PAD src0_sel:DWORD src1_sel:WORD_0
	v_cndmask_b32_e64 v144, v164, v144, s5
	v_lshlrev_b32_sdwa v80, v50, v180 dst_sel:DWORD dst_unused:UNUSED_PAD src0_sel:DWORD src1_sel:WORD_0
	v_add_co_u32 v67, s4, v6, v52
	v_lshlrev_b32_sdwa v82, v50, v181 dst_sel:DWORD dst_unused:UNUSED_PAD src0_sel:DWORD src1_sel:WORD_0
	v_add_co_ci_u32_e64 v68, null, 0, v7, s4
	v_add_co_u32 v69, s4, v6, v69
	v_add_co_ci_u32_e64 v70, null, 0, v7, s4
	v_add_co_u32 v80, s4, v6, v80
	v_cndmask_b32_e64 v145, v178, v145, s6
	v_lshlrev_b32_sdwa v97, v50, v55 dst_sel:DWORD dst_unused:UNUSED_PAD src0_sel:DWORD src1_sel:WORD_0
	v_add_co_ci_u32_e64 v81, null, 0, v7, s4
	v_add_co_u32 v82, s4, v6, v82
	v_cndmask_b32_e64 v149, v183, v150, s7
	v_lshlrev_b32_sdwa v98, v50, v144 dst_sel:DWORD dst_unused:UNUSED_PAD src0_sel:DWORD src1_sel:WORD_0
	v_add_co_ci_u32_e64 v83, null, 0, v7, s4
	v_lshlrev_b32_sdwa v52, v50, v145 dst_sel:DWORD dst_unused:UNUSED_PAD src0_sel:DWORD src1_sel:WORD_0
	v_lshlrev_b32_sdwa v99, v50, v149 dst_sel:DWORD dst_unused:UNUSED_PAD src0_sel:DWORD src1_sel:WORD_0
	s_waitcnt vmcnt(20) lgkmcnt(20)
	v_cmp_lt_u16_e64 s4, v100, v101
	s_waitcnt vmcnt(18) lgkmcnt(18)
	v_cmp_lt_u16_e64 s5, v102, v103
	;; [unrolled: 2-line block ×3, first 2 shown]
	v_cndmask_b32_e64 v150, v151, v193, s4
	s_waitcnt vmcnt(14) lgkmcnt(14)
	v_cmp_lt_u16_e64 s7, v114, v115
	v_cndmask_b32_e64 v162, v132, v166, s5
	s_waitcnt vmcnt(12) lgkmcnt(12)
	v_cmp_lt_u16_e64 s10, v116, v117
	;; [unrolled: 3-line block ×3, first 2 shown]
	v_add_co_u32 v84, s16, v6, v97
	s_waitcnt vmcnt(8) lgkmcnt(8)
	v_cmp_lt_u16_e64 s14, v85, v86
	v_add_co_ci_u32_e64 v85, null, 0, v7, s16
	v_add_co_u32 v86, s16, v6, v98
	s_waitcnt vmcnt(6) lgkmcnt(6)
	v_cmp_lt_u16_e64 s15, v87, v96
	v_add_co_ci_u32_e64 v87, null, 0, v7, s16
	v_add_co_u32 v96, s16, v6, v52
	v_add_co_ci_u32_e64 v97, null, 0, v7, s16
	v_add_co_u32 v98, s16, v6, v99
	v_lshlrev_b32_sdwa v52, v50, v150 dst_sel:DWORD dst_unused:UNUSED_PAD src0_sel:DWORD src1_sel:WORD_0
	v_cndmask_b32_e64 v178, v134, v176, s7
	v_add_co_ci_u32_e64 v99, null, 0, v7, s16
	v_cndmask_b32_e64 v182, v160, v71, s10
	v_cndmask_b32_e64 v183, v135, v177, s11
	;; [unrolled: 1-line block ×9, first 2 shown]
	s_clause 0x7
	flat_load_ushort v71, v[84:85]
	flat_load_ushort v177, v[65:66]
	;; [unrolled: 1-line block ×8, first 2 shown]
	v_lshlrev_b32_sdwa v67, v50, v162 dst_sel:DWORD dst_unused:UNUSED_PAD src0_sel:DWORD src1_sel:WORD_0
	v_lshlrev_b32_sdwa v69, v50, v164 dst_sel:DWORD dst_unused:UNUSED_PAD src0_sel:DWORD src1_sel:WORD_0
	v_cndmask_b32_e64 v166, v166, v132, s5
	v_add_co_u32 v65, s5, v6, v52
	v_lshlrev_b32_sdwa v80, v50, v178 dst_sel:DWORD dst_unused:UNUSED_PAD src0_sel:DWORD src1_sel:WORD_0
	v_add_co_ci_u32_e64 v66, null, 0, v7, s5
	v_add_co_u32 v67, s5, v6, v67
	v_lshlrev_b32_sdwa v84, v50, v182 dst_sel:DWORD dst_unused:UNUSED_PAD src0_sel:DWORD src1_sel:WORD_0
	v_add_co_ci_u32_e64 v68, null, 0, v7, s5
	v_add_co_u32 v69, s5, v6, v69
	v_lshlrev_b32_sdwa v86, v50, v183 dst_sel:DWORD dst_unused:UNUSED_PAD src0_sel:DWORD src1_sel:WORD_0
	v_cndmask_b32_e64 v151, v193, v151, s4
	v_add_co_ci_u32_e64 v70, null, 0, v7, s5
	v_add_co_u32 v80, s5, v6, v80
	v_lshlrev_b32_sdwa v96, v50, v192 dst_sel:DWORD dst_unused:UNUSED_PAD src0_sel:DWORD src1_sel:WORD_0
	v_add_co_ci_u32_e64 v81, null, 0, v7, s5
	v_add_co_u32 v84, s5, v6, v84
	v_lshlrev_b32_sdwa v98, v50, v197 dst_sel:DWORD dst_unused:UNUSED_PAD src0_sel:DWORD src1_sel:WORD_0
	v_cndmask_b32_e64 v167, v167, v133, s6
	v_add_co_ci_u32_e64 v85, null, 0, v7, s5
	v_add_co_u32 v86, s5, v6, v86
	v_lshlrev_b32_sdwa v100, v50, v151 dst_sel:DWORD dst_unused:UNUSED_PAD src0_sel:DWORD src1_sel:WORD_0
	v_add_co_ci_u32_e64 v87, null, 0, v7, s5
	v_add_co_u32 v96, s5, v6, v96
	v_lshlrev_b32_sdwa v102, v50, v166 dst_sel:DWORD dst_unused:UNUSED_PAD src0_sel:DWORD src1_sel:WORD_0
	;; [unrolled: 3-line block ×3, first 2 shown]
	v_add_co_ci_u32_e64 v99, null, 0, v7, s5
	v_add_co_u32 v100, s5, v6, v100
	s_waitcnt vmcnt(12) lgkmcnt(12)
	v_cmp_lt_u16_e64 s4, v119, v128
	v_lshlrev_b32_sdwa v114, v50, v134 dst_sel:DWORD dst_unused:UNUSED_PAD src0_sel:DWORD src1_sel:WORD_0
	v_add_co_ci_u32_e64 v101, null, 0, v7, s5
	v_add_co_u32 v102, s5, v6, v102
	v_lshlrev_b32_sdwa v116, v50, v160 dst_sel:DWORD dst_unused:UNUSED_PAD src0_sel:DWORD src1_sel:WORD_0
	v_add_co_ci_u32_e64 v103, null, 0, v7, s5
	v_add_co_u32 v112, s5, v6, v52
	v_lshlrev_b32_sdwa v118, v50, v135 dst_sel:DWORD dst_unused:UNUSED_PAD src0_sel:DWORD src1_sel:WORD_0
	v_cndmask_b32_e64 v193, v64, v199, s4
	v_add_co_ci_u32_e64 v113, null, 0, v7, s5
	v_add_co_u32 v114, s5, v6, v114
	v_lshlrev_b32_sdwa v128, v50, v161 dst_sel:DWORD dst_unused:UNUSED_PAD src0_sel:DWORD src1_sel:WORD_0
	v_add_co_ci_u32_e64 v115, null, 0, v7, s5
	v_add_co_u32 v116, s5, v6, v116
	v_lshlrev_b32_sdwa v130, v50, v176 dst_sel:DWORD dst_unused:UNUSED_PAD src0_sel:DWORD src1_sel:WORD_0
	;; [unrolled: 3-line block ×3, first 2 shown]
	v_add_co_ci_u32_e64 v119, null, 0, v7, s5
	v_add_co_u32 v128, s5, v6, v128
	v_add_co_ci_u32_e64 v129, null, 0, v7, s5
	v_add_co_u32 v130, s5, v6, v130
	;; [unrolled: 2-line block ×3, first 2 shown]
	v_add_co_ci_u32_e64 v133, null, 0, v7, s5
	s_clause 0x11
	flat_load_ushort v100, v[100:101]
	flat_load_ushort v82, v[82:83]
	;; [unrolled: 1-line block ×18, first 2 shown]
	s_waitcnt vmcnt(28) lgkmcnt(28)
	v_cmp_lt_u16_e64 s5, v209, v210
	v_cndmask_b32_e64 v199, v199, v64, s4
	v_cndmask_b32_e64 v209, v147, v208, s5
	v_lshlrev_b32_sdwa v66, v50, v199 dst_sel:DWORD dst_unused:UNUSED_PAD src0_sel:DWORD src1_sel:WORD_0
	v_cndmask_b32_e64 v147, v208, v147, s5
	v_lshlrev_b32_sdwa v52, v50, v209 dst_sel:DWORD dst_unused:UNUSED_PAD src0_sel:DWORD src1_sel:WORD_0
	v_add_co_u32 v64, s4, v6, v52
	v_add_co_ci_u32_e64 v65, null, 0, v7, s4
	v_add_co_u32 v66, s4, v6, v66
	v_add_co_ci_u32_e64 v67, null, 0, v7, s4
	s_clause 0x1
	flat_load_ushort v99, v[64:65]
	flat_load_ushort v115, v[66:67]
	s_waitcnt vmcnt(28) lgkmcnt(28)
	v_cmp_lt_u16_e64 s4, v163, v211
	v_lshlrev_b32_sdwa v66, v50, v147 dst_sel:DWORD dst_unused:UNUSED_PAD src0_sel:DWORD src1_sel:WORD_0
	v_cndmask_b32_e64 v163, v148, v146, s4
	v_lshlrev_b32_sdwa v52, v50, v163 dst_sel:DWORD dst_unused:UNUSED_PAD src0_sel:DWORD src1_sel:WORD_0
	v_add_co_u32 v64, s5, v6, v52
	v_add_co_ci_u32_e64 v65, null, 0, v7, s5
	v_add_co_u32 v66, s5, v6, v66
	v_add_co_ci_u32_e64 v67, null, 0, v7, s5
	s_clause 0x1
	flat_load_ushort v208, v[64:65]
	flat_load_ushort v210, v[66:67]
	v_cndmask_b32_e32 v52, v53, v54, vcc_lo
	v_cndmask_b32_e64 v53, v146, v148, s4
	v_lshlrev_b32_sdwa v54, v50, v52 dst_sel:DWORD dst_unused:UNUSED_PAD src0_sel:DWORD src1_sel:WORD_0
	v_lshlrev_b32_sdwa v66, v50, v53 dst_sel:DWORD dst_unused:UNUSED_PAD src0_sel:DWORD src1_sel:WORD_0
	v_add_co_u32 v64, vcc_lo, v6, v54
	v_add_co_ci_u32_e64 v65, null, 0, v7, vcc_lo
	v_add_co_u32 v66, vcc_lo, v6, v66
	v_add_co_ci_u32_e64 v67, null, 0, v7, vcc_lo
	s_clause 0x1
	flat_load_ushort v54, v[64:65]
	flat_load_ushort v146, v[66:67]
	s_waitcnt vmcnt(28) lgkmcnt(28)
	v_cmp_lt_u16_e32 vcc_lo, v194, v195
	s_waitcnt vmcnt(26) lgkmcnt(26)
	v_cmp_lt_u16_e64 s5, v196, v198
	v_cmp_lt_u16_e64 s4, v71, v177
	s_waitcnt vmcnt(24) lgkmcnt(24)
	v_cmp_lt_u16_e64 s6, v212, v213
	v_cndmask_b32_e32 v177, v144, v165, vcc_lo
	v_cndmask_b32_e32 v144, v165, v144, vcc_lo
	v_cndmask_b32_e64 v194, v145, v179, s5
	v_cndmask_b32_e64 v148, v55, v51, s4
	;; [unrolled: 1-line block ×3, first 2 shown]
	v_lshlrev_b32_sdwa v66, v50, v177 dst_sel:DWORD dst_unused:UNUSED_PAD src0_sel:DWORD src1_sel:WORD_0
	v_cndmask_b32_e64 v145, v179, v145, s5
	v_lshlrev_b32_sdwa v68, v50, v194 dst_sel:DWORD dst_unused:UNUSED_PAD src0_sel:DWORD src1_sel:WORD_0
	v_lshlrev_b32_sdwa v64, v50, v148 dst_sel:DWORD dst_unused:UNUSED_PAD src0_sel:DWORD src1_sel:WORD_0
	;; [unrolled: 1-line block ×3, first 2 shown]
	v_cndmask_b32_e64 v149, v180, v149, s6
	v_lshlrev_b32_sdwa v116, v50, v144 dst_sel:DWORD dst_unused:UNUSED_PAD src0_sel:DWORD src1_sel:WORD_0
	v_lshlrev_b32_sdwa v117, v50, v145 dst_sel:DWORD dst_unused:UNUSED_PAD src0_sel:DWORD src1_sel:WORD_0
	v_add_co_u32 v64, vcc_lo, v6, v64
	v_add_co_ci_u32_e64 v65, null, 0, v7, vcc_lo
	v_add_co_u32 v66, vcc_lo, v6, v66
	v_add_co_ci_u32_e64 v67, null, 0, v7, vcc_lo
	;; [unrolled: 2-line block ×4, first 2 shown]
	v_lshlrev_b32_sdwa v118, v50, v149 dst_sel:DWORD dst_unused:UNUSED_PAD src0_sel:DWORD src1_sel:WORD_0
	s_waitcnt vmcnt(22) lgkmcnt(22)
	v_cmp_lt_u16_e32 vcc_lo, v100, v82
	s_waitcnt vmcnt(20) lgkmcnt(20)
	v_cmp_lt_u16_e64 s5, v83, v101
	s_waitcnt vmcnt(18) lgkmcnt(18)
	v_cmp_lt_u16_e64 s6, v102, v103
	v_cndmask_b32_e32 v165, v151, v181, vcc_lo
	s_waitcnt vmcnt(16) lgkmcnt(16)
	v_cmp_lt_u16_e64 s7, v112, v113
	v_cndmask_b32_e64 v179, v166, v150, s5
	s_waitcnt vmcnt(14) lgkmcnt(14)
	v_cmp_lt_u16_e64 s10, v114, v80
	v_add_co_u32 v80, s17, v6, v116
	s_waitcnt vmcnt(12) lgkmcnt(12)
	v_cmp_lt_u16_e64 s11, v81, v84
	v_add_co_ci_u32_e64 v81, null, 0, v7, s17
	v_add_co_u32 v82, s17, v6, v117
	s_waitcnt vmcnt(10) lgkmcnt(10)
	v_cmp_lt_u16_e64 s14, v85, v86
	s_waitcnt vmcnt(8) lgkmcnt(8)
	v_cmp_lt_u16_e64 s15, v87, v96
	;; [unrolled: 2-line block ×3, first 2 shown]
	v_add_co_ci_u32_e64 v83, null, 0, v7, s17
	v_add_co_u32 v84, s17, v6, v118
	v_cndmask_b32_e64 v180, v167, v162, s6
	v_add_co_ci_u32_e64 v85, null, 0, v7, s17
	v_cndmask_b32_e64 v198, v160, v178, s10
	v_cndmask_b32_e32 v151, v181, v151, vcc_lo
	v_cndmask_b32_e64 v160, v178, v160, s10
	s_clause 0x1
	flat_load_ushort v178, v[80:81]
	flat_load_ushort v181, v[64:65]
	v_lshlrev_b32_sdwa v64, v50, v165 dst_sel:DWORD dst_unused:UNUSED_PAD src0_sel:DWORD src1_sel:WORD_0
	v_cndmask_b32_e64 v196, v134, v164, s7
	v_cndmask_b32_e64 v212, v161, v183, s14
	;; [unrolled: 1-line block ×8, first 2 shown]
	s_clause 0x3
	flat_load_ushort v183, v[82:83]
	flat_load_ushort v192, v[66:67]
	;; [unrolled: 1-line block ×4, first 2 shown]
	v_lshlrev_b32_sdwa v66, v50, v179 dst_sel:DWORD dst_unused:UNUSED_PAD src0_sel:DWORD src1_sel:WORD_0
	v_lshlrev_b32_sdwa v68, v50, v180 dst_sel:DWORD dst_unused:UNUSED_PAD src0_sel:DWORD src1_sel:WORD_0
	v_cndmask_b32_e64 v211, v135, v182, s11
	v_cndmask_b32_e64 v150, v150, v166, s5
	v_add_co_u32 v64, s5, v6, v64
	v_lshlrev_b32_sdwa v80, v50, v196 dst_sel:DWORD dst_unused:UNUSED_PAD src0_sel:DWORD src1_sel:WORD_0
	v_add_co_ci_u32_e64 v65, null, 0, v7, s5
	v_add_co_u32 v66, s5, v6, v66
	v_lshlrev_b32_sdwa v82, v50, v198 dst_sel:DWORD dst_unused:UNUSED_PAD src0_sel:DWORD src1_sel:WORD_0
	v_add_co_ci_u32_e64 v67, null, 0, v7, s5
	;; [unrolled: 3-line block ×6, first 2 shown]
	v_add_co_u32 v86, s5, v6, v86
	v_lshlrev_b32_sdwa v100, v50, v151 dst_sel:DWORD dst_unused:UNUSED_PAD src0_sel:DWORD src1_sel:WORD_0
	v_cndmask_b32_e64 v164, v164, v134, s7
	v_add_co_ci_u32_e64 v87, null, 0, v7, s5
	v_add_co_u32 v96, s5, v6, v96
	v_lshlrev_b32_sdwa v102, v50, v150 dst_sel:DWORD dst_unused:UNUSED_PAD src0_sel:DWORD src1_sel:WORD_0
	v_add_co_ci_u32_e64 v97, null, 0, v7, s5
	v_add_co_u32 v98, s5, v6, v98
	v_lshlrev_b32_sdwa v112, v50, v162 dst_sel:DWORD dst_unused:UNUSED_PAD src0_sel:DWORD src1_sel:WORD_0
	v_cndmask_b32_e64 v166, v182, v135, s11
	s_waitcnt vmcnt(10) lgkmcnt(10)
	v_cmp_lt_u16_e32 vcc_lo, v99, v115
	v_add_co_ci_u32_e64 v99, null, 0, v7, s5
	v_add_co_u32 v100, s5, v6, v100
	v_lshlrev_b32_sdwa v114, v50, v164 dst_sel:DWORD dst_unused:UNUSED_PAD src0_sel:DWORD src1_sel:WORD_0
	v_add_co_ci_u32_e64 v101, null, 0, v7, s5
	v_add_co_u32 v102, s5, v6, v102
	v_lshlrev_b32_sdwa v116, v50, v160 dst_sel:DWORD dst_unused:UNUSED_PAD src0_sel:DWORD src1_sel:WORD_0
	;; [unrolled: 3-line block ×4, first 2 shown]
	v_cndmask_b32_e32 v182, v199, v209, vcc_lo
	v_add_co_ci_u32_e64 v115, null, 0, v7, s5
	v_add_co_u32 v116, s5, v6, v116
	v_lshlrev_b32_sdwa v130, v50, v167 dst_sel:DWORD dst_unused:UNUSED_PAD src0_sel:DWORD src1_sel:WORD_0
	v_add_co_ci_u32_e64 v117, null, 0, v7, s5
	v_add_co_u32 v118, s5, v6, v118
	v_lshlrev_b32_sdwa v132, v50, v176 dst_sel:DWORD dst_unused:UNUSED_PAD src0_sel:DWORD src1_sel:WORD_0
	;; [unrolled: 3-line block ×3, first 2 shown]
	v_add_co_ci_u32_e64 v129, null, 0, v7, s5
	v_add_co_u32 v130, s5, v6, v130
	v_add_co_ci_u32_e64 v131, null, 0, v7, s5
	v_add_co_u32 v132, s5, v6, v132
	;; [unrolled: 2-line block ×3, first 2 shown]
	v_add_co_ci_u32_e64 v135, null, 0, v7, s5
	s_clause 0x13
	flat_load_ushort v100, v[100:101]
	flat_load_ushort v101, v[70:71]
	;; [unrolled: 1-line block ×20, first 2 shown]
	s_waitcnt vmcnt(28) lgkmcnt(28)
	v_cmp_lt_u16_e64 s5, v208, v210
	v_cndmask_b32_e32 v199, v209, v199, vcc_lo
	v_cndmask_b32_e64 v208, v147, v163, s5
	v_lshlrev_b32_sdwa v66, v50, v199 dst_sel:DWORD dst_unused:UNUSED_PAD src0_sel:DWORD src1_sel:WORD_0
	v_cndmask_b32_e64 v163, v163, v147, s5
	v_lshlrev_b32_sdwa v64, v50, v208 dst_sel:DWORD dst_unused:UNUSED_PAD src0_sel:DWORD src1_sel:WORD_0
	v_add_co_u32 v64, vcc_lo, v6, v64
	v_add_co_ci_u32_e64 v65, null, 0, v7, vcc_lo
	v_add_co_u32 v66, vcc_lo, v6, v66
	v_add_co_ci_u32_e64 v67, null, 0, v7, vcc_lo
	s_clause 0x1
	flat_load_ushort v99, v[64:65]
	flat_load_ushort v117, v[66:67]
	s_waitcnt vmcnt(28) lgkmcnt(28)
	v_cmp_lt_u16_e32 vcc_lo, v54, v146
	v_lshlrev_b32_sdwa v66, v50, v163 dst_sel:DWORD dst_unused:UNUSED_PAD src0_sel:DWORD src1_sel:WORD_0
	v_cndmask_b32_e32 v209, v53, v52, vcc_lo
	v_lshlrev_b32_sdwa v54, v50, v209 dst_sel:DWORD dst_unused:UNUSED_PAD src0_sel:DWORD src1_sel:WORD_0
	v_add_co_u32 v64, s5, v6, v54
	v_add_co_ci_u32_e64 v65, null, 0, v7, s5
	v_add_co_u32 v66, s5, v6, v66
	v_add_co_ci_u32_e64 v67, null, 0, v7, s5
	s_clause 0x1
	flat_load_ushort v210, v[64:65]
	flat_load_ushort v215, v[66:67]
	v_cndmask_b32_e64 v54, v51, v55, s4
	v_lshlrev_b32_sdwa v51, v50, v54 dst_sel:DWORD dst_unused:UNUSED_PAD src0_sel:DWORD src1_sel:WORD_0
	v_add_co_u32 v64, s4, v6, v51
	v_add_co_ci_u32_e64 v65, null, 0, v7, s4
	s_waitcnt vmcnt(28) lgkmcnt(28)
	v_cmp_lt_u16_e64 s4, v178, v181
	v_cndmask_b32_e64 v178, v144, v148, s4
	v_cndmask_b32_e64 v55, v148, v144, s4
	s_waitcnt vmcnt(26) lgkmcnt(26)
	v_cmp_lt_u16_e64 s5, v183, v192
	s_waitcnt vmcnt(24) lgkmcnt(24)
	v_cmp_lt_u16_e64 s6, v193, v197
	v_lshlrev_b32_sdwa v51, v50, v178 dst_sel:DWORD dst_unused:UNUSED_PAD src0_sel:DWORD src1_sel:WORD_0
	v_lshlrev_b32_sdwa v118, v50, v55 dst_sel:DWORD dst_unused:UNUSED_PAD src0_sel:DWORD src1_sel:WORD_0
	v_cndmask_b32_e64 v181, v145, v177, s5
	v_cndmask_b32_e64 v148, v177, v145, s5
	;; [unrolled: 1-line block ×3, first 2 shown]
	v_add_co_u32 v66, s4, v6, v51
	v_lshlrev_b32_sdwa v68, v50, v181 dst_sel:DWORD dst_unused:UNUSED_PAD src0_sel:DWORD src1_sel:WORD_0
	v_add_co_ci_u32_e64 v67, null, 0, v7, s4
	v_lshlrev_b32_sdwa v70, v50, v183 dst_sel:DWORD dst_unused:UNUSED_PAD src0_sel:DWORD src1_sel:WORD_0
	v_cndmask_b32_e64 v149, v194, v149, s6
	v_add_co_u32 v68, s4, v6, v68
	v_add_co_ci_u32_e64 v69, null, 0, v7, s4
	v_add_co_u32 v70, s4, v6, v70
	v_lshlrev_b32_sdwa v119, v50, v148 dst_sel:DWORD dst_unused:UNUSED_PAD src0_sel:DWORD src1_sel:WORD_0
	v_add_co_ci_u32_e64 v71, null, 0, v7, s4
	v_lshlrev_b32_sdwa v51, v50, v149 dst_sel:DWORD dst_unused:UNUSED_PAD src0_sel:DWORD src1_sel:WORD_0
	s_waitcnt vmcnt(22) lgkmcnt(22)
	v_cmp_lt_u16_e64 s4, v100, v101
	s_waitcnt vmcnt(20) lgkmcnt(20)
	v_cmp_lt_u16_e64 s5, v102, v103
	;; [unrolled: 2-line block ×3, first 2 shown]
	v_cndmask_b32_e64 v177, v151, v195, s4
	s_waitcnt vmcnt(16) lgkmcnt(16)
	v_cmp_lt_u16_e64 s7, v114, v115
	v_cndmask_b32_e64 v192, v150, v165, s5
	s_waitcnt vmcnt(14) lgkmcnt(14)
	v_cmp_lt_u16_e64 s10, v116, v80
	v_add_co_u32 v80, s18, v6, v118
	s_waitcnt vmcnt(12) lgkmcnt(12)
	v_cmp_lt_u16_e64 s11, v81, v82
	v_add_co_ci_u32_e64 v81, null, 0, v7, s18
	v_add_co_u32 v82, s18, v6, v119
	s_waitcnt vmcnt(10) lgkmcnt(10)
	v_cmp_lt_u16_e64 s14, v83, v84
	s_waitcnt vmcnt(8) lgkmcnt(8)
	v_cmp_lt_u16_e64 s15, v85, v86
	;; [unrolled: 2-line block ×4, first 2 shown]
	v_add_co_ci_u32_e64 v83, null, 0, v7, s18
	v_add_co_u32 v84, s18, v6, v51
	v_cndmask_b32_e64 v193, v162, v179, s6
	v_add_co_ci_u32_e64 v85, null, 0, v7, s18
	v_lshlrev_b32_sdwa v51, v50, v177 dst_sel:DWORD dst_unused:UNUSED_PAD src0_sel:DWORD src1_sel:WORD_0
	v_cndmask_b32_e64 v194, v164, v180, s7
	v_cndmask_b32_e64 v224, v166, v198, s11
	;; [unrolled: 1-line block ×13, first 2 shown]
	s_clause 0x3
	flat_load_ushort v179, v[80:81]
	flat_load_ushort v180, v[64:65]
	;; [unrolled: 1-line block ×4, first 2 shown]
	v_lshlrev_b32_sdwa v66, v50, v192 dst_sel:DWORD dst_unused:UNUSED_PAD src0_sel:DWORD src1_sel:WORD_0
	v_cndmask_b32_e64 v197, v160, v196, s10
	v_cndmask_b32_e64 v225, v161, v211, s14
	;; [unrolled: 1-line block ×3, first 2 shown]
	s_clause 0x1
	flat_load_ushort v198, v[84:85]
	flat_load_ushort v211, v[68:69]
	v_lshlrev_b32_sdwa v68, v50, v193 dst_sel:DWORD dst_unused:UNUSED_PAD src0_sel:DWORD src1_sel:WORD_0
	v_add_co_u32 v64, s5, v6, v51
	v_lshlrev_b32_sdwa v80, v50, v194 dst_sel:DWORD dst_unused:UNUSED_PAD src0_sel:DWORD src1_sel:WORD_0
	v_add_co_ci_u32_e64 v65, null, 0, v7, s5
	v_add_co_u32 v66, s5, v6, v66
	v_lshlrev_b32_sdwa v82, v50, v197 dst_sel:DWORD dst_unused:UNUSED_PAD src0_sel:DWORD src1_sel:WORD_0
	v_add_co_ci_u32_e64 v67, null, 0, v7, s5
	v_add_co_u32 v68, s5, v6, v68
	v_lshlrev_b32_sdwa v84, v50, v224 dst_sel:DWORD dst_unused:UNUSED_PAD src0_sel:DWORD src1_sel:WORD_0
	v_add_co_ci_u32_e64 v69, null, 0, v7, s5
	v_add_co_u32 v80, s5, v6, v80
	v_lshlrev_b32_sdwa v86, v50, v225 dst_sel:DWORD dst_unused:UNUSED_PAD src0_sel:DWORD src1_sel:WORD_0
	v_add_co_ci_u32_e64 v81, null, 0, v7, s5
	v_add_co_u32 v82, s5, v6, v82
	v_lshlrev_b32_sdwa v96, v50, v226 dst_sel:DWORD dst_unused:UNUSED_PAD src0_sel:DWORD src1_sel:WORD_0
	v_add_co_ci_u32_e64 v83, null, 0, v7, s5
	v_add_co_u32 v84, s5, v6, v84
	v_lshlrev_b32_sdwa v98, v50, v228 dst_sel:DWORD dst_unused:UNUSED_PAD src0_sel:DWORD src1_sel:WORD_0
	v_add_co_ci_u32_e64 v85, null, 0, v7, s5
	v_add_co_u32 v86, s5, v6, v86
	v_lshlrev_b32_sdwa v100, v50, v227 dst_sel:DWORD dst_unused:UNUSED_PAD src0_sel:DWORD src1_sel:WORD_0
	v_add_co_ci_u32_e64 v87, null, 0, v7, s5
	v_add_co_u32 v96, s5, v6, v96
	v_lshlrev_b32_sdwa v102, v50, v151 dst_sel:DWORD dst_unused:UNUSED_PAD src0_sel:DWORD src1_sel:WORD_0
	v_add_co_ci_u32_e64 v97, null, 0, v7, s5
	v_add_co_u32 v98, s5, v6, v98
	v_lshlrev_b32_sdwa v112, v50, v150 dst_sel:DWORD dst_unused:UNUSED_PAD src0_sel:DWORD src1_sel:WORD_0
	v_cndmask_b32_e64 v160, v196, v160, s10
	s_waitcnt vmcnt(8) lgkmcnt(8)
	v_cmp_lt_u16_e64 s4, v99, v117
	v_add_co_ci_u32_e64 v99, null, 0, v7, s5
	v_add_co_u32 v100, s5, v6, v100
	v_lshlrev_b32_sdwa v51, v50, v162 dst_sel:DWORD dst_unused:UNUSED_PAD src0_sel:DWORD src1_sel:WORD_0
	v_add_co_ci_u32_e64 v101, null, 0, v7, s5
	v_add_co_u32 v102, s5, v6, v102
	v_lshlrev_b32_sdwa v116, v50, v164 dst_sel:DWORD dst_unused:UNUSED_PAD src0_sel:DWORD src1_sel:WORD_0
	;; [unrolled: 3-line block ×5, first 2 shown]
	v_cndmask_b32_e64 v196, v199, v208, s4
	v_add_co_ci_u32_e64 v117, null, 0, v7, s5
	v_add_co_u32 v118, s5, v6, v118
	v_lshlrev_b32_sdwa v132, v50, v166 dst_sel:DWORD dst_unused:UNUSED_PAD src0_sel:DWORD src1_sel:WORD_0
	v_add_co_ci_u32_e64 v119, null, 0, v7, s5
	v_add_co_u32 v128, s5, v6, v128
	v_lshlrev_b32_sdwa v134, v50, v167 dst_sel:DWORD dst_unused:UNUSED_PAD src0_sel:DWORD src1_sel:WORD_0
	;; [unrolled: 3-line block ×4, first 2 shown]
	v_add_co_ci_u32_e64 v133, null, 0, v7, s5
	v_add_co_u32 v134, s5, v6, v134
	v_add_co_ci_u32_e64 v135, null, 0, v7, s5
	v_add_co_u32 v144, s5, v6, v144
	;; [unrolled: 2-line block ×3, first 2 shown]
	v_add_co_ci_u32_e64 v147, null, 0, v7, s5
	s_waitcnt vmcnt(6) lgkmcnt(6)
	v_cmp_lt_u16_e64 s5, v210, v215
	v_cndmask_b32_e64 v199, v208, v199, s4
	s_clause 0x15
	flat_load_ushort v102, v[102:103]
	flat_load_ushort v103, v[70:71]
	;; [unrolled: 1-line block ×22, first 2 shown]
	v_cndmask_b32_e64 v210, v163, v209, s5
	v_lshlrev_b32_sdwa v66, v50, v199 dst_sel:DWORD dst_unused:UNUSED_PAD src0_sel:DWORD src1_sel:WORD_0
	v_lshlrev_b32_sdwa v51, v50, v210 dst_sel:DWORD dst_unused:UNUSED_PAD src0_sel:DWORD src1_sel:WORD_0
	v_add_co_u32 v64, s4, v6, v51
	v_add_co_ci_u32_e64 v65, null, 0, v7, s4
	v_add_co_u32 v66, s4, v6, v66
	v_add_co_ci_u32_e64 v67, null, 0, v7, s4
	s_clause 0x1
	flat_load_ushort v64, v[64:65]
	flat_load_ushort v101, v[66:67]
	v_cndmask_b32_e32 v51, v52, v53, vcc_lo
	v_cndmask_b32_e64 v53, v209, v163, s5
	v_lshlrev_b32_sdwa v52, v50, v51 dst_sel:DWORD dst_unused:UNUSED_PAD src0_sel:DWORD src1_sel:WORD_0
	v_lshlrev_b32_sdwa v65, v50, v53 dst_sel:DWORD dst_unused:UNUSED_PAD src0_sel:DWORD src1_sel:WORD_0
	v_add_co_u32 v66, vcc_lo, v6, v52
	v_add_co_ci_u32_e64 v67, null, 0, v7, vcc_lo
	v_add_co_u32 v68, vcc_lo, v6, v65
	v_add_co_ci_u32_e64 v69, null, 0, v7, vcc_lo
	s_waitcnt vmcnt(28) lgkmcnt(28)
	v_cmp_lt_u16_e32 vcc_lo, v179, v180
	s_waitcnt vmcnt(26) lgkmcnt(26)
	v_cmp_lt_u16_e64 s4, v182, v195
	v_cndmask_b32_e32 v179, v55, v54, vcc_lo
	s_waitcnt vmcnt(24) lgkmcnt(24)
	v_cmp_lt_u16_e64 s5, v198, v211
	v_cndmask_b32_e64 v180, v148, v178, s4
	v_cndmask_b32_e64 v178, v178, v148, s4
	v_lshlrev_b32_sdwa v52, v50, v179 dst_sel:DWORD dst_unused:UNUSED_PAD src0_sel:DWORD src1_sel:WORD_0
	v_cndmask_b32_e64 v182, v149, v181, s5
	v_lshlrev_b32_sdwa v65, v50, v180 dst_sel:DWORD dst_unused:UNUSED_PAD src0_sel:DWORD src1_sel:WORD_0
	v_cndmask_b32_e64 v181, v181, v149, s5
	v_add_co_u32 v70, s4, v6, v52
	v_lshlrev_b32_sdwa v82, v50, v182 dst_sel:DWORD dst_unused:UNUSED_PAD src0_sel:DWORD src1_sel:WORD_0
	v_add_co_ci_u32_e64 v71, null, 0, v7, s4
	v_add_co_u32 v80, s4, v6, v65
	v_add_co_ci_u32_e64 v81, null, 0, v7, s4
	v_add_co_u32 v82, s4, v6, v82
	v_add_co_ci_u32_e64 v83, null, 0, v7, s4
	v_lshlrev_b32_sdwa v131, v50, v178 dst_sel:DWORD dst_unused:UNUSED_PAD src0_sel:DWORD src1_sel:WORD_0
	v_lshlrev_b32_sdwa v52, v50, v181 dst_sel:DWORD dst_unused:UNUSED_PAD src0_sel:DWORD src1_sel:WORD_0
	s_waitcnt vmcnt(22) lgkmcnt(22)
	v_cmp_lt_u16_e64 s4, v102, v103
	s_waitcnt vmcnt(20) lgkmcnt(20)
	v_cmp_lt_u16_e64 s5, v112, v113
	;; [unrolled: 2-line block ×3, first 2 shown]
	v_cndmask_b32_e64 v195, v151, v183, s4
	s_waitcnt vmcnt(16) lgkmcnt(16)
	v_cmp_lt_u16_e64 s7, v116, v117
	v_cndmask_b32_e64 v198, v150, v177, s5
	s_waitcnt vmcnt(14) lgkmcnt(14)
	v_cmp_lt_u16_e64 s10, v118, v119
	;; [unrolled: 3-line block ×4, first 2 shown]
	v_add_co_u32 v84, s19, v6, v131
	s_waitcnt vmcnt(8) lgkmcnt(8)
	v_cmp_lt_u16_e64 s15, v85, v86
	s_waitcnt vmcnt(6) lgkmcnt(6)
	v_cmp_lt_u16_e64 s16, v87, v96
	v_add_co_ci_u32_e64 v85, null, 0, v7, s19
	s_waitcnt vmcnt(4) lgkmcnt(4)
	v_cmp_lt_u16_e64 s17, v97, v98
	s_waitcnt vmcnt(2) lgkmcnt(2)
	v_cmp_lt_u16_e64 s18, v99, v100
	v_add_co_u32 v86, s19, v6, v52
	v_lshlrev_b32_sdwa v52, v50, v195 dst_sel:DWORD dst_unused:UNUSED_PAD src0_sel:DWORD src1_sel:WORD_0
	v_cndmask_b32_e64 v183, v183, v151, s4
	v_cndmask_b32_e64 v211, v160, v194, s10
	v_add_co_ci_u32_e64 v87, null, 0, v7, s19
	v_cndmask_b32_e64 v212, v165, v197, s11
	v_cndmask_b32_e64 v213, v161, v224, s14
	;; [unrolled: 1-line block ×14, first 2 shown]
	s_clause 0x5
	flat_load_ushort v176, v[66:67]
	flat_load_ushort v196, v[68:69]
	;; [unrolled: 1-line block ×6, first 2 shown]
	s_waitcnt vmcnt(6) lgkmcnt(6)
	v_cmp_lt_u16_e64 s4, v64, v101
	v_lshlrev_b32_sdwa v64, v50, v198 dst_sel:DWORD dst_unused:UNUSED_PAD src0_sel:DWORD src1_sel:WORD_0
	v_lshlrev_b32_sdwa v71, v50, v208 dst_sel:DWORD dst_unused:UNUSED_PAD src0_sel:DWORD src1_sel:WORD_0
	v_cndmask_b32_e64 v177, v177, v150, s5
	v_add_co_u32 v67, s5, v6, v52
	v_lshlrev_b32_sdwa v84, v50, v209 dst_sel:DWORD dst_unused:UNUSED_PAD src0_sel:DWORD src1_sel:WORD_0
	v_add_co_ci_u32_e64 v68, null, 0, v7, s5
	v_add_co_u32 v69, s5, v6, v64
	v_lshlrev_b32_sdwa v86, v50, v211 dst_sel:DWORD dst_unused:UNUSED_PAD src0_sel:DWORD src1_sel:WORD_0
	v_add_co_ci_u32_e64 v70, null, 0, v7, s5
	;; [unrolled: 3-line block ×7, first 2 shown]
	v_add_co_u32 v100, s5, v6, v100
	v_lshlrev_b32_sdwa v114, v50, v229 dst_sel:DWORD dst_unused:UNUSED_PAD src0_sel:DWORD src1_sel:WORD_0
	v_cndmask_b32_e64 v192, v192, v162, s6
	v_add_co_ci_u32_e64 v101, null, 0, v7, s5
	v_add_co_u32 v102, s5, v6, v102
	v_lshlrev_b32_sdwa v116, v50, v183 dst_sel:DWORD dst_unused:UNUSED_PAD src0_sel:DWORD src1_sel:WORD_0
	v_add_co_ci_u32_e64 v103, null, 0, v7, s5
	v_add_co_u32 v112, s5, v6, v112
	v_lshlrev_b32_sdwa v118, v50, v177 dst_sel:DWORD dst_unused:UNUSED_PAD src0_sel:DWORD src1_sel:WORD_0
	;; [unrolled: 3-line block ×8, first 2 shown]
	v_cndmask_b32_e64 v66, v199, v210, s4
	v_add_co_ci_u32_e64 v133, null, 0, v7, s5
	v_add_co_u32 v134, s5, v6, v134
	v_lshlrev_b32_sdwa v148, v50, v167 dst_sel:DWORD dst_unused:UNUSED_PAD src0_sel:DWORD src1_sel:WORD_0
	v_add_co_ci_u32_e64 v135, null, 0, v7, s5
	v_add_co_u32 v144, s5, v6, v144
	v_lshlrev_b32_sdwa v150, v50, v197 dst_sel:DWORD dst_unused:UNUSED_PAD src0_sel:DWORD src1_sel:WORD_0
	;; [unrolled: 3-line block ×4, first 2 shown]
	v_add_co_ci_u32_e64 v149, null, 0, v7, s5
	v_add_co_u32 v150, s5, v6, v150
	v_add_co_ci_u32_e64 v151, null, 0, v7, s5
	v_add_co_u32 v160, s5, v6, v160
	;; [unrolled: 2-line block ×3, first 2 shown]
	v_add_co_ci_u32_e64 v163, null, 0, v7, s5
	s_clause 0x17
	flat_load_ushort v64, v[116:117]
	flat_load_ushort v116, v[82:83]
	;; [unrolled: 1-line block ×24, first 2 shown]
	v_cndmask_b32_e32 v52, v54, v55, vcc_lo
	v_lshlrev_b32_sdwa v55, v50, v52 dst_sel:DWORD dst_unused:UNUSED_PAD src0_sel:DWORD src1_sel:WORD_0
	v_add_co_u32 v68, s5, v6, v55
	v_add_co_ci_u32_e64 v69, null, 0, v7, s5
	s_waitcnt vmcnt(28) lgkmcnt(28)
	v_cmp_lt_u16_e32 vcc_lo, v176, v196
	v_cndmask_b32_e64 v176, v210, v199, s4
	s_waitcnt vmcnt(24) lgkmcnt(24)
	v_cmp_lt_u16_e64 s5, v226, v227
	v_cndmask_b32_e32 v54, v53, v51, vcc_lo
	v_lshlrev_b32_sdwa v80, v50, v176 dst_sel:DWORD dst_unused:UNUSED_PAD src0_sel:DWORD src1_sel:WORD_0
	v_cndmask_b32_e32 v51, v51, v53, vcc_lo
	v_cndmask_b32_e64 v199, v181, v180, s5
	v_lshlrev_b32_sdwa v70, v50, v54 dst_sel:DWORD dst_unused:UNUSED_PAD src0_sel:DWORD src1_sel:WORD_0
	v_lshlrev_b32_sdwa v53, v50, v51 dst_sel:DWORD dst_unused:UNUSED_PAD src0_sel:DWORD src1_sel:WORD_0
	;; [unrolled: 1-line block ×3, first 2 shown]
	v_add_co_u32 v70, s4, v6, v70
	v_add_co_ci_u32_e64 v71, null, 0, v7, s4
	v_cmp_lt_u16_e64 s4, v224, v225
	v_cndmask_b32_e64 v55, v179, v178, s4
	v_cndmask_b32_e64 v196, v178, v179, s4
	v_cndmask_b32_e64 v178, v180, v181, s5
	v_add_co_u32 v80, s4, v6, v80
	v_lshlrev_b32_sdwa v115, v50, v55 dst_sel:DWORD dst_unused:UNUSED_PAD src0_sel:DWORD src1_sel:WORD_0
	v_lshlrev_b32_sdwa v82, v50, v196 dst_sel:DWORD dst_unused:UNUSED_PAD src0_sel:DWORD src1_sel:WORD_0
	;; [unrolled: 1-line block ×3, first 2 shown]
	v_add_co_ci_u32_e64 v81, null, 0, v7, s4
	v_add_co_u32 v82, s4, v6, v82
	v_add_co_ci_u32_e64 v83, null, 0, v7, s4
	v_add_co_u32 v84, s4, v6, v84
	v_add_co_ci_u32_e64 v85, null, 0, v7, s4
	s_waitcnt vmcnt(22) lgkmcnt(22)
	v_cmp_lt_u16_e64 s5, v64, v116
	s_waitcnt vmcnt(20) lgkmcnt(20)
	v_cmp_lt_u16_e64 s6, v117, v67
	;; [unrolled: 2-line block ×3, first 2 shown]
	v_cndmask_b32_e64 v179, v183, v182, s5
	s_waitcnt vmcnt(16) lgkmcnt(16)
	v_cmp_lt_u16_e64 s10, v128, v129
	v_cndmask_b32_e64 v180, v177, v195, s6
	s_waitcnt vmcnt(14) lgkmcnt(14)
	v_cmp_lt_u16_e64 s11, v130, v131
	;; [unrolled: 3-line block ×3, first 2 shown]
	v_add_co_u32 v86, s20, v6, v115
	s_waitcnt vmcnt(10) lgkmcnt(10)
	v_cmp_lt_u16_e64 s15, v87, v96
	v_add_co_ci_u32_e64 v87, null, 0, v7, s20
	v_add_co_u32 v96, s20, v6, v133
	s_waitcnt vmcnt(4) lgkmcnt(4)
	v_cmp_lt_u16_e64 s18, v101, v102
	v_cmp_lt_u16_e64 s16, v97, v98
	v_add_co_ci_u32_e64 v97, null, 0, v7, s20
	v_cndmask_b32_e64 v210, v164, v208, s10
	v_cndmask_b32_e64 v224, v193, v209, s11
	;; [unrolled: 1-line block ×13, first 2 shown]
	s_clause 0x5
	flat_load_ushort v195, v[70:71]
	flat_load_ushort v197, v[80:81]
	;; [unrolled: 1-line block ×6, first 2 shown]
	v_lshlrev_b32_sdwa v68, v50, v179 dst_sel:DWORD dst_unused:UNUSED_PAD src0_sel:DWORD src1_sel:WORD_0
	v_lshlrev_b32_sdwa v70, v50, v180 dst_sel:DWORD dst_unused:UNUSED_PAD src0_sel:DWORD src1_sel:WORD_0
	;; [unrolled: 1-line block ×3, first 2 shown]
	v_cmp_lt_u16_e64 s17, v99, v100
	v_lshlrev_b32_sdwa v82, v50, v210 dst_sel:DWORD dst_unused:UNUSED_PAD src0_sel:DWORD src1_sel:WORD_0
	v_add_co_u32 v68, s5, v6, v68
	v_add_co_ci_u32_e64 v69, null, 0, v7, s5
	v_add_co_u32 v70, s5, v6, v70
	s_waitcnt vmcnt(8) lgkmcnt(8)
	v_cmp_lt_u16_e64 s19, v103, v112
	v_lshlrev_b32_sdwa v86, v50, v224 dst_sel:DWORD dst_unused:UNUSED_PAD src0_sel:DWORD src1_sel:WORD_0
	v_cndmask_b32_e64 v227, v166, v213, s16
	v_add_co_ci_u32_e64 v71, null, 0, v7, s5
	v_add_co_u32 v80, s5, v6, v80
	v_lshlrev_b32_sdwa v96, v50, v225 dst_sel:DWORD dst_unused:UNUSED_PAD src0_sel:DWORD src1_sel:WORD_0
	v_cndmask_b32_e64 v228, v167, v214, s17
	v_add_co_ci_u32_e64 v81, null, 0, v7, s5
	v_add_co_u32 v82, s5, v6, v82
	s_waitcnt vmcnt(6) lgkmcnt(6)
	v_cmp_lt_u16_e64 s4, v113, v114
	v_lshlrev_b32_sdwa v98, v50, v226 dst_sel:DWORD dst_unused:UNUSED_PAD src0_sel:DWORD src1_sel:WORD_0
	v_cndmask_b32_e64 v240, v229, v230, s19
	v_add_co_ci_u32_e64 v83, null, 0, v7, s5
	v_add_co_u32 v86, s5, v6, v86
	v_lshlrev_b32_sdwa v100, v50, v227 dst_sel:DWORD dst_unused:UNUSED_PAD src0_sel:DWORD src1_sel:WORD_0
	v_add_co_ci_u32_e64 v87, null, 0, v7, s5
	v_add_co_u32 v96, s5, v6, v96
	v_lshlrev_b32_sdwa v102, v50, v228 dst_sel:DWORD dst_unused:UNUSED_PAD src0_sel:DWORD src1_sel:WORD_0
	v_cndmask_b32_e64 v64, v65, v66, s4
	v_add_co_ci_u32_e64 v97, null, 0, v7, s5
	v_add_co_u32 v98, s5, v6, v98
	v_lshlrev_b32_sdwa v112, v50, v240 dst_sel:DWORD dst_unused:UNUSED_PAD src0_sel:DWORD src1_sel:WORD_0
	v_add_co_ci_u32_e64 v99, null, 0, v7, s5
	v_add_co_u32 v100, s5, v6, v100
	v_lshlrev_b32_sdwa v114, v50, v231 dst_sel:DWORD dst_unused:UNUSED_PAD src0_sel:DWORD src1_sel:WORD_0
	;; [unrolled: 3-line block ×8, first 2 shown]
	v_cndmask_b32_e64 v166, v213, v166, s16
	v_add_co_ci_u32_e64 v129, null, 0, v7, s5
	v_add_co_u32 v130, s5, v6, v130
	v_lshlrev_b32_sdwa v144, v50, v165 dst_sel:DWORD dst_unused:UNUSED_PAD src0_sel:DWORD src1_sel:WORD_0
	v_cndmask_b32_e64 v167, v214, v167, s17
	v_add_co_ci_u32_e64 v131, null, 0, v7, s5
	v_add_co_u32 v132, s5, v6, v132
	v_lshlrev_b32_sdwa v146, v50, v193 dst_sel:DWORD dst_unused:UNUSED_PAD src0_sel:DWORD src1_sel:WORD_0
	v_add_co_ci_u32_e64 v133, null, 0, v7, s5
	v_add_co_u32 v134, s5, v6, v134
	v_lshlrev_b32_sdwa v148, v50, v166 dst_sel:DWORD dst_unused:UNUSED_PAD src0_sel:DWORD src1_sel:WORD_0
	v_cndmask_b32_e64 v67, v230, v229, s19
	v_add_co_ci_u32_e64 v135, null, 0, v7, s5
	v_add_co_u32 v144, s5, v6, v144
	v_lshlrev_b32_sdwa v150, v50, v167 dst_sel:DWORD dst_unused:UNUSED_PAD src0_sel:DWORD src1_sel:WORD_0
	v_add_co_ci_u32_e64 v145, null, 0, v7, s5
	v_add_co_u32 v146, s5, v6, v146
	v_lshlrev_b32_sdwa v160, v50, v194 dst_sel:DWORD dst_unused:UNUSED_PAD src0_sel:DWORD src1_sel:WORD_0
	;; [unrolled: 3-line block ×3, first 2 shown]
	v_add_co_ci_u32_e64 v149, null, 0, v7, s5
	v_add_co_u32 v150, s5, v6, v150
	v_add_co_ci_u32_e64 v151, null, 0, v7, s5
	v_add_co_u32 v160, s5, v6, v160
	;; [unrolled: 2-line block ×3, first 2 shown]
	v_add_co_ci_u32_e64 v163, null, 0, v7, s5
	s_clause 0x17
	flat_load_ushort v118, v[118:119]
	flat_load_ushort v84, v[84:85]
	;; [unrolled: 1-line block ×24, first 2 shown]
	v_cndmask_b32_e64 v212, v66, v65, s4
	v_add_co_u32 v68, s4, v6, v53
	v_add_co_ci_u32_e64 v69, null, 0, v7, s4
	v_lshlrev_b32_sdwa v65, v50, v212 dst_sel:DWORD dst_unused:UNUSED_PAD src0_sel:DWORD src1_sel:WORD_0
	v_add_co_u32 v65, s4, v6, v65
	v_add_co_ci_u32_e64 v66, null, 0, v7, s4
	s_waitcnt vmcnt(28) lgkmcnt(28)
	v_cmp_lt_u16_e32 vcc_lo, v195, v197
	s_waitcnt vmcnt(24) lgkmcnt(24)
	v_cmp_lt_u16_e64 s4, v209, v211
	v_cndmask_b32_e32 v195, v176, v54, vcc_lo
	v_cndmask_b32_e32 v54, v54, v176, vcc_lo
	v_lshlrev_b32_sdwa v53, v50, v195 dst_sel:DWORD dst_unused:UNUSED_PAD src0_sel:DWORD src1_sel:WORD_0
	v_add_co_u32 v70, vcc_lo, v6, v53
	v_add_co_ci_u32_e64 v71, null, 0, v7, vcc_lo
	v_cmp_lt_u16_e32 vcc_lo, v198, v208
	v_cndmask_b32_e64 v208, v178, v196, s4
	v_cndmask_b32_e64 v178, v196, v178, s4
	v_lshlrev_b32_sdwa v53, v50, v54 dst_sel:DWORD dst_unused:UNUSED_PAD src0_sel:DWORD src1_sel:WORD_0
	s_clause 0x1
	flat_load_ushort v197, v[70:71]
	flat_load_ushort v198, v[65:66]
	v_cndmask_b32_e32 v176, v55, v52, vcc_lo
	v_lshlrev_b32_sdwa v115, v50, v178 dst_sel:DWORD dst_unused:UNUSED_PAD src0_sel:DWORD src1_sel:WORD_0
	v_add_co_u32 v70, s4, v6, v53
	v_lshlrev_b32_sdwa v65, v50, v176 dst_sel:DWORD dst_unused:UNUSED_PAD src0_sel:DWORD src1_sel:WORD_0
	v_add_co_ci_u32_e64 v71, null, 0, v7, s4
	v_lshlrev_b32_sdwa v53, v50, v208 dst_sel:DWORD dst_unused:UNUSED_PAD src0_sel:DWORD src1_sel:WORD_0
	v_add_co_u32 v80, s4, v6, v65
	v_add_co_ci_u32_e64 v81, null, 0, v7, s4
	v_add_co_u32 v82, s4, v6, v53
	v_add_co_ci_u32_e64 v83, null, 0, v7, s4
	s_waitcnt vmcnt(24) lgkmcnt(24)
	v_cmp_lt_u16_e64 s5, v118, v84
	v_add_co_u32 v84, s20, v6, v115
	s_waitcnt vmcnt(22) lgkmcnt(22)
	v_cmp_lt_u16_e64 s6, v85, v119
	s_waitcnt vmcnt(20) lgkmcnt(20)
	v_cmp_lt_u16_e64 s7, v128, v129
	v_add_co_ci_u32_e64 v85, null, 0, v7, s20
	s_waitcnt vmcnt(18) lgkmcnt(18)
	v_cmp_lt_u16_e64 s10, v130, v131
	s_waitcnt vmcnt(16) lgkmcnt(16)
	v_cmp_lt_u16_e64 s11, v132, v133
	v_cndmask_b32_e64 v196, v182, v199, s5
	v_cndmask_b32_e64 v209, v177, v179, s6
	;; [unrolled: 1-line block ×3, first 2 shown]
	s_waitcnt vmcnt(12) lgkmcnt(12)
	v_cmp_lt_u16_e64 s15, v87, v96
	v_cndmask_b32_e64 v213, v164, v181, s10
	v_cndmask_b32_e64 v214, v192, v210, s11
	;; [unrolled: 1-line block ×5, first 2 shown]
	s_waitcnt vmcnt(6) lgkmcnt(6)
	v_cmp_lt_u16_e64 s18, v101, v102
	v_cndmask_b32_e64 v179, v180, v183, s7
	v_cndmask_b32_e64 v164, v181, v164, s10
	v_cndmask_b32_e64 v180, v210, v192, s11
	v_cndmask_b32_e64 v181, v225, v193, s15
	v_cndmask_b32_e64 v242, v194, v228, s18
	v_cndmask_b32_e64 v183, v228, v194, s18
	s_clause 0x3
	flat_load_ushort v193, v[68:69]
	flat_load_ushort v194, v[70:71]
	;; [unrolled: 1-line block ×4, first 2 shown]
	v_cmp_lt_u16_e64 s14, v134, v86
	v_lshlrev_b32_sdwa v53, v50, v196 dst_sel:DWORD dst_unused:UNUSED_PAD src0_sel:DWORD src1_sel:WORD_0
	v_lshlrev_b32_sdwa v70, v50, v209 dst_sel:DWORD dst_unused:UNUSED_PAD src0_sel:DWORD src1_sel:WORD_0
	v_cmp_lt_u16_e64 s16, v97, v98
	v_lshlrev_b32_sdwa v80, v50, v211 dst_sel:DWORD dst_unused:UNUSED_PAD src0_sel:DWORD src1_sel:WORD_0
	v_cndmask_b32_e64 v215, v165, v224, s14
	v_add_co_u32 v68, s5, v6, v53
	v_cmp_lt_u16_e64 s17, v99, v100
	v_lshlrev_b32_sdwa v84, v50, v213 dst_sel:DWORD dst_unused:UNUSED_PAD src0_sel:DWORD src1_sel:WORD_0
	v_add_co_ci_u32_e64 v69, null, 0, v7, s5
	v_add_co_u32 v70, s5, v6, v70
	v_lshlrev_b32_sdwa v86, v50, v214 dst_sel:DWORD dst_unused:UNUSED_PAD src0_sel:DWORD src1_sel:WORD_0
	v_cndmask_b32_e64 v230, v166, v226, s16
	v_add_co_ci_u32_e64 v71, null, 0, v7, s5
	v_add_co_u32 v80, s5, v6, v80
	s_waitcnt vmcnt(6) lgkmcnt(6)
	v_cmp_lt_u16_e64 s4, v113, v114
	v_lshlrev_b32_sdwa v96, v50, v215 dst_sel:DWORD dst_unused:UNUSED_PAD src0_sel:DWORD src1_sel:WORD_0
	v_cndmask_b32_e64 v241, v167, v227, s17
	v_add_co_ci_u32_e64 v81, null, 0, v7, s5
	v_add_co_u32 v84, s5, v6, v84
	v_cmp_lt_u16_e64 s19, v103, v112
	v_lshlrev_b32_sdwa v98, v50, v229 dst_sel:DWORD dst_unused:UNUSED_PAD src0_sel:DWORD src1_sel:WORD_0
	v_add_co_ci_u32_e64 v85, null, 0, v7, s5
	v_add_co_u32 v86, s5, v6, v86
	v_lshlrev_b32_sdwa v100, v50, v230 dst_sel:DWORD dst_unused:UNUSED_PAD src0_sel:DWORD src1_sel:WORD_0
	v_cndmask_b32_e64 v66, v67, v64, s4
	v_add_co_ci_u32_e64 v87, null, 0, v7, s5
	v_add_co_u32 v96, s5, v6, v96
	v_lshlrev_b32_sdwa v102, v50, v241 dst_sel:DWORD dst_unused:UNUSED_PAD src0_sel:DWORD src1_sel:WORD_0
	v_cndmask_b32_e64 v65, v240, v231, s19
	v_add_co_ci_u32_e64 v97, null, 0, v7, s5
	v_add_co_u32 v98, s5, v6, v98
	v_lshlrev_b32_sdwa v112, v50, v242 dst_sel:DWORD dst_unused:UNUSED_PAD src0_sel:DWORD src1_sel:WORD_0
	v_add_co_ci_u32_e64 v99, null, 0, v7, s5
	v_add_co_u32 v100, s5, v6, v100
	v_lshlrev_b32_sdwa v114, v50, v66 dst_sel:DWORD dst_unused:UNUSED_PAD src0_sel:DWORD src1_sel:WORD_0
	;; [unrolled: 3-line block ×6, first 2 shown]
	v_cndmask_b32_e64 v165, v224, v165, s14
	v_add_co_ci_u32_e64 v117, null, 0, v7, s5
	v_add_co_u32 v118, s5, v6, v118
	v_lshlrev_b32_sdwa v132, v50, v164 dst_sel:DWORD dst_unused:UNUSED_PAD src0_sel:DWORD src1_sel:WORD_0
	v_add_co_ci_u32_e64 v119, null, 0, v7, s5
	v_add_co_u32 v128, s5, v6, v128
	v_lshlrev_b32_sdwa v134, v50, v180 dst_sel:DWORD dst_unused:UNUSED_PAD src0_sel:DWORD src1_sel:WORD_0
	v_cndmask_b32_e64 v166, v226, v166, s16
	v_add_co_ci_u32_e64 v129, null, 0, v7, s5
	v_add_co_u32 v130, s5, v6, v53
	v_lshlrev_b32_sdwa v144, v50, v165 dst_sel:DWORD dst_unused:UNUSED_PAD src0_sel:DWORD src1_sel:WORD_0
	v_cndmask_b32_e64 v167, v227, v167, s17
	v_add_co_ci_u32_e64 v131, null, 0, v7, s5
	v_add_co_u32 v132, s5, v6, v132
	v_lshlrev_b32_sdwa v146, v50, v181 dst_sel:DWORD dst_unused:UNUSED_PAD src0_sel:DWORD src1_sel:WORD_0
	v_add_co_ci_u32_e64 v133, null, 0, v7, s5
	v_add_co_u32 v134, s5, v6, v134
	v_lshlrev_b32_sdwa v148, v50, v166 dst_sel:DWORD dst_unused:UNUSED_PAD src0_sel:DWORD src1_sel:WORD_0
	v_cndmask_b32_e64 v192, v231, v240, s19
	v_add_co_ci_u32_e64 v135, null, 0, v7, s5
	v_add_co_u32 v144, s5, v6, v144
	v_lshlrev_b32_sdwa v150, v50, v167 dst_sel:DWORD dst_unused:UNUSED_PAD src0_sel:DWORD src1_sel:WORD_0
	v_add_co_ci_u32_e64 v145, null, 0, v7, s5
	v_add_co_u32 v146, s5, v6, v146
	v_lshlrev_b32_sdwa v160, v50, v183 dst_sel:DWORD dst_unused:UNUSED_PAD src0_sel:DWORD src1_sel:WORD_0
	;; [unrolled: 3-line block ×3, first 2 shown]
	v_add_co_ci_u32_e64 v149, null, 0, v7, s5
	v_add_co_u32 v150, s5, v6, v150
	v_add_co_ci_u32_e64 v151, null, 0, v7, s5
	v_add_co_u32 v160, s5, v6, v160
	;; [unrolled: 2-line block ×3, first 2 shown]
	v_add_co_ci_u32_e64 v163, null, 0, v7, s5
	s_clause 0x17
	flat_load_ushort v118, v[118:119]
	flat_load_ushort v119, v[82:83]
	;; [unrolled: 1-line block ×24, first 2 shown]
	v_cndmask_b32_e32 v53, v52, v55, vcc_lo
	v_cndmask_b32_e64 v55, v64, v67, s4
	v_lshlrev_b32_sdwa v52, v50, v53 dst_sel:DWORD dst_unused:UNUSED_PAD src0_sel:DWORD src1_sel:WORD_0
	v_add_co_u32 v67, vcc_lo, v6, v52
	v_add_co_ci_u32_e64 v68, null, 0, v7, vcc_lo
	v_lshlrev_b32_sdwa v52, v50, v55 dst_sel:DWORD dst_unused:UNUSED_PAD src0_sel:DWORD src1_sel:WORD_0
	v_add_co_u32 v69, s5, v6, v52
	v_add_co_ci_u32_e64 v70, null, 0, v7, s5
	s_waitcnt vmcnt(28) lgkmcnt(28)
	v_cmp_lt_u16_e64 s4, v197, v198
	v_cndmask_b32_e64 v162, v212, v195, s4
	v_lshlrev_b32_sdwa v64, v50, v162 dst_sel:DWORD dst_unused:UNUSED_PAD src0_sel:DWORD src1_sel:WORD_0
	s_waitcnt vmcnt(26) lgkmcnt(26)
	v_cmp_lt_u16_e32 vcc_lo, v193, v194
	v_cndmask_b32_e64 v193, v195, v212, s4
	v_add_co_u32 v80, s4, v6, v64
	v_add_co_ci_u32_e64 v81, null, 0, v7, s4
	v_cndmask_b32_e32 v163, v54, v51, vcc_lo
	v_lshlrev_b32_sdwa v64, v50, v193 dst_sel:DWORD dst_unused:UNUSED_PAD src0_sel:DWORD src1_sel:WORD_0
	v_lshlrev_b32_sdwa v52, v50, v163 dst_sel:DWORD dst_unused:UNUSED_PAD src0_sel:DWORD src1_sel:WORD_0
	v_add_co_u32 v84, s5, v6, v64
	v_add_co_ci_u32_e64 v85, null, 0, v7, s5
	v_add_co_u32 v82, s4, v6, v52
	v_add_co_ci_u32_e64 v83, null, 0, v7, s4
	s_waitcnt vmcnt(24) lgkmcnt(24)
	v_cmp_lt_u16_e64 s4, v199, v210
	v_cndmask_b32_e64 v194, v178, v176, s4
	v_cndmask_b32_e64 v64, v176, v178, s4
	s_clause 0x3
	flat_load_ushort v176, v[80:81]
	flat_load_ushort v178, v[69:70]
	;; [unrolled: 1-line block ×4, first 2 shown]
	v_lshlrev_b32_sdwa v52, v50, v194 dst_sel:DWORD dst_unused:UNUSED_PAD src0_sel:DWORD src1_sel:WORD_0
	v_lshlrev_b32_sdwa v80, v50, v64 dst_sel:DWORD dst_unused:UNUSED_PAD src0_sel:DWORD src1_sel:WORD_0
	v_add_co_u32 v69, s4, v6, v52
	v_add_co_u32 v80, s20, v6, v80
	v_add_co_ci_u32_e64 v81, null, 0, v7, s20
	v_add_co_ci_u32_e64 v70, null, 0, v7, s4
	s_waitcnt vmcnt(26) lgkmcnt(26)
	v_cmp_lt_u16_e64 s5, v118, v119
	s_waitcnt vmcnt(24) lgkmcnt(24)
	v_cmp_lt_u16_e64 s6, v128, v129
	;; [unrolled: 2-line block ×3, first 2 shown]
	v_cndmask_b32_e64 v198, v182, v208, s5
	v_cndmask_b32_e64 v182, v208, v182, s5
	;; [unrolled: 1-line block ×4, first 2 shown]
	s_clause 0x1
	flat_load_ushort v196, v[80:81]
	flat_load_ushort v208, v[67:68]
	s_waitcnt vmcnt(22) lgkmcnt(22)
	v_cmp_lt_u16_e64 s10, v131, v132
	s_waitcnt vmcnt(20) lgkmcnt(20)
	v_cmp_lt_u16_e64 s11, v133, v134
	v_cndmask_b32_e64 v71, v179, v209, s7
	s_waitcnt vmcnt(18) lgkmcnt(18)
	v_cmp_lt_u16_e64 s14, v135, v86
	v_lshlrev_b32_sdwa v52, v50, v198 dst_sel:DWORD dst_unused:UNUSED_PAD src0_sel:DWORD src1_sel:WORD_0
	v_cndmask_b32_e64 v210, v164, v211, s10
	s_waitcnt vmcnt(16) lgkmcnt(16)
	v_cmp_lt_u16_e64 s15, v87, v96
	v_lshlrev_b32_sdwa v80, v50, v199 dst_sel:DWORD dst_unused:UNUSED_PAD src0_sel:DWORD src1_sel:WORD_0
	;; [unrolled: 4-line block ×3, first 2 shown]
	v_cndmask_b32_e64 v224, v165, v214, s14
	v_add_co_u32 v67, s5, v6, v52
	s_waitcnt vmcnt(12) lgkmcnt(12)
	v_cmp_lt_u16_e64 s17, v99, v100
	v_lshlrev_b32_sdwa v84, v50, v210 dst_sel:DWORD dst_unused:UNUSED_PAD src0_sel:DWORD src1_sel:WORD_0
	v_cndmask_b32_e64 v225, v181, v215, s15
	v_add_co_ci_u32_e64 v68, null, 0, v7, s5
	v_add_co_u32 v80, s5, v6, v80
	s_waitcnt vmcnt(10) lgkmcnt(10)
	v_cmp_lt_u16_e64 s18, v101, v102
	v_lshlrev_b32_sdwa v86, v50, v212 dst_sel:DWORD dst_unused:UNUSED_PAD src0_sel:DWORD src1_sel:WORD_0
	v_cndmask_b32_e64 v226, v166, v229, s16
	v_add_co_ci_u32_e64 v81, null, 0, v7, s5
	;; [unrolled: 6-line block ×3, first 2 shown]
	v_add_co_u32 v84, s5, v6, v84
	v_cmp_lt_u16_e64 s19, v103, v112
	v_lshlrev_b32_sdwa v98, v50, v225 dst_sel:DWORD dst_unused:UNUSED_PAD src0_sel:DWORD src1_sel:WORD_0
	v_cndmask_b32_e64 v228, v183, v241, s18
	v_add_co_ci_u32_e64 v85, null, 0, v7, s5
	v_add_co_u32 v86, s5, v6, v86
	v_lshlrev_b32_sdwa v100, v50, v226 dst_sel:DWORD dst_unused:UNUSED_PAD src0_sel:DWORD src1_sel:WORD_0
	v_cndmask_b32_e64 v240, v65, v66, s4
	v_add_co_ci_u32_e64 v87, null, 0, v7, s5
	v_add_co_u32 v96, s5, v6, v96
	v_lshlrev_b32_sdwa v102, v50, v227 dst_sel:DWORD dst_unused:UNUSED_PAD src0_sel:DWORD src1_sel:WORD_0
	v_cndmask_b32_e64 v231, v192, v242, s19
	v_add_co_ci_u32_e64 v97, null, 0, v7, s5
	v_add_co_u32 v98, s5, v6, v98
	v_lshlrev_b32_sdwa v112, v50, v228 dst_sel:DWORD dst_unused:UNUSED_PAD src0_sel:DWORD src1_sel:WORD_0
	v_add_co_ci_u32_e64 v99, null, 0, v7, s5
	v_add_co_u32 v100, s5, v6, v100
	v_lshlrev_b32_sdwa v114, v50, v240 dst_sel:DWORD dst_unused:UNUSED_PAD src0_sel:DWORD src1_sel:WORD_0
	v_add_co_ci_u32_e64 v101, null, 0, v7, s5
	v_add_co_u32 v102, s5, v6, v102
	v_lshlrev_b32_sdwa v116, v50, v231 dst_sel:DWORD dst_unused:UNUSED_PAD src0_sel:DWORD src1_sel:WORD_0
	v_cndmask_b32_e64 v179, v209, v179, s7
	v_add_co_ci_u32_e64 v103, null, 0, v7, s5
	v_add_co_u32 v112, s5, v6, v112
	v_lshlrev_b32_sdwa v118, v50, v182 dst_sel:DWORD dst_unused:UNUSED_PAD src0_sel:DWORD src1_sel:WORD_0
	v_cndmask_b32_e64 v164, v211, v164, s10
	;; [unrolled: 4-line block ×7, first 2 shown]
	v_add_co_ci_u32_e64 v131, null, 0, v7, s5
	v_add_co_u32 v132, s5, v6, v132
	v_lshlrev_b32_sdwa v146, v50, v181 dst_sel:DWORD dst_unused:UNUSED_PAD src0_sel:DWORD src1_sel:WORD_0
	s_clause 0x1
	flat_load_ushort v211, v[114:115]
	flat_load_ushort v116, v[116:117]
	v_cndmask_b32_e64 v183, v241, v183, s18
	v_add_co_ci_u32_e64 v133, null, 0, v7, s5
	v_add_co_u32 v134, s5, v6, v134
	v_lshlrev_b32_sdwa v148, v50, v166 dst_sel:DWORD dst_unused:UNUSED_PAD src0_sel:DWORD src1_sel:WORD_0
	v_cndmask_b32_e64 v192, v242, v192, s19
	v_add_co_ci_u32_e64 v135, null, 0, v7, s5
	v_add_co_u32 v144, s5, v6, v144
	v_lshlrev_b32_sdwa v150, v50, v167 dst_sel:DWORD dst_unused:UNUSED_PAD src0_sel:DWORD src1_sel:WORD_0
	v_add_co_ci_u32_e64 v145, null, 0, v7, s5
	v_add_co_u32 v146, s5, v6, v146
	v_lshlrev_b32_sdwa v160, v50, v183 dst_sel:DWORD dst_unused:UNUSED_PAD src0_sel:DWORD src1_sel:WORD_0
	;; [unrolled: 3-line block ×3, first 2 shown]
	v_add_co_ci_u32_e64 v149, null, 0, v7, s5
	v_add_co_u32 v150, s5, v6, v150
	v_add_co_ci_u32_e64 v151, null, 0, v7, s5
	v_add_co_u32 v160, s5, v6, v160
	;; [unrolled: 2-line block ×3, first 2 shown]
	v_add_co_ci_u32_e64 v115, null, 0, v7, s5
	s_clause 0x15
	flat_load_ushort v117, v[118:119]
	flat_load_ushort v118, v[69:70]
	;; [unrolled: 1-line block ×22, first 2 shown]
	v_cndmask_b32_e32 v52, v51, v54, vcc_lo
	v_cndmask_b32_e64 v209, v66, v65, s4
	v_lshlrev_b32_sdwa v51, v50, v52 dst_sel:DWORD dst_unused:UNUSED_PAD src0_sel:DWORD src1_sel:WORD_0
	v_add_co_u32 v65, s4, v6, v51
	v_lshlrev_b32_sdwa v51, v50, v209 dst_sel:DWORD dst_unused:UNUSED_PAD src0_sel:DWORD src1_sel:WORD_0
	v_add_co_ci_u32_e64 v66, null, 0, v7, s4
	v_add_co_u32 v67, s4, v6, v51
	v_add_co_ci_u32_e64 v68, null, 0, v7, s4
	s_waitcnt vmcnt(28) lgkmcnt(28)
	v_cmp_lt_u16_e32 vcc_lo, v176, v178
	v_cndmask_b32_e32 v176, v55, v162, vcc_lo
	v_cndmask_b32_e32 v162, v162, v55, vcc_lo
	s_waitcnt vmcnt(26) lgkmcnt(26)
	v_cmp_lt_u16_e32 vcc_lo, v195, v197
	v_lshlrev_b32_sdwa v54, v50, v176 dst_sel:DWORD dst_unused:UNUSED_PAD src0_sel:DWORD src1_sel:WORD_0
	v_cndmask_b32_e32 v178, v193, v163, vcc_lo
	v_cndmask_b32_e32 v55, v163, v193, vcc_lo
	v_add_co_u32 v69, vcc_lo, v6, v54
	v_lshlrev_b32_sdwa v51, v50, v178 dst_sel:DWORD dst_unused:UNUSED_PAD src0_sel:DWORD src1_sel:WORD_0
	v_lshlrev_b32_sdwa v54, v50, v162 dst_sel:DWORD dst_unused:UNUSED_PAD src0_sel:DWORD src1_sel:WORD_0
	v_add_co_ci_u32_e64 v70, null, 0, v7, vcc_lo
	v_add_co_u32 v80, vcc_lo, v6, v51
	v_lshlrev_b32_sdwa v51, v50, v55 dst_sel:DWORD dst_unused:UNUSED_PAD src0_sel:DWORD src1_sel:WORD_0
	v_add_co_ci_u32_e64 v81, null, 0, v7, vcc_lo
	v_add_co_u32 v82, vcc_lo, v6, v54
	v_add_co_ci_u32_e64 v83, null, 0, v7, vcc_lo
	v_add_co_u32 v84, s4, v6, v51
	v_add_co_ci_u32_e64 v85, null, 0, v7, s4
	s_waitcnt vmcnt(24) lgkmcnt(24)
	v_cmp_lt_u16_e32 vcc_lo, v196, v208
	s_clause 0x5
	flat_load_ushort v193, v[69:70]
	flat_load_ushort v195, v[67:68]
	;; [unrolled: 1-line block ×6, first 2 shown]
	v_cndmask_b32_e32 v163, v64, v53, vcc_lo
	v_lshlrev_b32_sdwa v51, v50, v163 dst_sel:DWORD dst_unused:UNUSED_PAD src0_sel:DWORD src1_sel:WORD_0
	v_add_co_u32 v65, s5, v6, v51
	v_add_co_ci_u32_e64 v66, null, 0, v7, s5
	s_waitcnt vmcnt(28) lgkmcnt(28)
	v_cmp_lt_u16_e64 s4, v211, v116
	v_cndmask_b32_e64 v54, v240, v231, s4
	v_cndmask_b32_e64 v231, v231, v240, s4
	s_waitcnt vmcnt(26) lgkmcnt(26)
	v_cmp_lt_u16_e64 s5, v117, v118
	s_waitcnt vmcnt(24) lgkmcnt(24)
	v_cmp_lt_u16_e64 s6, v119, v128
	;; [unrolled: 2-line block ×3, first 2 shown]
	v_cndmask_b32_e64 v211, v182, v194, s5
	s_waitcnt vmcnt(20) lgkmcnt(20)
	v_cmp_lt_u16_e64 s10, v131, v132
	v_cndmask_b32_e64 v214, v177, v198, s6
	s_waitcnt vmcnt(18) lgkmcnt(18)
	v_cmp_lt_u16_e64 s11, v133, v134
	v_cndmask_b32_e64 v215, v179, v199, s7
	s_waitcnt vmcnt(16) lgkmcnt(16)
	v_cmp_lt_u16_e64 s14, v135, v86
	v_lshlrev_b32_sdwa v51, v50, v211 dst_sel:DWORD dst_unused:UNUSED_PAD src0_sel:DWORD src1_sel:WORD_0
	v_cndmask_b32_e64 v229, v164, v71, s10
	s_waitcnt vmcnt(14) lgkmcnt(14)
	v_cmp_lt_u16_e64 s15, v87, v96
	v_lshlrev_b32_sdwa v69, v50, v214 dst_sel:DWORD dst_unused:UNUSED_PAD src0_sel:DWORD src1_sel:WORD_0
	v_cndmask_b32_e64 v230, v180, v210, s11
	s_waitcnt vmcnt(12) lgkmcnt(12)
	v_cmp_lt_u16_e64 s16, v97, v98
	v_cndmask_b32_e64 v164, v71, v164, s10
	v_lshlrev_b32_sdwa v71, v50, v215 dst_sel:DWORD dst_unused:UNUSED_PAD src0_sel:DWORD src1_sel:WORD_0
	v_cndmask_b32_e64 v241, v165, v212, s14
	v_add_co_u32 v67, s4, v6, v51
	s_waitcnt vmcnt(10) lgkmcnt(10)
	v_cmp_lt_u16_e64 s17, v99, v100
	v_lshlrev_b32_sdwa v82, v50, v229 dst_sel:DWORD dst_unused:UNUSED_PAD src0_sel:DWORD src1_sel:WORD_0
	v_cndmask_b32_e64 v242, v181, v224, s15
	v_add_co_ci_u32_e64 v68, null, 0, v7, s4
	v_add_co_u32 v69, s4, v6, v69
	s_waitcnt vmcnt(8) lgkmcnt(8)
	v_cmp_lt_u16_e64 s18, v101, v102
	v_lshlrev_b32_sdwa v84, v50, v230 dst_sel:DWORD dst_unused:UNUSED_PAD src0_sel:DWORD src1_sel:WORD_0
	v_cndmask_b32_e64 v243, v166, v225, s16
	v_add_co_ci_u32_e64 v70, null, 0, v7, s4
	v_add_co_u32 v80, s4, v6, v71
	v_lshlrev_b32_sdwa v86, v50, v241 dst_sel:DWORD dst_unused:UNUSED_PAD src0_sel:DWORD src1_sel:WORD_0
	v_cndmask_b32_e64 v244, v167, v226, s17
	v_add_co_ci_u32_e64 v81, null, 0, v7, s4
	v_add_co_u32 v82, s4, v6, v82
	s_waitcnt vmcnt(6) lgkmcnt(6)
	v_cmp_lt_u16_e64 s19, v103, v112
	v_lshlrev_b32_sdwa v96, v50, v242 dst_sel:DWORD dst_unused:UNUSED_PAD src0_sel:DWORD src1_sel:WORD_0
	v_cndmask_b32_e64 v245, v183, v227, s18
	v_add_co_ci_u32_e64 v83, null, 0, v7, s4
	v_add_co_u32 v84, s4, v6, v84
	v_lshlrev_b32_sdwa v98, v50, v243 dst_sel:DWORD dst_unused:UNUSED_PAD src0_sel:DWORD src1_sel:WORD_0
	v_add_co_ci_u32_e64 v85, null, 0, v7, s4
	v_add_co_u32 v86, s4, v6, v86
	v_lshlrev_b32_sdwa v100, v50, v244 dst_sel:DWORD dst_unused:UNUSED_PAD src0_sel:DWORD src1_sel:WORD_0
	v_cndmask_b32_e64 v246, v192, v228, s19
	v_add_co_ci_u32_e64 v87, null, 0, v7, s4
	v_add_co_u32 v96, s4, v6, v96
	v_lshlrev_b32_sdwa v102, v50, v245 dst_sel:DWORD dst_unused:UNUSED_PAD src0_sel:DWORD src1_sel:WORD_0
	v_cndmask_b32_e64 v182, v194, v182, s5
	;; [unrolled: 4-line block ×4, first 2 shown]
	v_add_co_ci_u32_e64 v101, null, 0, v7, s4
	v_add_co_u32 v102, s4, v6, v102
	v_lshlrev_b32_sdwa v116, v50, v182 dst_sel:DWORD dst_unused:UNUSED_PAD src0_sel:DWORD src1_sel:WORD_0
	v_add_co_ci_u32_e64 v103, null, 0, v7, s4
	v_add_co_u32 v112, s4, v6, v112
	v_lshlrev_b32_sdwa v118, v50, v177 dst_sel:DWORD dst_unused:UNUSED_PAD src0_sel:DWORD src1_sel:WORD_0
	v_cndmask_b32_e64 v180, v210, v180, s11
	v_add_co_ci_u32_e64 v113, null, 0, v7, s4
	v_add_co_u32 v114, s4, v6, v114
	v_lshlrev_b32_sdwa v51, v50, v179 dst_sel:DWORD dst_unused:UNUSED_PAD src0_sel:DWORD src1_sel:WORD_0
	v_cndmask_b32_e64 v165, v212, v165, s14
	v_add_co_ci_u32_e64 v115, null, 0, v7, s4
	v_add_co_u32 v116, s4, v6, v116
	v_lshlrev_b32_sdwa v130, v50, v164 dst_sel:DWORD dst_unused:UNUSED_PAD src0_sel:DWORD src1_sel:WORD_0
	v_cndmask_b32_e64 v181, v224, v181, s15
	v_add_co_ci_u32_e64 v117, null, 0, v7, s4
	v_add_co_u32 v118, s4, v6, v118
	v_lshlrev_b32_sdwa v71, v50, v180 dst_sel:DWORD dst_unused:UNUSED_PAD src0_sel:DWORD src1_sel:WORD_0
	v_cndmask_b32_e64 v166, v225, v166, s16
	v_add_co_ci_u32_e64 v119, null, 0, v7, s4
	v_add_co_u32 v128, s4, v6, v51
	v_lshlrev_b32_sdwa v134, v50, v165 dst_sel:DWORD dst_unused:UNUSED_PAD src0_sel:DWORD src1_sel:WORD_0
	v_cndmask_b32_e64 v167, v226, v167, s17
	v_add_co_ci_u32_e64 v129, null, 0, v7, s4
	v_add_co_u32 v130, s4, v6, v130
	v_lshlrev_b32_sdwa v144, v50, v181 dst_sel:DWORD dst_unused:UNUSED_PAD src0_sel:DWORD src1_sel:WORD_0
	v_cndmask_b32_e64 v183, v227, v183, s18
	v_add_co_ci_u32_e64 v131, null, 0, v7, s4
	v_add_co_u32 v132, s4, v6, v71
	v_lshlrev_b32_sdwa v146, v50, v166 dst_sel:DWORD dst_unused:UNUSED_PAD src0_sel:DWORD src1_sel:WORD_0
	v_cndmask_b32_e64 v192, v228, v192, s19
	v_add_co_ci_u32_e64 v133, null, 0, v7, s4
	v_add_co_u32 v134, s4, v6, v134
	v_lshlrev_b32_sdwa v148, v50, v167 dst_sel:DWORD dst_unused:UNUSED_PAD src0_sel:DWORD src1_sel:WORD_0
	v_add_co_ci_u32_e64 v135, null, 0, v7, s4
	v_add_co_u32 v144, s4, v6, v144
	v_lshlrev_b32_sdwa v150, v50, v183 dst_sel:DWORD dst_unused:UNUSED_PAD src0_sel:DWORD src1_sel:WORD_0
	;; [unrolled: 3-line block ×3, first 2 shown]
	v_add_co_ci_u32_e64 v147, null, 0, v7, s4
	v_add_co_u32 v148, s4, v6, v148
	v_add_co_ci_u32_e64 v149, null, 0, v7, s4
	v_add_co_u32 v150, s4, v6, v150
	v_add_co_ci_u32_e64 v151, null, 0, v7, s4
	v_add_co_u32 v160, s4, v6, v160
	v_add_co_ci_u32_e64 v161, null, 0, v7, s4
	s_clause 0x17
	flat_load_ushort v116, v[116:117]
	flat_load_ushort v117, v[65:66]
	;; [unrolled: 1-line block ×24, first 2 shown]
	v_cndmask_b32_e32 v51, v53, v64, vcc_lo
	v_lshlrev_b32_sdwa v64, v50, v54 dst_sel:DWORD dst_unused:UNUSED_PAD src0_sel:DWORD src1_sel:WORD_0
	v_lshlrev_b32_sdwa v53, v50, v51 dst_sel:DWORD dst_unused:UNUSED_PAD src0_sel:DWORD src1_sel:WORD_0
	v_add_co_u32 v64, s5, v6, v64
	v_add_co_ci_u32_e64 v65, null, 0, v7, s5
	v_add_co_u32 v66, vcc_lo, v6, v53
	v_add_co_ci_u32_e64 v67, null, 0, v7, vcc_lo
	s_waitcnt vmcnt(28) lgkmcnt(28)
	v_cmp_lt_u16_e32 vcc_lo, v193, v195
	s_waitcnt vmcnt(26) lgkmcnt(26)
	v_cmp_lt_u16_e64 s4, v196, v197
	v_cndmask_b32_e32 v193, v209, v176, vcc_lo
	v_cndmask_b32_e32 v176, v176, v209, vcc_lo
	v_cndmask_b32_e64 v194, v162, v178, s4
	s_waitcnt vmcnt(24) lgkmcnt(24)
	v_cmp_lt_u16_e32 vcc_lo, v208, v213
	v_cndmask_b32_e64 v162, v178, v162, s4
	v_lshlrev_b32_sdwa v53, v50, v193 dst_sel:DWORD dst_unused:UNUSED_PAD src0_sel:DWORD src1_sel:WORD_0
	v_lshlrev_b32_sdwa v70, v50, v194 dst_sel:DWORD dst_unused:UNUSED_PAD src0_sel:DWORD src1_sel:WORD_0
	v_cndmask_b32_e32 v178, v55, v52, vcc_lo
	v_cndmask_b32_e32 v52, v52, v55, vcc_lo
	v_add_co_u32 v68, s4, v6, v53
	v_lshlrev_b32_sdwa v53, v50, v176 dst_sel:DWORD dst_unused:UNUSED_PAD src0_sel:DWORD src1_sel:WORD_0
	v_add_co_ci_u32_e64 v69, null, 0, v7, s4
	v_add_co_u32 v70, s4, v6, v70
	v_lshlrev_b32_sdwa v82, v50, v178 dst_sel:DWORD dst_unused:UNUSED_PAD src0_sel:DWORD src1_sel:WORD_0
	v_add_co_ci_u32_e64 v71, null, 0, v7, s4
	;; [unrolled: 3-line block ×3, first 2 shown]
	v_add_co_u32 v82, s4, v6, v82
	v_add_co_ci_u32_e64 v83, null, 0, v7, s4
	v_add_co_u32 v84, s4, v6, v53
	v_add_co_ci_u32_e64 v85, null, 0, v7, s4
	s_clause 0x5
	flat_load_ushort v195, v[68:69]
	flat_load_ushort v64, v[64:65]
	;; [unrolled: 1-line block ×6, first 2 shown]
	v_lshlrev_b32_sdwa v55, v50, v52 dst_sel:DWORD dst_unused:UNUSED_PAD src0_sel:DWORD src1_sel:WORD_0
	s_waitcnt vmcnt(28) lgkmcnt(28)
	v_cmp_lt_u16_e64 s4, v116, v117
	s_waitcnt vmcnt(26) lgkmcnt(26)
	v_cmp_lt_u16_e64 s5, v118, v119
	;; [unrolled: 2-line block ×3, first 2 shown]
	v_cndmask_b32_e64 v208, v182, v163, s4
	s_waitcnt vmcnt(22) lgkmcnt(22)
	v_cmp_lt_u16_e64 s7, v130, v131
	v_cndmask_b32_e64 v209, v177, v211, s5
	s_waitcnt vmcnt(20) lgkmcnt(20)
	v_cmp_lt_u16_e64 s10, v132, v133
	;; [unrolled: 3-line block ×3, first 2 shown]
	v_lshlrev_b32_sdwa v68, v50, v208 dst_sel:DWORD dst_unused:UNUSED_PAD src0_sel:DWORD src1_sel:WORD_0
	v_cndmask_b32_e64 v212, v164, v215, s7
	s_waitcnt vmcnt(16) lgkmcnt(16)
	v_cmp_lt_u16_e64 s14, v144, v86
	v_lshlrev_b32_sdwa v70, v50, v209 dst_sel:DWORD dst_unused:UNUSED_PAD src0_sel:DWORD src1_sel:WORD_0
	v_cndmask_b32_e64 v213, v180, v229, s10
	s_waitcnt vmcnt(14) lgkmcnt(14)
	v_cmp_lt_u16_e64 s15, v87, v96
	v_lshlrev_b32_sdwa v80, v50, v210 dst_sel:DWORD dst_unused:UNUSED_PAD src0_sel:DWORD src1_sel:WORD_0
	v_cndmask_b32_e64 v224, v165, v230, s11
	v_cndmask_b32_e64 v65, v163, v182, s4
	v_add_co_u32 v68, s4, v6, v68
	s_waitcnt vmcnt(12) lgkmcnt(12)
	v_cmp_lt_u16_e64 s16, v97, v98
	v_lshlrev_b32_sdwa v82, v50, v212 dst_sel:DWORD dst_unused:UNUSED_PAD src0_sel:DWORD src1_sel:WORD_0
	v_cndmask_b32_e64 v225, v181, v241, s14
	v_add_co_ci_u32_e64 v69, null, 0, v7, s4
	v_add_co_u32 v70, s4, v6, v70
	s_waitcnt vmcnt(10) lgkmcnt(10)
	v_cmp_lt_u16_e64 s17, v99, v100
	v_lshlrev_b32_sdwa v84, v50, v213 dst_sel:DWORD dst_unused:UNUSED_PAD src0_sel:DWORD src1_sel:WORD_0
	v_cndmask_b32_e64 v226, v166, v242, s15
	v_add_co_ci_u32_e64 v71, null, 0, v7, s4
	;; [unrolled: 6-line block ×3, first 2 shown]
	v_add_co_u32 v82, s4, v6, v82
	v_lshlrev_b32_sdwa v96, v50, v225 dst_sel:DWORD dst_unused:UNUSED_PAD src0_sel:DWORD src1_sel:WORD_0
	v_cndmask_b32_e64 v228, v183, v244, s17
	v_add_co_ci_u32_e64 v83, null, 0, v7, s4
	v_add_co_u32 v84, s4, v6, v84
	v_lshlrev_b32_sdwa v98, v50, v226 dst_sel:DWORD dst_unused:UNUSED_PAD src0_sel:DWORD src1_sel:WORD_0
	v_cndmask_b32_e64 v240, v192, v245, s18
	v_add_co_ci_u32_e64 v85, null, 0, v7, s4
	v_add_co_u32 v86, s4, v6, v86
	v_lshlrev_b32_sdwa v100, v50, v227 dst_sel:DWORD dst_unused:UNUSED_PAD src0_sel:DWORD src1_sel:WORD_0
	v_add_co_ci_u32_e64 v87, null, 0, v7, s4
	v_add_co_u32 v96, s4, v6, v96
	v_lshlrev_b32_sdwa v102, v50, v228 dst_sel:DWORD dst_unused:UNUSED_PAD src0_sel:DWORD src1_sel:WORD_0
	v_cndmask_b32_e64 v163, v211, v177, s5
	v_add_co_ci_u32_e64 v97, null, 0, v7, s4
	v_add_co_u32 v98, s4, v6, v98
	s_waitcnt vmcnt(6) lgkmcnt(6)
	v_cmp_lt_u16_e64 s19, v103, v112
	v_lshlrev_b32_sdwa v112, v50, v240 dst_sel:DWORD dst_unused:UNUSED_PAD src0_sel:DWORD src1_sel:WORD_0
	v_cndmask_b32_e64 v177, v214, v179, s6
	v_add_co_ci_u32_e64 v99, null, 0, v7, s4
	v_add_co_u32 v100, s4, v6, v100
	v_lshlrev_b32_sdwa v114, v50, v65 dst_sel:DWORD dst_unused:UNUSED_PAD src0_sel:DWORD src1_sel:WORD_0
	v_cndmask_b32_e64 v164, v215, v164, s7
	v_add_co_ci_u32_e64 v101, null, 0, v7, s4
	v_add_co_u32 v102, s4, v6, v102
	;; [unrolled: 4-line block ×10, first 2 shown]
	v_lshlrev_b32_sdwa v148, v50, v181 dst_sel:DWORD dst_unused:UNUSED_PAD src0_sel:DWORD src1_sel:WORD_0
	v_add_co_ci_u32_e64 v135, null, 0, v7, s4
	v_add_co_u32 v144, s4, v6, v144
	v_lshlrev_b32_sdwa v150, v50, v182 dst_sel:DWORD dst_unused:UNUSED_PAD src0_sel:DWORD src1_sel:WORD_0
	v_add_co_ci_u32_e64 v145, null, 0, v7, s4
	v_add_co_u32 v146, s4, v6, v146
	;; [unrolled: 3-line block ×3, first 2 shown]
	v_add_co_ci_u32_e64 v149, null, 0, v7, s4
	v_add_co_u32 v150, s4, v6, v150
	v_add_co_ci_u32_e64 v151, null, 0, v7, s4
	v_add_co_u32 v160, s4, v6, v160
	v_add_co_ci_u32_e64 v161, null, 0, v7, s4
	s_clause 0x17
	flat_load_ushort v114, v[114:115]
	flat_load_ushort v115, v[66:67]
	;; [unrolled: 1-line block ×24, first 2 shown]
	v_cndmask_b32_e64 v53, v231, v246, s19
	v_add_co_u32 v66, vcc_lo, v6, v55
	v_add_co_ci_u32_e64 v67, null, 0, v7, vcc_lo
	v_lshlrev_b32_sdwa v68, v50, v53 dst_sel:DWORD dst_unused:UNUSED_PAD src0_sel:DWORD src1_sel:WORD_0
	s_waitcnt vmcnt(26) lgkmcnt(26)
	v_cmp_lt_u16_e64 s4, v196, v197
	s_waitcnt vmcnt(24) lgkmcnt(24)
	v_cmp_lt_u16_e64 s5, v198, v199
	v_add_co_u32 v68, vcc_lo, v6, v68
	v_add_co_ci_u32_e64 v69, null, 0, v7, vcc_lo
	v_cmp_lt_u16_e32 vcc_lo, v195, v64
	v_cndmask_b32_e64 v151, v176, v194, s4
	v_cndmask_b32_e64 v160, v162, v178, s5
	;; [unrolled: 1-line block ×4, first 2 shown]
	v_cndmask_b32_e32 v150, v54, v193, vcc_lo
	v_cndmask_b32_e32 v161, v193, v54, vcc_lo
	v_lshlrev_b32_sdwa v70, v50, v151 dst_sel:DWORD dst_unused:UNUSED_PAD src0_sel:DWORD src1_sel:WORD_0
	v_lshlrev_b32_sdwa v80, v50, v160 dst_sel:DWORD dst_unused:UNUSED_PAD src0_sel:DWORD src1_sel:WORD_0
	;; [unrolled: 1-line block ×6, first 2 shown]
	v_add_co_u32 v54, vcc_lo, v6, v54
	v_add_co_ci_u32_e64 v55, null, 0, v7, vcc_lo
	v_add_co_u32 v70, vcc_lo, v6, v70
	v_add_co_ci_u32_e64 v71, null, 0, v7, vcc_lo
	v_add_co_u32 v80, vcc_lo, v6, v80
	s_clause 0x1
	flat_load_ushort v162, v[54:55]
	flat_load_ushort v178, v[68:69]
	v_add_co_ci_u32_e64 v81, null, 0, v7, vcc_lo
	v_add_co_u32 v54, vcc_lo, v6, v82
	v_add_co_ci_u32_e64 v55, null, 0, v7, vcc_lo
	v_add_co_u32 v68, vcc_lo, v6, v83
	v_add_co_ci_u32_e64 v69, null, 0, v7, vcc_lo
	v_add_co_u32 v82, vcc_lo, v6, v113
	v_add_co_ci_u32_e64 v83, null, 0, v7, vcc_lo
	s_clause 0x5
	flat_load_ushort v192, v[70:71]
	flat_load_ushort v54, v[54:55]
	;; [unrolled: 1-line block ×6, first 2 shown]
	s_waitcnt vmcnt(30) lgkmcnt(30)
	v_cmp_lt_u16_e32 vcc_lo, v114, v115
	s_waitcnt vmcnt(28) lgkmcnt(28)
	v_cmp_lt_u16_e64 s4, v116, v117
	s_waitcnt vmcnt(26) lgkmcnt(26)
	v_cmp_lt_u16_e64 s5, v118, v119
	v_cndmask_b32_e32 v197, v65, v51, vcc_lo
	s_waitcnt vmcnt(24) lgkmcnt(24)
	v_cmp_lt_u16_e64 s6, v128, v129
	v_cndmask_b32_e64 v198, v163, v208, s4
	s_waitcnt vmcnt(22) lgkmcnt(22)
	v_cmp_lt_u16_e64 s7, v130, v131
	v_cndmask_b32_e64 v199, v177, v209, s5
	s_waitcnt vmcnt(20) lgkmcnt(20)
	v_cmp_lt_u16_e64 s10, v132, v84
	v_lshlrev_b32_sdwa v66, v50, v197 dst_sel:DWORD dst_unused:UNUSED_PAD src0_sel:DWORD src1_sel:WORD_0
	v_cndmask_b32_e64 v211, v164, v210, s6
	s_waitcnt vmcnt(18) lgkmcnt(18)
	v_cmp_lt_u16_e64 s11, v85, v86
	v_lshlrev_b32_sdwa v68, v50, v198 dst_sel:DWORD dst_unused:UNUSED_PAD src0_sel:DWORD src1_sel:WORD_0
	;; [unrolled: 4-line block ×3, first 2 shown]
	v_cndmask_b32_e64 v215, v165, v213, s10
	v_cndmask_b32_e64 v163, v208, v163, s4
	v_add_co_u32 v66, s4, v6, v66
	s_waitcnt vmcnt(14) lgkmcnt(14)
	v_cmp_lt_u16_e64 s15, v97, v98
	v_lshlrev_b32_sdwa v80, v50, v211 dst_sel:DWORD dst_unused:UNUSED_PAD src0_sel:DWORD src1_sel:WORD_0
	v_cndmask_b32_e64 v229, v180, v224, s11
	v_add_co_ci_u32_e64 v67, null, 0, v7, s4
	v_add_co_u32 v68, s4, v6, v68
	s_waitcnt vmcnt(12) lgkmcnt(12)
	v_cmp_lt_u16_e64 s16, v99, v100
	v_lshlrev_b32_sdwa v82, v50, v214 dst_sel:DWORD dst_unused:UNUSED_PAD src0_sel:DWORD src1_sel:WORD_0
	v_cndmask_b32_e64 v230, v166, v225, s14
	v_add_co_ci_u32_e64 v69, null, 0, v7, s4
	;; [unrolled: 6-line block ×3, first 2 shown]
	v_add_co_u32 v80, s4, v6, v80
	v_lshlrev_b32_sdwa v86, v50, v229 dst_sel:DWORD dst_unused:UNUSED_PAD src0_sel:DWORD src1_sel:WORD_0
	v_cndmask_b32_e64 v241, v181, v227, s16
	v_add_co_ci_u32_e64 v81, null, 0, v7, s4
	v_add_co_u32 v82, s4, v6, v82
	v_lshlrev_b32_sdwa v96, v50, v230 dst_sel:DWORD dst_unused:UNUSED_PAD src0_sel:DWORD src1_sel:WORD_0
	v_cndmask_b32_e64 v242, v182, v228, s17
	v_add_co_ci_u32_e64 v83, null, 0, v7, s4
	v_add_co_u32 v84, s4, v6, v84
	v_lshlrev_b32_sdwa v98, v50, v231 dst_sel:DWORD dst_unused:UNUSED_PAD src0_sel:DWORD src1_sel:WORD_0
	v_add_co_ci_u32_e64 v85, null, 0, v7, s4
	v_add_co_u32 v86, s4, v6, v86
	v_lshlrev_b32_sdwa v100, v50, v241 dst_sel:DWORD dst_unused:UNUSED_PAD src0_sel:DWORD src1_sel:WORD_0
	v_cndmask_b32_e64 v177, v209, v177, s5
	v_add_co_ci_u32_e64 v87, null, 0, v7, s4
	v_add_co_u32 v96, s4, v6, v96
	v_lshlrev_b32_sdwa v102, v50, v242 dst_sel:DWORD dst_unused:UNUSED_PAD src0_sel:DWORD src1_sel:WORD_0
	v_cndmask_b32_e64 v164, v210, v164, s6
	v_add_co_ci_u32_e64 v97, null, 0, v7, s4
	v_add_co_u32 v98, s4, v6, v98
	s_waitcnt vmcnt(8) lgkmcnt(8)
	v_cmp_lt_u16_e64 s18, v103, v112
	v_lshlrev_b32_sdwa v112, v50, v163 dst_sel:DWORD dst_unused:UNUSED_PAD src0_sel:DWORD src1_sel:WORD_0
	v_cndmask_b32_e64 v179, v212, v179, s7
	v_add_co_ci_u32_e64 v99, null, 0, v7, s4
	v_add_co_u32 v100, s4, v6, v100
	v_lshlrev_b32_sdwa v114, v50, v177 dst_sel:DWORD dst_unused:UNUSED_PAD src0_sel:DWORD src1_sel:WORD_0
	v_cndmask_b32_e64 v165, v213, v165, s10
	v_add_co_ci_u32_e64 v101, null, 0, v7, s4
	v_add_co_u32 v102, s4, v6, v102
	;; [unrolled: 4-line block ×7, first 2 shown]
	v_lshlrev_b32_sdwa v134, v50, v167 dst_sel:DWORD dst_unused:UNUSED_PAD src0_sel:DWORD src1_sel:WORD_0
	v_cndmask_b32_e64 v55, v183, v240, s18
	v_cndmask_b32_e64 v183, v240, v183, s18
	v_add_co_ci_u32_e64 v129, null, 0, v7, s4
	v_add_co_u32 v130, s4, v6, v130
	v_lshlrev_b32_sdwa v144, v50, v181 dst_sel:DWORD dst_unused:UNUSED_PAD src0_sel:DWORD src1_sel:WORD_0
	v_add_co_ci_u32_e64 v131, null, 0, v7, s4
	v_add_co_u32 v132, s4, v6, v132
	v_lshlrev_b32_sdwa v146, v50, v182 dst_sel:DWORD dst_unused:UNUSED_PAD src0_sel:DWORD src1_sel:WORD_0
	;; [unrolled: 3-line block ×3, first 2 shown]
	v_add_co_ci_u32_e64 v135, null, 0, v7, s4
	v_add_co_u32 v144, s4, v6, v144
	v_add_co_ci_u32_e64 v145, null, 0, v7, s4
	v_add_co_u32 v146, s4, v6, v146
	;; [unrolled: 2-line block ×3, first 2 shown]
	v_add_co_ci_u32_e64 v149, null, 0, v7, s4
	s_clause 0x15
	flat_load_ushort v112, v[112:113]
	flat_load_ushort v113, v[66:67]
	;; [unrolled: 1-line block ×22, first 2 shown]
	v_lshlrev_b32_sdwa v66, v50, v55 dst_sel:DWORD dst_unused:UNUSED_PAD src0_sel:DWORD src1_sel:WORD_0
	v_cndmask_b32_e32 v51, v51, v65, vcc_lo
	s_waitcnt vmcnt(28) lgkmcnt(28)
	v_cmp_lt_u16_e32 vcc_lo, v162, v178
	s_waitcnt vmcnt(24) lgkmcnt(24)
	v_cmp_lt_u16_e64 s5, v193, v194
	v_add_co_u32 v65, s4, v6, v66
	v_add_co_ci_u32_e64 v66, null, 0, v7, s4
	v_cmp_lt_u16_e64 s4, v192, v54
	v_cndmask_b32_e32 v162, v150, v53, vcc_lo
	v_cndmask_b32_e32 v178, v53, v150, vcc_lo
	s_waitcnt vmcnt(22) lgkmcnt(22)
	v_cmp_lt_u16_e32 vcc_lo, v195, v196
	v_cndmask_b32_e64 v193, v176, v160, s5
	v_cndmask_b32_e64 v192, v161, v151, s4
	v_lshlrev_b32_sdwa v53, v50, v162 dst_sel:DWORD dst_unused:UNUSED_PAD src0_sel:DWORD src1_sel:WORD_0
	v_lshlrev_b32_sdwa v67, v50, v178 dst_sel:DWORD dst_unused:UNUSED_PAD src0_sel:DWORD src1_sel:WORD_0
	v_cndmask_b32_e32 v194, v64, v52, vcc_lo
	v_cndmask_b32_e64 v161, v151, v161, s4
	v_lshlrev_b32_sdwa v69, v50, v192 dst_sel:DWORD dst_unused:UNUSED_PAD src0_sel:DWORD src1_sel:WORD_0
	v_add_co_u32 v53, s4, v6, v53
	v_add_co_ci_u32_e64 v54, null, 0, v7, s4
	v_add_co_u32 v67, s4, v6, v67
	v_lshlrev_b32_sdwa v80, v50, v193 dst_sel:DWORD dst_unused:UNUSED_PAD src0_sel:DWORD src1_sel:WORD_0
	v_cndmask_b32_e64 v160, v160, v176, s5
	v_add_co_ci_u32_e64 v68, null, 0, v7, s4
	v_add_co_u32 v69, s4, v6, v69
	v_lshlrev_b32_sdwa v82, v50, v194 dst_sel:DWORD dst_unused:UNUSED_PAD src0_sel:DWORD src1_sel:WORD_0
	v_add_co_ci_u32_e64 v70, null, 0, v7, s4
	v_lshlrev_b32_sdwa v130, v50, v161 dst_sel:DWORD dst_unused:UNUSED_PAD src0_sel:DWORD src1_sel:WORD_0
	v_add_co_u32 v80, s4, v6, v80
	v_lshlrev_b32_sdwa v131, v50, v160 dst_sel:DWORD dst_unused:UNUSED_PAD src0_sel:DWORD src1_sel:WORD_0
	s_clause 0x3
	flat_load_ushort v176, v[67:68]
	flat_load_ushort v195, v[65:66]
	;; [unrolled: 1-line block ×4, first 2 shown]
	v_add_co_ci_u32_e64 v81, null, 0, v7, s4
	v_add_co_u32 v82, s4, v6, v82
	v_add_co_ci_u32_e64 v83, null, 0, v7, s4
	v_add_co_u32 v53, s4, v6, v130
	;; [unrolled: 2-line block ×3, first 2 shown]
	v_add_co_ci_u32_e64 v66, null, 0, v7, s4
	s_clause 0x3
	flat_load_ushort v209, v[80:81]
	flat_load_ushort v53, v[53:54]
	;; [unrolled: 1-line block ×4, first 2 shown]
	v_lshlrev_b32_sdwa v103, v50, v51 dst_sel:DWORD dst_unused:UNUSED_PAD src0_sel:DWORD src1_sel:WORD_0
	v_cndmask_b32_e32 v52, v52, v64, vcc_lo
	v_add_co_u32 v67, s4, v6, v103
	v_add_co_ci_u32_e64 v68, null, 0, v7, s4
	v_lshlrev_b32_sdwa v64, v50, v52 dst_sel:DWORD dst_unused:UNUSED_PAD src0_sel:DWORD src1_sel:WORD_0
	s_waitcnt vmcnt(28) lgkmcnt(28)
	v_cmp_lt_u16_e64 s4, v112, v113
	s_waitcnt vmcnt(26) lgkmcnt(26)
	v_cmp_lt_u16_e64 s5, v114, v115
	;; [unrolled: 2-line block ×3, first 2 shown]
	v_cndmask_b32_e64 v213, v163, v197, s4
	s_waitcnt vmcnt(22) lgkmcnt(22)
	v_cmp_lt_u16_e64 s7, v117, v118
	v_cndmask_b32_e64 v224, v177, v198, s5
	s_waitcnt vmcnt(20) lgkmcnt(20)
	v_cmp_lt_u16_e64 s10, v119, v128
	;; [unrolled: 3-line block ×3, first 2 shown]
	v_lshlrev_b32_sdwa v66, v50, v213 dst_sel:DWORD dst_unused:UNUSED_PAD src0_sel:DWORD src1_sel:WORD_0
	v_cndmask_b32_e64 v226, v179, v211, s7
	s_waitcnt vmcnt(16) lgkmcnt(16)
	v_cmp_lt_u16_e64 s14, v85, v86
	v_lshlrev_b32_sdwa v71, v50, v224 dst_sel:DWORD dst_unused:UNUSED_PAD src0_sel:DWORD src1_sel:WORD_0
	v_cndmask_b32_e64 v227, v165, v214, s10
	s_waitcnt vmcnt(14) lgkmcnt(14)
	v_cmp_lt_u16_e64 s15, v87, v96
	v_lshlrev_b32_sdwa v82, v50, v225 dst_sel:DWORD dst_unused:UNUSED_PAD src0_sel:DWORD src1_sel:WORD_0
	v_cndmask_b32_e64 v228, v180, v215, s11
	v_cndmask_b32_e64 v54, v197, v163, s4
	v_add_co_u32 v69, s4, v6, v66
	s_waitcnt vmcnt(12) lgkmcnt(12)
	v_cmp_lt_u16_e64 s16, v97, v98
	v_lshlrev_b32_sdwa v84, v50, v226 dst_sel:DWORD dst_unused:UNUSED_PAD src0_sel:DWORD src1_sel:WORD_0
	v_cndmask_b32_e64 v240, v166, v229, s14
	v_add_co_ci_u32_e64 v70, null, 0, v7, s4
	v_add_co_u32 v80, s4, v6, v71
	s_waitcnt vmcnt(10) lgkmcnt(10)
	v_cmp_lt_u16_e64 s17, v99, v100
	v_lshlrev_b32_sdwa v86, v50, v227 dst_sel:DWORD dst_unused:UNUSED_PAD src0_sel:DWORD src1_sel:WORD_0
	v_cndmask_b32_e64 v243, v167, v230, s15
	v_add_co_ci_u32_e64 v81, null, 0, v7, s4
	v_add_co_u32 v82, s4, v6, v82
	v_lshlrev_b32_sdwa v96, v50, v228 dst_sel:DWORD dst_unused:UNUSED_PAD src0_sel:DWORD src1_sel:WORD_0
	v_cndmask_b32_e64 v244, v181, v231, s16
	v_add_co_ci_u32_e64 v83, null, 0, v7, s4
	v_add_co_u32 v84, s4, v6, v84
	;; [unrolled: 4-line block ×3, first 2 shown]
	v_lshlrev_b32_sdwa v100, v50, v243 dst_sel:DWORD dst_unused:UNUSED_PAD src0_sel:DWORD src1_sel:WORD_0
	v_add_co_ci_u32_e64 v87, null, 0, v7, s4
	v_add_co_u32 v96, s4, v6, v96
	s_waitcnt vmcnt(8) lgkmcnt(8)
	v_cmp_lt_u16_e64 s18, v101, v102
	v_lshlrev_b32_sdwa v102, v50, v244 dst_sel:DWORD dst_unused:UNUSED_PAD src0_sel:DWORD src1_sel:WORD_0
	v_cndmask_b32_e64 v163, v198, v177, s5
	v_add_co_ci_u32_e64 v97, null, 0, v7, s4
	v_add_co_u32 v98, s4, v6, v98
	v_lshlrev_b32_sdwa v112, v50, v245 dst_sel:DWORD dst_unused:UNUSED_PAD src0_sel:DWORD src1_sel:WORD_0
	v_cndmask_b32_e64 v164, v199, v164, s6
	v_add_co_ci_u32_e64 v99, null, 0, v7, s4
	v_add_co_u32 v100, s4, v6, v100
	;; [unrolled: 4-line block ×10, first 2 shown]
	v_lshlrev_b32_sdwa v146, v50, v180 dst_sel:DWORD dst_unused:UNUSED_PAD src0_sel:DWORD src1_sel:WORD_0
	v_add_co_ci_u32_e64 v133, null, 0, v7, s4
	v_add_co_u32 v134, s4, v6, v134
	v_lshlrev_b32_sdwa v148, v50, v181 dst_sel:DWORD dst_unused:UNUSED_PAD src0_sel:DWORD src1_sel:WORD_0
	v_add_co_ci_u32_e64 v135, null, 0, v7, s4
	v_add_co_u32 v144, s4, v6, v144
	;; [unrolled: 3-line block ×3, first 2 shown]
	v_add_co_ci_u32_e64 v147, null, 0, v7, s4
	v_add_co_u32 v148, s4, v6, v148
	v_add_co_ci_u32_e64 v149, null, 0, v7, s4
	v_add_co_u32 v150, s4, v6, v150
	v_add_co_ci_u32_e64 v151, null, 0, v7, s4
	s_clause 0x15
	flat_load_ushort v114, v[114:115]
	flat_load_ushort v115, v[67:68]
	;; [unrolled: 1-line block ×22, first 2 shown]
	v_add_co_u32 v66, vcc_lo, v6, v64
	s_waitcnt vmcnt(26) lgkmcnt(26)
	v_cmp_lt_u16_e64 s4, v196, v208
	v_add_co_ci_u32_e64 v67, null, 0, v7, vcc_lo
	v_cmp_lt_u16_e32 vcc_lo, v176, v195
	v_cndmask_b32_e64 v65, v183, v242, s18
	v_cndmask_b32_e64 v146, v162, v192, s4
	;; [unrolled: 1-line block ×3, first 2 shown]
	s_waitcnt vmcnt(22) lgkmcnt(22)
	v_cmp_lt_u16_e64 s4, v210, v212
	v_cndmask_b32_e32 v64, v178, v55, vcc_lo
	v_cndmask_b32_e32 v147, v55, v178, vcc_lo
	v_cmp_lt_u16_e32 vcc_lo, v209, v53
	v_lshlrev_b32_sdwa v55, v50, v146 dst_sel:DWORD dst_unused:UNUSED_PAD src0_sel:DWORD src1_sel:WORD_0
	v_lshlrev_b32_sdwa v68, v50, v65 dst_sel:DWORD dst_unused:UNUSED_PAD src0_sel:DWORD src1_sel:WORD_0
	;; [unrolled: 1-line block ×4, first 2 shown]
	v_cndmask_b32_e32 v149, v161, v193, vcc_lo
	v_cndmask_b32_e32 v151, v193, v161, vcc_lo
	v_add_co_u32 v70, vcc_lo, v6, v55
	v_add_co_ci_u32_e64 v71, null, 0, v7, vcc_lo
	v_add_co_u32 v80, vcc_lo, v6, v80
	v_lshlrev_b32_sdwa v55, v50, v149 dst_sel:DWORD dst_unused:UNUSED_PAD src0_sel:DWORD src1_sel:WORD_0
	v_cndmask_b32_e64 v150, v160, v194, s4
	v_add_co_ci_u32_e64 v81, null, 0, v7, vcc_lo
	v_lshlrev_b32_sdwa v86, v50, v148 dst_sel:DWORD dst_unused:UNUSED_PAD src0_sel:DWORD src1_sel:WORD_0
	v_add_co_u32 v82, vcc_lo, v6, v82
	v_add_co_u32 v68, s5, v6, v68
	v_add_co_ci_u32_e64 v83, null, 0, v7, vcc_lo
	v_add_co_ci_u32_e64 v69, null, 0, v7, s5
	v_cndmask_b32_e64 v53, v194, v160, s4
	v_add_co_u32 v84, vcc_lo, v6, v55
	v_lshlrev_b32_sdwa v96, v50, v150 dst_sel:DWORD dst_unused:UNUSED_PAD src0_sel:DWORD src1_sel:WORD_0
	v_add_co_ci_u32_e64 v85, null, 0, v7, vcc_lo
	v_add_co_u32 v86, vcc_lo, v6, v86
	v_lshlrev_b32_sdwa v55, v50, v151 dst_sel:DWORD dst_unused:UNUSED_PAD src0_sel:DWORD src1_sel:WORD_0
	v_add_co_ci_u32_e64 v87, null, 0, v7, vcc_lo
	s_clause 0x5
	flat_load_ushort v160, v[82:83]
	flat_load_ushort v161, v[68:69]
	;; [unrolled: 1-line block ×6, first 2 shown]
	v_lshlrev_b32_sdwa v113, v50, v53 dst_sel:DWORD dst_unused:UNUSED_PAD src0_sel:DWORD src1_sel:WORD_0
	v_add_co_u32 v96, vcc_lo, v6, v96
	v_add_co_ci_u32_e64 v97, null, 0, v7, vcc_lo
	v_add_co_u32 v68, vcc_lo, v6, v55
	v_add_co_ci_u32_e64 v69, null, 0, v7, vcc_lo
	;; [unrolled: 2-line block ×3, first 2 shown]
	s_clause 0x3
	flat_load_ushort v192, v[96:97]
	flat_load_ushort v193, v[68:69]
	;; [unrolled: 1-line block ×4, first 2 shown]
	s_waitcnt vmcnt(30) lgkmcnt(30)
	v_cmp_lt_u16_e64 s4, v114, v115
	s_waitcnt vmcnt(28) lgkmcnt(28)
	v_cmp_lt_u16_e32 vcc_lo, v116, v117
	s_waitcnt vmcnt(26) lgkmcnt(26)
	v_cmp_lt_u16_e64 s5, v118, v119
	v_cndmask_b32_e64 v196, v54, v51, s4
	s_waitcnt vmcnt(24) lgkmcnt(24)
	v_cmp_lt_u16_e64 s6, v128, v129
	v_cndmask_b32_e32 v197, v163, v213, vcc_lo
	s_waitcnt vmcnt(22) lgkmcnt(22)
	v_cmp_lt_u16_e64 s7, v130, v131
	v_cndmask_b32_e64 v198, v164, v224, s5
	s_waitcnt vmcnt(20) lgkmcnt(20)
	v_cmp_lt_u16_e64 s10, v132, v133
	v_lshlrev_b32_sdwa v66, v50, v196 dst_sel:DWORD dst_unused:UNUSED_PAD src0_sel:DWORD src1_sel:WORD_0
	v_cndmask_b32_e64 v199, v177, v225, s6
	s_waitcnt vmcnt(18) lgkmcnt(18)
	v_cmp_lt_u16_e64 s11, v134, v135
	v_lshlrev_b32_sdwa v68, v50, v197 dst_sel:DWORD dst_unused:UNUSED_PAD src0_sel:DWORD src1_sel:WORD_0
	;; [unrolled: 4-line block ×3, first 2 shown]
	v_cndmask_b32_e64 v209, v179, v227, s10
	v_cndmask_b32_e32 v163, v213, v163, vcc_lo
	v_add_co_u32 v66, vcc_lo, v6, v66
	s_waitcnt vmcnt(14) lgkmcnt(14)
	v_cmp_lt_u16_e64 s15, v99, v100
	v_lshlrev_b32_sdwa v80, v50, v199 dst_sel:DWORD dst_unused:UNUSED_PAD src0_sel:DWORD src1_sel:WORD_0
	v_cndmask_b32_e64 v210, v166, v228, s11
	v_add_co_ci_u32_e64 v67, null, 0, v7, vcc_lo
	v_add_co_u32 v68, vcc_lo, v6, v68
	s_waitcnt vmcnt(12) lgkmcnt(12)
	v_cmp_lt_u16_e64 s16, v101, v102
	v_lshlrev_b32_sdwa v82, v50, v208 dst_sel:DWORD dst_unused:UNUSED_PAD src0_sel:DWORD src1_sel:WORD_0
	v_cndmask_b32_e64 v211, v167, v240, s14
	v_add_co_ci_u32_e64 v69, null, 0, v7, vcc_lo
	v_add_co_u32 v70, vcc_lo, v6, v70
	v_lshlrev_b32_sdwa v84, v50, v209 dst_sel:DWORD dst_unused:UNUSED_PAD src0_sel:DWORD src1_sel:WORD_0
	v_cndmask_b32_e64 v212, v180, v243, s15
	v_add_co_ci_u32_e64 v71, null, 0, v7, vcc_lo
	v_add_co_u32 v80, vcc_lo, v6, v80
	;; [unrolled: 4-line block ×3, first 2 shown]
	v_lshlrev_b32_sdwa v96, v50, v211 dst_sel:DWORD dst_unused:UNUSED_PAD src0_sel:DWORD src1_sel:WORD_0
	v_add_co_ci_u32_e64 v83, null, 0, v7, vcc_lo
	v_add_co_u32 v84, vcc_lo, v6, v84
	v_lshlrev_b32_sdwa v98, v50, v212 dst_sel:DWORD dst_unused:UNUSED_PAD src0_sel:DWORD src1_sel:WORD_0
	v_cndmask_b32_e64 v164, v224, v164, s5
	v_add_co_ci_u32_e64 v85, null, 0, v7, vcc_lo
	v_add_co_u32 v86, vcc_lo, v6, v86
	v_lshlrev_b32_sdwa v100, v50, v214 dst_sel:DWORD dst_unused:UNUSED_PAD src0_sel:DWORD src1_sel:WORD_0
	v_cndmask_b32_e64 v177, v225, v177, s6
	;; [unrolled: 4-line block ×3, first 2 shown]
	v_add_co_ci_u32_e64 v97, null, 0, v7, vcc_lo
	v_add_co_u32 v98, vcc_lo, v6, v98
	s_waitcnt vmcnt(10) lgkmcnt(10)
	v_cmp_lt_u16_e64 s17, v103, v112
	v_lshlrev_b32_sdwa v112, v50, v164 dst_sel:DWORD dst_unused:UNUSED_PAD src0_sel:DWORD src1_sel:WORD_0
	v_cndmask_b32_e64 v179, v227, v179, s10
	v_add_co_ci_u32_e64 v99, null, 0, v7, vcc_lo
	v_add_co_u32 v100, vcc_lo, v6, v100
	v_lshlrev_b32_sdwa v114, v50, v177 dst_sel:DWORD dst_unused:UNUSED_PAD src0_sel:DWORD src1_sel:WORD_0
	v_cndmask_b32_e64 v166, v228, v166, s11
	v_add_co_ci_u32_e64 v101, null, 0, v7, vcc_lo
	v_add_co_u32 v102, vcc_lo, v6, v102
	;; [unrolled: 4-line block ×5, first 2 shown]
	v_lshlrev_b32_sdwa v130, v50, v167 dst_sel:DWORD dst_unused:UNUSED_PAD src0_sel:DWORD src1_sel:WORD_0
	v_cndmask_b32_e64 v55, v182, v245, s17
	v_cndmask_b32_e64 v182, v245, v182, s17
	v_add_co_ci_u32_e64 v117, null, 0, v7, vcc_lo
	v_add_co_u32 v118, vcc_lo, v6, v118
	v_lshlrev_b32_sdwa v132, v50, v180 dst_sel:DWORD dst_unused:UNUSED_PAD src0_sel:DWORD src1_sel:WORD_0
	v_add_co_ci_u32_e64 v119, null, 0, v7, vcc_lo
	v_add_co_u32 v128, vcc_lo, v6, v128
	v_lshlrev_b32_sdwa v134, v50, v181 dst_sel:DWORD dst_unused:UNUSED_PAD src0_sel:DWORD src1_sel:WORD_0
	;; [unrolled: 3-line block ×3, first 2 shown]
	v_add_co_ci_u32_e64 v131, null, 0, v7, vcc_lo
	v_add_co_u32 v132, vcc_lo, v6, v132
	v_add_co_ci_u32_e64 v133, null, 0, v7, vcc_lo
	v_add_co_u32 v134, vcc_lo, v6, v134
	;; [unrolled: 2-line block ×3, first 2 shown]
	v_add_co_ci_u32_e64 v145, null, 0, v7, vcc_lo
	s_clause 0x13
	flat_load_ushort v102, v[102:103]
	flat_load_ushort v103, v[66:67]
	;; [unrolled: 1-line block ×20, first 2 shown]
	v_lshlrev_b32_sdwa v66, v50, v55 dst_sel:DWORD dst_unused:UNUSED_PAD src0_sel:DWORD src1_sel:WORD_0
	s_waitcnt vmcnt(24) lgkmcnt(24)
	v_cmp_lt_u16_e64 s6, v178, v183
	v_cmp_lt_u16_e64 s5, v162, v176
	v_cndmask_b32_e64 v51, v51, v54, s4
	v_add_co_u32 v66, vcc_lo, v6, v66
	v_add_co_ci_u32_e64 v67, null, 0, v7, vcc_lo
	v_cmp_lt_u16_e32 vcc_lo, v160, v161
	v_cndmask_b32_e64 v162, v148, v149, s6
	v_cndmask_b32_e64 v161, v146, v64, s5
	;; [unrolled: 1-line block ×3, first 2 shown]
	s_waitcnt vmcnt(22) lgkmcnt(22)
	v_cmp_lt_u16_e64 s5, v192, v193
	v_cndmask_b32_e32 v160, v147, v65, vcc_lo
	v_cndmask_b32_e32 v147, v65, v147, vcc_lo
	v_lshlrev_b32_sdwa v68, v50, v162 dst_sel:DWORD dst_unused:UNUSED_PAD src0_sel:DWORD src1_sel:WORD_0
	v_lshlrev_b32_sdwa v70, v50, v161 dst_sel:DWORD dst_unused:UNUSED_PAD src0_sel:DWORD src1_sel:WORD_0
	v_cndmask_b32_e64 v148, v149, v148, s6
	v_lshlrev_b32_sdwa v64, v50, v160 dst_sel:DWORD dst_unused:UNUSED_PAD src0_sel:DWORD src1_sel:WORD_0
	v_cndmask_b32_e64 v149, v151, v150, s5
	v_cndmask_b32_e64 v150, v150, v151, s5
	s_waitcnt vmcnt(20) lgkmcnt(20)
	v_cmp_lt_u16_e32 vcc_lo, v194, v195
	v_lshlrev_b32_sdwa v80, v50, v147 dst_sel:DWORD dst_unused:UNUSED_PAD src0_sel:DWORD src1_sel:WORD_0
	v_add_co_u32 v64, s5, v6, v64
	v_add_co_ci_u32_e64 v65, null, 0, v7, s5
	v_add_co_u32 v68, s5, v6, v68
	v_lshlrev_b32_sdwa v82, v50, v146 dst_sel:DWORD dst_unused:UNUSED_PAD src0_sel:DWORD src1_sel:WORD_0
	v_add_co_ci_u32_e64 v69, null, 0, v7, s5
	v_add_co_u32 v70, s5, v6, v70
	v_lshlrev_b32_sdwa v84, v50, v149 dst_sel:DWORD dst_unused:UNUSED_PAD src0_sel:DWORD src1_sel:WORD_0
	v_cndmask_b32_e32 v176, v53, v52, vcc_lo
	v_add_co_ci_u32_e64 v71, null, 0, v7, s5
	v_add_co_u32 v80, s5, v6, v80
	v_lshlrev_b32_sdwa v86, v50, v148 dst_sel:DWORD dst_unused:UNUSED_PAD src0_sel:DWORD src1_sel:WORD_0
	v_add_co_ci_u32_e64 v81, null, 0, v7, s5
	v_add_co_u32 v82, s5, v6, v82
	v_add_co_ci_u32_e64 v83, null, 0, v7, s5
	v_add_co_u32 v84, s5, v6, v84
	v_lshlrev_b32_sdwa v96, v50, v176 dst_sel:DWORD dst_unused:UNUSED_PAD src0_sel:DWORD src1_sel:WORD_0
	v_add_co_ci_u32_e64 v85, null, 0, v7, s5
	v_add_co_u32 v86, s5, v6, v86
	v_lshlrev_b32_sdwa v101, v50, v150 dst_sel:DWORD dst_unused:UNUSED_PAD src0_sel:DWORD src1_sel:WORD_0
	v_add_co_ci_u32_e64 v87, null, 0, v7, s5
	s_clause 0x7
	flat_load_ushort v151, v[80:81]
	flat_load_ushort v178, v[66:67]
	;; [unrolled: 1-line block ×8, first 2 shown]
	v_add_co_u32 v96, s5, v6, v96
	v_add_co_ci_u32_e64 v97, null, 0, v7, s5
	v_add_co_u32 v64, s5, v6, v101
	v_add_co_ci_u32_e64 v65, null, 0, v7, s5
	s_clause 0x1
	flat_load_ushort v213, v[96:97]
	flat_load_ushort v215, v[64:65]
	v_lshlrev_b32_sdwa v54, v50, v51 dst_sel:DWORD dst_unused:UNUSED_PAD src0_sel:DWORD src1_sel:WORD_0
	v_add_co_u32 v65, s4, v6, v54
	v_add_co_ci_u32_e64 v66, null, 0, v7, s4
	s_waitcnt vmcnt(28) lgkmcnt(28)
	v_cmp_lt_u16_e64 s4, v102, v103
	s_waitcnt vmcnt(26) lgkmcnt(26)
	v_cmp_lt_u16_e64 s5, v112, v113
	;; [unrolled: 2-line block ×3, first 2 shown]
	v_cndmask_b32_e64 v224, v163, v196, s4
	s_waitcnt vmcnt(22) lgkmcnt(22)
	v_cmp_lt_u16_e64 s7, v116, v117
	v_cndmask_b32_e64 v225, v164, v197, s5
	s_waitcnt vmcnt(20) lgkmcnt(20)
	v_cmp_lt_u16_e64 s10, v118, v119
	;; [unrolled: 3-line block ×3, first 2 shown]
	v_lshlrev_b32_sdwa v67, v50, v224 dst_sel:DWORD dst_unused:UNUSED_PAD src0_sel:DWORD src1_sel:WORD_0
	v_cndmask_b32_e64 v227, v165, v199, s7
	s_waitcnt vmcnt(16) lgkmcnt(16)
	v_cmp_lt_u16_e64 s14, v130, v131
	v_lshlrev_b32_sdwa v69, v50, v225 dst_sel:DWORD dst_unused:UNUSED_PAD src0_sel:DWORD src1_sel:WORD_0
	v_cndmask_b32_e64 v228, v179, v208, s10
	s_waitcnt vmcnt(14) lgkmcnt(14)
	v_cmp_lt_u16_e64 s15, v132, v133
	v_lshlrev_b32_sdwa v80, v50, v226 dst_sel:DWORD dst_unused:UNUSED_PAD src0_sel:DWORD src1_sel:WORD_0
	v_cndmask_b32_e64 v229, v166, v209, s11
	v_cndmask_b32_e64 v54, v196, v163, s4
	v_add_co_u32 v67, s4, v6, v67
	s_waitcnt vmcnt(12) lgkmcnt(12)
	v_cmp_lt_u16_e64 s16, v134, v98
	v_lshlrev_b32_sdwa v82, v50, v227 dst_sel:DWORD dst_unused:UNUSED_PAD src0_sel:DWORD src1_sel:WORD_0
	v_cndmask_b32_e64 v230, v167, v210, s14
	v_add_co_ci_u32_e64 v68, null, 0, v7, s4
	v_add_co_u32 v69, s4, v6, v69
	v_lshlrev_b32_sdwa v84, v50, v228 dst_sel:DWORD dst_unused:UNUSED_PAD src0_sel:DWORD src1_sel:WORD_0
	v_cndmask_b32_e64 v231, v180, v211, s15
	v_add_co_ci_u32_e64 v70, null, 0, v7, s4
	v_add_co_u32 v80, s4, v6, v80
	;; [unrolled: 4-line block ×3, first 2 shown]
	v_lshlrev_b32_sdwa v96, v50, v230 dst_sel:DWORD dst_unused:UNUSED_PAD src0_sel:DWORD src1_sel:WORD_0
	v_add_co_ci_u32_e64 v83, null, 0, v7, s4
	v_add_co_u32 v84, s4, v6, v84
	v_lshlrev_b32_sdwa v98, v50, v231 dst_sel:DWORD dst_unused:UNUSED_PAD src0_sel:DWORD src1_sel:WORD_0
	v_cndmask_b32_e64 v163, v197, v164, s5
	v_add_co_ci_u32_e64 v85, null, 0, v7, s4
	v_add_co_u32 v86, s4, v6, v86
	s_waitcnt vmcnt(10) lgkmcnt(10)
	v_cmp_lt_u16_e64 s17, v99, v100
	v_lshlrev_b32_sdwa v100, v50, v240 dst_sel:DWORD dst_unused:UNUSED_PAD src0_sel:DWORD src1_sel:WORD_0
	v_cndmask_b32_e64 v164, v198, v177, s6
	v_add_co_ci_u32_e64 v87, null, 0, v7, s4
	v_add_co_u32 v96, s4, v6, v96
	v_lshlrev_b32_sdwa v102, v50, v54 dst_sel:DWORD dst_unused:UNUSED_PAD src0_sel:DWORD src1_sel:WORD_0
	v_cndmask_b32_e64 v165, v199, v165, s7
	v_add_co_ci_u32_e64 v97, null, 0, v7, s4
	v_add_co_u32 v98, s4, v6, v98
	;; [unrolled: 4-line block ×8, first 2 shown]
	v_lshlrev_b32_sdwa v132, v50, v179 dst_sel:DWORD dst_unused:UNUSED_PAD src0_sel:DWORD src1_sel:WORD_0
	v_add_co_ci_u32_e64 v119, null, 0, v7, s4
	v_add_co_u32 v128, s4, v6, v128
	v_lshlrev_b32_sdwa v134, v50, v180 dst_sel:DWORD dst_unused:UNUSED_PAD src0_sel:DWORD src1_sel:WORD_0
	v_add_co_ci_u32_e64 v129, null, 0, v7, s4
	v_add_co_u32 v130, s4, v6, v130
	;; [unrolled: 3-line block ×3, first 2 shown]
	v_cndmask_b32_e64 v64, v182, v214, s17
	v_add_co_ci_u32_e64 v133, null, 0, v7, s4
	v_add_co_u32 v134, s4, v6, v134
	v_add_co_ci_u32_e64 v135, null, 0, v7, s4
	v_add_co_u32 v144, s4, v6, v144
	v_add_co_ci_u32_e64 v145, null, 0, v7, s4
	s_clause 0x13
	flat_load_ushort v102, v[102:103]
	flat_load_ushort v103, v[65:66]
	;; [unrolled: 1-line block ×20, first 2 shown]
	v_lshlrev_b32_sdwa v65, v50, v64 dst_sel:DWORD dst_unused:UNUSED_PAD src0_sel:DWORD src1_sel:WORD_0
	s_waitcnt vmcnt(24) lgkmcnt(24)
	v_cmp_lt_u16_e64 s6, v193, v71
	v_cmp_lt_u16_e64 s5, v183, v192
	s_waitcnt vmcnt(22) lgkmcnt(22)
	v_cmp_lt_u16_e64 s7, v194, v195
	v_cndmask_b32_e32 v197, v52, v53, vcc_lo
	v_add_co_u32 v65, s4, v6, v65
	v_add_co_ci_u32_e64 v66, null, 0, v7, s4
	v_cmp_lt_u16_e64 s4, v151, v178
	v_cndmask_b32_e64 v71, v161, v162, s6
	v_cndmask_b32_e64 v178, v146, v160, s5
	;; [unrolled: 1-line block ×5, first 2 shown]
	v_lshlrev_b32_sdwa v69, v50, v71 dst_sel:DWORD dst_unused:UNUSED_PAD src0_sel:DWORD src1_sel:WORD_0
	v_cndmask_b32_e64 v55, v55, v147, s4
	s_waitcnt vmcnt(20) lgkmcnt(20)
	v_cmp_lt_u16_e64 s4, v213, v215
	v_lshlrev_b32_sdwa v80, v50, v178 dst_sel:DWORD dst_unused:UNUSED_PAD src0_sel:DWORD src1_sel:WORD_0
	v_lshlrev_b32_sdwa v67, v50, v151 dst_sel:DWORD dst_unused:UNUSED_PAD src0_sel:DWORD src1_sel:WORD_0
	;; [unrolled: 1-line block ×3, first 2 shown]
	v_cndmask_b32_e64 v147, v162, v161, s6
	v_lshlrev_b32_sdwa v84, v50, v55 dst_sel:DWORD dst_unused:UNUSED_PAD src0_sel:DWORD src1_sel:WORD_0
	v_cndmask_b32_e64 v148, v149, v148, s7
	v_add_co_u32 v67, s5, v6, v67
	v_add_co_ci_u32_e64 v68, null, 0, v7, s5
	v_add_co_u32 v69, s5, v6, v69
	v_cndmask_b32_e64 v149, v150, v176, s4
	v_add_co_ci_u32_e64 v70, null, 0, v7, s5
	v_add_co_u32 v80, s5, v6, v80
	v_lshlrev_b32_sdwa v86, v50, v146 dst_sel:DWORD dst_unused:UNUSED_PAD src0_sel:DWORD src1_sel:WORD_0
	v_add_co_ci_u32_e64 v81, null, 0, v7, s5
	v_add_co_u32 v82, s5, v6, v82
	v_lshlrev_b32_sdwa v96, v50, v147 dst_sel:DWORD dst_unused:UNUSED_PAD src0_sel:DWORD src1_sel:WORD_0
	;; [unrolled: 3-line block ×4, first 2 shown]
	v_add_co_ci_u32_e64 v87, null, 0, v7, s5
	v_add_co_u32 v96, s5, v6, v96
	v_add_co_ci_u32_e64 v97, null, 0, v7, s5
	v_add_co_u32 v98, s5, v6, v98
	;; [unrolled: 2-line block ×3, first 2 shown]
	v_add_co_ci_u32_e64 v101, null, 0, v7, s5
	s_clause 0x9
	flat_load_ushort v160, v[84:85]
	flat_load_ushort v161, v[65:66]
	flat_load_ushort v162, v[86:87]
	flat_load_ushort v183, v[67:68]
	flat_load_ushort v192, v[69:70]
	flat_load_ushort v193, v[80:81]
	flat_load_ushort v194, v[82:83]
	flat_load_ushort v195, v[96:97]
	flat_load_ushort v196, v[98:99]
	flat_load_ushort v100, v[100:101]
	v_cndmask_b32_e64 v150, v176, v150, s4
	v_lshlrev_b32_sdwa v52, v50, v197 dst_sel:DWORD dst_unused:UNUSED_PAD src0_sel:DWORD src1_sel:WORD_0
	v_lshlrev_b32_sdwa v65, v50, v150 dst_sel:DWORD dst_unused:UNUSED_PAD src0_sel:DWORD src1_sel:WORD_0
	v_add_co_u32 v52, vcc_lo, v6, v52
	v_add_co_ci_u32_e64 v53, null, 0, v7, vcc_lo
	v_add_co_u32 v65, vcc_lo, v6, v65
	v_add_co_ci_u32_e64 v66, null, 0, v7, vcc_lo
	s_clause 0x1
	flat_load_ushort v176, v[52:53]
	flat_load_ushort v198, v[65:66]
	s_waitcnt vmcnt(30) lgkmcnt(30)
	v_cmp_lt_u16_e32 vcc_lo, v102, v103
	s_waitcnt vmcnt(28) lgkmcnt(28)
	v_cmp_lt_u16_e64 s4, v112, v113
	s_waitcnt vmcnt(26) lgkmcnt(26)
	v_cmp_lt_u16_e64 s5, v114, v115
	v_cndmask_b32_e32 v208, v54, v51, vcc_lo
	s_waitcnt vmcnt(24) lgkmcnt(24)
	v_cmp_lt_u16_e64 s6, v116, v117
	v_cndmask_b32_e64 v209, v163, v224, s4
	s_waitcnt vmcnt(22) lgkmcnt(22)
	v_cmp_lt_u16_e64 s7, v118, v119
	v_cndmask_b32_e64 v211, v164, v225, s5
	s_waitcnt vmcnt(20) lgkmcnt(20)
	v_cmp_lt_u16_e64 s10, v128, v129
	v_lshlrev_b32_sdwa v52, v50, v208 dst_sel:DWORD dst_unused:UNUSED_PAD src0_sel:DWORD src1_sel:WORD_0
	v_cndmask_b32_e64 v212, v165, v226, s6
	s_waitcnt vmcnt(18) lgkmcnt(18)
	v_cmp_lt_u16_e64 s11, v130, v131
	v_lshlrev_b32_sdwa v65, v50, v209 dst_sel:DWORD dst_unused:UNUSED_PAD src0_sel:DWORD src1_sel:WORD_0
	v_cndmask_b32_e64 v214, v177, v227, s7
	s_waitcnt vmcnt(16) lgkmcnt(16)
	v_cmp_lt_u16_e64 s14, v132, v133
	v_lshlrev_b32_sdwa v67, v50, v211 dst_sel:DWORD dst_unused:UNUSED_PAD src0_sel:DWORD src1_sel:WORD_0
	v_cndmask_b32_e64 v243, v166, v228, s10
	s_waitcnt vmcnt(12) lgkmcnt(12)
	v_cmp_lt_u16_e64 s16, v144, v145
	v_cndmask_b32_e64 v144, v224, v163, s4
	v_add_co_u32 v52, s4, v6, v52
	v_cmp_lt_u16_e64 s15, v134, v135
	v_lshlrev_b32_sdwa v69, v50, v212 dst_sel:DWORD dst_unused:UNUSED_PAD src0_sel:DWORD src1_sel:WORD_0
	v_cndmask_b32_e64 v244, v167, v229, s11
	v_add_co_ci_u32_e64 v53, null, 0, v7, s4
	v_add_co_u32 v65, s4, v6, v65
	v_lshlrev_b32_sdwa v80, v50, v214 dst_sel:DWORD dst_unused:UNUSED_PAD src0_sel:DWORD src1_sel:WORD_0
	v_cndmask_b32_e64 v245, v179, v230, s14
	v_add_co_ci_u32_e64 v66, null, 0, v7, s4
	v_add_co_u32 v67, s4, v6, v67
	;; [unrolled: 4-line block ×4, first 2 shown]
	v_lshlrev_b32_sdwa v86, v50, v245 dst_sel:DWORD dst_unused:UNUSED_PAD src0_sel:DWORD src1_sel:WORD_0
	v_add_co_ci_u32_e64 v81, null, 0, v7, s4
	v_add_co_u32 v82, s4, v6, v82
	v_cndmask_b32_e64 v145, v225, v164, s5
	v_lshlrev_b32_sdwa v96, v50, v134 dst_sel:DWORD dst_unused:UNUSED_PAD src0_sel:DWORD src1_sel:WORD_0
	v_add_co_ci_u32_e64 v83, null, 0, v7, s4
	v_add_co_u32 v84, s4, v6, v84
	v_cndmask_b32_e64 v163, v226, v165, s6
	v_lshlrev_b32_sdwa v98, v50, v135 dst_sel:DWORD dst_unused:UNUSED_PAD src0_sel:DWORD src1_sel:WORD_0
	v_lshlrev_b32_sdwa v101, v50, v144 dst_sel:DWORD dst_unused:UNUSED_PAD src0_sel:DWORD src1_sel:WORD_0
	v_add_co_ci_u32_e64 v85, null, 0, v7, s4
	v_add_co_u32 v86, s4, v6, v86
	v_cndmask_b32_e64 v164, v227, v177, s7
	v_lshlrev_b32_sdwa v102, v50, v145 dst_sel:DWORD dst_unused:UNUSED_PAD src0_sel:DWORD src1_sel:WORD_0
	v_add_co_ci_u32_e64 v87, null, 0, v7, s4
	v_add_co_u32 v96, s4, v6, v96
	v_cndmask_b32_e64 v165, v228, v166, s10
	;; [unrolled: 4-line block ×3, first 2 shown]
	v_lshlrev_b32_sdwa v114, v50, v164 dst_sel:DWORD dst_unused:UNUSED_PAD src0_sel:DWORD src1_sel:WORD_0
	v_add_co_ci_u32_e64 v99, null, 0, v7, s4
	s_waitcnt vmcnt(10) lgkmcnt(10)
	v_cmp_lt_u16_e64 s4, v160, v161
	v_cndmask_b32_e64 v167, v230, v179, s14
	s_waitcnt vmcnt(2) lgkmcnt(2)
	v_cmp_lt_u16_e64 s10, v196, v100
	v_add_co_u32 v100, s11, v6, v101
	v_add_co_ci_u32_e64 v101, null, 0, v7, s11
	v_add_co_u32 v102, s11, v6, v102
	v_lshlrev_b32_sdwa v116, v50, v165 dst_sel:DWORD dst_unused:UNUSED_PAD src0_sel:DWORD src1_sel:WORD_0
	v_cmp_lt_u16_e64 s5, v162, v183
	v_cndmask_b32_e64 v177, v231, v180, s15
	v_add_co_ci_u32_e64 v103, null, 0, v7, s11
	v_add_co_u32 v112, s11, v6, v112
	v_lshlrev_b32_sdwa v118, v50, v166 dst_sel:DWORD dst_unused:UNUSED_PAD src0_sel:DWORD src1_sel:WORD_0
	v_cmp_lt_u16_e64 s7, v194, v195
	v_cndmask_b32_e64 v180, v240, v181, s16
	v_cndmask_b32_e64 v160, v55, v64, s4
	v_cmp_lt_u16_e64 s6, v192, v193
	v_add_co_ci_u32_e64 v113, null, 0, v7, s11
	v_add_co_u32 v114, s11, v6, v114
	v_lshlrev_b32_sdwa v128, v50, v167 dst_sel:DWORD dst_unused:UNUSED_PAD src0_sel:DWORD src1_sel:WORD_0
	v_cndmask_b32_e64 v161, v146, v151, s5
	v_add_co_ci_u32_e64 v115, null, 0, v7, s11
	v_add_co_u32 v116, s11, v6, v116
	v_lshlrev_b32_sdwa v130, v50, v177 dst_sel:DWORD dst_unused:UNUSED_PAD src0_sel:DWORD src1_sel:WORD_0
	v_cndmask_b32_e64 v183, v147, v182, s7
	;; [unrolled: 4-line block ×3, first 2 shown]
	v_cndmask_b32_e64 v246, v148, v149, s10
	v_cndmask_b32_e64 v146, v151, v146, s5
	;; [unrolled: 1-line block ×4, first 2 shown]
	s_clause 0x5
	flat_load_ushort v149, v[100:101]
	flat_load_ushort v178, v[52:53]
	;; [unrolled: 1-line block ×6, first 2 shown]
	v_lshlrev_b32_sdwa v52, v50, v160 dst_sel:DWORD dst_unused:UNUSED_PAD src0_sel:DWORD src1_sel:WORD_0
	v_add_co_ci_u32_e64 v119, null, 0, v7, s11
	v_add_co_u32 v128, s11, v6, v128
	v_cndmask_b32_e64 v55, v64, v55, s4
	v_lshlrev_b32_sdwa v64, v50, v161 dst_sel:DWORD dst_unused:UNUSED_PAD src0_sel:DWORD src1_sel:WORD_0
	v_add_co_ci_u32_e64 v129, null, 0, v7, s11
	v_add_co_u32 v130, s11, v6, v130
	v_lshlrev_b32_sdwa v66, v50, v183 dst_sel:DWORD dst_unused:UNUSED_PAD src0_sel:DWORD src1_sel:WORD_0
	v_add_co_ci_u32_e64 v131, null, 0, v7, s11
	v_add_co_u32 v132, s11, v6, v132
	v_add_co_u32 v52, s5, v6, v52
	v_lshlrev_b32_sdwa v68, v50, v162 dst_sel:DWORD dst_unused:UNUSED_PAD src0_sel:DWORD src1_sel:WORD_0
	v_add_co_ci_u32_e64 v133, null, 0, v7, s11
	v_add_co_ci_u32_e64 v53, null, 0, v7, s5
	v_add_co_u32 v64, s5, v6, v64
	s_waitcnt vmcnt(6) lgkmcnt(6)
	v_cmp_lt_u16_e64 s4, v176, v198
	s_clause 0xb
	flat_load_ushort v114, v[114:115]
	flat_load_ushort v115, v[69:70]
	;; [unrolled: 1-line block ×12, first 2 shown]
	v_lshlrev_b32_sdwa v70, v50, v246 dst_sel:DWORD dst_unused:UNUSED_PAD src0_sel:DWORD src1_sel:WORD_0
	v_add_co_ci_u32_e64 v65, null, 0, v7, s5
	v_add_co_u32 v66, s5, v6, v66
	v_lshlrev_b32_sdwa v80, v50, v55 dst_sel:DWORD dst_unused:UNUSED_PAD src0_sel:DWORD src1_sel:WORD_0
	v_cndmask_b32_e64 v147, v182, v147, s7
	v_add_co_ci_u32_e64 v67, null, 0, v7, s5
	v_add_co_u32 v68, s5, v6, v68
	v_lshlrev_b32_sdwa v82, v50, v146 dst_sel:DWORD dst_unused:UNUSED_PAD src0_sel:DWORD src1_sel:WORD_0
	v_cndmask_b32_e64 v176, v150, v197, s4
	v_add_co_ci_u32_e64 v69, null, 0, v7, s5
	v_add_co_u32 v70, s5, v6, v70
	v_lshlrev_b32_sdwa v84, v50, v151 dst_sel:DWORD dst_unused:UNUSED_PAD src0_sel:DWORD src1_sel:WORD_0
	v_add_co_ci_u32_e64 v71, null, 0, v7, s5
	v_add_co_u32 v80, s5, v6, v80
	v_lshlrev_b32_sdwa v86, v50, v147 dst_sel:DWORD dst_unused:UNUSED_PAD src0_sel:DWORD src1_sel:WORD_0
	;; [unrolled: 3-line block ×4, first 2 shown]
	v_add_co_ci_u32_e64 v85, null, 0, v7, s5
	v_add_co_u32 v86, s5, v6, v86
	v_add_co_ci_u32_e64 v87, null, 0, v7, s5
	v_add_co_u32 v96, s5, v6, v96
	;; [unrolled: 2-line block ×3, first 2 shown]
	v_add_co_ci_u32_e64 v101, null, 0, v7, s5
	s_clause 0xb
	flat_load_ushort v50, v[80:81]
	flat_load_ushort v80, v[98:99]
	flat_load_ushort v81, v[82:83]
	flat_load_ushort v52, v[52:53]
	flat_load_ushort v53, v[84:85]
	flat_load_ushort v64, v[64:65]
	flat_load_ushort v65, v[66:67]
	flat_load_ushort v66, v[68:69]
	flat_load_ushort v67, v[70:71]
	flat_load_ushort v68, v[86:87]
	flat_load_ushort v69, v[96:97]
	flat_load_ushort v70, v[100:101]
	v_cndmask_b32_e32 v193, v51, v54, vcc_lo
	v_cndmask_b32_e64 v179, v197, v150, s4
	s_waitcnt vmcnt(28) lgkmcnt(28)
	v_cmp_lt_u16_e32 vcc_lo, v149, v178
	s_waitcnt vmcnt(26) lgkmcnt(26)
	v_cmp_lt_u16_e64 s4, v102, v103
	s_waitcnt vmcnt(24) lgkmcnt(24)
	v_cmp_lt_u16_e64 s5, v112, v113
	v_cndmask_b32_e32 v240, v144, v208, vcc_lo
	v_cndmask_b32_e32 v194, v208, v144, vcc_lo
	v_cndmask_b32_e64 v230, v145, v209, s4
	v_cndmask_b32_e64 v242, v209, v145, s4
	;; [unrolled: 1-line block ×4, first 2 shown]
	s_waitcnt vmcnt(22) lgkmcnt(22)
	v_cmp_lt_u16_e64 s6, v114, v115
	s_waitcnt vmcnt(20) lgkmcnt(20)
	v_cmp_lt_u16_e64 s7, v116, v117
	;; [unrolled: 2-line block ×3, first 2 shown]
	v_cndmask_b32_e64 v226, v164, v212, s6
	s_waitcnt vmcnt(16) lgkmcnt(16)
	v_cmp_lt_u16_e64 s11, v128, v129
	v_cndmask_b32_e64 v225, v165, v214, s7
	s_waitcnt vmcnt(14) lgkmcnt(14)
	v_cmp_lt_u16_e64 s14, v130, v131
	v_cndmask_b32_e64 v215, v166, v243, s10
	s_waitcnt vmcnt(12) lgkmcnt(12)
	v_cmp_lt_u16_e64 s15, v132, v133
	v_cndmask_b32_e64 v231, v212, v164, s6
	v_cndmask_b32_e64 v229, v214, v165, s7
	;; [unrolled: 1-line block ×9, first 2 shown]
	s_waitcnt vmcnt(10) lgkmcnt(10)
	v_cmp_lt_u16_e32 vcc_lo, v50, v80
	s_waitcnt vmcnt(8) lgkmcnt(8)
	v_cmp_lt_u16_e64 s4, v81, v52
	s_waitcnt vmcnt(6) lgkmcnt(6)
	v_cmp_lt_u16_e64 s5, v53, v64
	v_cndmask_b32_e32 v208, v55, v135, vcc_lo
	s_waitcnt vmcnt(4) lgkmcnt(4)
	v_cmp_lt_u16_e64 s6, v65, v66
	v_cndmask_b32_e64 v197, v146, v160, s4
	s_waitcnt vmcnt(2) lgkmcnt(2)
	v_cmp_lt_u16_e64 s7, v67, v68
	v_cndmask_b32_e64 v196, v151, v161, s5
	;; [unrolled: 3-line block ×3, first 2 shown]
	v_cndmask_b32_e32 v212, v135, v55, vcc_lo
	v_cndmask_b32_e64 v182, v147, v246, s7
	v_cndmask_b32_e64 v209, v160, v146, s4
	;; [unrolled: 1-line block ×7, first 2 shown]
.LBB872_3:
	s_or_b32 exec_lo, exec_lo, s22
	v_and_b32_e32 v49, 0xfffffc00, v49
	v_mov_b32_e32 v50, v9
	s_mov_b32 s4, exec_lo
	v_sub_nc_u32_e64 v113, 0x2000, v49 clamp
	v_lshlrev_b64 v[50:51], 1, v[49:50]
	v_mbcnt_lo_u32_b32 v51, -1, 0
	v_lshlrev_b32_e32 v114, 5, v51
	v_add_co_u32 v112, null, 0, v50
	v_or_b32_e32 v49, 32, v114
	v_and_b32_e32 v50, 32, v114
	v_and_b32_e32 v245, 0x3c0, v114
	v_lshl_add_u32 v115, v51, 6, v112
	ds_write_b16 v115, v193
	ds_write_b16 v115, v194 offset:2
	ds_write_b16 v115, v240 offset:4
	;; [unrolled: 1-line block ×13, first 2 shown]
	v_min_u32_e32 v243, v113, v49
	v_min_u32_e32 v246, v113, v50
	ds_write_b16 v115, v213 offset:28
	ds_write_b16 v115, v214 offset:30
	;; [unrolled: 1-line block ×9, first 2 shown]
	v_add_nc_u32_e32 v49, 32, v243
	v_sub_nc_u32_e32 v50, v243, v245
	ds_write_b16 v115, v198 offset:46
	ds_write_b16 v115, v196 offset:48
	;; [unrolled: 1-line block ×9, first 2 shown]
	v_min_u32_e32 v244, v113, v49
	; wave barrier
	v_sub_nc_u32_e32 v49, v244, v243
	v_sub_nc_u32_e64 v247, v246, v49 clamp
	v_min_u32_e32 v49, v246, v50
	v_cmpx_lt_u32_e64 v247, v49
	s_cbranch_execz .LBB872_7
; %bb.4:
	v_lshlrev_b32_e32 v50, 1, v245
	v_lshlrev_b32_e32 v51, 1, v243
	s_mov_b32 s5, 0
	v_add_co_u32 v50, null, v112, v50
	v_add_co_u32 v51, null, v112, v51
	s_inst_prefetch 0x1
	.p2align	6
.LBB872_5:                              ; =>This Inner Loop Header: Depth=1
	v_add_nc_u32_e32 v52, v49, v247
	v_lshrrev_b32_e32 v64, 1, v52
	v_and_b32_e32 v52, -2, v52
	v_xad_u32 v53, v64, -1, v246
	v_add_nc_u32_e32 v52, v50, v52
	v_lshl_add_u32 v53, v53, 1, v51
	ds_read_u16 v52, v52
	ds_read_u16 v53, v53
	s_waitcnt lgkmcnt(1)
	v_lshlrev_b32_e32 v52, 1, v52
	s_waitcnt lgkmcnt(0)
	v_lshlrev_b32_e32 v54, 1, v53
	v_add_co_u32 v52, vcc_lo, v6, v52
	v_add_co_ci_u32_e64 v53, null, 0, v7, vcc_lo
	v_add_co_u32 v54, vcc_lo, v6, v54
	v_add_co_ci_u32_e64 v55, null, 0, v7, vcc_lo
	s_clause 0x1
	flat_load_ushort v54, v[54:55]
	flat_load_ushort v52, v[52:53]
	v_add_nc_u32_e32 v53, 1, v64
	s_waitcnt vmcnt(0) lgkmcnt(0)
	v_cmp_lt_u16_e32 vcc_lo, v54, v52
	v_cndmask_b32_e32 v49, v49, v64, vcc_lo
	v_cndmask_b32_e32 v247, v53, v247, vcc_lo
	v_cmp_ge_u32_e32 vcc_lo, v247, v49
	s_or_b32 s5, vcc_lo, s5
	s_andn2_b32 exec_lo, exec_lo, s5
	s_cbranch_execnz .LBB872_5
; %bb.6:
	s_inst_prefetch 0x2
	s_or_b32 exec_lo, exec_lo, s5
.LBB872_7:
	s_or_b32 exec_lo, exec_lo, s4
	v_add_nc_u32_e32 v246, v243, v246
	v_add_nc_u32_e32 v245, v247, v245
	;; [unrolled: 1-line block ×5, first 2 shown]
	v_sub_nc_u32_e32 v246, v246, v247
	v_cmp_le_u32_e32 vcc_lo, v245, v243
	v_or_b32_e32 v49, 2, v37
	v_add_nc_u32_e32 v50, 4, v37
	v_add_nc_u32_e32 v51, 6, v37
	v_cmp_le_u32_e64 s4, v246, v244
	v_add_nc_u32_e32 v52, 8, v37
	v_add_nc_u32_e32 v53, 10, v37
	;; [unrolled: 1-line block ×59, first 2 shown]
	s_or_b32 s4, vcc_lo, s4
	s_and_saveexec_b32 s5, s4
	s_cbranch_execz .LBB872_139
; %bb.8:
	s_mov_b32 s6, exec_lo
	v_cmp_ge_u32_e32 vcc_lo, v245, v243
                                        ; implicit-def: $vgpr180
	v_cmpx_lt_u32_e64 v245, v243
; %bb.9:
	v_lshl_add_u32 v179, v245, 1, v112
	ds_read_u16 v180, v179
; %bb.10:
	s_or_b32 exec_lo, exec_lo, s6
	v_cmp_ge_u32_e64 s6, v246, v244
	s_mov_b32 s7, exec_lo
                                        ; implicit-def: $vgpr193
	v_cmpx_lt_u32_e64 v246, v244
; %bb.11:
	v_lshl_add_u32 v179, v246, 1, v112
	ds_read_u16 v193, v179
; %bb.12:
	s_or_b32 exec_lo, exec_lo, s7
	s_nor_b32 s7, vcc_lo, s6
	s_and_saveexec_b32 s4, s7
	s_cbranch_execz .LBB872_14
; %bb.13:
	v_mov_b32_e32 v179, 1
	s_andn2_b32 s6, s6, exec_lo
	s_waitcnt lgkmcnt(0)
	v_lshlrev_b32_sdwa v181, v179, v193 dst_sel:DWORD dst_unused:UNUSED_PAD src0_sel:DWORD src1_sel:WORD_0
	v_lshlrev_b32_sdwa v179, v179, v180 dst_sel:DWORD dst_unused:UNUSED_PAD src0_sel:DWORD src1_sel:WORD_0
	v_add_co_u32 v181, vcc_lo, v6, v181
	v_add_co_ci_u32_e64 v182, null, 0, v7, vcc_lo
	v_add_co_u32 v194, vcc_lo, v6, v179
	v_add_co_ci_u32_e64 v195, null, 0, v7, vcc_lo
	s_clause 0x1
	flat_load_ushort v179, v[181:182]
	flat_load_ushort v181, v[194:195]
	s_waitcnt vmcnt(0) lgkmcnt(0)
	v_cmp_ge_u16_e32 vcc_lo, v179, v181
	s_and_b32 s7, vcc_lo, exec_lo
	s_or_b32 s6, s6, s7
.LBB872_14:
	s_or_b32 exec_lo, exec_lo, s4
	v_cndmask_b32_e64 v179, v246, v245, s6
	v_cndmask_b32_e64 v181, v244, v243, s6
	s_mov_b32 s7, -1
	s_mov_b32 s4, -1
	s_mov_b32 s10, exec_lo
	v_add_nc_u32_e32 v182, 1, v179
	v_add_nc_u32_e32 v179, -1, v181
	v_cndmask_b32_e64 v181, v245, v182, s6
	v_min_u32_e32 v179, v182, v179
	v_lshl_add_u32 v179, v179, 1, v112
	ds_read_u16 v183, v179
	v_cndmask_b32_e64 v179, v182, v246, s6
	s_waitcnt lgkmcnt(0)
	v_cndmask_b32_e64 v194, v183, v193, s6
	v_cndmask_b32_e64 v245, v180, v183, s6
	v_cmpx_lt_u32_e64 v179, v244
	s_cbranch_execz .LBB872_18
; %bb.15:
	s_mov_b32 s11, 0
	s_mov_b32 s4, exec_lo
	v_cmpx_lt_u32_e64 v181, v243
	s_cbranch_execz .LBB872_17
; %bb.16:
	v_mov_b32_e32 v182, 1
	v_lshlrev_b32_sdwa v183, v182, v194 dst_sel:DWORD dst_unused:UNUSED_PAD src0_sel:DWORD src1_sel:WORD_0
	v_lshlrev_b32_sdwa v192, v182, v245 dst_sel:DWORD dst_unused:UNUSED_PAD src0_sel:DWORD src1_sel:WORD_0
	v_add_co_u32 v182, vcc_lo, v6, v183
	v_add_co_ci_u32_e64 v183, null, 0, v7, vcc_lo
	v_add_co_u32 v195, vcc_lo, v6, v192
	v_add_co_ci_u32_e64 v196, null, 0, v7, vcc_lo
	s_clause 0x1
	flat_load_ushort v182, v[182:183]
	flat_load_ushort v183, v[195:196]
	s_waitcnt vmcnt(0) lgkmcnt(0)
	v_cmp_ge_u16_e32 vcc_lo, v182, v183
	s_and_b32 s11, vcc_lo, exec_lo
.LBB872_17:
	s_or_b32 exec_lo, exec_lo, s4
	s_orn2_b32 s4, s11, exec_lo
.LBB872_18:
	s_or_b32 exec_lo, exec_lo, s10
	v_cndmask_b32_e64 v182, v179, v181, s4
	v_cndmask_b32_e64 v183, v244, v243, s4
	s_mov_b32 s10, exec_lo
	v_add_nc_u32_e32 v182, 1, v182
	v_add_nc_u32_e32 v183, -1, v183
	v_cndmask_b32_e64 v179, v182, v179, s4
	v_min_u32_e32 v183, v182, v183
	v_cndmask_b32_e64 v181, v181, v182, s4
	v_lshl_add_u32 v183, v183, 1, v112
	ds_read_u16 v183, v183
	s_waitcnt lgkmcnt(0)
	v_cndmask_b32_e64 v240, v183, v194, s4
	v_cndmask_b32_e64 v246, v245, v183, s4
	v_cmpx_lt_u32_e64 v179, v244
	s_cbranch_execz .LBB872_22
; %bb.19:
	s_mov_b32 s11, 0
	s_mov_b32 s7, exec_lo
	v_cmpx_lt_u32_e64 v181, v243
	s_cbranch_execz .LBB872_21
; %bb.20:
	v_mov_b32_e32 v182, 1
	v_lshlrev_b32_sdwa v183, v182, v240 dst_sel:DWORD dst_unused:UNUSED_PAD src0_sel:DWORD src1_sel:WORD_0
	v_lshlrev_b32_sdwa v192, v182, v246 dst_sel:DWORD dst_unused:UNUSED_PAD src0_sel:DWORD src1_sel:WORD_0
	v_add_co_u32 v182, vcc_lo, v6, v183
	v_add_co_ci_u32_e64 v183, null, 0, v7, vcc_lo
	v_add_co_u32 v195, vcc_lo, v6, v192
	v_add_co_ci_u32_e64 v196, null, 0, v7, vcc_lo
	s_clause 0x1
	flat_load_ushort v182, v[182:183]
	flat_load_ushort v183, v[195:196]
	s_waitcnt vmcnt(0) lgkmcnt(0)
	v_cmp_ge_u16_e32 vcc_lo, v182, v183
	s_and_b32 s11, vcc_lo, exec_lo
.LBB872_21:
	s_or_b32 exec_lo, exec_lo, s7
	s_orn2_b32 s7, s11, exec_lo
.LBB872_22:
	s_or_b32 exec_lo, exec_lo, s10
	v_cndmask_b32_e64 v182, v179, v181, s7
	v_cndmask_b32_e64 v183, v244, v243, s7
	s_mov_b32 s11, -1
	s_mov_b32 s10, -1
	s_mov_b32 s14, exec_lo
	v_add_nc_u32_e32 v182, 1, v182
	v_add_nc_u32_e32 v183, -1, v183
	v_cndmask_b32_e64 v179, v182, v179, s7
	v_min_u32_e32 v183, v182, v183
	v_cndmask_b32_e64 v181, v181, v182, s7
	v_lshl_add_u32 v183, v183, 1, v112
	ds_read_u16 v183, v183
	s_waitcnt lgkmcnt(0)
	v_cndmask_b32_e64 v242, v183, v240, s7
	v_cndmask_b32_e64 v247, v246, v183, s7
	v_cmpx_lt_u32_e64 v179, v244
	s_cbranch_execz .LBB872_26
; %bb.23:
	s_mov_b32 s15, 0
	s_mov_b32 s10, exec_lo
	v_cmpx_lt_u32_e64 v181, v243
	s_cbranch_execz .LBB872_25
; %bb.24:
	v_mov_b32_e32 v182, 1
	v_lshlrev_b32_sdwa v183, v182, v242 dst_sel:DWORD dst_unused:UNUSED_PAD src0_sel:DWORD src1_sel:WORD_0
	v_lshlrev_b32_sdwa v192, v182, v247 dst_sel:DWORD dst_unused:UNUSED_PAD src0_sel:DWORD src1_sel:WORD_0
	v_add_co_u32 v182, vcc_lo, v6, v183
	v_add_co_ci_u32_e64 v183, null, 0, v7, vcc_lo
	v_add_co_u32 v195, vcc_lo, v6, v192
	v_add_co_ci_u32_e64 v196, null, 0, v7, vcc_lo
	s_clause 0x1
	flat_load_ushort v182, v[182:183]
	flat_load_ushort v183, v[195:196]
	s_waitcnt vmcnt(0) lgkmcnt(0)
	v_cmp_ge_u16_e32 vcc_lo, v182, v183
	s_and_b32 s15, vcc_lo, exec_lo
.LBB872_25:
	s_or_b32 exec_lo, exec_lo, s10
	s_orn2_b32 s10, s15, exec_lo
.LBB872_26:
	s_or_b32 exec_lo, exec_lo, s14
	v_cndmask_b32_e64 v182, v179, v181, s10
	v_cndmask_b32_e64 v183, v244, v243, s10
	s_mov_b32 s14, exec_lo
	v_add_nc_u32_e32 v182, 1, v182
	v_add_nc_u32_e32 v183, -1, v183
	v_cndmask_b32_e64 v179, v182, v179, s10
	v_min_u32_e32 v183, v182, v183
	v_cndmask_b32_e64 v181, v181, v182, s10
	v_lshl_add_u32 v183, v183, 1, v112
	ds_read_u16 v183, v183
	s_waitcnt lgkmcnt(0)
	v_cndmask_b32_e64 v230, v183, v242, s10
	v_cndmask_b32_e64 v40, v247, v183, s10
	v_cmpx_lt_u32_e64 v179, v244
	s_cbranch_execz .LBB872_30
; %bb.27:
	s_mov_b32 s15, 0
	s_mov_b32 s11, exec_lo
	v_cmpx_lt_u32_e64 v181, v243
	s_cbranch_execz .LBB872_29
; %bb.28:
	v_mov_b32_e32 v182, 1
	v_lshlrev_b32_sdwa v183, v182, v230 dst_sel:DWORD dst_unused:UNUSED_PAD src0_sel:DWORD src1_sel:WORD_0
	v_lshlrev_b32_sdwa v192, v182, v40 dst_sel:DWORD dst_unused:UNUSED_PAD src0_sel:DWORD src1_sel:WORD_0
	v_add_co_u32 v182, vcc_lo, v6, v183
	v_add_co_ci_u32_e64 v183, null, 0, v7, vcc_lo
	v_add_co_u32 v195, vcc_lo, v6, v192
	v_add_co_ci_u32_e64 v196, null, 0, v7, vcc_lo
	s_clause 0x1
	flat_load_ushort v182, v[182:183]
	flat_load_ushort v183, v[195:196]
	s_waitcnt vmcnt(0) lgkmcnt(0)
	v_cmp_ge_u16_e32 vcc_lo, v182, v183
	s_and_b32 s15, vcc_lo, exec_lo
.LBB872_29:
	s_or_b32 exec_lo, exec_lo, s11
	s_orn2_b32 s11, s15, exec_lo
.LBB872_30:
	s_or_b32 exec_lo, exec_lo, s14
	v_cndmask_b32_e64 v182, v179, v181, s11
	v_cndmask_b32_e64 v183, v244, v243, s11
	s_mov_b32 s15, -1
	s_mov_b32 s14, -1
	s_mov_b32 s16, exec_lo
	v_add_nc_u32_e32 v182, 1, v182
	v_add_nc_u32_e32 v183, -1, v183
	v_cndmask_b32_e64 v179, v182, v179, s11
	v_min_u32_e32 v183, v182, v183
	v_cndmask_b32_e64 v181, v181, v182, s11
	v_lshl_add_u32 v183, v183, 1, v112
	ds_read_u16 v183, v183
	s_waitcnt lgkmcnt(0)
	v_cndmask_b32_e64 v241, v183, v230, s11
	v_cndmask_b32_e64 v41, v40, v183, s11
	v_cmpx_lt_u32_e64 v179, v244
	s_cbranch_execz .LBB872_34
; %bb.31:
	s_mov_b32 s17, 0
	s_mov_b32 s14, exec_lo
	v_cmpx_lt_u32_e64 v181, v243
	s_cbranch_execz .LBB872_33
; %bb.32:
	v_mov_b32_e32 v182, 1
	v_lshlrev_b32_sdwa v183, v182, v241 dst_sel:DWORD dst_unused:UNUSED_PAD src0_sel:DWORD src1_sel:WORD_0
	v_lshlrev_b32_sdwa v192, v182, v41 dst_sel:DWORD dst_unused:UNUSED_PAD src0_sel:DWORD src1_sel:WORD_0
	v_add_co_u32 v182, vcc_lo, v6, v183
	v_add_co_ci_u32_e64 v183, null, 0, v7, vcc_lo
	v_add_co_u32 v195, vcc_lo, v6, v192
	v_add_co_ci_u32_e64 v196, null, 0, v7, vcc_lo
	s_clause 0x1
	flat_load_ushort v182, v[182:183]
	flat_load_ushort v183, v[195:196]
	s_waitcnt vmcnt(0) lgkmcnt(0)
	v_cmp_ge_u16_e32 vcc_lo, v182, v183
	s_and_b32 s17, vcc_lo, exec_lo
.LBB872_33:
	s_or_b32 exec_lo, exec_lo, s14
	s_orn2_b32 s14, s17, exec_lo
.LBB872_34:
	s_or_b32 exec_lo, exec_lo, s16
	v_cndmask_b32_e64 v182, v179, v181, s14
	v_cndmask_b32_e64 v183, v244, v243, s14
	s_mov_b32 s16, exec_lo
	v_add_nc_u32_e32 v182, 1, v182
	v_add_nc_u32_e32 v183, -1, v183
	v_cndmask_b32_e64 v179, v182, v179, s14
	v_min_u32_e32 v183, v182, v183
	v_cndmask_b32_e64 v181, v181, v182, s14
	v_lshl_add_u32 v183, v183, 1, v112
	ds_read_u16 v183, v183
	s_waitcnt lgkmcnt(0)
	v_cndmask_b32_e64 v228, v183, v241, s14
	v_cndmask_b32_e64 v42, v41, v183, s14
	v_cmpx_lt_u32_e64 v179, v244
	s_cbranch_execz .LBB872_38
; %bb.35:
	s_mov_b32 s17, 0
	s_mov_b32 s15, exec_lo
	v_cmpx_lt_u32_e64 v181, v243
	s_cbranch_execz .LBB872_37
; %bb.36:
	v_mov_b32_e32 v182, 1
	v_lshlrev_b32_sdwa v183, v182, v228 dst_sel:DWORD dst_unused:UNUSED_PAD src0_sel:DWORD src1_sel:WORD_0
	v_lshlrev_b32_sdwa v192, v182, v42 dst_sel:DWORD dst_unused:UNUSED_PAD src0_sel:DWORD src1_sel:WORD_0
	v_add_co_u32 v182, vcc_lo, v6, v183
	v_add_co_ci_u32_e64 v183, null, 0, v7, vcc_lo
	v_add_co_u32 v195, vcc_lo, v6, v192
	v_add_co_ci_u32_e64 v196, null, 0, v7, vcc_lo
	s_clause 0x1
	flat_load_ushort v182, v[182:183]
	flat_load_ushort v183, v[195:196]
	s_waitcnt vmcnt(0) lgkmcnt(0)
	v_cmp_ge_u16_e32 vcc_lo, v182, v183
	s_and_b32 s17, vcc_lo, exec_lo
.LBB872_37:
	s_or_b32 exec_lo, exec_lo, s15
	s_orn2_b32 s15, s17, exec_lo
.LBB872_38:
	s_or_b32 exec_lo, exec_lo, s16
	v_cndmask_b32_e64 v182, v179, v181, s15
	v_cndmask_b32_e64 v183, v244, v243, s15
	s_mov_b32 s17, -1
	s_mov_b32 s16, -1
	s_mov_b32 s18, exec_lo
	v_add_nc_u32_e32 v182, 1, v182
	v_add_nc_u32_e32 v183, -1, v183
	v_cndmask_b32_e64 v179, v182, v179, s15
	v_min_u32_e32 v183, v182, v183
	v_cndmask_b32_e64 v181, v181, v182, s15
	v_lshl_add_u32 v183, v183, 1, v112
	ds_read_u16 v183, v183
	s_waitcnt lgkmcnt(0)
	v_cndmask_b32_e64 v231, v183, v228, s15
	v_cndmask_b32_e64 v43, v42, v183, s15
	v_cmpx_lt_u32_e64 v179, v244
	s_cbranch_execz .LBB872_42
; %bb.39:
	s_mov_b32 s19, 0
	s_mov_b32 s16, exec_lo
	v_cmpx_lt_u32_e64 v181, v243
	s_cbranch_execz .LBB872_41
; %bb.40:
	v_mov_b32_e32 v182, 1
	v_lshlrev_b32_sdwa v183, v182, v231 dst_sel:DWORD dst_unused:UNUSED_PAD src0_sel:DWORD src1_sel:WORD_0
	v_lshlrev_b32_sdwa v192, v182, v43 dst_sel:DWORD dst_unused:UNUSED_PAD src0_sel:DWORD src1_sel:WORD_0
	v_add_co_u32 v182, vcc_lo, v6, v183
	v_add_co_ci_u32_e64 v183, null, 0, v7, vcc_lo
	v_add_co_u32 v195, vcc_lo, v6, v192
	v_add_co_ci_u32_e64 v196, null, 0, v7, vcc_lo
	s_clause 0x1
	flat_load_ushort v182, v[182:183]
	flat_load_ushort v183, v[195:196]
	s_waitcnt vmcnt(0) lgkmcnt(0)
	v_cmp_ge_u16_e32 vcc_lo, v182, v183
	s_and_b32 s19, vcc_lo, exec_lo
.LBB872_41:
	s_or_b32 exec_lo, exec_lo, s16
	s_orn2_b32 s16, s19, exec_lo
.LBB872_42:
	s_or_b32 exec_lo, exec_lo, s18
	v_cndmask_b32_e64 v182, v179, v181, s16
	v_cndmask_b32_e64 v183, v244, v243, s16
	s_mov_b32 s18, exec_lo
	v_add_nc_u32_e32 v182, 1, v182
	v_add_nc_u32_e32 v183, -1, v183
	v_cndmask_b32_e64 v179, v182, v179, s16
	v_min_u32_e32 v183, v182, v183
	v_cndmask_b32_e64 v181, v181, v182, s16
	v_lshl_add_u32 v183, v183, 1, v112
	ds_read_u16 v183, v183
	s_waitcnt lgkmcnt(0)
	v_cndmask_b32_e64 v226, v183, v231, s16
	v_cndmask_b32_e64 v44, v43, v183, s16
	v_cmpx_lt_u32_e64 v179, v244
	s_cbranch_execz .LBB872_46
; %bb.43:
	s_mov_b32 s19, 0
	s_mov_b32 s17, exec_lo
	v_cmpx_lt_u32_e64 v181, v243
	s_cbranch_execz .LBB872_45
; %bb.44:
	v_mov_b32_e32 v182, 1
	v_lshlrev_b32_sdwa v183, v182, v226 dst_sel:DWORD dst_unused:UNUSED_PAD src0_sel:DWORD src1_sel:WORD_0
	v_lshlrev_b32_sdwa v192, v182, v44 dst_sel:DWORD dst_unused:UNUSED_PAD src0_sel:DWORD src1_sel:WORD_0
	v_add_co_u32 v182, vcc_lo, v6, v183
	v_add_co_ci_u32_e64 v183, null, 0, v7, vcc_lo
	v_add_co_u32 v195, vcc_lo, v6, v192
	v_add_co_ci_u32_e64 v196, null, 0, v7, vcc_lo
	s_clause 0x1
	flat_load_ushort v182, v[182:183]
	flat_load_ushort v183, v[195:196]
	s_waitcnt vmcnt(0) lgkmcnt(0)
	v_cmp_ge_u16_e32 vcc_lo, v182, v183
	s_and_b32 s19, vcc_lo, exec_lo
.LBB872_45:
	s_or_b32 exec_lo, exec_lo, s17
	s_orn2_b32 s17, s19, exec_lo
.LBB872_46:
	s_or_b32 exec_lo, exec_lo, s18
	v_cndmask_b32_e64 v182, v179, v181, s17
	v_cndmask_b32_e64 v183, v244, v243, s17
	s_mov_b32 s19, -1
	s_mov_b32 s18, -1
	s_mov_b32 s20, exec_lo
	v_add_nc_u32_e32 v182, 1, v182
	v_add_nc_u32_e32 v183, -1, v183
	v_cndmask_b32_e64 v179, v182, v179, s17
	v_min_u32_e32 v183, v182, v183
	v_cndmask_b32_e64 v181, v181, v182, s17
	v_lshl_add_u32 v183, v183, 1, v112
	ds_read_u16 v183, v183
	s_waitcnt lgkmcnt(0)
	v_cndmask_b32_e64 v229, v183, v226, s17
	v_cndmask_b32_e64 v45, v44, v183, s17
	v_cmpx_lt_u32_e64 v179, v244
	s_cbranch_execz .LBB872_50
; %bb.47:
	s_mov_b32 s22, 0
	s_mov_b32 s18, exec_lo
	v_cmpx_lt_u32_e64 v181, v243
	s_cbranch_execz .LBB872_49
; %bb.48:
	v_mov_b32_e32 v182, 1
	v_lshlrev_b32_sdwa v183, v182, v229 dst_sel:DWORD dst_unused:UNUSED_PAD src0_sel:DWORD src1_sel:WORD_0
	v_lshlrev_b32_sdwa v192, v182, v45 dst_sel:DWORD dst_unused:UNUSED_PAD src0_sel:DWORD src1_sel:WORD_0
	v_add_co_u32 v182, vcc_lo, v6, v183
	v_add_co_ci_u32_e64 v183, null, 0, v7, vcc_lo
	v_add_co_u32 v195, vcc_lo, v6, v192
	v_add_co_ci_u32_e64 v196, null, 0, v7, vcc_lo
	s_clause 0x1
	flat_load_ushort v182, v[182:183]
	flat_load_ushort v183, v[195:196]
	s_waitcnt vmcnt(0) lgkmcnt(0)
	v_cmp_ge_u16_e32 vcc_lo, v182, v183
	s_and_b32 s22, vcc_lo, exec_lo
.LBB872_49:
	s_or_b32 exec_lo, exec_lo, s18
	s_orn2_b32 s18, s22, exec_lo
.LBB872_50:
	s_or_b32 exec_lo, exec_lo, s20
	v_cndmask_b32_e64 v182, v179, v181, s18
	v_cndmask_b32_e64 v183, v244, v243, s18
	s_mov_b32 s20, exec_lo
	v_add_nc_u32_e32 v182, 1, v182
	v_add_nc_u32_e32 v183, -1, v183
	v_cndmask_b32_e64 v179, v182, v179, s18
	v_min_u32_e32 v183, v182, v183
	v_cndmask_b32_e64 v181, v181, v182, s18
	v_lshl_add_u32 v183, v183, 1, v112
	ds_read_u16 v183, v183
	s_waitcnt lgkmcnt(0)
	v_cndmask_b32_e64 v225, v183, v229, s18
	v_cndmask_b32_e64 v46, v45, v183, s18
	v_cmpx_lt_u32_e64 v179, v244
	s_cbranch_execz .LBB872_54
; %bb.51:
	s_mov_b32 s22, 0
	s_mov_b32 s19, exec_lo
	v_cmpx_lt_u32_e64 v181, v243
	s_cbranch_execz .LBB872_53
; %bb.52:
	v_mov_b32_e32 v182, 1
	v_lshlrev_b32_sdwa v183, v182, v225 dst_sel:DWORD dst_unused:UNUSED_PAD src0_sel:DWORD src1_sel:WORD_0
	v_lshlrev_b32_sdwa v192, v182, v46 dst_sel:DWORD dst_unused:UNUSED_PAD src0_sel:DWORD src1_sel:WORD_0
	v_add_co_u32 v182, vcc_lo, v6, v183
	v_add_co_ci_u32_e64 v183, null, 0, v7, vcc_lo
	v_add_co_u32 v195, vcc_lo, v6, v192
	v_add_co_ci_u32_e64 v196, null, 0, v7, vcc_lo
	s_clause 0x1
	flat_load_ushort v182, v[182:183]
	flat_load_ushort v183, v[195:196]
	s_waitcnt vmcnt(0) lgkmcnt(0)
	v_cmp_ge_u16_e32 vcc_lo, v182, v183
	s_and_b32 s22, vcc_lo, exec_lo
.LBB872_53:
	s_or_b32 exec_lo, exec_lo, s19
	s_orn2_b32 s19, s22, exec_lo
.LBB872_54:
	s_or_b32 exec_lo, exec_lo, s20
	v_cndmask_b32_e64 v182, v179, v181, s19
	v_cndmask_b32_e64 v183, v244, v243, s19
	s_mov_b32 s22, -1
	s_mov_b32 s20, -1
	s_mov_b32 s23, exec_lo
	v_add_nc_u32_e32 v182, 1, v182
	v_add_nc_u32_e32 v183, -1, v183
	v_cndmask_b32_e64 v179, v182, v179, s19
	v_min_u32_e32 v183, v182, v183
	v_cndmask_b32_e64 v181, v181, v182, s19
	v_lshl_add_u32 v183, v183, 1, v112
	ds_read_u16 v183, v183
	s_waitcnt lgkmcnt(0)
	v_cndmask_b32_e64 v227, v183, v225, s19
	v_cndmask_b32_e64 v47, v46, v183, s19
	v_cmpx_lt_u32_e64 v179, v244
	s_cbranch_execz .LBB872_58
; %bb.55:
	s_mov_b32 s24, 0
	s_mov_b32 s20, exec_lo
	v_cmpx_lt_u32_e64 v181, v243
	s_cbranch_execz .LBB872_57
; %bb.56:
	v_mov_b32_e32 v182, 1
	v_lshlrev_b32_sdwa v183, v182, v227 dst_sel:DWORD dst_unused:UNUSED_PAD src0_sel:DWORD src1_sel:WORD_0
	v_lshlrev_b32_sdwa v192, v182, v47 dst_sel:DWORD dst_unused:UNUSED_PAD src0_sel:DWORD src1_sel:WORD_0
	v_add_co_u32 v182, vcc_lo, v6, v183
	v_add_co_ci_u32_e64 v183, null, 0, v7, vcc_lo
	v_add_co_u32 v195, vcc_lo, v6, v192
	v_add_co_ci_u32_e64 v196, null, 0, v7, vcc_lo
	s_clause 0x1
	flat_load_ushort v182, v[182:183]
	flat_load_ushort v183, v[195:196]
	s_waitcnt vmcnt(0) lgkmcnt(0)
	v_cmp_ge_u16_e32 vcc_lo, v182, v183
	s_and_b32 s24, vcc_lo, exec_lo
.LBB872_57:
	s_or_b32 exec_lo, exec_lo, s20
	s_orn2_b32 s20, s24, exec_lo
.LBB872_58:
	s_or_b32 exec_lo, exec_lo, s23
	v_cndmask_b32_e64 v182, v179, v181, s20
	v_cndmask_b32_e64 v183, v244, v243, s20
	s_mov_b32 s23, exec_lo
	v_add_nc_u32_e32 v182, 1, v182
	v_add_nc_u32_e32 v183, -1, v183
	v_cndmask_b32_e64 v179, v182, v179, s20
	v_min_u32_e32 v183, v182, v183
	v_cndmask_b32_e64 v181, v181, v182, s20
	v_lshl_add_u32 v183, v183, 1, v112
	ds_read_u16 v183, v183
	s_waitcnt lgkmcnt(0)
	v_cndmask_b32_e64 v215, v183, v227, s20
	v_cndmask_b32_e64 v56, v47, v183, s20
	v_cmpx_lt_u32_e64 v179, v244
	s_cbranch_execz .LBB872_62
; %bb.59:
	s_mov_b32 s24, 0
	s_mov_b32 s22, exec_lo
	v_cmpx_lt_u32_e64 v181, v243
	s_cbranch_execz .LBB872_61
; %bb.60:
	v_mov_b32_e32 v182, 1
	v_lshlrev_b32_sdwa v183, v182, v215 dst_sel:DWORD dst_unused:UNUSED_PAD src0_sel:DWORD src1_sel:WORD_0
	v_lshlrev_b32_sdwa v192, v182, v56 dst_sel:DWORD dst_unused:UNUSED_PAD src0_sel:DWORD src1_sel:WORD_0
	v_add_co_u32 v182, vcc_lo, v6, v183
	v_add_co_ci_u32_e64 v183, null, 0, v7, vcc_lo
	v_add_co_u32 v195, vcc_lo, v6, v192
	v_add_co_ci_u32_e64 v196, null, 0, v7, vcc_lo
	s_clause 0x1
	flat_load_ushort v182, v[182:183]
	flat_load_ushort v183, v[195:196]
	s_waitcnt vmcnt(0) lgkmcnt(0)
	v_cmp_ge_u16_e32 vcc_lo, v182, v183
	s_and_b32 s24, vcc_lo, exec_lo
.LBB872_61:
	s_or_b32 exec_lo, exec_lo, s22
	s_orn2_b32 s22, s24, exec_lo
.LBB872_62:
	s_or_b32 exec_lo, exec_lo, s23
	v_cndmask_b32_e64 v182, v179, v181, s22
	v_cndmask_b32_e64 v183, v244, v243, s22
	s_mov_b32 s24, -1
	s_mov_b32 s23, -1
	s_mov_b32 s25, exec_lo
	v_add_nc_u32_e32 v182, 1, v182
	v_add_nc_u32_e32 v183, -1, v183
	v_cndmask_b32_e64 v179, v182, v179, s22
	v_min_u32_e32 v183, v182, v183
	v_cndmask_b32_e64 v181, v181, v182, s22
	v_lshl_add_u32 v183, v183, 1, v112
	ds_read_u16 v183, v183
	s_waitcnt lgkmcnt(0)
	v_cndmask_b32_e64 v224, v183, v215, s22
	v_cndmask_b32_e64 v57, v56, v183, s22
	v_cmpx_lt_u32_e64 v179, v244
	s_cbranch_execz .LBB872_66
; %bb.63:
	s_mov_b32 s26, 0
	s_mov_b32 s23, exec_lo
	v_cmpx_lt_u32_e64 v181, v243
	s_cbranch_execz .LBB872_65
; %bb.64:
	v_mov_b32_e32 v182, 1
	v_lshlrev_b32_sdwa v183, v182, v224 dst_sel:DWORD dst_unused:UNUSED_PAD src0_sel:DWORD src1_sel:WORD_0
	v_lshlrev_b32_sdwa v192, v182, v57 dst_sel:DWORD dst_unused:UNUSED_PAD src0_sel:DWORD src1_sel:WORD_0
	v_add_co_u32 v182, vcc_lo, v6, v183
	v_add_co_ci_u32_e64 v183, null, 0, v7, vcc_lo
	v_add_co_u32 v195, vcc_lo, v6, v192
	v_add_co_ci_u32_e64 v196, null, 0, v7, vcc_lo
	s_clause 0x1
	flat_load_ushort v182, v[182:183]
	flat_load_ushort v183, v[195:196]
	s_waitcnt vmcnt(0) lgkmcnt(0)
	v_cmp_ge_u16_e32 vcc_lo, v182, v183
	s_and_b32 s26, vcc_lo, exec_lo
.LBB872_65:
	s_or_b32 exec_lo, exec_lo, s23
	s_orn2_b32 s23, s26, exec_lo
.LBB872_66:
	s_or_b32 exec_lo, exec_lo, s25
	v_cndmask_b32_e64 v182, v179, v181, s23
	v_cndmask_b32_e64 v183, v244, v243, s23
	s_mov_b32 s25, exec_lo
	v_add_nc_u32_e32 v182, 1, v182
	v_add_nc_u32_e32 v183, -1, v183
	v_cndmask_b32_e64 v179, v182, v179, s23
	v_min_u32_e32 v183, v182, v183
	v_cndmask_b32_e64 v181, v181, v182, s23
	v_lshl_add_u32 v183, v183, 1, v112
	ds_read_u16 v183, v183
	s_waitcnt lgkmcnt(0)
	v_cndmask_b32_e64 v213, v183, v224, s23
	v_cndmask_b32_e64 v58, v57, v183, s23
	v_cmpx_lt_u32_e64 v179, v244
	s_cbranch_execz .LBB872_70
; %bb.67:
	s_mov_b32 s26, 0
	s_mov_b32 s24, exec_lo
	v_cmpx_lt_u32_e64 v181, v243
	s_cbranch_execz .LBB872_69
; %bb.68:
	v_mov_b32_e32 v182, 1
	v_lshlrev_b32_sdwa v183, v182, v213 dst_sel:DWORD dst_unused:UNUSED_PAD src0_sel:DWORD src1_sel:WORD_0
	v_lshlrev_b32_sdwa v192, v182, v58 dst_sel:DWORD dst_unused:UNUSED_PAD src0_sel:DWORD src1_sel:WORD_0
	v_add_co_u32 v182, vcc_lo, v6, v183
	v_add_co_ci_u32_e64 v183, null, 0, v7, vcc_lo
	v_add_co_u32 v195, vcc_lo, v6, v192
	v_add_co_ci_u32_e64 v196, null, 0, v7, vcc_lo
	s_clause 0x1
	flat_load_ushort v182, v[182:183]
	flat_load_ushort v183, v[195:196]
	s_waitcnt vmcnt(0) lgkmcnt(0)
	v_cmp_ge_u16_e32 vcc_lo, v182, v183
	s_and_b32 s26, vcc_lo, exec_lo
.LBB872_69:
	s_or_b32 exec_lo, exec_lo, s24
	s_orn2_b32 s24, s26, exec_lo
.LBB872_70:
	s_or_b32 exec_lo, exec_lo, s25
	v_cndmask_b32_e64 v182, v179, v181, s24
	v_cndmask_b32_e64 v183, v244, v243, s24
	s_mov_b32 s26, -1
	s_mov_b32 s25, -1
	s_mov_b32 s27, exec_lo
	v_add_nc_u32_e32 v182, 1, v182
	v_add_nc_u32_e32 v183, -1, v183
	v_cndmask_b32_e64 v179, v182, v179, s24
	v_min_u32_e32 v183, v182, v183
	v_cndmask_b32_e64 v181, v181, v182, s24
	v_lshl_add_u32 v183, v183, 1, v112
	ds_read_u16 v183, v183
	s_waitcnt lgkmcnt(0)
	v_cndmask_b32_e64 v214, v183, v213, s24
	v_cndmask_b32_e64 v59, v58, v183, s24
	v_cmpx_lt_u32_e64 v179, v244
	s_cbranch_execz .LBB872_74
; %bb.71:
	s_mov_b32 s28, 0
	s_mov_b32 s25, exec_lo
	v_cmpx_lt_u32_e64 v181, v243
	s_cbranch_execz .LBB872_73
; %bb.72:
	v_mov_b32_e32 v182, 1
	v_lshlrev_b32_sdwa v183, v182, v214 dst_sel:DWORD dst_unused:UNUSED_PAD src0_sel:DWORD src1_sel:WORD_0
	v_lshlrev_b32_sdwa v192, v182, v59 dst_sel:DWORD dst_unused:UNUSED_PAD src0_sel:DWORD src1_sel:WORD_0
	v_add_co_u32 v182, vcc_lo, v6, v183
	v_add_co_ci_u32_e64 v183, null, 0, v7, vcc_lo
	v_add_co_u32 v195, vcc_lo, v6, v192
	v_add_co_ci_u32_e64 v196, null, 0, v7, vcc_lo
	s_clause 0x1
	flat_load_ushort v182, v[182:183]
	flat_load_ushort v183, v[195:196]
	s_waitcnt vmcnt(0) lgkmcnt(0)
	v_cmp_ge_u16_e32 vcc_lo, v182, v183
	s_and_b32 s28, vcc_lo, exec_lo
.LBB872_73:
	s_or_b32 exec_lo, exec_lo, s25
	s_orn2_b32 s25, s28, exec_lo
.LBB872_74:
	s_or_b32 exec_lo, exec_lo, s27
	v_cndmask_b32_e64 v182, v179, v181, s25
	v_cndmask_b32_e64 v183, v244, v243, s25
	s_mov_b32 s27, exec_lo
	v_add_nc_u32_e32 v182, 1, v182
	v_add_nc_u32_e32 v183, -1, v183
	v_cndmask_b32_e64 v179, v182, v179, s25
	v_min_u32_e32 v183, v182, v183
	v_cndmask_b32_e64 v181, v181, v182, s25
	v_lshl_add_u32 v183, v183, 1, v112
	ds_read_u16 v183, v183
	s_waitcnt lgkmcnt(0)
	v_cndmask_b32_e64 v210, v183, v214, s25
	v_cndmask_b32_e64 v60, v59, v183, s25
	v_cmpx_lt_u32_e64 v179, v244
	s_cbranch_execz .LBB872_78
; %bb.75:
	s_mov_b32 s28, 0
	s_mov_b32 s26, exec_lo
	v_cmpx_lt_u32_e64 v181, v243
	s_cbranch_execz .LBB872_77
; %bb.76:
	v_mov_b32_e32 v182, 1
	v_lshlrev_b32_sdwa v183, v182, v210 dst_sel:DWORD dst_unused:UNUSED_PAD src0_sel:DWORD src1_sel:WORD_0
	v_lshlrev_b32_sdwa v192, v182, v60 dst_sel:DWORD dst_unused:UNUSED_PAD src0_sel:DWORD src1_sel:WORD_0
	v_add_co_u32 v182, vcc_lo, v6, v183
	v_add_co_ci_u32_e64 v183, null, 0, v7, vcc_lo
	v_add_co_u32 v195, vcc_lo, v6, v192
	v_add_co_ci_u32_e64 v196, null, 0, v7, vcc_lo
	s_clause 0x1
	flat_load_ushort v182, v[182:183]
	flat_load_ushort v183, v[195:196]
	s_waitcnt vmcnt(0) lgkmcnt(0)
	v_cmp_ge_u16_e32 vcc_lo, v182, v183
	s_and_b32 s28, vcc_lo, exec_lo
.LBB872_77:
	s_or_b32 exec_lo, exec_lo, s26
	s_orn2_b32 s26, s28, exec_lo
.LBB872_78:
	s_or_b32 exec_lo, exec_lo, s27
	v_cndmask_b32_e64 v182, v179, v181, s26
	v_cndmask_b32_e64 v183, v244, v243, s26
	s_mov_b32 s28, -1
	s_mov_b32 s27, -1
	s_mov_b32 s29, exec_lo
	v_add_nc_u32_e32 v182, 1, v182
	v_add_nc_u32_e32 v183, -1, v183
	v_cndmask_b32_e64 v179, v182, v179, s26
	v_min_u32_e32 v183, v182, v183
	v_cndmask_b32_e64 v181, v181, v182, s26
	v_lshl_add_u32 v183, v183, 1, v112
	ds_read_u16 v183, v183
	s_waitcnt lgkmcnt(0)
	v_cndmask_b32_e64 v211, v183, v210, s26
	v_cndmask_b32_e64 v61, v60, v183, s26
	v_cmpx_lt_u32_e64 v179, v244
	s_cbranch_execz .LBB872_82
; %bb.79:
	s_mov_b32 s40, 0
	s_mov_b32 s27, exec_lo
	v_cmpx_lt_u32_e64 v181, v243
	s_cbranch_execz .LBB872_81
; %bb.80:
	v_mov_b32_e32 v182, 1
	v_lshlrev_b32_sdwa v183, v182, v211 dst_sel:DWORD dst_unused:UNUSED_PAD src0_sel:DWORD src1_sel:WORD_0
	v_lshlrev_b32_sdwa v192, v182, v61 dst_sel:DWORD dst_unused:UNUSED_PAD src0_sel:DWORD src1_sel:WORD_0
	v_add_co_u32 v182, vcc_lo, v6, v183
	v_add_co_ci_u32_e64 v183, null, 0, v7, vcc_lo
	v_add_co_u32 v195, vcc_lo, v6, v192
	v_add_co_ci_u32_e64 v196, null, 0, v7, vcc_lo
	s_clause 0x1
	flat_load_ushort v182, v[182:183]
	flat_load_ushort v183, v[195:196]
	s_waitcnt vmcnt(0) lgkmcnt(0)
	v_cmp_ge_u16_e32 vcc_lo, v182, v183
	s_and_b32 s40, vcc_lo, exec_lo
.LBB872_81:
	s_or_b32 exec_lo, exec_lo, s27
	s_orn2_b32 s27, s40, exec_lo
.LBB872_82:
	s_or_b32 exec_lo, exec_lo, s29
	v_cndmask_b32_e64 v182, v179, v181, s27
	v_cndmask_b32_e64 v183, v244, v243, s27
	s_mov_b32 s29, exec_lo
	v_add_nc_u32_e32 v182, 1, v182
	v_add_nc_u32_e32 v183, -1, v183
	v_cndmask_b32_e64 v179, v182, v179, s27
	v_min_u32_e32 v183, v182, v183
	v_cndmask_b32_e64 v181, v181, v182, s27
	v_lshl_add_u32 v183, v183, 1, v112
	ds_read_u16 v183, v183
	s_waitcnt lgkmcnt(0)
	v_cndmask_b32_e64 v199, v183, v211, s27
	v_cndmask_b32_e64 v62, v61, v183, s27
	v_cmpx_lt_u32_e64 v179, v244
	s_cbranch_execz .LBB872_86
; %bb.83:
	s_mov_b32 s40, 0
	s_mov_b32 s28, exec_lo
	v_cmpx_lt_u32_e64 v181, v243
	s_cbranch_execz .LBB872_85
; %bb.84:
	v_mov_b32_e32 v182, 1
	v_lshlrev_b32_sdwa v183, v182, v199 dst_sel:DWORD dst_unused:UNUSED_PAD src0_sel:DWORD src1_sel:WORD_0
	v_lshlrev_b32_sdwa v192, v182, v62 dst_sel:DWORD dst_unused:UNUSED_PAD src0_sel:DWORD src1_sel:WORD_0
	v_add_co_u32 v182, vcc_lo, v6, v183
	v_add_co_ci_u32_e64 v183, null, 0, v7, vcc_lo
	v_add_co_u32 v195, vcc_lo, v6, v192
	v_add_co_ci_u32_e64 v196, null, 0, v7, vcc_lo
	s_clause 0x1
	flat_load_ushort v182, v[182:183]
	flat_load_ushort v183, v[195:196]
	s_waitcnt vmcnt(0) lgkmcnt(0)
	v_cmp_ge_u16_e32 vcc_lo, v182, v183
	s_and_b32 s40, vcc_lo, exec_lo
.LBB872_85:
	s_or_b32 exec_lo, exec_lo, s28
	s_orn2_b32 s28, s40, exec_lo
.LBB872_86:
	s_or_b32 exec_lo, exec_lo, s29
	v_cndmask_b32_e64 v182, v179, v181, s28
	v_cndmask_b32_e64 v183, v244, v243, s28
	s_mov_b32 s40, -1
	s_mov_b32 s29, -1
	s_mov_b32 s41, exec_lo
	v_add_nc_u32_e32 v182, 1, v182
	v_add_nc_u32_e32 v183, -1, v183
	v_cndmask_b32_e64 v179, v182, v179, s28
	v_min_u32_e32 v183, v182, v183
	v_cndmask_b32_e64 v181, v181, v182, s28
	v_lshl_add_u32 v183, v183, 1, v112
	ds_read_u16 v183, v183
	s_waitcnt lgkmcnt(0)
	v_cndmask_b32_e64 v212, v183, v199, s28
	v_cndmask_b32_e64 v63, v62, v183, s28
	v_cmpx_lt_u32_e64 v179, v244
	s_cbranch_execz .LBB872_90
; %bb.87:
	s_mov_b32 s42, 0
	s_mov_b32 s29, exec_lo
	v_cmpx_lt_u32_e64 v181, v243
	s_cbranch_execz .LBB872_89
; %bb.88:
	v_mov_b32_e32 v182, 1
	v_lshlrev_b32_sdwa v183, v182, v212 dst_sel:DWORD dst_unused:UNUSED_PAD src0_sel:DWORD src1_sel:WORD_0
	v_lshlrev_b32_sdwa v192, v182, v63 dst_sel:DWORD dst_unused:UNUSED_PAD src0_sel:DWORD src1_sel:WORD_0
	v_add_co_u32 v182, vcc_lo, v6, v183
	v_add_co_ci_u32_e64 v183, null, 0, v7, vcc_lo
	v_add_co_u32 v195, vcc_lo, v6, v192
	v_add_co_ci_u32_e64 v196, null, 0, v7, vcc_lo
	s_clause 0x1
	flat_load_ushort v182, v[182:183]
	flat_load_ushort v183, v[195:196]
	s_waitcnt vmcnt(0) lgkmcnt(0)
	v_cmp_ge_u16_e32 vcc_lo, v182, v183
	s_and_b32 s42, vcc_lo, exec_lo
.LBB872_89:
	s_or_b32 exec_lo, exec_lo, s29
	s_orn2_b32 s29, s42, exec_lo
.LBB872_90:
	s_or_b32 exec_lo, exec_lo, s41
	v_cndmask_b32_e64 v182, v179, v181, s29
	v_cndmask_b32_e64 v183, v244, v243, s29
	s_mov_b32 s41, exec_lo
	v_add_nc_u32_e32 v182, 1, v182
	v_add_nc_u32_e32 v183, -1, v183
	v_cndmask_b32_e64 v179, v182, v179, s29
	v_min_u32_e32 v183, v182, v183
	v_cndmask_b32_e64 v181, v181, v182, s29
	v_lshl_add_u32 v183, v183, 1, v112
	ds_read_u16 v183, v183
	s_waitcnt lgkmcnt(0)
	v_cndmask_b32_e64 v208, v183, v212, s29
	v_cndmask_b32_e64 v72, v63, v183, s29
	v_cmpx_lt_u32_e64 v179, v244
	s_cbranch_execz .LBB872_94
; %bb.91:
	s_mov_b32 s42, 0
	s_mov_b32 s40, exec_lo
	v_cmpx_lt_u32_e64 v181, v243
	s_cbranch_execz .LBB872_93
; %bb.92:
	v_mov_b32_e32 v182, 1
	v_lshlrev_b32_sdwa v183, v182, v208 dst_sel:DWORD dst_unused:UNUSED_PAD src0_sel:DWORD src1_sel:WORD_0
	v_lshlrev_b32_sdwa v192, v182, v72 dst_sel:DWORD dst_unused:UNUSED_PAD src0_sel:DWORD src1_sel:WORD_0
	v_add_co_u32 v182, vcc_lo, v6, v183
	v_add_co_ci_u32_e64 v183, null, 0, v7, vcc_lo
	v_add_co_u32 v195, vcc_lo, v6, v192
	v_add_co_ci_u32_e64 v196, null, 0, v7, vcc_lo
	s_clause 0x1
	flat_load_ushort v182, v[182:183]
	flat_load_ushort v183, v[195:196]
	s_waitcnt vmcnt(0) lgkmcnt(0)
	v_cmp_ge_u16_e32 vcc_lo, v182, v183
	s_and_b32 s42, vcc_lo, exec_lo
.LBB872_93:
	s_or_b32 exec_lo, exec_lo, s40
	s_orn2_b32 s40, s42, exec_lo
.LBB872_94:
	s_or_b32 exec_lo, exec_lo, s41
	v_cndmask_b32_e64 v182, v179, v181, s40
	v_cndmask_b32_e64 v183, v244, v243, s40
	s_mov_b32 s42, -1
	s_mov_b32 s41, -1
	s_mov_b32 s43, exec_lo
	v_add_nc_u32_e32 v182, 1, v182
	v_add_nc_u32_e32 v183, -1, v183
	v_cndmask_b32_e64 v179, v182, v179, s40
	v_min_u32_e32 v183, v182, v183
	v_cndmask_b32_e64 v181, v181, v182, s40
	v_lshl_add_u32 v183, v183, 1, v112
	ds_read_u16 v183, v183
	s_waitcnt lgkmcnt(0)
	v_cndmask_b32_e64 v209, v183, v208, s40
	v_cndmask_b32_e64 v73, v72, v183, s40
	v_cmpx_lt_u32_e64 v179, v244
	s_cbranch_execz .LBB872_98
; %bb.95:
	s_mov_b32 s44, 0
	s_mov_b32 s41, exec_lo
	v_cmpx_lt_u32_e64 v181, v243
	s_cbranch_execz .LBB872_97
; %bb.96:
	v_mov_b32_e32 v182, 1
	v_lshlrev_b32_sdwa v183, v182, v209 dst_sel:DWORD dst_unused:UNUSED_PAD src0_sel:DWORD src1_sel:WORD_0
	v_lshlrev_b32_sdwa v192, v182, v73 dst_sel:DWORD dst_unused:UNUSED_PAD src0_sel:DWORD src1_sel:WORD_0
	v_add_co_u32 v182, vcc_lo, v6, v183
	v_add_co_ci_u32_e64 v183, null, 0, v7, vcc_lo
	v_add_co_u32 v195, vcc_lo, v6, v192
	v_add_co_ci_u32_e64 v196, null, 0, v7, vcc_lo
	s_clause 0x1
	flat_load_ushort v182, v[182:183]
	flat_load_ushort v183, v[195:196]
	s_waitcnt vmcnt(0) lgkmcnt(0)
	v_cmp_ge_u16_e32 vcc_lo, v182, v183
	s_and_b32 s44, vcc_lo, exec_lo
.LBB872_97:
	s_or_b32 exec_lo, exec_lo, s41
	s_orn2_b32 s41, s44, exec_lo
.LBB872_98:
	s_or_b32 exec_lo, exec_lo, s43
	v_cndmask_b32_e64 v182, v179, v181, s41
	v_cndmask_b32_e64 v183, v244, v243, s41
	s_mov_b32 s43, exec_lo
	v_add_nc_u32_e32 v182, 1, v182
	v_add_nc_u32_e32 v183, -1, v183
	v_cndmask_b32_e64 v179, v182, v179, s41
	v_min_u32_e32 v183, v182, v183
	v_cndmask_b32_e64 v181, v181, v182, s41
	v_lshl_add_u32 v183, v183, 1, v112
	ds_read_u16 v183, v183
	s_waitcnt lgkmcnt(0)
	v_cndmask_b32_e64 v197, v183, v209, s41
	v_cndmask_b32_e64 v74, v73, v183, s41
	v_cmpx_lt_u32_e64 v179, v244
	s_cbranch_execz .LBB872_102
; %bb.99:
	s_mov_b32 s44, 0
	s_mov_b32 s42, exec_lo
	v_cmpx_lt_u32_e64 v181, v243
	s_cbranch_execz .LBB872_101
; %bb.100:
	v_mov_b32_e32 v182, 1
	v_lshlrev_b32_sdwa v183, v182, v197 dst_sel:DWORD dst_unused:UNUSED_PAD src0_sel:DWORD src1_sel:WORD_0
	v_lshlrev_b32_sdwa v192, v182, v74 dst_sel:DWORD dst_unused:UNUSED_PAD src0_sel:DWORD src1_sel:WORD_0
	v_add_co_u32 v182, vcc_lo, v6, v183
	v_add_co_ci_u32_e64 v183, null, 0, v7, vcc_lo
	v_add_co_u32 v195, vcc_lo, v6, v192
	v_add_co_ci_u32_e64 v196, null, 0, v7, vcc_lo
	s_clause 0x1
	flat_load_ushort v182, v[182:183]
	flat_load_ushort v183, v[195:196]
	s_waitcnt vmcnt(0) lgkmcnt(0)
	v_cmp_ge_u16_e32 vcc_lo, v182, v183
	s_and_b32 s44, vcc_lo, exec_lo
.LBB872_101:
	s_or_b32 exec_lo, exec_lo, s42
	s_orn2_b32 s42, s44, exec_lo
.LBB872_102:
	s_or_b32 exec_lo, exec_lo, s43
	v_cndmask_b32_e64 v182, v179, v181, s42
	v_cndmask_b32_e64 v183, v244, v243, s42
	s_mov_b32 s44, -1
	s_mov_b32 s43, -1
	s_mov_b32 s45, exec_lo
	v_add_nc_u32_e32 v182, 1, v182
	v_add_nc_u32_e32 v183, -1, v183
	v_cndmask_b32_e64 v179, v182, v179, s42
	v_min_u32_e32 v183, v182, v183
	v_cndmask_b32_e64 v181, v181, v182, s42
	v_lshl_add_u32 v183, v183, 1, v112
	ds_read_u16 v183, v183
	s_waitcnt lgkmcnt(0)
	v_cndmask_b32_e64 v198, v183, v197, s42
	v_cndmask_b32_e64 v75, v74, v183, s42
	v_cmpx_lt_u32_e64 v179, v244
	s_cbranch_execz .LBB872_106
; %bb.103:
	s_mov_b32 s46, 0
	s_mov_b32 s43, exec_lo
	v_cmpx_lt_u32_e64 v181, v243
	s_cbranch_execz .LBB872_105
; %bb.104:
	v_mov_b32_e32 v182, 1
	v_lshlrev_b32_sdwa v183, v182, v198 dst_sel:DWORD dst_unused:UNUSED_PAD src0_sel:DWORD src1_sel:WORD_0
	v_lshlrev_b32_sdwa v192, v182, v75 dst_sel:DWORD dst_unused:UNUSED_PAD src0_sel:DWORD src1_sel:WORD_0
	v_add_co_u32 v182, vcc_lo, v6, v183
	v_add_co_ci_u32_e64 v183, null, 0, v7, vcc_lo
	v_add_co_u32 v195, vcc_lo, v6, v192
	v_add_co_ci_u32_e64 v196, null, 0, v7, vcc_lo
	s_clause 0x1
	flat_load_ushort v182, v[182:183]
	flat_load_ushort v183, v[195:196]
	s_waitcnt vmcnt(0) lgkmcnt(0)
	v_cmp_ge_u16_e32 vcc_lo, v182, v183
	s_and_b32 s46, vcc_lo, exec_lo
.LBB872_105:
	s_or_b32 exec_lo, exec_lo, s43
	s_orn2_b32 s43, s46, exec_lo
.LBB872_106:
	s_or_b32 exec_lo, exec_lo, s45
	v_cndmask_b32_e64 v182, v179, v181, s43
	v_cndmask_b32_e64 v183, v244, v243, s43
	s_mov_b32 s45, exec_lo
	v_add_nc_u32_e32 v182, 1, v182
	v_add_nc_u32_e32 v183, -1, v183
	v_cndmask_b32_e64 v179, v182, v179, s43
	v_min_u32_e32 v183, v182, v183
	v_cndmask_b32_e64 v181, v181, v182, s43
	v_lshl_add_u32 v183, v183, 1, v112
	ds_read_u16 v183, v183
	s_waitcnt lgkmcnt(0)
	v_cndmask_b32_e64 v196, v183, v198, s43
	v_cndmask_b32_e64 v76, v75, v183, s43
	v_cmpx_lt_u32_e64 v179, v244
	s_cbranch_execz .LBB872_110
; %bb.107:
	s_mov_b32 s46, 0
	s_mov_b32 s44, exec_lo
	v_cmpx_lt_u32_e64 v181, v243
	s_cbranch_execz .LBB872_109
; %bb.108:
	v_mov_b32_e32 v182, 1
	v_lshlrev_b32_sdwa v183, v182, v196 dst_sel:DWORD dst_unused:UNUSED_PAD src0_sel:DWORD src1_sel:WORD_0
	v_lshlrev_b32_sdwa v192, v182, v76 dst_sel:DWORD dst_unused:UNUSED_PAD src0_sel:DWORD src1_sel:WORD_0
	v_add_co_u32 v182, vcc_lo, v6, v183
	v_add_co_ci_u32_e64 v183, null, 0, v7, vcc_lo
	v_add_co_u32 v77, vcc_lo, v6, v192
	v_add_co_ci_u32_e64 v78, null, 0, v7, vcc_lo
	s_clause 0x1
	flat_load_ushort v182, v[182:183]
	flat_load_ushort v183, v[77:78]
	s_waitcnt vmcnt(0) lgkmcnt(0)
	v_cmp_ge_u16_e32 vcc_lo, v182, v183
	s_and_b32 s46, vcc_lo, exec_lo
.LBB872_109:
	s_or_b32 exec_lo, exec_lo, s44
	s_orn2_b32 s44, s46, exec_lo
.LBB872_110:
	s_or_b32 exec_lo, exec_lo, s45
	v_cndmask_b32_e64 v182, v179, v181, s44
	v_cndmask_b32_e64 v183, v244, v243, s44
	s_mov_b32 s46, -1
	s_mov_b32 s45, -1
	s_mov_b32 s47, exec_lo
	v_add_nc_u32_e32 v182, 1, v182
	v_add_nc_u32_e32 v183, -1, v183
	v_cndmask_b32_e64 v179, v182, v179, s44
	v_min_u32_e32 v183, v182, v183
	v_cndmask_b32_e64 v181, v181, v182, s44
	v_lshl_add_u32 v183, v183, 1, v112
	ds_read_u16 v183, v183
	s_waitcnt lgkmcnt(0)
	v_cndmask_b32_e64 v195, v183, v196, s44
	v_cndmask_b32_e64 v77, v76, v183, s44
	v_cmpx_lt_u32_e64 v179, v244
	s_cbranch_execz .LBB872_114
; %bb.111:
	s_mov_b32 s56, 0
	s_mov_b32 s45, exec_lo
	v_cmpx_lt_u32_e64 v181, v243
	s_cbranch_execz .LBB872_113
; %bb.112:
	v_mov_b32_e32 v182, 1
	v_lshlrev_b32_sdwa v183, v182, v195 dst_sel:DWORD dst_unused:UNUSED_PAD src0_sel:DWORD src1_sel:WORD_0
	v_lshlrev_b32_sdwa v192, v182, v77 dst_sel:DWORD dst_unused:UNUSED_PAD src0_sel:DWORD src1_sel:WORD_0
	v_add_co_u32 v182, vcc_lo, v6, v183
	v_add_co_ci_u32_e64 v183, null, 0, v7, vcc_lo
	v_add_co_u32 v78, vcc_lo, v6, v192
	v_add_co_ci_u32_e64 v79, null, 0, v7, vcc_lo
	s_clause 0x1
	flat_load_ushort v182, v[182:183]
	flat_load_ushort v183, v[78:79]
	s_waitcnt vmcnt(0) lgkmcnt(0)
	v_cmp_ge_u16_e32 vcc_lo, v182, v183
	s_and_b32 s56, vcc_lo, exec_lo
.LBB872_113:
	s_or_b32 exec_lo, exec_lo, s45
	s_orn2_b32 s45, s56, exec_lo
.LBB872_114:
	s_or_b32 exec_lo, exec_lo, s47
	v_cndmask_b32_e64 v182, v179, v181, s45
	v_cndmask_b32_e64 v183, v244, v243, s45
	s_mov_b32 s47, exec_lo
	v_add_nc_u32_e32 v182, 1, v182
	v_add_nc_u32_e32 v183, -1, v183
	v_cndmask_b32_e64 v179, v182, v179, s45
	v_min_u32_e32 v183, v182, v183
	v_cndmask_b32_e64 v181, v181, v182, s45
	v_lshl_add_u32 v183, v183, 1, v112
	ds_read_u16 v183, v183
	s_waitcnt lgkmcnt(0)
	v_cndmask_b32_e64 v192, v183, v195, s45
	v_cndmask_b32_e64 v78, v77, v183, s45
	v_cmpx_lt_u32_e64 v179, v244
	s_cbranch_execz .LBB872_118
; %bb.115:
	s_mov_b32 s56, 0
	s_mov_b32 s46, exec_lo
	v_cmpx_lt_u32_e64 v181, v243
	s_cbranch_execz .LBB872_117
; %bb.116:
	v_mov_b32_e32 v182, 1
	v_lshlrev_b32_sdwa v183, v182, v192 dst_sel:DWORD dst_unused:UNUSED_PAD src0_sel:DWORD src1_sel:WORD_0
	v_lshlrev_b32_sdwa v79, v182, v78 dst_sel:DWORD dst_unused:UNUSED_PAD src0_sel:DWORD src1_sel:WORD_0
	v_add_co_u32 v182, vcc_lo, v6, v183
	v_add_co_ci_u32_e64 v183, null, 0, v7, vcc_lo
	v_add_co_u32 v88, vcc_lo, v6, v79
	v_add_co_ci_u32_e64 v89, null, 0, v7, vcc_lo
	s_clause 0x1
	flat_load_ushort v182, v[182:183]
	flat_load_ushort v183, v[88:89]
	s_waitcnt vmcnt(0) lgkmcnt(0)
	v_cmp_ge_u16_e32 vcc_lo, v182, v183
	s_and_b32 s56, vcc_lo, exec_lo
.LBB872_117:
	s_or_b32 exec_lo, exec_lo, s46
	s_orn2_b32 s46, s56, exec_lo
.LBB872_118:
	s_or_b32 exec_lo, exec_lo, s47
	v_cndmask_b32_e64 v182, v179, v181, s46
	v_cndmask_b32_e64 v183, v244, v243, s46
	s_mov_b32 s56, -1
	s_mov_b32 s47, -1
	s_mov_b32 s57, exec_lo
	v_add_nc_u32_e32 v182, 1, v182
	v_add_nc_u32_e32 v183, -1, v183
	v_cndmask_b32_e64 v179, v182, v179, s46
	v_min_u32_e32 v183, v182, v183
	v_cndmask_b32_e64 v181, v181, v182, s46
	v_lshl_add_u32 v183, v183, 1, v112
	ds_read_u16 v183, v183
	s_waitcnt lgkmcnt(0)
	v_cndmask_b32_e64 v182, v183, v192, s46
	v_cndmask_b32_e64 v79, v78, v183, s46
	v_cmpx_lt_u32_e64 v179, v244
	s_cbranch_execz .LBB872_122
; %bb.119:
	s_mov_b32 s58, 0
	s_mov_b32 s47, exec_lo
	v_cmpx_lt_u32_e64 v181, v243
	s_cbranch_execz .LBB872_121
; %bb.120:
	v_mov_b32_e32 v183, 1
	v_lshlrev_b32_sdwa v88, v183, v182 dst_sel:DWORD dst_unused:UNUSED_PAD src0_sel:DWORD src1_sel:WORD_0
	v_lshlrev_b32_sdwa v183, v183, v79 dst_sel:DWORD dst_unused:UNUSED_PAD src0_sel:DWORD src1_sel:WORD_0
	v_add_co_u32 v88, vcc_lo, v6, v88
	v_add_co_ci_u32_e64 v89, null, 0, v7, vcc_lo
	v_add_co_u32 v90, vcc_lo, v6, v183
	v_add_co_ci_u32_e64 v91, null, 0, v7, vcc_lo
	s_clause 0x1
	flat_load_ushort v183, v[88:89]
	flat_load_ushort v88, v[90:91]
	s_waitcnt vmcnt(0) lgkmcnt(0)
	v_cmp_ge_u16_e32 vcc_lo, v183, v88
	s_and_b32 s58, vcc_lo, exec_lo
.LBB872_121:
	s_or_b32 exec_lo, exec_lo, s47
	s_orn2_b32 s47, s58, exec_lo
.LBB872_122:
	s_or_b32 exec_lo, exec_lo, s57
	v_cndmask_b32_e64 v183, v179, v181, s47
	v_cndmask_b32_e64 v88, v244, v243, s47
	s_mov_b32 s57, exec_lo
	v_add_nc_u32_e32 v183, 1, v183
	v_add_nc_u32_e32 v88, -1, v88
	v_cndmask_b32_e64 v179, v183, v179, s47
	v_min_u32_e32 v88, v183, v88
	v_cndmask_b32_e64 v181, v181, v183, s47
	v_lshl_add_u32 v88, v88, 1, v112
	ds_read_u16 v88, v88
	s_waitcnt lgkmcnt(0)
	v_cndmask_b32_e64 v183, v88, v182, s47
	v_cndmask_b32_e64 v88, v79, v88, s47
	v_cmpx_lt_u32_e64 v179, v244
	s_cbranch_execz .LBB872_126
; %bb.123:
	s_mov_b32 s58, 0
	s_mov_b32 s56, exec_lo
	v_cmpx_lt_u32_e64 v181, v243
	s_cbranch_execz .LBB872_125
; %bb.124:
	v_mov_b32_e32 v89, 1
	v_lshlrev_b32_sdwa v90, v89, v183 dst_sel:DWORD dst_unused:UNUSED_PAD src0_sel:DWORD src1_sel:WORD_0
	v_lshlrev_b32_sdwa v91, v89, v88 dst_sel:DWORD dst_unused:UNUSED_PAD src0_sel:DWORD src1_sel:WORD_0
	v_add_co_u32 v89, vcc_lo, v6, v90
	v_add_co_ci_u32_e64 v90, null, 0, v7, vcc_lo
	v_add_co_u32 v91, vcc_lo, v6, v91
	v_add_co_ci_u32_e64 v92, null, 0, v7, vcc_lo
	s_clause 0x1
	flat_load_ushort v89, v[89:90]
	flat_load_ushort v90, v[91:92]
	s_waitcnt vmcnt(0) lgkmcnt(0)
	v_cmp_ge_u16_e32 vcc_lo, v89, v90
	s_and_b32 s58, vcc_lo, exec_lo
.LBB872_125:
	s_or_b32 exec_lo, exec_lo, s56
	s_orn2_b32 s56, s58, exec_lo
.LBB872_126:
	s_or_b32 exec_lo, exec_lo, s57
	v_cndmask_b32_e64 v89, v179, v181, s56
	v_cndmask_b32_e64 v90, v244, v243, s56
	s_mov_b32 s57, -1
	s_mov_b32 s58, -1
	s_mov_b32 s59, exec_lo
	v_add_nc_u32_e32 v89, 1, v89
	v_add_nc_u32_e32 v90, -1, v90
	v_cndmask_b32_e64 v179, v89, v179, s56
	v_min_u32_e32 v90, v89, v90
	v_lshl_add_u32 v90, v90, 1, v112
	ds_read_u16 v91, v90
	v_cndmask_b32_e64 v90, v181, v89, s56
	s_waitcnt lgkmcnt(0)
	v_cndmask_b32_e64 v181, v91, v183, s56
	v_cndmask_b32_e64 v89, v88, v91, s56
	v_cmpx_lt_u32_e64 v179, v244
	s_cbranch_execz .LBB872_130
; %bb.127:
	s_mov_b32 s60, 0
	s_mov_b32 s58, exec_lo
	v_cmpx_lt_u32_e64 v90, v243
	s_cbranch_execz .LBB872_129
; %bb.128:
	v_mov_b32_e32 v91, 1
	v_lshlrev_b32_sdwa v92, v91, v181 dst_sel:DWORD dst_unused:UNUSED_PAD src0_sel:DWORD src1_sel:WORD_0
	v_lshlrev_b32_sdwa v93, v91, v89 dst_sel:DWORD dst_unused:UNUSED_PAD src0_sel:DWORD src1_sel:WORD_0
	v_add_co_u32 v91, vcc_lo, v6, v92
	v_add_co_ci_u32_e64 v92, null, 0, v7, vcc_lo
	v_add_co_u32 v93, vcc_lo, v6, v93
	v_add_co_ci_u32_e64 v94, null, 0, v7, vcc_lo
	s_clause 0x1
	flat_load_ushort v91, v[91:92]
	flat_load_ushort v92, v[93:94]
	s_waitcnt vmcnt(0) lgkmcnt(0)
	v_cmp_ge_u16_e32 vcc_lo, v91, v92
	s_and_b32 s60, vcc_lo, exec_lo
.LBB872_129:
	s_or_b32 exec_lo, exec_lo, s58
	s_orn2_b32 s58, s60, exec_lo
.LBB872_130:
	s_or_b32 exec_lo, exec_lo, s59
	v_cndmask_b32_e64 v91, v179, v90, s58
	v_cndmask_b32_e64 v92, v244, v243, s58
	s_mov_b32 s59, exec_lo
	v_add_nc_u32_e32 v91, 1, v91
	v_add_nc_u32_e32 v92, -1, v92
	v_cndmask_b32_e64 v179, v91, v179, s58
	v_min_u32_e32 v92, v91, v92
	v_lshl_add_u32 v92, v92, 1, v112
	ds_read_u16 v93, v92
	v_cndmask_b32_e64 v92, v90, v91, s58
	s_waitcnt lgkmcnt(0)
	v_cndmask_b32_e64 v90, v93, v181, s58
	v_cndmask_b32_e64 v91, v89, v93, s58
	v_cmpx_lt_u32_e64 v179, v244
	s_cbranch_execz .LBB872_134
; %bb.131:
	s_mov_b32 s60, 0
	s_mov_b32 s57, exec_lo
	v_cmpx_lt_u32_e64 v92, v243
	s_cbranch_execz .LBB872_133
; %bb.132:
	v_mov_b32_e32 v93, 1
	v_lshlrev_b32_sdwa v94, v93, v90 dst_sel:DWORD dst_unused:UNUSED_PAD src0_sel:DWORD src1_sel:WORD_0
	v_lshlrev_b32_sdwa v95, v93, v91 dst_sel:DWORD dst_unused:UNUSED_PAD src0_sel:DWORD src1_sel:WORD_0
	v_add_co_u32 v93, vcc_lo, v6, v94
	v_add_co_ci_u32_e64 v94, null, 0, v7, vcc_lo
	v_add_co_u32 v104, vcc_lo, v6, v95
	v_add_co_ci_u32_e64 v105, null, 0, v7, vcc_lo
	s_clause 0x1
	flat_load_ushort v93, v[93:94]
	flat_load_ushort v94, v[104:105]
	s_waitcnt vmcnt(0) lgkmcnt(0)
	v_cmp_ge_u16_e32 vcc_lo, v93, v94
	s_and_b32 s60, vcc_lo, exec_lo
.LBB872_133:
	s_or_b32 exec_lo, exec_lo, s57
	s_orn2_b32 s57, s60, exec_lo
.LBB872_134:
	s_or_b32 exec_lo, exec_lo, s59
	v_cndmask_b32_e64 v93, v179, v92, s57
	v_cndmask_b32_e64 v94, v244, v243, s57
	s_mov_b32 s59, exec_lo
	v_add_nc_u32_e32 v93, 1, v93
	v_add_nc_u32_e32 v94, -1, v94
	v_cndmask_b32_e64 v95, v93, v179, s57
	v_min_u32_e32 v94, v93, v94
	v_lshl_add_u32 v94, v94, 1, v112
	ds_read_u16 v94, v94
	s_waitcnt lgkmcnt(0)
	v_cndmask_b32_e64 v179, v91, v94, s57
	v_cmpx_lt_u32_e64 v95, v244
	s_cbranch_execz .LBB872_138
; %bb.135:
	v_cndmask_b32_e64 v92, v92, v93, s57
	v_cndmask_b32_e64 v244, v94, v90, s57
	s_mov_b32 s60, exec_lo
	v_cmpx_lt_u32_e64 v92, v243
	s_cbranch_execz .LBB872_137
; %bb.136:
	v_mov_b32_e32 v243, 1
	v_lshlrev_b32_sdwa v92, v243, v244 dst_sel:DWORD dst_unused:UNUSED_PAD src0_sel:DWORD src1_sel:WORD_0
	v_lshlrev_b32_sdwa v243, v243, v179 dst_sel:DWORD dst_unused:UNUSED_PAD src0_sel:DWORD src1_sel:WORD_0
	v_add_co_u32 v92, vcc_lo, v6, v92
	v_add_co_ci_u32_e64 v93, null, 0, v7, vcc_lo
	v_add_co_u32 v94, vcc_lo, v6, v243
	v_add_co_ci_u32_e64 v95, null, 0, v7, vcc_lo
	s_clause 0x1
	flat_load_ushort v243, v[92:93]
	flat_load_ushort v92, v[94:95]
	s_waitcnt vmcnt(0) lgkmcnt(0)
	v_cmp_lt_u16_e32 vcc_lo, v243, v92
	v_cndmask_b32_e32 v244, v179, v244, vcc_lo
.LBB872_137:
	s_or_b32 exec_lo, exec_lo, s60
	v_mov_b32_e32 v179, v244
.LBB872_138:
	s_or_b32 exec_lo, exec_lo, s59
	v_cndmask_b32_e64 v181, v181, v89, s58
	v_cndmask_b32_e64 v183, v183, v88, s56
	;; [unrolled: 1-line block ×31, first 2 shown]
.LBB872_139:
	s_or_b32 exec_lo, exec_lo, s5
	v_and_b32_e32 v245, 0x380, v114
	v_and_b32_e32 v246, 0x60, v114
	s_mov_b32 s4, exec_lo
	; wave barrier
	v_or_b32_e32 v243, 64, v245
	v_min_u32_e32 v246, v113, v246
	ds_write_b16 v115, v193
	ds_write_b16 v167, v194
	;; [unrolled: 1-line block ×13, first 2 shown]
	v_min_u32_e32 v243, v113, v243
	ds_write_b16 v147, v224
	ds_write_b16 v148, v213
	;; [unrolled: 1-line block ×13, first 2 shown]
	v_add_nc_u32_e32 v244, 64, v243
	v_sub_nc_u32_e32 v40, v243, v245
	ds_write_b16 v118, v192
	ds_write_b16 v119, v182
	;; [unrolled: 1-line block ×6, first 2 shown]
	; wave barrier
	v_min_u32_e32 v244, v113, v244
	v_min_u32_e32 v40, v246, v40
	v_sub_nc_u32_e32 v247, v244, v243
	v_sub_nc_u32_e64 v247, v246, v247 clamp
	v_cmpx_lt_u32_e64 v247, v40
	s_cbranch_execz .LBB872_143
; %bb.140:
	v_lshlrev_b32_e32 v41, 1, v245
	v_lshlrev_b32_e32 v42, 1, v243
	s_mov_b32 s5, 0
	v_add_co_u32 v41, null, v112, v41
	v_add_co_u32 v42, null, v112, v42
	s_inst_prefetch 0x1
	.p2align	6
.LBB872_141:                            ; =>This Inner Loop Header: Depth=1
	v_add_nc_u32_e32 v43, v40, v247
	v_lshrrev_b32_e32 v47, 1, v43
	v_and_b32_e32 v43, -2, v43
	v_xad_u32 v44, v47, -1, v246
	v_add_nc_u32_e32 v43, v41, v43
	v_lshl_add_u32 v44, v44, 1, v42
	ds_read_u16 v43, v43
	ds_read_u16 v44, v44
	s_waitcnt lgkmcnt(1)
	v_lshlrev_b32_e32 v43, 1, v43
	s_waitcnt lgkmcnt(0)
	v_lshlrev_b32_e32 v45, 1, v44
	v_add_co_u32 v43, vcc_lo, v6, v43
	v_add_co_ci_u32_e64 v44, null, 0, v7, vcc_lo
	v_add_co_u32 v45, vcc_lo, v6, v45
	v_add_co_ci_u32_e64 v46, null, 0, v7, vcc_lo
	s_clause 0x1
	flat_load_ushort v45, v[45:46]
	flat_load_ushort v43, v[43:44]
	v_add_nc_u32_e32 v44, 1, v47
	s_waitcnt vmcnt(0) lgkmcnt(0)
	v_cmp_lt_u16_e32 vcc_lo, v45, v43
	v_cndmask_b32_e32 v40, v40, v47, vcc_lo
	v_cndmask_b32_e32 v247, v44, v247, vcc_lo
	v_cmp_ge_u32_e32 vcc_lo, v247, v40
	s_or_b32 s5, vcc_lo, s5
	s_andn2_b32 exec_lo, exec_lo, s5
	s_cbranch_execnz .LBB872_141
; %bb.142:
	s_inst_prefetch 0x2
	s_or_b32 exec_lo, exec_lo, s5
.LBB872_143:
	s_or_b32 exec_lo, exec_lo, s4
	v_add_nc_u32_e32 v246, v243, v246
	v_add_nc_u32_e32 v245, v247, v245
	v_sub_nc_u32_e32 v246, v246, v247
	v_cmp_le_u32_e32 vcc_lo, v245, v243
	v_cmp_le_u32_e64 s4, v246, v244
	s_or_b32 s4, vcc_lo, s4
	s_and_saveexec_b32 s5, s4
	s_cbranch_execz .LBB872_275
; %bb.144:
	s_mov_b32 s6, exec_lo
	v_cmp_ge_u32_e32 vcc_lo, v245, v243
                                        ; implicit-def: $vgpr180
	v_cmpx_lt_u32_e64 v245, v243
; %bb.145:
	v_lshl_add_u32 v179, v245, 1, v112
	ds_read_u16 v180, v179
; %bb.146:
	s_or_b32 exec_lo, exec_lo, s6
	v_cmp_ge_u32_e64 s6, v246, v244
	s_mov_b32 s7, exec_lo
                                        ; implicit-def: $vgpr193
	v_cmpx_lt_u32_e64 v246, v244
; %bb.147:
	v_lshl_add_u32 v179, v246, 1, v112
	ds_read_u16 v193, v179
; %bb.148:
	s_or_b32 exec_lo, exec_lo, s7
	s_nor_b32 s7, vcc_lo, s6
	s_and_saveexec_b32 s4, s7
	s_cbranch_execz .LBB872_150
; %bb.149:
	v_mov_b32_e32 v179, 1
	s_andn2_b32 s6, s6, exec_lo
	s_waitcnt lgkmcnt(0)
	v_lshlrev_b32_sdwa v181, v179, v193 dst_sel:DWORD dst_unused:UNUSED_PAD src0_sel:DWORD src1_sel:WORD_0
	v_lshlrev_b32_sdwa v179, v179, v180 dst_sel:DWORD dst_unused:UNUSED_PAD src0_sel:DWORD src1_sel:WORD_0
	v_add_co_u32 v181, vcc_lo, v6, v181
	v_add_co_ci_u32_e64 v182, null, 0, v7, vcc_lo
	v_add_co_u32 v194, vcc_lo, v6, v179
	v_add_co_ci_u32_e64 v195, null, 0, v7, vcc_lo
	s_clause 0x1
	flat_load_ushort v179, v[181:182]
	flat_load_ushort v181, v[194:195]
	s_waitcnt vmcnt(0) lgkmcnt(0)
	v_cmp_ge_u16_e32 vcc_lo, v179, v181
	s_and_b32 s7, vcc_lo, exec_lo
	s_or_b32 s6, s6, s7
.LBB872_150:
	s_or_b32 exec_lo, exec_lo, s4
	v_cndmask_b32_e64 v179, v246, v245, s6
	v_cndmask_b32_e64 v181, v244, v243, s6
	s_mov_b32 s7, -1
	s_mov_b32 s4, -1
	s_mov_b32 s10, exec_lo
	v_add_nc_u32_e32 v182, 1, v179
	v_add_nc_u32_e32 v179, -1, v181
	v_cndmask_b32_e64 v181, v245, v182, s6
	v_min_u32_e32 v179, v182, v179
	v_lshl_add_u32 v179, v179, 1, v112
	ds_read_u16 v183, v179
	v_cndmask_b32_e64 v179, v182, v246, s6
	s_waitcnt lgkmcnt(0)
	v_cndmask_b32_e64 v194, v183, v193, s6
	v_cndmask_b32_e64 v245, v180, v183, s6
	v_cmpx_lt_u32_e64 v179, v244
	s_cbranch_execz .LBB872_154
; %bb.151:
	s_mov_b32 s11, 0
	s_mov_b32 s4, exec_lo
	v_cmpx_lt_u32_e64 v181, v243
	s_cbranch_execz .LBB872_153
; %bb.152:
	v_mov_b32_e32 v182, 1
	v_lshlrev_b32_sdwa v183, v182, v194 dst_sel:DWORD dst_unused:UNUSED_PAD src0_sel:DWORD src1_sel:WORD_0
	v_lshlrev_b32_sdwa v192, v182, v245 dst_sel:DWORD dst_unused:UNUSED_PAD src0_sel:DWORD src1_sel:WORD_0
	v_add_co_u32 v182, vcc_lo, v6, v183
	v_add_co_ci_u32_e64 v183, null, 0, v7, vcc_lo
	v_add_co_u32 v195, vcc_lo, v6, v192
	v_add_co_ci_u32_e64 v196, null, 0, v7, vcc_lo
	s_clause 0x1
	flat_load_ushort v182, v[182:183]
	flat_load_ushort v183, v[195:196]
	s_waitcnt vmcnt(0) lgkmcnt(0)
	v_cmp_ge_u16_e32 vcc_lo, v182, v183
	s_and_b32 s11, vcc_lo, exec_lo
.LBB872_153:
	s_or_b32 exec_lo, exec_lo, s4
	s_orn2_b32 s4, s11, exec_lo
.LBB872_154:
	s_or_b32 exec_lo, exec_lo, s10
	v_cndmask_b32_e64 v182, v179, v181, s4
	v_cndmask_b32_e64 v183, v244, v243, s4
	s_mov_b32 s10, exec_lo
	v_add_nc_u32_e32 v182, 1, v182
	v_add_nc_u32_e32 v183, -1, v183
	v_cndmask_b32_e64 v179, v182, v179, s4
	v_min_u32_e32 v183, v182, v183
	v_cndmask_b32_e64 v181, v181, v182, s4
	v_lshl_add_u32 v183, v183, 1, v112
	ds_read_u16 v183, v183
	s_waitcnt lgkmcnt(0)
	v_cndmask_b32_e64 v240, v183, v194, s4
	v_cndmask_b32_e64 v246, v245, v183, s4
	v_cmpx_lt_u32_e64 v179, v244
	s_cbranch_execz .LBB872_158
; %bb.155:
	s_mov_b32 s11, 0
	s_mov_b32 s7, exec_lo
	v_cmpx_lt_u32_e64 v181, v243
	s_cbranch_execz .LBB872_157
; %bb.156:
	v_mov_b32_e32 v182, 1
	v_lshlrev_b32_sdwa v183, v182, v240 dst_sel:DWORD dst_unused:UNUSED_PAD src0_sel:DWORD src1_sel:WORD_0
	v_lshlrev_b32_sdwa v192, v182, v246 dst_sel:DWORD dst_unused:UNUSED_PAD src0_sel:DWORD src1_sel:WORD_0
	v_add_co_u32 v182, vcc_lo, v6, v183
	v_add_co_ci_u32_e64 v183, null, 0, v7, vcc_lo
	v_add_co_u32 v195, vcc_lo, v6, v192
	v_add_co_ci_u32_e64 v196, null, 0, v7, vcc_lo
	s_clause 0x1
	flat_load_ushort v182, v[182:183]
	flat_load_ushort v183, v[195:196]
	s_waitcnt vmcnt(0) lgkmcnt(0)
	v_cmp_ge_u16_e32 vcc_lo, v182, v183
	s_and_b32 s11, vcc_lo, exec_lo
.LBB872_157:
	s_or_b32 exec_lo, exec_lo, s7
	s_orn2_b32 s7, s11, exec_lo
.LBB872_158:
	s_or_b32 exec_lo, exec_lo, s10
	v_cndmask_b32_e64 v182, v179, v181, s7
	v_cndmask_b32_e64 v183, v244, v243, s7
	s_mov_b32 s11, -1
	s_mov_b32 s10, -1
	s_mov_b32 s14, exec_lo
	v_add_nc_u32_e32 v182, 1, v182
	v_add_nc_u32_e32 v183, -1, v183
	v_cndmask_b32_e64 v179, v182, v179, s7
	v_min_u32_e32 v183, v182, v183
	v_cndmask_b32_e64 v181, v181, v182, s7
	v_lshl_add_u32 v183, v183, 1, v112
	ds_read_u16 v183, v183
	s_waitcnt lgkmcnt(0)
	v_cndmask_b32_e64 v242, v183, v240, s7
	v_cndmask_b32_e64 v247, v246, v183, s7
	v_cmpx_lt_u32_e64 v179, v244
	s_cbranch_execz .LBB872_162
; %bb.159:
	s_mov_b32 s15, 0
	s_mov_b32 s10, exec_lo
	v_cmpx_lt_u32_e64 v181, v243
	s_cbranch_execz .LBB872_161
; %bb.160:
	v_mov_b32_e32 v182, 1
	v_lshlrev_b32_sdwa v183, v182, v242 dst_sel:DWORD dst_unused:UNUSED_PAD src0_sel:DWORD src1_sel:WORD_0
	v_lshlrev_b32_sdwa v192, v182, v247 dst_sel:DWORD dst_unused:UNUSED_PAD src0_sel:DWORD src1_sel:WORD_0
	v_add_co_u32 v182, vcc_lo, v6, v183
	v_add_co_ci_u32_e64 v183, null, 0, v7, vcc_lo
	v_add_co_u32 v195, vcc_lo, v6, v192
	v_add_co_ci_u32_e64 v196, null, 0, v7, vcc_lo
	s_clause 0x1
	flat_load_ushort v182, v[182:183]
	flat_load_ushort v183, v[195:196]
	s_waitcnt vmcnt(0) lgkmcnt(0)
	v_cmp_ge_u16_e32 vcc_lo, v182, v183
	s_and_b32 s15, vcc_lo, exec_lo
.LBB872_161:
	s_or_b32 exec_lo, exec_lo, s10
	s_orn2_b32 s10, s15, exec_lo
.LBB872_162:
	s_or_b32 exec_lo, exec_lo, s14
	v_cndmask_b32_e64 v182, v179, v181, s10
	v_cndmask_b32_e64 v183, v244, v243, s10
	s_mov_b32 s14, exec_lo
	v_add_nc_u32_e32 v182, 1, v182
	v_add_nc_u32_e32 v183, -1, v183
	v_cndmask_b32_e64 v179, v182, v179, s10
	v_min_u32_e32 v183, v182, v183
	v_cndmask_b32_e64 v181, v181, v182, s10
	v_lshl_add_u32 v183, v183, 1, v112
	ds_read_u16 v183, v183
	s_waitcnt lgkmcnt(0)
	v_cndmask_b32_e64 v230, v183, v242, s10
	v_cndmask_b32_e64 v40, v247, v183, s10
	v_cmpx_lt_u32_e64 v179, v244
	s_cbranch_execz .LBB872_166
; %bb.163:
	s_mov_b32 s15, 0
	s_mov_b32 s11, exec_lo
	v_cmpx_lt_u32_e64 v181, v243
	s_cbranch_execz .LBB872_165
; %bb.164:
	v_mov_b32_e32 v182, 1
	v_lshlrev_b32_sdwa v183, v182, v230 dst_sel:DWORD dst_unused:UNUSED_PAD src0_sel:DWORD src1_sel:WORD_0
	v_lshlrev_b32_sdwa v192, v182, v40 dst_sel:DWORD dst_unused:UNUSED_PAD src0_sel:DWORD src1_sel:WORD_0
	v_add_co_u32 v182, vcc_lo, v6, v183
	v_add_co_ci_u32_e64 v183, null, 0, v7, vcc_lo
	v_add_co_u32 v195, vcc_lo, v6, v192
	v_add_co_ci_u32_e64 v196, null, 0, v7, vcc_lo
	s_clause 0x1
	flat_load_ushort v182, v[182:183]
	flat_load_ushort v183, v[195:196]
	s_waitcnt vmcnt(0) lgkmcnt(0)
	v_cmp_ge_u16_e32 vcc_lo, v182, v183
	s_and_b32 s15, vcc_lo, exec_lo
.LBB872_165:
	s_or_b32 exec_lo, exec_lo, s11
	s_orn2_b32 s11, s15, exec_lo
.LBB872_166:
	s_or_b32 exec_lo, exec_lo, s14
	v_cndmask_b32_e64 v182, v179, v181, s11
	v_cndmask_b32_e64 v183, v244, v243, s11
	s_mov_b32 s15, -1
	s_mov_b32 s14, -1
	s_mov_b32 s16, exec_lo
	v_add_nc_u32_e32 v182, 1, v182
	v_add_nc_u32_e32 v183, -1, v183
	v_cndmask_b32_e64 v179, v182, v179, s11
	v_min_u32_e32 v183, v182, v183
	v_cndmask_b32_e64 v181, v181, v182, s11
	v_lshl_add_u32 v183, v183, 1, v112
	ds_read_u16 v183, v183
	s_waitcnt lgkmcnt(0)
	v_cndmask_b32_e64 v241, v183, v230, s11
	v_cndmask_b32_e64 v41, v40, v183, s11
	v_cmpx_lt_u32_e64 v179, v244
	s_cbranch_execz .LBB872_170
; %bb.167:
	s_mov_b32 s17, 0
	s_mov_b32 s14, exec_lo
	v_cmpx_lt_u32_e64 v181, v243
	s_cbranch_execz .LBB872_169
; %bb.168:
	v_mov_b32_e32 v182, 1
	v_lshlrev_b32_sdwa v183, v182, v241 dst_sel:DWORD dst_unused:UNUSED_PAD src0_sel:DWORD src1_sel:WORD_0
	v_lshlrev_b32_sdwa v192, v182, v41 dst_sel:DWORD dst_unused:UNUSED_PAD src0_sel:DWORD src1_sel:WORD_0
	v_add_co_u32 v182, vcc_lo, v6, v183
	v_add_co_ci_u32_e64 v183, null, 0, v7, vcc_lo
	v_add_co_u32 v195, vcc_lo, v6, v192
	v_add_co_ci_u32_e64 v196, null, 0, v7, vcc_lo
	s_clause 0x1
	flat_load_ushort v182, v[182:183]
	flat_load_ushort v183, v[195:196]
	s_waitcnt vmcnt(0) lgkmcnt(0)
	v_cmp_ge_u16_e32 vcc_lo, v182, v183
	s_and_b32 s17, vcc_lo, exec_lo
.LBB872_169:
	s_or_b32 exec_lo, exec_lo, s14
	s_orn2_b32 s14, s17, exec_lo
.LBB872_170:
	s_or_b32 exec_lo, exec_lo, s16
	v_cndmask_b32_e64 v182, v179, v181, s14
	v_cndmask_b32_e64 v183, v244, v243, s14
	s_mov_b32 s16, exec_lo
	v_add_nc_u32_e32 v182, 1, v182
	v_add_nc_u32_e32 v183, -1, v183
	v_cndmask_b32_e64 v179, v182, v179, s14
	v_min_u32_e32 v183, v182, v183
	v_cndmask_b32_e64 v181, v181, v182, s14
	v_lshl_add_u32 v183, v183, 1, v112
	ds_read_u16 v183, v183
	s_waitcnt lgkmcnt(0)
	v_cndmask_b32_e64 v228, v183, v241, s14
	v_cndmask_b32_e64 v42, v41, v183, s14
	v_cmpx_lt_u32_e64 v179, v244
	s_cbranch_execz .LBB872_174
; %bb.171:
	s_mov_b32 s17, 0
	s_mov_b32 s15, exec_lo
	v_cmpx_lt_u32_e64 v181, v243
	s_cbranch_execz .LBB872_173
; %bb.172:
	v_mov_b32_e32 v182, 1
	v_lshlrev_b32_sdwa v183, v182, v228 dst_sel:DWORD dst_unused:UNUSED_PAD src0_sel:DWORD src1_sel:WORD_0
	v_lshlrev_b32_sdwa v192, v182, v42 dst_sel:DWORD dst_unused:UNUSED_PAD src0_sel:DWORD src1_sel:WORD_0
	v_add_co_u32 v182, vcc_lo, v6, v183
	v_add_co_ci_u32_e64 v183, null, 0, v7, vcc_lo
	v_add_co_u32 v195, vcc_lo, v6, v192
	v_add_co_ci_u32_e64 v196, null, 0, v7, vcc_lo
	s_clause 0x1
	flat_load_ushort v182, v[182:183]
	flat_load_ushort v183, v[195:196]
	s_waitcnt vmcnt(0) lgkmcnt(0)
	v_cmp_ge_u16_e32 vcc_lo, v182, v183
	s_and_b32 s17, vcc_lo, exec_lo
.LBB872_173:
	s_or_b32 exec_lo, exec_lo, s15
	s_orn2_b32 s15, s17, exec_lo
.LBB872_174:
	s_or_b32 exec_lo, exec_lo, s16
	v_cndmask_b32_e64 v182, v179, v181, s15
	v_cndmask_b32_e64 v183, v244, v243, s15
	s_mov_b32 s17, -1
	s_mov_b32 s16, -1
	s_mov_b32 s18, exec_lo
	v_add_nc_u32_e32 v182, 1, v182
	v_add_nc_u32_e32 v183, -1, v183
	v_cndmask_b32_e64 v179, v182, v179, s15
	v_min_u32_e32 v183, v182, v183
	v_cndmask_b32_e64 v181, v181, v182, s15
	v_lshl_add_u32 v183, v183, 1, v112
	ds_read_u16 v183, v183
	s_waitcnt lgkmcnt(0)
	v_cndmask_b32_e64 v231, v183, v228, s15
	v_cndmask_b32_e64 v43, v42, v183, s15
	v_cmpx_lt_u32_e64 v179, v244
	s_cbranch_execz .LBB872_178
; %bb.175:
	s_mov_b32 s19, 0
	s_mov_b32 s16, exec_lo
	v_cmpx_lt_u32_e64 v181, v243
	s_cbranch_execz .LBB872_177
; %bb.176:
	v_mov_b32_e32 v182, 1
	v_lshlrev_b32_sdwa v183, v182, v231 dst_sel:DWORD dst_unused:UNUSED_PAD src0_sel:DWORD src1_sel:WORD_0
	v_lshlrev_b32_sdwa v192, v182, v43 dst_sel:DWORD dst_unused:UNUSED_PAD src0_sel:DWORD src1_sel:WORD_0
	v_add_co_u32 v182, vcc_lo, v6, v183
	v_add_co_ci_u32_e64 v183, null, 0, v7, vcc_lo
	v_add_co_u32 v195, vcc_lo, v6, v192
	v_add_co_ci_u32_e64 v196, null, 0, v7, vcc_lo
	s_clause 0x1
	flat_load_ushort v182, v[182:183]
	flat_load_ushort v183, v[195:196]
	s_waitcnt vmcnt(0) lgkmcnt(0)
	v_cmp_ge_u16_e32 vcc_lo, v182, v183
	s_and_b32 s19, vcc_lo, exec_lo
.LBB872_177:
	s_or_b32 exec_lo, exec_lo, s16
	s_orn2_b32 s16, s19, exec_lo
.LBB872_178:
	s_or_b32 exec_lo, exec_lo, s18
	v_cndmask_b32_e64 v182, v179, v181, s16
	v_cndmask_b32_e64 v183, v244, v243, s16
	s_mov_b32 s18, exec_lo
	v_add_nc_u32_e32 v182, 1, v182
	v_add_nc_u32_e32 v183, -1, v183
	v_cndmask_b32_e64 v179, v182, v179, s16
	v_min_u32_e32 v183, v182, v183
	v_cndmask_b32_e64 v181, v181, v182, s16
	v_lshl_add_u32 v183, v183, 1, v112
	ds_read_u16 v183, v183
	s_waitcnt lgkmcnt(0)
	v_cndmask_b32_e64 v226, v183, v231, s16
	v_cndmask_b32_e64 v44, v43, v183, s16
	v_cmpx_lt_u32_e64 v179, v244
	s_cbranch_execz .LBB872_182
; %bb.179:
	s_mov_b32 s19, 0
	s_mov_b32 s17, exec_lo
	v_cmpx_lt_u32_e64 v181, v243
	s_cbranch_execz .LBB872_181
; %bb.180:
	v_mov_b32_e32 v182, 1
	v_lshlrev_b32_sdwa v183, v182, v226 dst_sel:DWORD dst_unused:UNUSED_PAD src0_sel:DWORD src1_sel:WORD_0
	v_lshlrev_b32_sdwa v192, v182, v44 dst_sel:DWORD dst_unused:UNUSED_PAD src0_sel:DWORD src1_sel:WORD_0
	v_add_co_u32 v182, vcc_lo, v6, v183
	v_add_co_ci_u32_e64 v183, null, 0, v7, vcc_lo
	v_add_co_u32 v195, vcc_lo, v6, v192
	v_add_co_ci_u32_e64 v196, null, 0, v7, vcc_lo
	s_clause 0x1
	flat_load_ushort v182, v[182:183]
	flat_load_ushort v183, v[195:196]
	s_waitcnt vmcnt(0) lgkmcnt(0)
	v_cmp_ge_u16_e32 vcc_lo, v182, v183
	s_and_b32 s19, vcc_lo, exec_lo
.LBB872_181:
	s_or_b32 exec_lo, exec_lo, s17
	s_orn2_b32 s17, s19, exec_lo
.LBB872_182:
	s_or_b32 exec_lo, exec_lo, s18
	v_cndmask_b32_e64 v182, v179, v181, s17
	v_cndmask_b32_e64 v183, v244, v243, s17
	s_mov_b32 s19, -1
	s_mov_b32 s18, -1
	s_mov_b32 s20, exec_lo
	v_add_nc_u32_e32 v182, 1, v182
	v_add_nc_u32_e32 v183, -1, v183
	v_cndmask_b32_e64 v179, v182, v179, s17
	v_min_u32_e32 v183, v182, v183
	v_cndmask_b32_e64 v181, v181, v182, s17
	v_lshl_add_u32 v183, v183, 1, v112
	ds_read_u16 v183, v183
	s_waitcnt lgkmcnt(0)
	v_cndmask_b32_e64 v229, v183, v226, s17
	v_cndmask_b32_e64 v45, v44, v183, s17
	v_cmpx_lt_u32_e64 v179, v244
	s_cbranch_execz .LBB872_186
; %bb.183:
	s_mov_b32 s22, 0
	s_mov_b32 s18, exec_lo
	v_cmpx_lt_u32_e64 v181, v243
	s_cbranch_execz .LBB872_185
; %bb.184:
	v_mov_b32_e32 v182, 1
	v_lshlrev_b32_sdwa v183, v182, v229 dst_sel:DWORD dst_unused:UNUSED_PAD src0_sel:DWORD src1_sel:WORD_0
	v_lshlrev_b32_sdwa v192, v182, v45 dst_sel:DWORD dst_unused:UNUSED_PAD src0_sel:DWORD src1_sel:WORD_0
	v_add_co_u32 v182, vcc_lo, v6, v183
	v_add_co_ci_u32_e64 v183, null, 0, v7, vcc_lo
	v_add_co_u32 v195, vcc_lo, v6, v192
	v_add_co_ci_u32_e64 v196, null, 0, v7, vcc_lo
	s_clause 0x1
	flat_load_ushort v182, v[182:183]
	flat_load_ushort v183, v[195:196]
	s_waitcnt vmcnt(0) lgkmcnt(0)
	v_cmp_ge_u16_e32 vcc_lo, v182, v183
	s_and_b32 s22, vcc_lo, exec_lo
.LBB872_185:
	s_or_b32 exec_lo, exec_lo, s18
	s_orn2_b32 s18, s22, exec_lo
.LBB872_186:
	s_or_b32 exec_lo, exec_lo, s20
	v_cndmask_b32_e64 v182, v179, v181, s18
	v_cndmask_b32_e64 v183, v244, v243, s18
	s_mov_b32 s20, exec_lo
	v_add_nc_u32_e32 v182, 1, v182
	v_add_nc_u32_e32 v183, -1, v183
	v_cndmask_b32_e64 v179, v182, v179, s18
	v_min_u32_e32 v183, v182, v183
	v_cndmask_b32_e64 v181, v181, v182, s18
	v_lshl_add_u32 v183, v183, 1, v112
	ds_read_u16 v183, v183
	s_waitcnt lgkmcnt(0)
	v_cndmask_b32_e64 v225, v183, v229, s18
	v_cndmask_b32_e64 v46, v45, v183, s18
	v_cmpx_lt_u32_e64 v179, v244
	s_cbranch_execz .LBB872_190
; %bb.187:
	s_mov_b32 s22, 0
	s_mov_b32 s19, exec_lo
	v_cmpx_lt_u32_e64 v181, v243
	s_cbranch_execz .LBB872_189
; %bb.188:
	v_mov_b32_e32 v182, 1
	v_lshlrev_b32_sdwa v183, v182, v225 dst_sel:DWORD dst_unused:UNUSED_PAD src0_sel:DWORD src1_sel:WORD_0
	v_lshlrev_b32_sdwa v192, v182, v46 dst_sel:DWORD dst_unused:UNUSED_PAD src0_sel:DWORD src1_sel:WORD_0
	v_add_co_u32 v182, vcc_lo, v6, v183
	v_add_co_ci_u32_e64 v183, null, 0, v7, vcc_lo
	v_add_co_u32 v195, vcc_lo, v6, v192
	v_add_co_ci_u32_e64 v196, null, 0, v7, vcc_lo
	s_clause 0x1
	flat_load_ushort v182, v[182:183]
	flat_load_ushort v183, v[195:196]
	s_waitcnt vmcnt(0) lgkmcnt(0)
	v_cmp_ge_u16_e32 vcc_lo, v182, v183
	s_and_b32 s22, vcc_lo, exec_lo
.LBB872_189:
	s_or_b32 exec_lo, exec_lo, s19
	s_orn2_b32 s19, s22, exec_lo
.LBB872_190:
	s_or_b32 exec_lo, exec_lo, s20
	v_cndmask_b32_e64 v182, v179, v181, s19
	v_cndmask_b32_e64 v183, v244, v243, s19
	s_mov_b32 s22, -1
	s_mov_b32 s20, -1
	s_mov_b32 s23, exec_lo
	v_add_nc_u32_e32 v182, 1, v182
	v_add_nc_u32_e32 v183, -1, v183
	v_cndmask_b32_e64 v179, v182, v179, s19
	v_min_u32_e32 v183, v182, v183
	v_cndmask_b32_e64 v181, v181, v182, s19
	v_lshl_add_u32 v183, v183, 1, v112
	ds_read_u16 v183, v183
	s_waitcnt lgkmcnt(0)
	v_cndmask_b32_e64 v227, v183, v225, s19
	v_cndmask_b32_e64 v47, v46, v183, s19
	v_cmpx_lt_u32_e64 v179, v244
	s_cbranch_execz .LBB872_194
; %bb.191:
	s_mov_b32 s24, 0
	s_mov_b32 s20, exec_lo
	v_cmpx_lt_u32_e64 v181, v243
	s_cbranch_execz .LBB872_193
; %bb.192:
	v_mov_b32_e32 v182, 1
	v_lshlrev_b32_sdwa v183, v182, v227 dst_sel:DWORD dst_unused:UNUSED_PAD src0_sel:DWORD src1_sel:WORD_0
	v_lshlrev_b32_sdwa v192, v182, v47 dst_sel:DWORD dst_unused:UNUSED_PAD src0_sel:DWORD src1_sel:WORD_0
	v_add_co_u32 v182, vcc_lo, v6, v183
	v_add_co_ci_u32_e64 v183, null, 0, v7, vcc_lo
	v_add_co_u32 v195, vcc_lo, v6, v192
	v_add_co_ci_u32_e64 v196, null, 0, v7, vcc_lo
	s_clause 0x1
	flat_load_ushort v182, v[182:183]
	flat_load_ushort v183, v[195:196]
	s_waitcnt vmcnt(0) lgkmcnt(0)
	v_cmp_ge_u16_e32 vcc_lo, v182, v183
	s_and_b32 s24, vcc_lo, exec_lo
.LBB872_193:
	s_or_b32 exec_lo, exec_lo, s20
	s_orn2_b32 s20, s24, exec_lo
.LBB872_194:
	s_or_b32 exec_lo, exec_lo, s23
	v_cndmask_b32_e64 v182, v179, v181, s20
	v_cndmask_b32_e64 v183, v244, v243, s20
	s_mov_b32 s23, exec_lo
	v_add_nc_u32_e32 v182, 1, v182
	v_add_nc_u32_e32 v183, -1, v183
	v_cndmask_b32_e64 v179, v182, v179, s20
	v_min_u32_e32 v183, v182, v183
	v_cndmask_b32_e64 v181, v181, v182, s20
	v_lshl_add_u32 v183, v183, 1, v112
	ds_read_u16 v183, v183
	s_waitcnt lgkmcnt(0)
	v_cndmask_b32_e64 v215, v183, v227, s20
	v_cndmask_b32_e64 v56, v47, v183, s20
	v_cmpx_lt_u32_e64 v179, v244
	s_cbranch_execz .LBB872_198
; %bb.195:
	s_mov_b32 s24, 0
	s_mov_b32 s22, exec_lo
	v_cmpx_lt_u32_e64 v181, v243
	s_cbranch_execz .LBB872_197
; %bb.196:
	v_mov_b32_e32 v182, 1
	v_lshlrev_b32_sdwa v183, v182, v215 dst_sel:DWORD dst_unused:UNUSED_PAD src0_sel:DWORD src1_sel:WORD_0
	v_lshlrev_b32_sdwa v192, v182, v56 dst_sel:DWORD dst_unused:UNUSED_PAD src0_sel:DWORD src1_sel:WORD_0
	v_add_co_u32 v182, vcc_lo, v6, v183
	v_add_co_ci_u32_e64 v183, null, 0, v7, vcc_lo
	v_add_co_u32 v195, vcc_lo, v6, v192
	v_add_co_ci_u32_e64 v196, null, 0, v7, vcc_lo
	s_clause 0x1
	flat_load_ushort v182, v[182:183]
	flat_load_ushort v183, v[195:196]
	s_waitcnt vmcnt(0) lgkmcnt(0)
	v_cmp_ge_u16_e32 vcc_lo, v182, v183
	s_and_b32 s24, vcc_lo, exec_lo
.LBB872_197:
	s_or_b32 exec_lo, exec_lo, s22
	s_orn2_b32 s22, s24, exec_lo
.LBB872_198:
	s_or_b32 exec_lo, exec_lo, s23
	v_cndmask_b32_e64 v182, v179, v181, s22
	v_cndmask_b32_e64 v183, v244, v243, s22
	s_mov_b32 s24, -1
	s_mov_b32 s23, -1
	s_mov_b32 s25, exec_lo
	v_add_nc_u32_e32 v182, 1, v182
	v_add_nc_u32_e32 v183, -1, v183
	v_cndmask_b32_e64 v179, v182, v179, s22
	v_min_u32_e32 v183, v182, v183
	v_cndmask_b32_e64 v181, v181, v182, s22
	v_lshl_add_u32 v183, v183, 1, v112
	ds_read_u16 v183, v183
	s_waitcnt lgkmcnt(0)
	v_cndmask_b32_e64 v224, v183, v215, s22
	v_cndmask_b32_e64 v57, v56, v183, s22
	v_cmpx_lt_u32_e64 v179, v244
	s_cbranch_execz .LBB872_202
; %bb.199:
	s_mov_b32 s26, 0
	s_mov_b32 s23, exec_lo
	v_cmpx_lt_u32_e64 v181, v243
	s_cbranch_execz .LBB872_201
; %bb.200:
	v_mov_b32_e32 v182, 1
	v_lshlrev_b32_sdwa v183, v182, v224 dst_sel:DWORD dst_unused:UNUSED_PAD src0_sel:DWORD src1_sel:WORD_0
	v_lshlrev_b32_sdwa v192, v182, v57 dst_sel:DWORD dst_unused:UNUSED_PAD src0_sel:DWORD src1_sel:WORD_0
	v_add_co_u32 v182, vcc_lo, v6, v183
	v_add_co_ci_u32_e64 v183, null, 0, v7, vcc_lo
	v_add_co_u32 v195, vcc_lo, v6, v192
	v_add_co_ci_u32_e64 v196, null, 0, v7, vcc_lo
	s_clause 0x1
	flat_load_ushort v182, v[182:183]
	flat_load_ushort v183, v[195:196]
	s_waitcnt vmcnt(0) lgkmcnt(0)
	v_cmp_ge_u16_e32 vcc_lo, v182, v183
	s_and_b32 s26, vcc_lo, exec_lo
.LBB872_201:
	s_or_b32 exec_lo, exec_lo, s23
	s_orn2_b32 s23, s26, exec_lo
.LBB872_202:
	s_or_b32 exec_lo, exec_lo, s25
	v_cndmask_b32_e64 v182, v179, v181, s23
	v_cndmask_b32_e64 v183, v244, v243, s23
	s_mov_b32 s25, exec_lo
	v_add_nc_u32_e32 v182, 1, v182
	v_add_nc_u32_e32 v183, -1, v183
	v_cndmask_b32_e64 v179, v182, v179, s23
	v_min_u32_e32 v183, v182, v183
	v_cndmask_b32_e64 v181, v181, v182, s23
	v_lshl_add_u32 v183, v183, 1, v112
	ds_read_u16 v183, v183
	s_waitcnt lgkmcnt(0)
	v_cndmask_b32_e64 v213, v183, v224, s23
	v_cndmask_b32_e64 v58, v57, v183, s23
	v_cmpx_lt_u32_e64 v179, v244
	s_cbranch_execz .LBB872_206
; %bb.203:
	s_mov_b32 s26, 0
	s_mov_b32 s24, exec_lo
	v_cmpx_lt_u32_e64 v181, v243
	s_cbranch_execz .LBB872_205
; %bb.204:
	v_mov_b32_e32 v182, 1
	v_lshlrev_b32_sdwa v183, v182, v213 dst_sel:DWORD dst_unused:UNUSED_PAD src0_sel:DWORD src1_sel:WORD_0
	v_lshlrev_b32_sdwa v192, v182, v58 dst_sel:DWORD dst_unused:UNUSED_PAD src0_sel:DWORD src1_sel:WORD_0
	v_add_co_u32 v182, vcc_lo, v6, v183
	v_add_co_ci_u32_e64 v183, null, 0, v7, vcc_lo
	v_add_co_u32 v195, vcc_lo, v6, v192
	v_add_co_ci_u32_e64 v196, null, 0, v7, vcc_lo
	s_clause 0x1
	flat_load_ushort v182, v[182:183]
	flat_load_ushort v183, v[195:196]
	s_waitcnt vmcnt(0) lgkmcnt(0)
	v_cmp_ge_u16_e32 vcc_lo, v182, v183
	s_and_b32 s26, vcc_lo, exec_lo
.LBB872_205:
	s_or_b32 exec_lo, exec_lo, s24
	s_orn2_b32 s24, s26, exec_lo
.LBB872_206:
	s_or_b32 exec_lo, exec_lo, s25
	v_cndmask_b32_e64 v182, v179, v181, s24
	v_cndmask_b32_e64 v183, v244, v243, s24
	s_mov_b32 s26, -1
	s_mov_b32 s25, -1
	s_mov_b32 s27, exec_lo
	v_add_nc_u32_e32 v182, 1, v182
	v_add_nc_u32_e32 v183, -1, v183
	v_cndmask_b32_e64 v179, v182, v179, s24
	v_min_u32_e32 v183, v182, v183
	v_cndmask_b32_e64 v181, v181, v182, s24
	v_lshl_add_u32 v183, v183, 1, v112
	ds_read_u16 v183, v183
	s_waitcnt lgkmcnt(0)
	v_cndmask_b32_e64 v214, v183, v213, s24
	v_cndmask_b32_e64 v59, v58, v183, s24
	v_cmpx_lt_u32_e64 v179, v244
	s_cbranch_execz .LBB872_210
; %bb.207:
	s_mov_b32 s28, 0
	s_mov_b32 s25, exec_lo
	v_cmpx_lt_u32_e64 v181, v243
	s_cbranch_execz .LBB872_209
; %bb.208:
	v_mov_b32_e32 v182, 1
	v_lshlrev_b32_sdwa v183, v182, v214 dst_sel:DWORD dst_unused:UNUSED_PAD src0_sel:DWORD src1_sel:WORD_0
	v_lshlrev_b32_sdwa v192, v182, v59 dst_sel:DWORD dst_unused:UNUSED_PAD src0_sel:DWORD src1_sel:WORD_0
	v_add_co_u32 v182, vcc_lo, v6, v183
	v_add_co_ci_u32_e64 v183, null, 0, v7, vcc_lo
	v_add_co_u32 v195, vcc_lo, v6, v192
	v_add_co_ci_u32_e64 v196, null, 0, v7, vcc_lo
	s_clause 0x1
	flat_load_ushort v182, v[182:183]
	flat_load_ushort v183, v[195:196]
	s_waitcnt vmcnt(0) lgkmcnt(0)
	v_cmp_ge_u16_e32 vcc_lo, v182, v183
	s_and_b32 s28, vcc_lo, exec_lo
.LBB872_209:
	s_or_b32 exec_lo, exec_lo, s25
	s_orn2_b32 s25, s28, exec_lo
.LBB872_210:
	s_or_b32 exec_lo, exec_lo, s27
	v_cndmask_b32_e64 v182, v179, v181, s25
	v_cndmask_b32_e64 v183, v244, v243, s25
	s_mov_b32 s27, exec_lo
	v_add_nc_u32_e32 v182, 1, v182
	v_add_nc_u32_e32 v183, -1, v183
	v_cndmask_b32_e64 v179, v182, v179, s25
	v_min_u32_e32 v183, v182, v183
	v_cndmask_b32_e64 v181, v181, v182, s25
	v_lshl_add_u32 v183, v183, 1, v112
	ds_read_u16 v183, v183
	s_waitcnt lgkmcnt(0)
	v_cndmask_b32_e64 v210, v183, v214, s25
	v_cndmask_b32_e64 v60, v59, v183, s25
	v_cmpx_lt_u32_e64 v179, v244
	s_cbranch_execz .LBB872_214
; %bb.211:
	s_mov_b32 s28, 0
	s_mov_b32 s26, exec_lo
	v_cmpx_lt_u32_e64 v181, v243
	s_cbranch_execz .LBB872_213
; %bb.212:
	v_mov_b32_e32 v182, 1
	v_lshlrev_b32_sdwa v183, v182, v210 dst_sel:DWORD dst_unused:UNUSED_PAD src0_sel:DWORD src1_sel:WORD_0
	v_lshlrev_b32_sdwa v192, v182, v60 dst_sel:DWORD dst_unused:UNUSED_PAD src0_sel:DWORD src1_sel:WORD_0
	v_add_co_u32 v182, vcc_lo, v6, v183
	v_add_co_ci_u32_e64 v183, null, 0, v7, vcc_lo
	v_add_co_u32 v195, vcc_lo, v6, v192
	v_add_co_ci_u32_e64 v196, null, 0, v7, vcc_lo
	s_clause 0x1
	flat_load_ushort v182, v[182:183]
	flat_load_ushort v183, v[195:196]
	s_waitcnt vmcnt(0) lgkmcnt(0)
	v_cmp_ge_u16_e32 vcc_lo, v182, v183
	s_and_b32 s28, vcc_lo, exec_lo
.LBB872_213:
	s_or_b32 exec_lo, exec_lo, s26
	s_orn2_b32 s26, s28, exec_lo
.LBB872_214:
	s_or_b32 exec_lo, exec_lo, s27
	v_cndmask_b32_e64 v182, v179, v181, s26
	v_cndmask_b32_e64 v183, v244, v243, s26
	s_mov_b32 s28, -1
	s_mov_b32 s27, -1
	s_mov_b32 s29, exec_lo
	v_add_nc_u32_e32 v182, 1, v182
	v_add_nc_u32_e32 v183, -1, v183
	v_cndmask_b32_e64 v179, v182, v179, s26
	v_min_u32_e32 v183, v182, v183
	v_cndmask_b32_e64 v181, v181, v182, s26
	v_lshl_add_u32 v183, v183, 1, v112
	ds_read_u16 v183, v183
	s_waitcnt lgkmcnt(0)
	v_cndmask_b32_e64 v211, v183, v210, s26
	v_cndmask_b32_e64 v61, v60, v183, s26
	v_cmpx_lt_u32_e64 v179, v244
	s_cbranch_execz .LBB872_218
; %bb.215:
	s_mov_b32 s40, 0
	s_mov_b32 s27, exec_lo
	v_cmpx_lt_u32_e64 v181, v243
	s_cbranch_execz .LBB872_217
; %bb.216:
	v_mov_b32_e32 v182, 1
	v_lshlrev_b32_sdwa v183, v182, v211 dst_sel:DWORD dst_unused:UNUSED_PAD src0_sel:DWORD src1_sel:WORD_0
	v_lshlrev_b32_sdwa v192, v182, v61 dst_sel:DWORD dst_unused:UNUSED_PAD src0_sel:DWORD src1_sel:WORD_0
	v_add_co_u32 v182, vcc_lo, v6, v183
	v_add_co_ci_u32_e64 v183, null, 0, v7, vcc_lo
	v_add_co_u32 v195, vcc_lo, v6, v192
	v_add_co_ci_u32_e64 v196, null, 0, v7, vcc_lo
	s_clause 0x1
	flat_load_ushort v182, v[182:183]
	flat_load_ushort v183, v[195:196]
	s_waitcnt vmcnt(0) lgkmcnt(0)
	v_cmp_ge_u16_e32 vcc_lo, v182, v183
	s_and_b32 s40, vcc_lo, exec_lo
.LBB872_217:
	s_or_b32 exec_lo, exec_lo, s27
	s_orn2_b32 s27, s40, exec_lo
.LBB872_218:
	s_or_b32 exec_lo, exec_lo, s29
	v_cndmask_b32_e64 v182, v179, v181, s27
	v_cndmask_b32_e64 v183, v244, v243, s27
	s_mov_b32 s29, exec_lo
	v_add_nc_u32_e32 v182, 1, v182
	v_add_nc_u32_e32 v183, -1, v183
	v_cndmask_b32_e64 v179, v182, v179, s27
	v_min_u32_e32 v183, v182, v183
	v_cndmask_b32_e64 v181, v181, v182, s27
	v_lshl_add_u32 v183, v183, 1, v112
	ds_read_u16 v183, v183
	s_waitcnt lgkmcnt(0)
	v_cndmask_b32_e64 v199, v183, v211, s27
	v_cndmask_b32_e64 v62, v61, v183, s27
	v_cmpx_lt_u32_e64 v179, v244
	s_cbranch_execz .LBB872_222
; %bb.219:
	s_mov_b32 s40, 0
	s_mov_b32 s28, exec_lo
	v_cmpx_lt_u32_e64 v181, v243
	s_cbranch_execz .LBB872_221
; %bb.220:
	v_mov_b32_e32 v182, 1
	v_lshlrev_b32_sdwa v183, v182, v199 dst_sel:DWORD dst_unused:UNUSED_PAD src0_sel:DWORD src1_sel:WORD_0
	v_lshlrev_b32_sdwa v192, v182, v62 dst_sel:DWORD dst_unused:UNUSED_PAD src0_sel:DWORD src1_sel:WORD_0
	v_add_co_u32 v182, vcc_lo, v6, v183
	v_add_co_ci_u32_e64 v183, null, 0, v7, vcc_lo
	v_add_co_u32 v195, vcc_lo, v6, v192
	v_add_co_ci_u32_e64 v196, null, 0, v7, vcc_lo
	s_clause 0x1
	flat_load_ushort v182, v[182:183]
	flat_load_ushort v183, v[195:196]
	s_waitcnt vmcnt(0) lgkmcnt(0)
	v_cmp_ge_u16_e32 vcc_lo, v182, v183
	s_and_b32 s40, vcc_lo, exec_lo
.LBB872_221:
	s_or_b32 exec_lo, exec_lo, s28
	s_orn2_b32 s28, s40, exec_lo
.LBB872_222:
	s_or_b32 exec_lo, exec_lo, s29
	v_cndmask_b32_e64 v182, v179, v181, s28
	v_cndmask_b32_e64 v183, v244, v243, s28
	s_mov_b32 s40, -1
	s_mov_b32 s29, -1
	s_mov_b32 s41, exec_lo
	v_add_nc_u32_e32 v182, 1, v182
	v_add_nc_u32_e32 v183, -1, v183
	v_cndmask_b32_e64 v179, v182, v179, s28
	v_min_u32_e32 v183, v182, v183
	v_cndmask_b32_e64 v181, v181, v182, s28
	v_lshl_add_u32 v183, v183, 1, v112
	ds_read_u16 v183, v183
	s_waitcnt lgkmcnt(0)
	v_cndmask_b32_e64 v212, v183, v199, s28
	v_cndmask_b32_e64 v63, v62, v183, s28
	v_cmpx_lt_u32_e64 v179, v244
	s_cbranch_execz .LBB872_226
; %bb.223:
	s_mov_b32 s42, 0
	s_mov_b32 s29, exec_lo
	v_cmpx_lt_u32_e64 v181, v243
	s_cbranch_execz .LBB872_225
; %bb.224:
	v_mov_b32_e32 v182, 1
	v_lshlrev_b32_sdwa v183, v182, v212 dst_sel:DWORD dst_unused:UNUSED_PAD src0_sel:DWORD src1_sel:WORD_0
	v_lshlrev_b32_sdwa v192, v182, v63 dst_sel:DWORD dst_unused:UNUSED_PAD src0_sel:DWORD src1_sel:WORD_0
	v_add_co_u32 v182, vcc_lo, v6, v183
	v_add_co_ci_u32_e64 v183, null, 0, v7, vcc_lo
	v_add_co_u32 v195, vcc_lo, v6, v192
	v_add_co_ci_u32_e64 v196, null, 0, v7, vcc_lo
	s_clause 0x1
	flat_load_ushort v182, v[182:183]
	flat_load_ushort v183, v[195:196]
	s_waitcnt vmcnt(0) lgkmcnt(0)
	v_cmp_ge_u16_e32 vcc_lo, v182, v183
	s_and_b32 s42, vcc_lo, exec_lo
.LBB872_225:
	s_or_b32 exec_lo, exec_lo, s29
	s_orn2_b32 s29, s42, exec_lo
.LBB872_226:
	s_or_b32 exec_lo, exec_lo, s41
	v_cndmask_b32_e64 v182, v179, v181, s29
	v_cndmask_b32_e64 v183, v244, v243, s29
	s_mov_b32 s41, exec_lo
	v_add_nc_u32_e32 v182, 1, v182
	v_add_nc_u32_e32 v183, -1, v183
	v_cndmask_b32_e64 v179, v182, v179, s29
	v_min_u32_e32 v183, v182, v183
	v_cndmask_b32_e64 v181, v181, v182, s29
	v_lshl_add_u32 v183, v183, 1, v112
	ds_read_u16 v183, v183
	s_waitcnt lgkmcnt(0)
	v_cndmask_b32_e64 v208, v183, v212, s29
	v_cndmask_b32_e64 v72, v63, v183, s29
	v_cmpx_lt_u32_e64 v179, v244
	s_cbranch_execz .LBB872_230
; %bb.227:
	s_mov_b32 s42, 0
	s_mov_b32 s40, exec_lo
	v_cmpx_lt_u32_e64 v181, v243
	s_cbranch_execz .LBB872_229
; %bb.228:
	v_mov_b32_e32 v182, 1
	v_lshlrev_b32_sdwa v183, v182, v208 dst_sel:DWORD dst_unused:UNUSED_PAD src0_sel:DWORD src1_sel:WORD_0
	v_lshlrev_b32_sdwa v192, v182, v72 dst_sel:DWORD dst_unused:UNUSED_PAD src0_sel:DWORD src1_sel:WORD_0
	v_add_co_u32 v182, vcc_lo, v6, v183
	v_add_co_ci_u32_e64 v183, null, 0, v7, vcc_lo
	v_add_co_u32 v195, vcc_lo, v6, v192
	v_add_co_ci_u32_e64 v196, null, 0, v7, vcc_lo
	s_clause 0x1
	flat_load_ushort v182, v[182:183]
	flat_load_ushort v183, v[195:196]
	s_waitcnt vmcnt(0) lgkmcnt(0)
	v_cmp_ge_u16_e32 vcc_lo, v182, v183
	s_and_b32 s42, vcc_lo, exec_lo
.LBB872_229:
	s_or_b32 exec_lo, exec_lo, s40
	s_orn2_b32 s40, s42, exec_lo
.LBB872_230:
	s_or_b32 exec_lo, exec_lo, s41
	v_cndmask_b32_e64 v182, v179, v181, s40
	v_cndmask_b32_e64 v183, v244, v243, s40
	s_mov_b32 s42, -1
	s_mov_b32 s41, -1
	s_mov_b32 s43, exec_lo
	v_add_nc_u32_e32 v182, 1, v182
	v_add_nc_u32_e32 v183, -1, v183
	v_cndmask_b32_e64 v179, v182, v179, s40
	v_min_u32_e32 v183, v182, v183
	v_cndmask_b32_e64 v181, v181, v182, s40
	v_lshl_add_u32 v183, v183, 1, v112
	ds_read_u16 v183, v183
	s_waitcnt lgkmcnt(0)
	v_cndmask_b32_e64 v209, v183, v208, s40
	v_cndmask_b32_e64 v73, v72, v183, s40
	v_cmpx_lt_u32_e64 v179, v244
	s_cbranch_execz .LBB872_234
; %bb.231:
	s_mov_b32 s44, 0
	s_mov_b32 s41, exec_lo
	v_cmpx_lt_u32_e64 v181, v243
	s_cbranch_execz .LBB872_233
; %bb.232:
	v_mov_b32_e32 v182, 1
	v_lshlrev_b32_sdwa v183, v182, v209 dst_sel:DWORD dst_unused:UNUSED_PAD src0_sel:DWORD src1_sel:WORD_0
	v_lshlrev_b32_sdwa v192, v182, v73 dst_sel:DWORD dst_unused:UNUSED_PAD src0_sel:DWORD src1_sel:WORD_0
	v_add_co_u32 v182, vcc_lo, v6, v183
	v_add_co_ci_u32_e64 v183, null, 0, v7, vcc_lo
	v_add_co_u32 v195, vcc_lo, v6, v192
	v_add_co_ci_u32_e64 v196, null, 0, v7, vcc_lo
	s_clause 0x1
	flat_load_ushort v182, v[182:183]
	flat_load_ushort v183, v[195:196]
	s_waitcnt vmcnt(0) lgkmcnt(0)
	v_cmp_ge_u16_e32 vcc_lo, v182, v183
	s_and_b32 s44, vcc_lo, exec_lo
.LBB872_233:
	s_or_b32 exec_lo, exec_lo, s41
	s_orn2_b32 s41, s44, exec_lo
.LBB872_234:
	s_or_b32 exec_lo, exec_lo, s43
	v_cndmask_b32_e64 v182, v179, v181, s41
	v_cndmask_b32_e64 v183, v244, v243, s41
	s_mov_b32 s43, exec_lo
	v_add_nc_u32_e32 v182, 1, v182
	v_add_nc_u32_e32 v183, -1, v183
	v_cndmask_b32_e64 v179, v182, v179, s41
	v_min_u32_e32 v183, v182, v183
	v_cndmask_b32_e64 v181, v181, v182, s41
	v_lshl_add_u32 v183, v183, 1, v112
	ds_read_u16 v183, v183
	s_waitcnt lgkmcnt(0)
	v_cndmask_b32_e64 v197, v183, v209, s41
	v_cndmask_b32_e64 v74, v73, v183, s41
	v_cmpx_lt_u32_e64 v179, v244
	s_cbranch_execz .LBB872_238
; %bb.235:
	s_mov_b32 s44, 0
	s_mov_b32 s42, exec_lo
	v_cmpx_lt_u32_e64 v181, v243
	s_cbranch_execz .LBB872_237
; %bb.236:
	v_mov_b32_e32 v182, 1
	v_lshlrev_b32_sdwa v183, v182, v197 dst_sel:DWORD dst_unused:UNUSED_PAD src0_sel:DWORD src1_sel:WORD_0
	v_lshlrev_b32_sdwa v192, v182, v74 dst_sel:DWORD dst_unused:UNUSED_PAD src0_sel:DWORD src1_sel:WORD_0
	v_add_co_u32 v182, vcc_lo, v6, v183
	v_add_co_ci_u32_e64 v183, null, 0, v7, vcc_lo
	v_add_co_u32 v195, vcc_lo, v6, v192
	v_add_co_ci_u32_e64 v196, null, 0, v7, vcc_lo
	s_clause 0x1
	flat_load_ushort v182, v[182:183]
	flat_load_ushort v183, v[195:196]
	s_waitcnt vmcnt(0) lgkmcnt(0)
	v_cmp_ge_u16_e32 vcc_lo, v182, v183
	s_and_b32 s44, vcc_lo, exec_lo
.LBB872_237:
	s_or_b32 exec_lo, exec_lo, s42
	s_orn2_b32 s42, s44, exec_lo
.LBB872_238:
	s_or_b32 exec_lo, exec_lo, s43
	v_cndmask_b32_e64 v182, v179, v181, s42
	v_cndmask_b32_e64 v183, v244, v243, s42
	s_mov_b32 s44, -1
	s_mov_b32 s43, -1
	s_mov_b32 s45, exec_lo
	v_add_nc_u32_e32 v182, 1, v182
	v_add_nc_u32_e32 v183, -1, v183
	v_cndmask_b32_e64 v179, v182, v179, s42
	v_min_u32_e32 v183, v182, v183
	v_cndmask_b32_e64 v181, v181, v182, s42
	v_lshl_add_u32 v183, v183, 1, v112
	ds_read_u16 v183, v183
	s_waitcnt lgkmcnt(0)
	v_cndmask_b32_e64 v198, v183, v197, s42
	v_cndmask_b32_e64 v75, v74, v183, s42
	v_cmpx_lt_u32_e64 v179, v244
	s_cbranch_execz .LBB872_242
; %bb.239:
	s_mov_b32 s46, 0
	s_mov_b32 s43, exec_lo
	v_cmpx_lt_u32_e64 v181, v243
	s_cbranch_execz .LBB872_241
; %bb.240:
	v_mov_b32_e32 v182, 1
	v_lshlrev_b32_sdwa v183, v182, v198 dst_sel:DWORD dst_unused:UNUSED_PAD src0_sel:DWORD src1_sel:WORD_0
	v_lshlrev_b32_sdwa v192, v182, v75 dst_sel:DWORD dst_unused:UNUSED_PAD src0_sel:DWORD src1_sel:WORD_0
	v_add_co_u32 v182, vcc_lo, v6, v183
	v_add_co_ci_u32_e64 v183, null, 0, v7, vcc_lo
	v_add_co_u32 v195, vcc_lo, v6, v192
	v_add_co_ci_u32_e64 v196, null, 0, v7, vcc_lo
	s_clause 0x1
	flat_load_ushort v182, v[182:183]
	flat_load_ushort v183, v[195:196]
	s_waitcnt vmcnt(0) lgkmcnt(0)
	v_cmp_ge_u16_e32 vcc_lo, v182, v183
	s_and_b32 s46, vcc_lo, exec_lo
.LBB872_241:
	s_or_b32 exec_lo, exec_lo, s43
	s_orn2_b32 s43, s46, exec_lo
.LBB872_242:
	s_or_b32 exec_lo, exec_lo, s45
	v_cndmask_b32_e64 v182, v179, v181, s43
	v_cndmask_b32_e64 v183, v244, v243, s43
	s_mov_b32 s45, exec_lo
	v_add_nc_u32_e32 v182, 1, v182
	v_add_nc_u32_e32 v183, -1, v183
	v_cndmask_b32_e64 v179, v182, v179, s43
	v_min_u32_e32 v183, v182, v183
	v_cndmask_b32_e64 v181, v181, v182, s43
	v_lshl_add_u32 v183, v183, 1, v112
	ds_read_u16 v183, v183
	s_waitcnt lgkmcnt(0)
	v_cndmask_b32_e64 v196, v183, v198, s43
	v_cndmask_b32_e64 v76, v75, v183, s43
	v_cmpx_lt_u32_e64 v179, v244
	s_cbranch_execz .LBB872_246
; %bb.243:
	s_mov_b32 s46, 0
	s_mov_b32 s44, exec_lo
	v_cmpx_lt_u32_e64 v181, v243
	s_cbranch_execz .LBB872_245
; %bb.244:
	v_mov_b32_e32 v182, 1
	v_lshlrev_b32_sdwa v183, v182, v196 dst_sel:DWORD dst_unused:UNUSED_PAD src0_sel:DWORD src1_sel:WORD_0
	v_lshlrev_b32_sdwa v192, v182, v76 dst_sel:DWORD dst_unused:UNUSED_PAD src0_sel:DWORD src1_sel:WORD_0
	v_add_co_u32 v182, vcc_lo, v6, v183
	v_add_co_ci_u32_e64 v183, null, 0, v7, vcc_lo
	v_add_co_u32 v77, vcc_lo, v6, v192
	v_add_co_ci_u32_e64 v78, null, 0, v7, vcc_lo
	s_clause 0x1
	flat_load_ushort v182, v[182:183]
	flat_load_ushort v183, v[77:78]
	s_waitcnt vmcnt(0) lgkmcnt(0)
	v_cmp_ge_u16_e32 vcc_lo, v182, v183
	s_and_b32 s46, vcc_lo, exec_lo
.LBB872_245:
	s_or_b32 exec_lo, exec_lo, s44
	s_orn2_b32 s44, s46, exec_lo
.LBB872_246:
	s_or_b32 exec_lo, exec_lo, s45
	v_cndmask_b32_e64 v182, v179, v181, s44
	v_cndmask_b32_e64 v183, v244, v243, s44
	s_mov_b32 s46, -1
	s_mov_b32 s45, -1
	s_mov_b32 s47, exec_lo
	v_add_nc_u32_e32 v182, 1, v182
	v_add_nc_u32_e32 v183, -1, v183
	v_cndmask_b32_e64 v179, v182, v179, s44
	v_min_u32_e32 v183, v182, v183
	v_cndmask_b32_e64 v181, v181, v182, s44
	v_lshl_add_u32 v183, v183, 1, v112
	ds_read_u16 v183, v183
	s_waitcnt lgkmcnt(0)
	v_cndmask_b32_e64 v195, v183, v196, s44
	v_cndmask_b32_e64 v77, v76, v183, s44
	v_cmpx_lt_u32_e64 v179, v244
	s_cbranch_execz .LBB872_250
; %bb.247:
	s_mov_b32 s56, 0
	s_mov_b32 s45, exec_lo
	v_cmpx_lt_u32_e64 v181, v243
	s_cbranch_execz .LBB872_249
; %bb.248:
	v_mov_b32_e32 v182, 1
	v_lshlrev_b32_sdwa v183, v182, v195 dst_sel:DWORD dst_unused:UNUSED_PAD src0_sel:DWORD src1_sel:WORD_0
	v_lshlrev_b32_sdwa v192, v182, v77 dst_sel:DWORD dst_unused:UNUSED_PAD src0_sel:DWORD src1_sel:WORD_0
	v_add_co_u32 v182, vcc_lo, v6, v183
	v_add_co_ci_u32_e64 v183, null, 0, v7, vcc_lo
	v_add_co_u32 v78, vcc_lo, v6, v192
	v_add_co_ci_u32_e64 v79, null, 0, v7, vcc_lo
	s_clause 0x1
	flat_load_ushort v182, v[182:183]
	flat_load_ushort v183, v[78:79]
	s_waitcnt vmcnt(0) lgkmcnt(0)
	v_cmp_ge_u16_e32 vcc_lo, v182, v183
	s_and_b32 s56, vcc_lo, exec_lo
.LBB872_249:
	s_or_b32 exec_lo, exec_lo, s45
	s_orn2_b32 s45, s56, exec_lo
.LBB872_250:
	s_or_b32 exec_lo, exec_lo, s47
	v_cndmask_b32_e64 v182, v179, v181, s45
	v_cndmask_b32_e64 v183, v244, v243, s45
	s_mov_b32 s47, exec_lo
	v_add_nc_u32_e32 v182, 1, v182
	v_add_nc_u32_e32 v183, -1, v183
	v_cndmask_b32_e64 v179, v182, v179, s45
	v_min_u32_e32 v183, v182, v183
	v_cndmask_b32_e64 v181, v181, v182, s45
	v_lshl_add_u32 v183, v183, 1, v112
	ds_read_u16 v183, v183
	s_waitcnt lgkmcnt(0)
	v_cndmask_b32_e64 v192, v183, v195, s45
	v_cndmask_b32_e64 v78, v77, v183, s45
	v_cmpx_lt_u32_e64 v179, v244
	s_cbranch_execz .LBB872_254
; %bb.251:
	s_mov_b32 s56, 0
	s_mov_b32 s46, exec_lo
	v_cmpx_lt_u32_e64 v181, v243
	s_cbranch_execz .LBB872_253
; %bb.252:
	v_mov_b32_e32 v182, 1
	v_lshlrev_b32_sdwa v183, v182, v192 dst_sel:DWORD dst_unused:UNUSED_PAD src0_sel:DWORD src1_sel:WORD_0
	v_lshlrev_b32_sdwa v79, v182, v78 dst_sel:DWORD dst_unused:UNUSED_PAD src0_sel:DWORD src1_sel:WORD_0
	v_add_co_u32 v182, vcc_lo, v6, v183
	v_add_co_ci_u32_e64 v183, null, 0, v7, vcc_lo
	v_add_co_u32 v88, vcc_lo, v6, v79
	v_add_co_ci_u32_e64 v89, null, 0, v7, vcc_lo
	s_clause 0x1
	flat_load_ushort v182, v[182:183]
	flat_load_ushort v183, v[88:89]
	s_waitcnt vmcnt(0) lgkmcnt(0)
	v_cmp_ge_u16_e32 vcc_lo, v182, v183
	s_and_b32 s56, vcc_lo, exec_lo
.LBB872_253:
	s_or_b32 exec_lo, exec_lo, s46
	s_orn2_b32 s46, s56, exec_lo
.LBB872_254:
	s_or_b32 exec_lo, exec_lo, s47
	v_cndmask_b32_e64 v182, v179, v181, s46
	v_cndmask_b32_e64 v183, v244, v243, s46
	s_mov_b32 s56, -1
	s_mov_b32 s47, -1
	s_mov_b32 s57, exec_lo
	v_add_nc_u32_e32 v182, 1, v182
	v_add_nc_u32_e32 v183, -1, v183
	v_cndmask_b32_e64 v179, v182, v179, s46
	v_min_u32_e32 v183, v182, v183
	v_cndmask_b32_e64 v181, v181, v182, s46
	v_lshl_add_u32 v183, v183, 1, v112
	ds_read_u16 v183, v183
	s_waitcnt lgkmcnt(0)
	v_cndmask_b32_e64 v182, v183, v192, s46
	v_cndmask_b32_e64 v79, v78, v183, s46
	v_cmpx_lt_u32_e64 v179, v244
	s_cbranch_execz .LBB872_258
; %bb.255:
	s_mov_b32 s58, 0
	s_mov_b32 s47, exec_lo
	v_cmpx_lt_u32_e64 v181, v243
	s_cbranch_execz .LBB872_257
; %bb.256:
	v_mov_b32_e32 v183, 1
	v_lshlrev_b32_sdwa v88, v183, v182 dst_sel:DWORD dst_unused:UNUSED_PAD src0_sel:DWORD src1_sel:WORD_0
	v_lshlrev_b32_sdwa v183, v183, v79 dst_sel:DWORD dst_unused:UNUSED_PAD src0_sel:DWORD src1_sel:WORD_0
	v_add_co_u32 v88, vcc_lo, v6, v88
	v_add_co_ci_u32_e64 v89, null, 0, v7, vcc_lo
	v_add_co_u32 v90, vcc_lo, v6, v183
	v_add_co_ci_u32_e64 v91, null, 0, v7, vcc_lo
	s_clause 0x1
	flat_load_ushort v183, v[88:89]
	flat_load_ushort v88, v[90:91]
	s_waitcnt vmcnt(0) lgkmcnt(0)
	v_cmp_ge_u16_e32 vcc_lo, v183, v88
	s_and_b32 s58, vcc_lo, exec_lo
.LBB872_257:
	s_or_b32 exec_lo, exec_lo, s47
	s_orn2_b32 s47, s58, exec_lo
.LBB872_258:
	s_or_b32 exec_lo, exec_lo, s57
	v_cndmask_b32_e64 v183, v179, v181, s47
	v_cndmask_b32_e64 v88, v244, v243, s47
	s_mov_b32 s57, exec_lo
	v_add_nc_u32_e32 v183, 1, v183
	v_add_nc_u32_e32 v88, -1, v88
	v_cndmask_b32_e64 v179, v183, v179, s47
	v_min_u32_e32 v88, v183, v88
	v_cndmask_b32_e64 v181, v181, v183, s47
	v_lshl_add_u32 v88, v88, 1, v112
	ds_read_u16 v88, v88
	s_waitcnt lgkmcnt(0)
	v_cndmask_b32_e64 v183, v88, v182, s47
	v_cndmask_b32_e64 v88, v79, v88, s47
	v_cmpx_lt_u32_e64 v179, v244
	s_cbranch_execz .LBB872_262
; %bb.259:
	s_mov_b32 s58, 0
	s_mov_b32 s56, exec_lo
	v_cmpx_lt_u32_e64 v181, v243
	s_cbranch_execz .LBB872_261
; %bb.260:
	v_mov_b32_e32 v89, 1
	v_lshlrev_b32_sdwa v90, v89, v183 dst_sel:DWORD dst_unused:UNUSED_PAD src0_sel:DWORD src1_sel:WORD_0
	v_lshlrev_b32_sdwa v91, v89, v88 dst_sel:DWORD dst_unused:UNUSED_PAD src0_sel:DWORD src1_sel:WORD_0
	v_add_co_u32 v89, vcc_lo, v6, v90
	v_add_co_ci_u32_e64 v90, null, 0, v7, vcc_lo
	v_add_co_u32 v91, vcc_lo, v6, v91
	v_add_co_ci_u32_e64 v92, null, 0, v7, vcc_lo
	s_clause 0x1
	flat_load_ushort v89, v[89:90]
	flat_load_ushort v90, v[91:92]
	s_waitcnt vmcnt(0) lgkmcnt(0)
	v_cmp_ge_u16_e32 vcc_lo, v89, v90
	s_and_b32 s58, vcc_lo, exec_lo
.LBB872_261:
	s_or_b32 exec_lo, exec_lo, s56
	s_orn2_b32 s56, s58, exec_lo
.LBB872_262:
	s_or_b32 exec_lo, exec_lo, s57
	v_cndmask_b32_e64 v89, v179, v181, s56
	v_cndmask_b32_e64 v90, v244, v243, s56
	s_mov_b32 s57, -1
	s_mov_b32 s58, -1
	s_mov_b32 s59, exec_lo
	v_add_nc_u32_e32 v89, 1, v89
	v_add_nc_u32_e32 v90, -1, v90
	v_cndmask_b32_e64 v179, v89, v179, s56
	v_min_u32_e32 v90, v89, v90
	v_lshl_add_u32 v90, v90, 1, v112
	ds_read_u16 v91, v90
	v_cndmask_b32_e64 v90, v181, v89, s56
	s_waitcnt lgkmcnt(0)
	v_cndmask_b32_e64 v181, v91, v183, s56
	v_cndmask_b32_e64 v89, v88, v91, s56
	v_cmpx_lt_u32_e64 v179, v244
	s_cbranch_execz .LBB872_266
; %bb.263:
	s_mov_b32 s60, 0
	s_mov_b32 s58, exec_lo
	v_cmpx_lt_u32_e64 v90, v243
	s_cbranch_execz .LBB872_265
; %bb.264:
	v_mov_b32_e32 v91, 1
	v_lshlrev_b32_sdwa v92, v91, v181 dst_sel:DWORD dst_unused:UNUSED_PAD src0_sel:DWORD src1_sel:WORD_0
	v_lshlrev_b32_sdwa v93, v91, v89 dst_sel:DWORD dst_unused:UNUSED_PAD src0_sel:DWORD src1_sel:WORD_0
	v_add_co_u32 v91, vcc_lo, v6, v92
	v_add_co_ci_u32_e64 v92, null, 0, v7, vcc_lo
	v_add_co_u32 v93, vcc_lo, v6, v93
	v_add_co_ci_u32_e64 v94, null, 0, v7, vcc_lo
	s_clause 0x1
	flat_load_ushort v91, v[91:92]
	flat_load_ushort v92, v[93:94]
	s_waitcnt vmcnt(0) lgkmcnt(0)
	v_cmp_ge_u16_e32 vcc_lo, v91, v92
	s_and_b32 s60, vcc_lo, exec_lo
.LBB872_265:
	s_or_b32 exec_lo, exec_lo, s58
	s_orn2_b32 s58, s60, exec_lo
.LBB872_266:
	s_or_b32 exec_lo, exec_lo, s59
	v_cndmask_b32_e64 v91, v179, v90, s58
	v_cndmask_b32_e64 v92, v244, v243, s58
	s_mov_b32 s59, exec_lo
	v_add_nc_u32_e32 v91, 1, v91
	v_add_nc_u32_e32 v92, -1, v92
	v_cndmask_b32_e64 v179, v91, v179, s58
	v_min_u32_e32 v92, v91, v92
	v_lshl_add_u32 v92, v92, 1, v112
	ds_read_u16 v93, v92
	v_cndmask_b32_e64 v92, v90, v91, s58
	s_waitcnt lgkmcnt(0)
	v_cndmask_b32_e64 v90, v93, v181, s58
	v_cndmask_b32_e64 v91, v89, v93, s58
	v_cmpx_lt_u32_e64 v179, v244
	s_cbranch_execz .LBB872_270
; %bb.267:
	s_mov_b32 s60, 0
	s_mov_b32 s57, exec_lo
	v_cmpx_lt_u32_e64 v92, v243
	s_cbranch_execz .LBB872_269
; %bb.268:
	v_mov_b32_e32 v93, 1
	v_lshlrev_b32_sdwa v94, v93, v90 dst_sel:DWORD dst_unused:UNUSED_PAD src0_sel:DWORD src1_sel:WORD_0
	v_lshlrev_b32_sdwa v95, v93, v91 dst_sel:DWORD dst_unused:UNUSED_PAD src0_sel:DWORD src1_sel:WORD_0
	v_add_co_u32 v93, vcc_lo, v6, v94
	v_add_co_ci_u32_e64 v94, null, 0, v7, vcc_lo
	v_add_co_u32 v104, vcc_lo, v6, v95
	v_add_co_ci_u32_e64 v105, null, 0, v7, vcc_lo
	s_clause 0x1
	flat_load_ushort v93, v[93:94]
	flat_load_ushort v94, v[104:105]
	s_waitcnt vmcnt(0) lgkmcnt(0)
	v_cmp_ge_u16_e32 vcc_lo, v93, v94
	s_and_b32 s60, vcc_lo, exec_lo
.LBB872_269:
	s_or_b32 exec_lo, exec_lo, s57
	s_orn2_b32 s57, s60, exec_lo
.LBB872_270:
	s_or_b32 exec_lo, exec_lo, s59
	v_cndmask_b32_e64 v93, v179, v92, s57
	v_cndmask_b32_e64 v94, v244, v243, s57
	s_mov_b32 s59, exec_lo
	v_add_nc_u32_e32 v93, 1, v93
	v_add_nc_u32_e32 v94, -1, v94
	v_cndmask_b32_e64 v95, v93, v179, s57
	v_min_u32_e32 v94, v93, v94
	v_lshl_add_u32 v94, v94, 1, v112
	ds_read_u16 v94, v94
	s_waitcnt lgkmcnt(0)
	v_cndmask_b32_e64 v179, v91, v94, s57
	v_cmpx_lt_u32_e64 v95, v244
	s_cbranch_execz .LBB872_274
; %bb.271:
	v_cndmask_b32_e64 v92, v92, v93, s57
	v_cndmask_b32_e64 v244, v94, v90, s57
	s_mov_b32 s60, exec_lo
	v_cmpx_lt_u32_e64 v92, v243
	s_cbranch_execz .LBB872_273
; %bb.272:
	v_mov_b32_e32 v243, 1
	v_lshlrev_b32_sdwa v92, v243, v244 dst_sel:DWORD dst_unused:UNUSED_PAD src0_sel:DWORD src1_sel:WORD_0
	v_lshlrev_b32_sdwa v243, v243, v179 dst_sel:DWORD dst_unused:UNUSED_PAD src0_sel:DWORD src1_sel:WORD_0
	v_add_co_u32 v92, vcc_lo, v6, v92
	v_add_co_ci_u32_e64 v93, null, 0, v7, vcc_lo
	v_add_co_u32 v94, vcc_lo, v6, v243
	v_add_co_ci_u32_e64 v95, null, 0, v7, vcc_lo
	s_clause 0x1
	flat_load_ushort v243, v[92:93]
	flat_load_ushort v92, v[94:95]
	s_waitcnt vmcnt(0) lgkmcnt(0)
	v_cmp_lt_u16_e32 vcc_lo, v243, v92
	v_cndmask_b32_e32 v244, v179, v244, vcc_lo
.LBB872_273:
	s_or_b32 exec_lo, exec_lo, s60
	v_mov_b32_e32 v179, v244
.LBB872_274:
	s_or_b32 exec_lo, exec_lo, s59
	v_cndmask_b32_e64 v181, v181, v89, s58
	v_cndmask_b32_e64 v183, v183, v88, s56
	;; [unrolled: 1-line block ×31, first 2 shown]
.LBB872_275:
	s_or_b32 exec_lo, exec_lo, s5
	v_and_b32_e32 v245, 0x300, v114
	v_and_b32_e32 v246, 0xe0, v114
	s_mov_b32 s4, exec_lo
	; wave barrier
	v_or_b32_e32 v243, 0x80, v245
	v_min_u32_e32 v246, v113, v246
	ds_write_b16 v115, v193
	ds_write_b16 v167, v194
	;; [unrolled: 1-line block ×13, first 2 shown]
	v_min_u32_e32 v243, v113, v243
	ds_write_b16 v147, v224
	ds_write_b16 v148, v213
	;; [unrolled: 1-line block ×13, first 2 shown]
	v_add_nc_u32_e32 v244, 0x80, v243
	v_sub_nc_u32_e32 v40, v243, v245
	ds_write_b16 v118, v192
	ds_write_b16 v119, v182
	;; [unrolled: 1-line block ×6, first 2 shown]
	; wave barrier
	v_min_u32_e32 v244, v113, v244
	v_min_u32_e32 v40, v246, v40
	v_sub_nc_u32_e32 v247, v244, v243
	v_sub_nc_u32_e64 v247, v246, v247 clamp
	v_cmpx_lt_u32_e64 v247, v40
	s_cbranch_execz .LBB872_279
; %bb.276:
	v_lshlrev_b32_e32 v41, 1, v245
	v_lshlrev_b32_e32 v42, 1, v243
	s_mov_b32 s5, 0
	v_add_co_u32 v41, null, v112, v41
	v_add_co_u32 v42, null, v112, v42
	s_inst_prefetch 0x1
	.p2align	6
.LBB872_277:                            ; =>This Inner Loop Header: Depth=1
	v_add_nc_u32_e32 v43, v40, v247
	v_lshrrev_b32_e32 v47, 1, v43
	v_and_b32_e32 v43, -2, v43
	v_xad_u32 v44, v47, -1, v246
	v_add_nc_u32_e32 v43, v41, v43
	v_lshl_add_u32 v44, v44, 1, v42
	ds_read_u16 v43, v43
	ds_read_u16 v44, v44
	s_waitcnt lgkmcnt(1)
	v_lshlrev_b32_e32 v43, 1, v43
	s_waitcnt lgkmcnt(0)
	v_lshlrev_b32_e32 v45, 1, v44
	v_add_co_u32 v43, vcc_lo, v6, v43
	v_add_co_ci_u32_e64 v44, null, 0, v7, vcc_lo
	v_add_co_u32 v45, vcc_lo, v6, v45
	v_add_co_ci_u32_e64 v46, null, 0, v7, vcc_lo
	s_clause 0x1
	flat_load_ushort v45, v[45:46]
	flat_load_ushort v43, v[43:44]
	v_add_nc_u32_e32 v44, 1, v47
	s_waitcnt vmcnt(0) lgkmcnt(0)
	v_cmp_lt_u16_e32 vcc_lo, v45, v43
	v_cndmask_b32_e32 v40, v40, v47, vcc_lo
	v_cndmask_b32_e32 v247, v44, v247, vcc_lo
	v_cmp_ge_u32_e32 vcc_lo, v247, v40
	s_or_b32 s5, vcc_lo, s5
	s_andn2_b32 exec_lo, exec_lo, s5
	s_cbranch_execnz .LBB872_277
; %bb.278:
	s_inst_prefetch 0x2
	s_or_b32 exec_lo, exec_lo, s5
.LBB872_279:
	s_or_b32 exec_lo, exec_lo, s4
	v_add_nc_u32_e32 v246, v243, v246
	v_add_nc_u32_e32 v245, v247, v245
	v_sub_nc_u32_e32 v246, v246, v247
	v_cmp_le_u32_e32 vcc_lo, v245, v243
	v_cmp_le_u32_e64 s4, v246, v244
	s_or_b32 s4, vcc_lo, s4
	s_and_saveexec_b32 s5, s4
	s_cbranch_execz .LBB872_411
; %bb.280:
	s_mov_b32 s6, exec_lo
	v_cmp_ge_u32_e32 vcc_lo, v245, v243
                                        ; implicit-def: $vgpr180
	v_cmpx_lt_u32_e64 v245, v243
; %bb.281:
	v_lshl_add_u32 v179, v245, 1, v112
	ds_read_u16 v180, v179
; %bb.282:
	s_or_b32 exec_lo, exec_lo, s6
	v_cmp_ge_u32_e64 s6, v246, v244
	s_mov_b32 s7, exec_lo
                                        ; implicit-def: $vgpr193
	v_cmpx_lt_u32_e64 v246, v244
; %bb.283:
	v_lshl_add_u32 v179, v246, 1, v112
	ds_read_u16 v193, v179
; %bb.284:
	s_or_b32 exec_lo, exec_lo, s7
	s_nor_b32 s7, vcc_lo, s6
	s_and_saveexec_b32 s4, s7
	s_cbranch_execz .LBB872_286
; %bb.285:
	v_mov_b32_e32 v179, 1
	s_andn2_b32 s6, s6, exec_lo
	s_waitcnt lgkmcnt(0)
	v_lshlrev_b32_sdwa v181, v179, v193 dst_sel:DWORD dst_unused:UNUSED_PAD src0_sel:DWORD src1_sel:WORD_0
	v_lshlrev_b32_sdwa v179, v179, v180 dst_sel:DWORD dst_unused:UNUSED_PAD src0_sel:DWORD src1_sel:WORD_0
	v_add_co_u32 v181, vcc_lo, v6, v181
	v_add_co_ci_u32_e64 v182, null, 0, v7, vcc_lo
	v_add_co_u32 v194, vcc_lo, v6, v179
	v_add_co_ci_u32_e64 v195, null, 0, v7, vcc_lo
	s_clause 0x1
	flat_load_ushort v179, v[181:182]
	flat_load_ushort v181, v[194:195]
	s_waitcnt vmcnt(0) lgkmcnt(0)
	v_cmp_ge_u16_e32 vcc_lo, v179, v181
	s_and_b32 s7, vcc_lo, exec_lo
	s_or_b32 s6, s6, s7
.LBB872_286:
	s_or_b32 exec_lo, exec_lo, s4
	v_cndmask_b32_e64 v179, v246, v245, s6
	v_cndmask_b32_e64 v181, v244, v243, s6
	s_mov_b32 s7, -1
	s_mov_b32 s4, -1
	s_mov_b32 s10, exec_lo
	v_add_nc_u32_e32 v182, 1, v179
	v_add_nc_u32_e32 v179, -1, v181
	v_cndmask_b32_e64 v181, v245, v182, s6
	v_min_u32_e32 v179, v182, v179
	v_lshl_add_u32 v179, v179, 1, v112
	ds_read_u16 v183, v179
	v_cndmask_b32_e64 v179, v182, v246, s6
	s_waitcnt lgkmcnt(0)
	v_cndmask_b32_e64 v194, v183, v193, s6
	v_cndmask_b32_e64 v245, v180, v183, s6
	v_cmpx_lt_u32_e64 v179, v244
	s_cbranch_execz .LBB872_290
; %bb.287:
	s_mov_b32 s11, 0
	s_mov_b32 s4, exec_lo
	v_cmpx_lt_u32_e64 v181, v243
	s_cbranch_execz .LBB872_289
; %bb.288:
	v_mov_b32_e32 v182, 1
	v_lshlrev_b32_sdwa v183, v182, v194 dst_sel:DWORD dst_unused:UNUSED_PAD src0_sel:DWORD src1_sel:WORD_0
	v_lshlrev_b32_sdwa v192, v182, v245 dst_sel:DWORD dst_unused:UNUSED_PAD src0_sel:DWORD src1_sel:WORD_0
	v_add_co_u32 v182, vcc_lo, v6, v183
	v_add_co_ci_u32_e64 v183, null, 0, v7, vcc_lo
	v_add_co_u32 v195, vcc_lo, v6, v192
	v_add_co_ci_u32_e64 v196, null, 0, v7, vcc_lo
	s_clause 0x1
	flat_load_ushort v182, v[182:183]
	flat_load_ushort v183, v[195:196]
	s_waitcnt vmcnt(0) lgkmcnt(0)
	v_cmp_ge_u16_e32 vcc_lo, v182, v183
	s_and_b32 s11, vcc_lo, exec_lo
.LBB872_289:
	s_or_b32 exec_lo, exec_lo, s4
	s_orn2_b32 s4, s11, exec_lo
.LBB872_290:
	s_or_b32 exec_lo, exec_lo, s10
	v_cndmask_b32_e64 v182, v179, v181, s4
	v_cndmask_b32_e64 v183, v244, v243, s4
	s_mov_b32 s10, exec_lo
	v_add_nc_u32_e32 v182, 1, v182
	v_add_nc_u32_e32 v183, -1, v183
	v_cndmask_b32_e64 v179, v182, v179, s4
	v_min_u32_e32 v183, v182, v183
	v_cndmask_b32_e64 v181, v181, v182, s4
	v_lshl_add_u32 v183, v183, 1, v112
	ds_read_u16 v183, v183
	s_waitcnt lgkmcnt(0)
	v_cndmask_b32_e64 v240, v183, v194, s4
	v_cndmask_b32_e64 v246, v245, v183, s4
	v_cmpx_lt_u32_e64 v179, v244
	s_cbranch_execz .LBB872_294
; %bb.291:
	s_mov_b32 s11, 0
	s_mov_b32 s7, exec_lo
	v_cmpx_lt_u32_e64 v181, v243
	s_cbranch_execz .LBB872_293
; %bb.292:
	v_mov_b32_e32 v182, 1
	v_lshlrev_b32_sdwa v183, v182, v240 dst_sel:DWORD dst_unused:UNUSED_PAD src0_sel:DWORD src1_sel:WORD_0
	v_lshlrev_b32_sdwa v192, v182, v246 dst_sel:DWORD dst_unused:UNUSED_PAD src0_sel:DWORD src1_sel:WORD_0
	v_add_co_u32 v182, vcc_lo, v6, v183
	v_add_co_ci_u32_e64 v183, null, 0, v7, vcc_lo
	v_add_co_u32 v195, vcc_lo, v6, v192
	v_add_co_ci_u32_e64 v196, null, 0, v7, vcc_lo
	s_clause 0x1
	flat_load_ushort v182, v[182:183]
	flat_load_ushort v183, v[195:196]
	s_waitcnt vmcnt(0) lgkmcnt(0)
	v_cmp_ge_u16_e32 vcc_lo, v182, v183
	s_and_b32 s11, vcc_lo, exec_lo
.LBB872_293:
	s_or_b32 exec_lo, exec_lo, s7
	s_orn2_b32 s7, s11, exec_lo
.LBB872_294:
	s_or_b32 exec_lo, exec_lo, s10
	v_cndmask_b32_e64 v182, v179, v181, s7
	v_cndmask_b32_e64 v183, v244, v243, s7
	s_mov_b32 s11, -1
	s_mov_b32 s10, -1
	s_mov_b32 s14, exec_lo
	v_add_nc_u32_e32 v182, 1, v182
	v_add_nc_u32_e32 v183, -1, v183
	v_cndmask_b32_e64 v179, v182, v179, s7
	v_min_u32_e32 v183, v182, v183
	v_cndmask_b32_e64 v181, v181, v182, s7
	v_lshl_add_u32 v183, v183, 1, v112
	ds_read_u16 v183, v183
	s_waitcnt lgkmcnt(0)
	v_cndmask_b32_e64 v242, v183, v240, s7
	v_cndmask_b32_e64 v247, v246, v183, s7
	v_cmpx_lt_u32_e64 v179, v244
	s_cbranch_execz .LBB872_298
; %bb.295:
	s_mov_b32 s15, 0
	s_mov_b32 s10, exec_lo
	v_cmpx_lt_u32_e64 v181, v243
	s_cbranch_execz .LBB872_297
; %bb.296:
	v_mov_b32_e32 v182, 1
	v_lshlrev_b32_sdwa v183, v182, v242 dst_sel:DWORD dst_unused:UNUSED_PAD src0_sel:DWORD src1_sel:WORD_0
	v_lshlrev_b32_sdwa v192, v182, v247 dst_sel:DWORD dst_unused:UNUSED_PAD src0_sel:DWORD src1_sel:WORD_0
	v_add_co_u32 v182, vcc_lo, v6, v183
	v_add_co_ci_u32_e64 v183, null, 0, v7, vcc_lo
	v_add_co_u32 v195, vcc_lo, v6, v192
	v_add_co_ci_u32_e64 v196, null, 0, v7, vcc_lo
	s_clause 0x1
	flat_load_ushort v182, v[182:183]
	flat_load_ushort v183, v[195:196]
	s_waitcnt vmcnt(0) lgkmcnt(0)
	v_cmp_ge_u16_e32 vcc_lo, v182, v183
	s_and_b32 s15, vcc_lo, exec_lo
.LBB872_297:
	s_or_b32 exec_lo, exec_lo, s10
	s_orn2_b32 s10, s15, exec_lo
.LBB872_298:
	s_or_b32 exec_lo, exec_lo, s14
	v_cndmask_b32_e64 v182, v179, v181, s10
	v_cndmask_b32_e64 v183, v244, v243, s10
	s_mov_b32 s14, exec_lo
	v_add_nc_u32_e32 v182, 1, v182
	v_add_nc_u32_e32 v183, -1, v183
	v_cndmask_b32_e64 v179, v182, v179, s10
	v_min_u32_e32 v183, v182, v183
	v_cndmask_b32_e64 v181, v181, v182, s10
	v_lshl_add_u32 v183, v183, 1, v112
	ds_read_u16 v183, v183
	s_waitcnt lgkmcnt(0)
	v_cndmask_b32_e64 v230, v183, v242, s10
	v_cndmask_b32_e64 v40, v247, v183, s10
	v_cmpx_lt_u32_e64 v179, v244
	s_cbranch_execz .LBB872_302
; %bb.299:
	s_mov_b32 s15, 0
	s_mov_b32 s11, exec_lo
	v_cmpx_lt_u32_e64 v181, v243
	s_cbranch_execz .LBB872_301
; %bb.300:
	v_mov_b32_e32 v182, 1
	v_lshlrev_b32_sdwa v183, v182, v230 dst_sel:DWORD dst_unused:UNUSED_PAD src0_sel:DWORD src1_sel:WORD_0
	v_lshlrev_b32_sdwa v192, v182, v40 dst_sel:DWORD dst_unused:UNUSED_PAD src0_sel:DWORD src1_sel:WORD_0
	v_add_co_u32 v182, vcc_lo, v6, v183
	v_add_co_ci_u32_e64 v183, null, 0, v7, vcc_lo
	v_add_co_u32 v195, vcc_lo, v6, v192
	v_add_co_ci_u32_e64 v196, null, 0, v7, vcc_lo
	s_clause 0x1
	flat_load_ushort v182, v[182:183]
	flat_load_ushort v183, v[195:196]
	s_waitcnt vmcnt(0) lgkmcnt(0)
	v_cmp_ge_u16_e32 vcc_lo, v182, v183
	s_and_b32 s15, vcc_lo, exec_lo
.LBB872_301:
	s_or_b32 exec_lo, exec_lo, s11
	s_orn2_b32 s11, s15, exec_lo
.LBB872_302:
	s_or_b32 exec_lo, exec_lo, s14
	v_cndmask_b32_e64 v182, v179, v181, s11
	v_cndmask_b32_e64 v183, v244, v243, s11
	s_mov_b32 s15, -1
	s_mov_b32 s14, -1
	s_mov_b32 s16, exec_lo
	v_add_nc_u32_e32 v182, 1, v182
	v_add_nc_u32_e32 v183, -1, v183
	v_cndmask_b32_e64 v179, v182, v179, s11
	v_min_u32_e32 v183, v182, v183
	v_cndmask_b32_e64 v181, v181, v182, s11
	v_lshl_add_u32 v183, v183, 1, v112
	ds_read_u16 v183, v183
	s_waitcnt lgkmcnt(0)
	v_cndmask_b32_e64 v241, v183, v230, s11
	v_cndmask_b32_e64 v41, v40, v183, s11
	v_cmpx_lt_u32_e64 v179, v244
	s_cbranch_execz .LBB872_306
; %bb.303:
	s_mov_b32 s17, 0
	s_mov_b32 s14, exec_lo
	v_cmpx_lt_u32_e64 v181, v243
	s_cbranch_execz .LBB872_305
; %bb.304:
	v_mov_b32_e32 v182, 1
	v_lshlrev_b32_sdwa v183, v182, v241 dst_sel:DWORD dst_unused:UNUSED_PAD src0_sel:DWORD src1_sel:WORD_0
	v_lshlrev_b32_sdwa v192, v182, v41 dst_sel:DWORD dst_unused:UNUSED_PAD src0_sel:DWORD src1_sel:WORD_0
	v_add_co_u32 v182, vcc_lo, v6, v183
	v_add_co_ci_u32_e64 v183, null, 0, v7, vcc_lo
	v_add_co_u32 v195, vcc_lo, v6, v192
	v_add_co_ci_u32_e64 v196, null, 0, v7, vcc_lo
	s_clause 0x1
	flat_load_ushort v182, v[182:183]
	flat_load_ushort v183, v[195:196]
	s_waitcnt vmcnt(0) lgkmcnt(0)
	v_cmp_ge_u16_e32 vcc_lo, v182, v183
	s_and_b32 s17, vcc_lo, exec_lo
.LBB872_305:
	s_or_b32 exec_lo, exec_lo, s14
	s_orn2_b32 s14, s17, exec_lo
.LBB872_306:
	s_or_b32 exec_lo, exec_lo, s16
	v_cndmask_b32_e64 v182, v179, v181, s14
	v_cndmask_b32_e64 v183, v244, v243, s14
	s_mov_b32 s16, exec_lo
	v_add_nc_u32_e32 v182, 1, v182
	v_add_nc_u32_e32 v183, -1, v183
	v_cndmask_b32_e64 v179, v182, v179, s14
	v_min_u32_e32 v183, v182, v183
	v_cndmask_b32_e64 v181, v181, v182, s14
	v_lshl_add_u32 v183, v183, 1, v112
	ds_read_u16 v183, v183
	s_waitcnt lgkmcnt(0)
	v_cndmask_b32_e64 v228, v183, v241, s14
	v_cndmask_b32_e64 v42, v41, v183, s14
	v_cmpx_lt_u32_e64 v179, v244
	s_cbranch_execz .LBB872_310
; %bb.307:
	s_mov_b32 s17, 0
	s_mov_b32 s15, exec_lo
	v_cmpx_lt_u32_e64 v181, v243
	s_cbranch_execz .LBB872_309
; %bb.308:
	v_mov_b32_e32 v182, 1
	v_lshlrev_b32_sdwa v183, v182, v228 dst_sel:DWORD dst_unused:UNUSED_PAD src0_sel:DWORD src1_sel:WORD_0
	v_lshlrev_b32_sdwa v192, v182, v42 dst_sel:DWORD dst_unused:UNUSED_PAD src0_sel:DWORD src1_sel:WORD_0
	v_add_co_u32 v182, vcc_lo, v6, v183
	v_add_co_ci_u32_e64 v183, null, 0, v7, vcc_lo
	v_add_co_u32 v195, vcc_lo, v6, v192
	v_add_co_ci_u32_e64 v196, null, 0, v7, vcc_lo
	s_clause 0x1
	flat_load_ushort v182, v[182:183]
	flat_load_ushort v183, v[195:196]
	s_waitcnt vmcnt(0) lgkmcnt(0)
	v_cmp_ge_u16_e32 vcc_lo, v182, v183
	s_and_b32 s17, vcc_lo, exec_lo
.LBB872_309:
	s_or_b32 exec_lo, exec_lo, s15
	s_orn2_b32 s15, s17, exec_lo
.LBB872_310:
	s_or_b32 exec_lo, exec_lo, s16
	v_cndmask_b32_e64 v182, v179, v181, s15
	v_cndmask_b32_e64 v183, v244, v243, s15
	s_mov_b32 s17, -1
	s_mov_b32 s16, -1
	s_mov_b32 s18, exec_lo
	v_add_nc_u32_e32 v182, 1, v182
	v_add_nc_u32_e32 v183, -1, v183
	v_cndmask_b32_e64 v179, v182, v179, s15
	v_min_u32_e32 v183, v182, v183
	v_cndmask_b32_e64 v181, v181, v182, s15
	v_lshl_add_u32 v183, v183, 1, v112
	ds_read_u16 v183, v183
	s_waitcnt lgkmcnt(0)
	v_cndmask_b32_e64 v231, v183, v228, s15
	v_cndmask_b32_e64 v43, v42, v183, s15
	v_cmpx_lt_u32_e64 v179, v244
	s_cbranch_execz .LBB872_314
; %bb.311:
	s_mov_b32 s19, 0
	s_mov_b32 s16, exec_lo
	v_cmpx_lt_u32_e64 v181, v243
	s_cbranch_execz .LBB872_313
; %bb.312:
	v_mov_b32_e32 v182, 1
	v_lshlrev_b32_sdwa v183, v182, v231 dst_sel:DWORD dst_unused:UNUSED_PAD src0_sel:DWORD src1_sel:WORD_0
	v_lshlrev_b32_sdwa v192, v182, v43 dst_sel:DWORD dst_unused:UNUSED_PAD src0_sel:DWORD src1_sel:WORD_0
	v_add_co_u32 v182, vcc_lo, v6, v183
	v_add_co_ci_u32_e64 v183, null, 0, v7, vcc_lo
	v_add_co_u32 v195, vcc_lo, v6, v192
	v_add_co_ci_u32_e64 v196, null, 0, v7, vcc_lo
	s_clause 0x1
	flat_load_ushort v182, v[182:183]
	flat_load_ushort v183, v[195:196]
	s_waitcnt vmcnt(0) lgkmcnt(0)
	v_cmp_ge_u16_e32 vcc_lo, v182, v183
	s_and_b32 s19, vcc_lo, exec_lo
.LBB872_313:
	s_or_b32 exec_lo, exec_lo, s16
	s_orn2_b32 s16, s19, exec_lo
.LBB872_314:
	s_or_b32 exec_lo, exec_lo, s18
	v_cndmask_b32_e64 v182, v179, v181, s16
	v_cndmask_b32_e64 v183, v244, v243, s16
	s_mov_b32 s18, exec_lo
	v_add_nc_u32_e32 v182, 1, v182
	v_add_nc_u32_e32 v183, -1, v183
	v_cndmask_b32_e64 v179, v182, v179, s16
	v_min_u32_e32 v183, v182, v183
	v_cndmask_b32_e64 v181, v181, v182, s16
	v_lshl_add_u32 v183, v183, 1, v112
	ds_read_u16 v183, v183
	s_waitcnt lgkmcnt(0)
	v_cndmask_b32_e64 v226, v183, v231, s16
	v_cndmask_b32_e64 v44, v43, v183, s16
	v_cmpx_lt_u32_e64 v179, v244
	s_cbranch_execz .LBB872_318
; %bb.315:
	s_mov_b32 s19, 0
	s_mov_b32 s17, exec_lo
	v_cmpx_lt_u32_e64 v181, v243
	s_cbranch_execz .LBB872_317
; %bb.316:
	v_mov_b32_e32 v182, 1
	v_lshlrev_b32_sdwa v183, v182, v226 dst_sel:DWORD dst_unused:UNUSED_PAD src0_sel:DWORD src1_sel:WORD_0
	v_lshlrev_b32_sdwa v192, v182, v44 dst_sel:DWORD dst_unused:UNUSED_PAD src0_sel:DWORD src1_sel:WORD_0
	v_add_co_u32 v182, vcc_lo, v6, v183
	v_add_co_ci_u32_e64 v183, null, 0, v7, vcc_lo
	v_add_co_u32 v195, vcc_lo, v6, v192
	v_add_co_ci_u32_e64 v196, null, 0, v7, vcc_lo
	s_clause 0x1
	flat_load_ushort v182, v[182:183]
	flat_load_ushort v183, v[195:196]
	s_waitcnt vmcnt(0) lgkmcnt(0)
	v_cmp_ge_u16_e32 vcc_lo, v182, v183
	s_and_b32 s19, vcc_lo, exec_lo
.LBB872_317:
	s_or_b32 exec_lo, exec_lo, s17
	s_orn2_b32 s17, s19, exec_lo
.LBB872_318:
	s_or_b32 exec_lo, exec_lo, s18
	v_cndmask_b32_e64 v182, v179, v181, s17
	v_cndmask_b32_e64 v183, v244, v243, s17
	s_mov_b32 s19, -1
	s_mov_b32 s18, -1
	s_mov_b32 s20, exec_lo
	v_add_nc_u32_e32 v182, 1, v182
	v_add_nc_u32_e32 v183, -1, v183
	v_cndmask_b32_e64 v179, v182, v179, s17
	v_min_u32_e32 v183, v182, v183
	v_cndmask_b32_e64 v181, v181, v182, s17
	v_lshl_add_u32 v183, v183, 1, v112
	ds_read_u16 v183, v183
	s_waitcnt lgkmcnt(0)
	v_cndmask_b32_e64 v229, v183, v226, s17
	v_cndmask_b32_e64 v45, v44, v183, s17
	v_cmpx_lt_u32_e64 v179, v244
	s_cbranch_execz .LBB872_322
; %bb.319:
	s_mov_b32 s22, 0
	s_mov_b32 s18, exec_lo
	v_cmpx_lt_u32_e64 v181, v243
	s_cbranch_execz .LBB872_321
; %bb.320:
	v_mov_b32_e32 v182, 1
	v_lshlrev_b32_sdwa v183, v182, v229 dst_sel:DWORD dst_unused:UNUSED_PAD src0_sel:DWORD src1_sel:WORD_0
	v_lshlrev_b32_sdwa v192, v182, v45 dst_sel:DWORD dst_unused:UNUSED_PAD src0_sel:DWORD src1_sel:WORD_0
	v_add_co_u32 v182, vcc_lo, v6, v183
	v_add_co_ci_u32_e64 v183, null, 0, v7, vcc_lo
	v_add_co_u32 v195, vcc_lo, v6, v192
	v_add_co_ci_u32_e64 v196, null, 0, v7, vcc_lo
	s_clause 0x1
	flat_load_ushort v182, v[182:183]
	flat_load_ushort v183, v[195:196]
	s_waitcnt vmcnt(0) lgkmcnt(0)
	v_cmp_ge_u16_e32 vcc_lo, v182, v183
	s_and_b32 s22, vcc_lo, exec_lo
.LBB872_321:
	s_or_b32 exec_lo, exec_lo, s18
	s_orn2_b32 s18, s22, exec_lo
.LBB872_322:
	s_or_b32 exec_lo, exec_lo, s20
	v_cndmask_b32_e64 v182, v179, v181, s18
	v_cndmask_b32_e64 v183, v244, v243, s18
	s_mov_b32 s20, exec_lo
	v_add_nc_u32_e32 v182, 1, v182
	v_add_nc_u32_e32 v183, -1, v183
	v_cndmask_b32_e64 v179, v182, v179, s18
	v_min_u32_e32 v183, v182, v183
	v_cndmask_b32_e64 v181, v181, v182, s18
	v_lshl_add_u32 v183, v183, 1, v112
	ds_read_u16 v183, v183
	s_waitcnt lgkmcnt(0)
	v_cndmask_b32_e64 v225, v183, v229, s18
	v_cndmask_b32_e64 v46, v45, v183, s18
	v_cmpx_lt_u32_e64 v179, v244
	s_cbranch_execz .LBB872_326
; %bb.323:
	s_mov_b32 s22, 0
	s_mov_b32 s19, exec_lo
	v_cmpx_lt_u32_e64 v181, v243
	s_cbranch_execz .LBB872_325
; %bb.324:
	v_mov_b32_e32 v182, 1
	v_lshlrev_b32_sdwa v183, v182, v225 dst_sel:DWORD dst_unused:UNUSED_PAD src0_sel:DWORD src1_sel:WORD_0
	v_lshlrev_b32_sdwa v192, v182, v46 dst_sel:DWORD dst_unused:UNUSED_PAD src0_sel:DWORD src1_sel:WORD_0
	v_add_co_u32 v182, vcc_lo, v6, v183
	v_add_co_ci_u32_e64 v183, null, 0, v7, vcc_lo
	v_add_co_u32 v195, vcc_lo, v6, v192
	v_add_co_ci_u32_e64 v196, null, 0, v7, vcc_lo
	s_clause 0x1
	flat_load_ushort v182, v[182:183]
	flat_load_ushort v183, v[195:196]
	s_waitcnt vmcnt(0) lgkmcnt(0)
	v_cmp_ge_u16_e32 vcc_lo, v182, v183
	s_and_b32 s22, vcc_lo, exec_lo
.LBB872_325:
	s_or_b32 exec_lo, exec_lo, s19
	s_orn2_b32 s19, s22, exec_lo
.LBB872_326:
	s_or_b32 exec_lo, exec_lo, s20
	v_cndmask_b32_e64 v182, v179, v181, s19
	v_cndmask_b32_e64 v183, v244, v243, s19
	s_mov_b32 s22, -1
	s_mov_b32 s20, -1
	s_mov_b32 s23, exec_lo
	v_add_nc_u32_e32 v182, 1, v182
	v_add_nc_u32_e32 v183, -1, v183
	v_cndmask_b32_e64 v179, v182, v179, s19
	v_min_u32_e32 v183, v182, v183
	v_cndmask_b32_e64 v181, v181, v182, s19
	v_lshl_add_u32 v183, v183, 1, v112
	ds_read_u16 v183, v183
	s_waitcnt lgkmcnt(0)
	v_cndmask_b32_e64 v227, v183, v225, s19
	v_cndmask_b32_e64 v47, v46, v183, s19
	v_cmpx_lt_u32_e64 v179, v244
	s_cbranch_execz .LBB872_330
; %bb.327:
	s_mov_b32 s24, 0
	s_mov_b32 s20, exec_lo
	v_cmpx_lt_u32_e64 v181, v243
	s_cbranch_execz .LBB872_329
; %bb.328:
	v_mov_b32_e32 v182, 1
	v_lshlrev_b32_sdwa v183, v182, v227 dst_sel:DWORD dst_unused:UNUSED_PAD src0_sel:DWORD src1_sel:WORD_0
	v_lshlrev_b32_sdwa v192, v182, v47 dst_sel:DWORD dst_unused:UNUSED_PAD src0_sel:DWORD src1_sel:WORD_0
	v_add_co_u32 v182, vcc_lo, v6, v183
	v_add_co_ci_u32_e64 v183, null, 0, v7, vcc_lo
	v_add_co_u32 v195, vcc_lo, v6, v192
	v_add_co_ci_u32_e64 v196, null, 0, v7, vcc_lo
	s_clause 0x1
	flat_load_ushort v182, v[182:183]
	flat_load_ushort v183, v[195:196]
	s_waitcnt vmcnt(0) lgkmcnt(0)
	v_cmp_ge_u16_e32 vcc_lo, v182, v183
	s_and_b32 s24, vcc_lo, exec_lo
.LBB872_329:
	s_or_b32 exec_lo, exec_lo, s20
	s_orn2_b32 s20, s24, exec_lo
.LBB872_330:
	s_or_b32 exec_lo, exec_lo, s23
	v_cndmask_b32_e64 v182, v179, v181, s20
	v_cndmask_b32_e64 v183, v244, v243, s20
	s_mov_b32 s23, exec_lo
	v_add_nc_u32_e32 v182, 1, v182
	v_add_nc_u32_e32 v183, -1, v183
	v_cndmask_b32_e64 v179, v182, v179, s20
	v_min_u32_e32 v183, v182, v183
	v_cndmask_b32_e64 v181, v181, v182, s20
	v_lshl_add_u32 v183, v183, 1, v112
	ds_read_u16 v183, v183
	s_waitcnt lgkmcnt(0)
	v_cndmask_b32_e64 v215, v183, v227, s20
	v_cndmask_b32_e64 v56, v47, v183, s20
	v_cmpx_lt_u32_e64 v179, v244
	s_cbranch_execz .LBB872_334
; %bb.331:
	s_mov_b32 s24, 0
	s_mov_b32 s22, exec_lo
	v_cmpx_lt_u32_e64 v181, v243
	s_cbranch_execz .LBB872_333
; %bb.332:
	v_mov_b32_e32 v182, 1
	v_lshlrev_b32_sdwa v183, v182, v215 dst_sel:DWORD dst_unused:UNUSED_PAD src0_sel:DWORD src1_sel:WORD_0
	v_lshlrev_b32_sdwa v192, v182, v56 dst_sel:DWORD dst_unused:UNUSED_PAD src0_sel:DWORD src1_sel:WORD_0
	v_add_co_u32 v182, vcc_lo, v6, v183
	v_add_co_ci_u32_e64 v183, null, 0, v7, vcc_lo
	v_add_co_u32 v195, vcc_lo, v6, v192
	v_add_co_ci_u32_e64 v196, null, 0, v7, vcc_lo
	s_clause 0x1
	flat_load_ushort v182, v[182:183]
	flat_load_ushort v183, v[195:196]
	s_waitcnt vmcnt(0) lgkmcnt(0)
	v_cmp_ge_u16_e32 vcc_lo, v182, v183
	s_and_b32 s24, vcc_lo, exec_lo
.LBB872_333:
	s_or_b32 exec_lo, exec_lo, s22
	s_orn2_b32 s22, s24, exec_lo
.LBB872_334:
	s_or_b32 exec_lo, exec_lo, s23
	v_cndmask_b32_e64 v182, v179, v181, s22
	v_cndmask_b32_e64 v183, v244, v243, s22
	s_mov_b32 s24, -1
	s_mov_b32 s23, -1
	s_mov_b32 s25, exec_lo
	v_add_nc_u32_e32 v182, 1, v182
	v_add_nc_u32_e32 v183, -1, v183
	v_cndmask_b32_e64 v179, v182, v179, s22
	v_min_u32_e32 v183, v182, v183
	v_cndmask_b32_e64 v181, v181, v182, s22
	v_lshl_add_u32 v183, v183, 1, v112
	ds_read_u16 v183, v183
	s_waitcnt lgkmcnt(0)
	v_cndmask_b32_e64 v224, v183, v215, s22
	v_cndmask_b32_e64 v57, v56, v183, s22
	v_cmpx_lt_u32_e64 v179, v244
	s_cbranch_execz .LBB872_338
; %bb.335:
	s_mov_b32 s26, 0
	s_mov_b32 s23, exec_lo
	v_cmpx_lt_u32_e64 v181, v243
	s_cbranch_execz .LBB872_337
; %bb.336:
	v_mov_b32_e32 v182, 1
	v_lshlrev_b32_sdwa v183, v182, v224 dst_sel:DWORD dst_unused:UNUSED_PAD src0_sel:DWORD src1_sel:WORD_0
	v_lshlrev_b32_sdwa v192, v182, v57 dst_sel:DWORD dst_unused:UNUSED_PAD src0_sel:DWORD src1_sel:WORD_0
	v_add_co_u32 v182, vcc_lo, v6, v183
	v_add_co_ci_u32_e64 v183, null, 0, v7, vcc_lo
	v_add_co_u32 v195, vcc_lo, v6, v192
	v_add_co_ci_u32_e64 v196, null, 0, v7, vcc_lo
	s_clause 0x1
	flat_load_ushort v182, v[182:183]
	flat_load_ushort v183, v[195:196]
	s_waitcnt vmcnt(0) lgkmcnt(0)
	v_cmp_ge_u16_e32 vcc_lo, v182, v183
	s_and_b32 s26, vcc_lo, exec_lo
.LBB872_337:
	s_or_b32 exec_lo, exec_lo, s23
	s_orn2_b32 s23, s26, exec_lo
.LBB872_338:
	s_or_b32 exec_lo, exec_lo, s25
	v_cndmask_b32_e64 v182, v179, v181, s23
	v_cndmask_b32_e64 v183, v244, v243, s23
	s_mov_b32 s25, exec_lo
	v_add_nc_u32_e32 v182, 1, v182
	v_add_nc_u32_e32 v183, -1, v183
	v_cndmask_b32_e64 v179, v182, v179, s23
	v_min_u32_e32 v183, v182, v183
	v_cndmask_b32_e64 v181, v181, v182, s23
	v_lshl_add_u32 v183, v183, 1, v112
	ds_read_u16 v183, v183
	s_waitcnt lgkmcnt(0)
	v_cndmask_b32_e64 v213, v183, v224, s23
	v_cndmask_b32_e64 v58, v57, v183, s23
	v_cmpx_lt_u32_e64 v179, v244
	s_cbranch_execz .LBB872_342
; %bb.339:
	s_mov_b32 s26, 0
	s_mov_b32 s24, exec_lo
	v_cmpx_lt_u32_e64 v181, v243
	s_cbranch_execz .LBB872_341
; %bb.340:
	v_mov_b32_e32 v182, 1
	v_lshlrev_b32_sdwa v183, v182, v213 dst_sel:DWORD dst_unused:UNUSED_PAD src0_sel:DWORD src1_sel:WORD_0
	v_lshlrev_b32_sdwa v192, v182, v58 dst_sel:DWORD dst_unused:UNUSED_PAD src0_sel:DWORD src1_sel:WORD_0
	v_add_co_u32 v182, vcc_lo, v6, v183
	v_add_co_ci_u32_e64 v183, null, 0, v7, vcc_lo
	v_add_co_u32 v195, vcc_lo, v6, v192
	v_add_co_ci_u32_e64 v196, null, 0, v7, vcc_lo
	s_clause 0x1
	flat_load_ushort v182, v[182:183]
	flat_load_ushort v183, v[195:196]
	s_waitcnt vmcnt(0) lgkmcnt(0)
	v_cmp_ge_u16_e32 vcc_lo, v182, v183
	s_and_b32 s26, vcc_lo, exec_lo
.LBB872_341:
	s_or_b32 exec_lo, exec_lo, s24
	s_orn2_b32 s24, s26, exec_lo
.LBB872_342:
	s_or_b32 exec_lo, exec_lo, s25
	v_cndmask_b32_e64 v182, v179, v181, s24
	v_cndmask_b32_e64 v183, v244, v243, s24
	s_mov_b32 s26, -1
	s_mov_b32 s25, -1
	s_mov_b32 s27, exec_lo
	v_add_nc_u32_e32 v182, 1, v182
	v_add_nc_u32_e32 v183, -1, v183
	v_cndmask_b32_e64 v179, v182, v179, s24
	v_min_u32_e32 v183, v182, v183
	v_cndmask_b32_e64 v181, v181, v182, s24
	v_lshl_add_u32 v183, v183, 1, v112
	ds_read_u16 v183, v183
	s_waitcnt lgkmcnt(0)
	v_cndmask_b32_e64 v214, v183, v213, s24
	v_cndmask_b32_e64 v59, v58, v183, s24
	v_cmpx_lt_u32_e64 v179, v244
	s_cbranch_execz .LBB872_346
; %bb.343:
	s_mov_b32 s28, 0
	s_mov_b32 s25, exec_lo
	v_cmpx_lt_u32_e64 v181, v243
	s_cbranch_execz .LBB872_345
; %bb.344:
	v_mov_b32_e32 v182, 1
	v_lshlrev_b32_sdwa v183, v182, v214 dst_sel:DWORD dst_unused:UNUSED_PAD src0_sel:DWORD src1_sel:WORD_0
	v_lshlrev_b32_sdwa v192, v182, v59 dst_sel:DWORD dst_unused:UNUSED_PAD src0_sel:DWORD src1_sel:WORD_0
	v_add_co_u32 v182, vcc_lo, v6, v183
	v_add_co_ci_u32_e64 v183, null, 0, v7, vcc_lo
	v_add_co_u32 v195, vcc_lo, v6, v192
	v_add_co_ci_u32_e64 v196, null, 0, v7, vcc_lo
	s_clause 0x1
	flat_load_ushort v182, v[182:183]
	flat_load_ushort v183, v[195:196]
	s_waitcnt vmcnt(0) lgkmcnt(0)
	v_cmp_ge_u16_e32 vcc_lo, v182, v183
	s_and_b32 s28, vcc_lo, exec_lo
.LBB872_345:
	s_or_b32 exec_lo, exec_lo, s25
	s_orn2_b32 s25, s28, exec_lo
.LBB872_346:
	s_or_b32 exec_lo, exec_lo, s27
	v_cndmask_b32_e64 v182, v179, v181, s25
	v_cndmask_b32_e64 v183, v244, v243, s25
	s_mov_b32 s27, exec_lo
	v_add_nc_u32_e32 v182, 1, v182
	v_add_nc_u32_e32 v183, -1, v183
	v_cndmask_b32_e64 v179, v182, v179, s25
	v_min_u32_e32 v183, v182, v183
	v_cndmask_b32_e64 v181, v181, v182, s25
	v_lshl_add_u32 v183, v183, 1, v112
	ds_read_u16 v183, v183
	s_waitcnt lgkmcnt(0)
	v_cndmask_b32_e64 v210, v183, v214, s25
	v_cndmask_b32_e64 v60, v59, v183, s25
	v_cmpx_lt_u32_e64 v179, v244
	s_cbranch_execz .LBB872_350
; %bb.347:
	s_mov_b32 s28, 0
	s_mov_b32 s26, exec_lo
	v_cmpx_lt_u32_e64 v181, v243
	s_cbranch_execz .LBB872_349
; %bb.348:
	v_mov_b32_e32 v182, 1
	v_lshlrev_b32_sdwa v183, v182, v210 dst_sel:DWORD dst_unused:UNUSED_PAD src0_sel:DWORD src1_sel:WORD_0
	v_lshlrev_b32_sdwa v192, v182, v60 dst_sel:DWORD dst_unused:UNUSED_PAD src0_sel:DWORD src1_sel:WORD_0
	v_add_co_u32 v182, vcc_lo, v6, v183
	v_add_co_ci_u32_e64 v183, null, 0, v7, vcc_lo
	v_add_co_u32 v195, vcc_lo, v6, v192
	v_add_co_ci_u32_e64 v196, null, 0, v7, vcc_lo
	s_clause 0x1
	flat_load_ushort v182, v[182:183]
	flat_load_ushort v183, v[195:196]
	s_waitcnt vmcnt(0) lgkmcnt(0)
	v_cmp_ge_u16_e32 vcc_lo, v182, v183
	s_and_b32 s28, vcc_lo, exec_lo
.LBB872_349:
	s_or_b32 exec_lo, exec_lo, s26
	s_orn2_b32 s26, s28, exec_lo
.LBB872_350:
	s_or_b32 exec_lo, exec_lo, s27
	v_cndmask_b32_e64 v182, v179, v181, s26
	v_cndmask_b32_e64 v183, v244, v243, s26
	s_mov_b32 s28, -1
	s_mov_b32 s27, -1
	s_mov_b32 s29, exec_lo
	v_add_nc_u32_e32 v182, 1, v182
	v_add_nc_u32_e32 v183, -1, v183
	v_cndmask_b32_e64 v179, v182, v179, s26
	v_min_u32_e32 v183, v182, v183
	v_cndmask_b32_e64 v181, v181, v182, s26
	v_lshl_add_u32 v183, v183, 1, v112
	ds_read_u16 v183, v183
	s_waitcnt lgkmcnt(0)
	v_cndmask_b32_e64 v211, v183, v210, s26
	v_cndmask_b32_e64 v61, v60, v183, s26
	v_cmpx_lt_u32_e64 v179, v244
	s_cbranch_execz .LBB872_354
; %bb.351:
	s_mov_b32 s40, 0
	s_mov_b32 s27, exec_lo
	v_cmpx_lt_u32_e64 v181, v243
	s_cbranch_execz .LBB872_353
; %bb.352:
	v_mov_b32_e32 v182, 1
	v_lshlrev_b32_sdwa v183, v182, v211 dst_sel:DWORD dst_unused:UNUSED_PAD src0_sel:DWORD src1_sel:WORD_0
	v_lshlrev_b32_sdwa v192, v182, v61 dst_sel:DWORD dst_unused:UNUSED_PAD src0_sel:DWORD src1_sel:WORD_0
	v_add_co_u32 v182, vcc_lo, v6, v183
	v_add_co_ci_u32_e64 v183, null, 0, v7, vcc_lo
	v_add_co_u32 v195, vcc_lo, v6, v192
	v_add_co_ci_u32_e64 v196, null, 0, v7, vcc_lo
	s_clause 0x1
	flat_load_ushort v182, v[182:183]
	flat_load_ushort v183, v[195:196]
	s_waitcnt vmcnt(0) lgkmcnt(0)
	v_cmp_ge_u16_e32 vcc_lo, v182, v183
	s_and_b32 s40, vcc_lo, exec_lo
.LBB872_353:
	s_or_b32 exec_lo, exec_lo, s27
	s_orn2_b32 s27, s40, exec_lo
.LBB872_354:
	s_or_b32 exec_lo, exec_lo, s29
	v_cndmask_b32_e64 v182, v179, v181, s27
	v_cndmask_b32_e64 v183, v244, v243, s27
	s_mov_b32 s29, exec_lo
	v_add_nc_u32_e32 v182, 1, v182
	v_add_nc_u32_e32 v183, -1, v183
	v_cndmask_b32_e64 v179, v182, v179, s27
	v_min_u32_e32 v183, v182, v183
	v_cndmask_b32_e64 v181, v181, v182, s27
	v_lshl_add_u32 v183, v183, 1, v112
	ds_read_u16 v183, v183
	s_waitcnt lgkmcnt(0)
	v_cndmask_b32_e64 v199, v183, v211, s27
	v_cndmask_b32_e64 v62, v61, v183, s27
	v_cmpx_lt_u32_e64 v179, v244
	s_cbranch_execz .LBB872_358
; %bb.355:
	s_mov_b32 s40, 0
	s_mov_b32 s28, exec_lo
	v_cmpx_lt_u32_e64 v181, v243
	s_cbranch_execz .LBB872_357
; %bb.356:
	v_mov_b32_e32 v182, 1
	v_lshlrev_b32_sdwa v183, v182, v199 dst_sel:DWORD dst_unused:UNUSED_PAD src0_sel:DWORD src1_sel:WORD_0
	v_lshlrev_b32_sdwa v192, v182, v62 dst_sel:DWORD dst_unused:UNUSED_PAD src0_sel:DWORD src1_sel:WORD_0
	v_add_co_u32 v182, vcc_lo, v6, v183
	v_add_co_ci_u32_e64 v183, null, 0, v7, vcc_lo
	v_add_co_u32 v195, vcc_lo, v6, v192
	v_add_co_ci_u32_e64 v196, null, 0, v7, vcc_lo
	s_clause 0x1
	flat_load_ushort v182, v[182:183]
	flat_load_ushort v183, v[195:196]
	s_waitcnt vmcnt(0) lgkmcnt(0)
	v_cmp_ge_u16_e32 vcc_lo, v182, v183
	s_and_b32 s40, vcc_lo, exec_lo
.LBB872_357:
	s_or_b32 exec_lo, exec_lo, s28
	s_orn2_b32 s28, s40, exec_lo
.LBB872_358:
	s_or_b32 exec_lo, exec_lo, s29
	v_cndmask_b32_e64 v182, v179, v181, s28
	v_cndmask_b32_e64 v183, v244, v243, s28
	s_mov_b32 s40, -1
	s_mov_b32 s29, -1
	s_mov_b32 s41, exec_lo
	v_add_nc_u32_e32 v182, 1, v182
	v_add_nc_u32_e32 v183, -1, v183
	v_cndmask_b32_e64 v179, v182, v179, s28
	v_min_u32_e32 v183, v182, v183
	v_cndmask_b32_e64 v181, v181, v182, s28
	v_lshl_add_u32 v183, v183, 1, v112
	ds_read_u16 v183, v183
	s_waitcnt lgkmcnt(0)
	v_cndmask_b32_e64 v212, v183, v199, s28
	v_cndmask_b32_e64 v63, v62, v183, s28
	v_cmpx_lt_u32_e64 v179, v244
	s_cbranch_execz .LBB872_362
; %bb.359:
	s_mov_b32 s42, 0
	s_mov_b32 s29, exec_lo
	v_cmpx_lt_u32_e64 v181, v243
	s_cbranch_execz .LBB872_361
; %bb.360:
	v_mov_b32_e32 v182, 1
	v_lshlrev_b32_sdwa v183, v182, v212 dst_sel:DWORD dst_unused:UNUSED_PAD src0_sel:DWORD src1_sel:WORD_0
	v_lshlrev_b32_sdwa v192, v182, v63 dst_sel:DWORD dst_unused:UNUSED_PAD src0_sel:DWORD src1_sel:WORD_0
	v_add_co_u32 v182, vcc_lo, v6, v183
	v_add_co_ci_u32_e64 v183, null, 0, v7, vcc_lo
	v_add_co_u32 v195, vcc_lo, v6, v192
	v_add_co_ci_u32_e64 v196, null, 0, v7, vcc_lo
	s_clause 0x1
	flat_load_ushort v182, v[182:183]
	flat_load_ushort v183, v[195:196]
	s_waitcnt vmcnt(0) lgkmcnt(0)
	v_cmp_ge_u16_e32 vcc_lo, v182, v183
	s_and_b32 s42, vcc_lo, exec_lo
.LBB872_361:
	s_or_b32 exec_lo, exec_lo, s29
	s_orn2_b32 s29, s42, exec_lo
.LBB872_362:
	s_or_b32 exec_lo, exec_lo, s41
	v_cndmask_b32_e64 v182, v179, v181, s29
	v_cndmask_b32_e64 v183, v244, v243, s29
	s_mov_b32 s41, exec_lo
	v_add_nc_u32_e32 v182, 1, v182
	v_add_nc_u32_e32 v183, -1, v183
	v_cndmask_b32_e64 v179, v182, v179, s29
	v_min_u32_e32 v183, v182, v183
	v_cndmask_b32_e64 v181, v181, v182, s29
	v_lshl_add_u32 v183, v183, 1, v112
	ds_read_u16 v183, v183
	s_waitcnt lgkmcnt(0)
	v_cndmask_b32_e64 v208, v183, v212, s29
	v_cndmask_b32_e64 v72, v63, v183, s29
	v_cmpx_lt_u32_e64 v179, v244
	s_cbranch_execz .LBB872_366
; %bb.363:
	s_mov_b32 s42, 0
	s_mov_b32 s40, exec_lo
	v_cmpx_lt_u32_e64 v181, v243
	s_cbranch_execz .LBB872_365
; %bb.364:
	v_mov_b32_e32 v182, 1
	v_lshlrev_b32_sdwa v183, v182, v208 dst_sel:DWORD dst_unused:UNUSED_PAD src0_sel:DWORD src1_sel:WORD_0
	v_lshlrev_b32_sdwa v192, v182, v72 dst_sel:DWORD dst_unused:UNUSED_PAD src0_sel:DWORD src1_sel:WORD_0
	v_add_co_u32 v182, vcc_lo, v6, v183
	v_add_co_ci_u32_e64 v183, null, 0, v7, vcc_lo
	v_add_co_u32 v195, vcc_lo, v6, v192
	v_add_co_ci_u32_e64 v196, null, 0, v7, vcc_lo
	s_clause 0x1
	flat_load_ushort v182, v[182:183]
	flat_load_ushort v183, v[195:196]
	s_waitcnt vmcnt(0) lgkmcnt(0)
	v_cmp_ge_u16_e32 vcc_lo, v182, v183
	s_and_b32 s42, vcc_lo, exec_lo
.LBB872_365:
	s_or_b32 exec_lo, exec_lo, s40
	s_orn2_b32 s40, s42, exec_lo
.LBB872_366:
	s_or_b32 exec_lo, exec_lo, s41
	v_cndmask_b32_e64 v182, v179, v181, s40
	v_cndmask_b32_e64 v183, v244, v243, s40
	s_mov_b32 s42, -1
	s_mov_b32 s41, -1
	s_mov_b32 s43, exec_lo
	v_add_nc_u32_e32 v182, 1, v182
	v_add_nc_u32_e32 v183, -1, v183
	v_cndmask_b32_e64 v179, v182, v179, s40
	v_min_u32_e32 v183, v182, v183
	v_cndmask_b32_e64 v181, v181, v182, s40
	v_lshl_add_u32 v183, v183, 1, v112
	ds_read_u16 v183, v183
	s_waitcnt lgkmcnt(0)
	v_cndmask_b32_e64 v209, v183, v208, s40
	v_cndmask_b32_e64 v73, v72, v183, s40
	v_cmpx_lt_u32_e64 v179, v244
	s_cbranch_execz .LBB872_370
; %bb.367:
	s_mov_b32 s44, 0
	s_mov_b32 s41, exec_lo
	v_cmpx_lt_u32_e64 v181, v243
	s_cbranch_execz .LBB872_369
; %bb.368:
	v_mov_b32_e32 v182, 1
	v_lshlrev_b32_sdwa v183, v182, v209 dst_sel:DWORD dst_unused:UNUSED_PAD src0_sel:DWORD src1_sel:WORD_0
	v_lshlrev_b32_sdwa v192, v182, v73 dst_sel:DWORD dst_unused:UNUSED_PAD src0_sel:DWORD src1_sel:WORD_0
	v_add_co_u32 v182, vcc_lo, v6, v183
	v_add_co_ci_u32_e64 v183, null, 0, v7, vcc_lo
	v_add_co_u32 v195, vcc_lo, v6, v192
	v_add_co_ci_u32_e64 v196, null, 0, v7, vcc_lo
	s_clause 0x1
	flat_load_ushort v182, v[182:183]
	flat_load_ushort v183, v[195:196]
	s_waitcnt vmcnt(0) lgkmcnt(0)
	v_cmp_ge_u16_e32 vcc_lo, v182, v183
	s_and_b32 s44, vcc_lo, exec_lo
.LBB872_369:
	s_or_b32 exec_lo, exec_lo, s41
	s_orn2_b32 s41, s44, exec_lo
.LBB872_370:
	s_or_b32 exec_lo, exec_lo, s43
	v_cndmask_b32_e64 v182, v179, v181, s41
	v_cndmask_b32_e64 v183, v244, v243, s41
	s_mov_b32 s43, exec_lo
	v_add_nc_u32_e32 v182, 1, v182
	v_add_nc_u32_e32 v183, -1, v183
	v_cndmask_b32_e64 v179, v182, v179, s41
	v_min_u32_e32 v183, v182, v183
	v_cndmask_b32_e64 v181, v181, v182, s41
	v_lshl_add_u32 v183, v183, 1, v112
	ds_read_u16 v183, v183
	s_waitcnt lgkmcnt(0)
	v_cndmask_b32_e64 v197, v183, v209, s41
	v_cndmask_b32_e64 v74, v73, v183, s41
	v_cmpx_lt_u32_e64 v179, v244
	s_cbranch_execz .LBB872_374
; %bb.371:
	s_mov_b32 s44, 0
	s_mov_b32 s42, exec_lo
	v_cmpx_lt_u32_e64 v181, v243
	s_cbranch_execz .LBB872_373
; %bb.372:
	v_mov_b32_e32 v182, 1
	v_lshlrev_b32_sdwa v183, v182, v197 dst_sel:DWORD dst_unused:UNUSED_PAD src0_sel:DWORD src1_sel:WORD_0
	v_lshlrev_b32_sdwa v192, v182, v74 dst_sel:DWORD dst_unused:UNUSED_PAD src0_sel:DWORD src1_sel:WORD_0
	v_add_co_u32 v182, vcc_lo, v6, v183
	v_add_co_ci_u32_e64 v183, null, 0, v7, vcc_lo
	v_add_co_u32 v195, vcc_lo, v6, v192
	v_add_co_ci_u32_e64 v196, null, 0, v7, vcc_lo
	s_clause 0x1
	flat_load_ushort v182, v[182:183]
	flat_load_ushort v183, v[195:196]
	s_waitcnt vmcnt(0) lgkmcnt(0)
	v_cmp_ge_u16_e32 vcc_lo, v182, v183
	s_and_b32 s44, vcc_lo, exec_lo
.LBB872_373:
	s_or_b32 exec_lo, exec_lo, s42
	s_orn2_b32 s42, s44, exec_lo
.LBB872_374:
	s_or_b32 exec_lo, exec_lo, s43
	v_cndmask_b32_e64 v182, v179, v181, s42
	v_cndmask_b32_e64 v183, v244, v243, s42
	s_mov_b32 s44, -1
	s_mov_b32 s43, -1
	s_mov_b32 s45, exec_lo
	v_add_nc_u32_e32 v182, 1, v182
	v_add_nc_u32_e32 v183, -1, v183
	v_cndmask_b32_e64 v179, v182, v179, s42
	v_min_u32_e32 v183, v182, v183
	v_cndmask_b32_e64 v181, v181, v182, s42
	v_lshl_add_u32 v183, v183, 1, v112
	ds_read_u16 v183, v183
	s_waitcnt lgkmcnt(0)
	v_cndmask_b32_e64 v198, v183, v197, s42
	v_cndmask_b32_e64 v75, v74, v183, s42
	v_cmpx_lt_u32_e64 v179, v244
	s_cbranch_execz .LBB872_378
; %bb.375:
	s_mov_b32 s46, 0
	s_mov_b32 s43, exec_lo
	v_cmpx_lt_u32_e64 v181, v243
	s_cbranch_execz .LBB872_377
; %bb.376:
	v_mov_b32_e32 v182, 1
	v_lshlrev_b32_sdwa v183, v182, v198 dst_sel:DWORD dst_unused:UNUSED_PAD src0_sel:DWORD src1_sel:WORD_0
	v_lshlrev_b32_sdwa v192, v182, v75 dst_sel:DWORD dst_unused:UNUSED_PAD src0_sel:DWORD src1_sel:WORD_0
	v_add_co_u32 v182, vcc_lo, v6, v183
	v_add_co_ci_u32_e64 v183, null, 0, v7, vcc_lo
	v_add_co_u32 v195, vcc_lo, v6, v192
	v_add_co_ci_u32_e64 v196, null, 0, v7, vcc_lo
	s_clause 0x1
	flat_load_ushort v182, v[182:183]
	flat_load_ushort v183, v[195:196]
	s_waitcnt vmcnt(0) lgkmcnt(0)
	v_cmp_ge_u16_e32 vcc_lo, v182, v183
	s_and_b32 s46, vcc_lo, exec_lo
.LBB872_377:
	s_or_b32 exec_lo, exec_lo, s43
	s_orn2_b32 s43, s46, exec_lo
.LBB872_378:
	s_or_b32 exec_lo, exec_lo, s45
	v_cndmask_b32_e64 v182, v179, v181, s43
	v_cndmask_b32_e64 v183, v244, v243, s43
	s_mov_b32 s45, exec_lo
	v_add_nc_u32_e32 v182, 1, v182
	v_add_nc_u32_e32 v183, -1, v183
	v_cndmask_b32_e64 v179, v182, v179, s43
	v_min_u32_e32 v183, v182, v183
	v_cndmask_b32_e64 v181, v181, v182, s43
	v_lshl_add_u32 v183, v183, 1, v112
	ds_read_u16 v183, v183
	s_waitcnt lgkmcnt(0)
	v_cndmask_b32_e64 v196, v183, v198, s43
	v_cndmask_b32_e64 v76, v75, v183, s43
	v_cmpx_lt_u32_e64 v179, v244
	s_cbranch_execz .LBB872_382
; %bb.379:
	s_mov_b32 s46, 0
	s_mov_b32 s44, exec_lo
	v_cmpx_lt_u32_e64 v181, v243
	s_cbranch_execz .LBB872_381
; %bb.380:
	v_mov_b32_e32 v182, 1
	v_lshlrev_b32_sdwa v183, v182, v196 dst_sel:DWORD dst_unused:UNUSED_PAD src0_sel:DWORD src1_sel:WORD_0
	v_lshlrev_b32_sdwa v192, v182, v76 dst_sel:DWORD dst_unused:UNUSED_PAD src0_sel:DWORD src1_sel:WORD_0
	v_add_co_u32 v182, vcc_lo, v6, v183
	v_add_co_ci_u32_e64 v183, null, 0, v7, vcc_lo
	v_add_co_u32 v77, vcc_lo, v6, v192
	v_add_co_ci_u32_e64 v78, null, 0, v7, vcc_lo
	s_clause 0x1
	flat_load_ushort v182, v[182:183]
	flat_load_ushort v183, v[77:78]
	s_waitcnt vmcnt(0) lgkmcnt(0)
	v_cmp_ge_u16_e32 vcc_lo, v182, v183
	s_and_b32 s46, vcc_lo, exec_lo
.LBB872_381:
	s_or_b32 exec_lo, exec_lo, s44
	s_orn2_b32 s44, s46, exec_lo
.LBB872_382:
	s_or_b32 exec_lo, exec_lo, s45
	v_cndmask_b32_e64 v182, v179, v181, s44
	v_cndmask_b32_e64 v183, v244, v243, s44
	s_mov_b32 s46, -1
	s_mov_b32 s45, -1
	s_mov_b32 s47, exec_lo
	v_add_nc_u32_e32 v182, 1, v182
	v_add_nc_u32_e32 v183, -1, v183
	v_cndmask_b32_e64 v179, v182, v179, s44
	v_min_u32_e32 v183, v182, v183
	v_cndmask_b32_e64 v181, v181, v182, s44
	v_lshl_add_u32 v183, v183, 1, v112
	ds_read_u16 v183, v183
	s_waitcnt lgkmcnt(0)
	v_cndmask_b32_e64 v195, v183, v196, s44
	v_cndmask_b32_e64 v77, v76, v183, s44
	v_cmpx_lt_u32_e64 v179, v244
	s_cbranch_execz .LBB872_386
; %bb.383:
	s_mov_b32 s56, 0
	s_mov_b32 s45, exec_lo
	v_cmpx_lt_u32_e64 v181, v243
	s_cbranch_execz .LBB872_385
; %bb.384:
	v_mov_b32_e32 v182, 1
	v_lshlrev_b32_sdwa v183, v182, v195 dst_sel:DWORD dst_unused:UNUSED_PAD src0_sel:DWORD src1_sel:WORD_0
	v_lshlrev_b32_sdwa v192, v182, v77 dst_sel:DWORD dst_unused:UNUSED_PAD src0_sel:DWORD src1_sel:WORD_0
	v_add_co_u32 v182, vcc_lo, v6, v183
	v_add_co_ci_u32_e64 v183, null, 0, v7, vcc_lo
	v_add_co_u32 v78, vcc_lo, v6, v192
	v_add_co_ci_u32_e64 v79, null, 0, v7, vcc_lo
	s_clause 0x1
	flat_load_ushort v182, v[182:183]
	flat_load_ushort v183, v[78:79]
	s_waitcnt vmcnt(0) lgkmcnt(0)
	v_cmp_ge_u16_e32 vcc_lo, v182, v183
	s_and_b32 s56, vcc_lo, exec_lo
.LBB872_385:
	s_or_b32 exec_lo, exec_lo, s45
	s_orn2_b32 s45, s56, exec_lo
.LBB872_386:
	s_or_b32 exec_lo, exec_lo, s47
	v_cndmask_b32_e64 v182, v179, v181, s45
	v_cndmask_b32_e64 v183, v244, v243, s45
	s_mov_b32 s47, exec_lo
	v_add_nc_u32_e32 v182, 1, v182
	v_add_nc_u32_e32 v183, -1, v183
	v_cndmask_b32_e64 v179, v182, v179, s45
	v_min_u32_e32 v183, v182, v183
	v_cndmask_b32_e64 v181, v181, v182, s45
	v_lshl_add_u32 v183, v183, 1, v112
	ds_read_u16 v183, v183
	s_waitcnt lgkmcnt(0)
	v_cndmask_b32_e64 v192, v183, v195, s45
	v_cndmask_b32_e64 v78, v77, v183, s45
	v_cmpx_lt_u32_e64 v179, v244
	s_cbranch_execz .LBB872_390
; %bb.387:
	s_mov_b32 s56, 0
	s_mov_b32 s46, exec_lo
	v_cmpx_lt_u32_e64 v181, v243
	s_cbranch_execz .LBB872_389
; %bb.388:
	v_mov_b32_e32 v182, 1
	v_lshlrev_b32_sdwa v183, v182, v192 dst_sel:DWORD dst_unused:UNUSED_PAD src0_sel:DWORD src1_sel:WORD_0
	v_lshlrev_b32_sdwa v79, v182, v78 dst_sel:DWORD dst_unused:UNUSED_PAD src0_sel:DWORD src1_sel:WORD_0
	v_add_co_u32 v182, vcc_lo, v6, v183
	v_add_co_ci_u32_e64 v183, null, 0, v7, vcc_lo
	v_add_co_u32 v88, vcc_lo, v6, v79
	v_add_co_ci_u32_e64 v89, null, 0, v7, vcc_lo
	s_clause 0x1
	flat_load_ushort v182, v[182:183]
	flat_load_ushort v183, v[88:89]
	s_waitcnt vmcnt(0) lgkmcnt(0)
	v_cmp_ge_u16_e32 vcc_lo, v182, v183
	s_and_b32 s56, vcc_lo, exec_lo
.LBB872_389:
	s_or_b32 exec_lo, exec_lo, s46
	s_orn2_b32 s46, s56, exec_lo
.LBB872_390:
	s_or_b32 exec_lo, exec_lo, s47
	v_cndmask_b32_e64 v182, v179, v181, s46
	v_cndmask_b32_e64 v183, v244, v243, s46
	s_mov_b32 s56, -1
	s_mov_b32 s47, -1
	s_mov_b32 s57, exec_lo
	v_add_nc_u32_e32 v182, 1, v182
	v_add_nc_u32_e32 v183, -1, v183
	v_cndmask_b32_e64 v179, v182, v179, s46
	v_min_u32_e32 v183, v182, v183
	v_cndmask_b32_e64 v181, v181, v182, s46
	v_lshl_add_u32 v183, v183, 1, v112
	ds_read_u16 v183, v183
	s_waitcnt lgkmcnt(0)
	v_cndmask_b32_e64 v182, v183, v192, s46
	v_cndmask_b32_e64 v79, v78, v183, s46
	v_cmpx_lt_u32_e64 v179, v244
	s_cbranch_execz .LBB872_394
; %bb.391:
	s_mov_b32 s58, 0
	s_mov_b32 s47, exec_lo
	v_cmpx_lt_u32_e64 v181, v243
	s_cbranch_execz .LBB872_393
; %bb.392:
	v_mov_b32_e32 v183, 1
	v_lshlrev_b32_sdwa v88, v183, v182 dst_sel:DWORD dst_unused:UNUSED_PAD src0_sel:DWORD src1_sel:WORD_0
	v_lshlrev_b32_sdwa v183, v183, v79 dst_sel:DWORD dst_unused:UNUSED_PAD src0_sel:DWORD src1_sel:WORD_0
	v_add_co_u32 v88, vcc_lo, v6, v88
	v_add_co_ci_u32_e64 v89, null, 0, v7, vcc_lo
	v_add_co_u32 v90, vcc_lo, v6, v183
	v_add_co_ci_u32_e64 v91, null, 0, v7, vcc_lo
	s_clause 0x1
	flat_load_ushort v183, v[88:89]
	flat_load_ushort v88, v[90:91]
	s_waitcnt vmcnt(0) lgkmcnt(0)
	v_cmp_ge_u16_e32 vcc_lo, v183, v88
	s_and_b32 s58, vcc_lo, exec_lo
.LBB872_393:
	s_or_b32 exec_lo, exec_lo, s47
	s_orn2_b32 s47, s58, exec_lo
.LBB872_394:
	s_or_b32 exec_lo, exec_lo, s57
	v_cndmask_b32_e64 v183, v179, v181, s47
	v_cndmask_b32_e64 v88, v244, v243, s47
	s_mov_b32 s57, exec_lo
	v_add_nc_u32_e32 v183, 1, v183
	v_add_nc_u32_e32 v88, -1, v88
	v_cndmask_b32_e64 v179, v183, v179, s47
	v_min_u32_e32 v88, v183, v88
	v_cndmask_b32_e64 v181, v181, v183, s47
	v_lshl_add_u32 v88, v88, 1, v112
	ds_read_u16 v88, v88
	s_waitcnt lgkmcnt(0)
	v_cndmask_b32_e64 v183, v88, v182, s47
	v_cndmask_b32_e64 v88, v79, v88, s47
	v_cmpx_lt_u32_e64 v179, v244
	s_cbranch_execz .LBB872_398
; %bb.395:
	s_mov_b32 s58, 0
	s_mov_b32 s56, exec_lo
	v_cmpx_lt_u32_e64 v181, v243
	s_cbranch_execz .LBB872_397
; %bb.396:
	v_mov_b32_e32 v89, 1
	v_lshlrev_b32_sdwa v90, v89, v183 dst_sel:DWORD dst_unused:UNUSED_PAD src0_sel:DWORD src1_sel:WORD_0
	v_lshlrev_b32_sdwa v91, v89, v88 dst_sel:DWORD dst_unused:UNUSED_PAD src0_sel:DWORD src1_sel:WORD_0
	v_add_co_u32 v89, vcc_lo, v6, v90
	v_add_co_ci_u32_e64 v90, null, 0, v7, vcc_lo
	v_add_co_u32 v91, vcc_lo, v6, v91
	v_add_co_ci_u32_e64 v92, null, 0, v7, vcc_lo
	s_clause 0x1
	flat_load_ushort v89, v[89:90]
	flat_load_ushort v90, v[91:92]
	s_waitcnt vmcnt(0) lgkmcnt(0)
	v_cmp_ge_u16_e32 vcc_lo, v89, v90
	s_and_b32 s58, vcc_lo, exec_lo
.LBB872_397:
	s_or_b32 exec_lo, exec_lo, s56
	s_orn2_b32 s56, s58, exec_lo
.LBB872_398:
	s_or_b32 exec_lo, exec_lo, s57
	v_cndmask_b32_e64 v89, v179, v181, s56
	v_cndmask_b32_e64 v90, v244, v243, s56
	s_mov_b32 s57, -1
	s_mov_b32 s58, -1
	s_mov_b32 s59, exec_lo
	v_add_nc_u32_e32 v89, 1, v89
	v_add_nc_u32_e32 v90, -1, v90
	v_cndmask_b32_e64 v179, v89, v179, s56
	v_min_u32_e32 v90, v89, v90
	v_lshl_add_u32 v90, v90, 1, v112
	ds_read_u16 v91, v90
	v_cndmask_b32_e64 v90, v181, v89, s56
	s_waitcnt lgkmcnt(0)
	v_cndmask_b32_e64 v181, v91, v183, s56
	v_cndmask_b32_e64 v89, v88, v91, s56
	v_cmpx_lt_u32_e64 v179, v244
	s_cbranch_execz .LBB872_402
; %bb.399:
	s_mov_b32 s60, 0
	s_mov_b32 s58, exec_lo
	v_cmpx_lt_u32_e64 v90, v243
	s_cbranch_execz .LBB872_401
; %bb.400:
	v_mov_b32_e32 v91, 1
	v_lshlrev_b32_sdwa v92, v91, v181 dst_sel:DWORD dst_unused:UNUSED_PAD src0_sel:DWORD src1_sel:WORD_0
	v_lshlrev_b32_sdwa v93, v91, v89 dst_sel:DWORD dst_unused:UNUSED_PAD src0_sel:DWORD src1_sel:WORD_0
	v_add_co_u32 v91, vcc_lo, v6, v92
	v_add_co_ci_u32_e64 v92, null, 0, v7, vcc_lo
	v_add_co_u32 v93, vcc_lo, v6, v93
	v_add_co_ci_u32_e64 v94, null, 0, v7, vcc_lo
	s_clause 0x1
	flat_load_ushort v91, v[91:92]
	flat_load_ushort v92, v[93:94]
	s_waitcnt vmcnt(0) lgkmcnt(0)
	v_cmp_ge_u16_e32 vcc_lo, v91, v92
	s_and_b32 s60, vcc_lo, exec_lo
.LBB872_401:
	s_or_b32 exec_lo, exec_lo, s58
	s_orn2_b32 s58, s60, exec_lo
.LBB872_402:
	s_or_b32 exec_lo, exec_lo, s59
	v_cndmask_b32_e64 v91, v179, v90, s58
	v_cndmask_b32_e64 v92, v244, v243, s58
	s_mov_b32 s59, exec_lo
	v_add_nc_u32_e32 v91, 1, v91
	v_add_nc_u32_e32 v92, -1, v92
	v_cndmask_b32_e64 v179, v91, v179, s58
	v_min_u32_e32 v92, v91, v92
	v_lshl_add_u32 v92, v92, 1, v112
	ds_read_u16 v93, v92
	v_cndmask_b32_e64 v92, v90, v91, s58
	s_waitcnt lgkmcnt(0)
	v_cndmask_b32_e64 v90, v93, v181, s58
	v_cndmask_b32_e64 v91, v89, v93, s58
	v_cmpx_lt_u32_e64 v179, v244
	s_cbranch_execz .LBB872_406
; %bb.403:
	s_mov_b32 s60, 0
	s_mov_b32 s57, exec_lo
	v_cmpx_lt_u32_e64 v92, v243
	s_cbranch_execz .LBB872_405
; %bb.404:
	v_mov_b32_e32 v93, 1
	v_lshlrev_b32_sdwa v94, v93, v90 dst_sel:DWORD dst_unused:UNUSED_PAD src0_sel:DWORD src1_sel:WORD_0
	v_lshlrev_b32_sdwa v95, v93, v91 dst_sel:DWORD dst_unused:UNUSED_PAD src0_sel:DWORD src1_sel:WORD_0
	v_add_co_u32 v93, vcc_lo, v6, v94
	v_add_co_ci_u32_e64 v94, null, 0, v7, vcc_lo
	v_add_co_u32 v104, vcc_lo, v6, v95
	v_add_co_ci_u32_e64 v105, null, 0, v7, vcc_lo
	s_clause 0x1
	flat_load_ushort v93, v[93:94]
	flat_load_ushort v94, v[104:105]
	s_waitcnt vmcnt(0) lgkmcnt(0)
	v_cmp_ge_u16_e32 vcc_lo, v93, v94
	s_and_b32 s60, vcc_lo, exec_lo
.LBB872_405:
	s_or_b32 exec_lo, exec_lo, s57
	s_orn2_b32 s57, s60, exec_lo
.LBB872_406:
	s_or_b32 exec_lo, exec_lo, s59
	v_cndmask_b32_e64 v93, v179, v92, s57
	v_cndmask_b32_e64 v94, v244, v243, s57
	s_mov_b32 s59, exec_lo
	v_add_nc_u32_e32 v93, 1, v93
	v_add_nc_u32_e32 v94, -1, v94
	v_cndmask_b32_e64 v95, v93, v179, s57
	v_min_u32_e32 v94, v93, v94
	v_lshl_add_u32 v94, v94, 1, v112
	ds_read_u16 v94, v94
	s_waitcnt lgkmcnt(0)
	v_cndmask_b32_e64 v179, v91, v94, s57
	v_cmpx_lt_u32_e64 v95, v244
	s_cbranch_execz .LBB872_410
; %bb.407:
	v_cndmask_b32_e64 v92, v92, v93, s57
	v_cndmask_b32_e64 v244, v94, v90, s57
	s_mov_b32 s60, exec_lo
	v_cmpx_lt_u32_e64 v92, v243
	s_cbranch_execz .LBB872_409
; %bb.408:
	v_mov_b32_e32 v243, 1
	v_lshlrev_b32_sdwa v92, v243, v244 dst_sel:DWORD dst_unused:UNUSED_PAD src0_sel:DWORD src1_sel:WORD_0
	v_lshlrev_b32_sdwa v243, v243, v179 dst_sel:DWORD dst_unused:UNUSED_PAD src0_sel:DWORD src1_sel:WORD_0
	v_add_co_u32 v92, vcc_lo, v6, v92
	v_add_co_ci_u32_e64 v93, null, 0, v7, vcc_lo
	v_add_co_u32 v94, vcc_lo, v6, v243
	v_add_co_ci_u32_e64 v95, null, 0, v7, vcc_lo
	s_clause 0x1
	flat_load_ushort v243, v[92:93]
	flat_load_ushort v92, v[94:95]
	s_waitcnt vmcnt(0) lgkmcnt(0)
	v_cmp_lt_u16_e32 vcc_lo, v243, v92
	v_cndmask_b32_e32 v244, v179, v244, vcc_lo
.LBB872_409:
	s_or_b32 exec_lo, exec_lo, s60
	v_mov_b32_e32 v179, v244
.LBB872_410:
	s_or_b32 exec_lo, exec_lo, s59
	v_cndmask_b32_e64 v181, v181, v89, s58
	v_cndmask_b32_e64 v183, v183, v88, s56
	;; [unrolled: 1-line block ×31, first 2 shown]
.LBB872_411:
	s_or_b32 exec_lo, exec_lo, s5
	; wave barrier
	ds_write_b16 v115, v193
	ds_write_b16 v167, v194
	ds_write_b16 v176, v240
	ds_write_b16 v177, v242
	ds_write_b16 v178, v230
	v_and_b32_e32 v167, 0x200, v114
	ds_write_b16 v163, v241
	ds_write_b16 v164, v228
	;; [unrolled: 1-line block ×15, first 2 shown]
	v_or_b32_e32 v115, 0x100, v167
	v_and_b32_e32 v144, 0x1e0, v114
	ds_write_b16 v133, v208
	ds_write_b16 v134, v209
	;; [unrolled: 1-line block ×6, first 2 shown]
	s_mov_b32 s4, exec_lo
	v_min_u32_e32 v115, v113, v115
	ds_write_b16 v118, v192
	ds_write_b16 v119, v182
	;; [unrolled: 1-line block ×6, first 2 shown]
	; wave barrier
	v_add_nc_u32_e32 v147, 0x100, v115
	v_sub_nc_u32_e32 v134, v115, v167
	v_min_u32_e32 v114, v113, v147
	v_min_u32_e32 v113, v113, v144
	v_sub_nc_u32_e32 v133, v114, v115
	v_min_u32_e32 v131, v113, v134
	v_sub_nc_u32_e64 v130, v113, v133 clamp
	v_cmpx_lt_u32_e64 v130, v131
	s_cbranch_execz .LBB872_415
; %bb.412:
	v_lshlrev_b32_e32 v116, 1, v167
	v_lshlrev_b32_e32 v117, 1, v115
	s_mov_b32 s5, 0
	v_add_co_u32 v116, null, v112, v116
	v_add_co_u32 v117, null, v112, v117
	s_inst_prefetch 0x1
	.p2align	6
.LBB872_413:                            ; =>This Inner Loop Header: Depth=1
	v_add_nc_u32_e32 v118, v131, v130
	v_lshrrev_b32_e32 v132, 1, v118
	v_and_b32_e32 v118, -2, v118
	v_xad_u32 v119, v132, -1, v113
	v_add_nc_u32_e32 v118, v116, v118
	v_lshl_add_u32 v119, v119, 1, v117
	ds_read_u16 v118, v118
	ds_read_u16 v119, v119
	s_waitcnt lgkmcnt(1)
	v_lshlrev_b32_e32 v118, 1, v118
	s_waitcnt lgkmcnt(0)
	v_lshlrev_b32_e32 v128, 1, v119
	v_add_co_u32 v118, vcc_lo, v6, v118
	v_add_co_ci_u32_e64 v119, null, 0, v7, vcc_lo
	v_add_co_u32 v128, vcc_lo, v6, v128
	v_add_co_ci_u32_e64 v129, null, 0, v7, vcc_lo
	s_clause 0x1
	flat_load_ushort v128, v[128:129]
	flat_load_ushort v118, v[118:119]
	v_add_nc_u32_e32 v119, 1, v132
	s_waitcnt vmcnt(0) lgkmcnt(0)
	v_cmp_lt_u16_e32 vcc_lo, v128, v118
	v_cndmask_b32_e32 v131, v131, v132, vcc_lo
	v_cndmask_b32_e32 v130, v119, v130, vcc_lo
	v_cmp_ge_u32_e32 vcc_lo, v130, v131
	s_or_b32 s5, vcc_lo, s5
	s_andn2_b32 exec_lo, exec_lo, s5
	s_cbranch_execnz .LBB872_413
; %bb.414:
	s_inst_prefetch 0x2
	s_or_b32 exec_lo, exec_lo, s5
.LBB872_415:
	s_or_b32 exec_lo, exec_lo, s4
	v_add_nc_u32_e32 v113, v115, v113
	v_add_nc_u32_e32 v117, v130, v167
	v_sub_nc_u32_e32 v118, v113, v130
	v_cmp_le_u32_e32 vcc_lo, v117, v115
	v_cmp_le_u32_e64 s4, v118, v114
	s_or_b32 s4, vcc_lo, s4
	s_and_saveexec_b32 s5, s4
	s_cbranch_execz .LBB872_547
; %bb.416:
	s_mov_b32 s6, exec_lo
	v_cmp_ge_u32_e32 vcc_lo, v117, v115
                                        ; implicit-def: $vgpr113
	v_cmpx_lt_u32_e64 v117, v115
; %bb.417:
	v_lshl_add_u32 v113, v117, 1, v112
	ds_read_u16 v113, v113
; %bb.418:
	s_or_b32 exec_lo, exec_lo, s6
	v_cmp_ge_u32_e64 s6, v118, v114
	s_mov_b32 s7, exec_lo
                                        ; implicit-def: $vgpr116
	v_cmpx_lt_u32_e64 v118, v114
; %bb.419:
	v_lshl_add_u32 v116, v118, 1, v112
	ds_read_u16 v116, v116
; %bb.420:
	s_or_b32 exec_lo, exec_lo, s7
	s_nor_b32 s7, vcc_lo, s6
	s_and_saveexec_b32 s4, s7
	s_cbranch_execz .LBB872_422
; %bb.421:
	v_mov_b32_e32 v119, 1
	s_andn2_b32 s6, s6, exec_lo
	s_waitcnt lgkmcnt(0)
	v_lshlrev_b32_sdwa v128, v119, v116 dst_sel:DWORD dst_unused:UNUSED_PAD src0_sel:DWORD src1_sel:WORD_0
	v_lshlrev_b32_sdwa v119, v119, v113 dst_sel:DWORD dst_unused:UNUSED_PAD src0_sel:DWORD src1_sel:WORD_0
	v_add_co_u32 v128, vcc_lo, v6, v128
	v_add_co_ci_u32_e64 v129, null, 0, v7, vcc_lo
	v_add_co_u32 v130, vcc_lo, v6, v119
	v_add_co_ci_u32_e64 v131, null, 0, v7, vcc_lo
	s_clause 0x1
	flat_load_ushort v119, v[128:129]
	flat_load_ushort v128, v[130:131]
	s_waitcnt vmcnt(0) lgkmcnt(0)
	v_cmp_ge_u16_e32 vcc_lo, v119, v128
	s_and_b32 s7, vcc_lo, exec_lo
	s_or_b32 s6, s6, s7
.LBB872_422:
	s_or_b32 exec_lo, exec_lo, s4
	v_cndmask_b32_e64 v119, v118, v117, s6
	v_cndmask_b32_e64 v128, v114, v115, s6
	s_mov_b32 s7, -1
	s_mov_b32 s4, -1
	s_mov_b32 s10, exec_lo
	v_add_nc_u32_e32 v129, 1, v119
	v_add_nc_u32_e32 v119, -1, v128
	v_cndmask_b32_e64 v128, v117, v129, s6
	v_min_u32_e32 v119, v129, v119
	v_lshl_add_u32 v119, v119, 1, v112
	ds_read_u16 v130, v119
	v_cndmask_b32_e64 v119, v129, v118, s6
	s_waitcnt lgkmcnt(0)
	v_cndmask_b32_e64 v117, v130, v116, s6
	v_cndmask_b32_e64 v118, v113, v130, s6
	v_cmpx_lt_u32_e64 v119, v114
	s_cbranch_execz .LBB872_426
; %bb.423:
	s_mov_b32 s11, 0
	s_mov_b32 s4, exec_lo
	v_cmpx_lt_u32_e64 v128, v115
	s_cbranch_execz .LBB872_425
; %bb.424:
	v_mov_b32_e32 v129, 1
	v_lshlrev_b32_sdwa v130, v129, v117 dst_sel:DWORD dst_unused:UNUSED_PAD src0_sel:DWORD src1_sel:WORD_0
	v_lshlrev_b32_sdwa v131, v129, v118 dst_sel:DWORD dst_unused:UNUSED_PAD src0_sel:DWORD src1_sel:WORD_0
	v_add_co_u32 v129, vcc_lo, v6, v130
	v_add_co_ci_u32_e64 v130, null, 0, v7, vcc_lo
	v_add_co_u32 v131, vcc_lo, v6, v131
	v_add_co_ci_u32_e64 v132, null, 0, v7, vcc_lo
	s_clause 0x1
	flat_load_ushort v129, v[129:130]
	flat_load_ushort v130, v[131:132]
	s_waitcnt vmcnt(0) lgkmcnt(0)
	v_cmp_ge_u16_e32 vcc_lo, v129, v130
	s_and_b32 s11, vcc_lo, exec_lo
.LBB872_425:
	s_or_b32 exec_lo, exec_lo, s4
	s_orn2_b32 s4, s11, exec_lo
.LBB872_426:
	s_or_b32 exec_lo, exec_lo, s10
	v_cndmask_b32_e64 v129, v119, v128, s4
	v_cndmask_b32_e64 v130, v114, v115, s4
	s_mov_b32 s10, exec_lo
	v_add_nc_u32_e32 v131, 1, v129
	v_add_nc_u32_e32 v129, -1, v130
	v_cndmask_b32_e64 v130, v128, v131, s4
	v_min_u32_e32 v129, v131, v129
	v_lshl_add_u32 v129, v129, 1, v112
	ds_read_u16 v132, v129
	v_cndmask_b32_e64 v129, v131, v119, s4
	s_waitcnt lgkmcnt(0)
	v_cndmask_b32_e64 v119, v132, v117, s4
	v_cndmask_b32_e64 v128, v118, v132, s4
	v_cmpx_lt_u32_e64 v129, v114
	s_cbranch_execz .LBB872_430
; %bb.427:
	s_mov_b32 s11, 0
	s_mov_b32 s7, exec_lo
	v_cmpx_lt_u32_e64 v130, v115
	s_cbranch_execz .LBB872_429
; %bb.428:
	v_mov_b32_e32 v131, 1
	v_lshlrev_b32_sdwa v132, v131, v119 dst_sel:DWORD dst_unused:UNUSED_PAD src0_sel:DWORD src1_sel:WORD_0
	v_lshlrev_b32_sdwa v133, v131, v128 dst_sel:DWORD dst_unused:UNUSED_PAD src0_sel:DWORD src1_sel:WORD_0
	v_add_co_u32 v131, vcc_lo, v6, v132
	v_add_co_ci_u32_e64 v132, null, 0, v7, vcc_lo
	v_add_co_u32 v133, vcc_lo, v6, v133
	v_add_co_ci_u32_e64 v134, null, 0, v7, vcc_lo
	s_clause 0x1
	flat_load_ushort v131, v[131:132]
	flat_load_ushort v132, v[133:134]
	s_waitcnt vmcnt(0) lgkmcnt(0)
	v_cmp_ge_u16_e32 vcc_lo, v131, v132
	s_and_b32 s11, vcc_lo, exec_lo
.LBB872_429:
	s_or_b32 exec_lo, exec_lo, s7
	s_orn2_b32 s7, s11, exec_lo
.LBB872_430:
	s_or_b32 exec_lo, exec_lo, s10
	v_cndmask_b32_e64 v131, v129, v130, s7
	v_cndmask_b32_e64 v132, v114, v115, s7
	s_mov_b32 s11, -1
	s_mov_b32 s10, -1
	s_mov_b32 s14, exec_lo
	v_add_nc_u32_e32 v133, 1, v131
	v_add_nc_u32_e32 v131, -1, v132
	v_cndmask_b32_e64 v132, v130, v133, s7
	v_min_u32_e32 v131, v133, v131
	v_lshl_add_u32 v131, v131, 1, v112
	ds_read_u16 v134, v131
	v_cndmask_b32_e64 v131, v133, v129, s7
	s_waitcnt lgkmcnt(0)
	v_cndmask_b32_e64 v129, v134, v119, s7
	v_cndmask_b32_e64 v130, v128, v134, s7
	v_cmpx_lt_u32_e64 v131, v114
	s_cbranch_execz .LBB872_434
; %bb.431:
	s_mov_b32 s15, 0
	s_mov_b32 s10, exec_lo
	v_cmpx_lt_u32_e64 v132, v115
	s_cbranch_execz .LBB872_433
; %bb.432:
	v_mov_b32_e32 v133, 1
	v_lshlrev_b32_sdwa v134, v133, v129 dst_sel:DWORD dst_unused:UNUSED_PAD src0_sel:DWORD src1_sel:WORD_0
	v_lshlrev_b32_sdwa v135, v133, v130 dst_sel:DWORD dst_unused:UNUSED_PAD src0_sel:DWORD src1_sel:WORD_0
	v_add_co_u32 v133, vcc_lo, v6, v134
	v_add_co_ci_u32_e64 v134, null, 0, v7, vcc_lo
	v_add_co_u32 v144, vcc_lo, v6, v135
	v_add_co_ci_u32_e64 v145, null, 0, v7, vcc_lo
	s_clause 0x1
	flat_load_ushort v133, v[133:134]
	flat_load_ushort v134, v[144:145]
	s_waitcnt vmcnt(0) lgkmcnt(0)
	v_cmp_ge_u16_e32 vcc_lo, v133, v134
	s_and_b32 s15, vcc_lo, exec_lo
.LBB872_433:
	s_or_b32 exec_lo, exec_lo, s10
	s_orn2_b32 s10, s15, exec_lo
.LBB872_434:
	s_or_b32 exec_lo, exec_lo, s14
	v_cndmask_b32_e64 v133, v131, v132, s10
	v_cndmask_b32_e64 v134, v114, v115, s10
	s_mov_b32 s14, exec_lo
	v_add_nc_u32_e32 v135, 1, v133
	v_add_nc_u32_e32 v133, -1, v134
	v_cndmask_b32_e64 v134, v132, v135, s10
	v_min_u32_e32 v133, v135, v133
	v_lshl_add_u32 v133, v133, 1, v112
	ds_read_u16 v144, v133
	v_cndmask_b32_e64 v133, v135, v131, s10
	s_waitcnt lgkmcnt(0)
	v_cndmask_b32_e64 v131, v144, v129, s10
	v_cndmask_b32_e64 v132, v130, v144, s10
	v_cmpx_lt_u32_e64 v133, v114
	s_cbranch_execz .LBB872_438
; %bb.435:
	s_mov_b32 s15, 0
	s_mov_b32 s11, exec_lo
	v_cmpx_lt_u32_e64 v134, v115
	s_cbranch_execz .LBB872_437
; %bb.436:
	v_mov_b32_e32 v135, 1
	v_lshlrev_b32_sdwa v144, v135, v131 dst_sel:DWORD dst_unused:UNUSED_PAD src0_sel:DWORD src1_sel:WORD_0
	v_lshlrev_b32_sdwa v135, v135, v132 dst_sel:DWORD dst_unused:UNUSED_PAD src0_sel:DWORD src1_sel:WORD_0
	v_add_co_u32 v144, vcc_lo, v6, v144
	v_add_co_ci_u32_e64 v145, null, 0, v7, vcc_lo
	v_add_co_u32 v146, vcc_lo, v6, v135
	v_add_co_ci_u32_e64 v147, null, 0, v7, vcc_lo
	s_clause 0x1
	flat_load_ushort v135, v[144:145]
	flat_load_ushort v144, v[146:147]
	s_waitcnt vmcnt(0) lgkmcnt(0)
	v_cmp_ge_u16_e32 vcc_lo, v135, v144
	s_and_b32 s15, vcc_lo, exec_lo
.LBB872_437:
	s_or_b32 exec_lo, exec_lo, s11
	s_orn2_b32 s11, s15, exec_lo
.LBB872_438:
	s_or_b32 exec_lo, exec_lo, s14
	v_cndmask_b32_e64 v135, v133, v134, s11
	v_cndmask_b32_e64 v144, v114, v115, s11
	s_mov_b32 s15, -1
	s_mov_b32 s14, -1
	s_mov_b32 s16, exec_lo
	v_add_nc_u32_e32 v145, 1, v135
	v_add_nc_u32_e32 v135, -1, v144
	v_cndmask_b32_e64 v144, v134, v145, s11
	v_min_u32_e32 v135, v145, v135
	v_lshl_add_u32 v135, v135, 1, v112
	ds_read_u16 v146, v135
	v_cndmask_b32_e64 v135, v145, v133, s11
	s_waitcnt lgkmcnt(0)
	v_cndmask_b32_e64 v133, v146, v131, s11
	v_cndmask_b32_e64 v134, v132, v146, s11
	v_cmpx_lt_u32_e64 v135, v114
	s_cbranch_execz .LBB872_442
; %bb.439:
	s_mov_b32 s17, 0
	s_mov_b32 s14, exec_lo
	v_cmpx_lt_u32_e64 v144, v115
	s_cbranch_execz .LBB872_441
; %bb.440:
	v_mov_b32_e32 v145, 1
	v_lshlrev_b32_sdwa v146, v145, v133 dst_sel:DWORD dst_unused:UNUSED_PAD src0_sel:DWORD src1_sel:WORD_0
	v_lshlrev_b32_sdwa v147, v145, v134 dst_sel:DWORD dst_unused:UNUSED_PAD src0_sel:DWORD src1_sel:WORD_0
	v_add_co_u32 v145, vcc_lo, v6, v146
	v_add_co_ci_u32_e64 v146, null, 0, v7, vcc_lo
	v_add_co_u32 v147, vcc_lo, v6, v147
	v_add_co_ci_u32_e64 v148, null, 0, v7, vcc_lo
	s_clause 0x1
	flat_load_ushort v145, v[145:146]
	flat_load_ushort v146, v[147:148]
	s_waitcnt vmcnt(0) lgkmcnt(0)
	v_cmp_ge_u16_e32 vcc_lo, v145, v146
	s_and_b32 s17, vcc_lo, exec_lo
.LBB872_441:
	s_or_b32 exec_lo, exec_lo, s14
	s_orn2_b32 s14, s17, exec_lo
.LBB872_442:
	s_or_b32 exec_lo, exec_lo, s16
	v_cndmask_b32_e64 v145, v135, v144, s14
	v_cndmask_b32_e64 v146, v114, v115, s14
	s_mov_b32 s16, exec_lo
	v_add_nc_u32_e32 v147, 1, v145
	v_add_nc_u32_e32 v145, -1, v146
	v_cndmask_b32_e64 v146, v144, v147, s14
	v_min_u32_e32 v145, v147, v145
	v_lshl_add_u32 v145, v145, 1, v112
	ds_read_u16 v148, v145
	v_cndmask_b32_e64 v145, v147, v135, s14
	s_waitcnt lgkmcnt(0)
	v_cndmask_b32_e64 v135, v148, v133, s14
	v_cndmask_b32_e64 v144, v134, v148, s14
	v_cmpx_lt_u32_e64 v145, v114
	s_cbranch_execz .LBB872_446
; %bb.443:
	s_mov_b32 s17, 0
	s_mov_b32 s15, exec_lo
	v_cmpx_lt_u32_e64 v146, v115
	s_cbranch_execz .LBB872_445
; %bb.444:
	v_mov_b32_e32 v147, 1
	v_lshlrev_b32_sdwa v148, v147, v135 dst_sel:DWORD dst_unused:UNUSED_PAD src0_sel:DWORD src1_sel:WORD_0
	v_lshlrev_b32_sdwa v149, v147, v144 dst_sel:DWORD dst_unused:UNUSED_PAD src0_sel:DWORD src1_sel:WORD_0
	v_add_co_u32 v147, vcc_lo, v6, v148
	v_add_co_ci_u32_e64 v148, null, 0, v7, vcc_lo
	v_add_co_u32 v149, vcc_lo, v6, v149
	v_add_co_ci_u32_e64 v150, null, 0, v7, vcc_lo
	s_clause 0x1
	flat_load_ushort v147, v[147:148]
	flat_load_ushort v148, v[149:150]
	s_waitcnt vmcnt(0) lgkmcnt(0)
	v_cmp_ge_u16_e32 vcc_lo, v147, v148
	s_and_b32 s17, vcc_lo, exec_lo
.LBB872_445:
	s_or_b32 exec_lo, exec_lo, s15
	s_orn2_b32 s15, s17, exec_lo
.LBB872_446:
	s_or_b32 exec_lo, exec_lo, s16
	v_cndmask_b32_e64 v147, v145, v146, s15
	v_cndmask_b32_e64 v148, v114, v115, s15
	s_mov_b32 s17, -1
	s_mov_b32 s16, -1
	s_mov_b32 s18, exec_lo
	v_add_nc_u32_e32 v149, 1, v147
	v_add_nc_u32_e32 v147, -1, v148
	v_cndmask_b32_e64 v148, v146, v149, s15
	v_min_u32_e32 v147, v149, v147
	v_lshl_add_u32 v147, v147, 1, v112
	ds_read_u16 v150, v147
	v_cndmask_b32_e64 v147, v149, v145, s15
	s_waitcnt lgkmcnt(0)
	v_cndmask_b32_e64 v145, v150, v135, s15
	v_cndmask_b32_e64 v146, v144, v150, s15
	v_cmpx_lt_u32_e64 v147, v114
	s_cbranch_execz .LBB872_450
; %bb.447:
	s_mov_b32 s19, 0
	s_mov_b32 s16, exec_lo
	v_cmpx_lt_u32_e64 v148, v115
	s_cbranch_execz .LBB872_449
; %bb.448:
	v_mov_b32_e32 v149, 1
	v_lshlrev_b32_sdwa v150, v149, v145 dst_sel:DWORD dst_unused:UNUSED_PAD src0_sel:DWORD src1_sel:WORD_0
	v_lshlrev_b32_sdwa v151, v149, v146 dst_sel:DWORD dst_unused:UNUSED_PAD src0_sel:DWORD src1_sel:WORD_0
	v_add_co_u32 v149, vcc_lo, v6, v150
	v_add_co_ci_u32_e64 v150, null, 0, v7, vcc_lo
	v_add_co_u32 v160, vcc_lo, v6, v151
	v_add_co_ci_u32_e64 v161, null, 0, v7, vcc_lo
	s_clause 0x1
	flat_load_ushort v149, v[149:150]
	flat_load_ushort v150, v[160:161]
	s_waitcnt vmcnt(0) lgkmcnt(0)
	v_cmp_ge_u16_e32 vcc_lo, v149, v150
	s_and_b32 s19, vcc_lo, exec_lo
.LBB872_449:
	s_or_b32 exec_lo, exec_lo, s16
	s_orn2_b32 s16, s19, exec_lo
.LBB872_450:
	s_or_b32 exec_lo, exec_lo, s18
	v_cndmask_b32_e64 v149, v147, v148, s16
	v_cndmask_b32_e64 v150, v114, v115, s16
	s_mov_b32 s18, exec_lo
	v_add_nc_u32_e32 v151, 1, v149
	v_add_nc_u32_e32 v149, -1, v150
	v_cndmask_b32_e64 v150, v148, v151, s16
	v_min_u32_e32 v149, v151, v149
	v_lshl_add_u32 v149, v149, 1, v112
	ds_read_u16 v160, v149
	v_cndmask_b32_e64 v149, v151, v147, s16
	s_waitcnt lgkmcnt(0)
	v_cndmask_b32_e64 v147, v160, v145, s16
	v_cndmask_b32_e64 v148, v146, v160, s16
	v_cmpx_lt_u32_e64 v149, v114
	s_cbranch_execz .LBB872_454
; %bb.451:
	s_mov_b32 s19, 0
	s_mov_b32 s17, exec_lo
	v_cmpx_lt_u32_e64 v150, v115
	s_cbranch_execz .LBB872_453
; %bb.452:
	v_mov_b32_e32 v151, 1
	v_lshlrev_b32_sdwa v160, v151, v147 dst_sel:DWORD dst_unused:UNUSED_PAD src0_sel:DWORD src1_sel:WORD_0
	v_lshlrev_b32_sdwa v151, v151, v148 dst_sel:DWORD dst_unused:UNUSED_PAD src0_sel:DWORD src1_sel:WORD_0
	v_add_co_u32 v160, vcc_lo, v6, v160
	v_add_co_ci_u32_e64 v161, null, 0, v7, vcc_lo
	v_add_co_u32 v162, vcc_lo, v6, v151
	v_add_co_ci_u32_e64 v163, null, 0, v7, vcc_lo
	s_clause 0x1
	flat_load_ushort v151, v[160:161]
	flat_load_ushort v160, v[162:163]
	s_waitcnt vmcnt(0) lgkmcnt(0)
	v_cmp_ge_u16_e32 vcc_lo, v151, v160
	s_and_b32 s19, vcc_lo, exec_lo
.LBB872_453:
	s_or_b32 exec_lo, exec_lo, s17
	s_orn2_b32 s17, s19, exec_lo
.LBB872_454:
	s_or_b32 exec_lo, exec_lo, s18
	v_cndmask_b32_e64 v151, v149, v150, s17
	v_cndmask_b32_e64 v160, v114, v115, s17
	s_mov_b32 s19, -1
	s_mov_b32 s18, -1
	s_mov_b32 s20, exec_lo
	v_add_nc_u32_e32 v161, 1, v151
	v_add_nc_u32_e32 v151, -1, v160
	v_cndmask_b32_e64 v160, v150, v161, s17
	v_min_u32_e32 v151, v161, v151
	v_lshl_add_u32 v151, v151, 1, v112
	ds_read_u16 v162, v151
	v_cndmask_b32_e64 v151, v161, v149, s17
	s_waitcnt lgkmcnt(0)
	v_cndmask_b32_e64 v149, v162, v147, s17
	v_cndmask_b32_e64 v150, v148, v162, s17
	v_cmpx_lt_u32_e64 v151, v114
	s_cbranch_execz .LBB872_458
; %bb.455:
	s_mov_b32 s22, 0
	s_mov_b32 s18, exec_lo
	v_cmpx_lt_u32_e64 v160, v115
	s_cbranch_execz .LBB872_457
; %bb.456:
	v_mov_b32_e32 v161, 1
	v_lshlrev_b32_sdwa v162, v161, v149 dst_sel:DWORD dst_unused:UNUSED_PAD src0_sel:DWORD src1_sel:WORD_0
	v_lshlrev_b32_sdwa v163, v161, v150 dst_sel:DWORD dst_unused:UNUSED_PAD src0_sel:DWORD src1_sel:WORD_0
	v_add_co_u32 v161, vcc_lo, v6, v162
	v_add_co_ci_u32_e64 v162, null, 0, v7, vcc_lo
	v_add_co_u32 v163, vcc_lo, v6, v163
	v_add_co_ci_u32_e64 v164, null, 0, v7, vcc_lo
	s_clause 0x1
	flat_load_ushort v161, v[161:162]
	flat_load_ushort v162, v[163:164]
	s_waitcnt vmcnt(0) lgkmcnt(0)
	v_cmp_ge_u16_e32 vcc_lo, v161, v162
	s_and_b32 s22, vcc_lo, exec_lo
.LBB872_457:
	s_or_b32 exec_lo, exec_lo, s18
	s_orn2_b32 s18, s22, exec_lo
.LBB872_458:
	s_or_b32 exec_lo, exec_lo, s20
	v_cndmask_b32_e64 v161, v151, v160, s18
	v_cndmask_b32_e64 v162, v114, v115, s18
	s_mov_b32 s20, exec_lo
	v_add_nc_u32_e32 v163, 1, v161
	v_add_nc_u32_e32 v161, -1, v162
	v_cndmask_b32_e64 v162, v160, v163, s18
	v_min_u32_e32 v161, v163, v161
	v_lshl_add_u32 v161, v161, 1, v112
	ds_read_u16 v164, v161
	v_cndmask_b32_e64 v161, v163, v151, s18
	s_waitcnt lgkmcnt(0)
	v_cndmask_b32_e64 v151, v164, v149, s18
	v_cndmask_b32_e64 v160, v150, v164, s18
	v_cmpx_lt_u32_e64 v161, v114
	s_cbranch_execz .LBB872_462
; %bb.459:
	s_mov_b32 s22, 0
	s_mov_b32 s19, exec_lo
	v_cmpx_lt_u32_e64 v162, v115
	s_cbranch_execz .LBB872_461
; %bb.460:
	v_mov_b32_e32 v163, 1
	v_lshlrev_b32_sdwa v164, v163, v151 dst_sel:DWORD dst_unused:UNUSED_PAD src0_sel:DWORD src1_sel:WORD_0
	v_lshlrev_b32_sdwa v165, v163, v160 dst_sel:DWORD dst_unused:UNUSED_PAD src0_sel:DWORD src1_sel:WORD_0
	v_add_co_u32 v163, vcc_lo, v6, v164
	v_add_co_ci_u32_e64 v164, null, 0, v7, vcc_lo
	v_add_co_u32 v165, vcc_lo, v6, v165
	v_add_co_ci_u32_e64 v166, null, 0, v7, vcc_lo
	s_clause 0x1
	flat_load_ushort v163, v[163:164]
	flat_load_ushort v164, v[165:166]
	s_waitcnt vmcnt(0) lgkmcnt(0)
	v_cmp_ge_u16_e32 vcc_lo, v163, v164
	s_and_b32 s22, vcc_lo, exec_lo
.LBB872_461:
	s_or_b32 exec_lo, exec_lo, s19
	s_orn2_b32 s19, s22, exec_lo
.LBB872_462:
	s_or_b32 exec_lo, exec_lo, s20
	v_cndmask_b32_e64 v163, v161, v162, s19
	v_cndmask_b32_e64 v164, v114, v115, s19
	s_mov_b32 s22, -1
	s_mov_b32 s20, -1
	s_mov_b32 s23, exec_lo
	v_add_nc_u32_e32 v165, 1, v163
	v_add_nc_u32_e32 v163, -1, v164
	v_cndmask_b32_e64 v164, v162, v165, s19
	v_min_u32_e32 v163, v165, v163
	v_lshl_add_u32 v163, v163, 1, v112
	ds_read_u16 v166, v163
	v_cndmask_b32_e64 v163, v165, v161, s19
	s_waitcnt lgkmcnt(0)
	v_cndmask_b32_e64 v161, v166, v151, s19
	v_cndmask_b32_e64 v162, v160, v166, s19
	v_cmpx_lt_u32_e64 v163, v114
	s_cbranch_execz .LBB872_466
; %bb.463:
	s_mov_b32 s24, 0
	s_mov_b32 s20, exec_lo
	v_cmpx_lt_u32_e64 v164, v115
	s_cbranch_execz .LBB872_465
; %bb.464:
	v_mov_b32_e32 v165, 1
	v_lshlrev_b32_sdwa v166, v165, v161 dst_sel:DWORD dst_unused:UNUSED_PAD src0_sel:DWORD src1_sel:WORD_0
	v_lshlrev_b32_sdwa v167, v165, v162 dst_sel:DWORD dst_unused:UNUSED_PAD src0_sel:DWORD src1_sel:WORD_0
	v_add_co_u32 v165, vcc_lo, v6, v166
	v_add_co_ci_u32_e64 v166, null, 0, v7, vcc_lo
	v_add_co_u32 v176, vcc_lo, v6, v167
	v_add_co_ci_u32_e64 v177, null, 0, v7, vcc_lo
	s_clause 0x1
	flat_load_ushort v165, v[165:166]
	flat_load_ushort v166, v[176:177]
	s_waitcnt vmcnt(0) lgkmcnt(0)
	v_cmp_ge_u16_e32 vcc_lo, v165, v166
	s_and_b32 s24, vcc_lo, exec_lo
.LBB872_465:
	s_or_b32 exec_lo, exec_lo, s20
	s_orn2_b32 s20, s24, exec_lo
.LBB872_466:
	s_or_b32 exec_lo, exec_lo, s23
	v_cndmask_b32_e64 v165, v163, v164, s20
	v_cndmask_b32_e64 v166, v114, v115, s20
	s_mov_b32 s23, exec_lo
	v_add_nc_u32_e32 v167, 1, v165
	v_add_nc_u32_e32 v165, -1, v166
	v_cndmask_b32_e64 v166, v164, v167, s20
	v_min_u32_e32 v165, v167, v165
	v_lshl_add_u32 v165, v165, 1, v112
	ds_read_u16 v176, v165
	v_cndmask_b32_e64 v165, v167, v163, s20
	s_waitcnt lgkmcnt(0)
	v_cndmask_b32_e64 v163, v176, v161, s20
	v_cndmask_b32_e64 v164, v162, v176, s20
	v_cmpx_lt_u32_e64 v165, v114
	s_cbranch_execz .LBB872_470
; %bb.467:
	s_mov_b32 s24, 0
	s_mov_b32 s22, exec_lo
	v_cmpx_lt_u32_e64 v166, v115
	s_cbranch_execz .LBB872_469
; %bb.468:
	v_mov_b32_e32 v167, 1
	v_lshlrev_b32_sdwa v176, v167, v163 dst_sel:DWORD dst_unused:UNUSED_PAD src0_sel:DWORD src1_sel:WORD_0
	v_lshlrev_b32_sdwa v167, v167, v164 dst_sel:DWORD dst_unused:UNUSED_PAD src0_sel:DWORD src1_sel:WORD_0
	v_add_co_u32 v176, vcc_lo, v6, v176
	v_add_co_ci_u32_e64 v177, null, 0, v7, vcc_lo
	v_add_co_u32 v178, vcc_lo, v6, v167
	v_add_co_ci_u32_e64 v179, null, 0, v7, vcc_lo
	s_clause 0x1
	flat_load_ushort v167, v[176:177]
	flat_load_ushort v176, v[178:179]
	s_waitcnt vmcnt(0) lgkmcnt(0)
	v_cmp_ge_u16_e32 vcc_lo, v167, v176
	s_and_b32 s24, vcc_lo, exec_lo
.LBB872_469:
	s_or_b32 exec_lo, exec_lo, s22
	s_orn2_b32 s22, s24, exec_lo
.LBB872_470:
	s_or_b32 exec_lo, exec_lo, s23
	v_cndmask_b32_e64 v167, v165, v166, s22
	v_cndmask_b32_e64 v176, v114, v115, s22
	s_mov_b32 s24, -1
	s_mov_b32 s23, -1
	s_mov_b32 s25, exec_lo
	v_add_nc_u32_e32 v177, 1, v167
	v_add_nc_u32_e32 v167, -1, v176
	v_cndmask_b32_e64 v176, v166, v177, s22
	v_min_u32_e32 v167, v177, v167
	v_lshl_add_u32 v167, v167, 1, v112
	ds_read_u16 v178, v167
	v_cndmask_b32_e64 v167, v177, v165, s22
	s_waitcnt lgkmcnt(0)
	v_cndmask_b32_e64 v165, v178, v163, s22
	v_cndmask_b32_e64 v166, v164, v178, s22
	v_cmpx_lt_u32_e64 v167, v114
	s_cbranch_execz .LBB872_474
; %bb.471:
	s_mov_b32 s26, 0
	s_mov_b32 s23, exec_lo
	v_cmpx_lt_u32_e64 v176, v115
	s_cbranch_execz .LBB872_473
; %bb.472:
	v_mov_b32_e32 v177, 1
	v_lshlrev_b32_sdwa v178, v177, v165 dst_sel:DWORD dst_unused:UNUSED_PAD src0_sel:DWORD src1_sel:WORD_0
	v_lshlrev_b32_sdwa v179, v177, v166 dst_sel:DWORD dst_unused:UNUSED_PAD src0_sel:DWORD src1_sel:WORD_0
	v_add_co_u32 v177, vcc_lo, v6, v178
	v_add_co_ci_u32_e64 v178, null, 0, v7, vcc_lo
	v_add_co_u32 v179, vcc_lo, v6, v179
	v_add_co_ci_u32_e64 v180, null, 0, v7, vcc_lo
	s_clause 0x1
	flat_load_ushort v177, v[177:178]
	flat_load_ushort v178, v[179:180]
	s_waitcnt vmcnt(0) lgkmcnt(0)
	v_cmp_ge_u16_e32 vcc_lo, v177, v178
	s_and_b32 s26, vcc_lo, exec_lo
.LBB872_473:
	s_or_b32 exec_lo, exec_lo, s23
	s_orn2_b32 s23, s26, exec_lo
.LBB872_474:
	s_or_b32 exec_lo, exec_lo, s25
	v_cndmask_b32_e64 v177, v167, v176, s23
	v_cndmask_b32_e64 v178, v114, v115, s23
	s_mov_b32 s25, exec_lo
	v_add_nc_u32_e32 v179, 1, v177
	v_add_nc_u32_e32 v177, -1, v178
	v_cndmask_b32_e64 v178, v176, v179, s23
	v_min_u32_e32 v177, v179, v177
	v_lshl_add_u32 v177, v177, 1, v112
	ds_read_u16 v180, v177
	v_cndmask_b32_e64 v177, v179, v167, s23
	s_waitcnt lgkmcnt(0)
	v_cndmask_b32_e64 v167, v180, v165, s23
	v_cndmask_b32_e64 v176, v166, v180, s23
	v_cmpx_lt_u32_e64 v177, v114
	s_cbranch_execz .LBB872_478
; %bb.475:
	s_mov_b32 s26, 0
	s_mov_b32 s24, exec_lo
	v_cmpx_lt_u32_e64 v178, v115
	s_cbranch_execz .LBB872_477
; %bb.476:
	v_mov_b32_e32 v179, 1
	v_lshlrev_b32_sdwa v180, v179, v167 dst_sel:DWORD dst_unused:UNUSED_PAD src0_sel:DWORD src1_sel:WORD_0
	v_lshlrev_b32_sdwa v181, v179, v176 dst_sel:DWORD dst_unused:UNUSED_PAD src0_sel:DWORD src1_sel:WORD_0
	v_add_co_u32 v179, vcc_lo, v6, v180
	v_add_co_ci_u32_e64 v180, null, 0, v7, vcc_lo
	v_add_co_u32 v181, vcc_lo, v6, v181
	v_add_co_ci_u32_e64 v182, null, 0, v7, vcc_lo
	s_clause 0x1
	flat_load_ushort v179, v[179:180]
	flat_load_ushort v180, v[181:182]
	s_waitcnt vmcnt(0) lgkmcnt(0)
	v_cmp_ge_u16_e32 vcc_lo, v179, v180
	s_and_b32 s26, vcc_lo, exec_lo
.LBB872_477:
	s_or_b32 exec_lo, exec_lo, s24
	s_orn2_b32 s24, s26, exec_lo
.LBB872_478:
	s_or_b32 exec_lo, exec_lo, s25
	v_cndmask_b32_e64 v179, v177, v178, s24
	v_cndmask_b32_e64 v180, v114, v115, s24
	s_mov_b32 s26, -1
	s_mov_b32 s25, -1
	s_mov_b32 s27, exec_lo
	v_add_nc_u32_e32 v181, 1, v179
	v_add_nc_u32_e32 v179, -1, v180
	v_cndmask_b32_e64 v180, v178, v181, s24
	v_min_u32_e32 v179, v181, v179
	v_lshl_add_u32 v179, v179, 1, v112
	ds_read_u16 v182, v179
	v_cndmask_b32_e64 v179, v181, v177, s24
	s_waitcnt lgkmcnt(0)
	v_cndmask_b32_e64 v177, v182, v167, s24
	v_cndmask_b32_e64 v178, v176, v182, s24
	v_cmpx_lt_u32_e64 v179, v114
	s_cbranch_execz .LBB872_482
; %bb.479:
	s_mov_b32 s28, 0
	s_mov_b32 s25, exec_lo
	v_cmpx_lt_u32_e64 v180, v115
	s_cbranch_execz .LBB872_481
; %bb.480:
	v_mov_b32_e32 v181, 1
	v_lshlrev_b32_sdwa v182, v181, v177 dst_sel:DWORD dst_unused:UNUSED_PAD src0_sel:DWORD src1_sel:WORD_0
	v_lshlrev_b32_sdwa v183, v181, v178 dst_sel:DWORD dst_unused:UNUSED_PAD src0_sel:DWORD src1_sel:WORD_0
	v_add_co_u32 v181, vcc_lo, v6, v182
	v_add_co_ci_u32_e64 v182, null, 0, v7, vcc_lo
	v_add_co_u32 v192, vcc_lo, v6, v183
	v_add_co_ci_u32_e64 v193, null, 0, v7, vcc_lo
	s_clause 0x1
	flat_load_ushort v181, v[181:182]
	flat_load_ushort v182, v[192:193]
	s_waitcnt vmcnt(0) lgkmcnt(0)
	v_cmp_ge_u16_e32 vcc_lo, v181, v182
	s_and_b32 s28, vcc_lo, exec_lo
.LBB872_481:
	s_or_b32 exec_lo, exec_lo, s25
	s_orn2_b32 s25, s28, exec_lo
.LBB872_482:
	s_or_b32 exec_lo, exec_lo, s27
	v_cndmask_b32_e64 v181, v179, v180, s25
	v_cndmask_b32_e64 v182, v114, v115, s25
	s_mov_b32 s27, exec_lo
	v_add_nc_u32_e32 v181, 1, v181
	v_add_nc_u32_e32 v182, -1, v182
	v_cndmask_b32_e64 v179, v181, v179, s25
	v_min_u32_e32 v182, v181, v182
	v_cndmask_b32_e64 v181, v180, v181, s25
	v_lshl_add_u32 v182, v182, 1, v112
	ds_read_u16 v182, v182
	s_waitcnt lgkmcnt(0)
	v_cndmask_b32_e64 v180, v182, v177, s25
	v_cndmask_b32_e64 v193, v178, v182, s25
	v_cmpx_lt_u32_e64 v179, v114
	s_cbranch_execz .LBB872_486
; %bb.483:
	s_mov_b32 s28, 0
	s_mov_b32 s26, exec_lo
	v_cmpx_lt_u32_e64 v181, v115
	s_cbranch_execz .LBB872_485
; %bb.484:
	v_mov_b32_e32 v182, 1
	v_lshlrev_b32_sdwa v183, v182, v180 dst_sel:DWORD dst_unused:UNUSED_PAD src0_sel:DWORD src1_sel:WORD_0
	v_lshlrev_b32_sdwa v192, v182, v193 dst_sel:DWORD dst_unused:UNUSED_PAD src0_sel:DWORD src1_sel:WORD_0
	v_add_co_u32 v182, vcc_lo, v6, v183
	v_add_co_ci_u32_e64 v183, null, 0, v7, vcc_lo
	v_add_co_u32 v194, vcc_lo, v6, v192
	v_add_co_ci_u32_e64 v195, null, 0, v7, vcc_lo
	s_clause 0x1
	flat_load_ushort v182, v[182:183]
	flat_load_ushort v183, v[194:195]
	s_waitcnt vmcnt(0) lgkmcnt(0)
	v_cmp_ge_u16_e32 vcc_lo, v182, v183
	s_and_b32 s28, vcc_lo, exec_lo
.LBB872_485:
	s_or_b32 exec_lo, exec_lo, s26
	s_orn2_b32 s26, s28, exec_lo
.LBB872_486:
	s_or_b32 exec_lo, exec_lo, s27
	v_cndmask_b32_e64 v182, v179, v181, s26
	v_cndmask_b32_e64 v183, v114, v115, s26
	s_mov_b32 s28, -1
	s_mov_b32 s27, -1
	s_mov_b32 s29, exec_lo
	v_add_nc_u32_e32 v182, 1, v182
	v_add_nc_u32_e32 v183, -1, v183
	v_cndmask_b32_e64 v179, v182, v179, s26
	v_min_u32_e32 v183, v182, v183
	v_cndmask_b32_e64 v181, v181, v182, s26
	v_lshl_add_u32 v183, v183, 1, v112
	ds_read_u16 v183, v183
	s_waitcnt lgkmcnt(0)
	v_cndmask_b32_e64 v194, v183, v180, s26
	v_cndmask_b32_e64 v210, v193, v183, s26
	v_cmpx_lt_u32_e64 v179, v114
	s_cbranch_execz .LBB872_490
; %bb.487:
	s_mov_b32 s40, 0
	s_mov_b32 s27, exec_lo
	v_cmpx_lt_u32_e64 v181, v115
	s_cbranch_execz .LBB872_489
; %bb.488:
	v_mov_b32_e32 v182, 1
	v_lshlrev_b32_sdwa v183, v182, v194 dst_sel:DWORD dst_unused:UNUSED_PAD src0_sel:DWORD src1_sel:WORD_0
	v_lshlrev_b32_sdwa v192, v182, v210 dst_sel:DWORD dst_unused:UNUSED_PAD src0_sel:DWORD src1_sel:WORD_0
	v_add_co_u32 v182, vcc_lo, v6, v183
	v_add_co_ci_u32_e64 v183, null, 0, v7, vcc_lo
	v_add_co_u32 v195, vcc_lo, v6, v192
	v_add_co_ci_u32_e64 v196, null, 0, v7, vcc_lo
	s_clause 0x1
	flat_load_ushort v182, v[182:183]
	flat_load_ushort v183, v[195:196]
	s_waitcnt vmcnt(0) lgkmcnt(0)
	v_cmp_ge_u16_e32 vcc_lo, v182, v183
	s_and_b32 s40, vcc_lo, exec_lo
.LBB872_489:
	s_or_b32 exec_lo, exec_lo, s27
	s_orn2_b32 s27, s40, exec_lo
.LBB872_490:
	s_or_b32 exec_lo, exec_lo, s29
	v_cndmask_b32_e64 v182, v179, v181, s27
	v_cndmask_b32_e64 v183, v114, v115, s27
	s_mov_b32 s29, exec_lo
	v_add_nc_u32_e32 v182, 1, v182
	v_add_nc_u32_e32 v183, -1, v183
	v_cndmask_b32_e64 v179, v182, v179, s27
	v_min_u32_e32 v183, v182, v183
	v_cndmask_b32_e64 v181, v181, v182, s27
	v_lshl_add_u32 v183, v183, 1, v112
	ds_read_u16 v183, v183
	s_waitcnt lgkmcnt(0)
	v_cndmask_b32_e64 v199, v183, v194, s27
	v_cndmask_b32_e64 v211, v210, v183, s27
	v_cmpx_lt_u32_e64 v179, v114
	s_cbranch_execz .LBB872_494
; %bb.491:
	s_mov_b32 s40, 0
	s_mov_b32 s28, exec_lo
	v_cmpx_lt_u32_e64 v181, v115
	s_cbranch_execz .LBB872_493
; %bb.492:
	v_mov_b32_e32 v182, 1
	v_lshlrev_b32_sdwa v183, v182, v199 dst_sel:DWORD dst_unused:UNUSED_PAD src0_sel:DWORD src1_sel:WORD_0
	v_lshlrev_b32_sdwa v192, v182, v211 dst_sel:DWORD dst_unused:UNUSED_PAD src0_sel:DWORD src1_sel:WORD_0
	v_add_co_u32 v182, vcc_lo, v6, v183
	v_add_co_ci_u32_e64 v183, null, 0, v7, vcc_lo
	v_add_co_u32 v195, vcc_lo, v6, v192
	v_add_co_ci_u32_e64 v196, null, 0, v7, vcc_lo
	s_clause 0x1
	flat_load_ushort v182, v[182:183]
	flat_load_ushort v183, v[195:196]
	s_waitcnt vmcnt(0) lgkmcnt(0)
	v_cmp_ge_u16_e32 vcc_lo, v182, v183
	s_and_b32 s40, vcc_lo, exec_lo
.LBB872_493:
	s_or_b32 exec_lo, exec_lo, s28
	s_orn2_b32 s28, s40, exec_lo
.LBB872_494:
	s_or_b32 exec_lo, exec_lo, s29
	v_cndmask_b32_e64 v182, v179, v181, s28
	v_cndmask_b32_e64 v183, v114, v115, s28
	s_mov_b32 s40, -1
	s_mov_b32 s29, -1
	s_mov_b32 s41, exec_lo
	v_add_nc_u32_e32 v182, 1, v182
	v_add_nc_u32_e32 v183, -1, v183
	v_cndmask_b32_e64 v179, v182, v179, s28
	v_min_u32_e32 v183, v182, v183
	v_cndmask_b32_e64 v181, v181, v182, s28
	v_lshl_add_u32 v183, v183, 1, v112
	ds_read_u16 v183, v183
	s_waitcnt lgkmcnt(0)
	v_cndmask_b32_e64 v212, v183, v199, s28
	v_cndmask_b32_e64 v213, v211, v183, s28
	v_cmpx_lt_u32_e64 v179, v114
	s_cbranch_execz .LBB872_498
; %bb.495:
	s_mov_b32 s42, 0
	s_mov_b32 s29, exec_lo
	v_cmpx_lt_u32_e64 v181, v115
	s_cbranch_execz .LBB872_497
; %bb.496:
	v_mov_b32_e32 v182, 1
	v_lshlrev_b32_sdwa v183, v182, v212 dst_sel:DWORD dst_unused:UNUSED_PAD src0_sel:DWORD src1_sel:WORD_0
	v_lshlrev_b32_sdwa v192, v182, v213 dst_sel:DWORD dst_unused:UNUSED_PAD src0_sel:DWORD src1_sel:WORD_0
	v_add_co_u32 v182, vcc_lo, v6, v183
	v_add_co_ci_u32_e64 v183, null, 0, v7, vcc_lo
	v_add_co_u32 v195, vcc_lo, v6, v192
	v_add_co_ci_u32_e64 v196, null, 0, v7, vcc_lo
	s_clause 0x1
	flat_load_ushort v182, v[182:183]
	flat_load_ushort v183, v[195:196]
	s_waitcnt vmcnt(0) lgkmcnt(0)
	v_cmp_ge_u16_e32 vcc_lo, v182, v183
	s_and_b32 s42, vcc_lo, exec_lo
.LBB872_497:
	s_or_b32 exec_lo, exec_lo, s29
	s_orn2_b32 s29, s42, exec_lo
.LBB872_498:
	s_or_b32 exec_lo, exec_lo, s41
	v_cndmask_b32_e64 v182, v179, v181, s29
	v_cndmask_b32_e64 v183, v114, v115, s29
	s_mov_b32 s41, exec_lo
	v_add_nc_u32_e32 v182, 1, v182
	v_add_nc_u32_e32 v183, -1, v183
	v_cndmask_b32_e64 v179, v182, v179, s29
	v_min_u32_e32 v183, v182, v183
	v_cndmask_b32_e64 v181, v181, v182, s29
	v_lshl_add_u32 v183, v183, 1, v112
	ds_read_u16 v183, v183
	s_waitcnt lgkmcnt(0)
	v_cndmask_b32_e64 v208, v183, v212, s29
	v_cndmask_b32_e64 v214, v213, v183, s29
	v_cmpx_lt_u32_e64 v179, v114
	s_cbranch_execz .LBB872_502
; %bb.499:
	s_mov_b32 s42, 0
	s_mov_b32 s40, exec_lo
	v_cmpx_lt_u32_e64 v181, v115
	s_cbranch_execz .LBB872_501
; %bb.500:
	v_mov_b32_e32 v182, 1
	v_lshlrev_b32_sdwa v183, v182, v208 dst_sel:DWORD dst_unused:UNUSED_PAD src0_sel:DWORD src1_sel:WORD_0
	v_lshlrev_b32_sdwa v192, v182, v214 dst_sel:DWORD dst_unused:UNUSED_PAD src0_sel:DWORD src1_sel:WORD_0
	v_add_co_u32 v182, vcc_lo, v6, v183
	v_add_co_ci_u32_e64 v183, null, 0, v7, vcc_lo
	v_add_co_u32 v195, vcc_lo, v6, v192
	v_add_co_ci_u32_e64 v196, null, 0, v7, vcc_lo
	s_clause 0x1
	flat_load_ushort v182, v[182:183]
	flat_load_ushort v183, v[195:196]
	s_waitcnt vmcnt(0) lgkmcnt(0)
	v_cmp_ge_u16_e32 vcc_lo, v182, v183
	s_and_b32 s42, vcc_lo, exec_lo
.LBB872_501:
	s_or_b32 exec_lo, exec_lo, s40
	s_orn2_b32 s40, s42, exec_lo
.LBB872_502:
	s_or_b32 exec_lo, exec_lo, s41
	v_cndmask_b32_e64 v182, v179, v181, s40
	v_cndmask_b32_e64 v183, v114, v115, s40
	s_mov_b32 s42, -1
	s_mov_b32 s41, -1
	s_mov_b32 s43, exec_lo
	v_add_nc_u32_e32 v182, 1, v182
	v_add_nc_u32_e32 v183, -1, v183
	v_cndmask_b32_e64 v179, v182, v179, s40
	v_min_u32_e32 v183, v182, v183
	v_cndmask_b32_e64 v181, v181, v182, s40
	v_lshl_add_u32 v183, v183, 1, v112
	ds_read_u16 v183, v183
	s_waitcnt lgkmcnt(0)
	v_cndmask_b32_e64 v209, v183, v208, s40
	v_cndmask_b32_e64 v215, v214, v183, s40
	v_cmpx_lt_u32_e64 v179, v114
	s_cbranch_execz .LBB872_506
; %bb.503:
	s_mov_b32 s44, 0
	s_mov_b32 s41, exec_lo
	v_cmpx_lt_u32_e64 v181, v115
	s_cbranch_execz .LBB872_505
; %bb.504:
	v_mov_b32_e32 v182, 1
	v_lshlrev_b32_sdwa v183, v182, v209 dst_sel:DWORD dst_unused:UNUSED_PAD src0_sel:DWORD src1_sel:WORD_0
	v_lshlrev_b32_sdwa v192, v182, v215 dst_sel:DWORD dst_unused:UNUSED_PAD src0_sel:DWORD src1_sel:WORD_0
	v_add_co_u32 v182, vcc_lo, v6, v183
	v_add_co_ci_u32_e64 v183, null, 0, v7, vcc_lo
	v_add_co_u32 v195, vcc_lo, v6, v192
	v_add_co_ci_u32_e64 v196, null, 0, v7, vcc_lo
	s_clause 0x1
	flat_load_ushort v182, v[182:183]
	flat_load_ushort v183, v[195:196]
	s_waitcnt vmcnt(0) lgkmcnt(0)
	v_cmp_ge_u16_e32 vcc_lo, v182, v183
	s_and_b32 s44, vcc_lo, exec_lo
.LBB872_505:
	s_or_b32 exec_lo, exec_lo, s41
	s_orn2_b32 s41, s44, exec_lo
.LBB872_506:
	s_or_b32 exec_lo, exec_lo, s43
	v_cndmask_b32_e64 v182, v179, v181, s41
	v_cndmask_b32_e64 v183, v114, v115, s41
	s_mov_b32 s43, exec_lo
	v_add_nc_u32_e32 v182, 1, v182
	v_add_nc_u32_e32 v183, -1, v183
	v_cndmask_b32_e64 v179, v182, v179, s41
	v_min_u32_e32 v183, v182, v183
	v_cndmask_b32_e64 v181, v181, v182, s41
	v_lshl_add_u32 v183, v183, 1, v112
	ds_read_u16 v183, v183
	s_waitcnt lgkmcnt(0)
	v_cndmask_b32_e64 v197, v183, v209, s41
	v_cndmask_b32_e64 v224, v215, v183, s41
	v_cmpx_lt_u32_e64 v179, v114
	s_cbranch_execz .LBB872_510
; %bb.507:
	s_mov_b32 s44, 0
	s_mov_b32 s42, exec_lo
	v_cmpx_lt_u32_e64 v181, v115
	s_cbranch_execz .LBB872_509
; %bb.508:
	v_mov_b32_e32 v182, 1
	v_lshlrev_b32_sdwa v183, v182, v197 dst_sel:DWORD dst_unused:UNUSED_PAD src0_sel:DWORD src1_sel:WORD_0
	v_lshlrev_b32_sdwa v192, v182, v224 dst_sel:DWORD dst_unused:UNUSED_PAD src0_sel:DWORD src1_sel:WORD_0
	v_add_co_u32 v182, vcc_lo, v6, v183
	v_add_co_ci_u32_e64 v183, null, 0, v7, vcc_lo
	v_add_co_u32 v195, vcc_lo, v6, v192
	v_add_co_ci_u32_e64 v196, null, 0, v7, vcc_lo
	s_clause 0x1
	flat_load_ushort v182, v[182:183]
	flat_load_ushort v183, v[195:196]
	s_waitcnt vmcnt(0) lgkmcnt(0)
	v_cmp_ge_u16_e32 vcc_lo, v182, v183
	s_and_b32 s44, vcc_lo, exec_lo
.LBB872_509:
	s_or_b32 exec_lo, exec_lo, s42
	s_orn2_b32 s42, s44, exec_lo
.LBB872_510:
	s_or_b32 exec_lo, exec_lo, s43
	v_cndmask_b32_e64 v182, v179, v181, s42
	v_cndmask_b32_e64 v183, v114, v115, s42
	s_mov_b32 s44, -1
	s_mov_b32 s43, -1
	s_mov_b32 s45, exec_lo
	v_add_nc_u32_e32 v182, 1, v182
	v_add_nc_u32_e32 v183, -1, v183
	v_cndmask_b32_e64 v179, v182, v179, s42
	v_min_u32_e32 v183, v182, v183
	v_cndmask_b32_e64 v181, v181, v182, s42
	v_lshl_add_u32 v183, v183, 1, v112
	ds_read_u16 v183, v183
	s_waitcnt lgkmcnt(0)
	v_cndmask_b32_e64 v198, v183, v197, s42
	v_cndmask_b32_e64 v225, v224, v183, s42
	v_cmpx_lt_u32_e64 v179, v114
	s_cbranch_execz .LBB872_514
; %bb.511:
	s_mov_b32 s46, 0
	s_mov_b32 s43, exec_lo
	v_cmpx_lt_u32_e64 v181, v115
	s_cbranch_execz .LBB872_513
; %bb.512:
	v_mov_b32_e32 v182, 1
	v_lshlrev_b32_sdwa v183, v182, v198 dst_sel:DWORD dst_unused:UNUSED_PAD src0_sel:DWORD src1_sel:WORD_0
	v_lshlrev_b32_sdwa v192, v182, v225 dst_sel:DWORD dst_unused:UNUSED_PAD src0_sel:DWORD src1_sel:WORD_0
	v_add_co_u32 v182, vcc_lo, v6, v183
	v_add_co_ci_u32_e64 v183, null, 0, v7, vcc_lo
	v_add_co_u32 v195, vcc_lo, v6, v192
	v_add_co_ci_u32_e64 v196, null, 0, v7, vcc_lo
	s_clause 0x1
	flat_load_ushort v182, v[182:183]
	flat_load_ushort v183, v[195:196]
	s_waitcnt vmcnt(0) lgkmcnt(0)
	v_cmp_ge_u16_e32 vcc_lo, v182, v183
	s_and_b32 s46, vcc_lo, exec_lo
.LBB872_513:
	s_or_b32 exec_lo, exec_lo, s43
	s_orn2_b32 s43, s46, exec_lo
.LBB872_514:
	s_or_b32 exec_lo, exec_lo, s45
	v_cndmask_b32_e64 v182, v179, v181, s43
	v_cndmask_b32_e64 v183, v114, v115, s43
	s_mov_b32 s45, exec_lo
	v_add_nc_u32_e32 v182, 1, v182
	v_add_nc_u32_e32 v183, -1, v183
	v_cndmask_b32_e64 v179, v182, v179, s43
	v_min_u32_e32 v183, v182, v183
	v_cndmask_b32_e64 v181, v181, v182, s43
	v_lshl_add_u32 v183, v183, 1, v112
	ds_read_u16 v183, v183
	s_waitcnt lgkmcnt(0)
	v_cndmask_b32_e64 v196, v183, v198, s43
	v_cndmask_b32_e64 v226, v225, v183, s43
	v_cmpx_lt_u32_e64 v179, v114
	s_cbranch_execz .LBB872_518
; %bb.515:
	s_mov_b32 s46, 0
	s_mov_b32 s44, exec_lo
	v_cmpx_lt_u32_e64 v181, v115
	s_cbranch_execz .LBB872_517
; %bb.516:
	v_mov_b32_e32 v182, 1
	v_lshlrev_b32_sdwa v183, v182, v196 dst_sel:DWORD dst_unused:UNUSED_PAD src0_sel:DWORD src1_sel:WORD_0
	v_lshlrev_b32_sdwa v192, v182, v226 dst_sel:DWORD dst_unused:UNUSED_PAD src0_sel:DWORD src1_sel:WORD_0
	v_add_co_u32 v182, vcc_lo, v6, v183
	v_add_co_ci_u32_e64 v183, null, 0, v7, vcc_lo
	v_add_co_u32 v227, vcc_lo, v6, v192
	v_add_co_ci_u32_e64 v228, null, 0, v7, vcc_lo
	s_clause 0x1
	flat_load_ushort v182, v[182:183]
	flat_load_ushort v183, v[227:228]
	s_waitcnt vmcnt(0) lgkmcnt(0)
	v_cmp_ge_u16_e32 vcc_lo, v182, v183
	s_and_b32 s46, vcc_lo, exec_lo
.LBB872_517:
	s_or_b32 exec_lo, exec_lo, s44
	s_orn2_b32 s44, s46, exec_lo
.LBB872_518:
	s_or_b32 exec_lo, exec_lo, s45
	v_cndmask_b32_e64 v182, v179, v181, s44
	v_cndmask_b32_e64 v183, v114, v115, s44
	s_mov_b32 s46, -1
	s_mov_b32 s45, -1
	s_mov_b32 s47, exec_lo
	v_add_nc_u32_e32 v182, 1, v182
	v_add_nc_u32_e32 v183, -1, v183
	v_cndmask_b32_e64 v179, v182, v179, s44
	v_min_u32_e32 v183, v182, v183
	v_cndmask_b32_e64 v181, v181, v182, s44
	v_lshl_add_u32 v183, v183, 1, v112
	ds_read_u16 v183, v183
	s_waitcnt lgkmcnt(0)
	v_cndmask_b32_e64 v195, v183, v196, s44
	v_cndmask_b32_e64 v227, v226, v183, s44
	v_cmpx_lt_u32_e64 v179, v114
	s_cbranch_execz .LBB872_522
; %bb.519:
	s_mov_b32 s56, 0
	s_mov_b32 s45, exec_lo
	v_cmpx_lt_u32_e64 v181, v115
	s_cbranch_execz .LBB872_521
; %bb.520:
	v_mov_b32_e32 v182, 1
	v_lshlrev_b32_sdwa v183, v182, v195 dst_sel:DWORD dst_unused:UNUSED_PAD src0_sel:DWORD src1_sel:WORD_0
	v_lshlrev_b32_sdwa v192, v182, v227 dst_sel:DWORD dst_unused:UNUSED_PAD src0_sel:DWORD src1_sel:WORD_0
	v_add_co_u32 v182, vcc_lo, v6, v183
	v_add_co_ci_u32_e64 v183, null, 0, v7, vcc_lo
	v_add_co_u32 v228, vcc_lo, v6, v192
	v_add_co_ci_u32_e64 v229, null, 0, v7, vcc_lo
	s_clause 0x1
	flat_load_ushort v182, v[182:183]
	flat_load_ushort v183, v[228:229]
	s_waitcnt vmcnt(0) lgkmcnt(0)
	v_cmp_ge_u16_e32 vcc_lo, v182, v183
	s_and_b32 s56, vcc_lo, exec_lo
.LBB872_521:
	s_or_b32 exec_lo, exec_lo, s45
	s_orn2_b32 s45, s56, exec_lo
.LBB872_522:
	s_or_b32 exec_lo, exec_lo, s47
	v_cndmask_b32_e64 v182, v179, v181, s45
	v_cndmask_b32_e64 v183, v114, v115, s45
	s_mov_b32 s47, exec_lo
	v_add_nc_u32_e32 v182, 1, v182
	v_add_nc_u32_e32 v183, -1, v183
	v_cndmask_b32_e64 v179, v182, v179, s45
	v_min_u32_e32 v183, v182, v183
	v_cndmask_b32_e64 v181, v181, v182, s45
	v_lshl_add_u32 v183, v183, 1, v112
	ds_read_u16 v183, v183
	s_waitcnt lgkmcnt(0)
	v_cndmask_b32_e64 v192, v183, v195, s45
	v_cndmask_b32_e64 v228, v227, v183, s45
	v_cmpx_lt_u32_e64 v179, v114
	s_cbranch_execz .LBB872_526
; %bb.523:
	s_mov_b32 s56, 0
	s_mov_b32 s46, exec_lo
	v_cmpx_lt_u32_e64 v181, v115
	s_cbranch_execz .LBB872_525
; %bb.524:
	v_mov_b32_e32 v182, 1
	v_lshlrev_b32_sdwa v183, v182, v192 dst_sel:DWORD dst_unused:UNUSED_PAD src0_sel:DWORD src1_sel:WORD_0
	v_lshlrev_b32_sdwa v229, v182, v228 dst_sel:DWORD dst_unused:UNUSED_PAD src0_sel:DWORD src1_sel:WORD_0
	v_add_co_u32 v182, vcc_lo, v6, v183
	v_add_co_ci_u32_e64 v183, null, 0, v7, vcc_lo
	v_add_co_u32 v229, vcc_lo, v6, v229
	v_add_co_ci_u32_e64 v230, null, 0, v7, vcc_lo
	s_clause 0x1
	flat_load_ushort v182, v[182:183]
	flat_load_ushort v183, v[229:230]
	s_waitcnt vmcnt(0) lgkmcnt(0)
	v_cmp_ge_u16_e32 vcc_lo, v182, v183
	s_and_b32 s56, vcc_lo, exec_lo
.LBB872_525:
	s_or_b32 exec_lo, exec_lo, s46
	s_orn2_b32 s46, s56, exec_lo
.LBB872_526:
	s_or_b32 exec_lo, exec_lo, s47
	v_cndmask_b32_e64 v182, v179, v181, s46
	v_cndmask_b32_e64 v183, v114, v115, s46
	s_mov_b32 s56, -1
	s_mov_b32 s47, -1
	s_mov_b32 s57, exec_lo
	v_add_nc_u32_e32 v182, 1, v182
	v_add_nc_u32_e32 v183, -1, v183
	v_cndmask_b32_e64 v179, v182, v179, s46
	v_min_u32_e32 v183, v182, v183
	v_cndmask_b32_e64 v181, v181, v182, s46
	v_lshl_add_u32 v183, v183, 1, v112
	ds_read_u16 v183, v183
	s_waitcnt lgkmcnt(0)
	v_cndmask_b32_e64 v182, v183, v192, s46
	v_cndmask_b32_e64 v229, v228, v183, s46
	v_cmpx_lt_u32_e64 v179, v114
	s_cbranch_execz .LBB872_530
; %bb.527:
	s_mov_b32 s58, 0
	s_mov_b32 s47, exec_lo
	v_cmpx_lt_u32_e64 v181, v115
	s_cbranch_execz .LBB872_529
; %bb.528:
	v_mov_b32_e32 v183, 1
	v_lshlrev_b32_sdwa v230, v183, v182 dst_sel:DWORD dst_unused:UNUSED_PAD src0_sel:DWORD src1_sel:WORD_0
	v_lshlrev_b32_sdwa v183, v183, v229 dst_sel:DWORD dst_unused:UNUSED_PAD src0_sel:DWORD src1_sel:WORD_0
	v_add_co_u32 v230, vcc_lo, v6, v230
	v_add_co_ci_u32_e64 v231, null, 0, v7, vcc_lo
	v_add_co_u32 v240, vcc_lo, v6, v183
	v_add_co_ci_u32_e64 v241, null, 0, v7, vcc_lo
	s_clause 0x1
	flat_load_ushort v183, v[230:231]
	flat_load_ushort v230, v[240:241]
	s_waitcnt vmcnt(0) lgkmcnt(0)
	v_cmp_ge_u16_e32 vcc_lo, v183, v230
	s_and_b32 s58, vcc_lo, exec_lo
.LBB872_529:
	s_or_b32 exec_lo, exec_lo, s47
	s_orn2_b32 s47, s58, exec_lo
.LBB872_530:
	s_or_b32 exec_lo, exec_lo, s57
	v_cndmask_b32_e64 v183, v179, v181, s47
	v_cndmask_b32_e64 v230, v114, v115, s47
	s_mov_b32 s57, exec_lo
	v_add_nc_u32_e32 v183, 1, v183
	v_add_nc_u32_e32 v230, -1, v230
	v_cndmask_b32_e64 v179, v183, v179, s47
	v_min_u32_e32 v230, v183, v230
	v_cndmask_b32_e64 v181, v181, v183, s47
	v_lshl_add_u32 v230, v230, 1, v112
	ds_read_u16 v230, v230
	s_waitcnt lgkmcnt(0)
	v_cndmask_b32_e64 v183, v230, v182, s47
	v_cndmask_b32_e64 v230, v229, v230, s47
	v_cmpx_lt_u32_e64 v179, v114
	s_cbranch_execz .LBB872_534
; %bb.531:
	s_mov_b32 s58, 0
	s_mov_b32 s56, exec_lo
	v_cmpx_lt_u32_e64 v181, v115
	s_cbranch_execz .LBB872_533
; %bb.532:
	v_mov_b32_e32 v231, 1
	v_lshlrev_b32_sdwa v240, v231, v183 dst_sel:DWORD dst_unused:UNUSED_PAD src0_sel:DWORD src1_sel:WORD_0
	v_lshlrev_b32_sdwa v231, v231, v230 dst_sel:DWORD dst_unused:UNUSED_PAD src0_sel:DWORD src1_sel:WORD_0
	v_add_co_u32 v240, vcc_lo, v6, v240
	v_add_co_ci_u32_e64 v241, null, 0, v7, vcc_lo
	v_add_co_u32 v242, vcc_lo, v6, v231
	v_add_co_ci_u32_e64 v243, null, 0, v7, vcc_lo
	s_clause 0x1
	flat_load_ushort v231, v[240:241]
	flat_load_ushort v240, v[242:243]
	s_waitcnt vmcnt(0) lgkmcnt(0)
	v_cmp_ge_u16_e32 vcc_lo, v231, v240
	s_and_b32 s58, vcc_lo, exec_lo
.LBB872_533:
	s_or_b32 exec_lo, exec_lo, s56
	s_orn2_b32 s56, s58, exec_lo
.LBB872_534:
	s_or_b32 exec_lo, exec_lo, s57
	v_cndmask_b32_e64 v231, v179, v181, s56
	v_cndmask_b32_e64 v240, v114, v115, s56
	s_mov_b32 s57, -1
	s_mov_b32 s58, -1
	s_mov_b32 s59, exec_lo
	v_add_nc_u32_e32 v231, 1, v231
	v_add_nc_u32_e32 v240, -1, v240
	v_cndmask_b32_e64 v179, v231, v179, s56
	v_min_u32_e32 v240, v231, v240
	v_lshl_add_u32 v240, v240, 1, v112
	ds_read_u16 v241, v240
	v_cndmask_b32_e64 v240, v181, v231, s56
	s_waitcnt lgkmcnt(0)
	v_cndmask_b32_e64 v181, v241, v183, s56
	v_cndmask_b32_e64 v231, v230, v241, s56
	v_cmpx_lt_u32_e64 v179, v114
	s_cbranch_execz .LBB872_538
; %bb.535:
	s_mov_b32 s60, 0
	s_mov_b32 s58, exec_lo
	v_cmpx_lt_u32_e64 v240, v115
	s_cbranch_execz .LBB872_537
; %bb.536:
	v_mov_b32_e32 v241, 1
	v_lshlrev_b32_sdwa v242, v241, v181 dst_sel:DWORD dst_unused:UNUSED_PAD src0_sel:DWORD src1_sel:WORD_0
	v_lshlrev_b32_sdwa v243, v241, v231 dst_sel:DWORD dst_unused:UNUSED_PAD src0_sel:DWORD src1_sel:WORD_0
	v_add_co_u32 v241, vcc_lo, v6, v242
	v_add_co_ci_u32_e64 v242, null, 0, v7, vcc_lo
	v_add_co_u32 v243, vcc_lo, v6, v243
	v_add_co_ci_u32_e64 v244, null, 0, v7, vcc_lo
	s_clause 0x1
	flat_load_ushort v241, v[241:242]
	flat_load_ushort v242, v[243:244]
	s_waitcnt vmcnt(0) lgkmcnt(0)
	v_cmp_ge_u16_e32 vcc_lo, v241, v242
	s_and_b32 s60, vcc_lo, exec_lo
.LBB872_537:
	s_or_b32 exec_lo, exec_lo, s58
	s_orn2_b32 s58, s60, exec_lo
.LBB872_538:
	s_or_b32 exec_lo, exec_lo, s59
	v_cndmask_b32_e64 v241, v179, v240, s58
	v_cndmask_b32_e64 v242, v114, v115, s58
	s_mov_b32 s59, exec_lo
	v_add_nc_u32_e32 v241, 1, v241
	v_add_nc_u32_e32 v242, -1, v242
	v_cndmask_b32_e64 v179, v241, v179, s58
	v_min_u32_e32 v242, v241, v242
	v_cndmask_b32_e64 v240, v240, v241, s58
	v_lshl_add_u32 v242, v242, 1, v112
	ds_read_u16 v242, v242
	s_waitcnt lgkmcnt(0)
	v_cndmask_b32_e64 v243, v242, v181, s58
	v_cndmask_b32_e64 v244, v231, v242, s58
	v_cmpx_lt_u32_e64 v179, v114
	s_cbranch_execz .LBB872_542
; %bb.539:
	s_mov_b32 s60, 0
	s_mov_b32 s57, exec_lo
	v_cmpx_lt_u32_e64 v240, v115
	s_cbranch_execz .LBB872_541
; %bb.540:
	v_mov_b32_e32 v241, 1
	v_lshlrev_b32_sdwa v242, v241, v243 dst_sel:DWORD dst_unused:UNUSED_PAD src0_sel:DWORD src1_sel:WORD_0
	v_lshlrev_b32_sdwa v245, v241, v244 dst_sel:DWORD dst_unused:UNUSED_PAD src0_sel:DWORD src1_sel:WORD_0
	v_add_co_u32 v241, vcc_lo, v6, v242
	v_add_co_ci_u32_e64 v242, null, 0, v7, vcc_lo
	v_add_co_u32 v245, vcc_lo, v6, v245
	v_add_co_ci_u32_e64 v246, null, 0, v7, vcc_lo
	s_clause 0x1
	flat_load_ushort v241, v[241:242]
	flat_load_ushort v242, v[245:246]
	s_waitcnt vmcnt(0) lgkmcnt(0)
	v_cmp_ge_u16_e32 vcc_lo, v241, v242
	s_and_b32 s60, vcc_lo, exec_lo
.LBB872_541:
	s_or_b32 exec_lo, exec_lo, s57
	s_orn2_b32 s57, s60, exec_lo
.LBB872_542:
	s_or_b32 exec_lo, exec_lo, s59
	v_cndmask_b32_e64 v241, v179, v240, s57
	v_cndmask_b32_e64 v242, v114, v115, s57
	s_mov_b32 s59, exec_lo
	v_add_nc_u32_e32 v241, 1, v241
	v_add_nc_u32_e32 v242, -1, v242
	v_min_u32_e32 v242, v241, v242
	v_lshl_add_u32 v112, v242, 1, v112
	v_cndmask_b32_e64 v242, v241, v179, s57
	ds_read_u16 v112, v112
	s_waitcnt lgkmcnt(0)
	v_cndmask_b32_e64 v179, v244, v112, s57
	v_cmpx_lt_u32_e64 v242, v114
	s_cbranch_execz .LBB872_546
; %bb.543:
	v_cndmask_b32_e64 v114, v240, v241, s57
	v_cndmask_b32_e64 v112, v112, v243, s57
	s_mov_b32 s60, exec_lo
	v_cmpx_lt_u32_e64 v114, v115
	s_cbranch_execz .LBB872_545
; %bb.544:
	v_mov_b32_e32 v114, 1
	v_lshlrev_b32_sdwa v115, v114, v112 dst_sel:DWORD dst_unused:UNUSED_PAD src0_sel:DWORD src1_sel:WORD_0
	v_lshlrev_b32_sdwa v240, v114, v179 dst_sel:DWORD dst_unused:UNUSED_PAD src0_sel:DWORD src1_sel:WORD_0
	v_add_co_u32 v114, vcc_lo, v6, v115
	v_add_co_ci_u32_e64 v115, null, 0, v7, vcc_lo
	v_add_co_u32 v240, vcc_lo, v6, v240
	v_add_co_ci_u32_e64 v241, null, 0, v7, vcc_lo
	s_clause 0x1
	flat_load_ushort v114, v[114:115]
	flat_load_ushort v115, v[240:241]
	s_waitcnt vmcnt(0) lgkmcnt(0)
	v_cmp_lt_u16_e32 vcc_lo, v114, v115
	v_cndmask_b32_e32 v112, v179, v112, vcc_lo
.LBB872_545:
	s_or_b32 exec_lo, exec_lo, s60
	v_mov_b32_e32 v179, v112
.LBB872_546:
	s_or_b32 exec_lo, exec_lo, s59
	v_cndmask_b32_e64 v181, v181, v231, s58
	v_cndmask_b32_e64 v183, v183, v230, s56
	;; [unrolled: 1-line block ×31, first 2 shown]
.LBB872_547:
	s_or_b32 exec_lo, exec_lo, s5
	v_lshlrev_b32_e32 v112, 1, v11
	v_mov_b32_e32 v176, 1
	s_movk_i32 s5, 0x200
	; wave barrier
	v_add_nc_u32_e32 v113, 2, v112
	v_add_nc_u32_e32 v114, 4, v112
	;; [unrolled: 1-line block ×31, first 2 shown]
	s_waitcnt lgkmcnt(0)
	s_barrier
	buffer_gl0_inv
.LBB872_548:                            ; =>This Loop Header: Depth=1
                                        ;     Child Loop BB872_550 Depth 2
	s_lshl_b32 s6, s5, 1
	ds_write_b16 v112, v193
	ds_write_b16 v113, v194
	;; [unrolled: 1-line block ×5, first 2 shown]
	s_sub_i32 s4, 0, s6
	ds_write_b16 v117, v241
	v_and_b32_e32 v243, s4, v11
	s_add_i32 s4, s6, -1
	ds_write_b16 v118, v228
	v_and_b32_e32 v244, s4, v11
	s_mov_b32 s4, exec_lo
	v_add_nc_u32_e32 v177, s5, v243
	ds_write_b16 v119, v231
	ds_write_b16 v128, v226
	;; [unrolled: 1-line block ×8, first 2 shown]
	v_min_u32_e32 v244, 0x2000, v244
	ds_write_b16 v135, v214
	ds_write_b16 v144, v210
	;; [unrolled: 1-line block ×4, first 2 shown]
	v_min_u32_e32 v177, 0x2000, v177
	ds_write_b16 v147, v212
	ds_write_b16 v148, v208
	;; [unrolled: 1-line block ×8, first 2 shown]
	v_add_nc_u32_e32 v178, s5, v177
	v_sub_nc_u32_e32 v246, v177, v243
	ds_write_b16 v163, v182
	ds_write_b16 v164, v183
	;; [unrolled: 1-line block ×5, first 2 shown]
	s_waitcnt lgkmcnt(0)
	s_barrier
	v_min_u32_e32 v178, 0x2000, v178
	v_min_u32_e32 v246, v244, v246
	buffer_gl0_inv
	v_sub_nc_u32_e32 v245, v178, v177
	v_sub_nc_u32_e64 v245, v244, v245 clamp
	v_cmpx_lt_u32_e64 v245, v246
	s_cbranch_execz .LBB872_552
; %bb.549:                              ;   in Loop: Header=BB872_548 Depth=1
	v_lshlrev_b32_e32 v247, 1, v243
	v_lshlrev_b32_e32 v40, 1, v177
	s_mov_b32 s7, 0
	s_inst_prefetch 0x1
	.p2align	6
.LBB872_550:                            ;   Parent Loop BB872_548 Depth=1
                                        ; =>  This Inner Loop Header: Depth=2
	v_add_nc_u32_e32 v41, v246, v245
	v_lshrrev_b32_e32 v45, 1, v41
	v_and_b32_e32 v41, -2, v41
	v_xad_u32 v42, v45, -1, v244
	v_add_nc_u32_e32 v41, v247, v41
	v_lshl_add_u32 v42, v42, 1, v40
	ds_read_u16 v41, v41
	ds_read_u16 v42, v42
	s_waitcnt lgkmcnt(1)
	v_lshlrev_b32_e32 v41, 1, v41
	s_waitcnt lgkmcnt(0)
	v_lshlrev_b32_e32 v43, 1, v42
	v_add_co_u32 v41, vcc_lo, v6, v41
	v_add_co_ci_u32_e64 v42, null, 0, v7, vcc_lo
	v_add_co_u32 v43, vcc_lo, v6, v43
	v_add_co_ci_u32_e64 v44, null, 0, v7, vcc_lo
	s_clause 0x1
	flat_load_ushort v43, v[43:44]
	flat_load_ushort v41, v[41:42]
	v_add_nc_u32_e32 v42, 1, v45
	s_waitcnt vmcnt(0) lgkmcnt(0)
	v_cmp_lt_u16_e32 vcc_lo, v43, v41
	v_cndmask_b32_e32 v246, v246, v45, vcc_lo
	v_cndmask_b32_e32 v245, v42, v245, vcc_lo
	v_cmp_ge_u32_e32 vcc_lo, v245, v246
	s_or_b32 s7, vcc_lo, s7
	s_andn2_b32 exec_lo, exec_lo, s7
	s_cbranch_execnz .LBB872_550
; %bb.551:                              ;   in Loop: Header=BB872_548 Depth=1
	s_inst_prefetch 0x2
	s_or_b32 exec_lo, exec_lo, s7
.LBB872_552:                            ;   in Loop: Header=BB872_548 Depth=1
	s_or_b32 exec_lo, exec_lo, s4
	v_sub_nc_u32_e32 v244, v244, v245
	v_add_nc_u32_e32 v243, v245, v243
	v_add_nc_u32_e32 v244, v244, v177
	v_cmp_le_u32_e32 vcc_lo, v243, v177
	v_cmp_le_u32_e64 s4, v244, v178
	s_or_b32 s4, vcc_lo, s4
	s_and_saveexec_b32 s7, s4
	s_cbranch_execz .LBB872_684
; %bb.553:                              ;   in Loop: Header=BB872_548 Depth=1
	s_mov_b32 s10, exec_lo
	v_cmp_ge_u32_e32 vcc_lo, v243, v177
                                        ; implicit-def: $vgpr180
	v_cmpx_lt_u32_e64 v243, v177
; %bb.554:                              ;   in Loop: Header=BB872_548 Depth=1
	v_lshlrev_b32_e32 v179, 1, v243
	ds_read_u16 v180, v179
; %bb.555:                              ;   in Loop: Header=BB872_548 Depth=1
	s_or_b32 exec_lo, exec_lo, s10
	v_cmp_ge_u32_e64 s10, v244, v178
	s_mov_b32 s11, exec_lo
                                        ; implicit-def: $vgpr193
	v_cmpx_lt_u32_e64 v244, v178
; %bb.556:                              ;   in Loop: Header=BB872_548 Depth=1
	v_lshlrev_b32_e32 v179, 1, v244
	ds_read_u16 v193, v179
; %bb.557:                              ;   in Loop: Header=BB872_548 Depth=1
	s_or_b32 exec_lo, exec_lo, s11
	s_nor_b32 s11, vcc_lo, s10
	s_and_saveexec_b32 s4, s11
	s_cbranch_execz .LBB872_559
; %bb.558:                              ;   in Loop: Header=BB872_548 Depth=1
	s_waitcnt lgkmcnt(0)
	v_lshlrev_b32_sdwa v179, v176, v193 dst_sel:DWORD dst_unused:UNUSED_PAD src0_sel:DWORD src1_sel:WORD_0
	v_lshlrev_b32_sdwa v183, v176, v180 dst_sel:DWORD dst_unused:UNUSED_PAD src0_sel:DWORD src1_sel:WORD_0
	s_andn2_b32 s10, s10, exec_lo
	v_add_co_u32 v181, vcc_lo, v6, v179
	v_add_co_ci_u32_e64 v182, null, 0, v7, vcc_lo
	v_add_co_u32 v194, vcc_lo, v6, v183
	v_add_co_ci_u32_e64 v195, null, 0, v7, vcc_lo
	s_clause 0x1
	flat_load_ushort v179, v[181:182]
	flat_load_ushort v181, v[194:195]
	s_waitcnt vmcnt(0) lgkmcnt(0)
	v_cmp_ge_u16_e32 vcc_lo, v179, v181
	s_and_b32 s11, vcc_lo, exec_lo
	s_or_b32 s10, s10, s11
.LBB872_559:                            ;   in Loop: Header=BB872_548 Depth=1
	s_or_b32 exec_lo, exec_lo, s4
	v_cndmask_b32_e64 v179, v244, v243, s10
	v_cndmask_b32_e64 v181, v178, v177, s10
	s_mov_b32 s11, -1
	s_mov_b32 s4, -1
	s_mov_b32 s14, exec_lo
	v_add_nc_u32_e32 v182, 1, v179
	v_add_nc_u32_e32 v179, -1, v181
	v_cndmask_b32_e64 v181, v243, v182, s10
	v_min_u32_e32 v179, v182, v179
	v_lshlrev_b32_e32 v179, 1, v179
	ds_read_u16 v183, v179
	v_cndmask_b32_e64 v179, v182, v244, s10
	s_waitcnt lgkmcnt(0)
	v_cndmask_b32_e64 v194, v183, v193, s10
	v_cndmask_b32_e64 v243, v180, v183, s10
	v_cmpx_lt_u32_e64 v179, v178
	s_cbranch_execz .LBB872_563
; %bb.560:                              ;   in Loop: Header=BB872_548 Depth=1
	s_mov_b32 s15, 0
	s_mov_b32 s4, exec_lo
	v_cmpx_lt_u32_e64 v181, v177
	s_cbranch_execz .LBB872_562
; %bb.561:                              ;   in Loop: Header=BB872_548 Depth=1
	v_lshlrev_b32_sdwa v182, v176, v194 dst_sel:DWORD dst_unused:UNUSED_PAD src0_sel:DWORD src1_sel:WORD_0
	v_lshlrev_b32_sdwa v192, v176, v243 dst_sel:DWORD dst_unused:UNUSED_PAD src0_sel:DWORD src1_sel:WORD_0
	v_add_co_u32 v182, vcc_lo, v6, v182
	v_add_co_ci_u32_e64 v183, null, 0, v7, vcc_lo
	v_add_co_u32 v195, vcc_lo, v6, v192
	v_add_co_ci_u32_e64 v196, null, 0, v7, vcc_lo
	s_clause 0x1
	flat_load_ushort v182, v[182:183]
	flat_load_ushort v183, v[195:196]
	s_waitcnt vmcnt(0) lgkmcnt(0)
	v_cmp_ge_u16_e32 vcc_lo, v182, v183
	s_and_b32 s15, vcc_lo, exec_lo
.LBB872_562:                            ;   in Loop: Header=BB872_548 Depth=1
	s_or_b32 exec_lo, exec_lo, s4
	s_orn2_b32 s4, s15, exec_lo
.LBB872_563:                            ;   in Loop: Header=BB872_548 Depth=1
	s_or_b32 exec_lo, exec_lo, s14
	v_cndmask_b32_e64 v182, v179, v181, s4
	v_cndmask_b32_e64 v183, v178, v177, s4
	s_mov_b32 s14, exec_lo
	v_add_nc_u32_e32 v182, 1, v182
	v_add_nc_u32_e32 v183, -1, v183
	v_cndmask_b32_e64 v179, v182, v179, s4
	v_min_u32_e32 v183, v182, v183
	v_cndmask_b32_e64 v181, v181, v182, s4
	v_lshlrev_b32_e32 v183, 1, v183
	ds_read_u16 v183, v183
	s_waitcnt lgkmcnt(0)
	v_cndmask_b32_e64 v240, v183, v194, s4
	v_cndmask_b32_e64 v244, v243, v183, s4
	v_cmpx_lt_u32_e64 v179, v178
	s_cbranch_execz .LBB872_567
; %bb.564:                              ;   in Loop: Header=BB872_548 Depth=1
	s_mov_b32 s15, 0
	s_mov_b32 s11, exec_lo
	v_cmpx_lt_u32_e64 v181, v177
	s_cbranch_execz .LBB872_566
; %bb.565:                              ;   in Loop: Header=BB872_548 Depth=1
	v_lshlrev_b32_sdwa v182, v176, v240 dst_sel:DWORD dst_unused:UNUSED_PAD src0_sel:DWORD src1_sel:WORD_0
	v_lshlrev_b32_sdwa v192, v176, v244 dst_sel:DWORD dst_unused:UNUSED_PAD src0_sel:DWORD src1_sel:WORD_0
	v_add_co_u32 v182, vcc_lo, v6, v182
	v_add_co_ci_u32_e64 v183, null, 0, v7, vcc_lo
	v_add_co_u32 v195, vcc_lo, v6, v192
	v_add_co_ci_u32_e64 v196, null, 0, v7, vcc_lo
	s_clause 0x1
	flat_load_ushort v182, v[182:183]
	flat_load_ushort v183, v[195:196]
	s_waitcnt vmcnt(0) lgkmcnt(0)
	v_cmp_ge_u16_e32 vcc_lo, v182, v183
	s_and_b32 s15, vcc_lo, exec_lo
.LBB872_566:                            ;   in Loop: Header=BB872_548 Depth=1
	s_or_b32 exec_lo, exec_lo, s11
	s_orn2_b32 s11, s15, exec_lo
.LBB872_567:                            ;   in Loop: Header=BB872_548 Depth=1
	s_or_b32 exec_lo, exec_lo, s14
	v_cndmask_b32_e64 v182, v179, v181, s11
	v_cndmask_b32_e64 v183, v178, v177, s11
	s_mov_b32 s15, -1
	s_mov_b32 s14, -1
	s_mov_b32 s16, exec_lo
	v_add_nc_u32_e32 v182, 1, v182
	v_add_nc_u32_e32 v183, -1, v183
	v_cndmask_b32_e64 v179, v182, v179, s11
	v_min_u32_e32 v183, v182, v183
	v_cndmask_b32_e64 v181, v181, v182, s11
	v_lshlrev_b32_e32 v183, 1, v183
	ds_read_u16 v183, v183
	s_waitcnt lgkmcnt(0)
	v_cndmask_b32_e64 v242, v183, v240, s11
	v_cndmask_b32_e64 v245, v244, v183, s11
	v_cmpx_lt_u32_e64 v179, v178
	s_cbranch_execz .LBB872_571
; %bb.568:                              ;   in Loop: Header=BB872_548 Depth=1
	s_mov_b32 s17, 0
	s_mov_b32 s14, exec_lo
	v_cmpx_lt_u32_e64 v181, v177
	s_cbranch_execz .LBB872_570
; %bb.569:                              ;   in Loop: Header=BB872_548 Depth=1
	v_lshlrev_b32_sdwa v182, v176, v242 dst_sel:DWORD dst_unused:UNUSED_PAD src0_sel:DWORD src1_sel:WORD_0
	v_lshlrev_b32_sdwa v192, v176, v245 dst_sel:DWORD dst_unused:UNUSED_PAD src0_sel:DWORD src1_sel:WORD_0
	v_add_co_u32 v182, vcc_lo, v6, v182
	v_add_co_ci_u32_e64 v183, null, 0, v7, vcc_lo
	v_add_co_u32 v195, vcc_lo, v6, v192
	v_add_co_ci_u32_e64 v196, null, 0, v7, vcc_lo
	s_clause 0x1
	flat_load_ushort v182, v[182:183]
	flat_load_ushort v183, v[195:196]
	s_waitcnt vmcnt(0) lgkmcnt(0)
	v_cmp_ge_u16_e32 vcc_lo, v182, v183
	s_and_b32 s17, vcc_lo, exec_lo
.LBB872_570:                            ;   in Loop: Header=BB872_548 Depth=1
	s_or_b32 exec_lo, exec_lo, s14
	s_orn2_b32 s14, s17, exec_lo
.LBB872_571:                            ;   in Loop: Header=BB872_548 Depth=1
	s_or_b32 exec_lo, exec_lo, s16
	v_cndmask_b32_e64 v182, v179, v181, s14
	v_cndmask_b32_e64 v183, v178, v177, s14
	s_mov_b32 s16, exec_lo
	v_add_nc_u32_e32 v182, 1, v182
	v_add_nc_u32_e32 v183, -1, v183
	v_cndmask_b32_e64 v179, v182, v179, s14
	v_min_u32_e32 v183, v182, v183
	v_cndmask_b32_e64 v181, v181, v182, s14
	v_lshlrev_b32_e32 v183, 1, v183
	ds_read_u16 v183, v183
	s_waitcnt lgkmcnt(0)
	v_cndmask_b32_e64 v230, v183, v242, s14
	v_cndmask_b32_e64 v246, v245, v183, s14
	v_cmpx_lt_u32_e64 v179, v178
	s_cbranch_execz .LBB872_575
; %bb.572:                              ;   in Loop: Header=BB872_548 Depth=1
	s_mov_b32 s17, 0
	s_mov_b32 s15, exec_lo
	v_cmpx_lt_u32_e64 v181, v177
	s_cbranch_execz .LBB872_574
; %bb.573:                              ;   in Loop: Header=BB872_548 Depth=1
	v_lshlrev_b32_sdwa v182, v176, v230 dst_sel:DWORD dst_unused:UNUSED_PAD src0_sel:DWORD src1_sel:WORD_0
	v_lshlrev_b32_sdwa v192, v176, v246 dst_sel:DWORD dst_unused:UNUSED_PAD src0_sel:DWORD src1_sel:WORD_0
	v_add_co_u32 v182, vcc_lo, v6, v182
	v_add_co_ci_u32_e64 v183, null, 0, v7, vcc_lo
	v_add_co_u32 v195, vcc_lo, v6, v192
	v_add_co_ci_u32_e64 v196, null, 0, v7, vcc_lo
	s_clause 0x1
	flat_load_ushort v182, v[182:183]
	flat_load_ushort v183, v[195:196]
	s_waitcnt vmcnt(0) lgkmcnt(0)
	v_cmp_ge_u16_e32 vcc_lo, v182, v183
	s_and_b32 s17, vcc_lo, exec_lo
.LBB872_574:                            ;   in Loop: Header=BB872_548 Depth=1
	s_or_b32 exec_lo, exec_lo, s15
	s_orn2_b32 s15, s17, exec_lo
.LBB872_575:                            ;   in Loop: Header=BB872_548 Depth=1
	s_or_b32 exec_lo, exec_lo, s16
	v_cndmask_b32_e64 v182, v179, v181, s15
	v_cndmask_b32_e64 v183, v178, v177, s15
	s_mov_b32 s17, -1
	s_mov_b32 s16, -1
	s_mov_b32 s18, exec_lo
	v_add_nc_u32_e32 v182, 1, v182
	v_add_nc_u32_e32 v183, -1, v183
	v_cndmask_b32_e64 v179, v182, v179, s15
	v_min_u32_e32 v183, v182, v183
	v_cndmask_b32_e64 v181, v181, v182, s15
	v_lshlrev_b32_e32 v183, 1, v183
	ds_read_u16 v183, v183
	s_waitcnt lgkmcnt(0)
	v_cndmask_b32_e64 v241, v183, v230, s15
	v_cndmask_b32_e64 v247, v246, v183, s15
	v_cmpx_lt_u32_e64 v179, v178
	s_cbranch_execz .LBB872_579
; %bb.576:                              ;   in Loop: Header=BB872_548 Depth=1
	s_mov_b32 s19, 0
	s_mov_b32 s16, exec_lo
	v_cmpx_lt_u32_e64 v181, v177
	s_cbranch_execz .LBB872_578
; %bb.577:                              ;   in Loop: Header=BB872_548 Depth=1
	v_lshlrev_b32_sdwa v182, v176, v241 dst_sel:DWORD dst_unused:UNUSED_PAD src0_sel:DWORD src1_sel:WORD_0
	v_lshlrev_b32_sdwa v192, v176, v247 dst_sel:DWORD dst_unused:UNUSED_PAD src0_sel:DWORD src1_sel:WORD_0
	v_add_co_u32 v182, vcc_lo, v6, v182
	v_add_co_ci_u32_e64 v183, null, 0, v7, vcc_lo
	v_add_co_u32 v195, vcc_lo, v6, v192
	v_add_co_ci_u32_e64 v196, null, 0, v7, vcc_lo
	s_clause 0x1
	flat_load_ushort v182, v[182:183]
	flat_load_ushort v183, v[195:196]
	s_waitcnt vmcnt(0) lgkmcnt(0)
	v_cmp_ge_u16_e32 vcc_lo, v182, v183
	s_and_b32 s19, vcc_lo, exec_lo
.LBB872_578:                            ;   in Loop: Header=BB872_548 Depth=1
	s_or_b32 exec_lo, exec_lo, s16
	s_orn2_b32 s16, s19, exec_lo
.LBB872_579:                            ;   in Loop: Header=BB872_548 Depth=1
	s_or_b32 exec_lo, exec_lo, s18
	v_cndmask_b32_e64 v182, v179, v181, s16
	v_cndmask_b32_e64 v183, v178, v177, s16
	s_mov_b32 s18, exec_lo
	v_add_nc_u32_e32 v182, 1, v182
	v_add_nc_u32_e32 v183, -1, v183
	v_cndmask_b32_e64 v179, v182, v179, s16
	v_min_u32_e32 v183, v182, v183
	v_cndmask_b32_e64 v181, v181, v182, s16
	v_lshlrev_b32_e32 v183, 1, v183
	ds_read_u16 v183, v183
	s_waitcnt lgkmcnt(0)
	v_cndmask_b32_e64 v228, v183, v241, s16
	v_cndmask_b32_e64 v40, v247, v183, s16
	v_cmpx_lt_u32_e64 v179, v178
	s_cbranch_execz .LBB872_583
; %bb.580:                              ;   in Loop: Header=BB872_548 Depth=1
	s_mov_b32 s19, 0
	s_mov_b32 s17, exec_lo
	v_cmpx_lt_u32_e64 v181, v177
	s_cbranch_execz .LBB872_582
; %bb.581:                              ;   in Loop: Header=BB872_548 Depth=1
	v_lshlrev_b32_sdwa v182, v176, v228 dst_sel:DWORD dst_unused:UNUSED_PAD src0_sel:DWORD src1_sel:WORD_0
	v_lshlrev_b32_sdwa v192, v176, v40 dst_sel:DWORD dst_unused:UNUSED_PAD src0_sel:DWORD src1_sel:WORD_0
	v_add_co_u32 v182, vcc_lo, v6, v182
	v_add_co_ci_u32_e64 v183, null, 0, v7, vcc_lo
	v_add_co_u32 v195, vcc_lo, v6, v192
	v_add_co_ci_u32_e64 v196, null, 0, v7, vcc_lo
	s_clause 0x1
	flat_load_ushort v182, v[182:183]
	flat_load_ushort v183, v[195:196]
	s_waitcnt vmcnt(0) lgkmcnt(0)
	v_cmp_ge_u16_e32 vcc_lo, v182, v183
	s_and_b32 s19, vcc_lo, exec_lo
.LBB872_582:                            ;   in Loop: Header=BB872_548 Depth=1
	s_or_b32 exec_lo, exec_lo, s17
	s_orn2_b32 s17, s19, exec_lo
.LBB872_583:                            ;   in Loop: Header=BB872_548 Depth=1
	s_or_b32 exec_lo, exec_lo, s18
	v_cndmask_b32_e64 v182, v179, v181, s17
	v_cndmask_b32_e64 v183, v178, v177, s17
	s_mov_b32 s19, -1
	s_mov_b32 s18, -1
	s_mov_b32 s20, exec_lo
	v_add_nc_u32_e32 v182, 1, v182
	v_add_nc_u32_e32 v183, -1, v183
	v_cndmask_b32_e64 v179, v182, v179, s17
	v_min_u32_e32 v183, v182, v183
	v_cndmask_b32_e64 v181, v181, v182, s17
	v_lshlrev_b32_e32 v183, 1, v183
	ds_read_u16 v183, v183
	s_waitcnt lgkmcnt(0)
	v_cndmask_b32_e64 v231, v183, v228, s17
	v_cndmask_b32_e64 v41, v40, v183, s17
	v_cmpx_lt_u32_e64 v179, v178
	s_cbranch_execz .LBB872_587
; %bb.584:                              ;   in Loop: Header=BB872_548 Depth=1
	s_mov_b32 s22, 0
	s_mov_b32 s18, exec_lo
	v_cmpx_lt_u32_e64 v181, v177
	s_cbranch_execz .LBB872_586
; %bb.585:                              ;   in Loop: Header=BB872_548 Depth=1
	v_lshlrev_b32_sdwa v182, v176, v231 dst_sel:DWORD dst_unused:UNUSED_PAD src0_sel:DWORD src1_sel:WORD_0
	v_lshlrev_b32_sdwa v192, v176, v41 dst_sel:DWORD dst_unused:UNUSED_PAD src0_sel:DWORD src1_sel:WORD_0
	v_add_co_u32 v182, vcc_lo, v6, v182
	v_add_co_ci_u32_e64 v183, null, 0, v7, vcc_lo
	v_add_co_u32 v195, vcc_lo, v6, v192
	v_add_co_ci_u32_e64 v196, null, 0, v7, vcc_lo
	s_clause 0x1
	flat_load_ushort v182, v[182:183]
	flat_load_ushort v183, v[195:196]
	s_waitcnt vmcnt(0) lgkmcnt(0)
	v_cmp_ge_u16_e32 vcc_lo, v182, v183
	s_and_b32 s22, vcc_lo, exec_lo
.LBB872_586:                            ;   in Loop: Header=BB872_548 Depth=1
	s_or_b32 exec_lo, exec_lo, s18
	s_orn2_b32 s18, s22, exec_lo
.LBB872_587:                            ;   in Loop: Header=BB872_548 Depth=1
	s_or_b32 exec_lo, exec_lo, s20
	v_cndmask_b32_e64 v182, v179, v181, s18
	v_cndmask_b32_e64 v183, v178, v177, s18
	s_mov_b32 s20, exec_lo
	v_add_nc_u32_e32 v182, 1, v182
	v_add_nc_u32_e32 v183, -1, v183
	v_cndmask_b32_e64 v179, v182, v179, s18
	v_min_u32_e32 v183, v182, v183
	v_cndmask_b32_e64 v181, v181, v182, s18
	v_lshlrev_b32_e32 v183, 1, v183
	ds_read_u16 v183, v183
	s_waitcnt lgkmcnt(0)
	v_cndmask_b32_e64 v226, v183, v231, s18
	v_cndmask_b32_e64 v42, v41, v183, s18
	v_cmpx_lt_u32_e64 v179, v178
	s_cbranch_execz .LBB872_591
; %bb.588:                              ;   in Loop: Header=BB872_548 Depth=1
	s_mov_b32 s22, 0
	s_mov_b32 s19, exec_lo
	v_cmpx_lt_u32_e64 v181, v177
	s_cbranch_execz .LBB872_590
; %bb.589:                              ;   in Loop: Header=BB872_548 Depth=1
	v_lshlrev_b32_sdwa v182, v176, v226 dst_sel:DWORD dst_unused:UNUSED_PAD src0_sel:DWORD src1_sel:WORD_0
	v_lshlrev_b32_sdwa v192, v176, v42 dst_sel:DWORD dst_unused:UNUSED_PAD src0_sel:DWORD src1_sel:WORD_0
	v_add_co_u32 v182, vcc_lo, v6, v182
	v_add_co_ci_u32_e64 v183, null, 0, v7, vcc_lo
	v_add_co_u32 v195, vcc_lo, v6, v192
	v_add_co_ci_u32_e64 v196, null, 0, v7, vcc_lo
	s_clause 0x1
	flat_load_ushort v182, v[182:183]
	flat_load_ushort v183, v[195:196]
	s_waitcnt vmcnt(0) lgkmcnt(0)
	v_cmp_ge_u16_e32 vcc_lo, v182, v183
	s_and_b32 s22, vcc_lo, exec_lo
.LBB872_590:                            ;   in Loop: Header=BB872_548 Depth=1
	s_or_b32 exec_lo, exec_lo, s19
	s_orn2_b32 s19, s22, exec_lo
.LBB872_591:                            ;   in Loop: Header=BB872_548 Depth=1
	s_or_b32 exec_lo, exec_lo, s20
	v_cndmask_b32_e64 v182, v179, v181, s19
	v_cndmask_b32_e64 v183, v178, v177, s19
	s_mov_b32 s22, -1
	s_mov_b32 s20, -1
	s_mov_b32 s23, exec_lo
	v_add_nc_u32_e32 v182, 1, v182
	v_add_nc_u32_e32 v183, -1, v183
	v_cndmask_b32_e64 v179, v182, v179, s19
	v_min_u32_e32 v183, v182, v183
	v_cndmask_b32_e64 v181, v181, v182, s19
	v_lshlrev_b32_e32 v183, 1, v183
	ds_read_u16 v183, v183
	s_waitcnt lgkmcnt(0)
	v_cndmask_b32_e64 v229, v183, v226, s19
	v_cndmask_b32_e64 v43, v42, v183, s19
	v_cmpx_lt_u32_e64 v179, v178
	s_cbranch_execz .LBB872_595
; %bb.592:                              ;   in Loop: Header=BB872_548 Depth=1
	s_mov_b32 s24, 0
	s_mov_b32 s20, exec_lo
	v_cmpx_lt_u32_e64 v181, v177
	s_cbranch_execz .LBB872_594
; %bb.593:                              ;   in Loop: Header=BB872_548 Depth=1
	v_lshlrev_b32_sdwa v182, v176, v229 dst_sel:DWORD dst_unused:UNUSED_PAD src0_sel:DWORD src1_sel:WORD_0
	v_lshlrev_b32_sdwa v192, v176, v43 dst_sel:DWORD dst_unused:UNUSED_PAD src0_sel:DWORD src1_sel:WORD_0
	v_add_co_u32 v182, vcc_lo, v6, v182
	v_add_co_ci_u32_e64 v183, null, 0, v7, vcc_lo
	v_add_co_u32 v195, vcc_lo, v6, v192
	v_add_co_ci_u32_e64 v196, null, 0, v7, vcc_lo
	s_clause 0x1
	flat_load_ushort v182, v[182:183]
	flat_load_ushort v183, v[195:196]
	s_waitcnt vmcnt(0) lgkmcnt(0)
	v_cmp_ge_u16_e32 vcc_lo, v182, v183
	s_and_b32 s24, vcc_lo, exec_lo
.LBB872_594:                            ;   in Loop: Header=BB872_548 Depth=1
	s_or_b32 exec_lo, exec_lo, s20
	s_orn2_b32 s20, s24, exec_lo
.LBB872_595:                            ;   in Loop: Header=BB872_548 Depth=1
	s_or_b32 exec_lo, exec_lo, s23
	v_cndmask_b32_e64 v182, v179, v181, s20
	v_cndmask_b32_e64 v183, v178, v177, s20
	s_mov_b32 s23, exec_lo
	v_add_nc_u32_e32 v182, 1, v182
	v_add_nc_u32_e32 v183, -1, v183
	v_cndmask_b32_e64 v179, v182, v179, s20
	v_min_u32_e32 v183, v182, v183
	v_cndmask_b32_e64 v181, v181, v182, s20
	v_lshlrev_b32_e32 v183, 1, v183
	ds_read_u16 v183, v183
	s_waitcnt lgkmcnt(0)
	v_cndmask_b32_e64 v225, v183, v229, s20
	v_cndmask_b32_e64 v44, v43, v183, s20
	v_cmpx_lt_u32_e64 v179, v178
	s_cbranch_execz .LBB872_599
; %bb.596:                              ;   in Loop: Header=BB872_548 Depth=1
	s_mov_b32 s24, 0
	s_mov_b32 s22, exec_lo
	v_cmpx_lt_u32_e64 v181, v177
	s_cbranch_execz .LBB872_598
; %bb.597:                              ;   in Loop: Header=BB872_548 Depth=1
	v_lshlrev_b32_sdwa v182, v176, v225 dst_sel:DWORD dst_unused:UNUSED_PAD src0_sel:DWORD src1_sel:WORD_0
	v_lshlrev_b32_sdwa v192, v176, v44 dst_sel:DWORD dst_unused:UNUSED_PAD src0_sel:DWORD src1_sel:WORD_0
	v_add_co_u32 v182, vcc_lo, v6, v182
	v_add_co_ci_u32_e64 v183, null, 0, v7, vcc_lo
	v_add_co_u32 v195, vcc_lo, v6, v192
	v_add_co_ci_u32_e64 v196, null, 0, v7, vcc_lo
	s_clause 0x1
	flat_load_ushort v182, v[182:183]
	flat_load_ushort v183, v[195:196]
	s_waitcnt vmcnt(0) lgkmcnt(0)
	v_cmp_ge_u16_e32 vcc_lo, v182, v183
	s_and_b32 s24, vcc_lo, exec_lo
.LBB872_598:                            ;   in Loop: Header=BB872_548 Depth=1
	s_or_b32 exec_lo, exec_lo, s22
	s_orn2_b32 s22, s24, exec_lo
.LBB872_599:                            ;   in Loop: Header=BB872_548 Depth=1
	s_or_b32 exec_lo, exec_lo, s23
	v_cndmask_b32_e64 v182, v179, v181, s22
	v_cndmask_b32_e64 v183, v178, v177, s22
	s_mov_b32 s24, -1
	s_mov_b32 s23, -1
	s_mov_b32 s25, exec_lo
	v_add_nc_u32_e32 v182, 1, v182
	v_add_nc_u32_e32 v183, -1, v183
	v_cndmask_b32_e64 v179, v182, v179, s22
	v_min_u32_e32 v183, v182, v183
	v_cndmask_b32_e64 v181, v181, v182, s22
	v_lshlrev_b32_e32 v183, 1, v183
	ds_read_u16 v183, v183
	s_waitcnt lgkmcnt(0)
	v_cndmask_b32_e64 v227, v183, v225, s22
	v_cndmask_b32_e64 v45, v44, v183, s22
	v_cmpx_lt_u32_e64 v179, v178
	s_cbranch_execz .LBB872_603
; %bb.600:                              ;   in Loop: Header=BB872_548 Depth=1
	s_mov_b32 s26, 0
	s_mov_b32 s23, exec_lo
	v_cmpx_lt_u32_e64 v181, v177
	s_cbranch_execz .LBB872_602
; %bb.601:                              ;   in Loop: Header=BB872_548 Depth=1
	v_lshlrev_b32_sdwa v182, v176, v227 dst_sel:DWORD dst_unused:UNUSED_PAD src0_sel:DWORD src1_sel:WORD_0
	v_lshlrev_b32_sdwa v192, v176, v45 dst_sel:DWORD dst_unused:UNUSED_PAD src0_sel:DWORD src1_sel:WORD_0
	v_add_co_u32 v182, vcc_lo, v6, v182
	v_add_co_ci_u32_e64 v183, null, 0, v7, vcc_lo
	v_add_co_u32 v195, vcc_lo, v6, v192
	v_add_co_ci_u32_e64 v196, null, 0, v7, vcc_lo
	s_clause 0x1
	flat_load_ushort v182, v[182:183]
	flat_load_ushort v183, v[195:196]
	s_waitcnt vmcnt(0) lgkmcnt(0)
	v_cmp_ge_u16_e32 vcc_lo, v182, v183
	s_and_b32 s26, vcc_lo, exec_lo
.LBB872_602:                            ;   in Loop: Header=BB872_548 Depth=1
	s_or_b32 exec_lo, exec_lo, s23
	s_orn2_b32 s23, s26, exec_lo
.LBB872_603:                            ;   in Loop: Header=BB872_548 Depth=1
	s_or_b32 exec_lo, exec_lo, s25
	v_cndmask_b32_e64 v182, v179, v181, s23
	v_cndmask_b32_e64 v183, v178, v177, s23
	s_mov_b32 s25, exec_lo
	v_add_nc_u32_e32 v182, 1, v182
	v_add_nc_u32_e32 v183, -1, v183
	v_cndmask_b32_e64 v179, v182, v179, s23
	v_min_u32_e32 v183, v182, v183
	v_cndmask_b32_e64 v181, v181, v182, s23
	v_lshlrev_b32_e32 v183, 1, v183
	ds_read_u16 v183, v183
	s_waitcnt lgkmcnt(0)
	v_cndmask_b32_e64 v215, v183, v227, s23
	v_cndmask_b32_e64 v46, v45, v183, s23
	v_cmpx_lt_u32_e64 v179, v178
	s_cbranch_execz .LBB872_607
; %bb.604:                              ;   in Loop: Header=BB872_548 Depth=1
	s_mov_b32 s26, 0
	s_mov_b32 s24, exec_lo
	v_cmpx_lt_u32_e64 v181, v177
	s_cbranch_execz .LBB872_606
; %bb.605:                              ;   in Loop: Header=BB872_548 Depth=1
	v_lshlrev_b32_sdwa v182, v176, v215 dst_sel:DWORD dst_unused:UNUSED_PAD src0_sel:DWORD src1_sel:WORD_0
	v_lshlrev_b32_sdwa v192, v176, v46 dst_sel:DWORD dst_unused:UNUSED_PAD src0_sel:DWORD src1_sel:WORD_0
	v_add_co_u32 v182, vcc_lo, v6, v182
	v_add_co_ci_u32_e64 v183, null, 0, v7, vcc_lo
	v_add_co_u32 v195, vcc_lo, v6, v192
	v_add_co_ci_u32_e64 v196, null, 0, v7, vcc_lo
	s_clause 0x1
	flat_load_ushort v182, v[182:183]
	flat_load_ushort v183, v[195:196]
	s_waitcnt vmcnt(0) lgkmcnt(0)
	v_cmp_ge_u16_e32 vcc_lo, v182, v183
	s_and_b32 s26, vcc_lo, exec_lo
.LBB872_606:                            ;   in Loop: Header=BB872_548 Depth=1
	s_or_b32 exec_lo, exec_lo, s24
	s_orn2_b32 s24, s26, exec_lo
.LBB872_607:                            ;   in Loop: Header=BB872_548 Depth=1
	s_or_b32 exec_lo, exec_lo, s25
	v_cndmask_b32_e64 v182, v179, v181, s24
	v_cndmask_b32_e64 v183, v178, v177, s24
	s_mov_b32 s26, -1
	s_mov_b32 s25, -1
	s_mov_b32 s27, exec_lo
	v_add_nc_u32_e32 v182, 1, v182
	v_add_nc_u32_e32 v183, -1, v183
	v_cndmask_b32_e64 v179, v182, v179, s24
	v_min_u32_e32 v183, v182, v183
	v_cndmask_b32_e64 v181, v181, v182, s24
	v_lshlrev_b32_e32 v183, 1, v183
	ds_read_u16 v183, v183
	s_waitcnt lgkmcnt(0)
	v_cndmask_b32_e64 v224, v183, v215, s24
	v_cndmask_b32_e64 v47, v46, v183, s24
	v_cmpx_lt_u32_e64 v179, v178
	s_cbranch_execz .LBB872_611
; %bb.608:                              ;   in Loop: Header=BB872_548 Depth=1
	s_mov_b32 s28, 0
	s_mov_b32 s25, exec_lo
	v_cmpx_lt_u32_e64 v181, v177
	s_cbranch_execz .LBB872_610
; %bb.609:                              ;   in Loop: Header=BB872_548 Depth=1
	v_lshlrev_b32_sdwa v182, v176, v224 dst_sel:DWORD dst_unused:UNUSED_PAD src0_sel:DWORD src1_sel:WORD_0
	v_lshlrev_b32_sdwa v192, v176, v47 dst_sel:DWORD dst_unused:UNUSED_PAD src0_sel:DWORD src1_sel:WORD_0
	v_add_co_u32 v182, vcc_lo, v6, v182
	v_add_co_ci_u32_e64 v183, null, 0, v7, vcc_lo
	v_add_co_u32 v195, vcc_lo, v6, v192
	v_add_co_ci_u32_e64 v196, null, 0, v7, vcc_lo
	s_clause 0x1
	flat_load_ushort v182, v[182:183]
	flat_load_ushort v183, v[195:196]
	s_waitcnt vmcnt(0) lgkmcnt(0)
	v_cmp_ge_u16_e32 vcc_lo, v182, v183
	s_and_b32 s28, vcc_lo, exec_lo
.LBB872_610:                            ;   in Loop: Header=BB872_548 Depth=1
	s_or_b32 exec_lo, exec_lo, s25
	s_orn2_b32 s25, s28, exec_lo
.LBB872_611:                            ;   in Loop: Header=BB872_548 Depth=1
	s_or_b32 exec_lo, exec_lo, s27
	v_cndmask_b32_e64 v182, v179, v181, s25
	v_cndmask_b32_e64 v183, v178, v177, s25
	s_mov_b32 s27, exec_lo
	v_add_nc_u32_e32 v182, 1, v182
	v_add_nc_u32_e32 v183, -1, v183
	v_cndmask_b32_e64 v179, v182, v179, s25
	v_min_u32_e32 v183, v182, v183
	v_cndmask_b32_e64 v181, v181, v182, s25
	v_lshlrev_b32_e32 v183, 1, v183
	ds_read_u16 v183, v183
	s_waitcnt lgkmcnt(0)
	v_cndmask_b32_e64 v213, v183, v224, s25
	v_cndmask_b32_e64 v56, v47, v183, s25
	v_cmpx_lt_u32_e64 v179, v178
	s_cbranch_execz .LBB872_615
; %bb.612:                              ;   in Loop: Header=BB872_548 Depth=1
	s_mov_b32 s28, 0
	s_mov_b32 s26, exec_lo
	v_cmpx_lt_u32_e64 v181, v177
	s_cbranch_execz .LBB872_614
; %bb.613:                              ;   in Loop: Header=BB872_548 Depth=1
	v_lshlrev_b32_sdwa v182, v176, v213 dst_sel:DWORD dst_unused:UNUSED_PAD src0_sel:DWORD src1_sel:WORD_0
	v_lshlrev_b32_sdwa v192, v176, v56 dst_sel:DWORD dst_unused:UNUSED_PAD src0_sel:DWORD src1_sel:WORD_0
	v_add_co_u32 v182, vcc_lo, v6, v182
	v_add_co_ci_u32_e64 v183, null, 0, v7, vcc_lo
	v_add_co_u32 v195, vcc_lo, v6, v192
	v_add_co_ci_u32_e64 v196, null, 0, v7, vcc_lo
	s_clause 0x1
	flat_load_ushort v182, v[182:183]
	flat_load_ushort v183, v[195:196]
	s_waitcnt vmcnt(0) lgkmcnt(0)
	v_cmp_ge_u16_e32 vcc_lo, v182, v183
	s_and_b32 s28, vcc_lo, exec_lo
.LBB872_614:                            ;   in Loop: Header=BB872_548 Depth=1
	s_or_b32 exec_lo, exec_lo, s26
	s_orn2_b32 s26, s28, exec_lo
.LBB872_615:                            ;   in Loop: Header=BB872_548 Depth=1
	s_or_b32 exec_lo, exec_lo, s27
	v_cndmask_b32_e64 v182, v179, v181, s26
	v_cndmask_b32_e64 v183, v178, v177, s26
	s_mov_b32 s28, -1
	s_mov_b32 s27, -1
	s_mov_b32 s29, exec_lo
	v_add_nc_u32_e32 v182, 1, v182
	v_add_nc_u32_e32 v183, -1, v183
	v_cndmask_b32_e64 v179, v182, v179, s26
	v_min_u32_e32 v183, v182, v183
	v_cndmask_b32_e64 v181, v181, v182, s26
	v_lshlrev_b32_e32 v183, 1, v183
	ds_read_u16 v183, v183
	s_waitcnt lgkmcnt(0)
	v_cndmask_b32_e64 v214, v183, v213, s26
	v_cndmask_b32_e64 v57, v56, v183, s26
	v_cmpx_lt_u32_e64 v179, v178
	s_cbranch_execz .LBB872_619
; %bb.616:                              ;   in Loop: Header=BB872_548 Depth=1
	s_mov_b32 s40, 0
	s_mov_b32 s27, exec_lo
	v_cmpx_lt_u32_e64 v181, v177
	s_cbranch_execz .LBB872_618
; %bb.617:                              ;   in Loop: Header=BB872_548 Depth=1
	v_lshlrev_b32_sdwa v182, v176, v214 dst_sel:DWORD dst_unused:UNUSED_PAD src0_sel:DWORD src1_sel:WORD_0
	v_lshlrev_b32_sdwa v192, v176, v57 dst_sel:DWORD dst_unused:UNUSED_PAD src0_sel:DWORD src1_sel:WORD_0
	v_add_co_u32 v182, vcc_lo, v6, v182
	v_add_co_ci_u32_e64 v183, null, 0, v7, vcc_lo
	v_add_co_u32 v195, vcc_lo, v6, v192
	v_add_co_ci_u32_e64 v196, null, 0, v7, vcc_lo
	s_clause 0x1
	flat_load_ushort v182, v[182:183]
	flat_load_ushort v183, v[195:196]
	s_waitcnt vmcnt(0) lgkmcnt(0)
	v_cmp_ge_u16_e32 vcc_lo, v182, v183
	s_and_b32 s40, vcc_lo, exec_lo
.LBB872_618:                            ;   in Loop: Header=BB872_548 Depth=1
	s_or_b32 exec_lo, exec_lo, s27
	s_orn2_b32 s27, s40, exec_lo
.LBB872_619:                            ;   in Loop: Header=BB872_548 Depth=1
	s_or_b32 exec_lo, exec_lo, s29
	v_cndmask_b32_e64 v182, v179, v181, s27
	v_cndmask_b32_e64 v183, v178, v177, s27
	s_mov_b32 s29, exec_lo
	v_add_nc_u32_e32 v182, 1, v182
	v_add_nc_u32_e32 v183, -1, v183
	v_cndmask_b32_e64 v179, v182, v179, s27
	v_min_u32_e32 v183, v182, v183
	v_cndmask_b32_e64 v181, v181, v182, s27
	v_lshlrev_b32_e32 v183, 1, v183
	ds_read_u16 v183, v183
	s_waitcnt lgkmcnt(0)
	v_cndmask_b32_e64 v210, v183, v214, s27
	v_cndmask_b32_e64 v58, v57, v183, s27
	v_cmpx_lt_u32_e64 v179, v178
	s_cbranch_execz .LBB872_623
; %bb.620:                              ;   in Loop: Header=BB872_548 Depth=1
	s_mov_b32 s40, 0
	s_mov_b32 s28, exec_lo
	v_cmpx_lt_u32_e64 v181, v177
	s_cbranch_execz .LBB872_622
; %bb.621:                              ;   in Loop: Header=BB872_548 Depth=1
	v_lshlrev_b32_sdwa v182, v176, v210 dst_sel:DWORD dst_unused:UNUSED_PAD src0_sel:DWORD src1_sel:WORD_0
	v_lshlrev_b32_sdwa v192, v176, v58 dst_sel:DWORD dst_unused:UNUSED_PAD src0_sel:DWORD src1_sel:WORD_0
	v_add_co_u32 v182, vcc_lo, v6, v182
	v_add_co_ci_u32_e64 v183, null, 0, v7, vcc_lo
	v_add_co_u32 v195, vcc_lo, v6, v192
	v_add_co_ci_u32_e64 v196, null, 0, v7, vcc_lo
	s_clause 0x1
	flat_load_ushort v182, v[182:183]
	flat_load_ushort v183, v[195:196]
	s_waitcnt vmcnt(0) lgkmcnt(0)
	v_cmp_ge_u16_e32 vcc_lo, v182, v183
	s_and_b32 s40, vcc_lo, exec_lo
.LBB872_622:                            ;   in Loop: Header=BB872_548 Depth=1
	s_or_b32 exec_lo, exec_lo, s28
	s_orn2_b32 s28, s40, exec_lo
.LBB872_623:                            ;   in Loop: Header=BB872_548 Depth=1
	s_or_b32 exec_lo, exec_lo, s29
	v_cndmask_b32_e64 v182, v179, v181, s28
	v_cndmask_b32_e64 v183, v178, v177, s28
	s_mov_b32 s40, -1
	s_mov_b32 s29, -1
	s_mov_b32 s41, exec_lo
	v_add_nc_u32_e32 v182, 1, v182
	v_add_nc_u32_e32 v183, -1, v183
	v_cndmask_b32_e64 v179, v182, v179, s28
	v_min_u32_e32 v183, v182, v183
	v_cndmask_b32_e64 v181, v181, v182, s28
	v_lshlrev_b32_e32 v183, 1, v183
	ds_read_u16 v183, v183
	s_waitcnt lgkmcnt(0)
	v_cndmask_b32_e64 v211, v183, v210, s28
	v_cndmask_b32_e64 v59, v58, v183, s28
	v_cmpx_lt_u32_e64 v179, v178
	s_cbranch_execz .LBB872_627
; %bb.624:                              ;   in Loop: Header=BB872_548 Depth=1
	s_mov_b32 s42, 0
	s_mov_b32 s29, exec_lo
	v_cmpx_lt_u32_e64 v181, v177
	s_cbranch_execz .LBB872_626
; %bb.625:                              ;   in Loop: Header=BB872_548 Depth=1
	v_lshlrev_b32_sdwa v182, v176, v211 dst_sel:DWORD dst_unused:UNUSED_PAD src0_sel:DWORD src1_sel:WORD_0
	v_lshlrev_b32_sdwa v192, v176, v59 dst_sel:DWORD dst_unused:UNUSED_PAD src0_sel:DWORD src1_sel:WORD_0
	v_add_co_u32 v182, vcc_lo, v6, v182
	v_add_co_ci_u32_e64 v183, null, 0, v7, vcc_lo
	v_add_co_u32 v195, vcc_lo, v6, v192
	v_add_co_ci_u32_e64 v196, null, 0, v7, vcc_lo
	s_clause 0x1
	flat_load_ushort v182, v[182:183]
	flat_load_ushort v183, v[195:196]
	s_waitcnt vmcnt(0) lgkmcnt(0)
	v_cmp_ge_u16_e32 vcc_lo, v182, v183
	s_and_b32 s42, vcc_lo, exec_lo
.LBB872_626:                            ;   in Loop: Header=BB872_548 Depth=1
	s_or_b32 exec_lo, exec_lo, s29
	s_orn2_b32 s29, s42, exec_lo
.LBB872_627:                            ;   in Loop: Header=BB872_548 Depth=1
	s_or_b32 exec_lo, exec_lo, s41
	v_cndmask_b32_e64 v182, v179, v181, s29
	v_cndmask_b32_e64 v183, v178, v177, s29
	s_mov_b32 s41, exec_lo
	v_add_nc_u32_e32 v182, 1, v182
	v_add_nc_u32_e32 v183, -1, v183
	v_cndmask_b32_e64 v179, v182, v179, s29
	v_min_u32_e32 v183, v182, v183
	v_cndmask_b32_e64 v181, v181, v182, s29
	v_lshlrev_b32_e32 v183, 1, v183
	ds_read_u16 v183, v183
	s_waitcnt lgkmcnt(0)
	v_cndmask_b32_e64 v199, v183, v211, s29
	v_cndmask_b32_e64 v60, v59, v183, s29
	v_cmpx_lt_u32_e64 v179, v178
	s_cbranch_execz .LBB872_631
; %bb.628:                              ;   in Loop: Header=BB872_548 Depth=1
	s_mov_b32 s42, 0
	s_mov_b32 s40, exec_lo
	v_cmpx_lt_u32_e64 v181, v177
	s_cbranch_execz .LBB872_630
; %bb.629:                              ;   in Loop: Header=BB872_548 Depth=1
	v_lshlrev_b32_sdwa v182, v176, v199 dst_sel:DWORD dst_unused:UNUSED_PAD src0_sel:DWORD src1_sel:WORD_0
	v_lshlrev_b32_sdwa v192, v176, v60 dst_sel:DWORD dst_unused:UNUSED_PAD src0_sel:DWORD src1_sel:WORD_0
	v_add_co_u32 v182, vcc_lo, v6, v182
	v_add_co_ci_u32_e64 v183, null, 0, v7, vcc_lo
	v_add_co_u32 v195, vcc_lo, v6, v192
	v_add_co_ci_u32_e64 v196, null, 0, v7, vcc_lo
	s_clause 0x1
	flat_load_ushort v182, v[182:183]
	flat_load_ushort v183, v[195:196]
	s_waitcnt vmcnt(0) lgkmcnt(0)
	v_cmp_ge_u16_e32 vcc_lo, v182, v183
	s_and_b32 s42, vcc_lo, exec_lo
.LBB872_630:                            ;   in Loop: Header=BB872_548 Depth=1
	s_or_b32 exec_lo, exec_lo, s40
	s_orn2_b32 s40, s42, exec_lo
.LBB872_631:                            ;   in Loop: Header=BB872_548 Depth=1
	s_or_b32 exec_lo, exec_lo, s41
	v_cndmask_b32_e64 v182, v179, v181, s40
	v_cndmask_b32_e64 v183, v178, v177, s40
	s_mov_b32 s42, -1
	s_mov_b32 s41, -1
	s_mov_b32 s43, exec_lo
	v_add_nc_u32_e32 v182, 1, v182
	v_add_nc_u32_e32 v183, -1, v183
	v_cndmask_b32_e64 v179, v182, v179, s40
	v_min_u32_e32 v183, v182, v183
	v_cndmask_b32_e64 v181, v181, v182, s40
	v_lshlrev_b32_e32 v183, 1, v183
	ds_read_u16 v183, v183
	s_waitcnt lgkmcnt(0)
	v_cndmask_b32_e64 v212, v183, v199, s40
	v_cndmask_b32_e64 v61, v60, v183, s40
	v_cmpx_lt_u32_e64 v179, v178
	s_cbranch_execz .LBB872_635
; %bb.632:                              ;   in Loop: Header=BB872_548 Depth=1
	s_mov_b32 s44, 0
	s_mov_b32 s41, exec_lo
	v_cmpx_lt_u32_e64 v181, v177
	s_cbranch_execz .LBB872_634
; %bb.633:                              ;   in Loop: Header=BB872_548 Depth=1
	v_lshlrev_b32_sdwa v182, v176, v212 dst_sel:DWORD dst_unused:UNUSED_PAD src0_sel:DWORD src1_sel:WORD_0
	v_lshlrev_b32_sdwa v192, v176, v61 dst_sel:DWORD dst_unused:UNUSED_PAD src0_sel:DWORD src1_sel:WORD_0
	v_add_co_u32 v182, vcc_lo, v6, v182
	v_add_co_ci_u32_e64 v183, null, 0, v7, vcc_lo
	v_add_co_u32 v195, vcc_lo, v6, v192
	v_add_co_ci_u32_e64 v196, null, 0, v7, vcc_lo
	s_clause 0x1
	flat_load_ushort v182, v[182:183]
	flat_load_ushort v183, v[195:196]
	s_waitcnt vmcnt(0) lgkmcnt(0)
	v_cmp_ge_u16_e32 vcc_lo, v182, v183
	s_and_b32 s44, vcc_lo, exec_lo
.LBB872_634:                            ;   in Loop: Header=BB872_548 Depth=1
	s_or_b32 exec_lo, exec_lo, s41
	s_orn2_b32 s41, s44, exec_lo
.LBB872_635:                            ;   in Loop: Header=BB872_548 Depth=1
	s_or_b32 exec_lo, exec_lo, s43
	v_cndmask_b32_e64 v182, v179, v181, s41
	v_cndmask_b32_e64 v183, v178, v177, s41
	s_mov_b32 s43, exec_lo
	v_add_nc_u32_e32 v182, 1, v182
	v_add_nc_u32_e32 v183, -1, v183
	v_cndmask_b32_e64 v179, v182, v179, s41
	v_min_u32_e32 v183, v182, v183
	v_cndmask_b32_e64 v181, v181, v182, s41
	v_lshlrev_b32_e32 v183, 1, v183
	ds_read_u16 v183, v183
	s_waitcnt lgkmcnt(0)
	v_cndmask_b32_e64 v208, v183, v212, s41
	v_cndmask_b32_e64 v62, v61, v183, s41
	v_cmpx_lt_u32_e64 v179, v178
	s_cbranch_execz .LBB872_639
; %bb.636:                              ;   in Loop: Header=BB872_548 Depth=1
	s_mov_b32 s44, 0
	s_mov_b32 s42, exec_lo
	v_cmpx_lt_u32_e64 v181, v177
	s_cbranch_execz .LBB872_638
; %bb.637:                              ;   in Loop: Header=BB872_548 Depth=1
	v_lshlrev_b32_sdwa v182, v176, v208 dst_sel:DWORD dst_unused:UNUSED_PAD src0_sel:DWORD src1_sel:WORD_0
	v_lshlrev_b32_sdwa v192, v176, v62 dst_sel:DWORD dst_unused:UNUSED_PAD src0_sel:DWORD src1_sel:WORD_0
	v_add_co_u32 v182, vcc_lo, v6, v182
	v_add_co_ci_u32_e64 v183, null, 0, v7, vcc_lo
	v_add_co_u32 v195, vcc_lo, v6, v192
	v_add_co_ci_u32_e64 v196, null, 0, v7, vcc_lo
	s_clause 0x1
	flat_load_ushort v182, v[182:183]
	flat_load_ushort v183, v[195:196]
	s_waitcnt vmcnt(0) lgkmcnt(0)
	v_cmp_ge_u16_e32 vcc_lo, v182, v183
	s_and_b32 s44, vcc_lo, exec_lo
.LBB872_638:                            ;   in Loop: Header=BB872_548 Depth=1
	s_or_b32 exec_lo, exec_lo, s42
	s_orn2_b32 s42, s44, exec_lo
.LBB872_639:                            ;   in Loop: Header=BB872_548 Depth=1
	s_or_b32 exec_lo, exec_lo, s43
	v_cndmask_b32_e64 v182, v179, v181, s42
	v_cndmask_b32_e64 v183, v178, v177, s42
	s_mov_b32 s44, -1
	s_mov_b32 s43, -1
	s_mov_b32 s45, exec_lo
	v_add_nc_u32_e32 v182, 1, v182
	v_add_nc_u32_e32 v183, -1, v183
	v_cndmask_b32_e64 v179, v182, v179, s42
	v_min_u32_e32 v183, v182, v183
	v_cndmask_b32_e64 v181, v181, v182, s42
	v_lshlrev_b32_e32 v183, 1, v183
	ds_read_u16 v183, v183
	s_waitcnt lgkmcnt(0)
	v_cndmask_b32_e64 v209, v183, v208, s42
	v_cndmask_b32_e64 v63, v62, v183, s42
	v_cmpx_lt_u32_e64 v179, v178
	s_cbranch_execz .LBB872_643
; %bb.640:                              ;   in Loop: Header=BB872_548 Depth=1
	s_mov_b32 s46, 0
	s_mov_b32 s43, exec_lo
	v_cmpx_lt_u32_e64 v181, v177
	s_cbranch_execz .LBB872_642
; %bb.641:                              ;   in Loop: Header=BB872_548 Depth=1
	v_lshlrev_b32_sdwa v182, v176, v209 dst_sel:DWORD dst_unused:UNUSED_PAD src0_sel:DWORD src1_sel:WORD_0
	v_lshlrev_b32_sdwa v192, v176, v63 dst_sel:DWORD dst_unused:UNUSED_PAD src0_sel:DWORD src1_sel:WORD_0
	v_add_co_u32 v182, vcc_lo, v6, v182
	v_add_co_ci_u32_e64 v183, null, 0, v7, vcc_lo
	v_add_co_u32 v195, vcc_lo, v6, v192
	v_add_co_ci_u32_e64 v196, null, 0, v7, vcc_lo
	s_clause 0x1
	flat_load_ushort v182, v[182:183]
	flat_load_ushort v183, v[195:196]
	s_waitcnt vmcnt(0) lgkmcnt(0)
	v_cmp_ge_u16_e32 vcc_lo, v182, v183
	s_and_b32 s46, vcc_lo, exec_lo
.LBB872_642:                            ;   in Loop: Header=BB872_548 Depth=1
	s_or_b32 exec_lo, exec_lo, s43
	s_orn2_b32 s43, s46, exec_lo
.LBB872_643:                            ;   in Loop: Header=BB872_548 Depth=1
	s_or_b32 exec_lo, exec_lo, s45
	v_cndmask_b32_e64 v182, v179, v181, s43
	v_cndmask_b32_e64 v183, v178, v177, s43
	s_mov_b32 s45, exec_lo
	v_add_nc_u32_e32 v182, 1, v182
	v_add_nc_u32_e32 v183, -1, v183
	v_cndmask_b32_e64 v179, v182, v179, s43
	v_min_u32_e32 v183, v182, v183
	v_cndmask_b32_e64 v181, v181, v182, s43
	v_lshlrev_b32_e32 v183, 1, v183
	ds_read_u16 v183, v183
	s_waitcnt lgkmcnt(0)
	v_cndmask_b32_e64 v197, v183, v209, s43
	v_cndmask_b32_e64 v72, v63, v183, s43
	v_cmpx_lt_u32_e64 v179, v178
	s_cbranch_execz .LBB872_647
; %bb.644:                              ;   in Loop: Header=BB872_548 Depth=1
	s_mov_b32 s46, 0
	s_mov_b32 s44, exec_lo
	v_cmpx_lt_u32_e64 v181, v177
	s_cbranch_execz .LBB872_646
; %bb.645:                              ;   in Loop: Header=BB872_548 Depth=1
	v_lshlrev_b32_sdwa v182, v176, v197 dst_sel:DWORD dst_unused:UNUSED_PAD src0_sel:DWORD src1_sel:WORD_0
	v_lshlrev_b32_sdwa v192, v176, v72 dst_sel:DWORD dst_unused:UNUSED_PAD src0_sel:DWORD src1_sel:WORD_0
	v_add_co_u32 v182, vcc_lo, v6, v182
	v_add_co_ci_u32_e64 v183, null, 0, v7, vcc_lo
	v_add_co_u32 v195, vcc_lo, v6, v192
	v_add_co_ci_u32_e64 v196, null, 0, v7, vcc_lo
	s_clause 0x1
	flat_load_ushort v182, v[182:183]
	flat_load_ushort v183, v[195:196]
	s_waitcnt vmcnt(0) lgkmcnt(0)
	v_cmp_ge_u16_e32 vcc_lo, v182, v183
	s_and_b32 s46, vcc_lo, exec_lo
.LBB872_646:                            ;   in Loop: Header=BB872_548 Depth=1
	s_or_b32 exec_lo, exec_lo, s44
	s_orn2_b32 s44, s46, exec_lo
.LBB872_647:                            ;   in Loop: Header=BB872_548 Depth=1
	s_or_b32 exec_lo, exec_lo, s45
	v_cndmask_b32_e64 v182, v179, v181, s44
	v_cndmask_b32_e64 v183, v178, v177, s44
	s_mov_b32 s46, -1
	s_mov_b32 s45, -1
	s_mov_b32 s47, exec_lo
	v_add_nc_u32_e32 v182, 1, v182
	v_add_nc_u32_e32 v183, -1, v183
	v_cndmask_b32_e64 v179, v182, v179, s44
	v_min_u32_e32 v183, v182, v183
	v_cndmask_b32_e64 v181, v181, v182, s44
	v_lshlrev_b32_e32 v183, 1, v183
	ds_read_u16 v183, v183
	s_waitcnt lgkmcnt(0)
	v_cndmask_b32_e64 v198, v183, v197, s44
	v_cndmask_b32_e64 v73, v72, v183, s44
	v_cmpx_lt_u32_e64 v179, v178
	s_cbranch_execz .LBB872_651
; %bb.648:                              ;   in Loop: Header=BB872_548 Depth=1
	s_mov_b32 s56, 0
	s_mov_b32 s45, exec_lo
	v_cmpx_lt_u32_e64 v181, v177
	s_cbranch_execz .LBB872_650
; %bb.649:                              ;   in Loop: Header=BB872_548 Depth=1
	v_lshlrev_b32_sdwa v182, v176, v198 dst_sel:DWORD dst_unused:UNUSED_PAD src0_sel:DWORD src1_sel:WORD_0
	v_lshlrev_b32_sdwa v192, v176, v73 dst_sel:DWORD dst_unused:UNUSED_PAD src0_sel:DWORD src1_sel:WORD_0
	v_add_co_u32 v182, vcc_lo, v6, v182
	v_add_co_ci_u32_e64 v183, null, 0, v7, vcc_lo
	v_add_co_u32 v195, vcc_lo, v6, v192
	v_add_co_ci_u32_e64 v196, null, 0, v7, vcc_lo
	s_clause 0x1
	flat_load_ushort v182, v[182:183]
	flat_load_ushort v183, v[195:196]
	s_waitcnt vmcnt(0) lgkmcnt(0)
	v_cmp_ge_u16_e32 vcc_lo, v182, v183
	s_and_b32 s56, vcc_lo, exec_lo
.LBB872_650:                            ;   in Loop: Header=BB872_548 Depth=1
	s_or_b32 exec_lo, exec_lo, s45
	s_orn2_b32 s45, s56, exec_lo
.LBB872_651:                            ;   in Loop: Header=BB872_548 Depth=1
	s_or_b32 exec_lo, exec_lo, s47
	v_cndmask_b32_e64 v182, v179, v181, s45
	v_cndmask_b32_e64 v183, v178, v177, s45
	s_mov_b32 s47, exec_lo
	v_add_nc_u32_e32 v182, 1, v182
	v_add_nc_u32_e32 v183, -1, v183
	v_cndmask_b32_e64 v179, v182, v179, s45
	v_min_u32_e32 v183, v182, v183
	v_cndmask_b32_e64 v181, v181, v182, s45
	v_lshlrev_b32_e32 v183, 1, v183
	ds_read_u16 v183, v183
	s_waitcnt lgkmcnt(0)
	v_cndmask_b32_e64 v196, v183, v198, s45
	v_cndmask_b32_e64 v74, v73, v183, s45
	v_cmpx_lt_u32_e64 v179, v178
	s_cbranch_execz .LBB872_655
; %bb.652:                              ;   in Loop: Header=BB872_548 Depth=1
	s_mov_b32 s56, 0
	s_mov_b32 s46, exec_lo
	v_cmpx_lt_u32_e64 v181, v177
	s_cbranch_execz .LBB872_654
; %bb.653:                              ;   in Loop: Header=BB872_548 Depth=1
	v_lshlrev_b32_sdwa v182, v176, v196 dst_sel:DWORD dst_unused:UNUSED_PAD src0_sel:DWORD src1_sel:WORD_0
	v_lshlrev_b32_sdwa v192, v176, v74 dst_sel:DWORD dst_unused:UNUSED_PAD src0_sel:DWORD src1_sel:WORD_0
	v_add_co_u32 v182, vcc_lo, v6, v182
	v_add_co_ci_u32_e64 v183, null, 0, v7, vcc_lo
	v_add_co_u32 v75, vcc_lo, v6, v192
	v_add_co_ci_u32_e64 v76, null, 0, v7, vcc_lo
	s_clause 0x1
	flat_load_ushort v182, v[182:183]
	flat_load_ushort v183, v[75:76]
	s_waitcnt vmcnt(0) lgkmcnt(0)
	v_cmp_ge_u16_e32 vcc_lo, v182, v183
	s_and_b32 s56, vcc_lo, exec_lo
.LBB872_654:                            ;   in Loop: Header=BB872_548 Depth=1
	s_or_b32 exec_lo, exec_lo, s46
	s_orn2_b32 s46, s56, exec_lo
.LBB872_655:                            ;   in Loop: Header=BB872_548 Depth=1
	s_or_b32 exec_lo, exec_lo, s47
	v_cndmask_b32_e64 v182, v179, v181, s46
	v_cndmask_b32_e64 v183, v178, v177, s46
	s_mov_b32 s56, -1
	s_mov_b32 s47, -1
	s_mov_b32 s57, exec_lo
	v_add_nc_u32_e32 v182, 1, v182
	v_add_nc_u32_e32 v183, -1, v183
	v_cndmask_b32_e64 v179, v182, v179, s46
	v_min_u32_e32 v183, v182, v183
	v_cndmask_b32_e64 v181, v181, v182, s46
	v_lshlrev_b32_e32 v183, 1, v183
	ds_read_u16 v183, v183
	s_waitcnt lgkmcnt(0)
	v_cndmask_b32_e64 v195, v183, v196, s46
	v_cndmask_b32_e64 v75, v74, v183, s46
	v_cmpx_lt_u32_e64 v179, v178
	s_cbranch_execz .LBB872_659
; %bb.656:                              ;   in Loop: Header=BB872_548 Depth=1
	s_mov_b32 s58, 0
	s_mov_b32 s47, exec_lo
	v_cmpx_lt_u32_e64 v181, v177
	s_cbranch_execz .LBB872_658
; %bb.657:                              ;   in Loop: Header=BB872_548 Depth=1
	v_lshlrev_b32_sdwa v182, v176, v195 dst_sel:DWORD dst_unused:UNUSED_PAD src0_sel:DWORD src1_sel:WORD_0
	v_lshlrev_b32_sdwa v192, v176, v75 dst_sel:DWORD dst_unused:UNUSED_PAD src0_sel:DWORD src1_sel:WORD_0
	v_add_co_u32 v182, vcc_lo, v6, v182
	v_add_co_ci_u32_e64 v183, null, 0, v7, vcc_lo
	v_add_co_u32 v76, vcc_lo, v6, v192
	v_add_co_ci_u32_e64 v77, null, 0, v7, vcc_lo
	s_clause 0x1
	flat_load_ushort v182, v[182:183]
	flat_load_ushort v183, v[76:77]
	s_waitcnt vmcnt(0) lgkmcnt(0)
	v_cmp_ge_u16_e32 vcc_lo, v182, v183
	s_and_b32 s58, vcc_lo, exec_lo
.LBB872_658:                            ;   in Loop: Header=BB872_548 Depth=1
	s_or_b32 exec_lo, exec_lo, s47
	s_orn2_b32 s47, s58, exec_lo
.LBB872_659:                            ;   in Loop: Header=BB872_548 Depth=1
	s_or_b32 exec_lo, exec_lo, s57
	v_cndmask_b32_e64 v182, v179, v181, s47
	v_cndmask_b32_e64 v183, v178, v177, s47
	s_mov_b32 s57, exec_lo
	v_add_nc_u32_e32 v182, 1, v182
	v_add_nc_u32_e32 v183, -1, v183
	v_cndmask_b32_e64 v179, v182, v179, s47
	v_min_u32_e32 v183, v182, v183
	v_cndmask_b32_e64 v181, v181, v182, s47
	v_lshlrev_b32_e32 v183, 1, v183
	ds_read_u16 v183, v183
	s_waitcnt lgkmcnt(0)
	v_cndmask_b32_e64 v192, v183, v195, s47
	v_cndmask_b32_e64 v76, v75, v183, s47
	v_cmpx_lt_u32_e64 v179, v178
	s_cbranch_execz .LBB872_663
; %bb.660:                              ;   in Loop: Header=BB872_548 Depth=1
	s_mov_b32 s58, 0
	s_mov_b32 s56, exec_lo
	v_cmpx_lt_u32_e64 v181, v177
	s_cbranch_execz .LBB872_662
; %bb.661:                              ;   in Loop: Header=BB872_548 Depth=1
	v_lshlrev_b32_sdwa v182, v176, v192 dst_sel:DWORD dst_unused:UNUSED_PAD src0_sel:DWORD src1_sel:WORD_0
	v_lshlrev_b32_sdwa v77, v176, v76 dst_sel:DWORD dst_unused:UNUSED_PAD src0_sel:DWORD src1_sel:WORD_0
	v_add_co_u32 v182, vcc_lo, v6, v182
	v_add_co_ci_u32_e64 v183, null, 0, v7, vcc_lo
	v_add_co_u32 v77, vcc_lo, v6, v77
	v_add_co_ci_u32_e64 v78, null, 0, v7, vcc_lo
	s_clause 0x1
	flat_load_ushort v182, v[182:183]
	flat_load_ushort v183, v[77:78]
	s_waitcnt vmcnt(0) lgkmcnt(0)
	v_cmp_ge_u16_e32 vcc_lo, v182, v183
	s_and_b32 s58, vcc_lo, exec_lo
.LBB872_662:                            ;   in Loop: Header=BB872_548 Depth=1
	s_or_b32 exec_lo, exec_lo, s56
	s_orn2_b32 s56, s58, exec_lo
.LBB872_663:                            ;   in Loop: Header=BB872_548 Depth=1
	s_or_b32 exec_lo, exec_lo, s57
	v_cndmask_b32_e64 v182, v179, v181, s56
	v_cndmask_b32_e64 v183, v178, v177, s56
	s_mov_b32 s58, -1
	s_mov_b32 s57, -1
	s_mov_b32 s59, exec_lo
	v_add_nc_u32_e32 v182, 1, v182
	v_add_nc_u32_e32 v183, -1, v183
	v_cndmask_b32_e64 v179, v182, v179, s56
	v_min_u32_e32 v183, v182, v183
	v_cndmask_b32_e64 v181, v181, v182, s56
	v_lshlrev_b32_e32 v183, 1, v183
	ds_read_u16 v183, v183
	s_waitcnt lgkmcnt(0)
	v_cndmask_b32_e64 v182, v183, v192, s56
	v_cndmask_b32_e64 v77, v76, v183, s56
	v_cmpx_lt_u32_e64 v179, v178
	s_cbranch_execz .LBB872_667
; %bb.664:                              ;   in Loop: Header=BB872_548 Depth=1
	s_mov_b32 s60, 0
	s_mov_b32 s57, exec_lo
	v_cmpx_lt_u32_e64 v181, v177
	s_cbranch_execz .LBB872_666
; %bb.665:                              ;   in Loop: Header=BB872_548 Depth=1
	v_lshlrev_b32_sdwa v183, v176, v182 dst_sel:DWORD dst_unused:UNUSED_PAD src0_sel:DWORD src1_sel:WORD_0
	v_lshlrev_b32_sdwa v88, v176, v77 dst_sel:DWORD dst_unused:UNUSED_PAD src0_sel:DWORD src1_sel:WORD_0
	v_add_co_u32 v78, vcc_lo, v6, v183
	v_add_co_ci_u32_e64 v79, null, 0, v7, vcc_lo
	v_add_co_u32 v88, vcc_lo, v6, v88
	v_add_co_ci_u32_e64 v89, null, 0, v7, vcc_lo
	s_clause 0x1
	flat_load_ushort v183, v[78:79]
	flat_load_ushort v78, v[88:89]
	s_waitcnt vmcnt(0) lgkmcnt(0)
	v_cmp_ge_u16_e32 vcc_lo, v183, v78
	s_and_b32 s60, vcc_lo, exec_lo
.LBB872_666:                            ;   in Loop: Header=BB872_548 Depth=1
	s_or_b32 exec_lo, exec_lo, s57
	s_orn2_b32 s57, s60, exec_lo
.LBB872_667:                            ;   in Loop: Header=BB872_548 Depth=1
	s_or_b32 exec_lo, exec_lo, s59
	v_cndmask_b32_e64 v183, v179, v181, s57
	v_cndmask_b32_e64 v78, v178, v177, s57
	s_mov_b32 s59, exec_lo
	v_add_nc_u32_e32 v183, 1, v183
	v_add_nc_u32_e32 v78, -1, v78
	v_cndmask_b32_e64 v179, v183, v179, s57
	v_min_u32_e32 v78, v183, v78
	v_cndmask_b32_e64 v181, v181, v183, s57
	v_lshlrev_b32_e32 v78, 1, v78
	ds_read_u16 v78, v78
	s_waitcnt lgkmcnt(0)
	v_cndmask_b32_e64 v183, v78, v182, s57
	v_cndmask_b32_e64 v78, v77, v78, s57
	v_cmpx_lt_u32_e64 v179, v178
	s_cbranch_execz .LBB872_671
; %bb.668:                              ;   in Loop: Header=BB872_548 Depth=1
	s_mov_b32 s60, 0
	s_mov_b32 s58, exec_lo
	v_cmpx_lt_u32_e64 v181, v177
	s_cbranch_execz .LBB872_670
; %bb.669:                              ;   in Loop: Header=BB872_548 Depth=1
	v_lshlrev_b32_sdwa v79, v176, v183 dst_sel:DWORD dst_unused:UNUSED_PAD src0_sel:DWORD src1_sel:WORD_0
	v_lshlrev_b32_sdwa v90, v176, v78 dst_sel:DWORD dst_unused:UNUSED_PAD src0_sel:DWORD src1_sel:WORD_0
	v_add_co_u32 v88, vcc_lo, v6, v79
	v_add_co_ci_u32_e64 v89, null, 0, v7, vcc_lo
	v_add_co_u32 v90, vcc_lo, v6, v90
	v_add_co_ci_u32_e64 v91, null, 0, v7, vcc_lo
	s_clause 0x1
	flat_load_ushort v79, v[88:89]
	flat_load_ushort v88, v[90:91]
	s_waitcnt vmcnt(0) lgkmcnt(0)
	v_cmp_ge_u16_e32 vcc_lo, v79, v88
	s_and_b32 s60, vcc_lo, exec_lo
.LBB872_670:                            ;   in Loop: Header=BB872_548 Depth=1
	s_or_b32 exec_lo, exec_lo, s58
	s_orn2_b32 s58, s60, exec_lo
.LBB872_671:                            ;   in Loop: Header=BB872_548 Depth=1
	s_or_b32 exec_lo, exec_lo, s59
	v_cndmask_b32_e64 v79, v179, v181, s58
	v_cndmask_b32_e64 v88, v178, v177, s58
	s_mov_b32 s59, -1
	s_mov_b32 s60, -1
	s_mov_b32 s61, exec_lo
	v_add_nc_u32_e32 v79, 1, v79
	v_add_nc_u32_e32 v88, -1, v88
	v_cndmask_b32_e64 v179, v79, v179, s58
	v_min_u32_e32 v88, v79, v88
	v_lshlrev_b32_e32 v88, 1, v88
	ds_read_u16 v89, v88
	v_cndmask_b32_e64 v88, v181, v79, s58
	s_waitcnt lgkmcnt(0)
	v_cndmask_b32_e64 v181, v89, v183, s58
	v_cndmask_b32_e64 v79, v78, v89, s58
	v_cmpx_lt_u32_e64 v179, v178
	s_cbranch_execz .LBB872_675
; %bb.672:                              ;   in Loop: Header=BB872_548 Depth=1
	s_mov_b32 s62, 0
	s_mov_b32 s60, exec_lo
	v_cmpx_lt_u32_e64 v88, v177
	s_cbranch_execz .LBB872_674
; %bb.673:                              ;   in Loop: Header=BB872_548 Depth=1
	v_lshlrev_b32_sdwa v89, v176, v181 dst_sel:DWORD dst_unused:UNUSED_PAD src0_sel:DWORD src1_sel:WORD_0
	v_lshlrev_b32_sdwa v91, v176, v79 dst_sel:DWORD dst_unused:UNUSED_PAD src0_sel:DWORD src1_sel:WORD_0
	v_add_co_u32 v89, vcc_lo, v6, v89
	v_add_co_ci_u32_e64 v90, null, 0, v7, vcc_lo
	v_add_co_u32 v91, vcc_lo, v6, v91
	v_add_co_ci_u32_e64 v92, null, 0, v7, vcc_lo
	s_clause 0x1
	flat_load_ushort v89, v[89:90]
	flat_load_ushort v90, v[91:92]
	s_waitcnt vmcnt(0) lgkmcnt(0)
	v_cmp_ge_u16_e32 vcc_lo, v89, v90
	s_and_b32 s62, vcc_lo, exec_lo
.LBB872_674:                            ;   in Loop: Header=BB872_548 Depth=1
	s_or_b32 exec_lo, exec_lo, s60
	s_orn2_b32 s60, s62, exec_lo
.LBB872_675:                            ;   in Loop: Header=BB872_548 Depth=1
	s_or_b32 exec_lo, exec_lo, s61
	v_cndmask_b32_e64 v89, v179, v88, s60
	v_cndmask_b32_e64 v90, v178, v177, s60
	s_mov_b32 s61, exec_lo
	v_add_nc_u32_e32 v89, 1, v89
	v_add_nc_u32_e32 v90, -1, v90
	v_cndmask_b32_e64 v179, v89, v179, s60
	v_min_u32_e32 v90, v89, v90
	v_lshlrev_b32_e32 v90, 1, v90
	ds_read_u16 v91, v90
	v_cndmask_b32_e64 v90, v88, v89, s60
	s_waitcnt lgkmcnt(0)
	v_cndmask_b32_e64 v88, v91, v181, s60
	v_cndmask_b32_e64 v89, v79, v91, s60
	v_cmpx_lt_u32_e64 v179, v178
	s_cbranch_execz .LBB872_679
; %bb.676:                              ;   in Loop: Header=BB872_548 Depth=1
	s_mov_b32 s62, 0
	s_mov_b32 s59, exec_lo
	v_cmpx_lt_u32_e64 v90, v177
	s_cbranch_execz .LBB872_678
; %bb.677:                              ;   in Loop: Header=BB872_548 Depth=1
	v_lshlrev_b32_sdwa v91, v176, v88 dst_sel:DWORD dst_unused:UNUSED_PAD src0_sel:DWORD src1_sel:WORD_0
	v_lshlrev_b32_sdwa v93, v176, v89 dst_sel:DWORD dst_unused:UNUSED_PAD src0_sel:DWORD src1_sel:WORD_0
	v_add_co_u32 v91, vcc_lo, v6, v91
	v_add_co_ci_u32_e64 v92, null, 0, v7, vcc_lo
	v_add_co_u32 v93, vcc_lo, v6, v93
	v_add_co_ci_u32_e64 v94, null, 0, v7, vcc_lo
	s_clause 0x1
	flat_load_ushort v91, v[91:92]
	flat_load_ushort v92, v[93:94]
	s_waitcnt vmcnt(0) lgkmcnt(0)
	v_cmp_ge_u16_e32 vcc_lo, v91, v92
	s_and_b32 s62, vcc_lo, exec_lo
.LBB872_678:                            ;   in Loop: Header=BB872_548 Depth=1
	s_or_b32 exec_lo, exec_lo, s59
	s_orn2_b32 s59, s62, exec_lo
.LBB872_679:                            ;   in Loop: Header=BB872_548 Depth=1
	s_or_b32 exec_lo, exec_lo, s61
	v_cndmask_b32_e64 v91, v179, v90, s59
	v_cndmask_b32_e64 v92, v178, v177, s59
	s_mov_b32 s61, exec_lo
	v_add_nc_u32_e32 v91, 1, v91
	v_add_nc_u32_e32 v92, -1, v92
	v_cndmask_b32_e64 v93, v91, v179, s59
	v_min_u32_e32 v92, v91, v92
	v_lshlrev_b32_e32 v92, 1, v92
	ds_read_u16 v92, v92
	s_waitcnt lgkmcnt(0)
	v_cndmask_b32_e64 v179, v89, v92, s59
	v_cmpx_lt_u32_e64 v93, v178
	s_cbranch_execz .LBB872_683
; %bb.680:                              ;   in Loop: Header=BB872_548 Depth=1
	v_cndmask_b32_e64 v90, v90, v91, s59
	v_cndmask_b32_e64 v178, v92, v88, s59
	s_mov_b32 s62, exec_lo
	v_cmpx_lt_u32_e64 v90, v177
	s_cbranch_execz .LBB872_682
; %bb.681:                              ;   in Loop: Header=BB872_548 Depth=1
	v_lshlrev_b32_sdwa v177, v176, v178 dst_sel:DWORD dst_unused:UNUSED_PAD src0_sel:DWORD src1_sel:WORD_0
	v_lshlrev_b32_sdwa v92, v176, v179 dst_sel:DWORD dst_unused:UNUSED_PAD src0_sel:DWORD src1_sel:WORD_0
	v_add_co_u32 v90, vcc_lo, v6, v177
	v_add_co_ci_u32_e64 v91, null, 0, v7, vcc_lo
	v_add_co_u32 v92, vcc_lo, v6, v92
	v_add_co_ci_u32_e64 v93, null, 0, v7, vcc_lo
	s_clause 0x1
	flat_load_ushort v177, v[90:91]
	flat_load_ushort v90, v[92:93]
	s_waitcnt vmcnt(0) lgkmcnt(0)
	v_cmp_lt_u16_e32 vcc_lo, v177, v90
	v_cndmask_b32_e32 v178, v179, v178, vcc_lo
.LBB872_682:                            ;   in Loop: Header=BB872_548 Depth=1
	s_or_b32 exec_lo, exec_lo, s62
	v_mov_b32_e32 v179, v178
.LBB872_683:                            ;   in Loop: Header=BB872_548 Depth=1
	s_or_b32 exec_lo, exec_lo, s61
	v_cndmask_b32_e64 v181, v181, v79, s60
	v_cndmask_b32_e64 v183, v183, v78, s58
	v_cndmask_b32_e64 v182, v182, v77, s57
	v_cndmask_b32_e64 v192, v192, v76, s56
	v_cndmask_b32_e64 v195, v195, v75, s47
	v_cndmask_b32_e64 v196, v196, v74, s46
	v_cndmask_b32_e64 v198, v198, v73, s45
	v_cndmask_b32_e64 v197, v197, v72, s44
	v_cndmask_b32_e64 v209, v209, v63, s43
	v_cndmask_b32_e64 v208, v208, v62, s42
	v_cndmask_b32_e64 v212, v212, v61, s41
	v_cndmask_b32_e64 v199, v199, v60, s40
	v_cndmask_b32_e64 v211, v211, v59, s29
	v_cndmask_b32_e64 v210, v210, v58, s28
	v_cndmask_b32_e64 v214, v214, v57, s27
	v_cndmask_b32_e64 v213, v213, v56, s26
	v_cndmask_b32_e64 v224, v224, v47, s25
	v_cndmask_b32_e64 v215, v215, v46, s24
	v_cndmask_b32_e64 v227, v227, v45, s23
	v_cndmask_b32_e64 v225, v225, v44, s22
	v_cndmask_b32_e64 v229, v229, v43, s20
	v_cndmask_b32_e64 v226, v226, v42, s19
	v_cndmask_b32_e64 v231, v231, v41, s18
	v_cndmask_b32_e64 v228, v228, v40, s17
	v_cndmask_b32_e64 v241, v241, v247, s16
	v_cndmask_b32_e64 v230, v230, v246, s15
	v_cndmask_b32_e64 v242, v242, v245, s14
	v_cndmask_b32_e64 v240, v240, v244, s11
	v_cndmask_b32_e64 v194, v194, v243, s4
	v_cndmask_b32_e64 v193, v193, v180, s10
	v_cndmask_b32_e64 v180, v88, v89, s59
.LBB872_684:                            ;   in Loop: Header=BB872_548 Depth=1
	s_or_b32 exec_lo, exec_lo, s7
	s_cmpk_lt_u32 s5, 0x1000
	s_barrier
	buffer_gl0_inv
	s_cbranch_scc0 .LBB872_767
; %bb.685:                              ;   in Loop: Header=BB872_548 Depth=1
	s_mov_b32 s5, s6
	s_branch .LBB872_548
.LBB872_686:
	s_andn2_saveexec_b32 s37, s21
	s_cbranch_execz .LBB872_768
.LBB872_687:
	v_cmp_lt_u32_e32 vcc_lo, v8, v0
                                        ; implicit-def: $vgpr9
	s_and_saveexec_b32 s5, vcc_lo
	s_cbranch_execz .LBB872_689
; %bb.688:
	s_waitcnt lgkmcnt(31)
	v_add_co_u32 v52, s4, v2, v10
	v_add_co_ci_u32_e64 v53, null, 0, v3, s4
	flat_load_ushort v9, v[52:53]
.LBB872_689:
	s_or_b32 exec_lo, exec_lo, s5
	v_cmp_lt_u32_e64 s4, v48, v0
                                        ; implicit-def: $vgpr52
	s_and_saveexec_b32 s6, s4
	s_cbranch_execz .LBB872_691
; %bb.690:
	s_waitcnt lgkmcnt(31)
	v_add_co_u32 v52, s5, v2, v10
	v_add_co_ci_u32_e64 v53, null, 0, v3, s5
	flat_load_ushort v52, v[52:53] offset:512
.LBB872_691:
	s_or_b32 exec_lo, exec_lo, s6
	v_cmp_lt_u32_e64 s5, v37, v0
                                        ; implicit-def: $vgpr53
	s_and_saveexec_b32 s7, s5
	s_cbranch_execz .LBB872_693
; %bb.692:
	v_add_co_u32 v53, s6, v2, v10
	v_add_co_ci_u32_e64 v54, null, 0, v3, s6
	flat_load_ushort v53, v[53:54] offset:1024
.LBB872_693:
	s_or_b32 exec_lo, exec_lo, s7
	v_cmp_lt_u32_e64 s6, v1, v0
                                        ; implicit-def: $vgpr54
	s_and_saveexec_b32 s10, s6
	s_cbranch_execz .LBB872_695
; %bb.694:
	v_add_co_u32 v54, s7, v2, v10
	v_add_co_ci_u32_e64 v55, null, 0, v3, s7
	flat_load_ushort v54, v[54:55] offset:1536
.LBB872_695:
	s_or_b32 exec_lo, exec_lo, s10
	v_cmp_lt_u32_e64 s7, v12, v0
                                        ; implicit-def: $vgpr55
	s_and_saveexec_b32 s11, s7
	s_cbranch_execz .LBB872_697
; %bb.696:
	v_lshlrev_b32_e32 v55, 1, v12
	v_add_co_u32 v64, s10, v2, v55
	v_add_co_ci_u32_e64 v65, null, 0, v3, s10
	flat_load_ushort v55, v[64:65]
.LBB872_697:
	s_or_b32 exec_lo, exec_lo, s11
	v_cmp_lt_u32_e64 s10, v51, v0
                                        ; implicit-def: $vgpr64
	s_and_saveexec_b32 s14, s10
	s_cbranch_execz .LBB872_699
; %bb.698:
	v_lshlrev_b32_e32 v64, 1, v51
	v_add_co_u32 v64, s11, v2, v64
	v_add_co_ci_u32_e64 v65, null, 0, v3, s11
	flat_load_ushort v64, v[64:65]
.LBB872_699:
	s_or_b32 exec_lo, exec_lo, s14
	v_cmp_lt_u32_e64 s11, v13, v0
                                        ; implicit-def: $vgpr66
	s_and_saveexec_b32 s15, s11
	s_cbranch_execz .LBB872_701
; %bb.700:
	v_lshlrev_b32_e32 v65, 1, v13
	v_add_co_u32 v65, s14, v2, v65
	v_add_co_ci_u32_e64 v66, null, 0, v3, s14
	flat_load_ushort v66, v[65:66]
.LBB872_701:
	s_or_b32 exec_lo, exec_lo, s15
	v_cmp_lt_u32_e64 s47, v14, v0
                                        ; implicit-def: $vgpr65
	s_and_saveexec_b32 s15, s47
	s_cbranch_execz .LBB872_703
; %bb.702:
	v_lshlrev_b32_e32 v65, 1, v14
	v_add_co_u32 v67, s14, v2, v65
	v_add_co_ci_u32_e64 v68, null, 0, v3, s14
	flat_load_ushort v65, v[67:68]
.LBB872_703:
	s_or_b32 exec_lo, exec_lo, s15
	v_cmp_lt_u32_e64 s56, v15, v0
                                        ; implicit-def: $vgpr67
	s_and_saveexec_b32 s15, s56
	s_cbranch_execz .LBB872_705
; %bb.704:
	v_lshlrev_b32_e32 v67, 1, v15
	v_add_co_u32 v67, s14, v2, v67
	v_add_co_ci_u32_e64 v68, null, 0, v3, s14
	flat_load_ushort v67, v[67:68]
.LBB872_705:
	s_or_b32 exec_lo, exec_lo, s15
	v_cmp_lt_u32_e64 s14, v16, v0
                                        ; implicit-def: $vgpr68
	s_and_saveexec_b32 s16, s14
	s_cbranch_execz .LBB872_707
; %bb.706:
	v_lshlrev_b32_e32 v68, 1, v16
	v_add_co_u32 v68, s15, v2, v68
	v_add_co_ci_u32_e64 v69, null, 0, v3, s15
	flat_load_ushort v68, v[68:69]
.LBB872_707:
	s_or_b32 exec_lo, exec_lo, s16
	v_cmp_lt_u32_e64 s15, v17, v0
                                        ; implicit-def: $vgpr69
	s_and_saveexec_b32 s17, s15
	s_cbranch_execz .LBB872_709
; %bb.708:
	v_lshlrev_b32_e32 v69, 1, v17
	v_add_co_u32 v69, s16, v2, v69
	v_add_co_ci_u32_e64 v70, null, 0, v3, s16
	flat_load_ushort v69, v[69:70]
.LBB872_709:
	s_or_b32 exec_lo, exec_lo, s17
	v_cmp_lt_u32_e64 s16, v18, v0
                                        ; implicit-def: $vgpr71
	s_and_saveexec_b32 s18, s16
	s_cbranch_execz .LBB872_711
; %bb.710:
	v_lshlrev_b32_e32 v70, 1, v18
	v_add_co_u32 v70, s17, v2, v70
	v_add_co_ci_u32_e64 v71, null, 0, v3, s17
	flat_load_ushort v71, v[70:71]
.LBB872_711:
	s_or_b32 exec_lo, exec_lo, s18
	v_cmp_lt_u32_e64 s17, v19, v0
                                        ; implicit-def: $vgpr70
	s_and_saveexec_b32 s19, s17
	s_cbranch_execz .LBB872_713
; %bb.712:
	v_lshlrev_b32_e32 v70, 1, v19
	v_add_co_u32 v80, s18, v2, v70
	v_add_co_ci_u32_e64 v81, null, 0, v3, s18
	flat_load_ushort v70, v[80:81]
.LBB872_713:
	s_or_b32 exec_lo, exec_lo, s19
	v_cmp_lt_u32_e64 s18, v20, v0
                                        ; implicit-def: $vgpr80
	s_and_saveexec_b32 s20, s18
	s_cbranch_execz .LBB872_715
; %bb.714:
	v_lshlrev_b32_e32 v80, 1, v20
	v_add_co_u32 v80, s19, v2, v80
	v_add_co_ci_u32_e64 v81, null, 0, v3, s19
	flat_load_ushort v80, v[80:81]
.LBB872_715:
	s_or_b32 exec_lo, exec_lo, s20
	v_cmp_lt_u32_e64 s19, v21, v0
                                        ; implicit-def: $vgpr81
	s_and_saveexec_b32 s21, s19
	s_cbranch_execz .LBB872_717
; %bb.716:
	v_lshlrev_b32_e32 v81, 1, v21
	v_add_co_u32 v81, s20, v2, v81
	v_add_co_ci_u32_e64 v82, null, 0, v3, s20
	flat_load_ushort v81, v[81:82]
.LBB872_717:
	s_or_b32 exec_lo, exec_lo, s21
	v_cmp_lt_u32_e64 s20, v22, v0
                                        ; implicit-def: $vgpr82
	s_and_saveexec_b32 s22, s20
	s_cbranch_execz .LBB872_719
; %bb.718:
	v_lshlrev_b32_e32 v82, 1, v22
	v_add_co_u32 v82, s21, v2, v82
	v_add_co_ci_u32_e64 v83, null, 0, v3, s21
	flat_load_ushort v82, v[82:83]
.LBB872_719:
	s_or_b32 exec_lo, exec_lo, s22
	v_cmp_lt_u32_e64 s21, v23, v0
                                        ; implicit-def: $vgpr84
	s_and_saveexec_b32 s23, s21
	s_cbranch_execz .LBB872_721
; %bb.720:
	v_lshlrev_b32_e32 v83, 1, v23
	v_add_co_u32 v83, s22, v2, v83
	v_add_co_ci_u32_e64 v84, null, 0, v3, s22
	flat_load_ushort v84, v[83:84]
.LBB872_721:
	s_or_b32 exec_lo, exec_lo, s23
	v_cmp_lt_u32_e64 s22, v24, v0
                                        ; implicit-def: $vgpr83
	s_and_saveexec_b32 s24, s22
	s_cbranch_execz .LBB872_723
; %bb.722:
	v_lshlrev_b32_e32 v83, 1, v24
	v_add_co_u32 v85, s23, v2, v83
	v_add_co_ci_u32_e64 v86, null, 0, v3, s23
	flat_load_ushort v83, v[85:86]
.LBB872_723:
	s_or_b32 exec_lo, exec_lo, s24
	v_cmp_lt_u32_e64 s23, v25, v0
                                        ; implicit-def: $vgpr85
	s_and_saveexec_b32 s25, s23
	s_cbranch_execz .LBB872_725
; %bb.724:
	v_lshlrev_b32_e32 v85, 1, v25
	v_add_co_u32 v85, s24, v2, v85
	v_add_co_ci_u32_e64 v86, null, 0, v3, s24
	flat_load_ushort v85, v[85:86]
.LBB872_725:
	s_or_b32 exec_lo, exec_lo, s25
	v_cmp_lt_u32_e64 s24, v26, v0
                                        ; implicit-def: $vgpr86
	s_and_saveexec_b32 s26, s24
	s_cbranch_execz .LBB872_727
; %bb.726:
	v_lshlrev_b32_e32 v86, 1, v26
	v_add_co_u32 v86, s25, v2, v86
	v_add_co_ci_u32_e64 v87, null, 0, v3, s25
	flat_load_ushort v86, v[86:87]
.LBB872_727:
	s_or_b32 exec_lo, exec_lo, s26
	v_cmp_lt_u32_e64 s25, v27, v0
                                        ; implicit-def: $vgpr87
	s_and_saveexec_b32 s27, s25
	s_cbranch_execz .LBB872_729
; %bb.728:
	v_lshlrev_b32_e32 v87, 1, v27
	v_add_co_u32 v96, s26, v2, v87
	v_add_co_ci_u32_e64 v97, null, 0, v3, s26
	flat_load_ushort v87, v[96:97]
.LBB872_729:
	s_or_b32 exec_lo, exec_lo, s27
	v_cmp_lt_u32_e64 s26, v28, v0
                                        ; implicit-def: $vgpr97
	s_and_saveexec_b32 s28, s26
	s_cbranch_execz .LBB872_731
; %bb.730:
	v_lshlrev_b32_e32 v96, 1, v28
	v_add_co_u32 v96, s27, v2, v96
	v_add_co_ci_u32_e64 v97, null, 0, v3, s27
	flat_load_ushort v97, v[96:97]
.LBB872_731:
	s_or_b32 exec_lo, exec_lo, s28
	v_cmp_lt_u32_e64 s27, v29, v0
                                        ; implicit-def: $vgpr96
	s_and_saveexec_b32 s29, s27
	s_cbranch_execz .LBB872_733
; %bb.732:
	v_lshlrev_b32_e32 v96, 1, v29
	v_add_co_u32 v98, s28, v2, v96
	v_add_co_ci_u32_e64 v99, null, 0, v3, s28
	flat_load_ushort v96, v[98:99]
.LBB872_733:
	s_or_b32 exec_lo, exec_lo, s29
	v_cmp_lt_u32_e64 s28, v30, v0
                                        ; implicit-def: $vgpr98
	s_and_saveexec_b32 s40, s28
	s_cbranch_execz .LBB872_735
; %bb.734:
	v_lshlrev_b32_e32 v98, 1, v30
	v_add_co_u32 v98, s29, v2, v98
	v_add_co_ci_u32_e64 v99, null, 0, v3, s29
	flat_load_ushort v98, v[98:99]
.LBB872_735:
	s_or_b32 exec_lo, exec_lo, s40
	v_cmp_lt_u32_e64 s29, v31, v0
                                        ; implicit-def: $vgpr99
	s_and_saveexec_b32 s41, s29
	s_cbranch_execz .LBB872_737
; %bb.736:
	v_lshlrev_b32_e32 v99, 1, v31
	v_add_co_u32 v99, s40, v2, v99
	v_add_co_ci_u32_e64 v100, null, 0, v3, s40
	flat_load_ushort v99, v[99:100]
.LBB872_737:
	s_or_b32 exec_lo, exec_lo, s41
	v_cmp_lt_u32_e64 s40, v32, v0
                                        ; implicit-def: $vgpr100
	s_and_saveexec_b32 s42, s40
	s_cbranch_execz .LBB872_739
; %bb.738:
	v_lshlrev_b32_e32 v100, 1, v32
	v_add_co_u32 v100, s41, v2, v100
	v_add_co_ci_u32_e64 v101, null, 0, v3, s41
	flat_load_ushort v100, v[100:101]
.LBB872_739:
	s_or_b32 exec_lo, exec_lo, s42
	v_cmp_lt_u32_e64 s41, v33, v0
                                        ; implicit-def: $vgpr102
	s_and_saveexec_b32 s43, s41
	s_cbranch_execz .LBB872_741
; %bb.740:
	v_lshlrev_b32_e32 v101, 1, v33
	v_add_co_u32 v101, s42, v2, v101
	v_add_co_ci_u32_e64 v102, null, 0, v3, s42
	flat_load_ushort v102, v[101:102]
.LBB872_741:
	s_or_b32 exec_lo, exec_lo, s43
	v_cmp_lt_u32_e64 s42, v34, v0
                                        ; implicit-def: $vgpr101
	s_and_saveexec_b32 s44, s42
	s_cbranch_execz .LBB872_743
; %bb.742:
	v_lshlrev_b32_e32 v101, 1, v34
	v_add_co_u32 v115, s43, v2, v101
	v_add_co_ci_u32_e64 v116, null, 0, v3, s43
	flat_load_ushort v101, v[115:116]
.LBB872_743:
	s_or_b32 exec_lo, exec_lo, s44
	v_cmp_lt_u32_e64 s43, v35, v0
                                        ; implicit-def: $vgpr103
	s_and_saveexec_b32 s45, s43
	s_cbranch_execz .LBB872_745
; %bb.744:
	v_lshlrev_b32_e32 v103, 1, v35
	v_add_co_u32 v115, s44, v2, v103
	v_add_co_ci_u32_e64 v116, null, 0, v3, s44
	flat_load_ushort v103, v[115:116]
.LBB872_745:
	s_or_b32 exec_lo, exec_lo, s45
	v_cmp_lt_u32_e64 s44, v36, v0
                                        ; implicit-def: $vgpr115
	s_and_saveexec_b32 s46, s44
	s_cbranch_execz .LBB872_747
; %bb.746:
	v_lshlrev_b32_e32 v112, 1, v36
	v_add_co_u32 v115, s45, v2, v112
	v_add_co_ci_u32_e64 v116, null, 0, v3, s45
	flat_load_ushort v115, v[115:116]
.LBB872_747:
	s_or_b32 exec_lo, exec_lo, s46
	v_cmp_lt_u32_e64 s45, v50, v0
                                        ; implicit-def: $vgpr116
	s_and_saveexec_b32 s57, s45
	s_cbranch_execz .LBB872_749
; %bb.748:
	v_lshlrev_b32_e32 v112, 1, v50
	v_add_co_u32 v116, s46, v2, v112
	v_add_co_ci_u32_e64 v117, null, 0, v3, s46
	flat_load_ushort v116, v[116:117]
.LBB872_749:
	s_or_b32 exec_lo, exec_lo, s57
	v_cmp_lt_u32_e64 s46, v49, v0
                                        ; implicit-def: $vgpr117
	s_and_saveexec_b32 s58, s46
	s_cbranch_execz .LBB872_751
; %bb.750:
	v_lshlrev_b32_e32 v112, 1, v49
	v_add_co_u32 v2, s57, v2, v112
	v_add_co_ci_u32_e64 v3, null, 0, v3, s57
	flat_load_ushort v117, v[2:3]
.LBB872_751:
	s_or_b32 exec_lo, exec_lo, s58
	v_lshrrev_b32_e32 v2, 5, v48
	v_lshrrev_b32_e32 v37, 5, v37
	v_and_b32_e32 v3, 30, v38
	v_lshrrev_b32_e32 v38, 5, v1
	v_lshrrev_b32_e32 v112, 5, v13
	v_and_b32_e32 v1, 62, v2
	v_lshrrev_b32_e32 v2, 5, v51
	v_and_b32_e32 v37, 62, v37
	v_add_lshl_u32 v3, v3, v8, 1
	v_lshrrev_b32_e32 v48, 5, v12
	v_add_lshl_u32 v1, v1, v8, 1
	v_and_b32_e32 v118, 0x7e, v2
	v_add_lshl_u32 v2, v37, v8, 1
	v_and_b32_e32 v37, 0x7e, v112
	s_waitcnt vmcnt(0) lgkmcnt(0)
	ds_write_b16 v3, v9
	ds_write_b16 v1, v52 offset:512
	v_lshrrev_b32_e32 v52, 5, v18
	v_and_b32_e32 v38, 62, v38
	v_and_b32_e32 v48, 62, v48
	v_add_lshl_u32 v13, v37, v13, 1
	v_lshrrev_b32_e32 v37, 5, v14
	v_add_lshl_u32 v39, v39, v11, 1
	v_add_lshl_u32 v112, v38, v8, 1
	v_lshrrev_b32_e32 v38, 5, v15
	v_add_lshl_u32 v9, v48, v12, 1
	v_and_b32_e32 v37, 0x7e, v37
	v_lshrrev_b32_e32 v48, 5, v16
	v_add_lshl_u32 v12, v118, v51, 1
	v_lshrrev_b32_e32 v51, 5, v17
	v_and_b32_e32 v38, 0x5e, v38
	v_add_lshl_u32 v14, v37, v14, 1
	v_and_b32_e32 v37, 0x7e, v52
	v_lshrrev_b32_e32 v52, 5, v23
	v_and_b32_e32 v48, 0x7e, v48
	v_and_b32_e32 v51, 0x7e, v51
	v_add_lshl_u32 v15, v38, v15, 1
	v_add_lshl_u32 v18, v37, v18, 1
	v_lshrrev_b32_e32 v37, 5, v19
	v_lshrrev_b32_e32 v38, 5, v20
	v_add_lshl_u32 v16, v48, v16, 1
	v_lshrrev_b32_e32 v48, 5, v21
	v_add_lshl_u32 v17, v51, v17, 1
	v_and_b32_e32 v37, 0x7e, v37
	v_lshrrev_b32_e32 v51, 5, v22
	v_and_b32_e32 v38, 0xfe, v38
	v_and_b32_e32 v48, 0xfe, v48
	ds_write_b16 v2, v53 offset:1024
	v_add_lshl_u32 v19, v37, v19, 1
	v_and_b32_e32 v37, 0x9e, v52
	v_lshrrev_b32_e32 v52, 5, v28
	v_and_b32_e32 v51, 0xfe, v51
	v_add_lshl_u32 v20, v38, v20, 1
	v_lshrrev_b32_e32 v38, 5, v25
	v_add_lshl_u32 v23, v37, v23, 1
	v_lshrrev_b32_e32 v37, 5, v24
	;; [unrolled: 2-line block ×4, first 2 shown]
	v_and_b32_e32 v37, 0xbe, v37
	v_and_b32_e32 v38, 0xbe, v38
	;; [unrolled: 1-line block ×3, first 2 shown]
	ds_write_b16 v112, v54 offset:1536
	ds_write_b16 v9, v55
	ds_write_b16 v12, v64
	v_and_b32_e32 v51, 0xbe, v51
	v_add_lshl_u32 v24, v37, v24, 1
	v_and_b32_e32 v37, 0xfe, v52
	v_add_lshl_u32 v25, v38, v25, 1
	v_lshrrev_b32_e32 v38, 5, v30
	v_lshrrev_b32_e32 v52, 5, v33
	v_add_lshl_u32 v26, v48, v26, 1
	v_add_lshl_u32 v28, v37, v28, 1
	v_lshrrev_b32_e32 v37, 5, v29
	v_lshrrev_b32_e32 v48, 5, v31
	v_add_lshl_u32 v27, v51, v27, 1
	v_lshrrev_b32_e32 v51, 5, v32
	v_and_b32_e32 v38, 0xfe, v38
	v_and_b32_e32 v37, 0xfe, v37
	v_and_b32_e32 v48, 0xde, v48
	ds_write_b16 v13, v66
	v_and_b32_e32 v51, 0xfe, v51
	v_add_lshl_u32 v30, v38, v30, 1
	v_add_lshl_u32 v29, v37, v29, 1
	v_and_b32_e32 v37, 0xfe, v52
	v_lshrrev_b32_e32 v38, 5, v35
	v_lshrrev_b32_e32 v52, 5, v49
	v_add_lshl_u32 v31, v48, v31, 1
	v_lshrrev_b32_e32 v48, 5, v36
	v_add_lshl_u32 v33, v37, v33, 1
	;; [unrolled: 2-line block ×3, first 2 shown]
	v_lshrrev_b32_e32 v51, 5, v50
	v_and_b32_e32 v38, 0xfe, v38
	v_and_b32_e32 v52, 0x1fe, v52
	;; [unrolled: 1-line block ×5, first 2 shown]
	v_add_lshl_u32 v35, v38, v35, 1
	v_add_lshl_u32 v38, v52, v49, 1
	;; [unrolled: 1-line block ×5, first 2 shown]
	ds_write_b16 v14, v65
	ds_write_b16 v15, v67
	;; [unrolled: 1-line block ×25, first 2 shown]
	s_waitcnt lgkmcnt(0)
	s_waitcnt_vscnt null, 0x0
	s_barrier
	buffer_gl0_inv
	ds_read_u16 v99, v39
	ds_read_u16 v102, v39 offset:2
	ds_read_u16 v101, v39 offset:4
	;; [unrolled: 1-line block ×31, first 2 shown]
	s_waitcnt lgkmcnt(0)
	s_barrier
	buffer_gl0_inv
	s_load_dwordx2 s[58:59], s[8:9], 0x0
	v_mov_b32_e32 v115, 0
	s_waitcnt lgkmcnt(0)
	s_cmp_lt_u32 s13, s59
	s_cselect_b32 s13, 14, 20
	s_add_u32 s60, s8, s13
	s_addc_u32 s61, s9, 0
	s_cmp_lt_u32 s12, s58
	global_load_ushort v116, v115, s[60:61]
	s_cselect_b32 s12, 12, 18
	s_add_u32 s8, s8, s12
	s_addc_u32 s9, s9, 0
	global_load_ushort v115, v115, s[8:9]
	s_waitcnt vmcnt(1)
	v_mad_u32_u24 v113, v114, v116, v113
	s_waitcnt vmcnt(0)
	v_mul_lo_u32 v113, v113, v115
	v_add_lshl_u32 v113, v113, v8, 5
	v_sub_nc_u32_e64 v114, v0, v113 clamp
	v_cmp_lt_u32_e64 s8, 1, v114
	s_and_saveexec_b32 s12, s8
	s_cbranch_execz .LBB872_771
; %bb.752:
	v_mov_b32_e32 v115, 1
	v_lshlrev_b32_sdwa v116, v115, v102 dst_sel:DWORD dst_unused:UNUSED_PAD src0_sel:DWORD src1_sel:WORD_0
	v_lshlrev_b32_sdwa v117, v115, v99 dst_sel:DWORD dst_unused:UNUSED_PAD src0_sel:DWORD src1_sel:WORD_0
	v_add_co_u32 v115, s9, v6, v116
	v_add_co_ci_u32_e64 v116, null, 0, v7, s9
	v_add_co_u32 v117, s9, v6, v117
	v_add_co_ci_u32_e64 v118, null, 0, v7, s9
	s_clause 0x1
	flat_load_ushort v115, v[115:116]
	flat_load_ushort v116, v[117:118]
	s_waitcnt vmcnt(0) lgkmcnt(0)
	v_cmp_lt_u16_e64 s9, v115, v116
	v_cndmask_b32_e64 v115, v102, v99, s9
	v_cndmask_b32_e64 v99, v99, v102, s9
	v_mov_b32_e32 v102, v115
	s_or_b32 exec_lo, exec_lo, s12
	v_cmp_lt_u32_e64 s9, 3, v114
	s_and_saveexec_b32 s13, s9
	s_cbranch_execnz .LBB872_772
.LBB872_753:
	s_or_b32 exec_lo, exec_lo, s13
	v_cmp_lt_u32_e64 s12, 5, v114
	s_and_saveexec_b32 s57, s12
	s_cbranch_execz .LBB872_773
.LBB872_754:
	v_mov_b32_e32 v115, 1
	v_lshlrev_b32_sdwa v116, v115, v97 dst_sel:DWORD dst_unused:UNUSED_PAD src0_sel:DWORD src1_sel:WORD_0
	v_lshlrev_b32_sdwa v117, v115, v98 dst_sel:DWORD dst_unused:UNUSED_PAD src0_sel:DWORD src1_sel:WORD_0
	v_add_co_u32 v115, s13, v6, v116
	v_add_co_ci_u32_e64 v116, null, 0, v7, s13
	v_add_co_u32 v117, s13, v6, v117
	v_add_co_ci_u32_e64 v118, null, 0, v7, s13
	s_clause 0x1
	flat_load_ushort v115, v[115:116]
	flat_load_ushort v116, v[117:118]
	s_waitcnt vmcnt(0) lgkmcnt(0)
	v_cmp_lt_u16_e64 s13, v115, v116
	v_cndmask_b32_e64 v115, v97, v98, s13
	v_cndmask_b32_e64 v98, v98, v97, s13
	v_mov_b32_e32 v97, v115
	s_or_b32 exec_lo, exec_lo, s57
	v_cmp_lt_u32_e64 s13, 7, v114
	s_and_saveexec_b32 s58, s13
	s_cbranch_execnz .LBB872_774
.LBB872_755:
	s_or_b32 exec_lo, exec_lo, s58
	v_cmp_lt_u32_e64 s57, 9, v114
	s_and_saveexec_b32 s59, s57
	s_cbranch_execz .LBB872_775
.LBB872_756:
	v_mov_b32_e32 v115, 1
	v_lshlrev_b32_sdwa v116, v115, v85 dst_sel:DWORD dst_unused:UNUSED_PAD src0_sel:DWORD src1_sel:WORD_0
	v_lshlrev_b32_sdwa v117, v115, v86 dst_sel:DWORD dst_unused:UNUSED_PAD src0_sel:DWORD src1_sel:WORD_0
	v_add_co_u32 v115, s58, v6, v116
	v_add_co_ci_u32_e64 v116, null, 0, v7, s58
	v_add_co_u32 v117, s58, v6, v117
	v_add_co_ci_u32_e64 v118, null, 0, v7, s58
	s_clause 0x1
	flat_load_ushort v115, v[115:116]
	flat_load_ushort v116, v[117:118]
	s_waitcnt vmcnt(0) lgkmcnt(0)
	v_cmp_lt_u16_e64 s58, v115, v116
	v_cndmask_b32_e64 v115, v85, v86, s58
	v_cndmask_b32_e64 v86, v86, v85, s58
	v_mov_b32_e32 v85, v115
	s_or_b32 exec_lo, exec_lo, s59
	v_cmp_lt_u32_e64 s58, 11, v114
	s_and_saveexec_b32 s60, s58
	s_cbranch_execnz .LBB872_776
.LBB872_757:
	s_or_b32 exec_lo, exec_lo, s60
	v_cmp_lt_u32_e64 s59, 13, v114
	s_and_saveexec_b32 s61, s59
	s_cbranch_execz .LBB872_777
.LBB872_758:
	v_mov_b32_e32 v115, 1
	v_lshlrev_b32_sdwa v116, v115, v81 dst_sel:DWORD dst_unused:UNUSED_PAD src0_sel:DWORD src1_sel:WORD_0
	v_lshlrev_b32_sdwa v117, v115, v82 dst_sel:DWORD dst_unused:UNUSED_PAD src0_sel:DWORD src1_sel:WORD_0
	v_add_co_u32 v115, s60, v6, v116
	v_add_co_ci_u32_e64 v116, null, 0, v7, s60
	v_add_co_u32 v117, s60, v6, v117
	v_add_co_ci_u32_e64 v118, null, 0, v7, s60
	s_clause 0x1
	flat_load_ushort v115, v[115:116]
	flat_load_ushort v116, v[117:118]
	s_waitcnt vmcnt(0) lgkmcnt(0)
	v_cmp_lt_u16_e64 s60, v115, v116
	v_cndmask_b32_e64 v115, v81, v82, s60
	v_cndmask_b32_e64 v82, v82, v81, s60
	v_mov_b32_e32 v81, v115
	s_or_b32 exec_lo, exec_lo, s61
	v_cmp_lt_u32_e64 s60, 15, v114
	s_and_saveexec_b32 s62, s60
	s_cbranch_execnz .LBB872_778
.LBB872_759:
	s_or_b32 exec_lo, exec_lo, s62
	v_cmp_lt_u32_e64 s61, 17, v114
	s_and_saveexec_b32 s63, s61
	s_cbranch_execz .LBB872_779
.LBB872_760:
	v_mov_b32_e32 v115, 1
	v_lshlrev_b32_sdwa v116, v115, v69 dst_sel:DWORD dst_unused:UNUSED_PAD src0_sel:DWORD src1_sel:WORD_0
	v_lshlrev_b32_sdwa v117, v115, v70 dst_sel:DWORD dst_unused:UNUSED_PAD src0_sel:DWORD src1_sel:WORD_0
	v_add_co_u32 v115, s62, v6, v116
	v_add_co_ci_u32_e64 v116, null, 0, v7, s62
	v_add_co_u32 v117, s62, v6, v117
	v_add_co_ci_u32_e64 v118, null, 0, v7, s62
	s_clause 0x1
	flat_load_ushort v115, v[115:116]
	flat_load_ushort v116, v[117:118]
	s_waitcnt vmcnt(0) lgkmcnt(0)
	v_cmp_lt_u16_e64 s62, v115, v116
	v_cndmask_b32_e64 v115, v69, v70, s62
	v_cndmask_b32_e64 v70, v70, v69, s62
	v_mov_b32_e32 v69, v115
	s_or_b32 exec_lo, exec_lo, s63
	v_cmp_lt_u32_e64 s62, 19, v114
	s_and_saveexec_b32 s72, s62
	s_cbranch_execnz .LBB872_780
.LBB872_761:
	s_or_b32 exec_lo, exec_lo, s72
	v_cmp_lt_u32_e64 s63, 21, v114
	s_and_saveexec_b32 s73, s63
	s_cbranch_execz .LBB872_781
.LBB872_762:
	v_mov_b32_e32 v115, 1
	v_lshlrev_b32_sdwa v116, v115, v65 dst_sel:DWORD dst_unused:UNUSED_PAD src0_sel:DWORD src1_sel:WORD_0
	v_lshlrev_b32_sdwa v117, v115, v66 dst_sel:DWORD dst_unused:UNUSED_PAD src0_sel:DWORD src1_sel:WORD_0
	v_add_co_u32 v115, s72, v6, v116
	v_add_co_ci_u32_e64 v116, null, 0, v7, s72
	v_add_co_u32 v117, s72, v6, v117
	v_add_co_ci_u32_e64 v118, null, 0, v7, s72
	s_clause 0x1
	flat_load_ushort v115, v[115:116]
	flat_load_ushort v116, v[117:118]
	s_waitcnt vmcnt(0) lgkmcnt(0)
	v_cmp_lt_u16_e64 s72, v115, v116
	v_cndmask_b32_e64 v115, v65, v66, s72
	v_cndmask_b32_e64 v66, v66, v65, s72
	v_mov_b32_e32 v65, v115
	s_or_b32 exec_lo, exec_lo, s73
	v_cmp_lt_u32_e64 s72, 23, v114
	s_and_saveexec_b32 s74, s72
	s_cbranch_execnz .LBB872_782
.LBB872_763:
	s_or_b32 exec_lo, exec_lo, s74
	v_cmp_lt_u32_e64 s73, 25, v114
	s_and_saveexec_b32 s75, s73
	s_cbranch_execz .LBB872_783
.LBB872_764:
	v_mov_b32_e32 v115, 1
	v_lshlrev_b32_sdwa v116, v115, v64 dst_sel:DWORD dst_unused:UNUSED_PAD src0_sel:DWORD src1_sel:WORD_0
	v_lshlrev_b32_sdwa v117, v115, v53 dst_sel:DWORD dst_unused:UNUSED_PAD src0_sel:DWORD src1_sel:WORD_0
	v_add_co_u32 v115, s74, v6, v116
	v_add_co_ci_u32_e64 v116, null, 0, v7, s74
	v_add_co_u32 v117, s74, v6, v117
	v_add_co_ci_u32_e64 v118, null, 0, v7, s74
	s_clause 0x1
	flat_load_ushort v115, v[115:116]
	flat_load_ushort v116, v[117:118]
	s_waitcnt vmcnt(0) lgkmcnt(0)
	v_cmp_lt_u16_e64 s74, v115, v116
	v_cndmask_b32_e64 v115, v64, v53, s74
	v_cndmask_b32_e64 v53, v53, v64, s74
	v_mov_b32_e32 v64, v115
	s_or_b32 exec_lo, exec_lo, s75
	v_cmp_lt_u32_e64 s74, 27, v114
	s_and_saveexec_b32 s76, s74
	s_cbranch_execnz .LBB872_784
.LBB872_765:
	s_or_b32 exec_lo, exec_lo, s76
	v_cmp_lt_u32_e64 s75, 29, v114
	s_and_saveexec_b32 s77, s75
	s_cbranch_execz .LBB872_785
.LBB872_766:
	v_mov_b32_e32 v115, 1
	v_lshlrev_b32_sdwa v116, v115, v49 dst_sel:DWORD dst_unused:UNUSED_PAD src0_sel:DWORD src1_sel:WORD_0
	v_lshlrev_b32_sdwa v117, v115, v50 dst_sel:DWORD dst_unused:UNUSED_PAD src0_sel:DWORD src1_sel:WORD_0
	v_add_co_u32 v115, s76, v6, v116
	v_add_co_ci_u32_e64 v116, null, 0, v7, s76
	v_add_co_u32 v117, s76, v6, v117
	v_add_co_ci_u32_e64 v118, null, 0, v7, s76
	s_clause 0x1
	flat_load_ushort v115, v[115:116]
	flat_load_ushort v116, v[117:118]
	s_waitcnt vmcnt(0) lgkmcnt(0)
	v_cmp_lt_u16_e64 s76, v115, v116
	v_cndmask_b32_e64 v115, v50, v49, s76
	v_cndmask_b32_e64 v49, v49, v50, s76
	v_mov_b32_e32 v50, v115
	s_or_b32 exec_lo, exec_lo, s77
	v_cmp_lt_u32_e64 s76, 31, v114
	s_and_saveexec_b32 s78, s76
	s_cbranch_execnz .LBB872_786
	s_branch .LBB872_787
.LBB872_767:
	s_barrier
	buffer_gl0_inv
	ds_write_b16 v37, v193
	ds_write_b16 v49, v194
	;; [unrolled: 1-line block ×32, first 2 shown]
	s_waitcnt lgkmcnt(0)
	s_barrier
	buffer_gl0_inv
	ds_read_u16 v6, v0
	ds_read_u16 v7, v38
	;; [unrolled: 1-line block ×31, first 2 shown]
	v_add_co_u32 v2, vcc_lo, v4, v10
	v_add_co_ci_u32_e64 v3, null, 0, v5, vcc_lo
	ds_read_u16 v52, v1
	v_add_co_u32 v0, vcc_lo, 0x800, v2
	v_add_co_ci_u32_e64 v1, null, 0, v3, vcc_lo
	s_waitcnt lgkmcnt(31)
	flat_store_short v[2:3], v6
	s_waitcnt lgkmcnt(31)
	flat_store_short v[2:3], v7 offset:512
	s_waitcnt lgkmcnt(31)
	flat_store_short v[2:3], v11 offset:1024
	s_waitcnt lgkmcnt(31)
	flat_store_short v[2:3], v37 offset:1536
	s_waitcnt lgkmcnt(31)
	flat_store_short v[0:1], v38
	s_waitcnt lgkmcnt(31)
	flat_store_short v[0:1], v39 offset:512
	s_waitcnt lgkmcnt(31)
	flat_store_short v[0:1], v12 offset:1024
	s_waitcnt lgkmcnt(31)
	flat_store_short v[0:1], v13 offset:1536
	v_add_co_u32 v0, vcc_lo, 0x1000, v2
	v_add_co_ci_u32_e64 v1, null, 0, v3, vcc_lo
	v_add_co_u32 v6, vcc_lo, 0x1800, v2
	v_add_co_ci_u32_e64 v7, null, 0, v3, vcc_lo
	s_waitcnt lgkmcnt(31)
	flat_store_short v[0:1], v14
	s_waitcnt lgkmcnt(31)
	flat_store_short v[0:1], v15 offset:512
	s_waitcnt lgkmcnt(31)
	flat_store_short v[0:1], v16 offset:1024
	s_waitcnt lgkmcnt(31)
	flat_store_short v[0:1], v17 offset:1536
	s_waitcnt lgkmcnt(31)
	flat_store_short v[6:7], v18
	s_waitcnt lgkmcnt(31)
	flat_store_short v[6:7], v19 offset:512
	s_waitcnt lgkmcnt(31)
	flat_store_short v[6:7], v20 offset:1024
	s_waitcnt lgkmcnt(31)
	flat_store_short v[6:7], v21 offset:1536
	v_add_co_u32 v0, vcc_lo, 0x2000, v2
	v_add_co_ci_u32_e64 v1, null, 0, v3, vcc_lo
	;; [unrolled: 20-line block ×3, first 2 shown]
	v_add_co_u32 v2, vcc_lo, 0x3800, v2
	s_mov_b32 s36, exec_lo
	v_add_co_ci_u32_e64 v3, null, 0, v3, vcc_lo
	s_waitcnt lgkmcnt(31)
	flat_store_short v[0:1], v30
	s_waitcnt lgkmcnt(31)
	flat_store_short v[0:1], v31 offset:512
	s_waitcnt lgkmcnt(31)
	flat_store_short v[0:1], v32 offset:1024
	;; [unrolled: 2-line block ×3, first 2 shown]
	s_waitcnt lgkmcnt(31)
	flat_store_short v[2:3], v34
	s_waitcnt lgkmcnt(31)
	flat_store_short v[2:3], v35 offset:512
	s_waitcnt lgkmcnt(31)
	flat_store_short v[2:3], v36 offset:1024
                                        ; implicit-def: $vgpr0
                                        ; implicit-def: $vgpr2
                                        ; implicit-def: $vgpr3
                                        ; implicit-def: $vgpr6
                                        ; implicit-def: $vgpr7
                                        ; implicit-def: $vgpr113
                                        ; implicit-def: $vgpr114
                                        ; implicit-def: $vgpr10
                                        ; implicit-def: $vgpr38
                                        ; implicit-def: $vgpr48
                                        ; implicit-def: $vgpr37
                                        ; implicit-def: $vgpr1
                                        ; implicit-def: $vgpr12
                                        ; implicit-def: $vgpr51
                                        ; implicit-def: $vgpr13
                                        ; implicit-def: $vgpr14
                                        ; implicit-def: $vgpr15
                                        ; implicit-def: $vgpr16
                                        ; implicit-def: $vgpr17
                                        ; implicit-def: $vgpr18
                                        ; implicit-def: $vgpr19
                                        ; implicit-def: $vgpr20
                                        ; implicit-def: $vgpr21
                                        ; implicit-def: $vgpr22
                                        ; implicit-def: $vgpr23
                                        ; implicit-def: $vgpr24
                                        ; implicit-def: $vgpr25
                                        ; implicit-def: $vgpr26
                                        ; implicit-def: $vgpr27
                                        ; implicit-def: $vgpr28
                                        ; implicit-def: $vgpr29
                                        ; implicit-def: $vgpr30
                                        ; implicit-def: $vgpr31
                                        ; implicit-def: $vgpr32
                                        ; implicit-def: $vgpr33
                                        ; implicit-def: $vgpr34
                                        ; implicit-def: $vgpr35
                                        ; implicit-def: $vgpr36
                                        ; implicit-def: $vgpr50
                                        ; implicit-def: $vgpr49
                                        ; implicit-def: $vgpr11
                                        ; implicit-def: $vgpr39
	s_andn2_saveexec_b32 s37, s21
	s_cbranch_execnz .LBB872_687
.LBB872_768:
	s_or_b32 exec_lo, exec_lo, s37
	s_and_saveexec_b32 s4, s36
	s_cbranch_execz .LBB872_770
.LBB872_769:
	v_lshlrev_b64 v[0:1], 1, v[8:9]
	v_add_co_u32 v0, vcc_lo, v4, v0
	v_add_co_ci_u32_e64 v1, null, v5, v1, vcc_lo
	v_add_co_u32 v0, vcc_lo, 0x3800, v0
	v_add_co_ci_u32_e64 v1, null, 0, v1, vcc_lo
	s_waitcnt lgkmcnt(0)
	flat_store_short v[0:1], v52 offset:1536
.LBB872_770:
	s_or_b32 exec_lo, exec_lo, s4
	s_clause 0x21
	buffer_load_dword v105, off, s[0:3], s32
	buffer_load_dword v104, off, s[0:3], s32 offset:4
	buffer_load_dword v95, off, s[0:3], s32 offset:8
	;; [unrolled: 1-line block ×33, first 2 shown]
	v_readlane_b32 s30, v106, 10
	v_readlane_b32 s31, v106, 11
	;; [unrolled: 1-line block ×12, first 2 shown]
	s_or_saveexec_b32 s4, -1
	buffer_load_dword v106, off, s[0:3], s32 offset:136 ; 4-byte Folded Reload
	s_mov_b32 exec_lo, s4
	s_waitcnt vmcnt(0) lgkmcnt(0)
	s_setpc_b64 s[30:31]
.LBB872_771:
	s_or_b32 exec_lo, exec_lo, s12
	v_cmp_lt_u32_e64 s9, 3, v114
	s_and_saveexec_b32 s13, s9
	s_cbranch_execz .LBB872_753
.LBB872_772:
	v_mov_b32_e32 v115, 1
	v_lshlrev_b32_sdwa v116, v115, v100 dst_sel:DWORD dst_unused:UNUSED_PAD src0_sel:DWORD src1_sel:WORD_0
	v_lshlrev_b32_sdwa v117, v115, v101 dst_sel:DWORD dst_unused:UNUSED_PAD src0_sel:DWORD src1_sel:WORD_0
	v_add_co_u32 v115, s12, v6, v116
	v_add_co_ci_u32_e64 v116, null, 0, v7, s12
	v_add_co_u32 v117, s12, v6, v117
	v_add_co_ci_u32_e64 v118, null, 0, v7, s12
	s_clause 0x1
	flat_load_ushort v115, v[115:116]
	flat_load_ushort v116, v[117:118]
	s_waitcnt vmcnt(0) lgkmcnt(0)
	v_cmp_lt_u16_e64 s12, v115, v116
	v_cndmask_b32_e64 v115, v100, v101, s12
	v_cndmask_b32_e64 v101, v101, v100, s12
	v_mov_b32_e32 v100, v115
	s_or_b32 exec_lo, exec_lo, s13
	v_cmp_lt_u32_e64 s12, 5, v114
	s_and_saveexec_b32 s57, s12
	s_cbranch_execnz .LBB872_754
.LBB872_773:
	s_or_b32 exec_lo, exec_lo, s57
	v_cmp_lt_u32_e64 s13, 7, v114
	s_and_saveexec_b32 s58, s13
	s_cbranch_execz .LBB872_755
.LBB872_774:
	v_mov_b32_e32 v115, 1
	v_lshlrev_b32_sdwa v116, v115, v87 dst_sel:DWORD dst_unused:UNUSED_PAD src0_sel:DWORD src1_sel:WORD_0
	v_lshlrev_b32_sdwa v117, v115, v96 dst_sel:DWORD dst_unused:UNUSED_PAD src0_sel:DWORD src1_sel:WORD_0
	v_add_co_u32 v115, s57, v6, v116
	v_add_co_ci_u32_e64 v116, null, 0, v7, s57
	v_add_co_u32 v117, s57, v6, v117
	v_add_co_ci_u32_e64 v118, null, 0, v7, s57
	s_clause 0x1
	flat_load_ushort v115, v[115:116]
	flat_load_ushort v116, v[117:118]
	s_waitcnt vmcnt(0) lgkmcnt(0)
	v_cmp_lt_u16_e64 s57, v115, v116
	v_cndmask_b32_e64 v115, v87, v96, s57
	v_cndmask_b32_e64 v96, v96, v87, s57
	v_mov_b32_e32 v87, v115
	s_or_b32 exec_lo, exec_lo, s58
	v_cmp_lt_u32_e64 s57, 9, v114
	s_and_saveexec_b32 s59, s57
	s_cbranch_execnz .LBB872_756
.LBB872_775:
	s_or_b32 exec_lo, exec_lo, s59
	v_cmp_lt_u32_e64 s58, 11, v114
	s_and_saveexec_b32 s60, s58
	s_cbranch_execz .LBB872_757
.LBB872_776:
	v_mov_b32_e32 v115, 1
	v_lshlrev_b32_sdwa v116, v115, v83 dst_sel:DWORD dst_unused:UNUSED_PAD src0_sel:DWORD src1_sel:WORD_0
	v_lshlrev_b32_sdwa v117, v115, v84 dst_sel:DWORD dst_unused:UNUSED_PAD src0_sel:DWORD src1_sel:WORD_0
	v_add_co_u32 v115, s59, v6, v116
	v_add_co_ci_u32_e64 v116, null, 0, v7, s59
	v_add_co_u32 v117, s59, v6, v117
	v_add_co_ci_u32_e64 v118, null, 0, v7, s59
	s_clause 0x1
	flat_load_ushort v115, v[115:116]
	flat_load_ushort v116, v[117:118]
	s_waitcnt vmcnt(0) lgkmcnt(0)
	v_cmp_lt_u16_e64 s59, v115, v116
	v_cndmask_b32_e64 v115, v83, v84, s59
	v_cndmask_b32_e64 v84, v84, v83, s59
	v_mov_b32_e32 v83, v115
	s_or_b32 exec_lo, exec_lo, s60
	v_cmp_lt_u32_e64 s59, 13, v114
	s_and_saveexec_b32 s61, s59
	s_cbranch_execnz .LBB872_758
.LBB872_777:
	s_or_b32 exec_lo, exec_lo, s61
	v_cmp_lt_u32_e64 s60, 15, v114
	s_and_saveexec_b32 s62, s60
	s_cbranch_execz .LBB872_759
.LBB872_778:
	v_mov_b32_e32 v115, 1
	v_lshlrev_b32_sdwa v116, v115, v71 dst_sel:DWORD dst_unused:UNUSED_PAD src0_sel:DWORD src1_sel:WORD_0
	v_lshlrev_b32_sdwa v117, v115, v80 dst_sel:DWORD dst_unused:UNUSED_PAD src0_sel:DWORD src1_sel:WORD_0
	v_add_co_u32 v115, s61, v6, v116
	v_add_co_ci_u32_e64 v116, null, 0, v7, s61
	v_add_co_u32 v117, s61, v6, v117
	v_add_co_ci_u32_e64 v118, null, 0, v7, s61
	s_clause 0x1
	flat_load_ushort v115, v[115:116]
	flat_load_ushort v116, v[117:118]
	s_waitcnt vmcnt(0) lgkmcnt(0)
	v_cmp_lt_u16_e64 s61, v115, v116
	v_cndmask_b32_e64 v115, v71, v80, s61
	v_cndmask_b32_e64 v80, v80, v71, s61
	v_mov_b32_e32 v71, v115
	s_or_b32 exec_lo, exec_lo, s62
	v_cmp_lt_u32_e64 s61, 17, v114
	s_and_saveexec_b32 s63, s61
	s_cbranch_execnz .LBB872_760
.LBB872_779:
	s_or_b32 exec_lo, exec_lo, s63
	v_cmp_lt_u32_e64 s62, 19, v114
	s_and_saveexec_b32 s72, s62
	s_cbranch_execz .LBB872_761
.LBB872_780:
	v_mov_b32_e32 v115, 1
	v_lshlrev_b32_sdwa v116, v115, v67 dst_sel:DWORD dst_unused:UNUSED_PAD src0_sel:DWORD src1_sel:WORD_0
	v_lshlrev_b32_sdwa v117, v115, v68 dst_sel:DWORD dst_unused:UNUSED_PAD src0_sel:DWORD src1_sel:WORD_0
	v_add_co_u32 v115, s63, v6, v116
	v_add_co_ci_u32_e64 v116, null, 0, v7, s63
	v_add_co_u32 v117, s63, v6, v117
	v_add_co_ci_u32_e64 v118, null, 0, v7, s63
	s_clause 0x1
	flat_load_ushort v115, v[115:116]
	flat_load_ushort v116, v[117:118]
	s_waitcnt vmcnt(0) lgkmcnt(0)
	v_cmp_lt_u16_e64 s63, v115, v116
	v_cndmask_b32_e64 v115, v67, v68, s63
	v_cndmask_b32_e64 v68, v68, v67, s63
	v_mov_b32_e32 v67, v115
	s_or_b32 exec_lo, exec_lo, s72
	v_cmp_lt_u32_e64 s63, 21, v114
	s_and_saveexec_b32 s73, s63
	s_cbranch_execnz .LBB872_762
.LBB872_781:
	s_or_b32 exec_lo, exec_lo, s73
	v_cmp_lt_u32_e64 s72, 23, v114
	s_and_saveexec_b32 s74, s72
	s_cbranch_execz .LBB872_763
.LBB872_782:
	v_mov_b32_e32 v115, 1
	v_lshlrev_b32_sdwa v116, v115, v54 dst_sel:DWORD dst_unused:UNUSED_PAD src0_sel:DWORD src1_sel:WORD_0
	v_lshlrev_b32_sdwa v117, v115, v55 dst_sel:DWORD dst_unused:UNUSED_PAD src0_sel:DWORD src1_sel:WORD_0
	v_add_co_u32 v115, s73, v6, v116
	v_add_co_ci_u32_e64 v116, null, 0, v7, s73
	v_add_co_u32 v117, s73, v6, v117
	v_add_co_ci_u32_e64 v118, null, 0, v7, s73
	s_clause 0x1
	flat_load_ushort v115, v[115:116]
	flat_load_ushort v116, v[117:118]
	s_waitcnt vmcnt(0) lgkmcnt(0)
	v_cmp_lt_u16_e64 s73, v115, v116
	v_cndmask_b32_e64 v115, v54, v55, s73
	v_cndmask_b32_e64 v55, v55, v54, s73
	v_mov_b32_e32 v54, v115
	s_or_b32 exec_lo, exec_lo, s74
	v_cmp_lt_u32_e64 s73, 25, v114
	s_and_saveexec_b32 s75, s73
	s_cbranch_execnz .LBB872_764
.LBB872_783:
	s_or_b32 exec_lo, exec_lo, s75
	v_cmp_lt_u32_e64 s74, 27, v114
	s_and_saveexec_b32 s76, s74
	s_cbranch_execz .LBB872_765
.LBB872_784:
	v_mov_b32_e32 v115, 1
	v_lshlrev_b32_sdwa v116, v115, v51 dst_sel:DWORD dst_unused:UNUSED_PAD src0_sel:DWORD src1_sel:WORD_0
	v_lshlrev_b32_sdwa v117, v115, v52 dst_sel:DWORD dst_unused:UNUSED_PAD src0_sel:DWORD src1_sel:WORD_0
	v_add_co_u32 v115, s75, v6, v116
	v_add_co_ci_u32_e64 v116, null, 0, v7, s75
	v_add_co_u32 v117, s75, v6, v117
	v_add_co_ci_u32_e64 v118, null, 0, v7, s75
	s_clause 0x1
	flat_load_ushort v115, v[115:116]
	flat_load_ushort v116, v[117:118]
	s_waitcnt vmcnt(0) lgkmcnt(0)
	v_cmp_lt_u16_e64 s75, v115, v116
	v_cndmask_b32_e64 v115, v52, v51, s75
	v_cndmask_b32_e64 v51, v51, v52, s75
	v_mov_b32_e32 v52, v115
	s_or_b32 exec_lo, exec_lo, s76
	v_cmp_lt_u32_e64 s75, 29, v114
	s_and_saveexec_b32 s77, s75
	s_cbranch_execnz .LBB872_766
.LBB872_785:
	s_or_b32 exec_lo, exec_lo, s77
	v_cmp_lt_u32_e64 s76, 31, v114
	s_and_saveexec_b32 s78, s76
	s_cbranch_execz .LBB872_787
.LBB872_786:
	v_mov_b32_e32 v115, 1
	v_lshlrev_b32_sdwa v116, v115, v48 dst_sel:DWORD dst_unused:UNUSED_PAD src0_sel:DWORD src1_sel:WORD_0
	v_lshlrev_b32_sdwa v117, v115, v103 dst_sel:DWORD dst_unused:UNUSED_PAD src0_sel:DWORD src1_sel:WORD_0
	v_add_co_u32 v115, s77, v6, v116
	v_add_co_ci_u32_e64 v116, null, 0, v7, s77
	v_add_co_u32 v117, s77, v6, v117
	v_add_co_ci_u32_e64 v118, null, 0, v7, s77
	s_clause 0x1
	flat_load_ushort v115, v[115:116]
	flat_load_ushort v116, v[117:118]
	s_waitcnt vmcnt(0) lgkmcnt(0)
	v_cmp_lt_u16_e64 s77, v115, v116
	v_cndmask_b32_e64 v115, v103, v48, s77
	v_cndmask_b32_e64 v48, v48, v103, s77
	v_mov_b32_e32 v103, v115
.LBB872_787:
	s_or_b32 exec_lo, exec_lo, s78
	v_cmp_lt_u32_e64 s77, 2, v114
	s_and_saveexec_b32 s78, s77
	s_xor_b32 s79, exec_lo, s78
	s_cbranch_execz .LBB872_1267
; %bb.788:
	v_mov_b32_e32 v115, 1
	v_lshlrev_b32_sdwa v116, v115, v101 dst_sel:DWORD dst_unused:UNUSED_PAD src0_sel:DWORD src1_sel:WORD_0
	v_lshlrev_b32_sdwa v117, v115, v102 dst_sel:DWORD dst_unused:UNUSED_PAD src0_sel:DWORD src1_sel:WORD_0
	v_add_co_u32 v115, s78, v6, v116
	v_add_co_ci_u32_e64 v116, null, 0, v7, s78
	v_add_co_u32 v117, s78, v6, v117
	v_add_co_ci_u32_e64 v118, null, 0, v7, s78
	s_clause 0x1
	flat_load_ushort v115, v[115:116]
	flat_load_ushort v116, v[117:118]
	s_waitcnt vmcnt(0) lgkmcnt(0)
	v_cmp_lt_u16_e64 s78, v115, v116
	v_cndmask_b32_e64 v115, v101, v102, s78
	v_cndmask_b32_e64 v102, v102, v101, s78
	v_mov_b32_e32 v101, v115
	s_or_b32 exec_lo, exec_lo, s79
	v_cmp_lt_u32_e64 s78, 4, v114
	s_and_saveexec_b32 s88, s78
	s_cbranch_execnz .LBB872_1268
.LBB872_789:
	s_or_b32 exec_lo, exec_lo, s88
	v_cmp_lt_u32_e64 s79, 6, v114
	s_and_saveexec_b32 s89, s79
	s_cbranch_execz .LBB872_1269
.LBB872_790:
	v_mov_b32_e32 v115, 1
	v_lshlrev_b32_sdwa v116, v115, v96 dst_sel:DWORD dst_unused:UNUSED_PAD src0_sel:DWORD src1_sel:WORD_0
	v_lshlrev_b32_sdwa v117, v115, v97 dst_sel:DWORD dst_unused:UNUSED_PAD src0_sel:DWORD src1_sel:WORD_0
	v_add_co_u32 v115, s88, v6, v116
	v_add_co_ci_u32_e64 v116, null, 0, v7, s88
	v_add_co_u32 v117, s88, v6, v117
	v_add_co_ci_u32_e64 v118, null, 0, v7, s88
	s_clause 0x1
	flat_load_ushort v115, v[115:116]
	flat_load_ushort v116, v[117:118]
	s_waitcnt vmcnt(0) lgkmcnt(0)
	v_cmp_lt_u16_e64 s88, v115, v116
	v_cndmask_b32_e64 v115, v96, v97, s88
	v_cndmask_b32_e64 v97, v97, v96, s88
	v_mov_b32_e32 v96, v115
	s_or_b32 exec_lo, exec_lo, s89
	v_cmp_lt_u32_e64 s88, 8, v114
	s_and_saveexec_b32 s90, s88
	s_cbranch_execnz .LBB872_1270
.LBB872_791:
	s_or_b32 exec_lo, exec_lo, s90
	v_cmp_lt_u32_e64 s89, 10, v114
	s_and_saveexec_b32 s91, s89
	s_cbranch_execz .LBB872_1271
.LBB872_792:
	v_mov_b32_e32 v115, 1
	v_lshlrev_b32_sdwa v116, v115, v84 dst_sel:DWORD dst_unused:UNUSED_PAD src0_sel:DWORD src1_sel:WORD_0
	v_lshlrev_b32_sdwa v117, v115, v85 dst_sel:DWORD dst_unused:UNUSED_PAD src0_sel:DWORD src1_sel:WORD_0
	v_add_co_u32 v115, s90, v6, v116
	v_add_co_ci_u32_e64 v116, null, 0, v7, s90
	v_add_co_u32 v117, s90, v6, v117
	v_add_co_ci_u32_e64 v118, null, 0, v7, s90
	s_clause 0x1
	flat_load_ushort v115, v[115:116]
	flat_load_ushort v116, v[117:118]
	s_waitcnt vmcnt(0) lgkmcnt(0)
	v_cmp_lt_u16_e64 s90, v115, v116
	v_cndmask_b32_e64 v115, v84, v85, s90
	v_cndmask_b32_e64 v85, v85, v84, s90
	v_mov_b32_e32 v84, v115
	s_or_b32 exec_lo, exec_lo, s91
	v_cmp_lt_u32_e64 s90, 12, v114
	s_and_saveexec_b32 s92, s90
	s_cbranch_execnz .LBB872_1272
.LBB872_793:
	s_or_b32 exec_lo, exec_lo, s92
	v_cmp_lt_u32_e64 s91, 14, v114
	s_and_saveexec_b32 s93, s91
	s_cbranch_execz .LBB872_1273
.LBB872_794:
	v_mov_b32_e32 v115, 1
	v_lshlrev_b32_sdwa v116, v115, v80 dst_sel:DWORD dst_unused:UNUSED_PAD src0_sel:DWORD src1_sel:WORD_0
	v_lshlrev_b32_sdwa v117, v115, v81 dst_sel:DWORD dst_unused:UNUSED_PAD src0_sel:DWORD src1_sel:WORD_0
	v_add_co_u32 v115, s92, v6, v116
	v_add_co_ci_u32_e64 v116, null, 0, v7, s92
	v_add_co_u32 v117, s92, v6, v117
	v_add_co_ci_u32_e64 v118, null, 0, v7, s92
	s_clause 0x1
	flat_load_ushort v115, v[115:116]
	flat_load_ushort v116, v[117:118]
	s_waitcnt vmcnt(0) lgkmcnt(0)
	v_cmp_lt_u16_e64 s92, v115, v116
	v_cndmask_b32_e64 v115, v80, v81, s92
	v_cndmask_b32_e64 v81, v81, v80, s92
	v_mov_b32_e32 v80, v115
	s_or_b32 exec_lo, exec_lo, s93
	v_cmp_lt_u32_e64 s92, 16, v114
	s_and_saveexec_b32 s94, s92
	s_cbranch_execnz .LBB872_1274
.LBB872_795:
	s_or_b32 exec_lo, exec_lo, s94
	v_cmp_lt_u32_e64 s93, 18, v114
	s_and_saveexec_b32 s95, s93
	s_cbranch_execz .LBB872_1275
.LBB872_796:
	v_mov_b32_e32 v115, 1
	v_lshlrev_b32_sdwa v116, v115, v68 dst_sel:DWORD dst_unused:UNUSED_PAD src0_sel:DWORD src1_sel:WORD_0
	v_lshlrev_b32_sdwa v117, v115, v69 dst_sel:DWORD dst_unused:UNUSED_PAD src0_sel:DWORD src1_sel:WORD_0
	v_add_co_u32 v115, s94, v6, v116
	v_add_co_ci_u32_e64 v116, null, 0, v7, s94
	v_add_co_u32 v117, s94, v6, v117
	v_add_co_ci_u32_e64 v118, null, 0, v7, s94
	s_clause 0x1
	flat_load_ushort v115, v[115:116]
	flat_load_ushort v116, v[117:118]
	s_waitcnt vmcnt(0) lgkmcnt(0)
	v_cmp_lt_u16_e64 s94, v115, v116
	v_cndmask_b32_e64 v115, v68, v69, s94
	v_cndmask_b32_e64 v69, v69, v68, s94
	v_mov_b32_e32 v68, v115
	s_or_b32 exec_lo, exec_lo, s95
	v_cmp_lt_u32_e64 s94, 20, v114
	s_and_saveexec_b32 vcc_hi, s94
	s_cbranch_execnz .LBB872_1276
.LBB872_797:
	s_or_b32 exec_lo, exec_lo, vcc_hi
	v_cmp_lt_u32_e64 s95, 22, v114
	s_and_saveexec_b32 s30, s95
	s_cbranch_execz .LBB872_1277
.LBB872_798:
	v_mov_b32_e32 v115, 1
	v_lshlrev_b32_sdwa v116, v115, v55 dst_sel:DWORD dst_unused:UNUSED_PAD src0_sel:DWORD src1_sel:WORD_0
	v_lshlrev_b32_sdwa v117, v115, v65 dst_sel:DWORD dst_unused:UNUSED_PAD src0_sel:DWORD src1_sel:WORD_0
	v_add_co_u32 v115, vcc_hi, v6, v116
	v_add_co_ci_u32_e64 v116, null, 0, v7, vcc_hi
	v_add_co_u32 v117, vcc_hi, v6, v117
	v_add_co_ci_u32_e64 v118, null, 0, v7, vcc_hi
	s_clause 0x1
	flat_load_ushort v115, v[115:116]
	flat_load_ushort v116, v[117:118]
	s_waitcnt vmcnt(0) lgkmcnt(0)
	v_cmp_lt_u16_e64 vcc_hi, v115, v116
	v_cndmask_b32_e64 v115, v55, v65, vcc_hi
	v_cndmask_b32_e64 v65, v65, v55, vcc_hi
	v_mov_b32_e32 v55, v115
	s_or_b32 exec_lo, exec_lo, s30
	v_cmp_lt_u32_e64 vcc_hi, 24, v114
	s_and_saveexec_b32 s31, vcc_hi
	s_cbranch_execnz .LBB872_1278
.LBB872_799:
	s_or_b32 exec_lo, exec_lo, s31
	v_cmp_lt_u32_e64 s30, 26, v114
	s_and_saveexec_b32 s34, s30
	s_cbranch_execz .LBB872_1279
.LBB872_800:
	v_mov_b32_e32 v115, 1
	v_lshlrev_b32_sdwa v116, v115, v52 dst_sel:DWORD dst_unused:UNUSED_PAD src0_sel:DWORD src1_sel:WORD_0
	v_lshlrev_b32_sdwa v117, v115, v64 dst_sel:DWORD dst_unused:UNUSED_PAD src0_sel:DWORD src1_sel:WORD_0
	v_add_co_u32 v115, s31, v6, v116
	v_add_co_ci_u32_e64 v116, null, 0, v7, s31
	v_add_co_u32 v117, s31, v6, v117
	v_add_co_ci_u32_e64 v118, null, 0, v7, s31
	s_clause 0x1
	flat_load_ushort v115, v[115:116]
	flat_load_ushort v116, v[117:118]
	s_waitcnt vmcnt(0) lgkmcnt(0)
	v_cmp_lt_u16_e64 s31, v115, v116
	v_cndmask_b32_e64 v115, v64, v52, s31
	v_cndmask_b32_e64 v52, v52, v64, s31
	v_mov_b32_e32 v64, v115
	s_or_b32 exec_lo, exec_lo, s34
	v_cmp_lt_u32_e64 s31, 28, v114
	s_and_saveexec_b32 s35, s31
	s_cbranch_execnz .LBB872_1280
.LBB872_801:
	s_or_b32 exec_lo, exec_lo, s35
	v_cmp_lt_u32_e64 s34, 30, v114
	s_and_saveexec_b32 s38, s34
	s_cbranch_execz .LBB872_1281
.LBB872_802:
	v_mov_b32_e32 v114, 1
	v_lshlrev_b32_sdwa v115, v114, v103 dst_sel:DWORD dst_unused:UNUSED_PAD src0_sel:DWORD src1_sel:WORD_0
	v_lshlrev_b32_sdwa v116, v114, v49 dst_sel:DWORD dst_unused:UNUSED_PAD src0_sel:DWORD src1_sel:WORD_0
	v_add_co_u32 v114, s35, v6, v115
	v_add_co_ci_u32_e64 v115, null, 0, v7, s35
	v_add_co_u32 v116, s35, v6, v116
	v_add_co_ci_u32_e64 v117, null, 0, v7, s35
	s_clause 0x1
	flat_load_ushort v114, v[114:115]
	flat_load_ushort v115, v[116:117]
	s_waitcnt vmcnt(0) lgkmcnt(0)
	v_cmp_lt_u16_e64 s35, v114, v115
	v_cndmask_b32_e64 v114, v49, v103, s35
	v_cndmask_b32_e64 v103, v103, v49, s35
	v_mov_b32_e32 v49, v114
	s_or_b32 exec_lo, exec_lo, s38
	s_and_saveexec_b32 s38, s8
	s_cbranch_execnz .LBB872_1282
.LBB872_803:
	s_or_b32 exec_lo, exec_lo, s38
	s_and_saveexec_b32 s38, s9
	s_cbranch_execz .LBB872_1283
.LBB872_804:
	v_mov_b32_e32 v114, 1
	v_lshlrev_b32_sdwa v115, v114, v100 dst_sel:DWORD dst_unused:UNUSED_PAD src0_sel:DWORD src1_sel:WORD_0
	v_lshlrev_b32_sdwa v116, v114, v101 dst_sel:DWORD dst_unused:UNUSED_PAD src0_sel:DWORD src1_sel:WORD_0
	v_add_co_u32 v114, s35, v6, v115
	v_add_co_ci_u32_e64 v115, null, 0, v7, s35
	v_add_co_u32 v116, s35, v6, v116
	v_add_co_ci_u32_e64 v117, null, 0, v7, s35
	s_clause 0x1
	flat_load_ushort v114, v[114:115]
	flat_load_ushort v115, v[116:117]
	s_waitcnt vmcnt(0) lgkmcnt(0)
	v_cmp_lt_u16_e64 s35, v114, v115
	v_cndmask_b32_e64 v114, v100, v101, s35
	v_cndmask_b32_e64 v101, v101, v100, s35
	v_mov_b32_e32 v100, v114
	s_or_b32 exec_lo, exec_lo, s38
	s_and_saveexec_b32 s38, s12
	s_cbranch_execnz .LBB872_1284
.LBB872_805:
	s_or_b32 exec_lo, exec_lo, s38
	s_and_saveexec_b32 s38, s13
	s_cbranch_execz .LBB872_1285
.LBB872_806:
	v_mov_b32_e32 v114, 1
	v_lshlrev_b32_sdwa v115, v114, v87 dst_sel:DWORD dst_unused:UNUSED_PAD src0_sel:DWORD src1_sel:WORD_0
	v_lshlrev_b32_sdwa v116, v114, v96 dst_sel:DWORD dst_unused:UNUSED_PAD src0_sel:DWORD src1_sel:WORD_0
	v_add_co_u32 v114, s35, v6, v115
	v_add_co_ci_u32_e64 v115, null, 0, v7, s35
	v_add_co_u32 v116, s35, v6, v116
	v_add_co_ci_u32_e64 v117, null, 0, v7, s35
	s_clause 0x1
	flat_load_ushort v114, v[114:115]
	flat_load_ushort v115, v[116:117]
	s_waitcnt vmcnt(0) lgkmcnt(0)
	v_cmp_lt_u16_e64 s35, v114, v115
	v_cndmask_b32_e64 v114, v87, v96, s35
	v_cndmask_b32_e64 v96, v96, v87, s35
	v_mov_b32_e32 v87, v114
	s_or_b32 exec_lo, exec_lo, s38
	s_and_saveexec_b32 s38, s57
	s_cbranch_execnz .LBB872_1286
.LBB872_807:
	s_or_b32 exec_lo, exec_lo, s38
	s_and_saveexec_b32 s38, s58
	s_cbranch_execz .LBB872_1287
.LBB872_808:
	v_mov_b32_e32 v114, 1
	v_lshlrev_b32_sdwa v115, v114, v83 dst_sel:DWORD dst_unused:UNUSED_PAD src0_sel:DWORD src1_sel:WORD_0
	v_lshlrev_b32_sdwa v116, v114, v84 dst_sel:DWORD dst_unused:UNUSED_PAD src0_sel:DWORD src1_sel:WORD_0
	v_add_co_u32 v114, s35, v6, v115
	v_add_co_ci_u32_e64 v115, null, 0, v7, s35
	v_add_co_u32 v116, s35, v6, v116
	v_add_co_ci_u32_e64 v117, null, 0, v7, s35
	s_clause 0x1
	flat_load_ushort v114, v[114:115]
	flat_load_ushort v115, v[116:117]
	s_waitcnt vmcnt(0) lgkmcnt(0)
	v_cmp_lt_u16_e64 s35, v114, v115
	v_cndmask_b32_e64 v114, v83, v84, s35
	v_cndmask_b32_e64 v84, v84, v83, s35
	v_mov_b32_e32 v83, v114
	s_or_b32 exec_lo, exec_lo, s38
	s_and_saveexec_b32 s38, s59
	s_cbranch_execnz .LBB872_1288
.LBB872_809:
	s_or_b32 exec_lo, exec_lo, s38
	s_and_saveexec_b32 s38, s60
	s_cbranch_execz .LBB872_1289
.LBB872_810:
	v_mov_b32_e32 v114, 1
	v_lshlrev_b32_sdwa v115, v114, v71 dst_sel:DWORD dst_unused:UNUSED_PAD src0_sel:DWORD src1_sel:WORD_0
	v_lshlrev_b32_sdwa v116, v114, v80 dst_sel:DWORD dst_unused:UNUSED_PAD src0_sel:DWORD src1_sel:WORD_0
	v_add_co_u32 v114, s35, v6, v115
	v_add_co_ci_u32_e64 v115, null, 0, v7, s35
	v_add_co_u32 v116, s35, v6, v116
	v_add_co_ci_u32_e64 v117, null, 0, v7, s35
	s_clause 0x1
	flat_load_ushort v114, v[114:115]
	flat_load_ushort v115, v[116:117]
	s_waitcnt vmcnt(0) lgkmcnt(0)
	v_cmp_lt_u16_e64 s35, v114, v115
	v_cndmask_b32_e64 v114, v71, v80, s35
	v_cndmask_b32_e64 v80, v80, v71, s35
	v_mov_b32_e32 v71, v114
	s_or_b32 exec_lo, exec_lo, s38
	s_and_saveexec_b32 s38, s61
	s_cbranch_execnz .LBB872_1290
.LBB872_811:
	s_or_b32 exec_lo, exec_lo, s38
	s_and_saveexec_b32 s38, s62
	s_cbranch_execz .LBB872_1291
.LBB872_812:
	v_mov_b32_e32 v114, 1
	v_lshlrev_b32_sdwa v115, v114, v67 dst_sel:DWORD dst_unused:UNUSED_PAD src0_sel:DWORD src1_sel:WORD_0
	v_lshlrev_b32_sdwa v116, v114, v68 dst_sel:DWORD dst_unused:UNUSED_PAD src0_sel:DWORD src1_sel:WORD_0
	v_add_co_u32 v114, s35, v6, v115
	v_add_co_ci_u32_e64 v115, null, 0, v7, s35
	v_add_co_u32 v116, s35, v6, v116
	v_add_co_ci_u32_e64 v117, null, 0, v7, s35
	s_clause 0x1
	flat_load_ushort v114, v[114:115]
	flat_load_ushort v115, v[116:117]
	s_waitcnt vmcnt(0) lgkmcnt(0)
	v_cmp_lt_u16_e64 s35, v114, v115
	v_cndmask_b32_e64 v114, v67, v68, s35
	v_cndmask_b32_e64 v68, v68, v67, s35
	v_mov_b32_e32 v67, v114
	s_or_b32 exec_lo, exec_lo, s38
	s_and_saveexec_b32 s38, s63
	s_cbranch_execnz .LBB872_1292
.LBB872_813:
	s_or_b32 exec_lo, exec_lo, s38
	s_and_saveexec_b32 s38, s72
	s_cbranch_execz .LBB872_1293
.LBB872_814:
	v_mov_b32_e32 v114, 1
	v_lshlrev_b32_sdwa v115, v114, v54 dst_sel:DWORD dst_unused:UNUSED_PAD src0_sel:DWORD src1_sel:WORD_0
	v_lshlrev_b32_sdwa v116, v114, v55 dst_sel:DWORD dst_unused:UNUSED_PAD src0_sel:DWORD src1_sel:WORD_0
	v_add_co_u32 v114, s35, v6, v115
	v_add_co_ci_u32_e64 v115, null, 0, v7, s35
	v_add_co_u32 v116, s35, v6, v116
	v_add_co_ci_u32_e64 v117, null, 0, v7, s35
	s_clause 0x1
	flat_load_ushort v114, v[114:115]
	flat_load_ushort v115, v[116:117]
	s_waitcnt vmcnt(0) lgkmcnt(0)
	v_cmp_lt_u16_e64 s35, v114, v115
	v_cndmask_b32_e64 v114, v54, v55, s35
	v_cndmask_b32_e64 v55, v55, v54, s35
	v_mov_b32_e32 v54, v114
	s_or_b32 exec_lo, exec_lo, s38
	s_and_saveexec_b32 s38, s73
	s_cbranch_execnz .LBB872_1294
.LBB872_815:
	s_or_b32 exec_lo, exec_lo, s38
	s_and_saveexec_b32 s38, s74
	s_cbranch_execz .LBB872_1295
.LBB872_816:
	v_mov_b32_e32 v114, 1
	v_lshlrev_b32_sdwa v115, v114, v51 dst_sel:DWORD dst_unused:UNUSED_PAD src0_sel:DWORD src1_sel:WORD_0
	v_lshlrev_b32_sdwa v116, v114, v52 dst_sel:DWORD dst_unused:UNUSED_PAD src0_sel:DWORD src1_sel:WORD_0
	v_add_co_u32 v114, s35, v6, v115
	v_add_co_ci_u32_e64 v115, null, 0, v7, s35
	v_add_co_u32 v116, s35, v6, v116
	v_add_co_ci_u32_e64 v117, null, 0, v7, s35
	s_clause 0x1
	flat_load_ushort v114, v[114:115]
	flat_load_ushort v115, v[116:117]
	s_waitcnt vmcnt(0) lgkmcnt(0)
	v_cmp_lt_u16_e64 s35, v114, v115
	v_cndmask_b32_e64 v114, v52, v51, s35
	v_cndmask_b32_e64 v51, v51, v52, s35
	v_mov_b32_e32 v52, v114
	s_or_b32 exec_lo, exec_lo, s38
	s_and_saveexec_b32 s38, s75
	s_cbranch_execnz .LBB872_1296
.LBB872_817:
	s_or_b32 exec_lo, exec_lo, s38
	s_and_saveexec_b32 s38, s76
	s_cbranch_execz .LBB872_1297
.LBB872_818:
	v_mov_b32_e32 v114, 1
	v_lshlrev_b32_sdwa v115, v114, v48 dst_sel:DWORD dst_unused:UNUSED_PAD src0_sel:DWORD src1_sel:WORD_0
	v_lshlrev_b32_sdwa v116, v114, v103 dst_sel:DWORD dst_unused:UNUSED_PAD src0_sel:DWORD src1_sel:WORD_0
	v_add_co_u32 v114, s35, v6, v115
	v_add_co_ci_u32_e64 v115, null, 0, v7, s35
	v_add_co_u32 v116, s35, v6, v116
	v_add_co_ci_u32_e64 v117, null, 0, v7, s35
	s_clause 0x1
	flat_load_ushort v114, v[114:115]
	flat_load_ushort v115, v[116:117]
	s_waitcnt vmcnt(0) lgkmcnt(0)
	v_cmp_lt_u16_e64 s35, v114, v115
	v_cndmask_b32_e64 v114, v103, v48, s35
	v_cndmask_b32_e64 v48, v48, v103, s35
	v_mov_b32_e32 v103, v114
	s_or_b32 exec_lo, exec_lo, s38
	s_and_saveexec_b32 s38, s77
	s_cbranch_execnz .LBB872_1298
.LBB872_819:
	s_or_b32 exec_lo, exec_lo, s38
	s_and_saveexec_b32 s38, s78
	s_cbranch_execz .LBB872_1299
.LBB872_820:
	v_mov_b32_e32 v114, 1
	v_lshlrev_b32_sdwa v115, v114, v98 dst_sel:DWORD dst_unused:UNUSED_PAD src0_sel:DWORD src1_sel:WORD_0
	v_lshlrev_b32_sdwa v116, v114, v100 dst_sel:DWORD dst_unused:UNUSED_PAD src0_sel:DWORD src1_sel:WORD_0
	v_add_co_u32 v114, s35, v6, v115
	v_add_co_ci_u32_e64 v115, null, 0, v7, s35
	v_add_co_u32 v116, s35, v6, v116
	v_add_co_ci_u32_e64 v117, null, 0, v7, s35
	s_clause 0x1
	flat_load_ushort v114, v[114:115]
	flat_load_ushort v115, v[116:117]
	s_waitcnt vmcnt(0) lgkmcnt(0)
	v_cmp_lt_u16_e64 s35, v114, v115
	v_cndmask_b32_e64 v114, v98, v100, s35
	v_cndmask_b32_e64 v100, v100, v98, s35
	v_mov_b32_e32 v98, v114
	s_or_b32 exec_lo, exec_lo, s38
	s_and_saveexec_b32 s38, s79
	s_cbranch_execnz .LBB872_1300
.LBB872_821:
	s_or_b32 exec_lo, exec_lo, s38
	s_and_saveexec_b32 s38, s88
	s_cbranch_execz .LBB872_1301
.LBB872_822:
	v_mov_b32_e32 v114, 1
	v_lshlrev_b32_sdwa v115, v114, v86 dst_sel:DWORD dst_unused:UNUSED_PAD src0_sel:DWORD src1_sel:WORD_0
	v_lshlrev_b32_sdwa v116, v114, v87 dst_sel:DWORD dst_unused:UNUSED_PAD src0_sel:DWORD src1_sel:WORD_0
	v_add_co_u32 v114, s35, v6, v115
	v_add_co_ci_u32_e64 v115, null, 0, v7, s35
	v_add_co_u32 v116, s35, v6, v116
	v_add_co_ci_u32_e64 v117, null, 0, v7, s35
	s_clause 0x1
	flat_load_ushort v114, v[114:115]
	flat_load_ushort v115, v[116:117]
	s_waitcnt vmcnt(0) lgkmcnt(0)
	v_cmp_lt_u16_e64 s35, v114, v115
	v_cndmask_b32_e64 v114, v86, v87, s35
	v_cndmask_b32_e64 v87, v87, v86, s35
	v_mov_b32_e32 v86, v114
	s_or_b32 exec_lo, exec_lo, s38
	s_and_saveexec_b32 s38, s89
	s_cbranch_execnz .LBB872_1302
.LBB872_823:
	s_or_b32 exec_lo, exec_lo, s38
	s_and_saveexec_b32 s38, s90
	s_cbranch_execz .LBB872_1303
.LBB872_824:
	v_mov_b32_e32 v114, 1
	v_lshlrev_b32_sdwa v115, v114, v82 dst_sel:DWORD dst_unused:UNUSED_PAD src0_sel:DWORD src1_sel:WORD_0
	v_lshlrev_b32_sdwa v116, v114, v83 dst_sel:DWORD dst_unused:UNUSED_PAD src0_sel:DWORD src1_sel:WORD_0
	v_add_co_u32 v114, s35, v6, v115
	v_add_co_ci_u32_e64 v115, null, 0, v7, s35
	v_add_co_u32 v116, s35, v6, v116
	v_add_co_ci_u32_e64 v117, null, 0, v7, s35
	s_clause 0x1
	flat_load_ushort v114, v[114:115]
	flat_load_ushort v115, v[116:117]
	s_waitcnt vmcnt(0) lgkmcnt(0)
	v_cmp_lt_u16_e64 s35, v114, v115
	v_cndmask_b32_e64 v114, v82, v83, s35
	v_cndmask_b32_e64 v83, v83, v82, s35
	v_mov_b32_e32 v82, v114
	s_or_b32 exec_lo, exec_lo, s38
	s_and_saveexec_b32 s38, s91
	s_cbranch_execnz .LBB872_1304
.LBB872_825:
	s_or_b32 exec_lo, exec_lo, s38
	s_and_saveexec_b32 s38, s92
	s_cbranch_execz .LBB872_1305
.LBB872_826:
	v_mov_b32_e32 v114, 1
	v_lshlrev_b32_sdwa v115, v114, v70 dst_sel:DWORD dst_unused:UNUSED_PAD src0_sel:DWORD src1_sel:WORD_0
	v_lshlrev_b32_sdwa v116, v114, v71 dst_sel:DWORD dst_unused:UNUSED_PAD src0_sel:DWORD src1_sel:WORD_0
	v_add_co_u32 v114, s35, v6, v115
	v_add_co_ci_u32_e64 v115, null, 0, v7, s35
	v_add_co_u32 v116, s35, v6, v116
	v_add_co_ci_u32_e64 v117, null, 0, v7, s35
	s_clause 0x1
	flat_load_ushort v114, v[114:115]
	flat_load_ushort v115, v[116:117]
	s_waitcnt vmcnt(0) lgkmcnt(0)
	v_cmp_lt_u16_e64 s35, v114, v115
	v_cndmask_b32_e64 v114, v70, v71, s35
	v_cndmask_b32_e64 v71, v71, v70, s35
	v_mov_b32_e32 v70, v114
	s_or_b32 exec_lo, exec_lo, s38
	s_and_saveexec_b32 s38, s93
	s_cbranch_execnz .LBB872_1306
.LBB872_827:
	s_or_b32 exec_lo, exec_lo, s38
	s_and_saveexec_b32 s38, s94
	s_cbranch_execz .LBB872_1307
.LBB872_828:
	v_mov_b32_e32 v114, 1
	v_lshlrev_b32_sdwa v115, v114, v66 dst_sel:DWORD dst_unused:UNUSED_PAD src0_sel:DWORD src1_sel:WORD_0
	v_lshlrev_b32_sdwa v116, v114, v67 dst_sel:DWORD dst_unused:UNUSED_PAD src0_sel:DWORD src1_sel:WORD_0
	v_add_co_u32 v114, s35, v6, v115
	v_add_co_ci_u32_e64 v115, null, 0, v7, s35
	v_add_co_u32 v116, s35, v6, v116
	v_add_co_ci_u32_e64 v117, null, 0, v7, s35
	s_clause 0x1
	flat_load_ushort v114, v[114:115]
	flat_load_ushort v115, v[116:117]
	s_waitcnt vmcnt(0) lgkmcnt(0)
	v_cmp_lt_u16_e64 s35, v114, v115
	v_cndmask_b32_e64 v114, v66, v67, s35
	v_cndmask_b32_e64 v67, v67, v66, s35
	v_mov_b32_e32 v66, v114
	s_or_b32 exec_lo, exec_lo, s38
	s_and_saveexec_b32 s38, s95
	s_cbranch_execnz .LBB872_1308
.LBB872_829:
	s_or_b32 exec_lo, exec_lo, s38
	s_and_saveexec_b32 s38, vcc_hi
	s_cbranch_execz .LBB872_1309
.LBB872_830:
	v_mov_b32_e32 v114, 1
	v_lshlrev_b32_sdwa v115, v114, v53 dst_sel:DWORD dst_unused:UNUSED_PAD src0_sel:DWORD src1_sel:WORD_0
	v_lshlrev_b32_sdwa v116, v114, v54 dst_sel:DWORD dst_unused:UNUSED_PAD src0_sel:DWORD src1_sel:WORD_0
	v_add_co_u32 v114, s35, v6, v115
	v_add_co_ci_u32_e64 v115, null, 0, v7, s35
	v_add_co_u32 v116, s35, v6, v116
	v_add_co_ci_u32_e64 v117, null, 0, v7, s35
	s_clause 0x1
	flat_load_ushort v114, v[114:115]
	flat_load_ushort v115, v[116:117]
	s_waitcnt vmcnt(0) lgkmcnt(0)
	v_cmp_lt_u16_e64 s35, v114, v115
	v_cndmask_b32_e64 v114, v53, v54, s35
	v_cndmask_b32_e64 v54, v54, v53, s35
	v_mov_b32_e32 v53, v114
	s_or_b32 exec_lo, exec_lo, s38
	s_and_saveexec_b32 s38, s30
	s_cbranch_execnz .LBB872_1310
.LBB872_831:
	s_or_b32 exec_lo, exec_lo, s38
	s_and_saveexec_b32 s38, s31
	s_cbranch_execz .LBB872_1311
.LBB872_832:
	v_mov_b32_e32 v114, 1
	v_lshlrev_b32_sdwa v115, v114, v50 dst_sel:DWORD dst_unused:UNUSED_PAD src0_sel:DWORD src1_sel:WORD_0
	v_lshlrev_b32_sdwa v116, v114, v51 dst_sel:DWORD dst_unused:UNUSED_PAD src0_sel:DWORD src1_sel:WORD_0
	v_add_co_u32 v114, s35, v6, v115
	v_add_co_ci_u32_e64 v115, null, 0, v7, s35
	v_add_co_u32 v116, s35, v6, v116
	v_add_co_ci_u32_e64 v117, null, 0, v7, s35
	s_clause 0x1
	flat_load_ushort v114, v[114:115]
	flat_load_ushort v115, v[116:117]
	s_waitcnt vmcnt(0) lgkmcnt(0)
	v_cmp_lt_u16_e64 s35, v114, v115
	v_cndmask_b32_e64 v114, v51, v50, s35
	v_cndmask_b32_e64 v50, v50, v51, s35
	v_mov_b32_e32 v51, v114
	s_or_b32 exec_lo, exec_lo, s38
	s_and_saveexec_b32 s38, s34
	s_cbranch_execnz .LBB872_1312
.LBB872_833:
	s_or_b32 exec_lo, exec_lo, s38
	s_and_saveexec_b32 s38, s8
	s_cbranch_execz .LBB872_1313
.LBB872_834:
	v_mov_b32_e32 v114, 1
	v_lshlrev_b32_sdwa v115, v114, v102 dst_sel:DWORD dst_unused:UNUSED_PAD src0_sel:DWORD src1_sel:WORD_0
	v_lshlrev_b32_sdwa v116, v114, v99 dst_sel:DWORD dst_unused:UNUSED_PAD src0_sel:DWORD src1_sel:WORD_0
	v_add_co_u32 v114, s35, v6, v115
	v_add_co_ci_u32_e64 v115, null, 0, v7, s35
	v_add_co_u32 v116, s35, v6, v116
	v_add_co_ci_u32_e64 v117, null, 0, v7, s35
	s_clause 0x1
	flat_load_ushort v114, v[114:115]
	flat_load_ushort v115, v[116:117]
	s_waitcnt vmcnt(0) lgkmcnt(0)
	v_cmp_lt_u16_e64 s35, v114, v115
	v_cndmask_b32_e64 v114, v102, v99, s35
	v_cndmask_b32_e64 v99, v99, v102, s35
	v_mov_b32_e32 v102, v114
	s_or_b32 exec_lo, exec_lo, s38
	s_and_saveexec_b32 s38, s9
	s_cbranch_execnz .LBB872_1314
.LBB872_835:
	s_or_b32 exec_lo, exec_lo, s38
	s_and_saveexec_b32 s38, s12
	s_cbranch_execz .LBB872_1315
.LBB872_836:
	v_mov_b32_e32 v114, 1
	v_lshlrev_b32_sdwa v115, v114, v97 dst_sel:DWORD dst_unused:UNUSED_PAD src0_sel:DWORD src1_sel:WORD_0
	v_lshlrev_b32_sdwa v116, v114, v98 dst_sel:DWORD dst_unused:UNUSED_PAD src0_sel:DWORD src1_sel:WORD_0
	v_add_co_u32 v114, s35, v6, v115
	v_add_co_ci_u32_e64 v115, null, 0, v7, s35
	v_add_co_u32 v116, s35, v6, v116
	v_add_co_ci_u32_e64 v117, null, 0, v7, s35
	s_clause 0x1
	flat_load_ushort v114, v[114:115]
	flat_load_ushort v115, v[116:117]
	s_waitcnt vmcnt(0) lgkmcnt(0)
	v_cmp_lt_u16_e64 s35, v114, v115
	v_cndmask_b32_e64 v114, v97, v98, s35
	v_cndmask_b32_e64 v98, v98, v97, s35
	v_mov_b32_e32 v97, v114
	s_or_b32 exec_lo, exec_lo, s38
	s_and_saveexec_b32 s38, s13
	s_cbranch_execnz .LBB872_1316
.LBB872_837:
	s_or_b32 exec_lo, exec_lo, s38
	s_and_saveexec_b32 s38, s57
	s_cbranch_execz .LBB872_1317
.LBB872_838:
	v_mov_b32_e32 v114, 1
	v_lshlrev_b32_sdwa v115, v114, v85 dst_sel:DWORD dst_unused:UNUSED_PAD src0_sel:DWORD src1_sel:WORD_0
	v_lshlrev_b32_sdwa v116, v114, v86 dst_sel:DWORD dst_unused:UNUSED_PAD src0_sel:DWORD src1_sel:WORD_0
	v_add_co_u32 v114, s35, v6, v115
	v_add_co_ci_u32_e64 v115, null, 0, v7, s35
	v_add_co_u32 v116, s35, v6, v116
	v_add_co_ci_u32_e64 v117, null, 0, v7, s35
	s_clause 0x1
	flat_load_ushort v114, v[114:115]
	flat_load_ushort v115, v[116:117]
	s_waitcnt vmcnt(0) lgkmcnt(0)
	v_cmp_lt_u16_e64 s35, v114, v115
	v_cndmask_b32_e64 v114, v85, v86, s35
	v_cndmask_b32_e64 v86, v86, v85, s35
	v_mov_b32_e32 v85, v114
	s_or_b32 exec_lo, exec_lo, s38
	s_and_saveexec_b32 s38, s58
	s_cbranch_execnz .LBB872_1318
.LBB872_839:
	s_or_b32 exec_lo, exec_lo, s38
	s_and_saveexec_b32 s38, s59
	s_cbranch_execz .LBB872_1319
.LBB872_840:
	v_mov_b32_e32 v114, 1
	v_lshlrev_b32_sdwa v115, v114, v81 dst_sel:DWORD dst_unused:UNUSED_PAD src0_sel:DWORD src1_sel:WORD_0
	v_lshlrev_b32_sdwa v116, v114, v82 dst_sel:DWORD dst_unused:UNUSED_PAD src0_sel:DWORD src1_sel:WORD_0
	v_add_co_u32 v114, s35, v6, v115
	v_add_co_ci_u32_e64 v115, null, 0, v7, s35
	v_add_co_u32 v116, s35, v6, v116
	v_add_co_ci_u32_e64 v117, null, 0, v7, s35
	s_clause 0x1
	flat_load_ushort v114, v[114:115]
	flat_load_ushort v115, v[116:117]
	s_waitcnt vmcnt(0) lgkmcnt(0)
	v_cmp_lt_u16_e64 s35, v114, v115
	v_cndmask_b32_e64 v114, v81, v82, s35
	v_cndmask_b32_e64 v82, v82, v81, s35
	v_mov_b32_e32 v81, v114
	s_or_b32 exec_lo, exec_lo, s38
	s_and_saveexec_b32 s38, s60
	s_cbranch_execnz .LBB872_1320
.LBB872_841:
	s_or_b32 exec_lo, exec_lo, s38
	s_and_saveexec_b32 s38, s61
	s_cbranch_execz .LBB872_1321
.LBB872_842:
	v_mov_b32_e32 v114, 1
	v_lshlrev_b32_sdwa v115, v114, v69 dst_sel:DWORD dst_unused:UNUSED_PAD src0_sel:DWORD src1_sel:WORD_0
	v_lshlrev_b32_sdwa v116, v114, v70 dst_sel:DWORD dst_unused:UNUSED_PAD src0_sel:DWORD src1_sel:WORD_0
	v_add_co_u32 v114, s35, v6, v115
	v_add_co_ci_u32_e64 v115, null, 0, v7, s35
	v_add_co_u32 v116, s35, v6, v116
	v_add_co_ci_u32_e64 v117, null, 0, v7, s35
	s_clause 0x1
	flat_load_ushort v114, v[114:115]
	flat_load_ushort v115, v[116:117]
	s_waitcnt vmcnt(0) lgkmcnt(0)
	v_cmp_lt_u16_e64 s35, v114, v115
	v_cndmask_b32_e64 v114, v69, v70, s35
	v_cndmask_b32_e64 v70, v70, v69, s35
	v_mov_b32_e32 v69, v114
	s_or_b32 exec_lo, exec_lo, s38
	s_and_saveexec_b32 s38, s62
	s_cbranch_execnz .LBB872_1322
.LBB872_843:
	s_or_b32 exec_lo, exec_lo, s38
	s_and_saveexec_b32 s38, s63
	s_cbranch_execz .LBB872_1323
.LBB872_844:
	v_mov_b32_e32 v114, 1
	v_lshlrev_b32_sdwa v115, v114, v65 dst_sel:DWORD dst_unused:UNUSED_PAD src0_sel:DWORD src1_sel:WORD_0
	v_lshlrev_b32_sdwa v116, v114, v66 dst_sel:DWORD dst_unused:UNUSED_PAD src0_sel:DWORD src1_sel:WORD_0
	v_add_co_u32 v114, s35, v6, v115
	v_add_co_ci_u32_e64 v115, null, 0, v7, s35
	v_add_co_u32 v116, s35, v6, v116
	v_add_co_ci_u32_e64 v117, null, 0, v7, s35
	s_clause 0x1
	flat_load_ushort v114, v[114:115]
	flat_load_ushort v115, v[116:117]
	s_waitcnt vmcnt(0) lgkmcnt(0)
	v_cmp_lt_u16_e64 s35, v114, v115
	v_cndmask_b32_e64 v114, v65, v66, s35
	v_cndmask_b32_e64 v66, v66, v65, s35
	v_mov_b32_e32 v65, v114
	s_or_b32 exec_lo, exec_lo, s38
	s_and_saveexec_b32 s38, s72
	s_cbranch_execnz .LBB872_1324
.LBB872_845:
	s_or_b32 exec_lo, exec_lo, s38
	s_and_saveexec_b32 s38, s73
	s_cbranch_execz .LBB872_1325
.LBB872_846:
	v_mov_b32_e32 v114, 1
	v_lshlrev_b32_sdwa v115, v114, v64 dst_sel:DWORD dst_unused:UNUSED_PAD src0_sel:DWORD src1_sel:WORD_0
	v_lshlrev_b32_sdwa v116, v114, v53 dst_sel:DWORD dst_unused:UNUSED_PAD src0_sel:DWORD src1_sel:WORD_0
	v_add_co_u32 v114, s35, v6, v115
	v_add_co_ci_u32_e64 v115, null, 0, v7, s35
	v_add_co_u32 v116, s35, v6, v116
	v_add_co_ci_u32_e64 v117, null, 0, v7, s35
	s_clause 0x1
	flat_load_ushort v114, v[114:115]
	flat_load_ushort v115, v[116:117]
	s_waitcnt vmcnt(0) lgkmcnt(0)
	v_cmp_lt_u16_e64 s35, v114, v115
	v_cndmask_b32_e64 v114, v64, v53, s35
	v_cndmask_b32_e64 v53, v53, v64, s35
	v_mov_b32_e32 v64, v114
	s_or_b32 exec_lo, exec_lo, s38
	s_and_saveexec_b32 s38, s74
	s_cbranch_execnz .LBB872_1326
.LBB872_847:
	s_or_b32 exec_lo, exec_lo, s38
	s_and_saveexec_b32 s38, s75
	s_cbranch_execz .LBB872_1327
.LBB872_848:
	v_mov_b32_e32 v114, 1
	v_lshlrev_b32_sdwa v115, v114, v49 dst_sel:DWORD dst_unused:UNUSED_PAD src0_sel:DWORD src1_sel:WORD_0
	v_lshlrev_b32_sdwa v116, v114, v50 dst_sel:DWORD dst_unused:UNUSED_PAD src0_sel:DWORD src1_sel:WORD_0
	v_add_co_u32 v114, s35, v6, v115
	v_add_co_ci_u32_e64 v115, null, 0, v7, s35
	v_add_co_u32 v116, s35, v6, v116
	v_add_co_ci_u32_e64 v117, null, 0, v7, s35
	s_clause 0x1
	flat_load_ushort v114, v[114:115]
	flat_load_ushort v115, v[116:117]
	s_waitcnt vmcnt(0) lgkmcnt(0)
	v_cmp_lt_u16_e64 s35, v114, v115
	v_cndmask_b32_e64 v114, v50, v49, s35
	v_cndmask_b32_e64 v49, v49, v50, s35
	v_mov_b32_e32 v50, v114
	s_or_b32 exec_lo, exec_lo, s38
	s_and_saveexec_b32 s38, s76
	s_cbranch_execnz .LBB872_1328
.LBB872_849:
	s_or_b32 exec_lo, exec_lo, s38
	s_and_saveexec_b32 s38, s77
	s_cbranch_execz .LBB872_1329
.LBB872_850:
	v_mov_b32_e32 v114, 1
	v_lshlrev_b32_sdwa v115, v114, v101 dst_sel:DWORD dst_unused:UNUSED_PAD src0_sel:DWORD src1_sel:WORD_0
	v_lshlrev_b32_sdwa v116, v114, v102 dst_sel:DWORD dst_unused:UNUSED_PAD src0_sel:DWORD src1_sel:WORD_0
	v_add_co_u32 v114, s35, v6, v115
	v_add_co_ci_u32_e64 v115, null, 0, v7, s35
	v_add_co_u32 v116, s35, v6, v116
	v_add_co_ci_u32_e64 v117, null, 0, v7, s35
	s_clause 0x1
	flat_load_ushort v114, v[114:115]
	flat_load_ushort v115, v[116:117]
	s_waitcnt vmcnt(0) lgkmcnt(0)
	v_cmp_lt_u16_e64 s35, v114, v115
	v_cndmask_b32_e64 v114, v101, v102, s35
	v_cndmask_b32_e64 v102, v102, v101, s35
	v_mov_b32_e32 v101, v114
	s_or_b32 exec_lo, exec_lo, s38
	s_and_saveexec_b32 s38, s78
	s_cbranch_execnz .LBB872_1330
.LBB872_851:
	s_or_b32 exec_lo, exec_lo, s38
	s_and_saveexec_b32 s38, s79
	s_cbranch_execz .LBB872_1331
.LBB872_852:
	v_mov_b32_e32 v114, 1
	v_lshlrev_b32_sdwa v115, v114, v96 dst_sel:DWORD dst_unused:UNUSED_PAD src0_sel:DWORD src1_sel:WORD_0
	v_lshlrev_b32_sdwa v116, v114, v97 dst_sel:DWORD dst_unused:UNUSED_PAD src0_sel:DWORD src1_sel:WORD_0
	v_add_co_u32 v114, s35, v6, v115
	v_add_co_ci_u32_e64 v115, null, 0, v7, s35
	v_add_co_u32 v116, s35, v6, v116
	v_add_co_ci_u32_e64 v117, null, 0, v7, s35
	s_clause 0x1
	flat_load_ushort v114, v[114:115]
	flat_load_ushort v115, v[116:117]
	s_waitcnt vmcnt(0) lgkmcnt(0)
	v_cmp_lt_u16_e64 s35, v114, v115
	v_cndmask_b32_e64 v114, v96, v97, s35
	v_cndmask_b32_e64 v97, v97, v96, s35
	v_mov_b32_e32 v96, v114
	s_or_b32 exec_lo, exec_lo, s38
	s_and_saveexec_b32 s38, s88
	s_cbranch_execnz .LBB872_1332
.LBB872_853:
	s_or_b32 exec_lo, exec_lo, s38
	s_and_saveexec_b32 s38, s89
	s_cbranch_execz .LBB872_1333
.LBB872_854:
	v_mov_b32_e32 v114, 1
	v_lshlrev_b32_sdwa v115, v114, v84 dst_sel:DWORD dst_unused:UNUSED_PAD src0_sel:DWORD src1_sel:WORD_0
	v_lshlrev_b32_sdwa v116, v114, v85 dst_sel:DWORD dst_unused:UNUSED_PAD src0_sel:DWORD src1_sel:WORD_0
	v_add_co_u32 v114, s35, v6, v115
	v_add_co_ci_u32_e64 v115, null, 0, v7, s35
	v_add_co_u32 v116, s35, v6, v116
	v_add_co_ci_u32_e64 v117, null, 0, v7, s35
	s_clause 0x1
	flat_load_ushort v114, v[114:115]
	flat_load_ushort v115, v[116:117]
	s_waitcnt vmcnt(0) lgkmcnt(0)
	v_cmp_lt_u16_e64 s35, v114, v115
	v_cndmask_b32_e64 v114, v84, v85, s35
	v_cndmask_b32_e64 v85, v85, v84, s35
	v_mov_b32_e32 v84, v114
	s_or_b32 exec_lo, exec_lo, s38
	s_and_saveexec_b32 s38, s90
	s_cbranch_execnz .LBB872_1334
.LBB872_855:
	s_or_b32 exec_lo, exec_lo, s38
	s_and_saveexec_b32 s38, s91
	s_cbranch_execz .LBB872_1335
.LBB872_856:
	v_mov_b32_e32 v114, 1
	v_lshlrev_b32_sdwa v115, v114, v80 dst_sel:DWORD dst_unused:UNUSED_PAD src0_sel:DWORD src1_sel:WORD_0
	v_lshlrev_b32_sdwa v116, v114, v81 dst_sel:DWORD dst_unused:UNUSED_PAD src0_sel:DWORD src1_sel:WORD_0
	v_add_co_u32 v114, s35, v6, v115
	v_add_co_ci_u32_e64 v115, null, 0, v7, s35
	v_add_co_u32 v116, s35, v6, v116
	v_add_co_ci_u32_e64 v117, null, 0, v7, s35
	s_clause 0x1
	flat_load_ushort v114, v[114:115]
	flat_load_ushort v115, v[116:117]
	s_waitcnt vmcnt(0) lgkmcnt(0)
	v_cmp_lt_u16_e64 s35, v114, v115
	v_cndmask_b32_e64 v114, v80, v81, s35
	v_cndmask_b32_e64 v81, v81, v80, s35
	v_mov_b32_e32 v80, v114
	s_or_b32 exec_lo, exec_lo, s38
	s_and_saveexec_b32 s38, s92
	s_cbranch_execnz .LBB872_1336
.LBB872_857:
	s_or_b32 exec_lo, exec_lo, s38
	s_and_saveexec_b32 s38, s93
	s_cbranch_execz .LBB872_1337
.LBB872_858:
	v_mov_b32_e32 v114, 1
	v_lshlrev_b32_sdwa v115, v114, v68 dst_sel:DWORD dst_unused:UNUSED_PAD src0_sel:DWORD src1_sel:WORD_0
	v_lshlrev_b32_sdwa v116, v114, v69 dst_sel:DWORD dst_unused:UNUSED_PAD src0_sel:DWORD src1_sel:WORD_0
	v_add_co_u32 v114, s35, v6, v115
	v_add_co_ci_u32_e64 v115, null, 0, v7, s35
	v_add_co_u32 v116, s35, v6, v116
	v_add_co_ci_u32_e64 v117, null, 0, v7, s35
	s_clause 0x1
	flat_load_ushort v114, v[114:115]
	flat_load_ushort v115, v[116:117]
	s_waitcnt vmcnt(0) lgkmcnt(0)
	v_cmp_lt_u16_e64 s35, v114, v115
	v_cndmask_b32_e64 v114, v68, v69, s35
	v_cndmask_b32_e64 v69, v69, v68, s35
	v_mov_b32_e32 v68, v114
	s_or_b32 exec_lo, exec_lo, s38
	s_and_saveexec_b32 s38, s94
	s_cbranch_execnz .LBB872_1338
.LBB872_859:
	s_or_b32 exec_lo, exec_lo, s38
	s_and_saveexec_b32 s38, s95
	s_cbranch_execz .LBB872_1339
.LBB872_860:
	v_mov_b32_e32 v114, 1
	v_lshlrev_b32_sdwa v115, v114, v55 dst_sel:DWORD dst_unused:UNUSED_PAD src0_sel:DWORD src1_sel:WORD_0
	v_lshlrev_b32_sdwa v116, v114, v65 dst_sel:DWORD dst_unused:UNUSED_PAD src0_sel:DWORD src1_sel:WORD_0
	v_add_co_u32 v114, s35, v6, v115
	v_add_co_ci_u32_e64 v115, null, 0, v7, s35
	v_add_co_u32 v116, s35, v6, v116
	v_add_co_ci_u32_e64 v117, null, 0, v7, s35
	s_clause 0x1
	flat_load_ushort v114, v[114:115]
	flat_load_ushort v115, v[116:117]
	s_waitcnt vmcnt(0) lgkmcnt(0)
	v_cmp_lt_u16_e64 s35, v114, v115
	v_cndmask_b32_e64 v114, v55, v65, s35
	v_cndmask_b32_e64 v65, v65, v55, s35
	v_mov_b32_e32 v55, v114
	s_or_b32 exec_lo, exec_lo, s38
	s_and_saveexec_b32 s38, vcc_hi
	s_cbranch_execnz .LBB872_1340
.LBB872_861:
	s_or_b32 exec_lo, exec_lo, s38
	s_and_saveexec_b32 s38, s30
	s_cbranch_execz .LBB872_1341
.LBB872_862:
	v_mov_b32_e32 v114, 1
	v_lshlrev_b32_sdwa v115, v114, v52 dst_sel:DWORD dst_unused:UNUSED_PAD src0_sel:DWORD src1_sel:WORD_0
	v_lshlrev_b32_sdwa v116, v114, v64 dst_sel:DWORD dst_unused:UNUSED_PAD src0_sel:DWORD src1_sel:WORD_0
	v_add_co_u32 v114, s35, v6, v115
	v_add_co_ci_u32_e64 v115, null, 0, v7, s35
	v_add_co_u32 v116, s35, v6, v116
	v_add_co_ci_u32_e64 v117, null, 0, v7, s35
	s_clause 0x1
	flat_load_ushort v114, v[114:115]
	flat_load_ushort v115, v[116:117]
	s_waitcnt vmcnt(0) lgkmcnt(0)
	v_cmp_lt_u16_e64 s35, v114, v115
	v_cndmask_b32_e64 v114, v64, v52, s35
	v_cndmask_b32_e64 v52, v52, v64, s35
	v_mov_b32_e32 v64, v114
	s_or_b32 exec_lo, exec_lo, s38
	s_and_saveexec_b32 s38, s31
	s_cbranch_execnz .LBB872_1342
.LBB872_863:
	s_or_b32 exec_lo, exec_lo, s38
	s_and_saveexec_b32 s38, s34
	s_cbranch_execz .LBB872_1343
.LBB872_864:
	v_mov_b32_e32 v114, 1
	v_lshlrev_b32_sdwa v115, v114, v103 dst_sel:DWORD dst_unused:UNUSED_PAD src0_sel:DWORD src1_sel:WORD_0
	v_lshlrev_b32_sdwa v116, v114, v49 dst_sel:DWORD dst_unused:UNUSED_PAD src0_sel:DWORD src1_sel:WORD_0
	v_add_co_u32 v114, s35, v6, v115
	v_add_co_ci_u32_e64 v115, null, 0, v7, s35
	v_add_co_u32 v116, s35, v6, v116
	v_add_co_ci_u32_e64 v117, null, 0, v7, s35
	s_clause 0x1
	flat_load_ushort v114, v[114:115]
	flat_load_ushort v115, v[116:117]
	s_waitcnt vmcnt(0) lgkmcnt(0)
	v_cmp_lt_u16_e64 s35, v114, v115
	v_cndmask_b32_e64 v114, v49, v103, s35
	v_cndmask_b32_e64 v103, v103, v49, s35
	v_mov_b32_e32 v49, v114
	s_or_b32 exec_lo, exec_lo, s38
	s_and_saveexec_b32 s38, s8
	s_cbranch_execnz .LBB872_1344
.LBB872_865:
	s_or_b32 exec_lo, exec_lo, s38
	s_and_saveexec_b32 s38, s9
	s_cbranch_execz .LBB872_1345
.LBB872_866:
	v_mov_b32_e32 v114, 1
	v_lshlrev_b32_sdwa v115, v114, v100 dst_sel:DWORD dst_unused:UNUSED_PAD src0_sel:DWORD src1_sel:WORD_0
	v_lshlrev_b32_sdwa v116, v114, v101 dst_sel:DWORD dst_unused:UNUSED_PAD src0_sel:DWORD src1_sel:WORD_0
	v_add_co_u32 v114, s35, v6, v115
	v_add_co_ci_u32_e64 v115, null, 0, v7, s35
	v_add_co_u32 v116, s35, v6, v116
	v_add_co_ci_u32_e64 v117, null, 0, v7, s35
	s_clause 0x1
	flat_load_ushort v114, v[114:115]
	flat_load_ushort v115, v[116:117]
	s_waitcnt vmcnt(0) lgkmcnt(0)
	v_cmp_lt_u16_e64 s35, v114, v115
	v_cndmask_b32_e64 v114, v100, v101, s35
	v_cndmask_b32_e64 v101, v101, v100, s35
	v_mov_b32_e32 v100, v114
	s_or_b32 exec_lo, exec_lo, s38
	s_and_saveexec_b32 s38, s12
	s_cbranch_execnz .LBB872_1346
.LBB872_867:
	s_or_b32 exec_lo, exec_lo, s38
	s_and_saveexec_b32 s38, s13
	s_cbranch_execz .LBB872_1347
.LBB872_868:
	v_mov_b32_e32 v114, 1
	v_lshlrev_b32_sdwa v115, v114, v87 dst_sel:DWORD dst_unused:UNUSED_PAD src0_sel:DWORD src1_sel:WORD_0
	v_lshlrev_b32_sdwa v116, v114, v96 dst_sel:DWORD dst_unused:UNUSED_PAD src0_sel:DWORD src1_sel:WORD_0
	v_add_co_u32 v114, s35, v6, v115
	v_add_co_ci_u32_e64 v115, null, 0, v7, s35
	v_add_co_u32 v116, s35, v6, v116
	v_add_co_ci_u32_e64 v117, null, 0, v7, s35
	s_clause 0x1
	flat_load_ushort v114, v[114:115]
	flat_load_ushort v115, v[116:117]
	s_waitcnt vmcnt(0) lgkmcnt(0)
	v_cmp_lt_u16_e64 s35, v114, v115
	v_cndmask_b32_e64 v114, v87, v96, s35
	v_cndmask_b32_e64 v96, v96, v87, s35
	v_mov_b32_e32 v87, v114
	s_or_b32 exec_lo, exec_lo, s38
	s_and_saveexec_b32 s38, s57
	s_cbranch_execnz .LBB872_1348
.LBB872_869:
	s_or_b32 exec_lo, exec_lo, s38
	s_and_saveexec_b32 s38, s58
	s_cbranch_execz .LBB872_1349
.LBB872_870:
	v_mov_b32_e32 v114, 1
	v_lshlrev_b32_sdwa v115, v114, v83 dst_sel:DWORD dst_unused:UNUSED_PAD src0_sel:DWORD src1_sel:WORD_0
	v_lshlrev_b32_sdwa v116, v114, v84 dst_sel:DWORD dst_unused:UNUSED_PAD src0_sel:DWORD src1_sel:WORD_0
	v_add_co_u32 v114, s35, v6, v115
	v_add_co_ci_u32_e64 v115, null, 0, v7, s35
	v_add_co_u32 v116, s35, v6, v116
	v_add_co_ci_u32_e64 v117, null, 0, v7, s35
	s_clause 0x1
	flat_load_ushort v114, v[114:115]
	flat_load_ushort v115, v[116:117]
	s_waitcnt vmcnt(0) lgkmcnt(0)
	v_cmp_lt_u16_e64 s35, v114, v115
	v_cndmask_b32_e64 v114, v83, v84, s35
	v_cndmask_b32_e64 v84, v84, v83, s35
	v_mov_b32_e32 v83, v114
	s_or_b32 exec_lo, exec_lo, s38
	s_and_saveexec_b32 s38, s59
	s_cbranch_execnz .LBB872_1350
.LBB872_871:
	s_or_b32 exec_lo, exec_lo, s38
	s_and_saveexec_b32 s38, s60
	s_cbranch_execz .LBB872_1351
.LBB872_872:
	v_mov_b32_e32 v114, 1
	v_lshlrev_b32_sdwa v115, v114, v71 dst_sel:DWORD dst_unused:UNUSED_PAD src0_sel:DWORD src1_sel:WORD_0
	v_lshlrev_b32_sdwa v116, v114, v80 dst_sel:DWORD dst_unused:UNUSED_PAD src0_sel:DWORD src1_sel:WORD_0
	v_add_co_u32 v114, s35, v6, v115
	v_add_co_ci_u32_e64 v115, null, 0, v7, s35
	v_add_co_u32 v116, s35, v6, v116
	v_add_co_ci_u32_e64 v117, null, 0, v7, s35
	s_clause 0x1
	flat_load_ushort v114, v[114:115]
	flat_load_ushort v115, v[116:117]
	s_waitcnt vmcnt(0) lgkmcnt(0)
	v_cmp_lt_u16_e64 s35, v114, v115
	v_cndmask_b32_e64 v114, v71, v80, s35
	v_cndmask_b32_e64 v80, v80, v71, s35
	v_mov_b32_e32 v71, v114
	s_or_b32 exec_lo, exec_lo, s38
	s_and_saveexec_b32 s38, s61
	s_cbranch_execnz .LBB872_1352
.LBB872_873:
	s_or_b32 exec_lo, exec_lo, s38
	s_and_saveexec_b32 s38, s62
	s_cbranch_execz .LBB872_1353
.LBB872_874:
	v_mov_b32_e32 v114, 1
	v_lshlrev_b32_sdwa v115, v114, v67 dst_sel:DWORD dst_unused:UNUSED_PAD src0_sel:DWORD src1_sel:WORD_0
	v_lshlrev_b32_sdwa v116, v114, v68 dst_sel:DWORD dst_unused:UNUSED_PAD src0_sel:DWORD src1_sel:WORD_0
	v_add_co_u32 v114, s35, v6, v115
	v_add_co_ci_u32_e64 v115, null, 0, v7, s35
	v_add_co_u32 v116, s35, v6, v116
	v_add_co_ci_u32_e64 v117, null, 0, v7, s35
	s_clause 0x1
	flat_load_ushort v114, v[114:115]
	flat_load_ushort v115, v[116:117]
	s_waitcnt vmcnt(0) lgkmcnt(0)
	v_cmp_lt_u16_e64 s35, v114, v115
	v_cndmask_b32_e64 v114, v67, v68, s35
	v_cndmask_b32_e64 v68, v68, v67, s35
	v_mov_b32_e32 v67, v114
	s_or_b32 exec_lo, exec_lo, s38
	s_and_saveexec_b32 s38, s63
	s_cbranch_execnz .LBB872_1354
.LBB872_875:
	s_or_b32 exec_lo, exec_lo, s38
	s_and_saveexec_b32 s38, s72
	s_cbranch_execz .LBB872_1355
.LBB872_876:
	v_mov_b32_e32 v114, 1
	v_lshlrev_b32_sdwa v115, v114, v54 dst_sel:DWORD dst_unused:UNUSED_PAD src0_sel:DWORD src1_sel:WORD_0
	v_lshlrev_b32_sdwa v116, v114, v55 dst_sel:DWORD dst_unused:UNUSED_PAD src0_sel:DWORD src1_sel:WORD_0
	v_add_co_u32 v114, s35, v6, v115
	v_add_co_ci_u32_e64 v115, null, 0, v7, s35
	v_add_co_u32 v116, s35, v6, v116
	v_add_co_ci_u32_e64 v117, null, 0, v7, s35
	s_clause 0x1
	flat_load_ushort v114, v[114:115]
	flat_load_ushort v115, v[116:117]
	s_waitcnt vmcnt(0) lgkmcnt(0)
	v_cmp_lt_u16_e64 s35, v114, v115
	v_cndmask_b32_e64 v114, v54, v55, s35
	v_cndmask_b32_e64 v55, v55, v54, s35
	v_mov_b32_e32 v54, v114
	s_or_b32 exec_lo, exec_lo, s38
	s_and_saveexec_b32 s38, s73
	s_cbranch_execnz .LBB872_1356
.LBB872_877:
	s_or_b32 exec_lo, exec_lo, s38
	s_and_saveexec_b32 s38, s74
	s_cbranch_execz .LBB872_1357
.LBB872_878:
	v_mov_b32_e32 v114, 1
	v_lshlrev_b32_sdwa v115, v114, v51 dst_sel:DWORD dst_unused:UNUSED_PAD src0_sel:DWORD src1_sel:WORD_0
	v_lshlrev_b32_sdwa v116, v114, v52 dst_sel:DWORD dst_unused:UNUSED_PAD src0_sel:DWORD src1_sel:WORD_0
	v_add_co_u32 v114, s35, v6, v115
	v_add_co_ci_u32_e64 v115, null, 0, v7, s35
	v_add_co_u32 v116, s35, v6, v116
	v_add_co_ci_u32_e64 v117, null, 0, v7, s35
	s_clause 0x1
	flat_load_ushort v114, v[114:115]
	flat_load_ushort v115, v[116:117]
	s_waitcnt vmcnt(0) lgkmcnt(0)
	v_cmp_lt_u16_e64 s35, v114, v115
	v_cndmask_b32_e64 v114, v52, v51, s35
	v_cndmask_b32_e64 v51, v51, v52, s35
	v_mov_b32_e32 v52, v114
	s_or_b32 exec_lo, exec_lo, s38
	s_and_saveexec_b32 s38, s75
	s_cbranch_execnz .LBB872_1358
.LBB872_879:
	s_or_b32 exec_lo, exec_lo, s38
	s_and_saveexec_b32 s38, s76
	s_cbranch_execz .LBB872_1359
.LBB872_880:
	v_mov_b32_e32 v114, 1
	v_lshlrev_b32_sdwa v115, v114, v48 dst_sel:DWORD dst_unused:UNUSED_PAD src0_sel:DWORD src1_sel:WORD_0
	v_lshlrev_b32_sdwa v116, v114, v103 dst_sel:DWORD dst_unused:UNUSED_PAD src0_sel:DWORD src1_sel:WORD_0
	v_add_co_u32 v114, s35, v6, v115
	v_add_co_ci_u32_e64 v115, null, 0, v7, s35
	v_add_co_u32 v116, s35, v6, v116
	v_add_co_ci_u32_e64 v117, null, 0, v7, s35
	s_clause 0x1
	flat_load_ushort v114, v[114:115]
	flat_load_ushort v115, v[116:117]
	s_waitcnt vmcnt(0) lgkmcnt(0)
	v_cmp_lt_u16_e64 s35, v114, v115
	v_cndmask_b32_e64 v114, v103, v48, s35
	v_cndmask_b32_e64 v48, v48, v103, s35
	v_mov_b32_e32 v103, v114
	s_or_b32 exec_lo, exec_lo, s38
	s_and_saveexec_b32 s38, s77
	s_cbranch_execnz .LBB872_1360
.LBB872_881:
	s_or_b32 exec_lo, exec_lo, s38
	s_and_saveexec_b32 s38, s78
	s_cbranch_execz .LBB872_1361
.LBB872_882:
	v_mov_b32_e32 v114, 1
	v_lshlrev_b32_sdwa v115, v114, v98 dst_sel:DWORD dst_unused:UNUSED_PAD src0_sel:DWORD src1_sel:WORD_0
	v_lshlrev_b32_sdwa v116, v114, v100 dst_sel:DWORD dst_unused:UNUSED_PAD src0_sel:DWORD src1_sel:WORD_0
	v_add_co_u32 v114, s35, v6, v115
	v_add_co_ci_u32_e64 v115, null, 0, v7, s35
	v_add_co_u32 v116, s35, v6, v116
	v_add_co_ci_u32_e64 v117, null, 0, v7, s35
	s_clause 0x1
	flat_load_ushort v114, v[114:115]
	flat_load_ushort v115, v[116:117]
	s_waitcnt vmcnt(0) lgkmcnt(0)
	v_cmp_lt_u16_e64 s35, v114, v115
	v_cndmask_b32_e64 v114, v98, v100, s35
	v_cndmask_b32_e64 v100, v100, v98, s35
	v_mov_b32_e32 v98, v114
	s_or_b32 exec_lo, exec_lo, s38
	s_and_saveexec_b32 s38, s79
	s_cbranch_execnz .LBB872_1362
.LBB872_883:
	s_or_b32 exec_lo, exec_lo, s38
	s_and_saveexec_b32 s38, s88
	s_cbranch_execz .LBB872_1363
.LBB872_884:
	v_mov_b32_e32 v114, 1
	v_lshlrev_b32_sdwa v115, v114, v86 dst_sel:DWORD dst_unused:UNUSED_PAD src0_sel:DWORD src1_sel:WORD_0
	v_lshlrev_b32_sdwa v116, v114, v87 dst_sel:DWORD dst_unused:UNUSED_PAD src0_sel:DWORD src1_sel:WORD_0
	v_add_co_u32 v114, s35, v6, v115
	v_add_co_ci_u32_e64 v115, null, 0, v7, s35
	v_add_co_u32 v116, s35, v6, v116
	v_add_co_ci_u32_e64 v117, null, 0, v7, s35
	s_clause 0x1
	flat_load_ushort v114, v[114:115]
	flat_load_ushort v115, v[116:117]
	s_waitcnt vmcnt(0) lgkmcnt(0)
	v_cmp_lt_u16_e64 s35, v114, v115
	v_cndmask_b32_e64 v114, v86, v87, s35
	v_cndmask_b32_e64 v87, v87, v86, s35
	v_mov_b32_e32 v86, v114
	s_or_b32 exec_lo, exec_lo, s38
	s_and_saveexec_b32 s38, s89
	s_cbranch_execnz .LBB872_1364
.LBB872_885:
	s_or_b32 exec_lo, exec_lo, s38
	s_and_saveexec_b32 s38, s90
	s_cbranch_execz .LBB872_1365
.LBB872_886:
	v_mov_b32_e32 v114, 1
	v_lshlrev_b32_sdwa v115, v114, v82 dst_sel:DWORD dst_unused:UNUSED_PAD src0_sel:DWORD src1_sel:WORD_0
	v_lshlrev_b32_sdwa v116, v114, v83 dst_sel:DWORD dst_unused:UNUSED_PAD src0_sel:DWORD src1_sel:WORD_0
	v_add_co_u32 v114, s35, v6, v115
	v_add_co_ci_u32_e64 v115, null, 0, v7, s35
	v_add_co_u32 v116, s35, v6, v116
	v_add_co_ci_u32_e64 v117, null, 0, v7, s35
	s_clause 0x1
	flat_load_ushort v114, v[114:115]
	flat_load_ushort v115, v[116:117]
	s_waitcnt vmcnt(0) lgkmcnt(0)
	v_cmp_lt_u16_e64 s35, v114, v115
	v_cndmask_b32_e64 v114, v82, v83, s35
	v_cndmask_b32_e64 v83, v83, v82, s35
	v_mov_b32_e32 v82, v114
	s_or_b32 exec_lo, exec_lo, s38
	s_and_saveexec_b32 s38, s91
	s_cbranch_execnz .LBB872_1366
.LBB872_887:
	s_or_b32 exec_lo, exec_lo, s38
	s_and_saveexec_b32 s38, s92
	s_cbranch_execz .LBB872_1367
.LBB872_888:
	v_mov_b32_e32 v114, 1
	v_lshlrev_b32_sdwa v115, v114, v70 dst_sel:DWORD dst_unused:UNUSED_PAD src0_sel:DWORD src1_sel:WORD_0
	v_lshlrev_b32_sdwa v116, v114, v71 dst_sel:DWORD dst_unused:UNUSED_PAD src0_sel:DWORD src1_sel:WORD_0
	v_add_co_u32 v114, s35, v6, v115
	v_add_co_ci_u32_e64 v115, null, 0, v7, s35
	v_add_co_u32 v116, s35, v6, v116
	v_add_co_ci_u32_e64 v117, null, 0, v7, s35
	s_clause 0x1
	flat_load_ushort v114, v[114:115]
	flat_load_ushort v115, v[116:117]
	s_waitcnt vmcnt(0) lgkmcnt(0)
	v_cmp_lt_u16_e64 s35, v114, v115
	v_cndmask_b32_e64 v114, v70, v71, s35
	v_cndmask_b32_e64 v71, v71, v70, s35
	v_mov_b32_e32 v70, v114
	s_or_b32 exec_lo, exec_lo, s38
	s_and_saveexec_b32 s38, s93
	s_cbranch_execnz .LBB872_1368
.LBB872_889:
	s_or_b32 exec_lo, exec_lo, s38
	s_and_saveexec_b32 s38, s94
	s_cbranch_execz .LBB872_1369
.LBB872_890:
	v_mov_b32_e32 v114, 1
	v_lshlrev_b32_sdwa v115, v114, v66 dst_sel:DWORD dst_unused:UNUSED_PAD src0_sel:DWORD src1_sel:WORD_0
	v_lshlrev_b32_sdwa v116, v114, v67 dst_sel:DWORD dst_unused:UNUSED_PAD src0_sel:DWORD src1_sel:WORD_0
	v_add_co_u32 v114, s35, v6, v115
	v_add_co_ci_u32_e64 v115, null, 0, v7, s35
	v_add_co_u32 v116, s35, v6, v116
	v_add_co_ci_u32_e64 v117, null, 0, v7, s35
	s_clause 0x1
	flat_load_ushort v114, v[114:115]
	flat_load_ushort v115, v[116:117]
	s_waitcnt vmcnt(0) lgkmcnt(0)
	v_cmp_lt_u16_e64 s35, v114, v115
	v_cndmask_b32_e64 v114, v66, v67, s35
	v_cndmask_b32_e64 v67, v67, v66, s35
	v_mov_b32_e32 v66, v114
	s_or_b32 exec_lo, exec_lo, s38
	s_and_saveexec_b32 s38, s95
	s_cbranch_execnz .LBB872_1370
.LBB872_891:
	s_or_b32 exec_lo, exec_lo, s38
	s_and_saveexec_b32 s38, vcc_hi
	s_cbranch_execz .LBB872_1371
.LBB872_892:
	v_mov_b32_e32 v114, 1
	v_lshlrev_b32_sdwa v115, v114, v53 dst_sel:DWORD dst_unused:UNUSED_PAD src0_sel:DWORD src1_sel:WORD_0
	v_lshlrev_b32_sdwa v116, v114, v54 dst_sel:DWORD dst_unused:UNUSED_PAD src0_sel:DWORD src1_sel:WORD_0
	v_add_co_u32 v114, s35, v6, v115
	v_add_co_ci_u32_e64 v115, null, 0, v7, s35
	v_add_co_u32 v116, s35, v6, v116
	v_add_co_ci_u32_e64 v117, null, 0, v7, s35
	s_clause 0x1
	flat_load_ushort v114, v[114:115]
	flat_load_ushort v115, v[116:117]
	s_waitcnt vmcnt(0) lgkmcnt(0)
	v_cmp_lt_u16_e64 s35, v114, v115
	v_cndmask_b32_e64 v114, v53, v54, s35
	v_cndmask_b32_e64 v54, v54, v53, s35
	v_mov_b32_e32 v53, v114
	s_or_b32 exec_lo, exec_lo, s38
	s_and_saveexec_b32 s38, s30
	s_cbranch_execnz .LBB872_1372
.LBB872_893:
	s_or_b32 exec_lo, exec_lo, s38
	s_and_saveexec_b32 s38, s31
	s_cbranch_execz .LBB872_1373
.LBB872_894:
	v_mov_b32_e32 v114, 1
	v_lshlrev_b32_sdwa v115, v114, v50 dst_sel:DWORD dst_unused:UNUSED_PAD src0_sel:DWORD src1_sel:WORD_0
	v_lshlrev_b32_sdwa v116, v114, v51 dst_sel:DWORD dst_unused:UNUSED_PAD src0_sel:DWORD src1_sel:WORD_0
	v_add_co_u32 v114, s35, v6, v115
	v_add_co_ci_u32_e64 v115, null, 0, v7, s35
	v_add_co_u32 v116, s35, v6, v116
	v_add_co_ci_u32_e64 v117, null, 0, v7, s35
	s_clause 0x1
	flat_load_ushort v114, v[114:115]
	flat_load_ushort v115, v[116:117]
	s_waitcnt vmcnt(0) lgkmcnt(0)
	v_cmp_lt_u16_e64 s35, v114, v115
	v_cndmask_b32_e64 v114, v51, v50, s35
	v_cndmask_b32_e64 v50, v50, v51, s35
	v_mov_b32_e32 v51, v114
	s_or_b32 exec_lo, exec_lo, s38
	s_and_saveexec_b32 s38, s34
	s_cbranch_execnz .LBB872_1374
.LBB872_895:
	s_or_b32 exec_lo, exec_lo, s38
	s_and_saveexec_b32 s38, s8
	s_cbranch_execz .LBB872_1375
.LBB872_896:
	v_mov_b32_e32 v114, 1
	v_lshlrev_b32_sdwa v115, v114, v102 dst_sel:DWORD dst_unused:UNUSED_PAD src0_sel:DWORD src1_sel:WORD_0
	v_lshlrev_b32_sdwa v116, v114, v99 dst_sel:DWORD dst_unused:UNUSED_PAD src0_sel:DWORD src1_sel:WORD_0
	v_add_co_u32 v114, s35, v6, v115
	v_add_co_ci_u32_e64 v115, null, 0, v7, s35
	v_add_co_u32 v116, s35, v6, v116
	v_add_co_ci_u32_e64 v117, null, 0, v7, s35
	s_clause 0x1
	flat_load_ushort v114, v[114:115]
	flat_load_ushort v115, v[116:117]
	s_waitcnt vmcnt(0) lgkmcnt(0)
	v_cmp_lt_u16_e64 s35, v114, v115
	v_cndmask_b32_e64 v114, v102, v99, s35
	v_cndmask_b32_e64 v99, v99, v102, s35
	v_mov_b32_e32 v102, v114
	s_or_b32 exec_lo, exec_lo, s38
	s_and_saveexec_b32 s38, s9
	s_cbranch_execnz .LBB872_1376
.LBB872_897:
	s_or_b32 exec_lo, exec_lo, s38
	s_and_saveexec_b32 s38, s12
	s_cbranch_execz .LBB872_1377
.LBB872_898:
	v_mov_b32_e32 v114, 1
	v_lshlrev_b32_sdwa v115, v114, v97 dst_sel:DWORD dst_unused:UNUSED_PAD src0_sel:DWORD src1_sel:WORD_0
	v_lshlrev_b32_sdwa v116, v114, v98 dst_sel:DWORD dst_unused:UNUSED_PAD src0_sel:DWORD src1_sel:WORD_0
	v_add_co_u32 v114, s35, v6, v115
	v_add_co_ci_u32_e64 v115, null, 0, v7, s35
	v_add_co_u32 v116, s35, v6, v116
	v_add_co_ci_u32_e64 v117, null, 0, v7, s35
	s_clause 0x1
	flat_load_ushort v114, v[114:115]
	flat_load_ushort v115, v[116:117]
	s_waitcnt vmcnt(0) lgkmcnt(0)
	v_cmp_lt_u16_e64 s35, v114, v115
	v_cndmask_b32_e64 v114, v97, v98, s35
	v_cndmask_b32_e64 v98, v98, v97, s35
	v_mov_b32_e32 v97, v114
	s_or_b32 exec_lo, exec_lo, s38
	s_and_saveexec_b32 s38, s13
	s_cbranch_execnz .LBB872_1378
.LBB872_899:
	s_or_b32 exec_lo, exec_lo, s38
	s_and_saveexec_b32 s38, s57
	s_cbranch_execz .LBB872_1379
.LBB872_900:
	v_mov_b32_e32 v114, 1
	v_lshlrev_b32_sdwa v115, v114, v85 dst_sel:DWORD dst_unused:UNUSED_PAD src0_sel:DWORD src1_sel:WORD_0
	v_lshlrev_b32_sdwa v116, v114, v86 dst_sel:DWORD dst_unused:UNUSED_PAD src0_sel:DWORD src1_sel:WORD_0
	v_add_co_u32 v114, s35, v6, v115
	v_add_co_ci_u32_e64 v115, null, 0, v7, s35
	v_add_co_u32 v116, s35, v6, v116
	v_add_co_ci_u32_e64 v117, null, 0, v7, s35
	s_clause 0x1
	flat_load_ushort v114, v[114:115]
	flat_load_ushort v115, v[116:117]
	s_waitcnt vmcnt(0) lgkmcnt(0)
	v_cmp_lt_u16_e64 s35, v114, v115
	v_cndmask_b32_e64 v114, v85, v86, s35
	v_cndmask_b32_e64 v86, v86, v85, s35
	v_mov_b32_e32 v85, v114
	s_or_b32 exec_lo, exec_lo, s38
	s_and_saveexec_b32 s38, s58
	s_cbranch_execnz .LBB872_1380
.LBB872_901:
	s_or_b32 exec_lo, exec_lo, s38
	s_and_saveexec_b32 s38, s59
	s_cbranch_execz .LBB872_1381
.LBB872_902:
	v_mov_b32_e32 v114, 1
	v_lshlrev_b32_sdwa v115, v114, v81 dst_sel:DWORD dst_unused:UNUSED_PAD src0_sel:DWORD src1_sel:WORD_0
	v_lshlrev_b32_sdwa v116, v114, v82 dst_sel:DWORD dst_unused:UNUSED_PAD src0_sel:DWORD src1_sel:WORD_0
	v_add_co_u32 v114, s35, v6, v115
	v_add_co_ci_u32_e64 v115, null, 0, v7, s35
	v_add_co_u32 v116, s35, v6, v116
	v_add_co_ci_u32_e64 v117, null, 0, v7, s35
	s_clause 0x1
	flat_load_ushort v114, v[114:115]
	flat_load_ushort v115, v[116:117]
	s_waitcnt vmcnt(0) lgkmcnt(0)
	v_cmp_lt_u16_e64 s35, v114, v115
	v_cndmask_b32_e64 v114, v81, v82, s35
	v_cndmask_b32_e64 v82, v82, v81, s35
	v_mov_b32_e32 v81, v114
	s_or_b32 exec_lo, exec_lo, s38
	s_and_saveexec_b32 s38, s60
	s_cbranch_execnz .LBB872_1382
.LBB872_903:
	s_or_b32 exec_lo, exec_lo, s38
	s_and_saveexec_b32 s38, s61
	s_cbranch_execz .LBB872_1383
.LBB872_904:
	v_mov_b32_e32 v114, 1
	v_lshlrev_b32_sdwa v115, v114, v69 dst_sel:DWORD dst_unused:UNUSED_PAD src0_sel:DWORD src1_sel:WORD_0
	v_lshlrev_b32_sdwa v116, v114, v70 dst_sel:DWORD dst_unused:UNUSED_PAD src0_sel:DWORD src1_sel:WORD_0
	v_add_co_u32 v114, s35, v6, v115
	v_add_co_ci_u32_e64 v115, null, 0, v7, s35
	v_add_co_u32 v116, s35, v6, v116
	v_add_co_ci_u32_e64 v117, null, 0, v7, s35
	s_clause 0x1
	flat_load_ushort v114, v[114:115]
	flat_load_ushort v115, v[116:117]
	s_waitcnt vmcnt(0) lgkmcnt(0)
	v_cmp_lt_u16_e64 s35, v114, v115
	v_cndmask_b32_e64 v114, v69, v70, s35
	v_cndmask_b32_e64 v70, v70, v69, s35
	v_mov_b32_e32 v69, v114
	s_or_b32 exec_lo, exec_lo, s38
	s_and_saveexec_b32 s38, s62
	s_cbranch_execnz .LBB872_1384
.LBB872_905:
	s_or_b32 exec_lo, exec_lo, s38
	s_and_saveexec_b32 s38, s63
	s_cbranch_execz .LBB872_1385
.LBB872_906:
	v_mov_b32_e32 v114, 1
	v_lshlrev_b32_sdwa v115, v114, v65 dst_sel:DWORD dst_unused:UNUSED_PAD src0_sel:DWORD src1_sel:WORD_0
	v_lshlrev_b32_sdwa v116, v114, v66 dst_sel:DWORD dst_unused:UNUSED_PAD src0_sel:DWORD src1_sel:WORD_0
	v_add_co_u32 v114, s35, v6, v115
	v_add_co_ci_u32_e64 v115, null, 0, v7, s35
	v_add_co_u32 v116, s35, v6, v116
	v_add_co_ci_u32_e64 v117, null, 0, v7, s35
	s_clause 0x1
	flat_load_ushort v114, v[114:115]
	flat_load_ushort v115, v[116:117]
	s_waitcnt vmcnt(0) lgkmcnt(0)
	v_cmp_lt_u16_e64 s35, v114, v115
	v_cndmask_b32_e64 v114, v65, v66, s35
	v_cndmask_b32_e64 v66, v66, v65, s35
	v_mov_b32_e32 v65, v114
	s_or_b32 exec_lo, exec_lo, s38
	s_and_saveexec_b32 s38, s72
	s_cbranch_execnz .LBB872_1386
.LBB872_907:
	s_or_b32 exec_lo, exec_lo, s38
	s_and_saveexec_b32 s38, s73
	s_cbranch_execz .LBB872_1387
.LBB872_908:
	v_mov_b32_e32 v114, 1
	v_lshlrev_b32_sdwa v115, v114, v64 dst_sel:DWORD dst_unused:UNUSED_PAD src0_sel:DWORD src1_sel:WORD_0
	v_lshlrev_b32_sdwa v116, v114, v53 dst_sel:DWORD dst_unused:UNUSED_PAD src0_sel:DWORD src1_sel:WORD_0
	v_add_co_u32 v114, s35, v6, v115
	v_add_co_ci_u32_e64 v115, null, 0, v7, s35
	v_add_co_u32 v116, s35, v6, v116
	v_add_co_ci_u32_e64 v117, null, 0, v7, s35
	s_clause 0x1
	flat_load_ushort v114, v[114:115]
	flat_load_ushort v115, v[116:117]
	s_waitcnt vmcnt(0) lgkmcnt(0)
	v_cmp_lt_u16_e64 s35, v114, v115
	v_cndmask_b32_e64 v114, v64, v53, s35
	v_cndmask_b32_e64 v53, v53, v64, s35
	v_mov_b32_e32 v64, v114
	s_or_b32 exec_lo, exec_lo, s38
	s_and_saveexec_b32 s38, s74
	s_cbranch_execnz .LBB872_1388
.LBB872_909:
	s_or_b32 exec_lo, exec_lo, s38
	s_and_saveexec_b32 s38, s75
	s_cbranch_execz .LBB872_1389
.LBB872_910:
	v_mov_b32_e32 v114, 1
	v_lshlrev_b32_sdwa v115, v114, v49 dst_sel:DWORD dst_unused:UNUSED_PAD src0_sel:DWORD src1_sel:WORD_0
	v_lshlrev_b32_sdwa v116, v114, v50 dst_sel:DWORD dst_unused:UNUSED_PAD src0_sel:DWORD src1_sel:WORD_0
	v_add_co_u32 v114, s35, v6, v115
	v_add_co_ci_u32_e64 v115, null, 0, v7, s35
	v_add_co_u32 v116, s35, v6, v116
	v_add_co_ci_u32_e64 v117, null, 0, v7, s35
	s_clause 0x1
	flat_load_ushort v114, v[114:115]
	flat_load_ushort v115, v[116:117]
	s_waitcnt vmcnt(0) lgkmcnt(0)
	v_cmp_lt_u16_e64 s35, v114, v115
	v_cndmask_b32_e64 v114, v50, v49, s35
	v_cndmask_b32_e64 v49, v49, v50, s35
	v_mov_b32_e32 v50, v114
	s_or_b32 exec_lo, exec_lo, s38
	s_and_saveexec_b32 s38, s76
	s_cbranch_execnz .LBB872_1390
.LBB872_911:
	s_or_b32 exec_lo, exec_lo, s38
	s_and_saveexec_b32 s38, s77
	s_cbranch_execz .LBB872_1391
.LBB872_912:
	v_mov_b32_e32 v114, 1
	v_lshlrev_b32_sdwa v115, v114, v101 dst_sel:DWORD dst_unused:UNUSED_PAD src0_sel:DWORD src1_sel:WORD_0
	v_lshlrev_b32_sdwa v116, v114, v102 dst_sel:DWORD dst_unused:UNUSED_PAD src0_sel:DWORD src1_sel:WORD_0
	v_add_co_u32 v114, s35, v6, v115
	v_add_co_ci_u32_e64 v115, null, 0, v7, s35
	v_add_co_u32 v116, s35, v6, v116
	v_add_co_ci_u32_e64 v117, null, 0, v7, s35
	s_clause 0x1
	flat_load_ushort v114, v[114:115]
	flat_load_ushort v115, v[116:117]
	s_waitcnt vmcnt(0) lgkmcnt(0)
	v_cmp_lt_u16_e64 s35, v114, v115
	v_cndmask_b32_e64 v114, v101, v102, s35
	v_cndmask_b32_e64 v102, v102, v101, s35
	v_mov_b32_e32 v101, v114
	s_or_b32 exec_lo, exec_lo, s38
	s_and_saveexec_b32 s38, s78
	s_cbranch_execnz .LBB872_1392
.LBB872_913:
	s_or_b32 exec_lo, exec_lo, s38
	s_and_saveexec_b32 s38, s79
	s_cbranch_execz .LBB872_1393
.LBB872_914:
	v_mov_b32_e32 v114, 1
	v_lshlrev_b32_sdwa v115, v114, v96 dst_sel:DWORD dst_unused:UNUSED_PAD src0_sel:DWORD src1_sel:WORD_0
	v_lshlrev_b32_sdwa v116, v114, v97 dst_sel:DWORD dst_unused:UNUSED_PAD src0_sel:DWORD src1_sel:WORD_0
	v_add_co_u32 v114, s35, v6, v115
	v_add_co_ci_u32_e64 v115, null, 0, v7, s35
	v_add_co_u32 v116, s35, v6, v116
	v_add_co_ci_u32_e64 v117, null, 0, v7, s35
	s_clause 0x1
	flat_load_ushort v114, v[114:115]
	flat_load_ushort v115, v[116:117]
	s_waitcnt vmcnt(0) lgkmcnt(0)
	v_cmp_lt_u16_e64 s35, v114, v115
	v_cndmask_b32_e64 v114, v96, v97, s35
	v_cndmask_b32_e64 v97, v97, v96, s35
	v_mov_b32_e32 v96, v114
	s_or_b32 exec_lo, exec_lo, s38
	s_and_saveexec_b32 s38, s88
	s_cbranch_execnz .LBB872_1394
.LBB872_915:
	s_or_b32 exec_lo, exec_lo, s38
	s_and_saveexec_b32 s38, s89
	s_cbranch_execz .LBB872_1395
.LBB872_916:
	v_mov_b32_e32 v114, 1
	v_lshlrev_b32_sdwa v115, v114, v84 dst_sel:DWORD dst_unused:UNUSED_PAD src0_sel:DWORD src1_sel:WORD_0
	v_lshlrev_b32_sdwa v116, v114, v85 dst_sel:DWORD dst_unused:UNUSED_PAD src0_sel:DWORD src1_sel:WORD_0
	v_add_co_u32 v114, s35, v6, v115
	v_add_co_ci_u32_e64 v115, null, 0, v7, s35
	v_add_co_u32 v116, s35, v6, v116
	v_add_co_ci_u32_e64 v117, null, 0, v7, s35
	s_clause 0x1
	flat_load_ushort v114, v[114:115]
	flat_load_ushort v115, v[116:117]
	s_waitcnt vmcnt(0) lgkmcnt(0)
	v_cmp_lt_u16_e64 s35, v114, v115
	v_cndmask_b32_e64 v114, v84, v85, s35
	v_cndmask_b32_e64 v85, v85, v84, s35
	v_mov_b32_e32 v84, v114
	s_or_b32 exec_lo, exec_lo, s38
	s_and_saveexec_b32 s38, s90
	s_cbranch_execnz .LBB872_1396
.LBB872_917:
	s_or_b32 exec_lo, exec_lo, s38
	s_and_saveexec_b32 s38, s91
	s_cbranch_execz .LBB872_1397
.LBB872_918:
	v_mov_b32_e32 v114, 1
	v_lshlrev_b32_sdwa v115, v114, v80 dst_sel:DWORD dst_unused:UNUSED_PAD src0_sel:DWORD src1_sel:WORD_0
	v_lshlrev_b32_sdwa v116, v114, v81 dst_sel:DWORD dst_unused:UNUSED_PAD src0_sel:DWORD src1_sel:WORD_0
	v_add_co_u32 v114, s35, v6, v115
	v_add_co_ci_u32_e64 v115, null, 0, v7, s35
	v_add_co_u32 v116, s35, v6, v116
	v_add_co_ci_u32_e64 v117, null, 0, v7, s35
	s_clause 0x1
	flat_load_ushort v114, v[114:115]
	flat_load_ushort v115, v[116:117]
	s_waitcnt vmcnt(0) lgkmcnt(0)
	v_cmp_lt_u16_e64 s35, v114, v115
	v_cndmask_b32_e64 v114, v80, v81, s35
	v_cndmask_b32_e64 v81, v81, v80, s35
	v_mov_b32_e32 v80, v114
	s_or_b32 exec_lo, exec_lo, s38
	s_and_saveexec_b32 s38, s92
	s_cbranch_execnz .LBB872_1398
.LBB872_919:
	s_or_b32 exec_lo, exec_lo, s38
	s_and_saveexec_b32 s38, s93
	s_cbranch_execz .LBB872_1399
.LBB872_920:
	v_mov_b32_e32 v114, 1
	v_lshlrev_b32_sdwa v115, v114, v68 dst_sel:DWORD dst_unused:UNUSED_PAD src0_sel:DWORD src1_sel:WORD_0
	v_lshlrev_b32_sdwa v116, v114, v69 dst_sel:DWORD dst_unused:UNUSED_PAD src0_sel:DWORD src1_sel:WORD_0
	v_add_co_u32 v114, s35, v6, v115
	v_add_co_ci_u32_e64 v115, null, 0, v7, s35
	v_add_co_u32 v116, s35, v6, v116
	v_add_co_ci_u32_e64 v117, null, 0, v7, s35
	s_clause 0x1
	flat_load_ushort v114, v[114:115]
	flat_load_ushort v115, v[116:117]
	s_waitcnt vmcnt(0) lgkmcnt(0)
	v_cmp_lt_u16_e64 s35, v114, v115
	v_cndmask_b32_e64 v114, v68, v69, s35
	v_cndmask_b32_e64 v69, v69, v68, s35
	v_mov_b32_e32 v68, v114
	s_or_b32 exec_lo, exec_lo, s38
	s_and_saveexec_b32 s38, s94
	s_cbranch_execnz .LBB872_1400
.LBB872_921:
	s_or_b32 exec_lo, exec_lo, s38
	s_and_saveexec_b32 s38, s95
	s_cbranch_execz .LBB872_1401
.LBB872_922:
	v_mov_b32_e32 v114, 1
	v_lshlrev_b32_sdwa v115, v114, v55 dst_sel:DWORD dst_unused:UNUSED_PAD src0_sel:DWORD src1_sel:WORD_0
	v_lshlrev_b32_sdwa v116, v114, v65 dst_sel:DWORD dst_unused:UNUSED_PAD src0_sel:DWORD src1_sel:WORD_0
	v_add_co_u32 v114, s35, v6, v115
	v_add_co_ci_u32_e64 v115, null, 0, v7, s35
	v_add_co_u32 v116, s35, v6, v116
	v_add_co_ci_u32_e64 v117, null, 0, v7, s35
	s_clause 0x1
	flat_load_ushort v114, v[114:115]
	flat_load_ushort v115, v[116:117]
	s_waitcnt vmcnt(0) lgkmcnt(0)
	v_cmp_lt_u16_e64 s35, v114, v115
	v_cndmask_b32_e64 v114, v55, v65, s35
	v_cndmask_b32_e64 v65, v65, v55, s35
	v_mov_b32_e32 v55, v114
	s_or_b32 exec_lo, exec_lo, s38
	s_and_saveexec_b32 s38, vcc_hi
	s_cbranch_execnz .LBB872_1402
.LBB872_923:
	s_or_b32 exec_lo, exec_lo, s38
	s_and_saveexec_b32 s38, s30
	s_cbranch_execz .LBB872_1403
.LBB872_924:
	v_mov_b32_e32 v114, 1
	v_lshlrev_b32_sdwa v115, v114, v52 dst_sel:DWORD dst_unused:UNUSED_PAD src0_sel:DWORD src1_sel:WORD_0
	v_lshlrev_b32_sdwa v116, v114, v64 dst_sel:DWORD dst_unused:UNUSED_PAD src0_sel:DWORD src1_sel:WORD_0
	v_add_co_u32 v114, s35, v6, v115
	v_add_co_ci_u32_e64 v115, null, 0, v7, s35
	v_add_co_u32 v116, s35, v6, v116
	v_add_co_ci_u32_e64 v117, null, 0, v7, s35
	s_clause 0x1
	flat_load_ushort v114, v[114:115]
	flat_load_ushort v115, v[116:117]
	s_waitcnt vmcnt(0) lgkmcnt(0)
	v_cmp_lt_u16_e64 s35, v114, v115
	v_cndmask_b32_e64 v114, v64, v52, s35
	v_cndmask_b32_e64 v52, v52, v64, s35
	v_mov_b32_e32 v64, v114
	s_or_b32 exec_lo, exec_lo, s38
	s_and_saveexec_b32 s38, s31
	s_cbranch_execnz .LBB872_1404
.LBB872_925:
	s_or_b32 exec_lo, exec_lo, s38
	s_and_saveexec_b32 s38, s34
	s_cbranch_execz .LBB872_1405
.LBB872_926:
	v_mov_b32_e32 v114, 1
	v_lshlrev_b32_sdwa v115, v114, v103 dst_sel:DWORD dst_unused:UNUSED_PAD src0_sel:DWORD src1_sel:WORD_0
	v_lshlrev_b32_sdwa v116, v114, v49 dst_sel:DWORD dst_unused:UNUSED_PAD src0_sel:DWORD src1_sel:WORD_0
	v_add_co_u32 v114, s35, v6, v115
	v_add_co_ci_u32_e64 v115, null, 0, v7, s35
	v_add_co_u32 v116, s35, v6, v116
	v_add_co_ci_u32_e64 v117, null, 0, v7, s35
	s_clause 0x1
	flat_load_ushort v114, v[114:115]
	flat_load_ushort v115, v[116:117]
	s_waitcnt vmcnt(0) lgkmcnt(0)
	v_cmp_lt_u16_e64 s35, v114, v115
	v_cndmask_b32_e64 v114, v49, v103, s35
	v_cndmask_b32_e64 v103, v103, v49, s35
	v_mov_b32_e32 v49, v114
	s_or_b32 exec_lo, exec_lo, s38
	s_and_saveexec_b32 s38, s8
	s_cbranch_execnz .LBB872_1406
.LBB872_927:
	s_or_b32 exec_lo, exec_lo, s38
	s_and_saveexec_b32 s38, s9
	s_cbranch_execz .LBB872_1407
.LBB872_928:
	v_mov_b32_e32 v114, 1
	v_lshlrev_b32_sdwa v115, v114, v100 dst_sel:DWORD dst_unused:UNUSED_PAD src0_sel:DWORD src1_sel:WORD_0
	v_lshlrev_b32_sdwa v116, v114, v101 dst_sel:DWORD dst_unused:UNUSED_PAD src0_sel:DWORD src1_sel:WORD_0
	v_add_co_u32 v114, s35, v6, v115
	v_add_co_ci_u32_e64 v115, null, 0, v7, s35
	v_add_co_u32 v116, s35, v6, v116
	v_add_co_ci_u32_e64 v117, null, 0, v7, s35
	s_clause 0x1
	flat_load_ushort v114, v[114:115]
	flat_load_ushort v115, v[116:117]
	s_waitcnt vmcnt(0) lgkmcnt(0)
	v_cmp_lt_u16_e64 s35, v114, v115
	v_cndmask_b32_e64 v114, v100, v101, s35
	v_cndmask_b32_e64 v101, v101, v100, s35
	v_mov_b32_e32 v100, v114
	s_or_b32 exec_lo, exec_lo, s38
	s_and_saveexec_b32 s38, s12
	s_cbranch_execnz .LBB872_1408
.LBB872_929:
	s_or_b32 exec_lo, exec_lo, s38
	s_and_saveexec_b32 s38, s13
	s_cbranch_execz .LBB872_1409
.LBB872_930:
	v_mov_b32_e32 v114, 1
	v_lshlrev_b32_sdwa v115, v114, v87 dst_sel:DWORD dst_unused:UNUSED_PAD src0_sel:DWORD src1_sel:WORD_0
	v_lshlrev_b32_sdwa v116, v114, v96 dst_sel:DWORD dst_unused:UNUSED_PAD src0_sel:DWORD src1_sel:WORD_0
	v_add_co_u32 v114, s35, v6, v115
	v_add_co_ci_u32_e64 v115, null, 0, v7, s35
	v_add_co_u32 v116, s35, v6, v116
	v_add_co_ci_u32_e64 v117, null, 0, v7, s35
	s_clause 0x1
	flat_load_ushort v114, v[114:115]
	flat_load_ushort v115, v[116:117]
	s_waitcnt vmcnt(0) lgkmcnt(0)
	v_cmp_lt_u16_e64 s35, v114, v115
	v_cndmask_b32_e64 v114, v87, v96, s35
	v_cndmask_b32_e64 v96, v96, v87, s35
	v_mov_b32_e32 v87, v114
	s_or_b32 exec_lo, exec_lo, s38
	s_and_saveexec_b32 s38, s57
	s_cbranch_execnz .LBB872_1410
.LBB872_931:
	s_or_b32 exec_lo, exec_lo, s38
	s_and_saveexec_b32 s38, s58
	s_cbranch_execz .LBB872_1411
.LBB872_932:
	v_mov_b32_e32 v114, 1
	v_lshlrev_b32_sdwa v115, v114, v83 dst_sel:DWORD dst_unused:UNUSED_PAD src0_sel:DWORD src1_sel:WORD_0
	v_lshlrev_b32_sdwa v116, v114, v84 dst_sel:DWORD dst_unused:UNUSED_PAD src0_sel:DWORD src1_sel:WORD_0
	v_add_co_u32 v114, s35, v6, v115
	v_add_co_ci_u32_e64 v115, null, 0, v7, s35
	v_add_co_u32 v116, s35, v6, v116
	v_add_co_ci_u32_e64 v117, null, 0, v7, s35
	s_clause 0x1
	flat_load_ushort v114, v[114:115]
	flat_load_ushort v115, v[116:117]
	s_waitcnt vmcnt(0) lgkmcnt(0)
	v_cmp_lt_u16_e64 s35, v114, v115
	v_cndmask_b32_e64 v114, v83, v84, s35
	v_cndmask_b32_e64 v84, v84, v83, s35
	v_mov_b32_e32 v83, v114
	s_or_b32 exec_lo, exec_lo, s38
	s_and_saveexec_b32 s38, s59
	s_cbranch_execnz .LBB872_1412
.LBB872_933:
	s_or_b32 exec_lo, exec_lo, s38
	s_and_saveexec_b32 s38, s60
	s_cbranch_execz .LBB872_1413
.LBB872_934:
	v_mov_b32_e32 v114, 1
	v_lshlrev_b32_sdwa v115, v114, v71 dst_sel:DWORD dst_unused:UNUSED_PAD src0_sel:DWORD src1_sel:WORD_0
	v_lshlrev_b32_sdwa v116, v114, v80 dst_sel:DWORD dst_unused:UNUSED_PAD src0_sel:DWORD src1_sel:WORD_0
	v_add_co_u32 v114, s35, v6, v115
	v_add_co_ci_u32_e64 v115, null, 0, v7, s35
	v_add_co_u32 v116, s35, v6, v116
	v_add_co_ci_u32_e64 v117, null, 0, v7, s35
	s_clause 0x1
	flat_load_ushort v114, v[114:115]
	flat_load_ushort v115, v[116:117]
	s_waitcnt vmcnt(0) lgkmcnt(0)
	v_cmp_lt_u16_e64 s35, v114, v115
	v_cndmask_b32_e64 v114, v71, v80, s35
	v_cndmask_b32_e64 v80, v80, v71, s35
	v_mov_b32_e32 v71, v114
	s_or_b32 exec_lo, exec_lo, s38
	s_and_saveexec_b32 s38, s61
	s_cbranch_execnz .LBB872_1414
.LBB872_935:
	s_or_b32 exec_lo, exec_lo, s38
	s_and_saveexec_b32 s38, s62
	s_cbranch_execz .LBB872_1415
.LBB872_936:
	v_mov_b32_e32 v114, 1
	v_lshlrev_b32_sdwa v115, v114, v67 dst_sel:DWORD dst_unused:UNUSED_PAD src0_sel:DWORD src1_sel:WORD_0
	v_lshlrev_b32_sdwa v116, v114, v68 dst_sel:DWORD dst_unused:UNUSED_PAD src0_sel:DWORD src1_sel:WORD_0
	v_add_co_u32 v114, s35, v6, v115
	v_add_co_ci_u32_e64 v115, null, 0, v7, s35
	v_add_co_u32 v116, s35, v6, v116
	v_add_co_ci_u32_e64 v117, null, 0, v7, s35
	s_clause 0x1
	flat_load_ushort v114, v[114:115]
	flat_load_ushort v115, v[116:117]
	s_waitcnt vmcnt(0) lgkmcnt(0)
	v_cmp_lt_u16_e64 s35, v114, v115
	v_cndmask_b32_e64 v114, v67, v68, s35
	v_cndmask_b32_e64 v68, v68, v67, s35
	v_mov_b32_e32 v67, v114
	s_or_b32 exec_lo, exec_lo, s38
	s_and_saveexec_b32 s38, s63
	s_cbranch_execnz .LBB872_1416
.LBB872_937:
	s_or_b32 exec_lo, exec_lo, s38
	s_and_saveexec_b32 s38, s72
	s_cbranch_execz .LBB872_1417
.LBB872_938:
	v_mov_b32_e32 v114, 1
	v_lshlrev_b32_sdwa v115, v114, v54 dst_sel:DWORD dst_unused:UNUSED_PAD src0_sel:DWORD src1_sel:WORD_0
	v_lshlrev_b32_sdwa v116, v114, v55 dst_sel:DWORD dst_unused:UNUSED_PAD src0_sel:DWORD src1_sel:WORD_0
	v_add_co_u32 v114, s35, v6, v115
	v_add_co_ci_u32_e64 v115, null, 0, v7, s35
	v_add_co_u32 v116, s35, v6, v116
	v_add_co_ci_u32_e64 v117, null, 0, v7, s35
	s_clause 0x1
	flat_load_ushort v114, v[114:115]
	flat_load_ushort v115, v[116:117]
	s_waitcnt vmcnt(0) lgkmcnt(0)
	v_cmp_lt_u16_e64 s35, v114, v115
	v_cndmask_b32_e64 v114, v54, v55, s35
	v_cndmask_b32_e64 v55, v55, v54, s35
	v_mov_b32_e32 v54, v114
	s_or_b32 exec_lo, exec_lo, s38
	s_and_saveexec_b32 s38, s73
	s_cbranch_execnz .LBB872_1418
.LBB872_939:
	s_or_b32 exec_lo, exec_lo, s38
	s_and_saveexec_b32 s38, s74
	s_cbranch_execz .LBB872_1419
.LBB872_940:
	v_mov_b32_e32 v114, 1
	v_lshlrev_b32_sdwa v115, v114, v51 dst_sel:DWORD dst_unused:UNUSED_PAD src0_sel:DWORD src1_sel:WORD_0
	v_lshlrev_b32_sdwa v116, v114, v52 dst_sel:DWORD dst_unused:UNUSED_PAD src0_sel:DWORD src1_sel:WORD_0
	v_add_co_u32 v114, s35, v6, v115
	v_add_co_ci_u32_e64 v115, null, 0, v7, s35
	v_add_co_u32 v116, s35, v6, v116
	v_add_co_ci_u32_e64 v117, null, 0, v7, s35
	s_clause 0x1
	flat_load_ushort v114, v[114:115]
	flat_load_ushort v115, v[116:117]
	s_waitcnt vmcnt(0) lgkmcnt(0)
	v_cmp_lt_u16_e64 s35, v114, v115
	v_cndmask_b32_e64 v114, v52, v51, s35
	v_cndmask_b32_e64 v51, v51, v52, s35
	v_mov_b32_e32 v52, v114
	s_or_b32 exec_lo, exec_lo, s38
	s_and_saveexec_b32 s38, s75
	s_cbranch_execnz .LBB872_1420
.LBB872_941:
	s_or_b32 exec_lo, exec_lo, s38
	s_and_saveexec_b32 s38, s76
	s_cbranch_execz .LBB872_1421
.LBB872_942:
	v_mov_b32_e32 v114, 1
	v_lshlrev_b32_sdwa v115, v114, v48 dst_sel:DWORD dst_unused:UNUSED_PAD src0_sel:DWORD src1_sel:WORD_0
	v_lshlrev_b32_sdwa v116, v114, v103 dst_sel:DWORD dst_unused:UNUSED_PAD src0_sel:DWORD src1_sel:WORD_0
	v_add_co_u32 v114, s35, v6, v115
	v_add_co_ci_u32_e64 v115, null, 0, v7, s35
	v_add_co_u32 v116, s35, v6, v116
	v_add_co_ci_u32_e64 v117, null, 0, v7, s35
	s_clause 0x1
	flat_load_ushort v114, v[114:115]
	flat_load_ushort v115, v[116:117]
	s_waitcnt vmcnt(0) lgkmcnt(0)
	v_cmp_lt_u16_e64 s35, v114, v115
	v_cndmask_b32_e64 v114, v103, v48, s35
	v_cndmask_b32_e64 v48, v48, v103, s35
	v_mov_b32_e32 v103, v114
	s_or_b32 exec_lo, exec_lo, s38
	s_and_saveexec_b32 s38, s77
	s_cbranch_execnz .LBB872_1422
.LBB872_943:
	s_or_b32 exec_lo, exec_lo, s38
	s_and_saveexec_b32 s38, s78
	s_cbranch_execz .LBB872_1423
.LBB872_944:
	v_mov_b32_e32 v114, 1
	v_lshlrev_b32_sdwa v115, v114, v98 dst_sel:DWORD dst_unused:UNUSED_PAD src0_sel:DWORD src1_sel:WORD_0
	v_lshlrev_b32_sdwa v116, v114, v100 dst_sel:DWORD dst_unused:UNUSED_PAD src0_sel:DWORD src1_sel:WORD_0
	v_add_co_u32 v114, s35, v6, v115
	v_add_co_ci_u32_e64 v115, null, 0, v7, s35
	v_add_co_u32 v116, s35, v6, v116
	v_add_co_ci_u32_e64 v117, null, 0, v7, s35
	s_clause 0x1
	flat_load_ushort v114, v[114:115]
	flat_load_ushort v115, v[116:117]
	s_waitcnt vmcnt(0) lgkmcnt(0)
	v_cmp_lt_u16_e64 s35, v114, v115
	v_cndmask_b32_e64 v114, v98, v100, s35
	v_cndmask_b32_e64 v100, v100, v98, s35
	v_mov_b32_e32 v98, v114
	s_or_b32 exec_lo, exec_lo, s38
	s_and_saveexec_b32 s38, s79
	s_cbranch_execnz .LBB872_1424
.LBB872_945:
	s_or_b32 exec_lo, exec_lo, s38
	s_and_saveexec_b32 s38, s88
	s_cbranch_execz .LBB872_1425
.LBB872_946:
	v_mov_b32_e32 v114, 1
	v_lshlrev_b32_sdwa v115, v114, v86 dst_sel:DWORD dst_unused:UNUSED_PAD src0_sel:DWORD src1_sel:WORD_0
	v_lshlrev_b32_sdwa v116, v114, v87 dst_sel:DWORD dst_unused:UNUSED_PAD src0_sel:DWORD src1_sel:WORD_0
	v_add_co_u32 v114, s35, v6, v115
	v_add_co_ci_u32_e64 v115, null, 0, v7, s35
	v_add_co_u32 v116, s35, v6, v116
	v_add_co_ci_u32_e64 v117, null, 0, v7, s35
	s_clause 0x1
	flat_load_ushort v114, v[114:115]
	flat_load_ushort v115, v[116:117]
	s_waitcnt vmcnt(0) lgkmcnt(0)
	v_cmp_lt_u16_e64 s35, v114, v115
	v_cndmask_b32_e64 v114, v86, v87, s35
	v_cndmask_b32_e64 v87, v87, v86, s35
	v_mov_b32_e32 v86, v114
	s_or_b32 exec_lo, exec_lo, s38
	s_and_saveexec_b32 s38, s89
	s_cbranch_execnz .LBB872_1426
.LBB872_947:
	s_or_b32 exec_lo, exec_lo, s38
	s_and_saveexec_b32 s38, s90
	s_cbranch_execz .LBB872_1427
.LBB872_948:
	v_mov_b32_e32 v114, 1
	v_lshlrev_b32_sdwa v115, v114, v82 dst_sel:DWORD dst_unused:UNUSED_PAD src0_sel:DWORD src1_sel:WORD_0
	v_lshlrev_b32_sdwa v116, v114, v83 dst_sel:DWORD dst_unused:UNUSED_PAD src0_sel:DWORD src1_sel:WORD_0
	v_add_co_u32 v114, s35, v6, v115
	v_add_co_ci_u32_e64 v115, null, 0, v7, s35
	v_add_co_u32 v116, s35, v6, v116
	v_add_co_ci_u32_e64 v117, null, 0, v7, s35
	s_clause 0x1
	flat_load_ushort v114, v[114:115]
	flat_load_ushort v115, v[116:117]
	s_waitcnt vmcnt(0) lgkmcnt(0)
	v_cmp_lt_u16_e64 s35, v114, v115
	v_cndmask_b32_e64 v114, v82, v83, s35
	v_cndmask_b32_e64 v83, v83, v82, s35
	v_mov_b32_e32 v82, v114
	s_or_b32 exec_lo, exec_lo, s38
	s_and_saveexec_b32 s38, s91
	s_cbranch_execnz .LBB872_1428
.LBB872_949:
	s_or_b32 exec_lo, exec_lo, s38
	s_and_saveexec_b32 s38, s92
	s_cbranch_execz .LBB872_1429
.LBB872_950:
	v_mov_b32_e32 v114, 1
	v_lshlrev_b32_sdwa v115, v114, v70 dst_sel:DWORD dst_unused:UNUSED_PAD src0_sel:DWORD src1_sel:WORD_0
	v_lshlrev_b32_sdwa v116, v114, v71 dst_sel:DWORD dst_unused:UNUSED_PAD src0_sel:DWORD src1_sel:WORD_0
	v_add_co_u32 v114, s35, v6, v115
	v_add_co_ci_u32_e64 v115, null, 0, v7, s35
	v_add_co_u32 v116, s35, v6, v116
	v_add_co_ci_u32_e64 v117, null, 0, v7, s35
	s_clause 0x1
	flat_load_ushort v114, v[114:115]
	flat_load_ushort v115, v[116:117]
	s_waitcnt vmcnt(0) lgkmcnt(0)
	v_cmp_lt_u16_e64 s35, v114, v115
	v_cndmask_b32_e64 v114, v70, v71, s35
	v_cndmask_b32_e64 v71, v71, v70, s35
	v_mov_b32_e32 v70, v114
	s_or_b32 exec_lo, exec_lo, s38
	s_and_saveexec_b32 s38, s93
	s_cbranch_execnz .LBB872_1430
.LBB872_951:
	s_or_b32 exec_lo, exec_lo, s38
	s_and_saveexec_b32 s38, s94
	s_cbranch_execz .LBB872_1431
.LBB872_952:
	v_mov_b32_e32 v114, 1
	v_lshlrev_b32_sdwa v115, v114, v66 dst_sel:DWORD dst_unused:UNUSED_PAD src0_sel:DWORD src1_sel:WORD_0
	v_lshlrev_b32_sdwa v116, v114, v67 dst_sel:DWORD dst_unused:UNUSED_PAD src0_sel:DWORD src1_sel:WORD_0
	v_add_co_u32 v114, s35, v6, v115
	v_add_co_ci_u32_e64 v115, null, 0, v7, s35
	v_add_co_u32 v116, s35, v6, v116
	v_add_co_ci_u32_e64 v117, null, 0, v7, s35
	s_clause 0x1
	flat_load_ushort v114, v[114:115]
	flat_load_ushort v115, v[116:117]
	s_waitcnt vmcnt(0) lgkmcnt(0)
	v_cmp_lt_u16_e64 s35, v114, v115
	v_cndmask_b32_e64 v114, v66, v67, s35
	v_cndmask_b32_e64 v67, v67, v66, s35
	v_mov_b32_e32 v66, v114
	s_or_b32 exec_lo, exec_lo, s38
	s_and_saveexec_b32 s38, s95
	s_cbranch_execnz .LBB872_1432
.LBB872_953:
	s_or_b32 exec_lo, exec_lo, s38
	s_and_saveexec_b32 s38, vcc_hi
	s_cbranch_execz .LBB872_1433
.LBB872_954:
	v_mov_b32_e32 v114, 1
	v_lshlrev_b32_sdwa v115, v114, v53 dst_sel:DWORD dst_unused:UNUSED_PAD src0_sel:DWORD src1_sel:WORD_0
	v_lshlrev_b32_sdwa v116, v114, v54 dst_sel:DWORD dst_unused:UNUSED_PAD src0_sel:DWORD src1_sel:WORD_0
	v_add_co_u32 v114, s35, v6, v115
	v_add_co_ci_u32_e64 v115, null, 0, v7, s35
	v_add_co_u32 v116, s35, v6, v116
	v_add_co_ci_u32_e64 v117, null, 0, v7, s35
	s_clause 0x1
	flat_load_ushort v114, v[114:115]
	flat_load_ushort v115, v[116:117]
	s_waitcnt vmcnt(0) lgkmcnt(0)
	v_cmp_lt_u16_e64 s35, v114, v115
	v_cndmask_b32_e64 v114, v53, v54, s35
	v_cndmask_b32_e64 v54, v54, v53, s35
	v_mov_b32_e32 v53, v114
	s_or_b32 exec_lo, exec_lo, s38
	s_and_saveexec_b32 s38, s30
	s_cbranch_execnz .LBB872_1434
.LBB872_955:
	s_or_b32 exec_lo, exec_lo, s38
	s_and_saveexec_b32 s38, s31
	s_cbranch_execz .LBB872_1435
.LBB872_956:
	v_mov_b32_e32 v114, 1
	v_lshlrev_b32_sdwa v115, v114, v50 dst_sel:DWORD dst_unused:UNUSED_PAD src0_sel:DWORD src1_sel:WORD_0
	v_lshlrev_b32_sdwa v116, v114, v51 dst_sel:DWORD dst_unused:UNUSED_PAD src0_sel:DWORD src1_sel:WORD_0
	v_add_co_u32 v114, s35, v6, v115
	v_add_co_ci_u32_e64 v115, null, 0, v7, s35
	v_add_co_u32 v116, s35, v6, v116
	v_add_co_ci_u32_e64 v117, null, 0, v7, s35
	s_clause 0x1
	flat_load_ushort v114, v[114:115]
	flat_load_ushort v115, v[116:117]
	s_waitcnt vmcnt(0) lgkmcnt(0)
	v_cmp_lt_u16_e64 s35, v114, v115
	v_cndmask_b32_e64 v114, v51, v50, s35
	v_cndmask_b32_e64 v50, v50, v51, s35
	v_mov_b32_e32 v51, v114
	s_or_b32 exec_lo, exec_lo, s38
	s_and_saveexec_b32 s38, s34
	s_cbranch_execnz .LBB872_1436
.LBB872_957:
	s_or_b32 exec_lo, exec_lo, s38
	s_and_saveexec_b32 s38, s8
	s_cbranch_execz .LBB872_1437
.LBB872_958:
	v_mov_b32_e32 v114, 1
	v_lshlrev_b32_sdwa v115, v114, v102 dst_sel:DWORD dst_unused:UNUSED_PAD src0_sel:DWORD src1_sel:WORD_0
	v_lshlrev_b32_sdwa v116, v114, v99 dst_sel:DWORD dst_unused:UNUSED_PAD src0_sel:DWORD src1_sel:WORD_0
	v_add_co_u32 v114, s35, v6, v115
	v_add_co_ci_u32_e64 v115, null, 0, v7, s35
	v_add_co_u32 v116, s35, v6, v116
	v_add_co_ci_u32_e64 v117, null, 0, v7, s35
	s_clause 0x1
	flat_load_ushort v114, v[114:115]
	flat_load_ushort v115, v[116:117]
	s_waitcnt vmcnt(0) lgkmcnt(0)
	v_cmp_lt_u16_e64 s35, v114, v115
	v_cndmask_b32_e64 v114, v102, v99, s35
	v_cndmask_b32_e64 v99, v99, v102, s35
	v_mov_b32_e32 v102, v114
	s_or_b32 exec_lo, exec_lo, s38
	s_and_saveexec_b32 s38, s9
	s_cbranch_execnz .LBB872_1438
.LBB872_959:
	s_or_b32 exec_lo, exec_lo, s38
	s_and_saveexec_b32 s38, s12
	s_cbranch_execz .LBB872_1439
.LBB872_960:
	v_mov_b32_e32 v114, 1
	v_lshlrev_b32_sdwa v115, v114, v97 dst_sel:DWORD dst_unused:UNUSED_PAD src0_sel:DWORD src1_sel:WORD_0
	v_lshlrev_b32_sdwa v116, v114, v98 dst_sel:DWORD dst_unused:UNUSED_PAD src0_sel:DWORD src1_sel:WORD_0
	v_add_co_u32 v114, s35, v6, v115
	v_add_co_ci_u32_e64 v115, null, 0, v7, s35
	v_add_co_u32 v116, s35, v6, v116
	v_add_co_ci_u32_e64 v117, null, 0, v7, s35
	s_clause 0x1
	flat_load_ushort v114, v[114:115]
	flat_load_ushort v115, v[116:117]
	s_waitcnt vmcnt(0) lgkmcnt(0)
	v_cmp_lt_u16_e64 s35, v114, v115
	v_cndmask_b32_e64 v114, v97, v98, s35
	v_cndmask_b32_e64 v98, v98, v97, s35
	v_mov_b32_e32 v97, v114
	s_or_b32 exec_lo, exec_lo, s38
	s_and_saveexec_b32 s38, s13
	s_cbranch_execnz .LBB872_1440
.LBB872_961:
	s_or_b32 exec_lo, exec_lo, s38
	s_and_saveexec_b32 s38, s57
	s_cbranch_execz .LBB872_1441
.LBB872_962:
	v_mov_b32_e32 v114, 1
	v_lshlrev_b32_sdwa v115, v114, v85 dst_sel:DWORD dst_unused:UNUSED_PAD src0_sel:DWORD src1_sel:WORD_0
	v_lshlrev_b32_sdwa v116, v114, v86 dst_sel:DWORD dst_unused:UNUSED_PAD src0_sel:DWORD src1_sel:WORD_0
	v_add_co_u32 v114, s35, v6, v115
	v_add_co_ci_u32_e64 v115, null, 0, v7, s35
	v_add_co_u32 v116, s35, v6, v116
	v_add_co_ci_u32_e64 v117, null, 0, v7, s35
	s_clause 0x1
	flat_load_ushort v114, v[114:115]
	flat_load_ushort v115, v[116:117]
	s_waitcnt vmcnt(0) lgkmcnt(0)
	v_cmp_lt_u16_e64 s35, v114, v115
	v_cndmask_b32_e64 v114, v85, v86, s35
	v_cndmask_b32_e64 v86, v86, v85, s35
	v_mov_b32_e32 v85, v114
	s_or_b32 exec_lo, exec_lo, s38
	s_and_saveexec_b32 s38, s58
	s_cbranch_execnz .LBB872_1442
.LBB872_963:
	s_or_b32 exec_lo, exec_lo, s38
	s_and_saveexec_b32 s38, s59
	s_cbranch_execz .LBB872_1443
.LBB872_964:
	v_mov_b32_e32 v114, 1
	v_lshlrev_b32_sdwa v115, v114, v81 dst_sel:DWORD dst_unused:UNUSED_PAD src0_sel:DWORD src1_sel:WORD_0
	v_lshlrev_b32_sdwa v116, v114, v82 dst_sel:DWORD dst_unused:UNUSED_PAD src0_sel:DWORD src1_sel:WORD_0
	v_add_co_u32 v114, s35, v6, v115
	v_add_co_ci_u32_e64 v115, null, 0, v7, s35
	v_add_co_u32 v116, s35, v6, v116
	v_add_co_ci_u32_e64 v117, null, 0, v7, s35
	s_clause 0x1
	flat_load_ushort v114, v[114:115]
	flat_load_ushort v115, v[116:117]
	s_waitcnt vmcnt(0) lgkmcnt(0)
	v_cmp_lt_u16_e64 s35, v114, v115
	v_cndmask_b32_e64 v114, v81, v82, s35
	v_cndmask_b32_e64 v82, v82, v81, s35
	v_mov_b32_e32 v81, v114
	s_or_b32 exec_lo, exec_lo, s38
	s_and_saveexec_b32 s38, s60
	s_cbranch_execnz .LBB872_1444
.LBB872_965:
	s_or_b32 exec_lo, exec_lo, s38
	s_and_saveexec_b32 s38, s61
	s_cbranch_execz .LBB872_1445
.LBB872_966:
	v_mov_b32_e32 v114, 1
	v_lshlrev_b32_sdwa v115, v114, v69 dst_sel:DWORD dst_unused:UNUSED_PAD src0_sel:DWORD src1_sel:WORD_0
	v_lshlrev_b32_sdwa v116, v114, v70 dst_sel:DWORD dst_unused:UNUSED_PAD src0_sel:DWORD src1_sel:WORD_0
	v_add_co_u32 v114, s35, v6, v115
	v_add_co_ci_u32_e64 v115, null, 0, v7, s35
	v_add_co_u32 v116, s35, v6, v116
	v_add_co_ci_u32_e64 v117, null, 0, v7, s35
	s_clause 0x1
	flat_load_ushort v114, v[114:115]
	flat_load_ushort v115, v[116:117]
	s_waitcnt vmcnt(0) lgkmcnt(0)
	v_cmp_lt_u16_e64 s35, v114, v115
	v_cndmask_b32_e64 v114, v69, v70, s35
	v_cndmask_b32_e64 v70, v70, v69, s35
	v_mov_b32_e32 v69, v114
	s_or_b32 exec_lo, exec_lo, s38
	s_and_saveexec_b32 s38, s62
	s_cbranch_execnz .LBB872_1446
.LBB872_967:
	s_or_b32 exec_lo, exec_lo, s38
	s_and_saveexec_b32 s38, s63
	s_cbranch_execz .LBB872_1447
.LBB872_968:
	v_mov_b32_e32 v114, 1
	v_lshlrev_b32_sdwa v115, v114, v65 dst_sel:DWORD dst_unused:UNUSED_PAD src0_sel:DWORD src1_sel:WORD_0
	v_lshlrev_b32_sdwa v116, v114, v66 dst_sel:DWORD dst_unused:UNUSED_PAD src0_sel:DWORD src1_sel:WORD_0
	v_add_co_u32 v114, s35, v6, v115
	v_add_co_ci_u32_e64 v115, null, 0, v7, s35
	v_add_co_u32 v116, s35, v6, v116
	v_add_co_ci_u32_e64 v117, null, 0, v7, s35
	s_clause 0x1
	flat_load_ushort v114, v[114:115]
	flat_load_ushort v115, v[116:117]
	s_waitcnt vmcnt(0) lgkmcnt(0)
	v_cmp_lt_u16_e64 s35, v114, v115
	v_cndmask_b32_e64 v114, v65, v66, s35
	v_cndmask_b32_e64 v66, v66, v65, s35
	v_mov_b32_e32 v65, v114
	s_or_b32 exec_lo, exec_lo, s38
	s_and_saveexec_b32 s38, s72
	s_cbranch_execnz .LBB872_1448
.LBB872_969:
	s_or_b32 exec_lo, exec_lo, s38
	s_and_saveexec_b32 s38, s73
	s_cbranch_execz .LBB872_1449
.LBB872_970:
	v_mov_b32_e32 v114, 1
	v_lshlrev_b32_sdwa v115, v114, v64 dst_sel:DWORD dst_unused:UNUSED_PAD src0_sel:DWORD src1_sel:WORD_0
	v_lshlrev_b32_sdwa v116, v114, v53 dst_sel:DWORD dst_unused:UNUSED_PAD src0_sel:DWORD src1_sel:WORD_0
	v_add_co_u32 v114, s35, v6, v115
	v_add_co_ci_u32_e64 v115, null, 0, v7, s35
	v_add_co_u32 v116, s35, v6, v116
	v_add_co_ci_u32_e64 v117, null, 0, v7, s35
	s_clause 0x1
	flat_load_ushort v114, v[114:115]
	flat_load_ushort v115, v[116:117]
	s_waitcnt vmcnt(0) lgkmcnt(0)
	v_cmp_lt_u16_e64 s35, v114, v115
	v_cndmask_b32_e64 v114, v64, v53, s35
	v_cndmask_b32_e64 v53, v53, v64, s35
	v_mov_b32_e32 v64, v114
	s_or_b32 exec_lo, exec_lo, s38
	s_and_saveexec_b32 s38, s74
	s_cbranch_execnz .LBB872_1450
.LBB872_971:
	s_or_b32 exec_lo, exec_lo, s38
	s_and_saveexec_b32 s38, s75
	s_cbranch_execz .LBB872_1451
.LBB872_972:
	v_mov_b32_e32 v114, 1
	v_lshlrev_b32_sdwa v115, v114, v49 dst_sel:DWORD dst_unused:UNUSED_PAD src0_sel:DWORD src1_sel:WORD_0
	v_lshlrev_b32_sdwa v116, v114, v50 dst_sel:DWORD dst_unused:UNUSED_PAD src0_sel:DWORD src1_sel:WORD_0
	v_add_co_u32 v114, s35, v6, v115
	v_add_co_ci_u32_e64 v115, null, 0, v7, s35
	v_add_co_u32 v116, s35, v6, v116
	v_add_co_ci_u32_e64 v117, null, 0, v7, s35
	s_clause 0x1
	flat_load_ushort v114, v[114:115]
	flat_load_ushort v115, v[116:117]
	s_waitcnt vmcnt(0) lgkmcnt(0)
	v_cmp_lt_u16_e64 s35, v114, v115
	v_cndmask_b32_e64 v114, v50, v49, s35
	v_cndmask_b32_e64 v49, v49, v50, s35
	v_mov_b32_e32 v50, v114
	s_or_b32 exec_lo, exec_lo, s38
	s_and_saveexec_b32 s38, s76
	s_cbranch_execnz .LBB872_1452
.LBB872_973:
	s_or_b32 exec_lo, exec_lo, s38
	s_and_saveexec_b32 s38, s77
	s_cbranch_execz .LBB872_1453
.LBB872_974:
	v_mov_b32_e32 v114, 1
	v_lshlrev_b32_sdwa v115, v114, v101 dst_sel:DWORD dst_unused:UNUSED_PAD src0_sel:DWORD src1_sel:WORD_0
	v_lshlrev_b32_sdwa v116, v114, v102 dst_sel:DWORD dst_unused:UNUSED_PAD src0_sel:DWORD src1_sel:WORD_0
	v_add_co_u32 v114, s35, v6, v115
	v_add_co_ci_u32_e64 v115, null, 0, v7, s35
	v_add_co_u32 v116, s35, v6, v116
	v_add_co_ci_u32_e64 v117, null, 0, v7, s35
	s_clause 0x1
	flat_load_ushort v114, v[114:115]
	flat_load_ushort v115, v[116:117]
	s_waitcnt vmcnt(0) lgkmcnt(0)
	v_cmp_lt_u16_e64 s35, v114, v115
	v_cndmask_b32_e64 v114, v101, v102, s35
	v_cndmask_b32_e64 v102, v102, v101, s35
	v_mov_b32_e32 v101, v114
	s_or_b32 exec_lo, exec_lo, s38
	s_and_saveexec_b32 s38, s78
	s_cbranch_execnz .LBB872_1454
.LBB872_975:
	s_or_b32 exec_lo, exec_lo, s38
	s_and_saveexec_b32 s38, s79
	s_cbranch_execz .LBB872_1455
.LBB872_976:
	v_mov_b32_e32 v114, 1
	v_lshlrev_b32_sdwa v115, v114, v96 dst_sel:DWORD dst_unused:UNUSED_PAD src0_sel:DWORD src1_sel:WORD_0
	v_lshlrev_b32_sdwa v116, v114, v97 dst_sel:DWORD dst_unused:UNUSED_PAD src0_sel:DWORD src1_sel:WORD_0
	v_add_co_u32 v114, s35, v6, v115
	v_add_co_ci_u32_e64 v115, null, 0, v7, s35
	v_add_co_u32 v116, s35, v6, v116
	v_add_co_ci_u32_e64 v117, null, 0, v7, s35
	s_clause 0x1
	flat_load_ushort v114, v[114:115]
	flat_load_ushort v115, v[116:117]
	s_waitcnt vmcnt(0) lgkmcnt(0)
	v_cmp_lt_u16_e64 s35, v114, v115
	v_cndmask_b32_e64 v114, v96, v97, s35
	v_cndmask_b32_e64 v97, v97, v96, s35
	v_mov_b32_e32 v96, v114
	s_or_b32 exec_lo, exec_lo, s38
	s_and_saveexec_b32 s38, s88
	s_cbranch_execnz .LBB872_1456
.LBB872_977:
	s_or_b32 exec_lo, exec_lo, s38
	s_and_saveexec_b32 s38, s89
	s_cbranch_execz .LBB872_1457
.LBB872_978:
	v_mov_b32_e32 v114, 1
	v_lshlrev_b32_sdwa v115, v114, v84 dst_sel:DWORD dst_unused:UNUSED_PAD src0_sel:DWORD src1_sel:WORD_0
	v_lshlrev_b32_sdwa v116, v114, v85 dst_sel:DWORD dst_unused:UNUSED_PAD src0_sel:DWORD src1_sel:WORD_0
	v_add_co_u32 v114, s35, v6, v115
	v_add_co_ci_u32_e64 v115, null, 0, v7, s35
	v_add_co_u32 v116, s35, v6, v116
	v_add_co_ci_u32_e64 v117, null, 0, v7, s35
	s_clause 0x1
	flat_load_ushort v114, v[114:115]
	flat_load_ushort v115, v[116:117]
	s_waitcnt vmcnt(0) lgkmcnt(0)
	v_cmp_lt_u16_e64 s35, v114, v115
	v_cndmask_b32_e64 v114, v84, v85, s35
	v_cndmask_b32_e64 v85, v85, v84, s35
	v_mov_b32_e32 v84, v114
	s_or_b32 exec_lo, exec_lo, s38
	s_and_saveexec_b32 s38, s90
	s_cbranch_execnz .LBB872_1458
.LBB872_979:
	s_or_b32 exec_lo, exec_lo, s38
	s_and_saveexec_b32 s38, s91
	s_cbranch_execz .LBB872_1459
.LBB872_980:
	v_mov_b32_e32 v114, 1
	v_lshlrev_b32_sdwa v115, v114, v80 dst_sel:DWORD dst_unused:UNUSED_PAD src0_sel:DWORD src1_sel:WORD_0
	v_lshlrev_b32_sdwa v116, v114, v81 dst_sel:DWORD dst_unused:UNUSED_PAD src0_sel:DWORD src1_sel:WORD_0
	v_add_co_u32 v114, s35, v6, v115
	v_add_co_ci_u32_e64 v115, null, 0, v7, s35
	v_add_co_u32 v116, s35, v6, v116
	v_add_co_ci_u32_e64 v117, null, 0, v7, s35
	s_clause 0x1
	flat_load_ushort v114, v[114:115]
	flat_load_ushort v115, v[116:117]
	s_waitcnt vmcnt(0) lgkmcnt(0)
	v_cmp_lt_u16_e64 s35, v114, v115
	v_cndmask_b32_e64 v114, v80, v81, s35
	v_cndmask_b32_e64 v81, v81, v80, s35
	v_mov_b32_e32 v80, v114
	s_or_b32 exec_lo, exec_lo, s38
	s_and_saveexec_b32 s38, s92
	s_cbranch_execnz .LBB872_1460
.LBB872_981:
	s_or_b32 exec_lo, exec_lo, s38
	s_and_saveexec_b32 s38, s93
	s_cbranch_execz .LBB872_1461
.LBB872_982:
	v_mov_b32_e32 v114, 1
	v_lshlrev_b32_sdwa v115, v114, v68 dst_sel:DWORD dst_unused:UNUSED_PAD src0_sel:DWORD src1_sel:WORD_0
	v_lshlrev_b32_sdwa v116, v114, v69 dst_sel:DWORD dst_unused:UNUSED_PAD src0_sel:DWORD src1_sel:WORD_0
	v_add_co_u32 v114, s35, v6, v115
	v_add_co_ci_u32_e64 v115, null, 0, v7, s35
	v_add_co_u32 v116, s35, v6, v116
	v_add_co_ci_u32_e64 v117, null, 0, v7, s35
	s_clause 0x1
	flat_load_ushort v114, v[114:115]
	flat_load_ushort v115, v[116:117]
	s_waitcnt vmcnt(0) lgkmcnt(0)
	v_cmp_lt_u16_e64 s35, v114, v115
	v_cndmask_b32_e64 v114, v68, v69, s35
	v_cndmask_b32_e64 v69, v69, v68, s35
	v_mov_b32_e32 v68, v114
	s_or_b32 exec_lo, exec_lo, s38
	s_and_saveexec_b32 s38, s94
	s_cbranch_execnz .LBB872_1462
.LBB872_983:
	s_or_b32 exec_lo, exec_lo, s38
	s_and_saveexec_b32 s38, s95
	s_cbranch_execz .LBB872_1463
.LBB872_984:
	v_mov_b32_e32 v114, 1
	v_lshlrev_b32_sdwa v115, v114, v55 dst_sel:DWORD dst_unused:UNUSED_PAD src0_sel:DWORD src1_sel:WORD_0
	v_lshlrev_b32_sdwa v116, v114, v65 dst_sel:DWORD dst_unused:UNUSED_PAD src0_sel:DWORD src1_sel:WORD_0
	v_add_co_u32 v114, s35, v6, v115
	v_add_co_ci_u32_e64 v115, null, 0, v7, s35
	v_add_co_u32 v116, s35, v6, v116
	v_add_co_ci_u32_e64 v117, null, 0, v7, s35
	s_clause 0x1
	flat_load_ushort v114, v[114:115]
	flat_load_ushort v115, v[116:117]
	s_waitcnt vmcnt(0) lgkmcnt(0)
	v_cmp_lt_u16_e64 s35, v114, v115
	v_cndmask_b32_e64 v114, v55, v65, s35
	v_cndmask_b32_e64 v65, v65, v55, s35
	v_mov_b32_e32 v55, v114
	s_or_b32 exec_lo, exec_lo, s38
	s_and_saveexec_b32 s38, vcc_hi
	s_cbranch_execnz .LBB872_1464
.LBB872_985:
	s_or_b32 exec_lo, exec_lo, s38
	s_and_saveexec_b32 s38, s30
	s_cbranch_execz .LBB872_1465
.LBB872_986:
	v_mov_b32_e32 v114, 1
	v_lshlrev_b32_sdwa v115, v114, v52 dst_sel:DWORD dst_unused:UNUSED_PAD src0_sel:DWORD src1_sel:WORD_0
	v_lshlrev_b32_sdwa v116, v114, v64 dst_sel:DWORD dst_unused:UNUSED_PAD src0_sel:DWORD src1_sel:WORD_0
	v_add_co_u32 v114, s35, v6, v115
	v_add_co_ci_u32_e64 v115, null, 0, v7, s35
	v_add_co_u32 v116, s35, v6, v116
	v_add_co_ci_u32_e64 v117, null, 0, v7, s35
	s_clause 0x1
	flat_load_ushort v114, v[114:115]
	flat_load_ushort v115, v[116:117]
	s_waitcnt vmcnt(0) lgkmcnt(0)
	v_cmp_lt_u16_e64 s35, v114, v115
	v_cndmask_b32_e64 v114, v64, v52, s35
	v_cndmask_b32_e64 v52, v52, v64, s35
	v_mov_b32_e32 v64, v114
	s_or_b32 exec_lo, exec_lo, s38
	s_and_saveexec_b32 s38, s31
	s_cbranch_execnz .LBB872_1466
.LBB872_987:
	s_or_b32 exec_lo, exec_lo, s38
	s_and_saveexec_b32 s38, s34
	s_cbranch_execz .LBB872_1467
.LBB872_988:
	v_mov_b32_e32 v114, 1
	v_lshlrev_b32_sdwa v115, v114, v103 dst_sel:DWORD dst_unused:UNUSED_PAD src0_sel:DWORD src1_sel:WORD_0
	v_lshlrev_b32_sdwa v116, v114, v49 dst_sel:DWORD dst_unused:UNUSED_PAD src0_sel:DWORD src1_sel:WORD_0
	v_add_co_u32 v114, s35, v6, v115
	v_add_co_ci_u32_e64 v115, null, 0, v7, s35
	v_add_co_u32 v116, s35, v6, v116
	v_add_co_ci_u32_e64 v117, null, 0, v7, s35
	s_clause 0x1
	flat_load_ushort v114, v[114:115]
	flat_load_ushort v115, v[116:117]
	s_waitcnt vmcnt(0) lgkmcnt(0)
	v_cmp_lt_u16_e64 s35, v114, v115
	v_cndmask_b32_e64 v114, v49, v103, s35
	v_cndmask_b32_e64 v103, v103, v49, s35
	v_mov_b32_e32 v49, v114
	s_or_b32 exec_lo, exec_lo, s38
	s_and_saveexec_b32 s38, s8
	s_cbranch_execnz .LBB872_1468
.LBB872_989:
	s_or_b32 exec_lo, exec_lo, s38
	s_and_saveexec_b32 s38, s9
	s_cbranch_execz .LBB872_1469
.LBB872_990:
	v_mov_b32_e32 v114, 1
	v_lshlrev_b32_sdwa v115, v114, v100 dst_sel:DWORD dst_unused:UNUSED_PAD src0_sel:DWORD src1_sel:WORD_0
	v_lshlrev_b32_sdwa v116, v114, v101 dst_sel:DWORD dst_unused:UNUSED_PAD src0_sel:DWORD src1_sel:WORD_0
	v_add_co_u32 v114, s35, v6, v115
	v_add_co_ci_u32_e64 v115, null, 0, v7, s35
	v_add_co_u32 v116, s35, v6, v116
	v_add_co_ci_u32_e64 v117, null, 0, v7, s35
	s_clause 0x1
	flat_load_ushort v114, v[114:115]
	flat_load_ushort v115, v[116:117]
	s_waitcnt vmcnt(0) lgkmcnt(0)
	v_cmp_lt_u16_e64 s35, v114, v115
	v_cndmask_b32_e64 v114, v100, v101, s35
	v_cndmask_b32_e64 v101, v101, v100, s35
	v_mov_b32_e32 v100, v114
	s_or_b32 exec_lo, exec_lo, s38
	s_and_saveexec_b32 s38, s12
	s_cbranch_execnz .LBB872_1470
.LBB872_991:
	s_or_b32 exec_lo, exec_lo, s38
	s_and_saveexec_b32 s38, s13
	s_cbranch_execz .LBB872_1471
.LBB872_992:
	v_mov_b32_e32 v114, 1
	v_lshlrev_b32_sdwa v115, v114, v87 dst_sel:DWORD dst_unused:UNUSED_PAD src0_sel:DWORD src1_sel:WORD_0
	v_lshlrev_b32_sdwa v116, v114, v96 dst_sel:DWORD dst_unused:UNUSED_PAD src0_sel:DWORD src1_sel:WORD_0
	v_add_co_u32 v114, s35, v6, v115
	v_add_co_ci_u32_e64 v115, null, 0, v7, s35
	v_add_co_u32 v116, s35, v6, v116
	v_add_co_ci_u32_e64 v117, null, 0, v7, s35
	s_clause 0x1
	flat_load_ushort v114, v[114:115]
	flat_load_ushort v115, v[116:117]
	s_waitcnt vmcnt(0) lgkmcnt(0)
	v_cmp_lt_u16_e64 s35, v114, v115
	v_cndmask_b32_e64 v114, v87, v96, s35
	v_cndmask_b32_e64 v96, v96, v87, s35
	v_mov_b32_e32 v87, v114
	s_or_b32 exec_lo, exec_lo, s38
	s_and_saveexec_b32 s38, s57
	s_cbranch_execnz .LBB872_1472
.LBB872_993:
	s_or_b32 exec_lo, exec_lo, s38
	s_and_saveexec_b32 s38, s58
	s_cbranch_execz .LBB872_1473
.LBB872_994:
	v_mov_b32_e32 v114, 1
	v_lshlrev_b32_sdwa v115, v114, v83 dst_sel:DWORD dst_unused:UNUSED_PAD src0_sel:DWORD src1_sel:WORD_0
	v_lshlrev_b32_sdwa v116, v114, v84 dst_sel:DWORD dst_unused:UNUSED_PAD src0_sel:DWORD src1_sel:WORD_0
	v_add_co_u32 v114, s35, v6, v115
	v_add_co_ci_u32_e64 v115, null, 0, v7, s35
	v_add_co_u32 v116, s35, v6, v116
	v_add_co_ci_u32_e64 v117, null, 0, v7, s35
	s_clause 0x1
	flat_load_ushort v114, v[114:115]
	flat_load_ushort v115, v[116:117]
	s_waitcnt vmcnt(0) lgkmcnt(0)
	v_cmp_lt_u16_e64 s35, v114, v115
	v_cndmask_b32_e64 v114, v83, v84, s35
	v_cndmask_b32_e64 v84, v84, v83, s35
	v_mov_b32_e32 v83, v114
	s_or_b32 exec_lo, exec_lo, s38
	s_and_saveexec_b32 s38, s59
	s_cbranch_execnz .LBB872_1474
.LBB872_995:
	s_or_b32 exec_lo, exec_lo, s38
	s_and_saveexec_b32 s38, s60
	s_cbranch_execz .LBB872_1475
.LBB872_996:
	v_mov_b32_e32 v114, 1
	v_lshlrev_b32_sdwa v115, v114, v71 dst_sel:DWORD dst_unused:UNUSED_PAD src0_sel:DWORD src1_sel:WORD_0
	v_lshlrev_b32_sdwa v116, v114, v80 dst_sel:DWORD dst_unused:UNUSED_PAD src0_sel:DWORD src1_sel:WORD_0
	v_add_co_u32 v114, s35, v6, v115
	v_add_co_ci_u32_e64 v115, null, 0, v7, s35
	v_add_co_u32 v116, s35, v6, v116
	v_add_co_ci_u32_e64 v117, null, 0, v7, s35
	s_clause 0x1
	flat_load_ushort v114, v[114:115]
	flat_load_ushort v115, v[116:117]
	s_waitcnt vmcnt(0) lgkmcnt(0)
	v_cmp_lt_u16_e64 s35, v114, v115
	v_cndmask_b32_e64 v114, v71, v80, s35
	v_cndmask_b32_e64 v80, v80, v71, s35
	v_mov_b32_e32 v71, v114
	s_or_b32 exec_lo, exec_lo, s38
	s_and_saveexec_b32 s38, s61
	s_cbranch_execnz .LBB872_1476
.LBB872_997:
	s_or_b32 exec_lo, exec_lo, s38
	s_and_saveexec_b32 s38, s62
	s_cbranch_execz .LBB872_1477
.LBB872_998:
	v_mov_b32_e32 v114, 1
	v_lshlrev_b32_sdwa v115, v114, v67 dst_sel:DWORD dst_unused:UNUSED_PAD src0_sel:DWORD src1_sel:WORD_0
	v_lshlrev_b32_sdwa v116, v114, v68 dst_sel:DWORD dst_unused:UNUSED_PAD src0_sel:DWORD src1_sel:WORD_0
	v_add_co_u32 v114, s35, v6, v115
	v_add_co_ci_u32_e64 v115, null, 0, v7, s35
	v_add_co_u32 v116, s35, v6, v116
	v_add_co_ci_u32_e64 v117, null, 0, v7, s35
	s_clause 0x1
	flat_load_ushort v114, v[114:115]
	flat_load_ushort v115, v[116:117]
	s_waitcnt vmcnt(0) lgkmcnt(0)
	v_cmp_lt_u16_e64 s35, v114, v115
	v_cndmask_b32_e64 v114, v67, v68, s35
	v_cndmask_b32_e64 v68, v68, v67, s35
	v_mov_b32_e32 v67, v114
	s_or_b32 exec_lo, exec_lo, s38
	s_and_saveexec_b32 s38, s63
	s_cbranch_execnz .LBB872_1478
.LBB872_999:
	s_or_b32 exec_lo, exec_lo, s38
	s_and_saveexec_b32 s38, s72
	s_cbranch_execz .LBB872_1479
.LBB872_1000:
	v_mov_b32_e32 v114, 1
	v_lshlrev_b32_sdwa v115, v114, v54 dst_sel:DWORD dst_unused:UNUSED_PAD src0_sel:DWORD src1_sel:WORD_0
	v_lshlrev_b32_sdwa v116, v114, v55 dst_sel:DWORD dst_unused:UNUSED_PAD src0_sel:DWORD src1_sel:WORD_0
	v_add_co_u32 v114, s35, v6, v115
	v_add_co_ci_u32_e64 v115, null, 0, v7, s35
	v_add_co_u32 v116, s35, v6, v116
	v_add_co_ci_u32_e64 v117, null, 0, v7, s35
	s_clause 0x1
	flat_load_ushort v114, v[114:115]
	flat_load_ushort v115, v[116:117]
	s_waitcnt vmcnt(0) lgkmcnt(0)
	v_cmp_lt_u16_e64 s35, v114, v115
	v_cndmask_b32_e64 v114, v54, v55, s35
	v_cndmask_b32_e64 v55, v55, v54, s35
	v_mov_b32_e32 v54, v114
	s_or_b32 exec_lo, exec_lo, s38
	s_and_saveexec_b32 s38, s73
	s_cbranch_execnz .LBB872_1480
.LBB872_1001:
	s_or_b32 exec_lo, exec_lo, s38
	s_and_saveexec_b32 s38, s74
	s_cbranch_execz .LBB872_1481
.LBB872_1002:
	v_mov_b32_e32 v114, 1
	v_lshlrev_b32_sdwa v115, v114, v51 dst_sel:DWORD dst_unused:UNUSED_PAD src0_sel:DWORD src1_sel:WORD_0
	v_lshlrev_b32_sdwa v116, v114, v52 dst_sel:DWORD dst_unused:UNUSED_PAD src0_sel:DWORD src1_sel:WORD_0
	v_add_co_u32 v114, s35, v6, v115
	v_add_co_ci_u32_e64 v115, null, 0, v7, s35
	v_add_co_u32 v116, s35, v6, v116
	v_add_co_ci_u32_e64 v117, null, 0, v7, s35
	s_clause 0x1
	flat_load_ushort v114, v[114:115]
	flat_load_ushort v115, v[116:117]
	s_waitcnt vmcnt(0) lgkmcnt(0)
	v_cmp_lt_u16_e64 s35, v114, v115
	v_cndmask_b32_e64 v114, v52, v51, s35
	v_cndmask_b32_e64 v51, v51, v52, s35
	v_mov_b32_e32 v52, v114
	s_or_b32 exec_lo, exec_lo, s38
	s_and_saveexec_b32 s38, s75
	s_cbranch_execnz .LBB872_1482
.LBB872_1003:
	s_or_b32 exec_lo, exec_lo, s38
	s_and_saveexec_b32 s38, s76
	s_cbranch_execz .LBB872_1483
.LBB872_1004:
	v_mov_b32_e32 v114, 1
	v_lshlrev_b32_sdwa v115, v114, v48 dst_sel:DWORD dst_unused:UNUSED_PAD src0_sel:DWORD src1_sel:WORD_0
	v_lshlrev_b32_sdwa v116, v114, v103 dst_sel:DWORD dst_unused:UNUSED_PAD src0_sel:DWORD src1_sel:WORD_0
	v_add_co_u32 v114, s35, v6, v115
	v_add_co_ci_u32_e64 v115, null, 0, v7, s35
	v_add_co_u32 v116, s35, v6, v116
	v_add_co_ci_u32_e64 v117, null, 0, v7, s35
	s_clause 0x1
	flat_load_ushort v114, v[114:115]
	flat_load_ushort v115, v[116:117]
	s_waitcnt vmcnt(0) lgkmcnt(0)
	v_cmp_lt_u16_e64 s35, v114, v115
	v_cndmask_b32_e64 v114, v103, v48, s35
	v_cndmask_b32_e64 v48, v48, v103, s35
	v_mov_b32_e32 v103, v114
	s_or_b32 exec_lo, exec_lo, s38
	s_and_saveexec_b32 s38, s77
	s_cbranch_execnz .LBB872_1484
.LBB872_1005:
	s_or_b32 exec_lo, exec_lo, s38
	s_and_saveexec_b32 s38, s78
	s_cbranch_execz .LBB872_1485
.LBB872_1006:
	v_mov_b32_e32 v114, 1
	v_lshlrev_b32_sdwa v115, v114, v98 dst_sel:DWORD dst_unused:UNUSED_PAD src0_sel:DWORD src1_sel:WORD_0
	v_lshlrev_b32_sdwa v116, v114, v100 dst_sel:DWORD dst_unused:UNUSED_PAD src0_sel:DWORD src1_sel:WORD_0
	v_add_co_u32 v114, s35, v6, v115
	v_add_co_ci_u32_e64 v115, null, 0, v7, s35
	v_add_co_u32 v116, s35, v6, v116
	v_add_co_ci_u32_e64 v117, null, 0, v7, s35
	s_clause 0x1
	flat_load_ushort v114, v[114:115]
	flat_load_ushort v115, v[116:117]
	s_waitcnt vmcnt(0) lgkmcnt(0)
	v_cmp_lt_u16_e64 s35, v114, v115
	v_cndmask_b32_e64 v114, v98, v100, s35
	v_cndmask_b32_e64 v100, v100, v98, s35
	v_mov_b32_e32 v98, v114
	s_or_b32 exec_lo, exec_lo, s38
	s_and_saveexec_b32 s38, s79
	s_cbranch_execnz .LBB872_1486
.LBB872_1007:
	s_or_b32 exec_lo, exec_lo, s38
	s_and_saveexec_b32 s38, s88
	s_cbranch_execz .LBB872_1487
.LBB872_1008:
	v_mov_b32_e32 v114, 1
	v_lshlrev_b32_sdwa v115, v114, v86 dst_sel:DWORD dst_unused:UNUSED_PAD src0_sel:DWORD src1_sel:WORD_0
	v_lshlrev_b32_sdwa v116, v114, v87 dst_sel:DWORD dst_unused:UNUSED_PAD src0_sel:DWORD src1_sel:WORD_0
	v_add_co_u32 v114, s35, v6, v115
	v_add_co_ci_u32_e64 v115, null, 0, v7, s35
	v_add_co_u32 v116, s35, v6, v116
	v_add_co_ci_u32_e64 v117, null, 0, v7, s35
	s_clause 0x1
	flat_load_ushort v114, v[114:115]
	flat_load_ushort v115, v[116:117]
	s_waitcnt vmcnt(0) lgkmcnt(0)
	v_cmp_lt_u16_e64 s35, v114, v115
	v_cndmask_b32_e64 v114, v86, v87, s35
	v_cndmask_b32_e64 v87, v87, v86, s35
	v_mov_b32_e32 v86, v114
	s_or_b32 exec_lo, exec_lo, s38
	s_and_saveexec_b32 s38, s89
	s_cbranch_execnz .LBB872_1488
.LBB872_1009:
	s_or_b32 exec_lo, exec_lo, s38
	s_and_saveexec_b32 s38, s90
	s_cbranch_execz .LBB872_1489
.LBB872_1010:
	v_mov_b32_e32 v114, 1
	v_lshlrev_b32_sdwa v115, v114, v82 dst_sel:DWORD dst_unused:UNUSED_PAD src0_sel:DWORD src1_sel:WORD_0
	v_lshlrev_b32_sdwa v116, v114, v83 dst_sel:DWORD dst_unused:UNUSED_PAD src0_sel:DWORD src1_sel:WORD_0
	v_add_co_u32 v114, s35, v6, v115
	v_add_co_ci_u32_e64 v115, null, 0, v7, s35
	v_add_co_u32 v116, s35, v6, v116
	v_add_co_ci_u32_e64 v117, null, 0, v7, s35
	s_clause 0x1
	flat_load_ushort v114, v[114:115]
	flat_load_ushort v115, v[116:117]
	s_waitcnt vmcnt(0) lgkmcnt(0)
	v_cmp_lt_u16_e64 s35, v114, v115
	v_cndmask_b32_e64 v114, v82, v83, s35
	v_cndmask_b32_e64 v83, v83, v82, s35
	v_mov_b32_e32 v82, v114
	s_or_b32 exec_lo, exec_lo, s38
	s_and_saveexec_b32 s38, s91
	s_cbranch_execnz .LBB872_1490
.LBB872_1011:
	s_or_b32 exec_lo, exec_lo, s38
	s_and_saveexec_b32 s38, s92
	s_cbranch_execz .LBB872_1491
.LBB872_1012:
	v_mov_b32_e32 v114, 1
	v_lshlrev_b32_sdwa v115, v114, v70 dst_sel:DWORD dst_unused:UNUSED_PAD src0_sel:DWORD src1_sel:WORD_0
	v_lshlrev_b32_sdwa v116, v114, v71 dst_sel:DWORD dst_unused:UNUSED_PAD src0_sel:DWORD src1_sel:WORD_0
	v_add_co_u32 v114, s35, v6, v115
	v_add_co_ci_u32_e64 v115, null, 0, v7, s35
	v_add_co_u32 v116, s35, v6, v116
	v_add_co_ci_u32_e64 v117, null, 0, v7, s35
	s_clause 0x1
	flat_load_ushort v114, v[114:115]
	flat_load_ushort v115, v[116:117]
	s_waitcnt vmcnt(0) lgkmcnt(0)
	v_cmp_lt_u16_e64 s35, v114, v115
	v_cndmask_b32_e64 v114, v70, v71, s35
	v_cndmask_b32_e64 v71, v71, v70, s35
	v_mov_b32_e32 v70, v114
	s_or_b32 exec_lo, exec_lo, s38
	s_and_saveexec_b32 s38, s93
	s_cbranch_execnz .LBB872_1492
.LBB872_1013:
	s_or_b32 exec_lo, exec_lo, s38
	s_and_saveexec_b32 s38, s94
	s_cbranch_execz .LBB872_1493
.LBB872_1014:
	v_mov_b32_e32 v114, 1
	v_lshlrev_b32_sdwa v115, v114, v66 dst_sel:DWORD dst_unused:UNUSED_PAD src0_sel:DWORD src1_sel:WORD_0
	v_lshlrev_b32_sdwa v116, v114, v67 dst_sel:DWORD dst_unused:UNUSED_PAD src0_sel:DWORD src1_sel:WORD_0
	v_add_co_u32 v114, s35, v6, v115
	v_add_co_ci_u32_e64 v115, null, 0, v7, s35
	v_add_co_u32 v116, s35, v6, v116
	v_add_co_ci_u32_e64 v117, null, 0, v7, s35
	s_clause 0x1
	flat_load_ushort v114, v[114:115]
	flat_load_ushort v115, v[116:117]
	s_waitcnt vmcnt(0) lgkmcnt(0)
	v_cmp_lt_u16_e64 s35, v114, v115
	v_cndmask_b32_e64 v114, v66, v67, s35
	v_cndmask_b32_e64 v67, v67, v66, s35
	v_mov_b32_e32 v66, v114
	s_or_b32 exec_lo, exec_lo, s38
	s_and_saveexec_b32 s38, s95
	s_cbranch_execnz .LBB872_1494
.LBB872_1015:
	s_or_b32 exec_lo, exec_lo, s38
	s_and_saveexec_b32 s38, vcc_hi
	s_cbranch_execz .LBB872_1495
.LBB872_1016:
	v_mov_b32_e32 v114, 1
	v_lshlrev_b32_sdwa v115, v114, v53 dst_sel:DWORD dst_unused:UNUSED_PAD src0_sel:DWORD src1_sel:WORD_0
	v_lshlrev_b32_sdwa v116, v114, v54 dst_sel:DWORD dst_unused:UNUSED_PAD src0_sel:DWORD src1_sel:WORD_0
	v_add_co_u32 v114, s35, v6, v115
	v_add_co_ci_u32_e64 v115, null, 0, v7, s35
	v_add_co_u32 v116, s35, v6, v116
	v_add_co_ci_u32_e64 v117, null, 0, v7, s35
	s_clause 0x1
	flat_load_ushort v114, v[114:115]
	flat_load_ushort v115, v[116:117]
	s_waitcnt vmcnt(0) lgkmcnt(0)
	v_cmp_lt_u16_e64 s35, v114, v115
	v_cndmask_b32_e64 v114, v53, v54, s35
	v_cndmask_b32_e64 v54, v54, v53, s35
	v_mov_b32_e32 v53, v114
	s_or_b32 exec_lo, exec_lo, s38
	s_and_saveexec_b32 s38, s30
	s_cbranch_execnz .LBB872_1496
.LBB872_1017:
	s_or_b32 exec_lo, exec_lo, s38
	s_and_saveexec_b32 s38, s31
	s_cbranch_execz .LBB872_1497
.LBB872_1018:
	v_mov_b32_e32 v114, 1
	v_lshlrev_b32_sdwa v115, v114, v50 dst_sel:DWORD dst_unused:UNUSED_PAD src0_sel:DWORD src1_sel:WORD_0
	v_lshlrev_b32_sdwa v116, v114, v51 dst_sel:DWORD dst_unused:UNUSED_PAD src0_sel:DWORD src1_sel:WORD_0
	v_add_co_u32 v114, s35, v6, v115
	v_add_co_ci_u32_e64 v115, null, 0, v7, s35
	v_add_co_u32 v116, s35, v6, v116
	v_add_co_ci_u32_e64 v117, null, 0, v7, s35
	s_clause 0x1
	flat_load_ushort v114, v[114:115]
	flat_load_ushort v115, v[116:117]
	s_waitcnt vmcnt(0) lgkmcnt(0)
	v_cmp_lt_u16_e64 s35, v114, v115
	v_cndmask_b32_e64 v114, v51, v50, s35
	v_cndmask_b32_e64 v50, v50, v51, s35
	v_mov_b32_e32 v51, v114
	s_or_b32 exec_lo, exec_lo, s38
	s_and_saveexec_b32 s38, s34
	s_cbranch_execnz .LBB872_1498
.LBB872_1019:
	s_or_b32 exec_lo, exec_lo, s38
	s_and_saveexec_b32 s38, s8
	s_cbranch_execz .LBB872_1499
.LBB872_1020:
	v_mov_b32_e32 v114, 1
	v_lshlrev_b32_sdwa v115, v114, v102 dst_sel:DWORD dst_unused:UNUSED_PAD src0_sel:DWORD src1_sel:WORD_0
	v_lshlrev_b32_sdwa v116, v114, v99 dst_sel:DWORD dst_unused:UNUSED_PAD src0_sel:DWORD src1_sel:WORD_0
	v_add_co_u32 v114, s35, v6, v115
	v_add_co_ci_u32_e64 v115, null, 0, v7, s35
	v_add_co_u32 v116, s35, v6, v116
	v_add_co_ci_u32_e64 v117, null, 0, v7, s35
	s_clause 0x1
	flat_load_ushort v114, v[114:115]
	flat_load_ushort v115, v[116:117]
	s_waitcnt vmcnt(0) lgkmcnt(0)
	v_cmp_lt_u16_e64 s35, v114, v115
	v_cndmask_b32_e64 v114, v102, v99, s35
	v_cndmask_b32_e64 v99, v99, v102, s35
	v_mov_b32_e32 v102, v114
	s_or_b32 exec_lo, exec_lo, s38
	s_and_saveexec_b32 s38, s9
	s_cbranch_execnz .LBB872_1500
.LBB872_1021:
	s_or_b32 exec_lo, exec_lo, s38
	s_and_saveexec_b32 s38, s12
	s_cbranch_execz .LBB872_1501
.LBB872_1022:
	v_mov_b32_e32 v114, 1
	v_lshlrev_b32_sdwa v115, v114, v97 dst_sel:DWORD dst_unused:UNUSED_PAD src0_sel:DWORD src1_sel:WORD_0
	v_lshlrev_b32_sdwa v116, v114, v98 dst_sel:DWORD dst_unused:UNUSED_PAD src0_sel:DWORD src1_sel:WORD_0
	v_add_co_u32 v114, s35, v6, v115
	v_add_co_ci_u32_e64 v115, null, 0, v7, s35
	v_add_co_u32 v116, s35, v6, v116
	v_add_co_ci_u32_e64 v117, null, 0, v7, s35
	s_clause 0x1
	flat_load_ushort v114, v[114:115]
	flat_load_ushort v115, v[116:117]
	s_waitcnt vmcnt(0) lgkmcnt(0)
	v_cmp_lt_u16_e64 s35, v114, v115
	v_cndmask_b32_e64 v114, v97, v98, s35
	v_cndmask_b32_e64 v98, v98, v97, s35
	v_mov_b32_e32 v97, v114
	s_or_b32 exec_lo, exec_lo, s38
	s_and_saveexec_b32 s38, s13
	s_cbranch_execnz .LBB872_1502
.LBB872_1023:
	s_or_b32 exec_lo, exec_lo, s38
	s_and_saveexec_b32 s38, s57
	s_cbranch_execz .LBB872_1503
.LBB872_1024:
	v_mov_b32_e32 v114, 1
	v_lshlrev_b32_sdwa v115, v114, v85 dst_sel:DWORD dst_unused:UNUSED_PAD src0_sel:DWORD src1_sel:WORD_0
	v_lshlrev_b32_sdwa v116, v114, v86 dst_sel:DWORD dst_unused:UNUSED_PAD src0_sel:DWORD src1_sel:WORD_0
	v_add_co_u32 v114, s35, v6, v115
	v_add_co_ci_u32_e64 v115, null, 0, v7, s35
	v_add_co_u32 v116, s35, v6, v116
	v_add_co_ci_u32_e64 v117, null, 0, v7, s35
	s_clause 0x1
	flat_load_ushort v114, v[114:115]
	flat_load_ushort v115, v[116:117]
	s_waitcnt vmcnt(0) lgkmcnt(0)
	v_cmp_lt_u16_e64 s35, v114, v115
	v_cndmask_b32_e64 v114, v85, v86, s35
	v_cndmask_b32_e64 v86, v86, v85, s35
	v_mov_b32_e32 v85, v114
	s_or_b32 exec_lo, exec_lo, s38
	s_and_saveexec_b32 s38, s58
	s_cbranch_execnz .LBB872_1504
.LBB872_1025:
	s_or_b32 exec_lo, exec_lo, s38
	s_and_saveexec_b32 s38, s59
	s_cbranch_execz .LBB872_1505
.LBB872_1026:
	v_mov_b32_e32 v114, 1
	v_lshlrev_b32_sdwa v115, v114, v81 dst_sel:DWORD dst_unused:UNUSED_PAD src0_sel:DWORD src1_sel:WORD_0
	v_lshlrev_b32_sdwa v116, v114, v82 dst_sel:DWORD dst_unused:UNUSED_PAD src0_sel:DWORD src1_sel:WORD_0
	v_add_co_u32 v114, s35, v6, v115
	v_add_co_ci_u32_e64 v115, null, 0, v7, s35
	v_add_co_u32 v116, s35, v6, v116
	v_add_co_ci_u32_e64 v117, null, 0, v7, s35
	s_clause 0x1
	flat_load_ushort v114, v[114:115]
	flat_load_ushort v115, v[116:117]
	s_waitcnt vmcnt(0) lgkmcnt(0)
	v_cmp_lt_u16_e64 s35, v114, v115
	v_cndmask_b32_e64 v114, v81, v82, s35
	v_cndmask_b32_e64 v82, v82, v81, s35
	v_mov_b32_e32 v81, v114
	s_or_b32 exec_lo, exec_lo, s38
	s_and_saveexec_b32 s38, s60
	s_cbranch_execnz .LBB872_1506
.LBB872_1027:
	s_or_b32 exec_lo, exec_lo, s38
	s_and_saveexec_b32 s38, s61
	s_cbranch_execz .LBB872_1507
.LBB872_1028:
	v_mov_b32_e32 v114, 1
	v_lshlrev_b32_sdwa v115, v114, v69 dst_sel:DWORD dst_unused:UNUSED_PAD src0_sel:DWORD src1_sel:WORD_0
	v_lshlrev_b32_sdwa v116, v114, v70 dst_sel:DWORD dst_unused:UNUSED_PAD src0_sel:DWORD src1_sel:WORD_0
	v_add_co_u32 v114, s35, v6, v115
	v_add_co_ci_u32_e64 v115, null, 0, v7, s35
	v_add_co_u32 v116, s35, v6, v116
	v_add_co_ci_u32_e64 v117, null, 0, v7, s35
	s_clause 0x1
	flat_load_ushort v114, v[114:115]
	flat_load_ushort v115, v[116:117]
	s_waitcnt vmcnt(0) lgkmcnt(0)
	v_cmp_lt_u16_e64 s35, v114, v115
	v_cndmask_b32_e64 v114, v69, v70, s35
	v_cndmask_b32_e64 v70, v70, v69, s35
	v_mov_b32_e32 v69, v114
	s_or_b32 exec_lo, exec_lo, s38
	s_and_saveexec_b32 s38, s62
	s_cbranch_execnz .LBB872_1508
.LBB872_1029:
	s_or_b32 exec_lo, exec_lo, s38
	s_and_saveexec_b32 s38, s63
	s_cbranch_execz .LBB872_1509
.LBB872_1030:
	v_mov_b32_e32 v114, 1
	v_lshlrev_b32_sdwa v115, v114, v65 dst_sel:DWORD dst_unused:UNUSED_PAD src0_sel:DWORD src1_sel:WORD_0
	v_lshlrev_b32_sdwa v116, v114, v66 dst_sel:DWORD dst_unused:UNUSED_PAD src0_sel:DWORD src1_sel:WORD_0
	v_add_co_u32 v114, s35, v6, v115
	v_add_co_ci_u32_e64 v115, null, 0, v7, s35
	v_add_co_u32 v116, s35, v6, v116
	v_add_co_ci_u32_e64 v117, null, 0, v7, s35
	s_clause 0x1
	flat_load_ushort v114, v[114:115]
	flat_load_ushort v115, v[116:117]
	s_waitcnt vmcnt(0) lgkmcnt(0)
	v_cmp_lt_u16_e64 s35, v114, v115
	v_cndmask_b32_e64 v114, v65, v66, s35
	v_cndmask_b32_e64 v66, v66, v65, s35
	v_mov_b32_e32 v65, v114
	s_or_b32 exec_lo, exec_lo, s38
	s_and_saveexec_b32 s38, s72
	s_cbranch_execnz .LBB872_1510
.LBB872_1031:
	s_or_b32 exec_lo, exec_lo, s38
	s_and_saveexec_b32 s38, s73
	s_cbranch_execz .LBB872_1511
.LBB872_1032:
	v_mov_b32_e32 v114, 1
	v_lshlrev_b32_sdwa v115, v114, v64 dst_sel:DWORD dst_unused:UNUSED_PAD src0_sel:DWORD src1_sel:WORD_0
	v_lshlrev_b32_sdwa v116, v114, v53 dst_sel:DWORD dst_unused:UNUSED_PAD src0_sel:DWORD src1_sel:WORD_0
	v_add_co_u32 v114, s35, v6, v115
	v_add_co_ci_u32_e64 v115, null, 0, v7, s35
	v_add_co_u32 v116, s35, v6, v116
	v_add_co_ci_u32_e64 v117, null, 0, v7, s35
	s_clause 0x1
	flat_load_ushort v114, v[114:115]
	flat_load_ushort v115, v[116:117]
	s_waitcnt vmcnt(0) lgkmcnt(0)
	v_cmp_lt_u16_e64 s35, v114, v115
	v_cndmask_b32_e64 v114, v64, v53, s35
	v_cndmask_b32_e64 v53, v53, v64, s35
	v_mov_b32_e32 v64, v114
	s_or_b32 exec_lo, exec_lo, s38
	s_and_saveexec_b32 s38, s74
	s_cbranch_execnz .LBB872_1512
.LBB872_1033:
	s_or_b32 exec_lo, exec_lo, s38
	s_and_saveexec_b32 s38, s75
	s_cbranch_execz .LBB872_1513
.LBB872_1034:
	v_mov_b32_e32 v114, 1
	v_lshlrev_b32_sdwa v115, v114, v49 dst_sel:DWORD dst_unused:UNUSED_PAD src0_sel:DWORD src1_sel:WORD_0
	v_lshlrev_b32_sdwa v116, v114, v50 dst_sel:DWORD dst_unused:UNUSED_PAD src0_sel:DWORD src1_sel:WORD_0
	v_add_co_u32 v114, s35, v6, v115
	v_add_co_ci_u32_e64 v115, null, 0, v7, s35
	v_add_co_u32 v116, s35, v6, v116
	v_add_co_ci_u32_e64 v117, null, 0, v7, s35
	s_clause 0x1
	flat_load_ushort v114, v[114:115]
	flat_load_ushort v115, v[116:117]
	s_waitcnt vmcnt(0) lgkmcnt(0)
	v_cmp_lt_u16_e64 s35, v114, v115
	v_cndmask_b32_e64 v114, v50, v49, s35
	v_cndmask_b32_e64 v49, v49, v50, s35
	v_mov_b32_e32 v50, v114
	s_or_b32 exec_lo, exec_lo, s38
	s_and_saveexec_b32 s38, s76
	s_cbranch_execnz .LBB872_1514
.LBB872_1035:
	s_or_b32 exec_lo, exec_lo, s38
	s_and_saveexec_b32 s38, s77
	s_cbranch_execz .LBB872_1515
.LBB872_1036:
	v_mov_b32_e32 v114, 1
	v_lshlrev_b32_sdwa v115, v114, v101 dst_sel:DWORD dst_unused:UNUSED_PAD src0_sel:DWORD src1_sel:WORD_0
	v_lshlrev_b32_sdwa v116, v114, v102 dst_sel:DWORD dst_unused:UNUSED_PAD src0_sel:DWORD src1_sel:WORD_0
	v_add_co_u32 v114, s35, v6, v115
	v_add_co_ci_u32_e64 v115, null, 0, v7, s35
	v_add_co_u32 v116, s35, v6, v116
	v_add_co_ci_u32_e64 v117, null, 0, v7, s35
	s_clause 0x1
	flat_load_ushort v114, v[114:115]
	flat_load_ushort v115, v[116:117]
	s_waitcnt vmcnt(0) lgkmcnt(0)
	v_cmp_lt_u16_e64 s35, v114, v115
	v_cndmask_b32_e64 v114, v101, v102, s35
	v_cndmask_b32_e64 v102, v102, v101, s35
	v_mov_b32_e32 v101, v114
	s_or_b32 exec_lo, exec_lo, s38
	s_and_saveexec_b32 s38, s78
	s_cbranch_execnz .LBB872_1516
.LBB872_1037:
	s_or_b32 exec_lo, exec_lo, s38
	s_and_saveexec_b32 s38, s79
	s_cbranch_execz .LBB872_1517
.LBB872_1038:
	v_mov_b32_e32 v114, 1
	v_lshlrev_b32_sdwa v115, v114, v96 dst_sel:DWORD dst_unused:UNUSED_PAD src0_sel:DWORD src1_sel:WORD_0
	v_lshlrev_b32_sdwa v116, v114, v97 dst_sel:DWORD dst_unused:UNUSED_PAD src0_sel:DWORD src1_sel:WORD_0
	v_add_co_u32 v114, s35, v6, v115
	v_add_co_ci_u32_e64 v115, null, 0, v7, s35
	v_add_co_u32 v116, s35, v6, v116
	v_add_co_ci_u32_e64 v117, null, 0, v7, s35
	s_clause 0x1
	flat_load_ushort v114, v[114:115]
	flat_load_ushort v115, v[116:117]
	s_waitcnt vmcnt(0) lgkmcnt(0)
	v_cmp_lt_u16_e64 s35, v114, v115
	v_cndmask_b32_e64 v114, v96, v97, s35
	v_cndmask_b32_e64 v97, v97, v96, s35
	v_mov_b32_e32 v96, v114
	s_or_b32 exec_lo, exec_lo, s38
	s_and_saveexec_b32 s38, s88
	s_cbranch_execnz .LBB872_1518
.LBB872_1039:
	s_or_b32 exec_lo, exec_lo, s38
	s_and_saveexec_b32 s38, s89
	s_cbranch_execz .LBB872_1519
.LBB872_1040:
	v_mov_b32_e32 v114, 1
	v_lshlrev_b32_sdwa v115, v114, v84 dst_sel:DWORD dst_unused:UNUSED_PAD src0_sel:DWORD src1_sel:WORD_0
	v_lshlrev_b32_sdwa v116, v114, v85 dst_sel:DWORD dst_unused:UNUSED_PAD src0_sel:DWORD src1_sel:WORD_0
	v_add_co_u32 v114, s35, v6, v115
	v_add_co_ci_u32_e64 v115, null, 0, v7, s35
	v_add_co_u32 v116, s35, v6, v116
	v_add_co_ci_u32_e64 v117, null, 0, v7, s35
	s_clause 0x1
	flat_load_ushort v114, v[114:115]
	flat_load_ushort v115, v[116:117]
	s_waitcnt vmcnt(0) lgkmcnt(0)
	v_cmp_lt_u16_e64 s35, v114, v115
	v_cndmask_b32_e64 v114, v84, v85, s35
	v_cndmask_b32_e64 v85, v85, v84, s35
	v_mov_b32_e32 v84, v114
	s_or_b32 exec_lo, exec_lo, s38
	s_and_saveexec_b32 s38, s90
	s_cbranch_execnz .LBB872_1520
.LBB872_1041:
	s_or_b32 exec_lo, exec_lo, s38
	s_and_saveexec_b32 s38, s91
	s_cbranch_execz .LBB872_1521
.LBB872_1042:
	v_mov_b32_e32 v114, 1
	v_lshlrev_b32_sdwa v115, v114, v80 dst_sel:DWORD dst_unused:UNUSED_PAD src0_sel:DWORD src1_sel:WORD_0
	v_lshlrev_b32_sdwa v116, v114, v81 dst_sel:DWORD dst_unused:UNUSED_PAD src0_sel:DWORD src1_sel:WORD_0
	v_add_co_u32 v114, s35, v6, v115
	v_add_co_ci_u32_e64 v115, null, 0, v7, s35
	v_add_co_u32 v116, s35, v6, v116
	v_add_co_ci_u32_e64 v117, null, 0, v7, s35
	s_clause 0x1
	flat_load_ushort v114, v[114:115]
	flat_load_ushort v115, v[116:117]
	s_waitcnt vmcnt(0) lgkmcnt(0)
	v_cmp_lt_u16_e64 s35, v114, v115
	v_cndmask_b32_e64 v114, v80, v81, s35
	v_cndmask_b32_e64 v81, v81, v80, s35
	v_mov_b32_e32 v80, v114
	s_or_b32 exec_lo, exec_lo, s38
	s_and_saveexec_b32 s38, s92
	s_cbranch_execnz .LBB872_1522
.LBB872_1043:
	s_or_b32 exec_lo, exec_lo, s38
	s_and_saveexec_b32 s38, s93
	s_cbranch_execz .LBB872_1523
.LBB872_1044:
	v_mov_b32_e32 v114, 1
	v_lshlrev_b32_sdwa v115, v114, v68 dst_sel:DWORD dst_unused:UNUSED_PAD src0_sel:DWORD src1_sel:WORD_0
	v_lshlrev_b32_sdwa v116, v114, v69 dst_sel:DWORD dst_unused:UNUSED_PAD src0_sel:DWORD src1_sel:WORD_0
	v_add_co_u32 v114, s35, v6, v115
	v_add_co_ci_u32_e64 v115, null, 0, v7, s35
	v_add_co_u32 v116, s35, v6, v116
	v_add_co_ci_u32_e64 v117, null, 0, v7, s35
	s_clause 0x1
	flat_load_ushort v114, v[114:115]
	flat_load_ushort v115, v[116:117]
	s_waitcnt vmcnt(0) lgkmcnt(0)
	v_cmp_lt_u16_e64 s35, v114, v115
	v_cndmask_b32_e64 v114, v68, v69, s35
	v_cndmask_b32_e64 v69, v69, v68, s35
	v_mov_b32_e32 v68, v114
	s_or_b32 exec_lo, exec_lo, s38
	s_and_saveexec_b32 s38, s94
	s_cbranch_execnz .LBB872_1524
.LBB872_1045:
	s_or_b32 exec_lo, exec_lo, s38
	s_and_saveexec_b32 s38, s95
	s_cbranch_execz .LBB872_1525
.LBB872_1046:
	v_mov_b32_e32 v114, 1
	v_lshlrev_b32_sdwa v115, v114, v55 dst_sel:DWORD dst_unused:UNUSED_PAD src0_sel:DWORD src1_sel:WORD_0
	v_lshlrev_b32_sdwa v116, v114, v65 dst_sel:DWORD dst_unused:UNUSED_PAD src0_sel:DWORD src1_sel:WORD_0
	v_add_co_u32 v114, s35, v6, v115
	v_add_co_ci_u32_e64 v115, null, 0, v7, s35
	v_add_co_u32 v116, s35, v6, v116
	v_add_co_ci_u32_e64 v117, null, 0, v7, s35
	s_clause 0x1
	flat_load_ushort v114, v[114:115]
	flat_load_ushort v115, v[116:117]
	s_waitcnt vmcnt(0) lgkmcnt(0)
	v_cmp_lt_u16_e64 s35, v114, v115
	v_cndmask_b32_e64 v114, v55, v65, s35
	v_cndmask_b32_e64 v65, v65, v55, s35
	v_mov_b32_e32 v55, v114
	s_or_b32 exec_lo, exec_lo, s38
	s_and_saveexec_b32 s38, vcc_hi
	s_cbranch_execnz .LBB872_1526
.LBB872_1047:
	s_or_b32 exec_lo, exec_lo, s38
	s_and_saveexec_b32 s38, s30
	s_cbranch_execz .LBB872_1527
.LBB872_1048:
	v_mov_b32_e32 v114, 1
	v_lshlrev_b32_sdwa v115, v114, v52 dst_sel:DWORD dst_unused:UNUSED_PAD src0_sel:DWORD src1_sel:WORD_0
	v_lshlrev_b32_sdwa v116, v114, v64 dst_sel:DWORD dst_unused:UNUSED_PAD src0_sel:DWORD src1_sel:WORD_0
	v_add_co_u32 v114, s35, v6, v115
	v_add_co_ci_u32_e64 v115, null, 0, v7, s35
	v_add_co_u32 v116, s35, v6, v116
	v_add_co_ci_u32_e64 v117, null, 0, v7, s35
	s_clause 0x1
	flat_load_ushort v114, v[114:115]
	flat_load_ushort v115, v[116:117]
	s_waitcnt vmcnt(0) lgkmcnt(0)
	v_cmp_lt_u16_e64 s35, v114, v115
	v_cndmask_b32_e64 v114, v64, v52, s35
	v_cndmask_b32_e64 v52, v52, v64, s35
	v_mov_b32_e32 v64, v114
	s_or_b32 exec_lo, exec_lo, s38
	s_and_saveexec_b32 s38, s31
	s_cbranch_execnz .LBB872_1528
.LBB872_1049:
	s_or_b32 exec_lo, exec_lo, s38
	s_and_saveexec_b32 s38, s34
	s_cbranch_execz .LBB872_1529
.LBB872_1050:
	v_mov_b32_e32 v114, 1
	v_lshlrev_b32_sdwa v115, v114, v103 dst_sel:DWORD dst_unused:UNUSED_PAD src0_sel:DWORD src1_sel:WORD_0
	v_lshlrev_b32_sdwa v116, v114, v49 dst_sel:DWORD dst_unused:UNUSED_PAD src0_sel:DWORD src1_sel:WORD_0
	v_add_co_u32 v114, s35, v6, v115
	v_add_co_ci_u32_e64 v115, null, 0, v7, s35
	v_add_co_u32 v116, s35, v6, v116
	v_add_co_ci_u32_e64 v117, null, 0, v7, s35
	s_clause 0x1
	flat_load_ushort v114, v[114:115]
	flat_load_ushort v115, v[116:117]
	s_waitcnt vmcnt(0) lgkmcnt(0)
	v_cmp_lt_u16_e64 s35, v114, v115
	v_cndmask_b32_e64 v114, v49, v103, s35
	v_cndmask_b32_e64 v103, v103, v49, s35
	v_mov_b32_e32 v49, v114
	s_or_b32 exec_lo, exec_lo, s38
	s_and_saveexec_b32 s38, s8
	s_cbranch_execnz .LBB872_1530
.LBB872_1051:
	s_or_b32 exec_lo, exec_lo, s38
	s_and_saveexec_b32 s38, s9
	s_cbranch_execz .LBB872_1531
.LBB872_1052:
	v_mov_b32_e32 v114, 1
	v_lshlrev_b32_sdwa v115, v114, v100 dst_sel:DWORD dst_unused:UNUSED_PAD src0_sel:DWORD src1_sel:WORD_0
	v_lshlrev_b32_sdwa v116, v114, v101 dst_sel:DWORD dst_unused:UNUSED_PAD src0_sel:DWORD src1_sel:WORD_0
	v_add_co_u32 v114, s35, v6, v115
	v_add_co_ci_u32_e64 v115, null, 0, v7, s35
	v_add_co_u32 v116, s35, v6, v116
	v_add_co_ci_u32_e64 v117, null, 0, v7, s35
	s_clause 0x1
	flat_load_ushort v114, v[114:115]
	flat_load_ushort v115, v[116:117]
	s_waitcnt vmcnt(0) lgkmcnt(0)
	v_cmp_lt_u16_e64 s35, v114, v115
	v_cndmask_b32_e64 v114, v100, v101, s35
	v_cndmask_b32_e64 v101, v101, v100, s35
	v_mov_b32_e32 v100, v114
	s_or_b32 exec_lo, exec_lo, s38
	s_and_saveexec_b32 s38, s12
	s_cbranch_execnz .LBB872_1532
.LBB872_1053:
	s_or_b32 exec_lo, exec_lo, s38
	s_and_saveexec_b32 s38, s13
	s_cbranch_execz .LBB872_1533
.LBB872_1054:
	v_mov_b32_e32 v114, 1
	v_lshlrev_b32_sdwa v115, v114, v87 dst_sel:DWORD dst_unused:UNUSED_PAD src0_sel:DWORD src1_sel:WORD_0
	v_lshlrev_b32_sdwa v116, v114, v96 dst_sel:DWORD dst_unused:UNUSED_PAD src0_sel:DWORD src1_sel:WORD_0
	v_add_co_u32 v114, s35, v6, v115
	v_add_co_ci_u32_e64 v115, null, 0, v7, s35
	v_add_co_u32 v116, s35, v6, v116
	v_add_co_ci_u32_e64 v117, null, 0, v7, s35
	s_clause 0x1
	flat_load_ushort v114, v[114:115]
	flat_load_ushort v115, v[116:117]
	s_waitcnt vmcnt(0) lgkmcnt(0)
	v_cmp_lt_u16_e64 s35, v114, v115
	v_cndmask_b32_e64 v114, v87, v96, s35
	v_cndmask_b32_e64 v96, v96, v87, s35
	v_mov_b32_e32 v87, v114
	s_or_b32 exec_lo, exec_lo, s38
	s_and_saveexec_b32 s38, s57
	s_cbranch_execnz .LBB872_1534
.LBB872_1055:
	s_or_b32 exec_lo, exec_lo, s38
	s_and_saveexec_b32 s38, s58
	s_cbranch_execz .LBB872_1535
.LBB872_1056:
	v_mov_b32_e32 v114, 1
	v_lshlrev_b32_sdwa v115, v114, v83 dst_sel:DWORD dst_unused:UNUSED_PAD src0_sel:DWORD src1_sel:WORD_0
	v_lshlrev_b32_sdwa v116, v114, v84 dst_sel:DWORD dst_unused:UNUSED_PAD src0_sel:DWORD src1_sel:WORD_0
	v_add_co_u32 v114, s35, v6, v115
	v_add_co_ci_u32_e64 v115, null, 0, v7, s35
	v_add_co_u32 v116, s35, v6, v116
	v_add_co_ci_u32_e64 v117, null, 0, v7, s35
	s_clause 0x1
	flat_load_ushort v114, v[114:115]
	flat_load_ushort v115, v[116:117]
	s_waitcnt vmcnt(0) lgkmcnt(0)
	v_cmp_lt_u16_e64 s35, v114, v115
	v_cndmask_b32_e64 v114, v83, v84, s35
	v_cndmask_b32_e64 v84, v84, v83, s35
	v_mov_b32_e32 v83, v114
	s_or_b32 exec_lo, exec_lo, s38
	s_and_saveexec_b32 s38, s59
	s_cbranch_execnz .LBB872_1536
.LBB872_1057:
	s_or_b32 exec_lo, exec_lo, s38
	s_and_saveexec_b32 s38, s60
	s_cbranch_execz .LBB872_1537
.LBB872_1058:
	v_mov_b32_e32 v114, 1
	v_lshlrev_b32_sdwa v115, v114, v71 dst_sel:DWORD dst_unused:UNUSED_PAD src0_sel:DWORD src1_sel:WORD_0
	v_lshlrev_b32_sdwa v116, v114, v80 dst_sel:DWORD dst_unused:UNUSED_PAD src0_sel:DWORD src1_sel:WORD_0
	v_add_co_u32 v114, s35, v6, v115
	v_add_co_ci_u32_e64 v115, null, 0, v7, s35
	v_add_co_u32 v116, s35, v6, v116
	v_add_co_ci_u32_e64 v117, null, 0, v7, s35
	s_clause 0x1
	flat_load_ushort v114, v[114:115]
	flat_load_ushort v115, v[116:117]
	s_waitcnt vmcnt(0) lgkmcnt(0)
	v_cmp_lt_u16_e64 s35, v114, v115
	v_cndmask_b32_e64 v114, v71, v80, s35
	v_cndmask_b32_e64 v80, v80, v71, s35
	v_mov_b32_e32 v71, v114
	s_or_b32 exec_lo, exec_lo, s38
	s_and_saveexec_b32 s38, s61
	s_cbranch_execnz .LBB872_1538
.LBB872_1059:
	s_or_b32 exec_lo, exec_lo, s38
	s_and_saveexec_b32 s38, s62
	s_cbranch_execz .LBB872_1539
.LBB872_1060:
	v_mov_b32_e32 v114, 1
	v_lshlrev_b32_sdwa v115, v114, v67 dst_sel:DWORD dst_unused:UNUSED_PAD src0_sel:DWORD src1_sel:WORD_0
	v_lshlrev_b32_sdwa v116, v114, v68 dst_sel:DWORD dst_unused:UNUSED_PAD src0_sel:DWORD src1_sel:WORD_0
	v_add_co_u32 v114, s35, v6, v115
	v_add_co_ci_u32_e64 v115, null, 0, v7, s35
	v_add_co_u32 v116, s35, v6, v116
	v_add_co_ci_u32_e64 v117, null, 0, v7, s35
	s_clause 0x1
	flat_load_ushort v114, v[114:115]
	flat_load_ushort v115, v[116:117]
	s_waitcnt vmcnt(0) lgkmcnt(0)
	v_cmp_lt_u16_e64 s35, v114, v115
	v_cndmask_b32_e64 v114, v67, v68, s35
	v_cndmask_b32_e64 v68, v68, v67, s35
	v_mov_b32_e32 v67, v114
	s_or_b32 exec_lo, exec_lo, s38
	s_and_saveexec_b32 s38, s63
	s_cbranch_execnz .LBB872_1540
.LBB872_1061:
	s_or_b32 exec_lo, exec_lo, s38
	s_and_saveexec_b32 s38, s72
	s_cbranch_execz .LBB872_1541
.LBB872_1062:
	v_mov_b32_e32 v114, 1
	v_lshlrev_b32_sdwa v115, v114, v54 dst_sel:DWORD dst_unused:UNUSED_PAD src0_sel:DWORD src1_sel:WORD_0
	v_lshlrev_b32_sdwa v116, v114, v55 dst_sel:DWORD dst_unused:UNUSED_PAD src0_sel:DWORD src1_sel:WORD_0
	v_add_co_u32 v114, s35, v6, v115
	v_add_co_ci_u32_e64 v115, null, 0, v7, s35
	v_add_co_u32 v116, s35, v6, v116
	v_add_co_ci_u32_e64 v117, null, 0, v7, s35
	s_clause 0x1
	flat_load_ushort v114, v[114:115]
	flat_load_ushort v115, v[116:117]
	s_waitcnt vmcnt(0) lgkmcnt(0)
	v_cmp_lt_u16_e64 s35, v114, v115
	v_cndmask_b32_e64 v114, v54, v55, s35
	v_cndmask_b32_e64 v55, v55, v54, s35
	v_mov_b32_e32 v54, v114
	s_or_b32 exec_lo, exec_lo, s38
	s_and_saveexec_b32 s38, s73
	s_cbranch_execnz .LBB872_1542
.LBB872_1063:
	s_or_b32 exec_lo, exec_lo, s38
	s_and_saveexec_b32 s38, s74
	s_cbranch_execz .LBB872_1543
.LBB872_1064:
	v_mov_b32_e32 v114, 1
	v_lshlrev_b32_sdwa v115, v114, v51 dst_sel:DWORD dst_unused:UNUSED_PAD src0_sel:DWORD src1_sel:WORD_0
	v_lshlrev_b32_sdwa v116, v114, v52 dst_sel:DWORD dst_unused:UNUSED_PAD src0_sel:DWORD src1_sel:WORD_0
	v_add_co_u32 v114, s35, v6, v115
	v_add_co_ci_u32_e64 v115, null, 0, v7, s35
	v_add_co_u32 v116, s35, v6, v116
	v_add_co_ci_u32_e64 v117, null, 0, v7, s35
	s_clause 0x1
	flat_load_ushort v114, v[114:115]
	flat_load_ushort v115, v[116:117]
	s_waitcnt vmcnt(0) lgkmcnt(0)
	v_cmp_lt_u16_e64 s35, v114, v115
	v_cndmask_b32_e64 v114, v52, v51, s35
	v_cndmask_b32_e64 v51, v51, v52, s35
	v_mov_b32_e32 v52, v114
	s_or_b32 exec_lo, exec_lo, s38
	s_and_saveexec_b32 s38, s75
	s_cbranch_execnz .LBB872_1544
.LBB872_1065:
	s_or_b32 exec_lo, exec_lo, s38
	s_and_saveexec_b32 s38, s76
	s_cbranch_execz .LBB872_1545
.LBB872_1066:
	v_mov_b32_e32 v114, 1
	v_lshlrev_b32_sdwa v115, v114, v48 dst_sel:DWORD dst_unused:UNUSED_PAD src0_sel:DWORD src1_sel:WORD_0
	v_lshlrev_b32_sdwa v116, v114, v103 dst_sel:DWORD dst_unused:UNUSED_PAD src0_sel:DWORD src1_sel:WORD_0
	v_add_co_u32 v114, s35, v6, v115
	v_add_co_ci_u32_e64 v115, null, 0, v7, s35
	v_add_co_u32 v116, s35, v6, v116
	v_add_co_ci_u32_e64 v117, null, 0, v7, s35
	s_clause 0x1
	flat_load_ushort v114, v[114:115]
	flat_load_ushort v115, v[116:117]
	s_waitcnt vmcnt(0) lgkmcnt(0)
	v_cmp_lt_u16_e64 s35, v114, v115
	v_cndmask_b32_e64 v114, v103, v48, s35
	v_cndmask_b32_e64 v48, v48, v103, s35
	v_mov_b32_e32 v103, v114
	s_or_b32 exec_lo, exec_lo, s38
	s_and_saveexec_b32 s38, s77
	s_cbranch_execnz .LBB872_1546
.LBB872_1067:
	s_or_b32 exec_lo, exec_lo, s38
	s_and_saveexec_b32 s38, s78
	s_cbranch_execz .LBB872_1547
.LBB872_1068:
	v_mov_b32_e32 v114, 1
	v_lshlrev_b32_sdwa v115, v114, v98 dst_sel:DWORD dst_unused:UNUSED_PAD src0_sel:DWORD src1_sel:WORD_0
	v_lshlrev_b32_sdwa v116, v114, v100 dst_sel:DWORD dst_unused:UNUSED_PAD src0_sel:DWORD src1_sel:WORD_0
	v_add_co_u32 v114, s35, v6, v115
	v_add_co_ci_u32_e64 v115, null, 0, v7, s35
	v_add_co_u32 v116, s35, v6, v116
	v_add_co_ci_u32_e64 v117, null, 0, v7, s35
	s_clause 0x1
	flat_load_ushort v114, v[114:115]
	flat_load_ushort v115, v[116:117]
	s_waitcnt vmcnt(0) lgkmcnt(0)
	v_cmp_lt_u16_e64 s35, v114, v115
	v_cndmask_b32_e64 v114, v98, v100, s35
	v_cndmask_b32_e64 v100, v100, v98, s35
	v_mov_b32_e32 v98, v114
	s_or_b32 exec_lo, exec_lo, s38
	s_and_saveexec_b32 s38, s79
	s_cbranch_execnz .LBB872_1548
.LBB872_1069:
	s_or_b32 exec_lo, exec_lo, s38
	s_and_saveexec_b32 s38, s88
	s_cbranch_execz .LBB872_1549
.LBB872_1070:
	v_mov_b32_e32 v114, 1
	v_lshlrev_b32_sdwa v115, v114, v86 dst_sel:DWORD dst_unused:UNUSED_PAD src0_sel:DWORD src1_sel:WORD_0
	v_lshlrev_b32_sdwa v116, v114, v87 dst_sel:DWORD dst_unused:UNUSED_PAD src0_sel:DWORD src1_sel:WORD_0
	v_add_co_u32 v114, s35, v6, v115
	v_add_co_ci_u32_e64 v115, null, 0, v7, s35
	v_add_co_u32 v116, s35, v6, v116
	v_add_co_ci_u32_e64 v117, null, 0, v7, s35
	s_clause 0x1
	flat_load_ushort v114, v[114:115]
	flat_load_ushort v115, v[116:117]
	s_waitcnt vmcnt(0) lgkmcnt(0)
	v_cmp_lt_u16_e64 s35, v114, v115
	v_cndmask_b32_e64 v114, v86, v87, s35
	v_cndmask_b32_e64 v87, v87, v86, s35
	v_mov_b32_e32 v86, v114
	s_or_b32 exec_lo, exec_lo, s38
	s_and_saveexec_b32 s38, s89
	s_cbranch_execnz .LBB872_1550
.LBB872_1071:
	s_or_b32 exec_lo, exec_lo, s38
	s_and_saveexec_b32 s38, s90
	s_cbranch_execz .LBB872_1551
.LBB872_1072:
	v_mov_b32_e32 v114, 1
	v_lshlrev_b32_sdwa v115, v114, v82 dst_sel:DWORD dst_unused:UNUSED_PAD src0_sel:DWORD src1_sel:WORD_0
	v_lshlrev_b32_sdwa v116, v114, v83 dst_sel:DWORD dst_unused:UNUSED_PAD src0_sel:DWORD src1_sel:WORD_0
	v_add_co_u32 v114, s35, v6, v115
	v_add_co_ci_u32_e64 v115, null, 0, v7, s35
	v_add_co_u32 v116, s35, v6, v116
	v_add_co_ci_u32_e64 v117, null, 0, v7, s35
	s_clause 0x1
	flat_load_ushort v114, v[114:115]
	flat_load_ushort v115, v[116:117]
	s_waitcnt vmcnt(0) lgkmcnt(0)
	v_cmp_lt_u16_e64 s35, v114, v115
	v_cndmask_b32_e64 v114, v82, v83, s35
	v_cndmask_b32_e64 v83, v83, v82, s35
	v_mov_b32_e32 v82, v114
	s_or_b32 exec_lo, exec_lo, s38
	s_and_saveexec_b32 s38, s91
	s_cbranch_execnz .LBB872_1552
.LBB872_1073:
	s_or_b32 exec_lo, exec_lo, s38
	s_and_saveexec_b32 s38, s92
	s_cbranch_execz .LBB872_1553
.LBB872_1074:
	v_mov_b32_e32 v114, 1
	v_lshlrev_b32_sdwa v115, v114, v70 dst_sel:DWORD dst_unused:UNUSED_PAD src0_sel:DWORD src1_sel:WORD_0
	v_lshlrev_b32_sdwa v116, v114, v71 dst_sel:DWORD dst_unused:UNUSED_PAD src0_sel:DWORD src1_sel:WORD_0
	v_add_co_u32 v114, s35, v6, v115
	v_add_co_ci_u32_e64 v115, null, 0, v7, s35
	v_add_co_u32 v116, s35, v6, v116
	v_add_co_ci_u32_e64 v117, null, 0, v7, s35
	s_clause 0x1
	flat_load_ushort v114, v[114:115]
	flat_load_ushort v115, v[116:117]
	s_waitcnt vmcnt(0) lgkmcnt(0)
	v_cmp_lt_u16_e64 s35, v114, v115
	v_cndmask_b32_e64 v114, v70, v71, s35
	v_cndmask_b32_e64 v71, v71, v70, s35
	v_mov_b32_e32 v70, v114
	s_or_b32 exec_lo, exec_lo, s38
	s_and_saveexec_b32 s38, s93
	s_cbranch_execnz .LBB872_1554
.LBB872_1075:
	s_or_b32 exec_lo, exec_lo, s38
	s_and_saveexec_b32 s38, s94
	s_cbranch_execz .LBB872_1555
.LBB872_1076:
	v_mov_b32_e32 v114, 1
	v_lshlrev_b32_sdwa v115, v114, v66 dst_sel:DWORD dst_unused:UNUSED_PAD src0_sel:DWORD src1_sel:WORD_0
	v_lshlrev_b32_sdwa v116, v114, v67 dst_sel:DWORD dst_unused:UNUSED_PAD src0_sel:DWORD src1_sel:WORD_0
	v_add_co_u32 v114, s35, v6, v115
	v_add_co_ci_u32_e64 v115, null, 0, v7, s35
	v_add_co_u32 v116, s35, v6, v116
	v_add_co_ci_u32_e64 v117, null, 0, v7, s35
	s_clause 0x1
	flat_load_ushort v114, v[114:115]
	flat_load_ushort v115, v[116:117]
	s_waitcnt vmcnt(0) lgkmcnt(0)
	v_cmp_lt_u16_e64 s35, v114, v115
	v_cndmask_b32_e64 v114, v66, v67, s35
	v_cndmask_b32_e64 v67, v67, v66, s35
	v_mov_b32_e32 v66, v114
	s_or_b32 exec_lo, exec_lo, s38
	s_and_saveexec_b32 s38, s95
	s_cbranch_execnz .LBB872_1556
.LBB872_1077:
	s_or_b32 exec_lo, exec_lo, s38
	s_and_saveexec_b32 s38, vcc_hi
	s_cbranch_execz .LBB872_1557
.LBB872_1078:
	v_mov_b32_e32 v114, 1
	v_lshlrev_b32_sdwa v115, v114, v53 dst_sel:DWORD dst_unused:UNUSED_PAD src0_sel:DWORD src1_sel:WORD_0
	v_lshlrev_b32_sdwa v116, v114, v54 dst_sel:DWORD dst_unused:UNUSED_PAD src0_sel:DWORD src1_sel:WORD_0
	v_add_co_u32 v114, s35, v6, v115
	v_add_co_ci_u32_e64 v115, null, 0, v7, s35
	v_add_co_u32 v116, s35, v6, v116
	v_add_co_ci_u32_e64 v117, null, 0, v7, s35
	s_clause 0x1
	flat_load_ushort v114, v[114:115]
	flat_load_ushort v115, v[116:117]
	s_waitcnt vmcnt(0) lgkmcnt(0)
	v_cmp_lt_u16_e64 s35, v114, v115
	v_cndmask_b32_e64 v114, v53, v54, s35
	v_cndmask_b32_e64 v54, v54, v53, s35
	v_mov_b32_e32 v53, v114
	s_or_b32 exec_lo, exec_lo, s38
	s_and_saveexec_b32 s38, s30
	s_cbranch_execnz .LBB872_1558
.LBB872_1079:
	s_or_b32 exec_lo, exec_lo, s38
	s_and_saveexec_b32 s38, s31
	s_cbranch_execz .LBB872_1559
.LBB872_1080:
	v_mov_b32_e32 v114, 1
	v_lshlrev_b32_sdwa v115, v114, v50 dst_sel:DWORD dst_unused:UNUSED_PAD src0_sel:DWORD src1_sel:WORD_0
	v_lshlrev_b32_sdwa v116, v114, v51 dst_sel:DWORD dst_unused:UNUSED_PAD src0_sel:DWORD src1_sel:WORD_0
	v_add_co_u32 v114, s35, v6, v115
	v_add_co_ci_u32_e64 v115, null, 0, v7, s35
	v_add_co_u32 v116, s35, v6, v116
	v_add_co_ci_u32_e64 v117, null, 0, v7, s35
	s_clause 0x1
	flat_load_ushort v114, v[114:115]
	flat_load_ushort v115, v[116:117]
	s_waitcnt vmcnt(0) lgkmcnt(0)
	v_cmp_lt_u16_e64 s35, v114, v115
	v_cndmask_b32_e64 v114, v51, v50, s35
	v_cndmask_b32_e64 v50, v50, v51, s35
	v_mov_b32_e32 v51, v114
	s_or_b32 exec_lo, exec_lo, s38
	s_and_saveexec_b32 s38, s34
	s_cbranch_execnz .LBB872_1560
.LBB872_1081:
	s_or_b32 exec_lo, exec_lo, s38
	s_and_saveexec_b32 s38, s8
	s_cbranch_execz .LBB872_1561
.LBB872_1082:
	v_mov_b32_e32 v114, 1
	v_lshlrev_b32_sdwa v115, v114, v102 dst_sel:DWORD dst_unused:UNUSED_PAD src0_sel:DWORD src1_sel:WORD_0
	v_lshlrev_b32_sdwa v116, v114, v99 dst_sel:DWORD dst_unused:UNUSED_PAD src0_sel:DWORD src1_sel:WORD_0
	v_add_co_u32 v114, s35, v6, v115
	v_add_co_ci_u32_e64 v115, null, 0, v7, s35
	v_add_co_u32 v116, s35, v6, v116
	v_add_co_ci_u32_e64 v117, null, 0, v7, s35
	s_clause 0x1
	flat_load_ushort v114, v[114:115]
	flat_load_ushort v115, v[116:117]
	s_waitcnt vmcnt(0) lgkmcnt(0)
	v_cmp_lt_u16_e64 s35, v114, v115
	v_cndmask_b32_e64 v114, v102, v99, s35
	v_cndmask_b32_e64 v99, v99, v102, s35
	v_mov_b32_e32 v102, v114
	s_or_b32 exec_lo, exec_lo, s38
	s_and_saveexec_b32 s38, s9
	s_cbranch_execnz .LBB872_1562
.LBB872_1083:
	s_or_b32 exec_lo, exec_lo, s38
	s_and_saveexec_b32 s38, s12
	s_cbranch_execz .LBB872_1563
.LBB872_1084:
	v_mov_b32_e32 v114, 1
	v_lshlrev_b32_sdwa v115, v114, v97 dst_sel:DWORD dst_unused:UNUSED_PAD src0_sel:DWORD src1_sel:WORD_0
	v_lshlrev_b32_sdwa v116, v114, v98 dst_sel:DWORD dst_unused:UNUSED_PAD src0_sel:DWORD src1_sel:WORD_0
	v_add_co_u32 v114, s35, v6, v115
	v_add_co_ci_u32_e64 v115, null, 0, v7, s35
	v_add_co_u32 v116, s35, v6, v116
	v_add_co_ci_u32_e64 v117, null, 0, v7, s35
	s_clause 0x1
	flat_load_ushort v114, v[114:115]
	flat_load_ushort v115, v[116:117]
	s_waitcnt vmcnt(0) lgkmcnt(0)
	v_cmp_lt_u16_e64 s35, v114, v115
	v_cndmask_b32_e64 v114, v97, v98, s35
	v_cndmask_b32_e64 v98, v98, v97, s35
	v_mov_b32_e32 v97, v114
	s_or_b32 exec_lo, exec_lo, s38
	s_and_saveexec_b32 s38, s13
	s_cbranch_execnz .LBB872_1564
.LBB872_1085:
	s_or_b32 exec_lo, exec_lo, s38
	s_and_saveexec_b32 s38, s57
	s_cbranch_execz .LBB872_1565
.LBB872_1086:
	v_mov_b32_e32 v114, 1
	v_lshlrev_b32_sdwa v115, v114, v85 dst_sel:DWORD dst_unused:UNUSED_PAD src0_sel:DWORD src1_sel:WORD_0
	v_lshlrev_b32_sdwa v116, v114, v86 dst_sel:DWORD dst_unused:UNUSED_PAD src0_sel:DWORD src1_sel:WORD_0
	v_add_co_u32 v114, s35, v6, v115
	v_add_co_ci_u32_e64 v115, null, 0, v7, s35
	v_add_co_u32 v116, s35, v6, v116
	v_add_co_ci_u32_e64 v117, null, 0, v7, s35
	s_clause 0x1
	flat_load_ushort v114, v[114:115]
	flat_load_ushort v115, v[116:117]
	s_waitcnt vmcnt(0) lgkmcnt(0)
	v_cmp_lt_u16_e64 s35, v114, v115
	v_cndmask_b32_e64 v114, v85, v86, s35
	v_cndmask_b32_e64 v86, v86, v85, s35
	v_mov_b32_e32 v85, v114
	s_or_b32 exec_lo, exec_lo, s38
	s_and_saveexec_b32 s38, s58
	s_cbranch_execnz .LBB872_1566
.LBB872_1087:
	s_or_b32 exec_lo, exec_lo, s38
	s_and_saveexec_b32 s38, s59
	s_cbranch_execz .LBB872_1567
.LBB872_1088:
	v_mov_b32_e32 v114, 1
	v_lshlrev_b32_sdwa v115, v114, v81 dst_sel:DWORD dst_unused:UNUSED_PAD src0_sel:DWORD src1_sel:WORD_0
	v_lshlrev_b32_sdwa v116, v114, v82 dst_sel:DWORD dst_unused:UNUSED_PAD src0_sel:DWORD src1_sel:WORD_0
	v_add_co_u32 v114, s35, v6, v115
	v_add_co_ci_u32_e64 v115, null, 0, v7, s35
	v_add_co_u32 v116, s35, v6, v116
	v_add_co_ci_u32_e64 v117, null, 0, v7, s35
	s_clause 0x1
	flat_load_ushort v114, v[114:115]
	flat_load_ushort v115, v[116:117]
	s_waitcnt vmcnt(0) lgkmcnt(0)
	v_cmp_lt_u16_e64 s35, v114, v115
	v_cndmask_b32_e64 v114, v81, v82, s35
	v_cndmask_b32_e64 v82, v82, v81, s35
	v_mov_b32_e32 v81, v114
	s_or_b32 exec_lo, exec_lo, s38
	s_and_saveexec_b32 s38, s60
	s_cbranch_execnz .LBB872_1568
.LBB872_1089:
	s_or_b32 exec_lo, exec_lo, s38
	s_and_saveexec_b32 s38, s61
	s_cbranch_execz .LBB872_1569
.LBB872_1090:
	v_mov_b32_e32 v114, 1
	v_lshlrev_b32_sdwa v115, v114, v69 dst_sel:DWORD dst_unused:UNUSED_PAD src0_sel:DWORD src1_sel:WORD_0
	v_lshlrev_b32_sdwa v116, v114, v70 dst_sel:DWORD dst_unused:UNUSED_PAD src0_sel:DWORD src1_sel:WORD_0
	v_add_co_u32 v114, s35, v6, v115
	v_add_co_ci_u32_e64 v115, null, 0, v7, s35
	v_add_co_u32 v116, s35, v6, v116
	v_add_co_ci_u32_e64 v117, null, 0, v7, s35
	s_clause 0x1
	flat_load_ushort v114, v[114:115]
	flat_load_ushort v115, v[116:117]
	s_waitcnt vmcnt(0) lgkmcnt(0)
	v_cmp_lt_u16_e64 s35, v114, v115
	v_cndmask_b32_e64 v114, v69, v70, s35
	v_cndmask_b32_e64 v70, v70, v69, s35
	v_mov_b32_e32 v69, v114
	s_or_b32 exec_lo, exec_lo, s38
	s_and_saveexec_b32 s38, s62
	s_cbranch_execnz .LBB872_1570
.LBB872_1091:
	s_or_b32 exec_lo, exec_lo, s38
	s_and_saveexec_b32 s38, s63
	s_cbranch_execz .LBB872_1571
.LBB872_1092:
	v_mov_b32_e32 v114, 1
	v_lshlrev_b32_sdwa v115, v114, v65 dst_sel:DWORD dst_unused:UNUSED_PAD src0_sel:DWORD src1_sel:WORD_0
	v_lshlrev_b32_sdwa v116, v114, v66 dst_sel:DWORD dst_unused:UNUSED_PAD src0_sel:DWORD src1_sel:WORD_0
	v_add_co_u32 v114, s35, v6, v115
	v_add_co_ci_u32_e64 v115, null, 0, v7, s35
	v_add_co_u32 v116, s35, v6, v116
	v_add_co_ci_u32_e64 v117, null, 0, v7, s35
	s_clause 0x1
	flat_load_ushort v114, v[114:115]
	flat_load_ushort v115, v[116:117]
	s_waitcnt vmcnt(0) lgkmcnt(0)
	v_cmp_lt_u16_e64 s35, v114, v115
	v_cndmask_b32_e64 v114, v65, v66, s35
	v_cndmask_b32_e64 v66, v66, v65, s35
	v_mov_b32_e32 v65, v114
	s_or_b32 exec_lo, exec_lo, s38
	s_and_saveexec_b32 s38, s72
	s_cbranch_execnz .LBB872_1572
.LBB872_1093:
	s_or_b32 exec_lo, exec_lo, s38
	s_and_saveexec_b32 s38, s73
	s_cbranch_execz .LBB872_1573
.LBB872_1094:
	v_mov_b32_e32 v114, 1
	v_lshlrev_b32_sdwa v115, v114, v64 dst_sel:DWORD dst_unused:UNUSED_PAD src0_sel:DWORD src1_sel:WORD_0
	v_lshlrev_b32_sdwa v116, v114, v53 dst_sel:DWORD dst_unused:UNUSED_PAD src0_sel:DWORD src1_sel:WORD_0
	v_add_co_u32 v114, s35, v6, v115
	v_add_co_ci_u32_e64 v115, null, 0, v7, s35
	v_add_co_u32 v116, s35, v6, v116
	v_add_co_ci_u32_e64 v117, null, 0, v7, s35
	s_clause 0x1
	flat_load_ushort v114, v[114:115]
	flat_load_ushort v115, v[116:117]
	s_waitcnt vmcnt(0) lgkmcnt(0)
	v_cmp_lt_u16_e64 s35, v114, v115
	v_cndmask_b32_e64 v114, v64, v53, s35
	v_cndmask_b32_e64 v53, v53, v64, s35
	v_mov_b32_e32 v64, v114
	s_or_b32 exec_lo, exec_lo, s38
	s_and_saveexec_b32 s38, s74
	s_cbranch_execnz .LBB872_1574
.LBB872_1095:
	s_or_b32 exec_lo, exec_lo, s38
	s_and_saveexec_b32 s38, s75
	s_cbranch_execz .LBB872_1575
.LBB872_1096:
	v_mov_b32_e32 v114, 1
	v_lshlrev_b32_sdwa v115, v114, v49 dst_sel:DWORD dst_unused:UNUSED_PAD src0_sel:DWORD src1_sel:WORD_0
	v_lshlrev_b32_sdwa v116, v114, v50 dst_sel:DWORD dst_unused:UNUSED_PAD src0_sel:DWORD src1_sel:WORD_0
	v_add_co_u32 v114, s35, v6, v115
	v_add_co_ci_u32_e64 v115, null, 0, v7, s35
	v_add_co_u32 v116, s35, v6, v116
	v_add_co_ci_u32_e64 v117, null, 0, v7, s35
	s_clause 0x1
	flat_load_ushort v114, v[114:115]
	flat_load_ushort v115, v[116:117]
	s_waitcnt vmcnt(0) lgkmcnt(0)
	v_cmp_lt_u16_e64 s35, v114, v115
	v_cndmask_b32_e64 v114, v50, v49, s35
	v_cndmask_b32_e64 v49, v49, v50, s35
	v_mov_b32_e32 v50, v114
	s_or_b32 exec_lo, exec_lo, s38
	s_and_saveexec_b32 s38, s76
	s_cbranch_execnz .LBB872_1576
.LBB872_1097:
	s_or_b32 exec_lo, exec_lo, s38
	s_and_saveexec_b32 s38, s77
	s_cbranch_execz .LBB872_1577
.LBB872_1098:
	v_mov_b32_e32 v114, 1
	v_lshlrev_b32_sdwa v115, v114, v101 dst_sel:DWORD dst_unused:UNUSED_PAD src0_sel:DWORD src1_sel:WORD_0
	v_lshlrev_b32_sdwa v116, v114, v102 dst_sel:DWORD dst_unused:UNUSED_PAD src0_sel:DWORD src1_sel:WORD_0
	v_add_co_u32 v114, s35, v6, v115
	v_add_co_ci_u32_e64 v115, null, 0, v7, s35
	v_add_co_u32 v116, s35, v6, v116
	v_add_co_ci_u32_e64 v117, null, 0, v7, s35
	s_clause 0x1
	flat_load_ushort v114, v[114:115]
	flat_load_ushort v115, v[116:117]
	s_waitcnt vmcnt(0) lgkmcnt(0)
	v_cmp_lt_u16_e64 s35, v114, v115
	v_cndmask_b32_e64 v114, v101, v102, s35
	v_cndmask_b32_e64 v102, v102, v101, s35
	v_mov_b32_e32 v101, v114
	s_or_b32 exec_lo, exec_lo, s38
	s_and_saveexec_b32 s38, s78
	s_cbranch_execnz .LBB872_1578
.LBB872_1099:
	s_or_b32 exec_lo, exec_lo, s38
	s_and_saveexec_b32 s38, s79
	s_cbranch_execz .LBB872_1579
.LBB872_1100:
	v_mov_b32_e32 v114, 1
	v_lshlrev_b32_sdwa v115, v114, v96 dst_sel:DWORD dst_unused:UNUSED_PAD src0_sel:DWORD src1_sel:WORD_0
	v_lshlrev_b32_sdwa v116, v114, v97 dst_sel:DWORD dst_unused:UNUSED_PAD src0_sel:DWORD src1_sel:WORD_0
	v_add_co_u32 v114, s35, v6, v115
	v_add_co_ci_u32_e64 v115, null, 0, v7, s35
	v_add_co_u32 v116, s35, v6, v116
	v_add_co_ci_u32_e64 v117, null, 0, v7, s35
	s_clause 0x1
	flat_load_ushort v114, v[114:115]
	flat_load_ushort v115, v[116:117]
	s_waitcnt vmcnt(0) lgkmcnt(0)
	v_cmp_lt_u16_e64 s35, v114, v115
	v_cndmask_b32_e64 v114, v96, v97, s35
	v_cndmask_b32_e64 v97, v97, v96, s35
	v_mov_b32_e32 v96, v114
	s_or_b32 exec_lo, exec_lo, s38
	s_and_saveexec_b32 s38, s88
	s_cbranch_execnz .LBB872_1580
.LBB872_1101:
	s_or_b32 exec_lo, exec_lo, s38
	s_and_saveexec_b32 s38, s89
	s_cbranch_execz .LBB872_1581
.LBB872_1102:
	v_mov_b32_e32 v114, 1
	v_lshlrev_b32_sdwa v115, v114, v84 dst_sel:DWORD dst_unused:UNUSED_PAD src0_sel:DWORD src1_sel:WORD_0
	v_lshlrev_b32_sdwa v116, v114, v85 dst_sel:DWORD dst_unused:UNUSED_PAD src0_sel:DWORD src1_sel:WORD_0
	v_add_co_u32 v114, s35, v6, v115
	v_add_co_ci_u32_e64 v115, null, 0, v7, s35
	v_add_co_u32 v116, s35, v6, v116
	v_add_co_ci_u32_e64 v117, null, 0, v7, s35
	s_clause 0x1
	flat_load_ushort v114, v[114:115]
	flat_load_ushort v115, v[116:117]
	s_waitcnt vmcnt(0) lgkmcnt(0)
	v_cmp_lt_u16_e64 s35, v114, v115
	v_cndmask_b32_e64 v114, v84, v85, s35
	v_cndmask_b32_e64 v85, v85, v84, s35
	v_mov_b32_e32 v84, v114
	s_or_b32 exec_lo, exec_lo, s38
	s_and_saveexec_b32 s38, s90
	s_cbranch_execnz .LBB872_1582
.LBB872_1103:
	s_or_b32 exec_lo, exec_lo, s38
	s_and_saveexec_b32 s38, s91
	s_cbranch_execz .LBB872_1583
.LBB872_1104:
	v_mov_b32_e32 v114, 1
	v_lshlrev_b32_sdwa v115, v114, v80 dst_sel:DWORD dst_unused:UNUSED_PAD src0_sel:DWORD src1_sel:WORD_0
	v_lshlrev_b32_sdwa v116, v114, v81 dst_sel:DWORD dst_unused:UNUSED_PAD src0_sel:DWORD src1_sel:WORD_0
	v_add_co_u32 v114, s35, v6, v115
	v_add_co_ci_u32_e64 v115, null, 0, v7, s35
	v_add_co_u32 v116, s35, v6, v116
	v_add_co_ci_u32_e64 v117, null, 0, v7, s35
	s_clause 0x1
	flat_load_ushort v114, v[114:115]
	flat_load_ushort v115, v[116:117]
	s_waitcnt vmcnt(0) lgkmcnt(0)
	v_cmp_lt_u16_e64 s35, v114, v115
	v_cndmask_b32_e64 v114, v80, v81, s35
	v_cndmask_b32_e64 v81, v81, v80, s35
	v_mov_b32_e32 v80, v114
	s_or_b32 exec_lo, exec_lo, s38
	s_and_saveexec_b32 s38, s92
	s_cbranch_execnz .LBB872_1584
.LBB872_1105:
	s_or_b32 exec_lo, exec_lo, s38
	s_and_saveexec_b32 s38, s93
	s_cbranch_execz .LBB872_1585
.LBB872_1106:
	v_mov_b32_e32 v114, 1
	v_lshlrev_b32_sdwa v115, v114, v68 dst_sel:DWORD dst_unused:UNUSED_PAD src0_sel:DWORD src1_sel:WORD_0
	v_lshlrev_b32_sdwa v116, v114, v69 dst_sel:DWORD dst_unused:UNUSED_PAD src0_sel:DWORD src1_sel:WORD_0
	v_add_co_u32 v114, s35, v6, v115
	v_add_co_ci_u32_e64 v115, null, 0, v7, s35
	v_add_co_u32 v116, s35, v6, v116
	v_add_co_ci_u32_e64 v117, null, 0, v7, s35
	s_clause 0x1
	flat_load_ushort v114, v[114:115]
	flat_load_ushort v115, v[116:117]
	s_waitcnt vmcnt(0) lgkmcnt(0)
	v_cmp_lt_u16_e64 s35, v114, v115
	v_cndmask_b32_e64 v114, v68, v69, s35
	v_cndmask_b32_e64 v69, v69, v68, s35
	v_mov_b32_e32 v68, v114
	s_or_b32 exec_lo, exec_lo, s38
	s_and_saveexec_b32 s38, s94
	s_cbranch_execnz .LBB872_1586
.LBB872_1107:
	s_or_b32 exec_lo, exec_lo, s38
	s_and_saveexec_b32 s38, s95
	s_cbranch_execz .LBB872_1587
.LBB872_1108:
	v_mov_b32_e32 v114, 1
	v_lshlrev_b32_sdwa v115, v114, v55 dst_sel:DWORD dst_unused:UNUSED_PAD src0_sel:DWORD src1_sel:WORD_0
	v_lshlrev_b32_sdwa v116, v114, v65 dst_sel:DWORD dst_unused:UNUSED_PAD src0_sel:DWORD src1_sel:WORD_0
	v_add_co_u32 v114, s35, v6, v115
	v_add_co_ci_u32_e64 v115, null, 0, v7, s35
	v_add_co_u32 v116, s35, v6, v116
	v_add_co_ci_u32_e64 v117, null, 0, v7, s35
	s_clause 0x1
	flat_load_ushort v114, v[114:115]
	flat_load_ushort v115, v[116:117]
	s_waitcnt vmcnt(0) lgkmcnt(0)
	v_cmp_lt_u16_e64 s35, v114, v115
	v_cndmask_b32_e64 v114, v55, v65, s35
	v_cndmask_b32_e64 v65, v65, v55, s35
	v_mov_b32_e32 v55, v114
	s_or_b32 exec_lo, exec_lo, s38
	s_and_saveexec_b32 s38, vcc_hi
	s_cbranch_execnz .LBB872_1588
.LBB872_1109:
	s_or_b32 exec_lo, exec_lo, s38
	s_and_saveexec_b32 s38, s30
	s_cbranch_execz .LBB872_1589
.LBB872_1110:
	v_mov_b32_e32 v114, 1
	v_lshlrev_b32_sdwa v115, v114, v52 dst_sel:DWORD dst_unused:UNUSED_PAD src0_sel:DWORD src1_sel:WORD_0
	v_lshlrev_b32_sdwa v116, v114, v64 dst_sel:DWORD dst_unused:UNUSED_PAD src0_sel:DWORD src1_sel:WORD_0
	v_add_co_u32 v114, s35, v6, v115
	v_add_co_ci_u32_e64 v115, null, 0, v7, s35
	v_add_co_u32 v116, s35, v6, v116
	v_add_co_ci_u32_e64 v117, null, 0, v7, s35
	s_clause 0x1
	flat_load_ushort v114, v[114:115]
	flat_load_ushort v115, v[116:117]
	s_waitcnt vmcnt(0) lgkmcnt(0)
	v_cmp_lt_u16_e64 s35, v114, v115
	v_cndmask_b32_e64 v114, v64, v52, s35
	v_cndmask_b32_e64 v52, v52, v64, s35
	v_mov_b32_e32 v64, v114
	s_or_b32 exec_lo, exec_lo, s38
	s_and_saveexec_b32 s38, s31
	s_cbranch_execnz .LBB872_1590
.LBB872_1111:
	s_or_b32 exec_lo, exec_lo, s38
	s_and_saveexec_b32 s38, s34
	s_cbranch_execz .LBB872_1591
.LBB872_1112:
	v_mov_b32_e32 v114, 1
	v_lshlrev_b32_sdwa v115, v114, v103 dst_sel:DWORD dst_unused:UNUSED_PAD src0_sel:DWORD src1_sel:WORD_0
	v_lshlrev_b32_sdwa v116, v114, v49 dst_sel:DWORD dst_unused:UNUSED_PAD src0_sel:DWORD src1_sel:WORD_0
	v_add_co_u32 v114, s35, v6, v115
	v_add_co_ci_u32_e64 v115, null, 0, v7, s35
	v_add_co_u32 v116, s35, v6, v116
	v_add_co_ci_u32_e64 v117, null, 0, v7, s35
	s_clause 0x1
	flat_load_ushort v114, v[114:115]
	flat_load_ushort v115, v[116:117]
	s_waitcnt vmcnt(0) lgkmcnt(0)
	v_cmp_lt_u16_e64 s35, v114, v115
	v_cndmask_b32_e64 v114, v49, v103, s35
	v_cndmask_b32_e64 v103, v103, v49, s35
	v_mov_b32_e32 v49, v114
	s_or_b32 exec_lo, exec_lo, s38
	s_and_saveexec_b32 s38, s8
	s_cbranch_execnz .LBB872_1592
.LBB872_1113:
	s_or_b32 exec_lo, exec_lo, s38
	s_and_saveexec_b32 s38, s9
	s_cbranch_execz .LBB872_1593
.LBB872_1114:
	v_mov_b32_e32 v114, 1
	v_lshlrev_b32_sdwa v115, v114, v100 dst_sel:DWORD dst_unused:UNUSED_PAD src0_sel:DWORD src1_sel:WORD_0
	v_lshlrev_b32_sdwa v116, v114, v101 dst_sel:DWORD dst_unused:UNUSED_PAD src0_sel:DWORD src1_sel:WORD_0
	v_add_co_u32 v114, s35, v6, v115
	v_add_co_ci_u32_e64 v115, null, 0, v7, s35
	v_add_co_u32 v116, s35, v6, v116
	v_add_co_ci_u32_e64 v117, null, 0, v7, s35
	s_clause 0x1
	flat_load_ushort v114, v[114:115]
	flat_load_ushort v115, v[116:117]
	s_waitcnt vmcnt(0) lgkmcnt(0)
	v_cmp_lt_u16_e64 s35, v114, v115
	v_cndmask_b32_e64 v114, v100, v101, s35
	v_cndmask_b32_e64 v101, v101, v100, s35
	v_mov_b32_e32 v100, v114
	s_or_b32 exec_lo, exec_lo, s38
	s_and_saveexec_b32 s38, s12
	s_cbranch_execnz .LBB872_1594
.LBB872_1115:
	s_or_b32 exec_lo, exec_lo, s38
	s_and_saveexec_b32 s38, s13
	s_cbranch_execz .LBB872_1595
.LBB872_1116:
	v_mov_b32_e32 v114, 1
	v_lshlrev_b32_sdwa v115, v114, v87 dst_sel:DWORD dst_unused:UNUSED_PAD src0_sel:DWORD src1_sel:WORD_0
	v_lshlrev_b32_sdwa v116, v114, v96 dst_sel:DWORD dst_unused:UNUSED_PAD src0_sel:DWORD src1_sel:WORD_0
	v_add_co_u32 v114, s35, v6, v115
	v_add_co_ci_u32_e64 v115, null, 0, v7, s35
	v_add_co_u32 v116, s35, v6, v116
	v_add_co_ci_u32_e64 v117, null, 0, v7, s35
	s_clause 0x1
	flat_load_ushort v114, v[114:115]
	flat_load_ushort v115, v[116:117]
	s_waitcnt vmcnt(0) lgkmcnt(0)
	v_cmp_lt_u16_e64 s35, v114, v115
	v_cndmask_b32_e64 v114, v87, v96, s35
	v_cndmask_b32_e64 v96, v96, v87, s35
	v_mov_b32_e32 v87, v114
	s_or_b32 exec_lo, exec_lo, s38
	s_and_saveexec_b32 s38, s57
	s_cbranch_execnz .LBB872_1596
.LBB872_1117:
	s_or_b32 exec_lo, exec_lo, s38
	s_and_saveexec_b32 s38, s58
	s_cbranch_execz .LBB872_1597
.LBB872_1118:
	v_mov_b32_e32 v114, 1
	v_lshlrev_b32_sdwa v115, v114, v83 dst_sel:DWORD dst_unused:UNUSED_PAD src0_sel:DWORD src1_sel:WORD_0
	v_lshlrev_b32_sdwa v116, v114, v84 dst_sel:DWORD dst_unused:UNUSED_PAD src0_sel:DWORD src1_sel:WORD_0
	v_add_co_u32 v114, s35, v6, v115
	v_add_co_ci_u32_e64 v115, null, 0, v7, s35
	v_add_co_u32 v116, s35, v6, v116
	v_add_co_ci_u32_e64 v117, null, 0, v7, s35
	s_clause 0x1
	flat_load_ushort v114, v[114:115]
	flat_load_ushort v115, v[116:117]
	s_waitcnt vmcnt(0) lgkmcnt(0)
	v_cmp_lt_u16_e64 s35, v114, v115
	v_cndmask_b32_e64 v114, v83, v84, s35
	v_cndmask_b32_e64 v84, v84, v83, s35
	v_mov_b32_e32 v83, v114
	s_or_b32 exec_lo, exec_lo, s38
	s_and_saveexec_b32 s38, s59
	s_cbranch_execnz .LBB872_1598
.LBB872_1119:
	s_or_b32 exec_lo, exec_lo, s38
	s_and_saveexec_b32 s38, s60
	s_cbranch_execz .LBB872_1599
.LBB872_1120:
	v_mov_b32_e32 v114, 1
	v_lshlrev_b32_sdwa v115, v114, v71 dst_sel:DWORD dst_unused:UNUSED_PAD src0_sel:DWORD src1_sel:WORD_0
	v_lshlrev_b32_sdwa v116, v114, v80 dst_sel:DWORD dst_unused:UNUSED_PAD src0_sel:DWORD src1_sel:WORD_0
	v_add_co_u32 v114, s35, v6, v115
	v_add_co_ci_u32_e64 v115, null, 0, v7, s35
	v_add_co_u32 v116, s35, v6, v116
	v_add_co_ci_u32_e64 v117, null, 0, v7, s35
	s_clause 0x1
	flat_load_ushort v114, v[114:115]
	flat_load_ushort v115, v[116:117]
	s_waitcnt vmcnt(0) lgkmcnt(0)
	v_cmp_lt_u16_e64 s35, v114, v115
	v_cndmask_b32_e64 v114, v71, v80, s35
	v_cndmask_b32_e64 v80, v80, v71, s35
	v_mov_b32_e32 v71, v114
	s_or_b32 exec_lo, exec_lo, s38
	s_and_saveexec_b32 s38, s61
	s_cbranch_execnz .LBB872_1600
.LBB872_1121:
	s_or_b32 exec_lo, exec_lo, s38
	s_and_saveexec_b32 s38, s62
	s_cbranch_execz .LBB872_1601
.LBB872_1122:
	v_mov_b32_e32 v114, 1
	v_lshlrev_b32_sdwa v115, v114, v67 dst_sel:DWORD dst_unused:UNUSED_PAD src0_sel:DWORD src1_sel:WORD_0
	v_lshlrev_b32_sdwa v116, v114, v68 dst_sel:DWORD dst_unused:UNUSED_PAD src0_sel:DWORD src1_sel:WORD_0
	v_add_co_u32 v114, s35, v6, v115
	v_add_co_ci_u32_e64 v115, null, 0, v7, s35
	v_add_co_u32 v116, s35, v6, v116
	v_add_co_ci_u32_e64 v117, null, 0, v7, s35
	s_clause 0x1
	flat_load_ushort v114, v[114:115]
	flat_load_ushort v115, v[116:117]
	s_waitcnt vmcnt(0) lgkmcnt(0)
	v_cmp_lt_u16_e64 s35, v114, v115
	v_cndmask_b32_e64 v114, v67, v68, s35
	v_cndmask_b32_e64 v68, v68, v67, s35
	v_mov_b32_e32 v67, v114
	s_or_b32 exec_lo, exec_lo, s38
	s_and_saveexec_b32 s38, s63
	s_cbranch_execnz .LBB872_1602
.LBB872_1123:
	s_or_b32 exec_lo, exec_lo, s38
	s_and_saveexec_b32 s38, s72
	s_cbranch_execz .LBB872_1603
.LBB872_1124:
	v_mov_b32_e32 v114, 1
	v_lshlrev_b32_sdwa v115, v114, v54 dst_sel:DWORD dst_unused:UNUSED_PAD src0_sel:DWORD src1_sel:WORD_0
	v_lshlrev_b32_sdwa v116, v114, v55 dst_sel:DWORD dst_unused:UNUSED_PAD src0_sel:DWORD src1_sel:WORD_0
	v_add_co_u32 v114, s35, v6, v115
	v_add_co_ci_u32_e64 v115, null, 0, v7, s35
	v_add_co_u32 v116, s35, v6, v116
	v_add_co_ci_u32_e64 v117, null, 0, v7, s35
	s_clause 0x1
	flat_load_ushort v114, v[114:115]
	flat_load_ushort v115, v[116:117]
	s_waitcnt vmcnt(0) lgkmcnt(0)
	v_cmp_lt_u16_e64 s35, v114, v115
	v_cndmask_b32_e64 v114, v54, v55, s35
	v_cndmask_b32_e64 v55, v55, v54, s35
	v_mov_b32_e32 v54, v114
	s_or_b32 exec_lo, exec_lo, s38
	s_and_saveexec_b32 s38, s73
	s_cbranch_execnz .LBB872_1604
.LBB872_1125:
	s_or_b32 exec_lo, exec_lo, s38
	s_and_saveexec_b32 s38, s74
	s_cbranch_execz .LBB872_1605
.LBB872_1126:
	v_mov_b32_e32 v114, 1
	v_lshlrev_b32_sdwa v115, v114, v51 dst_sel:DWORD dst_unused:UNUSED_PAD src0_sel:DWORD src1_sel:WORD_0
	v_lshlrev_b32_sdwa v116, v114, v52 dst_sel:DWORD dst_unused:UNUSED_PAD src0_sel:DWORD src1_sel:WORD_0
	v_add_co_u32 v114, s35, v6, v115
	v_add_co_ci_u32_e64 v115, null, 0, v7, s35
	v_add_co_u32 v116, s35, v6, v116
	v_add_co_ci_u32_e64 v117, null, 0, v7, s35
	s_clause 0x1
	flat_load_ushort v114, v[114:115]
	flat_load_ushort v115, v[116:117]
	s_waitcnt vmcnt(0) lgkmcnt(0)
	v_cmp_lt_u16_e64 s35, v114, v115
	v_cndmask_b32_e64 v114, v52, v51, s35
	v_cndmask_b32_e64 v51, v51, v52, s35
	v_mov_b32_e32 v52, v114
	s_or_b32 exec_lo, exec_lo, s38
	s_and_saveexec_b32 s38, s75
	s_cbranch_execnz .LBB872_1606
.LBB872_1127:
	s_or_b32 exec_lo, exec_lo, s38
	s_and_saveexec_b32 s38, s76
	s_cbranch_execz .LBB872_1607
.LBB872_1128:
	v_mov_b32_e32 v114, 1
	v_lshlrev_b32_sdwa v115, v114, v48 dst_sel:DWORD dst_unused:UNUSED_PAD src0_sel:DWORD src1_sel:WORD_0
	v_lshlrev_b32_sdwa v116, v114, v103 dst_sel:DWORD dst_unused:UNUSED_PAD src0_sel:DWORD src1_sel:WORD_0
	v_add_co_u32 v114, s35, v6, v115
	v_add_co_ci_u32_e64 v115, null, 0, v7, s35
	v_add_co_u32 v116, s35, v6, v116
	v_add_co_ci_u32_e64 v117, null, 0, v7, s35
	s_clause 0x1
	flat_load_ushort v114, v[114:115]
	flat_load_ushort v115, v[116:117]
	s_waitcnt vmcnt(0) lgkmcnt(0)
	v_cmp_lt_u16_e64 s35, v114, v115
	v_cndmask_b32_e64 v114, v103, v48, s35
	v_cndmask_b32_e64 v48, v48, v103, s35
	v_mov_b32_e32 v103, v114
	s_or_b32 exec_lo, exec_lo, s38
	s_and_saveexec_b32 s38, s77
	s_cbranch_execnz .LBB872_1608
.LBB872_1129:
	s_or_b32 exec_lo, exec_lo, s38
	s_and_saveexec_b32 s38, s78
	s_cbranch_execz .LBB872_1609
.LBB872_1130:
	v_mov_b32_e32 v114, 1
	v_lshlrev_b32_sdwa v115, v114, v98 dst_sel:DWORD dst_unused:UNUSED_PAD src0_sel:DWORD src1_sel:WORD_0
	v_lshlrev_b32_sdwa v116, v114, v100 dst_sel:DWORD dst_unused:UNUSED_PAD src0_sel:DWORD src1_sel:WORD_0
	v_add_co_u32 v114, s35, v6, v115
	v_add_co_ci_u32_e64 v115, null, 0, v7, s35
	v_add_co_u32 v116, s35, v6, v116
	v_add_co_ci_u32_e64 v117, null, 0, v7, s35
	s_clause 0x1
	flat_load_ushort v114, v[114:115]
	flat_load_ushort v115, v[116:117]
	s_waitcnt vmcnt(0) lgkmcnt(0)
	v_cmp_lt_u16_e64 s35, v114, v115
	v_cndmask_b32_e64 v114, v98, v100, s35
	v_cndmask_b32_e64 v100, v100, v98, s35
	v_mov_b32_e32 v98, v114
	s_or_b32 exec_lo, exec_lo, s38
	s_and_saveexec_b32 s38, s79
	s_cbranch_execnz .LBB872_1610
.LBB872_1131:
	s_or_b32 exec_lo, exec_lo, s38
	s_and_saveexec_b32 s38, s88
	s_cbranch_execz .LBB872_1611
.LBB872_1132:
	v_mov_b32_e32 v114, 1
	v_lshlrev_b32_sdwa v115, v114, v86 dst_sel:DWORD dst_unused:UNUSED_PAD src0_sel:DWORD src1_sel:WORD_0
	v_lshlrev_b32_sdwa v116, v114, v87 dst_sel:DWORD dst_unused:UNUSED_PAD src0_sel:DWORD src1_sel:WORD_0
	v_add_co_u32 v114, s35, v6, v115
	v_add_co_ci_u32_e64 v115, null, 0, v7, s35
	v_add_co_u32 v116, s35, v6, v116
	v_add_co_ci_u32_e64 v117, null, 0, v7, s35
	s_clause 0x1
	flat_load_ushort v114, v[114:115]
	flat_load_ushort v115, v[116:117]
	s_waitcnt vmcnt(0) lgkmcnt(0)
	v_cmp_lt_u16_e64 s35, v114, v115
	v_cndmask_b32_e64 v114, v86, v87, s35
	v_cndmask_b32_e64 v87, v87, v86, s35
	v_mov_b32_e32 v86, v114
	s_or_b32 exec_lo, exec_lo, s38
	s_and_saveexec_b32 s38, s89
	s_cbranch_execnz .LBB872_1612
.LBB872_1133:
	s_or_b32 exec_lo, exec_lo, s38
	s_and_saveexec_b32 s38, s90
	s_cbranch_execz .LBB872_1613
.LBB872_1134:
	v_mov_b32_e32 v114, 1
	v_lshlrev_b32_sdwa v115, v114, v82 dst_sel:DWORD dst_unused:UNUSED_PAD src0_sel:DWORD src1_sel:WORD_0
	v_lshlrev_b32_sdwa v116, v114, v83 dst_sel:DWORD dst_unused:UNUSED_PAD src0_sel:DWORD src1_sel:WORD_0
	v_add_co_u32 v114, s35, v6, v115
	v_add_co_ci_u32_e64 v115, null, 0, v7, s35
	v_add_co_u32 v116, s35, v6, v116
	v_add_co_ci_u32_e64 v117, null, 0, v7, s35
	s_clause 0x1
	flat_load_ushort v114, v[114:115]
	flat_load_ushort v115, v[116:117]
	s_waitcnt vmcnt(0) lgkmcnt(0)
	v_cmp_lt_u16_e64 s35, v114, v115
	v_cndmask_b32_e64 v114, v82, v83, s35
	v_cndmask_b32_e64 v83, v83, v82, s35
	v_mov_b32_e32 v82, v114
	s_or_b32 exec_lo, exec_lo, s38
	s_and_saveexec_b32 s38, s91
	s_cbranch_execnz .LBB872_1614
.LBB872_1135:
	s_or_b32 exec_lo, exec_lo, s38
	s_and_saveexec_b32 s38, s92
	s_cbranch_execz .LBB872_1615
.LBB872_1136:
	v_mov_b32_e32 v114, 1
	v_lshlrev_b32_sdwa v115, v114, v70 dst_sel:DWORD dst_unused:UNUSED_PAD src0_sel:DWORD src1_sel:WORD_0
	v_lshlrev_b32_sdwa v116, v114, v71 dst_sel:DWORD dst_unused:UNUSED_PAD src0_sel:DWORD src1_sel:WORD_0
	v_add_co_u32 v114, s35, v6, v115
	v_add_co_ci_u32_e64 v115, null, 0, v7, s35
	v_add_co_u32 v116, s35, v6, v116
	v_add_co_ci_u32_e64 v117, null, 0, v7, s35
	s_clause 0x1
	flat_load_ushort v114, v[114:115]
	flat_load_ushort v115, v[116:117]
	s_waitcnt vmcnt(0) lgkmcnt(0)
	v_cmp_lt_u16_e64 s35, v114, v115
	v_cndmask_b32_e64 v114, v70, v71, s35
	v_cndmask_b32_e64 v71, v71, v70, s35
	v_mov_b32_e32 v70, v114
	s_or_b32 exec_lo, exec_lo, s38
	s_and_saveexec_b32 s38, s93
	s_cbranch_execnz .LBB872_1616
.LBB872_1137:
	s_or_b32 exec_lo, exec_lo, s38
	s_and_saveexec_b32 s38, s94
	s_cbranch_execz .LBB872_1617
.LBB872_1138:
	v_mov_b32_e32 v114, 1
	v_lshlrev_b32_sdwa v115, v114, v66 dst_sel:DWORD dst_unused:UNUSED_PAD src0_sel:DWORD src1_sel:WORD_0
	v_lshlrev_b32_sdwa v116, v114, v67 dst_sel:DWORD dst_unused:UNUSED_PAD src0_sel:DWORD src1_sel:WORD_0
	v_add_co_u32 v114, s35, v6, v115
	v_add_co_ci_u32_e64 v115, null, 0, v7, s35
	v_add_co_u32 v116, s35, v6, v116
	v_add_co_ci_u32_e64 v117, null, 0, v7, s35
	s_clause 0x1
	flat_load_ushort v114, v[114:115]
	flat_load_ushort v115, v[116:117]
	s_waitcnt vmcnt(0) lgkmcnt(0)
	v_cmp_lt_u16_e64 s35, v114, v115
	v_cndmask_b32_e64 v114, v66, v67, s35
	v_cndmask_b32_e64 v67, v67, v66, s35
	v_mov_b32_e32 v66, v114
	s_or_b32 exec_lo, exec_lo, s38
	s_and_saveexec_b32 s38, s95
	s_cbranch_execnz .LBB872_1618
.LBB872_1139:
	s_or_b32 exec_lo, exec_lo, s38
	s_and_saveexec_b32 s38, vcc_hi
	s_cbranch_execz .LBB872_1619
.LBB872_1140:
	v_mov_b32_e32 v114, 1
	v_lshlrev_b32_sdwa v115, v114, v53 dst_sel:DWORD dst_unused:UNUSED_PAD src0_sel:DWORD src1_sel:WORD_0
	v_lshlrev_b32_sdwa v116, v114, v54 dst_sel:DWORD dst_unused:UNUSED_PAD src0_sel:DWORD src1_sel:WORD_0
	v_add_co_u32 v114, s35, v6, v115
	v_add_co_ci_u32_e64 v115, null, 0, v7, s35
	v_add_co_u32 v116, s35, v6, v116
	v_add_co_ci_u32_e64 v117, null, 0, v7, s35
	s_clause 0x1
	flat_load_ushort v114, v[114:115]
	flat_load_ushort v115, v[116:117]
	s_waitcnt vmcnt(0) lgkmcnt(0)
	v_cmp_lt_u16_e64 s35, v114, v115
	v_cndmask_b32_e64 v114, v53, v54, s35
	v_cndmask_b32_e64 v54, v54, v53, s35
	v_mov_b32_e32 v53, v114
	s_or_b32 exec_lo, exec_lo, s38
	s_and_saveexec_b32 s38, s30
	s_cbranch_execnz .LBB872_1620
.LBB872_1141:
	s_or_b32 exec_lo, exec_lo, s38
	s_and_saveexec_b32 s38, s31
	s_cbranch_execz .LBB872_1621
.LBB872_1142:
	v_mov_b32_e32 v114, 1
	v_lshlrev_b32_sdwa v115, v114, v50 dst_sel:DWORD dst_unused:UNUSED_PAD src0_sel:DWORD src1_sel:WORD_0
	v_lshlrev_b32_sdwa v116, v114, v51 dst_sel:DWORD dst_unused:UNUSED_PAD src0_sel:DWORD src1_sel:WORD_0
	v_add_co_u32 v114, s35, v6, v115
	v_add_co_ci_u32_e64 v115, null, 0, v7, s35
	v_add_co_u32 v116, s35, v6, v116
	v_add_co_ci_u32_e64 v117, null, 0, v7, s35
	s_clause 0x1
	flat_load_ushort v114, v[114:115]
	flat_load_ushort v115, v[116:117]
	s_waitcnt vmcnt(0) lgkmcnt(0)
	v_cmp_lt_u16_e64 s35, v114, v115
	v_cndmask_b32_e64 v114, v51, v50, s35
	v_cndmask_b32_e64 v50, v50, v51, s35
	v_mov_b32_e32 v51, v114
	s_or_b32 exec_lo, exec_lo, s38
	s_and_saveexec_b32 s38, s34
	s_cbranch_execnz .LBB872_1622
.LBB872_1143:
	s_or_b32 exec_lo, exec_lo, s38
	s_and_saveexec_b32 s38, s8
	s_cbranch_execz .LBB872_1623
.LBB872_1144:
	v_mov_b32_e32 v114, 1
	v_lshlrev_b32_sdwa v115, v114, v102 dst_sel:DWORD dst_unused:UNUSED_PAD src0_sel:DWORD src1_sel:WORD_0
	v_lshlrev_b32_sdwa v116, v114, v99 dst_sel:DWORD dst_unused:UNUSED_PAD src0_sel:DWORD src1_sel:WORD_0
	v_add_co_u32 v114, s35, v6, v115
	v_add_co_ci_u32_e64 v115, null, 0, v7, s35
	v_add_co_u32 v116, s35, v6, v116
	v_add_co_ci_u32_e64 v117, null, 0, v7, s35
	s_clause 0x1
	flat_load_ushort v114, v[114:115]
	flat_load_ushort v115, v[116:117]
	s_waitcnt vmcnt(0) lgkmcnt(0)
	v_cmp_lt_u16_e64 s35, v114, v115
	v_cndmask_b32_e64 v114, v102, v99, s35
	v_cndmask_b32_e64 v99, v99, v102, s35
	v_mov_b32_e32 v102, v114
	s_or_b32 exec_lo, exec_lo, s38
	s_and_saveexec_b32 s38, s9
	s_cbranch_execnz .LBB872_1624
.LBB872_1145:
	s_or_b32 exec_lo, exec_lo, s38
	s_and_saveexec_b32 s38, s12
	s_cbranch_execz .LBB872_1625
.LBB872_1146:
	v_mov_b32_e32 v114, 1
	v_lshlrev_b32_sdwa v115, v114, v97 dst_sel:DWORD dst_unused:UNUSED_PAD src0_sel:DWORD src1_sel:WORD_0
	v_lshlrev_b32_sdwa v116, v114, v98 dst_sel:DWORD dst_unused:UNUSED_PAD src0_sel:DWORD src1_sel:WORD_0
	v_add_co_u32 v114, s35, v6, v115
	v_add_co_ci_u32_e64 v115, null, 0, v7, s35
	v_add_co_u32 v116, s35, v6, v116
	v_add_co_ci_u32_e64 v117, null, 0, v7, s35
	s_clause 0x1
	flat_load_ushort v114, v[114:115]
	flat_load_ushort v115, v[116:117]
	s_waitcnt vmcnt(0) lgkmcnt(0)
	v_cmp_lt_u16_e64 s35, v114, v115
	v_cndmask_b32_e64 v114, v97, v98, s35
	v_cndmask_b32_e64 v98, v98, v97, s35
	v_mov_b32_e32 v97, v114
	s_or_b32 exec_lo, exec_lo, s38
	s_and_saveexec_b32 s38, s13
	s_cbranch_execnz .LBB872_1626
.LBB872_1147:
	s_or_b32 exec_lo, exec_lo, s38
	s_and_saveexec_b32 s38, s57
	s_cbranch_execz .LBB872_1627
.LBB872_1148:
	v_mov_b32_e32 v114, 1
	v_lshlrev_b32_sdwa v115, v114, v85 dst_sel:DWORD dst_unused:UNUSED_PAD src0_sel:DWORD src1_sel:WORD_0
	v_lshlrev_b32_sdwa v116, v114, v86 dst_sel:DWORD dst_unused:UNUSED_PAD src0_sel:DWORD src1_sel:WORD_0
	v_add_co_u32 v114, s35, v6, v115
	v_add_co_ci_u32_e64 v115, null, 0, v7, s35
	v_add_co_u32 v116, s35, v6, v116
	v_add_co_ci_u32_e64 v117, null, 0, v7, s35
	s_clause 0x1
	flat_load_ushort v114, v[114:115]
	flat_load_ushort v115, v[116:117]
	s_waitcnt vmcnt(0) lgkmcnt(0)
	v_cmp_lt_u16_e64 s35, v114, v115
	v_cndmask_b32_e64 v114, v85, v86, s35
	v_cndmask_b32_e64 v86, v86, v85, s35
	v_mov_b32_e32 v85, v114
	s_or_b32 exec_lo, exec_lo, s38
	s_and_saveexec_b32 s38, s58
	s_cbranch_execnz .LBB872_1628
.LBB872_1149:
	s_or_b32 exec_lo, exec_lo, s38
	s_and_saveexec_b32 s38, s59
	s_cbranch_execz .LBB872_1629
.LBB872_1150:
	v_mov_b32_e32 v114, 1
	v_lshlrev_b32_sdwa v115, v114, v81 dst_sel:DWORD dst_unused:UNUSED_PAD src0_sel:DWORD src1_sel:WORD_0
	v_lshlrev_b32_sdwa v116, v114, v82 dst_sel:DWORD dst_unused:UNUSED_PAD src0_sel:DWORD src1_sel:WORD_0
	v_add_co_u32 v114, s35, v6, v115
	v_add_co_ci_u32_e64 v115, null, 0, v7, s35
	v_add_co_u32 v116, s35, v6, v116
	v_add_co_ci_u32_e64 v117, null, 0, v7, s35
	s_clause 0x1
	flat_load_ushort v114, v[114:115]
	flat_load_ushort v115, v[116:117]
	s_waitcnt vmcnt(0) lgkmcnt(0)
	v_cmp_lt_u16_e64 s35, v114, v115
	v_cndmask_b32_e64 v114, v81, v82, s35
	v_cndmask_b32_e64 v82, v82, v81, s35
	v_mov_b32_e32 v81, v114
	s_or_b32 exec_lo, exec_lo, s38
	s_and_saveexec_b32 s38, s60
	s_cbranch_execnz .LBB872_1630
.LBB872_1151:
	s_or_b32 exec_lo, exec_lo, s38
	s_and_saveexec_b32 s38, s61
	s_cbranch_execz .LBB872_1631
.LBB872_1152:
	v_mov_b32_e32 v114, 1
	v_lshlrev_b32_sdwa v115, v114, v69 dst_sel:DWORD dst_unused:UNUSED_PAD src0_sel:DWORD src1_sel:WORD_0
	v_lshlrev_b32_sdwa v116, v114, v70 dst_sel:DWORD dst_unused:UNUSED_PAD src0_sel:DWORD src1_sel:WORD_0
	v_add_co_u32 v114, s35, v6, v115
	v_add_co_ci_u32_e64 v115, null, 0, v7, s35
	v_add_co_u32 v116, s35, v6, v116
	v_add_co_ci_u32_e64 v117, null, 0, v7, s35
	s_clause 0x1
	flat_load_ushort v114, v[114:115]
	flat_load_ushort v115, v[116:117]
	s_waitcnt vmcnt(0) lgkmcnt(0)
	v_cmp_lt_u16_e64 s35, v114, v115
	v_cndmask_b32_e64 v114, v69, v70, s35
	v_cndmask_b32_e64 v70, v70, v69, s35
	v_mov_b32_e32 v69, v114
	s_or_b32 exec_lo, exec_lo, s38
	s_and_saveexec_b32 s38, s62
	s_cbranch_execnz .LBB872_1632
.LBB872_1153:
	s_or_b32 exec_lo, exec_lo, s38
	s_and_saveexec_b32 s38, s63
	s_cbranch_execz .LBB872_1633
.LBB872_1154:
	v_mov_b32_e32 v114, 1
	v_lshlrev_b32_sdwa v115, v114, v65 dst_sel:DWORD dst_unused:UNUSED_PAD src0_sel:DWORD src1_sel:WORD_0
	v_lshlrev_b32_sdwa v116, v114, v66 dst_sel:DWORD dst_unused:UNUSED_PAD src0_sel:DWORD src1_sel:WORD_0
	v_add_co_u32 v114, s35, v6, v115
	v_add_co_ci_u32_e64 v115, null, 0, v7, s35
	v_add_co_u32 v116, s35, v6, v116
	v_add_co_ci_u32_e64 v117, null, 0, v7, s35
	s_clause 0x1
	flat_load_ushort v114, v[114:115]
	flat_load_ushort v115, v[116:117]
	s_waitcnt vmcnt(0) lgkmcnt(0)
	v_cmp_lt_u16_e64 s35, v114, v115
	v_cndmask_b32_e64 v114, v65, v66, s35
	v_cndmask_b32_e64 v66, v66, v65, s35
	v_mov_b32_e32 v65, v114
	s_or_b32 exec_lo, exec_lo, s38
	s_and_saveexec_b32 s38, s72
	s_cbranch_execnz .LBB872_1634
.LBB872_1155:
	s_or_b32 exec_lo, exec_lo, s38
	s_and_saveexec_b32 s38, s73
	s_cbranch_execz .LBB872_1635
.LBB872_1156:
	v_mov_b32_e32 v114, 1
	v_lshlrev_b32_sdwa v115, v114, v64 dst_sel:DWORD dst_unused:UNUSED_PAD src0_sel:DWORD src1_sel:WORD_0
	v_lshlrev_b32_sdwa v116, v114, v53 dst_sel:DWORD dst_unused:UNUSED_PAD src0_sel:DWORD src1_sel:WORD_0
	v_add_co_u32 v114, s35, v6, v115
	v_add_co_ci_u32_e64 v115, null, 0, v7, s35
	v_add_co_u32 v116, s35, v6, v116
	v_add_co_ci_u32_e64 v117, null, 0, v7, s35
	s_clause 0x1
	flat_load_ushort v114, v[114:115]
	flat_load_ushort v115, v[116:117]
	s_waitcnt vmcnt(0) lgkmcnt(0)
	v_cmp_lt_u16_e64 s35, v114, v115
	v_cndmask_b32_e64 v114, v64, v53, s35
	v_cndmask_b32_e64 v53, v53, v64, s35
	v_mov_b32_e32 v64, v114
	s_or_b32 exec_lo, exec_lo, s38
	s_and_saveexec_b32 s38, s74
	s_cbranch_execnz .LBB872_1636
.LBB872_1157:
	s_or_b32 exec_lo, exec_lo, s38
	s_and_saveexec_b32 s38, s75
	s_cbranch_execz .LBB872_1637
.LBB872_1158:
	v_mov_b32_e32 v114, 1
	v_lshlrev_b32_sdwa v115, v114, v49 dst_sel:DWORD dst_unused:UNUSED_PAD src0_sel:DWORD src1_sel:WORD_0
	v_lshlrev_b32_sdwa v116, v114, v50 dst_sel:DWORD dst_unused:UNUSED_PAD src0_sel:DWORD src1_sel:WORD_0
	v_add_co_u32 v114, s35, v6, v115
	v_add_co_ci_u32_e64 v115, null, 0, v7, s35
	v_add_co_u32 v116, s35, v6, v116
	v_add_co_ci_u32_e64 v117, null, 0, v7, s35
	s_clause 0x1
	flat_load_ushort v114, v[114:115]
	flat_load_ushort v115, v[116:117]
	s_waitcnt vmcnt(0) lgkmcnt(0)
	v_cmp_lt_u16_e64 s35, v114, v115
	v_cndmask_b32_e64 v114, v50, v49, s35
	v_cndmask_b32_e64 v49, v49, v50, s35
	v_mov_b32_e32 v50, v114
	s_or_b32 exec_lo, exec_lo, s38
	s_and_saveexec_b32 s38, s76
	s_cbranch_execnz .LBB872_1638
.LBB872_1159:
	s_or_b32 exec_lo, exec_lo, s38
	s_and_saveexec_b32 s38, s77
	s_cbranch_execz .LBB872_1639
.LBB872_1160:
	v_mov_b32_e32 v114, 1
	v_lshlrev_b32_sdwa v115, v114, v101 dst_sel:DWORD dst_unused:UNUSED_PAD src0_sel:DWORD src1_sel:WORD_0
	v_lshlrev_b32_sdwa v116, v114, v102 dst_sel:DWORD dst_unused:UNUSED_PAD src0_sel:DWORD src1_sel:WORD_0
	v_add_co_u32 v114, s35, v6, v115
	v_add_co_ci_u32_e64 v115, null, 0, v7, s35
	v_add_co_u32 v116, s35, v6, v116
	v_add_co_ci_u32_e64 v117, null, 0, v7, s35
	s_clause 0x1
	flat_load_ushort v114, v[114:115]
	flat_load_ushort v115, v[116:117]
	s_waitcnt vmcnt(0) lgkmcnt(0)
	v_cmp_lt_u16_e64 s35, v114, v115
	v_cndmask_b32_e64 v114, v101, v102, s35
	v_cndmask_b32_e64 v102, v102, v101, s35
	v_mov_b32_e32 v101, v114
	s_or_b32 exec_lo, exec_lo, s38
	s_and_saveexec_b32 s38, s78
	s_cbranch_execnz .LBB872_1640
.LBB872_1161:
	s_or_b32 exec_lo, exec_lo, s38
	s_and_saveexec_b32 s38, s79
	s_cbranch_execz .LBB872_1641
.LBB872_1162:
	v_mov_b32_e32 v114, 1
	v_lshlrev_b32_sdwa v115, v114, v96 dst_sel:DWORD dst_unused:UNUSED_PAD src0_sel:DWORD src1_sel:WORD_0
	v_lshlrev_b32_sdwa v116, v114, v97 dst_sel:DWORD dst_unused:UNUSED_PAD src0_sel:DWORD src1_sel:WORD_0
	v_add_co_u32 v114, s35, v6, v115
	v_add_co_ci_u32_e64 v115, null, 0, v7, s35
	v_add_co_u32 v116, s35, v6, v116
	v_add_co_ci_u32_e64 v117, null, 0, v7, s35
	s_clause 0x1
	flat_load_ushort v114, v[114:115]
	flat_load_ushort v115, v[116:117]
	s_waitcnt vmcnt(0) lgkmcnt(0)
	v_cmp_lt_u16_e64 s35, v114, v115
	v_cndmask_b32_e64 v114, v96, v97, s35
	v_cndmask_b32_e64 v97, v97, v96, s35
	v_mov_b32_e32 v96, v114
	s_or_b32 exec_lo, exec_lo, s38
	s_and_saveexec_b32 s38, s88
	s_cbranch_execnz .LBB872_1642
.LBB872_1163:
	s_or_b32 exec_lo, exec_lo, s38
	s_and_saveexec_b32 s38, s89
	s_cbranch_execz .LBB872_1643
.LBB872_1164:
	v_mov_b32_e32 v114, 1
	v_lshlrev_b32_sdwa v115, v114, v84 dst_sel:DWORD dst_unused:UNUSED_PAD src0_sel:DWORD src1_sel:WORD_0
	v_lshlrev_b32_sdwa v116, v114, v85 dst_sel:DWORD dst_unused:UNUSED_PAD src0_sel:DWORD src1_sel:WORD_0
	v_add_co_u32 v114, s35, v6, v115
	v_add_co_ci_u32_e64 v115, null, 0, v7, s35
	v_add_co_u32 v116, s35, v6, v116
	v_add_co_ci_u32_e64 v117, null, 0, v7, s35
	s_clause 0x1
	flat_load_ushort v114, v[114:115]
	flat_load_ushort v115, v[116:117]
	s_waitcnt vmcnt(0) lgkmcnt(0)
	v_cmp_lt_u16_e64 s35, v114, v115
	v_cndmask_b32_e64 v114, v84, v85, s35
	v_cndmask_b32_e64 v85, v85, v84, s35
	v_mov_b32_e32 v84, v114
	s_or_b32 exec_lo, exec_lo, s38
	s_and_saveexec_b32 s38, s90
	s_cbranch_execnz .LBB872_1644
.LBB872_1165:
	s_or_b32 exec_lo, exec_lo, s38
	s_and_saveexec_b32 s38, s91
	s_cbranch_execz .LBB872_1645
.LBB872_1166:
	v_mov_b32_e32 v114, 1
	v_lshlrev_b32_sdwa v115, v114, v80 dst_sel:DWORD dst_unused:UNUSED_PAD src0_sel:DWORD src1_sel:WORD_0
	v_lshlrev_b32_sdwa v116, v114, v81 dst_sel:DWORD dst_unused:UNUSED_PAD src0_sel:DWORD src1_sel:WORD_0
	v_add_co_u32 v114, s35, v6, v115
	v_add_co_ci_u32_e64 v115, null, 0, v7, s35
	v_add_co_u32 v116, s35, v6, v116
	v_add_co_ci_u32_e64 v117, null, 0, v7, s35
	s_clause 0x1
	flat_load_ushort v114, v[114:115]
	flat_load_ushort v115, v[116:117]
	s_waitcnt vmcnt(0) lgkmcnt(0)
	v_cmp_lt_u16_e64 s35, v114, v115
	v_cndmask_b32_e64 v114, v80, v81, s35
	v_cndmask_b32_e64 v81, v81, v80, s35
	v_mov_b32_e32 v80, v114
	s_or_b32 exec_lo, exec_lo, s38
	s_and_saveexec_b32 s38, s92
	s_cbranch_execnz .LBB872_1646
.LBB872_1167:
	s_or_b32 exec_lo, exec_lo, s38
	s_and_saveexec_b32 s38, s93
	s_cbranch_execz .LBB872_1647
.LBB872_1168:
	v_mov_b32_e32 v114, 1
	v_lshlrev_b32_sdwa v115, v114, v68 dst_sel:DWORD dst_unused:UNUSED_PAD src0_sel:DWORD src1_sel:WORD_0
	v_lshlrev_b32_sdwa v116, v114, v69 dst_sel:DWORD dst_unused:UNUSED_PAD src0_sel:DWORD src1_sel:WORD_0
	v_add_co_u32 v114, s35, v6, v115
	v_add_co_ci_u32_e64 v115, null, 0, v7, s35
	v_add_co_u32 v116, s35, v6, v116
	v_add_co_ci_u32_e64 v117, null, 0, v7, s35
	s_clause 0x1
	flat_load_ushort v114, v[114:115]
	flat_load_ushort v115, v[116:117]
	s_waitcnt vmcnt(0) lgkmcnt(0)
	v_cmp_lt_u16_e64 s35, v114, v115
	v_cndmask_b32_e64 v114, v68, v69, s35
	v_cndmask_b32_e64 v69, v69, v68, s35
	v_mov_b32_e32 v68, v114
	s_or_b32 exec_lo, exec_lo, s38
	s_and_saveexec_b32 s38, s94
	s_cbranch_execnz .LBB872_1648
.LBB872_1169:
	s_or_b32 exec_lo, exec_lo, s38
	s_and_saveexec_b32 s38, s95
	s_cbranch_execz .LBB872_1649
.LBB872_1170:
	v_mov_b32_e32 v114, 1
	v_lshlrev_b32_sdwa v115, v114, v55 dst_sel:DWORD dst_unused:UNUSED_PAD src0_sel:DWORD src1_sel:WORD_0
	v_lshlrev_b32_sdwa v116, v114, v65 dst_sel:DWORD dst_unused:UNUSED_PAD src0_sel:DWORD src1_sel:WORD_0
	v_add_co_u32 v114, s35, v6, v115
	v_add_co_ci_u32_e64 v115, null, 0, v7, s35
	v_add_co_u32 v116, s35, v6, v116
	v_add_co_ci_u32_e64 v117, null, 0, v7, s35
	s_clause 0x1
	flat_load_ushort v114, v[114:115]
	flat_load_ushort v115, v[116:117]
	s_waitcnt vmcnt(0) lgkmcnt(0)
	v_cmp_lt_u16_e64 s35, v114, v115
	v_cndmask_b32_e64 v114, v55, v65, s35
	v_cndmask_b32_e64 v65, v65, v55, s35
	v_mov_b32_e32 v55, v114
	s_or_b32 exec_lo, exec_lo, s38
	s_and_saveexec_b32 s38, vcc_hi
	s_cbranch_execnz .LBB872_1650
.LBB872_1171:
	s_or_b32 exec_lo, exec_lo, s38
	s_and_saveexec_b32 s38, s30
	s_cbranch_execz .LBB872_1651
.LBB872_1172:
	v_mov_b32_e32 v114, 1
	v_lshlrev_b32_sdwa v115, v114, v52 dst_sel:DWORD dst_unused:UNUSED_PAD src0_sel:DWORD src1_sel:WORD_0
	v_lshlrev_b32_sdwa v116, v114, v64 dst_sel:DWORD dst_unused:UNUSED_PAD src0_sel:DWORD src1_sel:WORD_0
	v_add_co_u32 v114, s35, v6, v115
	v_add_co_ci_u32_e64 v115, null, 0, v7, s35
	v_add_co_u32 v116, s35, v6, v116
	v_add_co_ci_u32_e64 v117, null, 0, v7, s35
	s_clause 0x1
	flat_load_ushort v114, v[114:115]
	flat_load_ushort v115, v[116:117]
	s_waitcnt vmcnt(0) lgkmcnt(0)
	v_cmp_lt_u16_e64 s35, v114, v115
	v_cndmask_b32_e64 v114, v64, v52, s35
	v_cndmask_b32_e64 v52, v52, v64, s35
	v_mov_b32_e32 v64, v114
	s_or_b32 exec_lo, exec_lo, s38
	s_and_saveexec_b32 s38, s31
	s_cbranch_execnz .LBB872_1652
.LBB872_1173:
	s_or_b32 exec_lo, exec_lo, s38
	s_and_saveexec_b32 s38, s34
	s_cbranch_execz .LBB872_1653
.LBB872_1174:
	v_mov_b32_e32 v114, 1
	v_lshlrev_b32_sdwa v115, v114, v103 dst_sel:DWORD dst_unused:UNUSED_PAD src0_sel:DWORD src1_sel:WORD_0
	v_lshlrev_b32_sdwa v116, v114, v49 dst_sel:DWORD dst_unused:UNUSED_PAD src0_sel:DWORD src1_sel:WORD_0
	v_add_co_u32 v114, s35, v6, v115
	v_add_co_ci_u32_e64 v115, null, 0, v7, s35
	v_add_co_u32 v116, s35, v6, v116
	v_add_co_ci_u32_e64 v117, null, 0, v7, s35
	s_clause 0x1
	flat_load_ushort v114, v[114:115]
	flat_load_ushort v115, v[116:117]
	s_waitcnt vmcnt(0) lgkmcnt(0)
	v_cmp_lt_u16_e64 s35, v114, v115
	v_cndmask_b32_e64 v114, v49, v103, s35
	v_cndmask_b32_e64 v103, v103, v49, s35
	v_mov_b32_e32 v49, v114
	s_or_b32 exec_lo, exec_lo, s38
	s_and_saveexec_b32 s38, s8
	s_cbranch_execnz .LBB872_1654
.LBB872_1175:
	s_or_b32 exec_lo, exec_lo, s38
	s_and_saveexec_b32 s38, s9
	s_cbranch_execz .LBB872_1655
.LBB872_1176:
	v_mov_b32_e32 v114, 1
	v_lshlrev_b32_sdwa v115, v114, v100 dst_sel:DWORD dst_unused:UNUSED_PAD src0_sel:DWORD src1_sel:WORD_0
	v_lshlrev_b32_sdwa v116, v114, v101 dst_sel:DWORD dst_unused:UNUSED_PAD src0_sel:DWORD src1_sel:WORD_0
	v_add_co_u32 v114, s35, v6, v115
	v_add_co_ci_u32_e64 v115, null, 0, v7, s35
	v_add_co_u32 v116, s35, v6, v116
	v_add_co_ci_u32_e64 v117, null, 0, v7, s35
	s_clause 0x1
	flat_load_ushort v114, v[114:115]
	flat_load_ushort v115, v[116:117]
	s_waitcnt vmcnt(0) lgkmcnt(0)
	v_cmp_lt_u16_e64 s35, v114, v115
	v_cndmask_b32_e64 v114, v100, v101, s35
	v_cndmask_b32_e64 v101, v101, v100, s35
	v_mov_b32_e32 v100, v114
	s_or_b32 exec_lo, exec_lo, s38
	s_and_saveexec_b32 s38, s12
	s_cbranch_execnz .LBB872_1656
.LBB872_1177:
	s_or_b32 exec_lo, exec_lo, s38
	s_and_saveexec_b32 s38, s13
	s_cbranch_execz .LBB872_1657
.LBB872_1178:
	v_mov_b32_e32 v114, 1
	v_lshlrev_b32_sdwa v115, v114, v87 dst_sel:DWORD dst_unused:UNUSED_PAD src0_sel:DWORD src1_sel:WORD_0
	v_lshlrev_b32_sdwa v116, v114, v96 dst_sel:DWORD dst_unused:UNUSED_PAD src0_sel:DWORD src1_sel:WORD_0
	v_add_co_u32 v114, s35, v6, v115
	v_add_co_ci_u32_e64 v115, null, 0, v7, s35
	v_add_co_u32 v116, s35, v6, v116
	v_add_co_ci_u32_e64 v117, null, 0, v7, s35
	s_clause 0x1
	flat_load_ushort v114, v[114:115]
	flat_load_ushort v115, v[116:117]
	s_waitcnt vmcnt(0) lgkmcnt(0)
	v_cmp_lt_u16_e64 s35, v114, v115
	v_cndmask_b32_e64 v114, v87, v96, s35
	v_cndmask_b32_e64 v96, v96, v87, s35
	v_mov_b32_e32 v87, v114
	s_or_b32 exec_lo, exec_lo, s38
	s_and_saveexec_b32 s38, s57
	s_cbranch_execnz .LBB872_1658
.LBB872_1179:
	s_or_b32 exec_lo, exec_lo, s38
	s_and_saveexec_b32 s38, s58
	s_cbranch_execz .LBB872_1659
.LBB872_1180:
	v_mov_b32_e32 v114, 1
	v_lshlrev_b32_sdwa v115, v114, v83 dst_sel:DWORD dst_unused:UNUSED_PAD src0_sel:DWORD src1_sel:WORD_0
	v_lshlrev_b32_sdwa v116, v114, v84 dst_sel:DWORD dst_unused:UNUSED_PAD src0_sel:DWORD src1_sel:WORD_0
	v_add_co_u32 v114, s35, v6, v115
	v_add_co_ci_u32_e64 v115, null, 0, v7, s35
	v_add_co_u32 v116, s35, v6, v116
	v_add_co_ci_u32_e64 v117, null, 0, v7, s35
	s_clause 0x1
	flat_load_ushort v114, v[114:115]
	flat_load_ushort v115, v[116:117]
	s_waitcnt vmcnt(0) lgkmcnt(0)
	v_cmp_lt_u16_e64 s35, v114, v115
	v_cndmask_b32_e64 v114, v83, v84, s35
	v_cndmask_b32_e64 v84, v84, v83, s35
	v_mov_b32_e32 v83, v114
	s_or_b32 exec_lo, exec_lo, s38
	s_and_saveexec_b32 s38, s59
	s_cbranch_execnz .LBB872_1660
.LBB872_1181:
	s_or_b32 exec_lo, exec_lo, s38
	s_and_saveexec_b32 s38, s60
	s_cbranch_execz .LBB872_1661
.LBB872_1182:
	v_mov_b32_e32 v114, 1
	v_lshlrev_b32_sdwa v115, v114, v71 dst_sel:DWORD dst_unused:UNUSED_PAD src0_sel:DWORD src1_sel:WORD_0
	v_lshlrev_b32_sdwa v116, v114, v80 dst_sel:DWORD dst_unused:UNUSED_PAD src0_sel:DWORD src1_sel:WORD_0
	v_add_co_u32 v114, s35, v6, v115
	v_add_co_ci_u32_e64 v115, null, 0, v7, s35
	v_add_co_u32 v116, s35, v6, v116
	v_add_co_ci_u32_e64 v117, null, 0, v7, s35
	s_clause 0x1
	flat_load_ushort v114, v[114:115]
	flat_load_ushort v115, v[116:117]
	s_waitcnt vmcnt(0) lgkmcnt(0)
	v_cmp_lt_u16_e64 s35, v114, v115
	v_cndmask_b32_e64 v114, v71, v80, s35
	v_cndmask_b32_e64 v80, v80, v71, s35
	v_mov_b32_e32 v71, v114
	s_or_b32 exec_lo, exec_lo, s38
	s_and_saveexec_b32 s38, s61
	s_cbranch_execnz .LBB872_1662
.LBB872_1183:
	s_or_b32 exec_lo, exec_lo, s38
	s_and_saveexec_b32 s38, s62
	s_cbranch_execz .LBB872_1663
.LBB872_1184:
	v_mov_b32_e32 v114, 1
	v_lshlrev_b32_sdwa v115, v114, v67 dst_sel:DWORD dst_unused:UNUSED_PAD src0_sel:DWORD src1_sel:WORD_0
	v_lshlrev_b32_sdwa v116, v114, v68 dst_sel:DWORD dst_unused:UNUSED_PAD src0_sel:DWORD src1_sel:WORD_0
	v_add_co_u32 v114, s35, v6, v115
	v_add_co_ci_u32_e64 v115, null, 0, v7, s35
	v_add_co_u32 v116, s35, v6, v116
	v_add_co_ci_u32_e64 v117, null, 0, v7, s35
	s_clause 0x1
	flat_load_ushort v114, v[114:115]
	flat_load_ushort v115, v[116:117]
	s_waitcnt vmcnt(0) lgkmcnt(0)
	v_cmp_lt_u16_e64 s35, v114, v115
	v_cndmask_b32_e64 v114, v67, v68, s35
	v_cndmask_b32_e64 v68, v68, v67, s35
	v_mov_b32_e32 v67, v114
	s_or_b32 exec_lo, exec_lo, s38
	s_and_saveexec_b32 s38, s63
	s_cbranch_execnz .LBB872_1664
.LBB872_1185:
	s_or_b32 exec_lo, exec_lo, s38
	s_and_saveexec_b32 s38, s72
	s_cbranch_execz .LBB872_1665
.LBB872_1186:
	v_mov_b32_e32 v114, 1
	v_lshlrev_b32_sdwa v115, v114, v54 dst_sel:DWORD dst_unused:UNUSED_PAD src0_sel:DWORD src1_sel:WORD_0
	v_lshlrev_b32_sdwa v116, v114, v55 dst_sel:DWORD dst_unused:UNUSED_PAD src0_sel:DWORD src1_sel:WORD_0
	v_add_co_u32 v114, s35, v6, v115
	v_add_co_ci_u32_e64 v115, null, 0, v7, s35
	v_add_co_u32 v116, s35, v6, v116
	v_add_co_ci_u32_e64 v117, null, 0, v7, s35
	s_clause 0x1
	flat_load_ushort v114, v[114:115]
	flat_load_ushort v115, v[116:117]
	s_waitcnt vmcnt(0) lgkmcnt(0)
	v_cmp_lt_u16_e64 s35, v114, v115
	v_cndmask_b32_e64 v114, v54, v55, s35
	v_cndmask_b32_e64 v55, v55, v54, s35
	v_mov_b32_e32 v54, v114
	s_or_b32 exec_lo, exec_lo, s38
	s_and_saveexec_b32 s38, s73
	s_cbranch_execnz .LBB872_1666
.LBB872_1187:
	s_or_b32 exec_lo, exec_lo, s38
	s_and_saveexec_b32 s38, s74
	s_cbranch_execz .LBB872_1667
.LBB872_1188:
	v_mov_b32_e32 v114, 1
	v_lshlrev_b32_sdwa v115, v114, v51 dst_sel:DWORD dst_unused:UNUSED_PAD src0_sel:DWORD src1_sel:WORD_0
	v_lshlrev_b32_sdwa v116, v114, v52 dst_sel:DWORD dst_unused:UNUSED_PAD src0_sel:DWORD src1_sel:WORD_0
	v_add_co_u32 v114, s35, v6, v115
	v_add_co_ci_u32_e64 v115, null, 0, v7, s35
	v_add_co_u32 v116, s35, v6, v116
	v_add_co_ci_u32_e64 v117, null, 0, v7, s35
	s_clause 0x1
	flat_load_ushort v114, v[114:115]
	flat_load_ushort v115, v[116:117]
	s_waitcnt vmcnt(0) lgkmcnt(0)
	v_cmp_lt_u16_e64 s35, v114, v115
	v_cndmask_b32_e64 v114, v52, v51, s35
	v_cndmask_b32_e64 v51, v51, v52, s35
	v_mov_b32_e32 v52, v114
	s_or_b32 exec_lo, exec_lo, s38
	s_and_saveexec_b32 s38, s75
	s_cbranch_execnz .LBB872_1668
.LBB872_1189:
	s_or_b32 exec_lo, exec_lo, s38
	s_and_saveexec_b32 s38, s76
	s_cbranch_execz .LBB872_1669
.LBB872_1190:
	v_mov_b32_e32 v114, 1
	v_lshlrev_b32_sdwa v115, v114, v48 dst_sel:DWORD dst_unused:UNUSED_PAD src0_sel:DWORD src1_sel:WORD_0
	v_lshlrev_b32_sdwa v116, v114, v103 dst_sel:DWORD dst_unused:UNUSED_PAD src0_sel:DWORD src1_sel:WORD_0
	v_add_co_u32 v114, s35, v6, v115
	v_add_co_ci_u32_e64 v115, null, 0, v7, s35
	v_add_co_u32 v116, s35, v6, v116
	v_add_co_ci_u32_e64 v117, null, 0, v7, s35
	s_clause 0x1
	flat_load_ushort v114, v[114:115]
	flat_load_ushort v115, v[116:117]
	s_waitcnt vmcnt(0) lgkmcnt(0)
	v_cmp_lt_u16_e64 s35, v114, v115
	v_cndmask_b32_e64 v114, v103, v48, s35
	v_cndmask_b32_e64 v48, v48, v103, s35
	v_mov_b32_e32 v103, v114
	s_or_b32 exec_lo, exec_lo, s38
	s_and_saveexec_b32 s38, s77
	s_cbranch_execnz .LBB872_1670
.LBB872_1191:
	s_or_b32 exec_lo, exec_lo, s38
	s_and_saveexec_b32 s38, s78
	s_cbranch_execz .LBB872_1671
.LBB872_1192:
	v_mov_b32_e32 v114, 1
	v_lshlrev_b32_sdwa v115, v114, v98 dst_sel:DWORD dst_unused:UNUSED_PAD src0_sel:DWORD src1_sel:WORD_0
	v_lshlrev_b32_sdwa v116, v114, v100 dst_sel:DWORD dst_unused:UNUSED_PAD src0_sel:DWORD src1_sel:WORD_0
	v_add_co_u32 v114, s35, v6, v115
	v_add_co_ci_u32_e64 v115, null, 0, v7, s35
	v_add_co_u32 v116, s35, v6, v116
	v_add_co_ci_u32_e64 v117, null, 0, v7, s35
	s_clause 0x1
	flat_load_ushort v114, v[114:115]
	flat_load_ushort v115, v[116:117]
	s_waitcnt vmcnt(0) lgkmcnt(0)
	v_cmp_lt_u16_e64 s35, v114, v115
	v_cndmask_b32_e64 v114, v98, v100, s35
	v_cndmask_b32_e64 v100, v100, v98, s35
	v_mov_b32_e32 v98, v114
	s_or_b32 exec_lo, exec_lo, s38
	s_and_saveexec_b32 s38, s79
	s_cbranch_execnz .LBB872_1672
.LBB872_1193:
	s_or_b32 exec_lo, exec_lo, s38
	s_and_saveexec_b32 s38, s88
	s_cbranch_execz .LBB872_1673
.LBB872_1194:
	v_mov_b32_e32 v114, 1
	v_lshlrev_b32_sdwa v115, v114, v86 dst_sel:DWORD dst_unused:UNUSED_PAD src0_sel:DWORD src1_sel:WORD_0
	v_lshlrev_b32_sdwa v116, v114, v87 dst_sel:DWORD dst_unused:UNUSED_PAD src0_sel:DWORD src1_sel:WORD_0
	v_add_co_u32 v114, s35, v6, v115
	v_add_co_ci_u32_e64 v115, null, 0, v7, s35
	v_add_co_u32 v116, s35, v6, v116
	v_add_co_ci_u32_e64 v117, null, 0, v7, s35
	s_clause 0x1
	flat_load_ushort v114, v[114:115]
	flat_load_ushort v115, v[116:117]
	s_waitcnt vmcnt(0) lgkmcnt(0)
	v_cmp_lt_u16_e64 s35, v114, v115
	v_cndmask_b32_e64 v114, v86, v87, s35
	v_cndmask_b32_e64 v87, v87, v86, s35
	v_mov_b32_e32 v86, v114
	s_or_b32 exec_lo, exec_lo, s38
	s_and_saveexec_b32 s38, s89
	s_cbranch_execnz .LBB872_1674
.LBB872_1195:
	s_or_b32 exec_lo, exec_lo, s38
	s_and_saveexec_b32 s38, s90
	s_cbranch_execz .LBB872_1675
.LBB872_1196:
	v_mov_b32_e32 v114, 1
	v_lshlrev_b32_sdwa v115, v114, v82 dst_sel:DWORD dst_unused:UNUSED_PAD src0_sel:DWORD src1_sel:WORD_0
	v_lshlrev_b32_sdwa v116, v114, v83 dst_sel:DWORD dst_unused:UNUSED_PAD src0_sel:DWORD src1_sel:WORD_0
	v_add_co_u32 v114, s35, v6, v115
	v_add_co_ci_u32_e64 v115, null, 0, v7, s35
	v_add_co_u32 v116, s35, v6, v116
	v_add_co_ci_u32_e64 v117, null, 0, v7, s35
	s_clause 0x1
	flat_load_ushort v114, v[114:115]
	flat_load_ushort v115, v[116:117]
	s_waitcnt vmcnt(0) lgkmcnt(0)
	v_cmp_lt_u16_e64 s35, v114, v115
	v_cndmask_b32_e64 v114, v82, v83, s35
	v_cndmask_b32_e64 v83, v83, v82, s35
	v_mov_b32_e32 v82, v114
	s_or_b32 exec_lo, exec_lo, s38
	s_and_saveexec_b32 s38, s91
	s_cbranch_execnz .LBB872_1676
.LBB872_1197:
	s_or_b32 exec_lo, exec_lo, s38
	s_and_saveexec_b32 s38, s92
	s_cbranch_execz .LBB872_1677
.LBB872_1198:
	v_mov_b32_e32 v114, 1
	v_lshlrev_b32_sdwa v115, v114, v70 dst_sel:DWORD dst_unused:UNUSED_PAD src0_sel:DWORD src1_sel:WORD_0
	v_lshlrev_b32_sdwa v116, v114, v71 dst_sel:DWORD dst_unused:UNUSED_PAD src0_sel:DWORD src1_sel:WORD_0
	v_add_co_u32 v114, s35, v6, v115
	v_add_co_ci_u32_e64 v115, null, 0, v7, s35
	v_add_co_u32 v116, s35, v6, v116
	v_add_co_ci_u32_e64 v117, null, 0, v7, s35
	s_clause 0x1
	flat_load_ushort v114, v[114:115]
	flat_load_ushort v115, v[116:117]
	s_waitcnt vmcnt(0) lgkmcnt(0)
	v_cmp_lt_u16_e64 s35, v114, v115
	v_cndmask_b32_e64 v114, v70, v71, s35
	v_cndmask_b32_e64 v71, v71, v70, s35
	v_mov_b32_e32 v70, v114
	s_or_b32 exec_lo, exec_lo, s38
	s_and_saveexec_b32 s38, s93
	s_cbranch_execnz .LBB872_1678
.LBB872_1199:
	s_or_b32 exec_lo, exec_lo, s38
	s_and_saveexec_b32 s38, s94
	s_cbranch_execz .LBB872_1679
.LBB872_1200:
	v_mov_b32_e32 v114, 1
	v_lshlrev_b32_sdwa v115, v114, v66 dst_sel:DWORD dst_unused:UNUSED_PAD src0_sel:DWORD src1_sel:WORD_0
	v_lshlrev_b32_sdwa v116, v114, v67 dst_sel:DWORD dst_unused:UNUSED_PAD src0_sel:DWORD src1_sel:WORD_0
	v_add_co_u32 v114, s35, v6, v115
	v_add_co_ci_u32_e64 v115, null, 0, v7, s35
	v_add_co_u32 v116, s35, v6, v116
	v_add_co_ci_u32_e64 v117, null, 0, v7, s35
	s_clause 0x1
	flat_load_ushort v114, v[114:115]
	flat_load_ushort v115, v[116:117]
	s_waitcnt vmcnt(0) lgkmcnt(0)
	v_cmp_lt_u16_e64 s35, v114, v115
	v_cndmask_b32_e64 v114, v66, v67, s35
	v_cndmask_b32_e64 v67, v67, v66, s35
	v_mov_b32_e32 v66, v114
	s_or_b32 exec_lo, exec_lo, s38
	s_and_saveexec_b32 s38, s95
	s_cbranch_execnz .LBB872_1680
.LBB872_1201:
	s_or_b32 exec_lo, exec_lo, s38
	s_and_saveexec_b32 s38, vcc_hi
	s_cbranch_execz .LBB872_1681
.LBB872_1202:
	v_mov_b32_e32 v114, 1
	v_lshlrev_b32_sdwa v115, v114, v53 dst_sel:DWORD dst_unused:UNUSED_PAD src0_sel:DWORD src1_sel:WORD_0
	v_lshlrev_b32_sdwa v116, v114, v54 dst_sel:DWORD dst_unused:UNUSED_PAD src0_sel:DWORD src1_sel:WORD_0
	v_add_co_u32 v114, s35, v6, v115
	v_add_co_ci_u32_e64 v115, null, 0, v7, s35
	v_add_co_u32 v116, s35, v6, v116
	v_add_co_ci_u32_e64 v117, null, 0, v7, s35
	s_clause 0x1
	flat_load_ushort v114, v[114:115]
	flat_load_ushort v115, v[116:117]
	s_waitcnt vmcnt(0) lgkmcnt(0)
	v_cmp_lt_u16_e64 s35, v114, v115
	v_cndmask_b32_e64 v114, v53, v54, s35
	v_cndmask_b32_e64 v54, v54, v53, s35
	v_mov_b32_e32 v53, v114
	s_or_b32 exec_lo, exec_lo, s38
	s_and_saveexec_b32 s38, s30
	s_cbranch_execnz .LBB872_1682
.LBB872_1203:
	s_or_b32 exec_lo, exec_lo, s38
	s_and_saveexec_b32 s38, s31
	s_cbranch_execz .LBB872_1683
.LBB872_1204:
	v_mov_b32_e32 v114, 1
	v_lshlrev_b32_sdwa v115, v114, v50 dst_sel:DWORD dst_unused:UNUSED_PAD src0_sel:DWORD src1_sel:WORD_0
	v_lshlrev_b32_sdwa v116, v114, v51 dst_sel:DWORD dst_unused:UNUSED_PAD src0_sel:DWORD src1_sel:WORD_0
	v_add_co_u32 v114, s35, v6, v115
	v_add_co_ci_u32_e64 v115, null, 0, v7, s35
	v_add_co_u32 v116, s35, v6, v116
	v_add_co_ci_u32_e64 v117, null, 0, v7, s35
	s_clause 0x1
	flat_load_ushort v114, v[114:115]
	flat_load_ushort v115, v[116:117]
	s_waitcnt vmcnt(0) lgkmcnt(0)
	v_cmp_lt_u16_e64 s35, v114, v115
	v_cndmask_b32_e64 v114, v51, v50, s35
	v_cndmask_b32_e64 v50, v50, v51, s35
	v_mov_b32_e32 v51, v114
	s_or_b32 exec_lo, exec_lo, s38
	s_and_saveexec_b32 s38, s34
	s_cbranch_execnz .LBB872_1684
.LBB872_1205:
	s_or_b32 exec_lo, exec_lo, s38
	s_and_saveexec_b32 s38, s8
	s_cbranch_execz .LBB872_1685
.LBB872_1206:
	v_mov_b32_e32 v114, 1
	v_lshlrev_b32_sdwa v115, v114, v102 dst_sel:DWORD dst_unused:UNUSED_PAD src0_sel:DWORD src1_sel:WORD_0
	v_lshlrev_b32_sdwa v116, v114, v99 dst_sel:DWORD dst_unused:UNUSED_PAD src0_sel:DWORD src1_sel:WORD_0
	v_add_co_u32 v114, s35, v6, v115
	v_add_co_ci_u32_e64 v115, null, 0, v7, s35
	v_add_co_u32 v116, s35, v6, v116
	v_add_co_ci_u32_e64 v117, null, 0, v7, s35
	s_clause 0x1
	flat_load_ushort v114, v[114:115]
	flat_load_ushort v115, v[116:117]
	s_waitcnt vmcnt(0) lgkmcnt(0)
	v_cmp_lt_u16_e64 s35, v114, v115
	v_cndmask_b32_e64 v114, v102, v99, s35
	v_cndmask_b32_e64 v99, v99, v102, s35
	v_mov_b32_e32 v102, v114
	s_or_b32 exec_lo, exec_lo, s38
	s_and_saveexec_b32 s38, s9
	s_cbranch_execnz .LBB872_1686
.LBB872_1207:
	s_or_b32 exec_lo, exec_lo, s38
	s_and_saveexec_b32 s38, s12
	s_cbranch_execz .LBB872_1687
.LBB872_1208:
	v_mov_b32_e32 v114, 1
	v_lshlrev_b32_sdwa v115, v114, v97 dst_sel:DWORD dst_unused:UNUSED_PAD src0_sel:DWORD src1_sel:WORD_0
	v_lshlrev_b32_sdwa v116, v114, v98 dst_sel:DWORD dst_unused:UNUSED_PAD src0_sel:DWORD src1_sel:WORD_0
	v_add_co_u32 v114, s35, v6, v115
	v_add_co_ci_u32_e64 v115, null, 0, v7, s35
	v_add_co_u32 v116, s35, v6, v116
	v_add_co_ci_u32_e64 v117, null, 0, v7, s35
	s_clause 0x1
	flat_load_ushort v114, v[114:115]
	flat_load_ushort v115, v[116:117]
	s_waitcnt vmcnt(0) lgkmcnt(0)
	v_cmp_lt_u16_e64 s35, v114, v115
	v_cndmask_b32_e64 v114, v97, v98, s35
	v_cndmask_b32_e64 v98, v98, v97, s35
	v_mov_b32_e32 v97, v114
	s_or_b32 exec_lo, exec_lo, s38
	s_and_saveexec_b32 s38, s13
	s_cbranch_execnz .LBB872_1688
.LBB872_1209:
	s_or_b32 exec_lo, exec_lo, s38
	s_and_saveexec_b32 s38, s57
	s_cbranch_execz .LBB872_1689
.LBB872_1210:
	v_mov_b32_e32 v114, 1
	v_lshlrev_b32_sdwa v115, v114, v85 dst_sel:DWORD dst_unused:UNUSED_PAD src0_sel:DWORD src1_sel:WORD_0
	v_lshlrev_b32_sdwa v116, v114, v86 dst_sel:DWORD dst_unused:UNUSED_PAD src0_sel:DWORD src1_sel:WORD_0
	v_add_co_u32 v114, s35, v6, v115
	v_add_co_ci_u32_e64 v115, null, 0, v7, s35
	v_add_co_u32 v116, s35, v6, v116
	v_add_co_ci_u32_e64 v117, null, 0, v7, s35
	s_clause 0x1
	flat_load_ushort v114, v[114:115]
	flat_load_ushort v115, v[116:117]
	s_waitcnt vmcnt(0) lgkmcnt(0)
	v_cmp_lt_u16_e64 s35, v114, v115
	v_cndmask_b32_e64 v114, v85, v86, s35
	v_cndmask_b32_e64 v86, v86, v85, s35
	v_mov_b32_e32 v85, v114
	s_or_b32 exec_lo, exec_lo, s38
	s_and_saveexec_b32 s38, s58
	s_cbranch_execnz .LBB872_1690
.LBB872_1211:
	s_or_b32 exec_lo, exec_lo, s38
	s_and_saveexec_b32 s38, s59
	s_cbranch_execz .LBB872_1691
.LBB872_1212:
	v_mov_b32_e32 v114, 1
	v_lshlrev_b32_sdwa v115, v114, v81 dst_sel:DWORD dst_unused:UNUSED_PAD src0_sel:DWORD src1_sel:WORD_0
	v_lshlrev_b32_sdwa v116, v114, v82 dst_sel:DWORD dst_unused:UNUSED_PAD src0_sel:DWORD src1_sel:WORD_0
	v_add_co_u32 v114, s35, v6, v115
	v_add_co_ci_u32_e64 v115, null, 0, v7, s35
	v_add_co_u32 v116, s35, v6, v116
	v_add_co_ci_u32_e64 v117, null, 0, v7, s35
	s_clause 0x1
	flat_load_ushort v114, v[114:115]
	flat_load_ushort v115, v[116:117]
	s_waitcnt vmcnt(0) lgkmcnt(0)
	v_cmp_lt_u16_e64 s35, v114, v115
	v_cndmask_b32_e64 v114, v81, v82, s35
	v_cndmask_b32_e64 v82, v82, v81, s35
	v_mov_b32_e32 v81, v114
	s_or_b32 exec_lo, exec_lo, s38
	s_and_saveexec_b32 s38, s60
	s_cbranch_execnz .LBB872_1692
.LBB872_1213:
	s_or_b32 exec_lo, exec_lo, s38
	s_and_saveexec_b32 s38, s61
	s_cbranch_execz .LBB872_1693
.LBB872_1214:
	v_mov_b32_e32 v114, 1
	v_lshlrev_b32_sdwa v115, v114, v69 dst_sel:DWORD dst_unused:UNUSED_PAD src0_sel:DWORD src1_sel:WORD_0
	v_lshlrev_b32_sdwa v116, v114, v70 dst_sel:DWORD dst_unused:UNUSED_PAD src0_sel:DWORD src1_sel:WORD_0
	v_add_co_u32 v114, s35, v6, v115
	v_add_co_ci_u32_e64 v115, null, 0, v7, s35
	v_add_co_u32 v116, s35, v6, v116
	v_add_co_ci_u32_e64 v117, null, 0, v7, s35
	s_clause 0x1
	flat_load_ushort v114, v[114:115]
	flat_load_ushort v115, v[116:117]
	s_waitcnt vmcnt(0) lgkmcnt(0)
	v_cmp_lt_u16_e64 s35, v114, v115
	v_cndmask_b32_e64 v114, v69, v70, s35
	v_cndmask_b32_e64 v70, v70, v69, s35
	v_mov_b32_e32 v69, v114
	s_or_b32 exec_lo, exec_lo, s38
	s_and_saveexec_b32 s38, s62
	s_cbranch_execnz .LBB872_1694
.LBB872_1215:
	s_or_b32 exec_lo, exec_lo, s38
	s_and_saveexec_b32 s38, s63
	s_cbranch_execz .LBB872_1695
.LBB872_1216:
	v_mov_b32_e32 v114, 1
	v_lshlrev_b32_sdwa v115, v114, v65 dst_sel:DWORD dst_unused:UNUSED_PAD src0_sel:DWORD src1_sel:WORD_0
	v_lshlrev_b32_sdwa v116, v114, v66 dst_sel:DWORD dst_unused:UNUSED_PAD src0_sel:DWORD src1_sel:WORD_0
	v_add_co_u32 v114, s35, v6, v115
	v_add_co_ci_u32_e64 v115, null, 0, v7, s35
	v_add_co_u32 v116, s35, v6, v116
	v_add_co_ci_u32_e64 v117, null, 0, v7, s35
	s_clause 0x1
	flat_load_ushort v114, v[114:115]
	flat_load_ushort v115, v[116:117]
	s_waitcnt vmcnt(0) lgkmcnt(0)
	v_cmp_lt_u16_e64 s35, v114, v115
	v_cndmask_b32_e64 v114, v65, v66, s35
	v_cndmask_b32_e64 v66, v66, v65, s35
	v_mov_b32_e32 v65, v114
	s_or_b32 exec_lo, exec_lo, s38
	s_and_saveexec_b32 s38, s72
	s_cbranch_execnz .LBB872_1696
.LBB872_1217:
	s_or_b32 exec_lo, exec_lo, s38
	s_and_saveexec_b32 s38, s73
	s_cbranch_execz .LBB872_1697
.LBB872_1218:
	v_mov_b32_e32 v114, 1
	v_lshlrev_b32_sdwa v115, v114, v64 dst_sel:DWORD dst_unused:UNUSED_PAD src0_sel:DWORD src1_sel:WORD_0
	v_lshlrev_b32_sdwa v116, v114, v53 dst_sel:DWORD dst_unused:UNUSED_PAD src0_sel:DWORD src1_sel:WORD_0
	v_add_co_u32 v114, s35, v6, v115
	v_add_co_ci_u32_e64 v115, null, 0, v7, s35
	v_add_co_u32 v116, s35, v6, v116
	v_add_co_ci_u32_e64 v117, null, 0, v7, s35
	s_clause 0x1
	flat_load_ushort v114, v[114:115]
	flat_load_ushort v115, v[116:117]
	s_waitcnt vmcnt(0) lgkmcnt(0)
	v_cmp_lt_u16_e64 s35, v114, v115
	v_cndmask_b32_e64 v114, v64, v53, s35
	v_cndmask_b32_e64 v53, v53, v64, s35
	v_mov_b32_e32 v64, v114
	s_or_b32 exec_lo, exec_lo, s38
	s_and_saveexec_b32 s38, s74
	s_cbranch_execnz .LBB872_1698
.LBB872_1219:
	s_or_b32 exec_lo, exec_lo, s38
	s_and_saveexec_b32 s38, s75
	s_cbranch_execz .LBB872_1699
.LBB872_1220:
	v_mov_b32_e32 v114, 1
	v_lshlrev_b32_sdwa v115, v114, v49 dst_sel:DWORD dst_unused:UNUSED_PAD src0_sel:DWORD src1_sel:WORD_0
	v_lshlrev_b32_sdwa v116, v114, v50 dst_sel:DWORD dst_unused:UNUSED_PAD src0_sel:DWORD src1_sel:WORD_0
	v_add_co_u32 v114, s35, v6, v115
	v_add_co_ci_u32_e64 v115, null, 0, v7, s35
	v_add_co_u32 v116, s35, v6, v116
	v_add_co_ci_u32_e64 v117, null, 0, v7, s35
	s_clause 0x1
	flat_load_ushort v114, v[114:115]
	flat_load_ushort v115, v[116:117]
	s_waitcnt vmcnt(0) lgkmcnt(0)
	v_cmp_lt_u16_e64 s35, v114, v115
	v_cndmask_b32_e64 v114, v50, v49, s35
	v_cndmask_b32_e64 v49, v49, v50, s35
	v_mov_b32_e32 v50, v114
	s_or_b32 exec_lo, exec_lo, s38
	s_and_saveexec_b32 s38, s76
	s_cbranch_execnz .LBB872_1700
.LBB872_1221:
	s_or_b32 exec_lo, exec_lo, s38
	s_and_saveexec_b32 s38, s77
	s_cbranch_execz .LBB872_1701
.LBB872_1222:
	v_mov_b32_e32 v114, 1
	v_lshlrev_b32_sdwa v115, v114, v101 dst_sel:DWORD dst_unused:UNUSED_PAD src0_sel:DWORD src1_sel:WORD_0
	v_lshlrev_b32_sdwa v116, v114, v102 dst_sel:DWORD dst_unused:UNUSED_PAD src0_sel:DWORD src1_sel:WORD_0
	v_add_co_u32 v114, s35, v6, v115
	v_add_co_ci_u32_e64 v115, null, 0, v7, s35
	v_add_co_u32 v116, s35, v6, v116
	v_add_co_ci_u32_e64 v117, null, 0, v7, s35
	s_clause 0x1
	flat_load_ushort v114, v[114:115]
	flat_load_ushort v115, v[116:117]
	s_waitcnt vmcnt(0) lgkmcnt(0)
	v_cmp_lt_u16_e64 s35, v114, v115
	v_cndmask_b32_e64 v114, v101, v102, s35
	v_cndmask_b32_e64 v102, v102, v101, s35
	v_mov_b32_e32 v101, v114
	s_or_b32 exec_lo, exec_lo, s38
	s_and_saveexec_b32 s38, s78
	s_cbranch_execnz .LBB872_1702
.LBB872_1223:
	s_or_b32 exec_lo, exec_lo, s38
	s_and_saveexec_b32 s38, s79
	s_cbranch_execz .LBB872_1703
.LBB872_1224:
	v_mov_b32_e32 v114, 1
	v_lshlrev_b32_sdwa v115, v114, v96 dst_sel:DWORD dst_unused:UNUSED_PAD src0_sel:DWORD src1_sel:WORD_0
	v_lshlrev_b32_sdwa v116, v114, v97 dst_sel:DWORD dst_unused:UNUSED_PAD src0_sel:DWORD src1_sel:WORD_0
	v_add_co_u32 v114, s35, v6, v115
	v_add_co_ci_u32_e64 v115, null, 0, v7, s35
	v_add_co_u32 v116, s35, v6, v116
	v_add_co_ci_u32_e64 v117, null, 0, v7, s35
	s_clause 0x1
	flat_load_ushort v114, v[114:115]
	flat_load_ushort v115, v[116:117]
	s_waitcnt vmcnt(0) lgkmcnt(0)
	v_cmp_lt_u16_e64 s35, v114, v115
	v_cndmask_b32_e64 v114, v96, v97, s35
	v_cndmask_b32_e64 v97, v97, v96, s35
	v_mov_b32_e32 v96, v114
	s_or_b32 exec_lo, exec_lo, s38
	s_and_saveexec_b32 s38, s88
	s_cbranch_execnz .LBB872_1704
.LBB872_1225:
	s_or_b32 exec_lo, exec_lo, s38
	s_and_saveexec_b32 s38, s89
	s_cbranch_execz .LBB872_1705
.LBB872_1226:
	v_mov_b32_e32 v114, 1
	v_lshlrev_b32_sdwa v115, v114, v84 dst_sel:DWORD dst_unused:UNUSED_PAD src0_sel:DWORD src1_sel:WORD_0
	v_lshlrev_b32_sdwa v116, v114, v85 dst_sel:DWORD dst_unused:UNUSED_PAD src0_sel:DWORD src1_sel:WORD_0
	v_add_co_u32 v114, s35, v6, v115
	v_add_co_ci_u32_e64 v115, null, 0, v7, s35
	v_add_co_u32 v116, s35, v6, v116
	v_add_co_ci_u32_e64 v117, null, 0, v7, s35
	s_clause 0x1
	flat_load_ushort v114, v[114:115]
	flat_load_ushort v115, v[116:117]
	s_waitcnt vmcnt(0) lgkmcnt(0)
	v_cmp_lt_u16_e64 s35, v114, v115
	v_cndmask_b32_e64 v114, v84, v85, s35
	v_cndmask_b32_e64 v85, v85, v84, s35
	v_mov_b32_e32 v84, v114
	s_or_b32 exec_lo, exec_lo, s38
	s_and_saveexec_b32 s38, s90
	s_cbranch_execnz .LBB872_1706
.LBB872_1227:
	s_or_b32 exec_lo, exec_lo, s38
	s_and_saveexec_b32 s38, s91
	s_cbranch_execz .LBB872_1707
.LBB872_1228:
	v_mov_b32_e32 v114, 1
	v_lshlrev_b32_sdwa v115, v114, v80 dst_sel:DWORD dst_unused:UNUSED_PAD src0_sel:DWORD src1_sel:WORD_0
	v_lshlrev_b32_sdwa v116, v114, v81 dst_sel:DWORD dst_unused:UNUSED_PAD src0_sel:DWORD src1_sel:WORD_0
	v_add_co_u32 v114, s35, v6, v115
	v_add_co_ci_u32_e64 v115, null, 0, v7, s35
	v_add_co_u32 v116, s35, v6, v116
	v_add_co_ci_u32_e64 v117, null, 0, v7, s35
	s_clause 0x1
	flat_load_ushort v114, v[114:115]
	flat_load_ushort v115, v[116:117]
	s_waitcnt vmcnt(0) lgkmcnt(0)
	v_cmp_lt_u16_e64 s35, v114, v115
	v_cndmask_b32_e64 v114, v80, v81, s35
	v_cndmask_b32_e64 v81, v81, v80, s35
	v_mov_b32_e32 v80, v114
	s_or_b32 exec_lo, exec_lo, s38
	s_and_saveexec_b32 s38, s92
	s_cbranch_execnz .LBB872_1708
.LBB872_1229:
	s_or_b32 exec_lo, exec_lo, s38
	s_and_saveexec_b32 s38, s93
	s_cbranch_execz .LBB872_1709
.LBB872_1230:
	v_mov_b32_e32 v114, 1
	v_lshlrev_b32_sdwa v115, v114, v68 dst_sel:DWORD dst_unused:UNUSED_PAD src0_sel:DWORD src1_sel:WORD_0
	v_lshlrev_b32_sdwa v116, v114, v69 dst_sel:DWORD dst_unused:UNUSED_PAD src0_sel:DWORD src1_sel:WORD_0
	v_add_co_u32 v114, s35, v6, v115
	v_add_co_ci_u32_e64 v115, null, 0, v7, s35
	v_add_co_u32 v116, s35, v6, v116
	v_add_co_ci_u32_e64 v117, null, 0, v7, s35
	s_clause 0x1
	flat_load_ushort v114, v[114:115]
	flat_load_ushort v115, v[116:117]
	s_waitcnt vmcnt(0) lgkmcnt(0)
	v_cmp_lt_u16_e64 s35, v114, v115
	v_cndmask_b32_e64 v114, v68, v69, s35
	v_cndmask_b32_e64 v69, v69, v68, s35
	v_mov_b32_e32 v68, v114
	s_or_b32 exec_lo, exec_lo, s38
	s_and_saveexec_b32 s38, s94
	s_cbranch_execnz .LBB872_1710
.LBB872_1231:
	s_or_b32 exec_lo, exec_lo, s38
	s_and_saveexec_b32 s38, s95
	s_cbranch_execz .LBB872_1711
.LBB872_1232:
	v_mov_b32_e32 v114, 1
	v_lshlrev_b32_sdwa v115, v114, v55 dst_sel:DWORD dst_unused:UNUSED_PAD src0_sel:DWORD src1_sel:WORD_0
	v_lshlrev_b32_sdwa v116, v114, v65 dst_sel:DWORD dst_unused:UNUSED_PAD src0_sel:DWORD src1_sel:WORD_0
	v_add_co_u32 v114, s35, v6, v115
	v_add_co_ci_u32_e64 v115, null, 0, v7, s35
	v_add_co_u32 v116, s35, v6, v116
	v_add_co_ci_u32_e64 v117, null, 0, v7, s35
	s_clause 0x1
	flat_load_ushort v114, v[114:115]
	flat_load_ushort v115, v[116:117]
	s_waitcnt vmcnt(0) lgkmcnt(0)
	v_cmp_lt_u16_e64 s35, v114, v115
	v_cndmask_b32_e64 v114, v55, v65, s35
	v_cndmask_b32_e64 v65, v65, v55, s35
	v_mov_b32_e32 v55, v114
	s_or_b32 exec_lo, exec_lo, s38
	s_and_saveexec_b32 s38, vcc_hi
	s_cbranch_execnz .LBB872_1712
.LBB872_1233:
	s_or_b32 exec_lo, exec_lo, s38
	s_and_saveexec_b32 s38, s30
	s_cbranch_execz .LBB872_1713
.LBB872_1234:
	v_mov_b32_e32 v114, 1
	v_lshlrev_b32_sdwa v115, v114, v52 dst_sel:DWORD dst_unused:UNUSED_PAD src0_sel:DWORD src1_sel:WORD_0
	v_lshlrev_b32_sdwa v116, v114, v64 dst_sel:DWORD dst_unused:UNUSED_PAD src0_sel:DWORD src1_sel:WORD_0
	v_add_co_u32 v114, s35, v6, v115
	v_add_co_ci_u32_e64 v115, null, 0, v7, s35
	v_add_co_u32 v116, s35, v6, v116
	v_add_co_ci_u32_e64 v117, null, 0, v7, s35
	s_clause 0x1
	flat_load_ushort v114, v[114:115]
	flat_load_ushort v115, v[116:117]
	s_waitcnt vmcnt(0) lgkmcnt(0)
	v_cmp_lt_u16_e64 s35, v114, v115
	v_cndmask_b32_e64 v114, v64, v52, s35
	v_cndmask_b32_e64 v52, v52, v64, s35
	v_mov_b32_e32 v64, v114
	s_or_b32 exec_lo, exec_lo, s38
	s_and_saveexec_b32 s38, s31
	s_cbranch_execnz .LBB872_1714
.LBB872_1235:
	s_or_b32 exec_lo, exec_lo, s38
	s_and_saveexec_b32 s38, s34
	s_cbranch_execz .LBB872_1715
.LBB872_1236:
	v_mov_b32_e32 v114, 1
	v_lshlrev_b32_sdwa v115, v114, v103 dst_sel:DWORD dst_unused:UNUSED_PAD src0_sel:DWORD src1_sel:WORD_0
	v_lshlrev_b32_sdwa v116, v114, v49 dst_sel:DWORD dst_unused:UNUSED_PAD src0_sel:DWORD src1_sel:WORD_0
	v_add_co_u32 v114, s35, v6, v115
	v_add_co_ci_u32_e64 v115, null, 0, v7, s35
	v_add_co_u32 v116, s35, v6, v116
	v_add_co_ci_u32_e64 v117, null, 0, v7, s35
	s_clause 0x1
	flat_load_ushort v114, v[114:115]
	flat_load_ushort v115, v[116:117]
	s_waitcnt vmcnt(0) lgkmcnt(0)
	v_cmp_lt_u16_e64 s35, v114, v115
	v_cndmask_b32_e64 v114, v49, v103, s35
	v_cndmask_b32_e64 v103, v103, v49, s35
	v_mov_b32_e32 v49, v114
	s_or_b32 exec_lo, exec_lo, s38
	s_and_saveexec_b32 s35, s8
	s_cbranch_execnz .LBB872_1716
.LBB872_1237:
	s_or_b32 exec_lo, exec_lo, s35
	s_and_saveexec_b32 s35, s9
	s_cbranch_execz .LBB872_1717
.LBB872_1238:
	v_mov_b32_e32 v114, 1
	v_lshlrev_b32_sdwa v115, v114, v100 dst_sel:DWORD dst_unused:UNUSED_PAD src0_sel:DWORD src1_sel:WORD_0
	v_lshlrev_b32_sdwa v116, v114, v101 dst_sel:DWORD dst_unused:UNUSED_PAD src0_sel:DWORD src1_sel:WORD_0
	v_add_co_u32 v114, s8, v6, v115
	v_add_co_ci_u32_e64 v115, null, 0, v7, s8
	v_add_co_u32 v116, s8, v6, v116
	v_add_co_ci_u32_e64 v117, null, 0, v7, s8
	s_clause 0x1
	flat_load_ushort v114, v[114:115]
	flat_load_ushort v115, v[116:117]
	s_waitcnt vmcnt(0) lgkmcnt(0)
	v_cmp_lt_u16_e64 s8, v114, v115
	v_cndmask_b32_e64 v114, v100, v101, s8
	v_cndmask_b32_e64 v101, v101, v100, s8
	v_mov_b32_e32 v100, v114
	s_or_b32 exec_lo, exec_lo, s35
	s_and_saveexec_b32 s9, s12
	s_cbranch_execnz .LBB872_1718
.LBB872_1239:
	s_or_b32 exec_lo, exec_lo, s9
	s_and_saveexec_b32 s9, s13
	s_cbranch_execz .LBB872_1719
.LBB872_1240:
	v_mov_b32_e32 v114, 1
	v_lshlrev_b32_sdwa v115, v114, v87 dst_sel:DWORD dst_unused:UNUSED_PAD src0_sel:DWORD src1_sel:WORD_0
	v_lshlrev_b32_sdwa v116, v114, v96 dst_sel:DWORD dst_unused:UNUSED_PAD src0_sel:DWORD src1_sel:WORD_0
	v_add_co_u32 v114, s8, v6, v115
	v_add_co_ci_u32_e64 v115, null, 0, v7, s8
	v_add_co_u32 v116, s8, v6, v116
	v_add_co_ci_u32_e64 v117, null, 0, v7, s8
	s_clause 0x1
	flat_load_ushort v114, v[114:115]
	flat_load_ushort v115, v[116:117]
	s_waitcnt vmcnt(0) lgkmcnt(0)
	v_cmp_lt_u16_e64 s8, v114, v115
	v_cndmask_b32_e64 v114, v87, v96, s8
	v_cndmask_b32_e64 v96, v96, v87, s8
	v_mov_b32_e32 v87, v114
	s_or_b32 exec_lo, exec_lo, s9
	s_and_saveexec_b32 s9, s57
	s_cbranch_execnz .LBB872_1720
.LBB872_1241:
	s_or_b32 exec_lo, exec_lo, s9
	s_and_saveexec_b32 s9, s58
	s_cbranch_execz .LBB872_1721
.LBB872_1242:
	v_mov_b32_e32 v114, 1
	v_lshlrev_b32_sdwa v115, v114, v83 dst_sel:DWORD dst_unused:UNUSED_PAD src0_sel:DWORD src1_sel:WORD_0
	v_lshlrev_b32_sdwa v116, v114, v84 dst_sel:DWORD dst_unused:UNUSED_PAD src0_sel:DWORD src1_sel:WORD_0
	v_add_co_u32 v114, s8, v6, v115
	v_add_co_ci_u32_e64 v115, null, 0, v7, s8
	v_add_co_u32 v116, s8, v6, v116
	v_add_co_ci_u32_e64 v117, null, 0, v7, s8
	s_clause 0x1
	flat_load_ushort v114, v[114:115]
	flat_load_ushort v115, v[116:117]
	s_waitcnt vmcnt(0) lgkmcnt(0)
	v_cmp_lt_u16_e64 s8, v114, v115
	v_cndmask_b32_e64 v114, v83, v84, s8
	v_cndmask_b32_e64 v84, v84, v83, s8
	v_mov_b32_e32 v83, v114
	s_or_b32 exec_lo, exec_lo, s9
	s_and_saveexec_b32 s9, s59
	s_cbranch_execnz .LBB872_1722
.LBB872_1243:
	s_or_b32 exec_lo, exec_lo, s9
	s_and_saveexec_b32 s9, s60
	s_cbranch_execz .LBB872_1723
.LBB872_1244:
	v_mov_b32_e32 v114, 1
	v_lshlrev_b32_sdwa v115, v114, v71 dst_sel:DWORD dst_unused:UNUSED_PAD src0_sel:DWORD src1_sel:WORD_0
	v_lshlrev_b32_sdwa v116, v114, v80 dst_sel:DWORD dst_unused:UNUSED_PAD src0_sel:DWORD src1_sel:WORD_0
	v_add_co_u32 v114, s8, v6, v115
	v_add_co_ci_u32_e64 v115, null, 0, v7, s8
	v_add_co_u32 v116, s8, v6, v116
	v_add_co_ci_u32_e64 v117, null, 0, v7, s8
	s_clause 0x1
	flat_load_ushort v114, v[114:115]
	flat_load_ushort v115, v[116:117]
	s_waitcnt vmcnt(0) lgkmcnt(0)
	v_cmp_lt_u16_e64 s8, v114, v115
	v_cndmask_b32_e64 v114, v71, v80, s8
	v_cndmask_b32_e64 v80, v80, v71, s8
	v_mov_b32_e32 v71, v114
	s_or_b32 exec_lo, exec_lo, s9
	s_and_saveexec_b32 s9, s61
	s_cbranch_execnz .LBB872_1724
.LBB872_1245:
	s_or_b32 exec_lo, exec_lo, s9
	s_and_saveexec_b32 s9, s62
	s_cbranch_execz .LBB872_1725
.LBB872_1246:
	v_mov_b32_e32 v114, 1
	v_lshlrev_b32_sdwa v115, v114, v67 dst_sel:DWORD dst_unused:UNUSED_PAD src0_sel:DWORD src1_sel:WORD_0
	v_lshlrev_b32_sdwa v116, v114, v68 dst_sel:DWORD dst_unused:UNUSED_PAD src0_sel:DWORD src1_sel:WORD_0
	v_add_co_u32 v114, s8, v6, v115
	v_add_co_ci_u32_e64 v115, null, 0, v7, s8
	v_add_co_u32 v116, s8, v6, v116
	v_add_co_ci_u32_e64 v117, null, 0, v7, s8
	s_clause 0x1
	flat_load_ushort v114, v[114:115]
	flat_load_ushort v115, v[116:117]
	s_waitcnt vmcnt(0) lgkmcnt(0)
	v_cmp_lt_u16_e64 s8, v114, v115
	v_cndmask_b32_e64 v114, v67, v68, s8
	v_cndmask_b32_e64 v68, v68, v67, s8
	v_mov_b32_e32 v67, v114
	s_or_b32 exec_lo, exec_lo, s9
	s_and_saveexec_b32 s9, s63
	s_cbranch_execnz .LBB872_1726
.LBB872_1247:
	s_or_b32 exec_lo, exec_lo, s9
	s_and_saveexec_b32 s9, s72
	s_cbranch_execz .LBB872_1727
.LBB872_1248:
	v_mov_b32_e32 v114, 1
	v_lshlrev_b32_sdwa v115, v114, v54 dst_sel:DWORD dst_unused:UNUSED_PAD src0_sel:DWORD src1_sel:WORD_0
	v_lshlrev_b32_sdwa v116, v114, v55 dst_sel:DWORD dst_unused:UNUSED_PAD src0_sel:DWORD src1_sel:WORD_0
	v_add_co_u32 v114, s8, v6, v115
	v_add_co_ci_u32_e64 v115, null, 0, v7, s8
	v_add_co_u32 v116, s8, v6, v116
	v_add_co_ci_u32_e64 v117, null, 0, v7, s8
	s_clause 0x1
	flat_load_ushort v114, v[114:115]
	flat_load_ushort v115, v[116:117]
	s_waitcnt vmcnt(0) lgkmcnt(0)
	v_cmp_lt_u16_e64 s8, v114, v115
	v_cndmask_b32_e64 v114, v54, v55, s8
	v_cndmask_b32_e64 v55, v55, v54, s8
	v_mov_b32_e32 v54, v114
	s_or_b32 exec_lo, exec_lo, s9
	s_and_saveexec_b32 s9, s73
	s_cbranch_execnz .LBB872_1728
.LBB872_1249:
	s_or_b32 exec_lo, exec_lo, s9
	s_and_saveexec_b32 s9, s74
	s_cbranch_execz .LBB872_1729
.LBB872_1250:
	v_mov_b32_e32 v114, 1
	v_lshlrev_b32_sdwa v115, v114, v51 dst_sel:DWORD dst_unused:UNUSED_PAD src0_sel:DWORD src1_sel:WORD_0
	v_lshlrev_b32_sdwa v116, v114, v52 dst_sel:DWORD dst_unused:UNUSED_PAD src0_sel:DWORD src1_sel:WORD_0
	v_add_co_u32 v114, s8, v6, v115
	v_add_co_ci_u32_e64 v115, null, 0, v7, s8
	v_add_co_u32 v116, s8, v6, v116
	v_add_co_ci_u32_e64 v117, null, 0, v7, s8
	s_clause 0x1
	flat_load_ushort v114, v[114:115]
	flat_load_ushort v115, v[116:117]
	s_waitcnt vmcnt(0) lgkmcnt(0)
	v_cmp_lt_u16_e64 s8, v114, v115
	v_cndmask_b32_e64 v114, v52, v51, s8
	v_cndmask_b32_e64 v51, v51, v52, s8
	v_mov_b32_e32 v52, v114
	s_or_b32 exec_lo, exec_lo, s9
	s_and_saveexec_b32 s9, s75
	s_cbranch_execnz .LBB872_1730
.LBB872_1251:
	s_or_b32 exec_lo, exec_lo, s9
	s_and_saveexec_b32 s9, s76
	s_cbranch_execz .LBB872_1731
.LBB872_1252:
	v_mov_b32_e32 v114, 1
	v_lshlrev_b32_sdwa v115, v114, v48 dst_sel:DWORD dst_unused:UNUSED_PAD src0_sel:DWORD src1_sel:WORD_0
	v_lshlrev_b32_sdwa v116, v114, v103 dst_sel:DWORD dst_unused:UNUSED_PAD src0_sel:DWORD src1_sel:WORD_0
	v_add_co_u32 v114, s8, v6, v115
	v_add_co_ci_u32_e64 v115, null, 0, v7, s8
	v_add_co_u32 v116, s8, v6, v116
	v_add_co_ci_u32_e64 v117, null, 0, v7, s8
	s_clause 0x1
	flat_load_ushort v114, v[114:115]
	flat_load_ushort v115, v[116:117]
	s_waitcnt vmcnt(0) lgkmcnt(0)
	v_cmp_lt_u16_e64 s8, v114, v115
	v_cndmask_b32_e64 v114, v103, v48, s8
	v_cndmask_b32_e64 v48, v48, v103, s8
	v_mov_b32_e32 v103, v114
	s_or_b32 exec_lo, exec_lo, s9
	s_and_saveexec_b32 s9, s77
	s_cbranch_execnz .LBB872_1732
.LBB872_1253:
	s_or_b32 exec_lo, exec_lo, s9
	s_and_saveexec_b32 s9, s78
	s_cbranch_execz .LBB872_1733
.LBB872_1254:
	v_mov_b32_e32 v114, 1
	v_lshlrev_b32_sdwa v115, v114, v98 dst_sel:DWORD dst_unused:UNUSED_PAD src0_sel:DWORD src1_sel:WORD_0
	v_lshlrev_b32_sdwa v116, v114, v100 dst_sel:DWORD dst_unused:UNUSED_PAD src0_sel:DWORD src1_sel:WORD_0
	v_add_co_u32 v114, s8, v6, v115
	v_add_co_ci_u32_e64 v115, null, 0, v7, s8
	v_add_co_u32 v116, s8, v6, v116
	v_add_co_ci_u32_e64 v117, null, 0, v7, s8
	s_clause 0x1
	flat_load_ushort v114, v[114:115]
	flat_load_ushort v115, v[116:117]
	s_waitcnt vmcnt(0) lgkmcnt(0)
	v_cmp_lt_u16_e64 s8, v114, v115
	v_cndmask_b32_e64 v114, v98, v100, s8
	v_cndmask_b32_e64 v100, v100, v98, s8
	v_mov_b32_e32 v98, v114
	s_or_b32 exec_lo, exec_lo, s9
	s_and_saveexec_b32 s9, s79
	s_cbranch_execnz .LBB872_1734
.LBB872_1255:
	s_or_b32 exec_lo, exec_lo, s9
	s_and_saveexec_b32 s9, s88
	s_cbranch_execz .LBB872_1735
.LBB872_1256:
	v_mov_b32_e32 v114, 1
	v_lshlrev_b32_sdwa v115, v114, v86 dst_sel:DWORD dst_unused:UNUSED_PAD src0_sel:DWORD src1_sel:WORD_0
	v_lshlrev_b32_sdwa v116, v114, v87 dst_sel:DWORD dst_unused:UNUSED_PAD src0_sel:DWORD src1_sel:WORD_0
	v_add_co_u32 v114, s8, v6, v115
	v_add_co_ci_u32_e64 v115, null, 0, v7, s8
	v_add_co_u32 v116, s8, v6, v116
	v_add_co_ci_u32_e64 v117, null, 0, v7, s8
	s_clause 0x1
	flat_load_ushort v114, v[114:115]
	flat_load_ushort v115, v[116:117]
	s_waitcnt vmcnt(0) lgkmcnt(0)
	v_cmp_lt_u16_e64 s8, v114, v115
	v_cndmask_b32_e64 v114, v86, v87, s8
	v_cndmask_b32_e64 v87, v87, v86, s8
	v_mov_b32_e32 v86, v114
	s_or_b32 exec_lo, exec_lo, s9
	s_and_saveexec_b32 s9, s89
	s_cbranch_execnz .LBB872_1736
.LBB872_1257:
	s_or_b32 exec_lo, exec_lo, s9
	s_and_saveexec_b32 s9, s90
	s_cbranch_execz .LBB872_1737
.LBB872_1258:
	v_mov_b32_e32 v114, 1
	v_lshlrev_b32_sdwa v115, v114, v82 dst_sel:DWORD dst_unused:UNUSED_PAD src0_sel:DWORD src1_sel:WORD_0
	v_lshlrev_b32_sdwa v116, v114, v83 dst_sel:DWORD dst_unused:UNUSED_PAD src0_sel:DWORD src1_sel:WORD_0
	v_add_co_u32 v114, s8, v6, v115
	v_add_co_ci_u32_e64 v115, null, 0, v7, s8
	v_add_co_u32 v116, s8, v6, v116
	v_add_co_ci_u32_e64 v117, null, 0, v7, s8
	s_clause 0x1
	flat_load_ushort v114, v[114:115]
	flat_load_ushort v115, v[116:117]
	s_waitcnt vmcnt(0) lgkmcnt(0)
	v_cmp_lt_u16_e64 s8, v114, v115
	v_cndmask_b32_e64 v114, v82, v83, s8
	v_cndmask_b32_e64 v83, v83, v82, s8
	v_mov_b32_e32 v82, v114
	s_or_b32 exec_lo, exec_lo, s9
	s_and_saveexec_b32 s9, s91
	s_cbranch_execnz .LBB872_1738
.LBB872_1259:
	s_or_b32 exec_lo, exec_lo, s9
	s_and_saveexec_b32 s9, s92
	s_cbranch_execz .LBB872_1739
.LBB872_1260:
	v_mov_b32_e32 v114, 1
	v_lshlrev_b32_sdwa v115, v114, v70 dst_sel:DWORD dst_unused:UNUSED_PAD src0_sel:DWORD src1_sel:WORD_0
	v_lshlrev_b32_sdwa v116, v114, v71 dst_sel:DWORD dst_unused:UNUSED_PAD src0_sel:DWORD src1_sel:WORD_0
	v_add_co_u32 v114, s8, v6, v115
	v_add_co_ci_u32_e64 v115, null, 0, v7, s8
	v_add_co_u32 v116, s8, v6, v116
	v_add_co_ci_u32_e64 v117, null, 0, v7, s8
	s_clause 0x1
	flat_load_ushort v114, v[114:115]
	flat_load_ushort v115, v[116:117]
	s_waitcnt vmcnt(0) lgkmcnt(0)
	v_cmp_lt_u16_e64 s8, v114, v115
	v_cndmask_b32_e64 v114, v70, v71, s8
	v_cndmask_b32_e64 v71, v71, v70, s8
	v_mov_b32_e32 v70, v114
	s_or_b32 exec_lo, exec_lo, s9
	s_and_saveexec_b32 s9, s93
	s_cbranch_execnz .LBB872_1740
.LBB872_1261:
	s_or_b32 exec_lo, exec_lo, s9
	s_and_saveexec_b32 s9, s94
	s_cbranch_execz .LBB872_1741
.LBB872_1262:
	v_mov_b32_e32 v114, 1
	v_lshlrev_b32_sdwa v115, v114, v66 dst_sel:DWORD dst_unused:UNUSED_PAD src0_sel:DWORD src1_sel:WORD_0
	v_lshlrev_b32_sdwa v116, v114, v67 dst_sel:DWORD dst_unused:UNUSED_PAD src0_sel:DWORD src1_sel:WORD_0
	v_add_co_u32 v114, s8, v6, v115
	v_add_co_ci_u32_e64 v115, null, 0, v7, s8
	v_add_co_u32 v116, s8, v6, v116
	v_add_co_ci_u32_e64 v117, null, 0, v7, s8
	s_clause 0x1
	flat_load_ushort v114, v[114:115]
	flat_load_ushort v115, v[116:117]
	s_waitcnt vmcnt(0) lgkmcnt(0)
	v_cmp_lt_u16_e64 s8, v114, v115
	v_cndmask_b32_e64 v114, v66, v67, s8
	v_cndmask_b32_e64 v67, v67, v66, s8
	v_mov_b32_e32 v66, v114
	s_or_b32 exec_lo, exec_lo, s9
	s_and_saveexec_b32 s9, s95
	s_cbranch_execnz .LBB872_1742
.LBB872_1263:
	s_or_b32 exec_lo, exec_lo, s9
	s_and_saveexec_b32 s9, vcc_hi
	s_cbranch_execz .LBB872_1743
.LBB872_1264:
	v_mov_b32_e32 v114, 1
	v_lshlrev_b32_sdwa v115, v114, v53 dst_sel:DWORD dst_unused:UNUSED_PAD src0_sel:DWORD src1_sel:WORD_0
	v_lshlrev_b32_sdwa v116, v114, v54 dst_sel:DWORD dst_unused:UNUSED_PAD src0_sel:DWORD src1_sel:WORD_0
	v_add_co_u32 v114, s8, v6, v115
	v_add_co_ci_u32_e64 v115, null, 0, v7, s8
	v_add_co_u32 v116, s8, v6, v116
	v_add_co_ci_u32_e64 v117, null, 0, v7, s8
	s_clause 0x1
	flat_load_ushort v114, v[114:115]
	flat_load_ushort v115, v[116:117]
	s_waitcnt vmcnt(0) lgkmcnt(0)
	v_cmp_lt_u16_e64 s8, v114, v115
	v_cndmask_b32_e64 v114, v53, v54, s8
	v_cndmask_b32_e64 v54, v54, v53, s8
	v_mov_b32_e32 v53, v114
	s_or_b32 exec_lo, exec_lo, s9
	s_and_saveexec_b32 s9, s30
	s_cbranch_execnz .LBB872_1744
.LBB872_1265:
	s_or_b32 exec_lo, exec_lo, s9
	s_and_saveexec_b32 s9, s31
	s_cbranch_execz .LBB872_1745
.LBB872_1266:
	v_mov_b32_e32 v114, 1
	v_lshlrev_b32_sdwa v115, v114, v50 dst_sel:DWORD dst_unused:UNUSED_PAD src0_sel:DWORD src1_sel:WORD_0
	v_lshlrev_b32_sdwa v116, v114, v51 dst_sel:DWORD dst_unused:UNUSED_PAD src0_sel:DWORD src1_sel:WORD_0
	v_add_co_u32 v114, s8, v6, v115
	v_add_co_ci_u32_e64 v115, null, 0, v7, s8
	v_add_co_u32 v116, s8, v6, v116
	v_add_co_ci_u32_e64 v117, null, 0, v7, s8
	s_clause 0x1
	flat_load_ushort v114, v[114:115]
	flat_load_ushort v115, v[116:117]
	s_waitcnt vmcnt(0) lgkmcnt(0)
	v_cmp_lt_u16_e64 s8, v114, v115
	v_cndmask_b32_e64 v114, v51, v50, s8
	v_cndmask_b32_e64 v50, v50, v51, s8
	v_mov_b32_e32 v51, v114
	s_or_b32 exec_lo, exec_lo, s9
	s_and_saveexec_b32 s9, s34
	s_cbranch_execnz .LBB872_1746
	s_branch .LBB872_1747
.LBB872_1267:
	s_or_b32 exec_lo, exec_lo, s79
	v_cmp_lt_u32_e64 s78, 4, v114
	s_and_saveexec_b32 s88, s78
	s_cbranch_execz .LBB872_789
.LBB872_1268:
	v_mov_b32_e32 v115, 1
	v_lshlrev_b32_sdwa v116, v115, v98 dst_sel:DWORD dst_unused:UNUSED_PAD src0_sel:DWORD src1_sel:WORD_0
	v_lshlrev_b32_sdwa v117, v115, v100 dst_sel:DWORD dst_unused:UNUSED_PAD src0_sel:DWORD src1_sel:WORD_0
	v_add_co_u32 v115, s79, v6, v116
	v_add_co_ci_u32_e64 v116, null, 0, v7, s79
	v_add_co_u32 v117, s79, v6, v117
	v_add_co_ci_u32_e64 v118, null, 0, v7, s79
	s_clause 0x1
	flat_load_ushort v115, v[115:116]
	flat_load_ushort v116, v[117:118]
	s_waitcnt vmcnt(0) lgkmcnt(0)
	v_cmp_lt_u16_e64 s79, v115, v116
	v_cndmask_b32_e64 v115, v98, v100, s79
	v_cndmask_b32_e64 v100, v100, v98, s79
	v_mov_b32_e32 v98, v115
	s_or_b32 exec_lo, exec_lo, s88
	v_cmp_lt_u32_e64 s79, 6, v114
	s_and_saveexec_b32 s89, s79
	s_cbranch_execnz .LBB872_790
.LBB872_1269:
	s_or_b32 exec_lo, exec_lo, s89
	v_cmp_lt_u32_e64 s88, 8, v114
	s_and_saveexec_b32 s90, s88
	s_cbranch_execz .LBB872_791
.LBB872_1270:
	v_mov_b32_e32 v115, 1
	v_lshlrev_b32_sdwa v116, v115, v86 dst_sel:DWORD dst_unused:UNUSED_PAD src0_sel:DWORD src1_sel:WORD_0
	v_lshlrev_b32_sdwa v117, v115, v87 dst_sel:DWORD dst_unused:UNUSED_PAD src0_sel:DWORD src1_sel:WORD_0
	v_add_co_u32 v115, s89, v6, v116
	v_add_co_ci_u32_e64 v116, null, 0, v7, s89
	v_add_co_u32 v117, s89, v6, v117
	v_add_co_ci_u32_e64 v118, null, 0, v7, s89
	s_clause 0x1
	flat_load_ushort v115, v[115:116]
	flat_load_ushort v116, v[117:118]
	s_waitcnt vmcnt(0) lgkmcnt(0)
	v_cmp_lt_u16_e64 s89, v115, v116
	v_cndmask_b32_e64 v115, v86, v87, s89
	v_cndmask_b32_e64 v87, v87, v86, s89
	v_mov_b32_e32 v86, v115
	s_or_b32 exec_lo, exec_lo, s90
	v_cmp_lt_u32_e64 s89, 10, v114
	s_and_saveexec_b32 s91, s89
	s_cbranch_execnz .LBB872_792
.LBB872_1271:
	s_or_b32 exec_lo, exec_lo, s91
	v_cmp_lt_u32_e64 s90, 12, v114
	s_and_saveexec_b32 s92, s90
	s_cbranch_execz .LBB872_793
.LBB872_1272:
	v_mov_b32_e32 v115, 1
	v_lshlrev_b32_sdwa v116, v115, v82 dst_sel:DWORD dst_unused:UNUSED_PAD src0_sel:DWORD src1_sel:WORD_0
	v_lshlrev_b32_sdwa v117, v115, v83 dst_sel:DWORD dst_unused:UNUSED_PAD src0_sel:DWORD src1_sel:WORD_0
	v_add_co_u32 v115, s91, v6, v116
	v_add_co_ci_u32_e64 v116, null, 0, v7, s91
	v_add_co_u32 v117, s91, v6, v117
	v_add_co_ci_u32_e64 v118, null, 0, v7, s91
	s_clause 0x1
	flat_load_ushort v115, v[115:116]
	flat_load_ushort v116, v[117:118]
	s_waitcnt vmcnt(0) lgkmcnt(0)
	v_cmp_lt_u16_e64 s91, v115, v116
	v_cndmask_b32_e64 v115, v82, v83, s91
	v_cndmask_b32_e64 v83, v83, v82, s91
	v_mov_b32_e32 v82, v115
	s_or_b32 exec_lo, exec_lo, s92
	v_cmp_lt_u32_e64 s91, 14, v114
	s_and_saveexec_b32 s93, s91
	s_cbranch_execnz .LBB872_794
.LBB872_1273:
	s_or_b32 exec_lo, exec_lo, s93
	v_cmp_lt_u32_e64 s92, 16, v114
	s_and_saveexec_b32 s94, s92
	s_cbranch_execz .LBB872_795
.LBB872_1274:
	v_mov_b32_e32 v115, 1
	v_lshlrev_b32_sdwa v116, v115, v70 dst_sel:DWORD dst_unused:UNUSED_PAD src0_sel:DWORD src1_sel:WORD_0
	v_lshlrev_b32_sdwa v117, v115, v71 dst_sel:DWORD dst_unused:UNUSED_PAD src0_sel:DWORD src1_sel:WORD_0
	v_add_co_u32 v115, s93, v6, v116
	v_add_co_ci_u32_e64 v116, null, 0, v7, s93
	v_add_co_u32 v117, s93, v6, v117
	v_add_co_ci_u32_e64 v118, null, 0, v7, s93
	s_clause 0x1
	flat_load_ushort v115, v[115:116]
	flat_load_ushort v116, v[117:118]
	s_waitcnt vmcnt(0) lgkmcnt(0)
	v_cmp_lt_u16_e64 s93, v115, v116
	v_cndmask_b32_e64 v115, v70, v71, s93
	v_cndmask_b32_e64 v71, v71, v70, s93
	v_mov_b32_e32 v70, v115
	s_or_b32 exec_lo, exec_lo, s94
	v_cmp_lt_u32_e64 s93, 18, v114
	s_and_saveexec_b32 s95, s93
	s_cbranch_execnz .LBB872_796
.LBB872_1275:
	s_or_b32 exec_lo, exec_lo, s95
	v_cmp_lt_u32_e64 s94, 20, v114
	s_and_saveexec_b32 vcc_hi, s94
	s_cbranch_execz .LBB872_797
.LBB872_1276:
	v_mov_b32_e32 v115, 1
	v_lshlrev_b32_sdwa v116, v115, v66 dst_sel:DWORD dst_unused:UNUSED_PAD src0_sel:DWORD src1_sel:WORD_0
	v_lshlrev_b32_sdwa v117, v115, v67 dst_sel:DWORD dst_unused:UNUSED_PAD src0_sel:DWORD src1_sel:WORD_0
	v_add_co_u32 v115, s95, v6, v116
	v_add_co_ci_u32_e64 v116, null, 0, v7, s95
	v_add_co_u32 v117, s95, v6, v117
	v_add_co_ci_u32_e64 v118, null, 0, v7, s95
	s_clause 0x1
	flat_load_ushort v115, v[115:116]
	flat_load_ushort v116, v[117:118]
	s_waitcnt vmcnt(0) lgkmcnt(0)
	v_cmp_lt_u16_e64 s95, v115, v116
	v_cndmask_b32_e64 v115, v66, v67, s95
	v_cndmask_b32_e64 v67, v67, v66, s95
	v_mov_b32_e32 v66, v115
	s_or_b32 exec_lo, exec_lo, vcc_hi
	v_cmp_lt_u32_e64 s95, 22, v114
	s_and_saveexec_b32 s30, s95
	s_cbranch_execnz .LBB872_798
.LBB872_1277:
	s_or_b32 exec_lo, exec_lo, s30
	v_cmp_lt_u32_e64 vcc_hi, 24, v114
	s_and_saveexec_b32 s31, vcc_hi
	s_cbranch_execz .LBB872_799
.LBB872_1278:
	v_mov_b32_e32 v115, 1
	v_lshlrev_b32_sdwa v116, v115, v53 dst_sel:DWORD dst_unused:UNUSED_PAD src0_sel:DWORD src1_sel:WORD_0
	v_lshlrev_b32_sdwa v117, v115, v54 dst_sel:DWORD dst_unused:UNUSED_PAD src0_sel:DWORD src1_sel:WORD_0
	v_add_co_u32 v115, s30, v6, v116
	v_add_co_ci_u32_e64 v116, null, 0, v7, s30
	v_add_co_u32 v117, s30, v6, v117
	v_add_co_ci_u32_e64 v118, null, 0, v7, s30
	s_clause 0x1
	flat_load_ushort v115, v[115:116]
	flat_load_ushort v116, v[117:118]
	s_waitcnt vmcnt(0) lgkmcnt(0)
	v_cmp_lt_u16_e64 s30, v115, v116
	v_cndmask_b32_e64 v115, v53, v54, s30
	v_cndmask_b32_e64 v54, v54, v53, s30
	v_mov_b32_e32 v53, v115
	s_or_b32 exec_lo, exec_lo, s31
	v_cmp_lt_u32_e64 s30, 26, v114
	s_and_saveexec_b32 s34, s30
	s_cbranch_execnz .LBB872_800
.LBB872_1279:
	s_or_b32 exec_lo, exec_lo, s34
	v_cmp_lt_u32_e64 s31, 28, v114
	s_and_saveexec_b32 s35, s31
	s_cbranch_execz .LBB872_801
.LBB872_1280:
	v_mov_b32_e32 v115, 1
	v_lshlrev_b32_sdwa v116, v115, v50 dst_sel:DWORD dst_unused:UNUSED_PAD src0_sel:DWORD src1_sel:WORD_0
	v_lshlrev_b32_sdwa v117, v115, v51 dst_sel:DWORD dst_unused:UNUSED_PAD src0_sel:DWORD src1_sel:WORD_0
	v_add_co_u32 v115, s34, v6, v116
	v_add_co_ci_u32_e64 v116, null, 0, v7, s34
	v_add_co_u32 v117, s34, v6, v117
	v_add_co_ci_u32_e64 v118, null, 0, v7, s34
	s_clause 0x1
	flat_load_ushort v115, v[115:116]
	flat_load_ushort v116, v[117:118]
	s_waitcnt vmcnt(0) lgkmcnt(0)
	v_cmp_lt_u16_e64 s34, v115, v116
	v_cndmask_b32_e64 v115, v51, v50, s34
	v_cndmask_b32_e64 v50, v50, v51, s34
	v_mov_b32_e32 v51, v115
	s_or_b32 exec_lo, exec_lo, s35
	v_cmp_lt_u32_e64 s34, 30, v114
	s_and_saveexec_b32 s38, s34
	s_cbranch_execnz .LBB872_802
.LBB872_1281:
	s_or_b32 exec_lo, exec_lo, s38
	s_and_saveexec_b32 s38, s8
	s_cbranch_execz .LBB872_803
.LBB872_1282:
	v_mov_b32_e32 v114, 1
	v_lshlrev_b32_sdwa v115, v114, v102 dst_sel:DWORD dst_unused:UNUSED_PAD src0_sel:DWORD src1_sel:WORD_0
	v_lshlrev_b32_sdwa v116, v114, v99 dst_sel:DWORD dst_unused:UNUSED_PAD src0_sel:DWORD src1_sel:WORD_0
	v_add_co_u32 v114, s35, v6, v115
	v_add_co_ci_u32_e64 v115, null, 0, v7, s35
	v_add_co_u32 v116, s35, v6, v116
	v_add_co_ci_u32_e64 v117, null, 0, v7, s35
	s_clause 0x1
	flat_load_ushort v114, v[114:115]
	flat_load_ushort v115, v[116:117]
	s_waitcnt vmcnt(0) lgkmcnt(0)
	v_cmp_lt_u16_e64 s35, v114, v115
	v_cndmask_b32_e64 v114, v102, v99, s35
	v_cndmask_b32_e64 v99, v99, v102, s35
	v_mov_b32_e32 v102, v114
	s_or_b32 exec_lo, exec_lo, s38
	s_and_saveexec_b32 s38, s9
	s_cbranch_execnz .LBB872_804
.LBB872_1283:
	s_or_b32 exec_lo, exec_lo, s38
	s_and_saveexec_b32 s38, s12
	s_cbranch_execz .LBB872_805
.LBB872_1284:
	v_mov_b32_e32 v114, 1
	v_lshlrev_b32_sdwa v115, v114, v97 dst_sel:DWORD dst_unused:UNUSED_PAD src0_sel:DWORD src1_sel:WORD_0
	v_lshlrev_b32_sdwa v116, v114, v98 dst_sel:DWORD dst_unused:UNUSED_PAD src0_sel:DWORD src1_sel:WORD_0
	v_add_co_u32 v114, s35, v6, v115
	v_add_co_ci_u32_e64 v115, null, 0, v7, s35
	v_add_co_u32 v116, s35, v6, v116
	v_add_co_ci_u32_e64 v117, null, 0, v7, s35
	s_clause 0x1
	flat_load_ushort v114, v[114:115]
	flat_load_ushort v115, v[116:117]
	s_waitcnt vmcnt(0) lgkmcnt(0)
	v_cmp_lt_u16_e64 s35, v114, v115
	v_cndmask_b32_e64 v114, v97, v98, s35
	v_cndmask_b32_e64 v98, v98, v97, s35
	v_mov_b32_e32 v97, v114
	s_or_b32 exec_lo, exec_lo, s38
	s_and_saveexec_b32 s38, s13
	s_cbranch_execnz .LBB872_806
.LBB872_1285:
	s_or_b32 exec_lo, exec_lo, s38
	s_and_saveexec_b32 s38, s57
	s_cbranch_execz .LBB872_807
.LBB872_1286:
	v_mov_b32_e32 v114, 1
	v_lshlrev_b32_sdwa v115, v114, v85 dst_sel:DWORD dst_unused:UNUSED_PAD src0_sel:DWORD src1_sel:WORD_0
	v_lshlrev_b32_sdwa v116, v114, v86 dst_sel:DWORD dst_unused:UNUSED_PAD src0_sel:DWORD src1_sel:WORD_0
	v_add_co_u32 v114, s35, v6, v115
	v_add_co_ci_u32_e64 v115, null, 0, v7, s35
	v_add_co_u32 v116, s35, v6, v116
	v_add_co_ci_u32_e64 v117, null, 0, v7, s35
	s_clause 0x1
	flat_load_ushort v114, v[114:115]
	flat_load_ushort v115, v[116:117]
	s_waitcnt vmcnt(0) lgkmcnt(0)
	v_cmp_lt_u16_e64 s35, v114, v115
	v_cndmask_b32_e64 v114, v85, v86, s35
	v_cndmask_b32_e64 v86, v86, v85, s35
	v_mov_b32_e32 v85, v114
	s_or_b32 exec_lo, exec_lo, s38
	s_and_saveexec_b32 s38, s58
	s_cbranch_execnz .LBB872_808
.LBB872_1287:
	s_or_b32 exec_lo, exec_lo, s38
	s_and_saveexec_b32 s38, s59
	s_cbranch_execz .LBB872_809
.LBB872_1288:
	v_mov_b32_e32 v114, 1
	v_lshlrev_b32_sdwa v115, v114, v81 dst_sel:DWORD dst_unused:UNUSED_PAD src0_sel:DWORD src1_sel:WORD_0
	v_lshlrev_b32_sdwa v116, v114, v82 dst_sel:DWORD dst_unused:UNUSED_PAD src0_sel:DWORD src1_sel:WORD_0
	v_add_co_u32 v114, s35, v6, v115
	v_add_co_ci_u32_e64 v115, null, 0, v7, s35
	v_add_co_u32 v116, s35, v6, v116
	v_add_co_ci_u32_e64 v117, null, 0, v7, s35
	s_clause 0x1
	flat_load_ushort v114, v[114:115]
	flat_load_ushort v115, v[116:117]
	s_waitcnt vmcnt(0) lgkmcnt(0)
	v_cmp_lt_u16_e64 s35, v114, v115
	v_cndmask_b32_e64 v114, v81, v82, s35
	v_cndmask_b32_e64 v82, v82, v81, s35
	v_mov_b32_e32 v81, v114
	s_or_b32 exec_lo, exec_lo, s38
	s_and_saveexec_b32 s38, s60
	s_cbranch_execnz .LBB872_810
.LBB872_1289:
	s_or_b32 exec_lo, exec_lo, s38
	s_and_saveexec_b32 s38, s61
	s_cbranch_execz .LBB872_811
.LBB872_1290:
	v_mov_b32_e32 v114, 1
	v_lshlrev_b32_sdwa v115, v114, v69 dst_sel:DWORD dst_unused:UNUSED_PAD src0_sel:DWORD src1_sel:WORD_0
	v_lshlrev_b32_sdwa v116, v114, v70 dst_sel:DWORD dst_unused:UNUSED_PAD src0_sel:DWORD src1_sel:WORD_0
	v_add_co_u32 v114, s35, v6, v115
	v_add_co_ci_u32_e64 v115, null, 0, v7, s35
	v_add_co_u32 v116, s35, v6, v116
	v_add_co_ci_u32_e64 v117, null, 0, v7, s35
	s_clause 0x1
	flat_load_ushort v114, v[114:115]
	flat_load_ushort v115, v[116:117]
	s_waitcnt vmcnt(0) lgkmcnt(0)
	v_cmp_lt_u16_e64 s35, v114, v115
	v_cndmask_b32_e64 v114, v69, v70, s35
	v_cndmask_b32_e64 v70, v70, v69, s35
	v_mov_b32_e32 v69, v114
	s_or_b32 exec_lo, exec_lo, s38
	s_and_saveexec_b32 s38, s62
	s_cbranch_execnz .LBB872_812
.LBB872_1291:
	s_or_b32 exec_lo, exec_lo, s38
	s_and_saveexec_b32 s38, s63
	s_cbranch_execz .LBB872_813
.LBB872_1292:
	v_mov_b32_e32 v114, 1
	v_lshlrev_b32_sdwa v115, v114, v65 dst_sel:DWORD dst_unused:UNUSED_PAD src0_sel:DWORD src1_sel:WORD_0
	v_lshlrev_b32_sdwa v116, v114, v66 dst_sel:DWORD dst_unused:UNUSED_PAD src0_sel:DWORD src1_sel:WORD_0
	v_add_co_u32 v114, s35, v6, v115
	v_add_co_ci_u32_e64 v115, null, 0, v7, s35
	v_add_co_u32 v116, s35, v6, v116
	v_add_co_ci_u32_e64 v117, null, 0, v7, s35
	s_clause 0x1
	flat_load_ushort v114, v[114:115]
	flat_load_ushort v115, v[116:117]
	s_waitcnt vmcnt(0) lgkmcnt(0)
	v_cmp_lt_u16_e64 s35, v114, v115
	v_cndmask_b32_e64 v114, v65, v66, s35
	v_cndmask_b32_e64 v66, v66, v65, s35
	v_mov_b32_e32 v65, v114
	s_or_b32 exec_lo, exec_lo, s38
	s_and_saveexec_b32 s38, s72
	s_cbranch_execnz .LBB872_814
.LBB872_1293:
	s_or_b32 exec_lo, exec_lo, s38
	s_and_saveexec_b32 s38, s73
	s_cbranch_execz .LBB872_815
.LBB872_1294:
	v_mov_b32_e32 v114, 1
	v_lshlrev_b32_sdwa v115, v114, v64 dst_sel:DWORD dst_unused:UNUSED_PAD src0_sel:DWORD src1_sel:WORD_0
	v_lshlrev_b32_sdwa v116, v114, v53 dst_sel:DWORD dst_unused:UNUSED_PAD src0_sel:DWORD src1_sel:WORD_0
	v_add_co_u32 v114, s35, v6, v115
	v_add_co_ci_u32_e64 v115, null, 0, v7, s35
	v_add_co_u32 v116, s35, v6, v116
	v_add_co_ci_u32_e64 v117, null, 0, v7, s35
	s_clause 0x1
	flat_load_ushort v114, v[114:115]
	flat_load_ushort v115, v[116:117]
	s_waitcnt vmcnt(0) lgkmcnt(0)
	v_cmp_lt_u16_e64 s35, v114, v115
	v_cndmask_b32_e64 v114, v64, v53, s35
	v_cndmask_b32_e64 v53, v53, v64, s35
	v_mov_b32_e32 v64, v114
	s_or_b32 exec_lo, exec_lo, s38
	s_and_saveexec_b32 s38, s74
	s_cbranch_execnz .LBB872_816
.LBB872_1295:
	s_or_b32 exec_lo, exec_lo, s38
	s_and_saveexec_b32 s38, s75
	s_cbranch_execz .LBB872_817
.LBB872_1296:
	v_mov_b32_e32 v114, 1
	v_lshlrev_b32_sdwa v115, v114, v49 dst_sel:DWORD dst_unused:UNUSED_PAD src0_sel:DWORD src1_sel:WORD_0
	v_lshlrev_b32_sdwa v116, v114, v50 dst_sel:DWORD dst_unused:UNUSED_PAD src0_sel:DWORD src1_sel:WORD_0
	v_add_co_u32 v114, s35, v6, v115
	v_add_co_ci_u32_e64 v115, null, 0, v7, s35
	v_add_co_u32 v116, s35, v6, v116
	v_add_co_ci_u32_e64 v117, null, 0, v7, s35
	s_clause 0x1
	flat_load_ushort v114, v[114:115]
	flat_load_ushort v115, v[116:117]
	s_waitcnt vmcnt(0) lgkmcnt(0)
	v_cmp_lt_u16_e64 s35, v114, v115
	v_cndmask_b32_e64 v114, v50, v49, s35
	v_cndmask_b32_e64 v49, v49, v50, s35
	v_mov_b32_e32 v50, v114
	s_or_b32 exec_lo, exec_lo, s38
	s_and_saveexec_b32 s38, s76
	s_cbranch_execnz .LBB872_818
.LBB872_1297:
	s_or_b32 exec_lo, exec_lo, s38
	s_and_saveexec_b32 s38, s77
	s_cbranch_execz .LBB872_819
.LBB872_1298:
	v_mov_b32_e32 v114, 1
	v_lshlrev_b32_sdwa v115, v114, v101 dst_sel:DWORD dst_unused:UNUSED_PAD src0_sel:DWORD src1_sel:WORD_0
	v_lshlrev_b32_sdwa v116, v114, v102 dst_sel:DWORD dst_unused:UNUSED_PAD src0_sel:DWORD src1_sel:WORD_0
	v_add_co_u32 v114, s35, v6, v115
	v_add_co_ci_u32_e64 v115, null, 0, v7, s35
	v_add_co_u32 v116, s35, v6, v116
	v_add_co_ci_u32_e64 v117, null, 0, v7, s35
	s_clause 0x1
	flat_load_ushort v114, v[114:115]
	flat_load_ushort v115, v[116:117]
	s_waitcnt vmcnt(0) lgkmcnt(0)
	v_cmp_lt_u16_e64 s35, v114, v115
	v_cndmask_b32_e64 v114, v101, v102, s35
	v_cndmask_b32_e64 v102, v102, v101, s35
	v_mov_b32_e32 v101, v114
	s_or_b32 exec_lo, exec_lo, s38
	s_and_saveexec_b32 s38, s78
	s_cbranch_execnz .LBB872_820
.LBB872_1299:
	s_or_b32 exec_lo, exec_lo, s38
	s_and_saveexec_b32 s38, s79
	s_cbranch_execz .LBB872_821
.LBB872_1300:
	v_mov_b32_e32 v114, 1
	v_lshlrev_b32_sdwa v115, v114, v96 dst_sel:DWORD dst_unused:UNUSED_PAD src0_sel:DWORD src1_sel:WORD_0
	v_lshlrev_b32_sdwa v116, v114, v97 dst_sel:DWORD dst_unused:UNUSED_PAD src0_sel:DWORD src1_sel:WORD_0
	v_add_co_u32 v114, s35, v6, v115
	v_add_co_ci_u32_e64 v115, null, 0, v7, s35
	v_add_co_u32 v116, s35, v6, v116
	v_add_co_ci_u32_e64 v117, null, 0, v7, s35
	s_clause 0x1
	flat_load_ushort v114, v[114:115]
	flat_load_ushort v115, v[116:117]
	s_waitcnt vmcnt(0) lgkmcnt(0)
	v_cmp_lt_u16_e64 s35, v114, v115
	v_cndmask_b32_e64 v114, v96, v97, s35
	v_cndmask_b32_e64 v97, v97, v96, s35
	v_mov_b32_e32 v96, v114
	s_or_b32 exec_lo, exec_lo, s38
	s_and_saveexec_b32 s38, s88
	s_cbranch_execnz .LBB872_822
.LBB872_1301:
	s_or_b32 exec_lo, exec_lo, s38
	s_and_saveexec_b32 s38, s89
	s_cbranch_execz .LBB872_823
.LBB872_1302:
	v_mov_b32_e32 v114, 1
	v_lshlrev_b32_sdwa v115, v114, v84 dst_sel:DWORD dst_unused:UNUSED_PAD src0_sel:DWORD src1_sel:WORD_0
	v_lshlrev_b32_sdwa v116, v114, v85 dst_sel:DWORD dst_unused:UNUSED_PAD src0_sel:DWORD src1_sel:WORD_0
	v_add_co_u32 v114, s35, v6, v115
	v_add_co_ci_u32_e64 v115, null, 0, v7, s35
	v_add_co_u32 v116, s35, v6, v116
	v_add_co_ci_u32_e64 v117, null, 0, v7, s35
	s_clause 0x1
	flat_load_ushort v114, v[114:115]
	flat_load_ushort v115, v[116:117]
	s_waitcnt vmcnt(0) lgkmcnt(0)
	v_cmp_lt_u16_e64 s35, v114, v115
	v_cndmask_b32_e64 v114, v84, v85, s35
	v_cndmask_b32_e64 v85, v85, v84, s35
	v_mov_b32_e32 v84, v114
	s_or_b32 exec_lo, exec_lo, s38
	s_and_saveexec_b32 s38, s90
	s_cbranch_execnz .LBB872_824
.LBB872_1303:
	s_or_b32 exec_lo, exec_lo, s38
	s_and_saveexec_b32 s38, s91
	s_cbranch_execz .LBB872_825
.LBB872_1304:
	v_mov_b32_e32 v114, 1
	v_lshlrev_b32_sdwa v115, v114, v80 dst_sel:DWORD dst_unused:UNUSED_PAD src0_sel:DWORD src1_sel:WORD_0
	v_lshlrev_b32_sdwa v116, v114, v81 dst_sel:DWORD dst_unused:UNUSED_PAD src0_sel:DWORD src1_sel:WORD_0
	v_add_co_u32 v114, s35, v6, v115
	v_add_co_ci_u32_e64 v115, null, 0, v7, s35
	v_add_co_u32 v116, s35, v6, v116
	v_add_co_ci_u32_e64 v117, null, 0, v7, s35
	s_clause 0x1
	flat_load_ushort v114, v[114:115]
	flat_load_ushort v115, v[116:117]
	s_waitcnt vmcnt(0) lgkmcnt(0)
	v_cmp_lt_u16_e64 s35, v114, v115
	v_cndmask_b32_e64 v114, v80, v81, s35
	v_cndmask_b32_e64 v81, v81, v80, s35
	v_mov_b32_e32 v80, v114
	s_or_b32 exec_lo, exec_lo, s38
	s_and_saveexec_b32 s38, s92
	s_cbranch_execnz .LBB872_826
.LBB872_1305:
	s_or_b32 exec_lo, exec_lo, s38
	s_and_saveexec_b32 s38, s93
	s_cbranch_execz .LBB872_827
.LBB872_1306:
	v_mov_b32_e32 v114, 1
	v_lshlrev_b32_sdwa v115, v114, v68 dst_sel:DWORD dst_unused:UNUSED_PAD src0_sel:DWORD src1_sel:WORD_0
	v_lshlrev_b32_sdwa v116, v114, v69 dst_sel:DWORD dst_unused:UNUSED_PAD src0_sel:DWORD src1_sel:WORD_0
	v_add_co_u32 v114, s35, v6, v115
	v_add_co_ci_u32_e64 v115, null, 0, v7, s35
	v_add_co_u32 v116, s35, v6, v116
	v_add_co_ci_u32_e64 v117, null, 0, v7, s35
	s_clause 0x1
	flat_load_ushort v114, v[114:115]
	flat_load_ushort v115, v[116:117]
	s_waitcnt vmcnt(0) lgkmcnt(0)
	v_cmp_lt_u16_e64 s35, v114, v115
	v_cndmask_b32_e64 v114, v68, v69, s35
	v_cndmask_b32_e64 v69, v69, v68, s35
	v_mov_b32_e32 v68, v114
	s_or_b32 exec_lo, exec_lo, s38
	s_and_saveexec_b32 s38, s94
	s_cbranch_execnz .LBB872_828
.LBB872_1307:
	s_or_b32 exec_lo, exec_lo, s38
	s_and_saveexec_b32 s38, s95
	s_cbranch_execz .LBB872_829
.LBB872_1308:
	v_mov_b32_e32 v114, 1
	v_lshlrev_b32_sdwa v115, v114, v55 dst_sel:DWORD dst_unused:UNUSED_PAD src0_sel:DWORD src1_sel:WORD_0
	v_lshlrev_b32_sdwa v116, v114, v65 dst_sel:DWORD dst_unused:UNUSED_PAD src0_sel:DWORD src1_sel:WORD_0
	v_add_co_u32 v114, s35, v6, v115
	v_add_co_ci_u32_e64 v115, null, 0, v7, s35
	v_add_co_u32 v116, s35, v6, v116
	v_add_co_ci_u32_e64 v117, null, 0, v7, s35
	s_clause 0x1
	flat_load_ushort v114, v[114:115]
	flat_load_ushort v115, v[116:117]
	s_waitcnt vmcnt(0) lgkmcnt(0)
	v_cmp_lt_u16_e64 s35, v114, v115
	v_cndmask_b32_e64 v114, v55, v65, s35
	v_cndmask_b32_e64 v65, v65, v55, s35
	v_mov_b32_e32 v55, v114
	s_or_b32 exec_lo, exec_lo, s38
	s_and_saveexec_b32 s38, vcc_hi
	s_cbranch_execnz .LBB872_830
.LBB872_1309:
	s_or_b32 exec_lo, exec_lo, s38
	s_and_saveexec_b32 s38, s30
	s_cbranch_execz .LBB872_831
.LBB872_1310:
	v_mov_b32_e32 v114, 1
	v_lshlrev_b32_sdwa v115, v114, v52 dst_sel:DWORD dst_unused:UNUSED_PAD src0_sel:DWORD src1_sel:WORD_0
	v_lshlrev_b32_sdwa v116, v114, v64 dst_sel:DWORD dst_unused:UNUSED_PAD src0_sel:DWORD src1_sel:WORD_0
	v_add_co_u32 v114, s35, v6, v115
	v_add_co_ci_u32_e64 v115, null, 0, v7, s35
	v_add_co_u32 v116, s35, v6, v116
	v_add_co_ci_u32_e64 v117, null, 0, v7, s35
	s_clause 0x1
	flat_load_ushort v114, v[114:115]
	flat_load_ushort v115, v[116:117]
	s_waitcnt vmcnt(0) lgkmcnt(0)
	v_cmp_lt_u16_e64 s35, v114, v115
	v_cndmask_b32_e64 v114, v64, v52, s35
	v_cndmask_b32_e64 v52, v52, v64, s35
	v_mov_b32_e32 v64, v114
	s_or_b32 exec_lo, exec_lo, s38
	s_and_saveexec_b32 s38, s31
	s_cbranch_execnz .LBB872_832
.LBB872_1311:
	s_or_b32 exec_lo, exec_lo, s38
	s_and_saveexec_b32 s38, s34
	s_cbranch_execz .LBB872_833
.LBB872_1312:
	v_mov_b32_e32 v114, 1
	v_lshlrev_b32_sdwa v115, v114, v103 dst_sel:DWORD dst_unused:UNUSED_PAD src0_sel:DWORD src1_sel:WORD_0
	v_lshlrev_b32_sdwa v116, v114, v49 dst_sel:DWORD dst_unused:UNUSED_PAD src0_sel:DWORD src1_sel:WORD_0
	v_add_co_u32 v114, s35, v6, v115
	v_add_co_ci_u32_e64 v115, null, 0, v7, s35
	v_add_co_u32 v116, s35, v6, v116
	v_add_co_ci_u32_e64 v117, null, 0, v7, s35
	s_clause 0x1
	flat_load_ushort v114, v[114:115]
	flat_load_ushort v115, v[116:117]
	s_waitcnt vmcnt(0) lgkmcnt(0)
	v_cmp_lt_u16_e64 s35, v114, v115
	v_cndmask_b32_e64 v114, v49, v103, s35
	v_cndmask_b32_e64 v103, v103, v49, s35
	v_mov_b32_e32 v49, v114
	s_or_b32 exec_lo, exec_lo, s38
	s_and_saveexec_b32 s38, s8
	s_cbranch_execnz .LBB872_834
.LBB872_1313:
	s_or_b32 exec_lo, exec_lo, s38
	s_and_saveexec_b32 s38, s9
	s_cbranch_execz .LBB872_835
.LBB872_1314:
	v_mov_b32_e32 v114, 1
	v_lshlrev_b32_sdwa v115, v114, v100 dst_sel:DWORD dst_unused:UNUSED_PAD src0_sel:DWORD src1_sel:WORD_0
	v_lshlrev_b32_sdwa v116, v114, v101 dst_sel:DWORD dst_unused:UNUSED_PAD src0_sel:DWORD src1_sel:WORD_0
	v_add_co_u32 v114, s35, v6, v115
	v_add_co_ci_u32_e64 v115, null, 0, v7, s35
	v_add_co_u32 v116, s35, v6, v116
	v_add_co_ci_u32_e64 v117, null, 0, v7, s35
	s_clause 0x1
	flat_load_ushort v114, v[114:115]
	flat_load_ushort v115, v[116:117]
	s_waitcnt vmcnt(0) lgkmcnt(0)
	v_cmp_lt_u16_e64 s35, v114, v115
	v_cndmask_b32_e64 v114, v100, v101, s35
	v_cndmask_b32_e64 v101, v101, v100, s35
	v_mov_b32_e32 v100, v114
	s_or_b32 exec_lo, exec_lo, s38
	s_and_saveexec_b32 s38, s12
	s_cbranch_execnz .LBB872_836
.LBB872_1315:
	s_or_b32 exec_lo, exec_lo, s38
	s_and_saveexec_b32 s38, s13
	s_cbranch_execz .LBB872_837
.LBB872_1316:
	v_mov_b32_e32 v114, 1
	v_lshlrev_b32_sdwa v115, v114, v87 dst_sel:DWORD dst_unused:UNUSED_PAD src0_sel:DWORD src1_sel:WORD_0
	v_lshlrev_b32_sdwa v116, v114, v96 dst_sel:DWORD dst_unused:UNUSED_PAD src0_sel:DWORD src1_sel:WORD_0
	v_add_co_u32 v114, s35, v6, v115
	v_add_co_ci_u32_e64 v115, null, 0, v7, s35
	v_add_co_u32 v116, s35, v6, v116
	v_add_co_ci_u32_e64 v117, null, 0, v7, s35
	s_clause 0x1
	flat_load_ushort v114, v[114:115]
	flat_load_ushort v115, v[116:117]
	s_waitcnt vmcnt(0) lgkmcnt(0)
	v_cmp_lt_u16_e64 s35, v114, v115
	v_cndmask_b32_e64 v114, v87, v96, s35
	v_cndmask_b32_e64 v96, v96, v87, s35
	v_mov_b32_e32 v87, v114
	s_or_b32 exec_lo, exec_lo, s38
	s_and_saveexec_b32 s38, s57
	s_cbranch_execnz .LBB872_838
.LBB872_1317:
	s_or_b32 exec_lo, exec_lo, s38
	s_and_saveexec_b32 s38, s58
	s_cbranch_execz .LBB872_839
.LBB872_1318:
	v_mov_b32_e32 v114, 1
	v_lshlrev_b32_sdwa v115, v114, v83 dst_sel:DWORD dst_unused:UNUSED_PAD src0_sel:DWORD src1_sel:WORD_0
	v_lshlrev_b32_sdwa v116, v114, v84 dst_sel:DWORD dst_unused:UNUSED_PAD src0_sel:DWORD src1_sel:WORD_0
	v_add_co_u32 v114, s35, v6, v115
	v_add_co_ci_u32_e64 v115, null, 0, v7, s35
	v_add_co_u32 v116, s35, v6, v116
	v_add_co_ci_u32_e64 v117, null, 0, v7, s35
	s_clause 0x1
	flat_load_ushort v114, v[114:115]
	flat_load_ushort v115, v[116:117]
	s_waitcnt vmcnt(0) lgkmcnt(0)
	v_cmp_lt_u16_e64 s35, v114, v115
	v_cndmask_b32_e64 v114, v83, v84, s35
	v_cndmask_b32_e64 v84, v84, v83, s35
	v_mov_b32_e32 v83, v114
	s_or_b32 exec_lo, exec_lo, s38
	s_and_saveexec_b32 s38, s59
	s_cbranch_execnz .LBB872_840
.LBB872_1319:
	s_or_b32 exec_lo, exec_lo, s38
	s_and_saveexec_b32 s38, s60
	s_cbranch_execz .LBB872_841
.LBB872_1320:
	v_mov_b32_e32 v114, 1
	v_lshlrev_b32_sdwa v115, v114, v71 dst_sel:DWORD dst_unused:UNUSED_PAD src0_sel:DWORD src1_sel:WORD_0
	v_lshlrev_b32_sdwa v116, v114, v80 dst_sel:DWORD dst_unused:UNUSED_PAD src0_sel:DWORD src1_sel:WORD_0
	v_add_co_u32 v114, s35, v6, v115
	v_add_co_ci_u32_e64 v115, null, 0, v7, s35
	v_add_co_u32 v116, s35, v6, v116
	v_add_co_ci_u32_e64 v117, null, 0, v7, s35
	s_clause 0x1
	flat_load_ushort v114, v[114:115]
	flat_load_ushort v115, v[116:117]
	s_waitcnt vmcnt(0) lgkmcnt(0)
	v_cmp_lt_u16_e64 s35, v114, v115
	v_cndmask_b32_e64 v114, v71, v80, s35
	v_cndmask_b32_e64 v80, v80, v71, s35
	v_mov_b32_e32 v71, v114
	s_or_b32 exec_lo, exec_lo, s38
	s_and_saveexec_b32 s38, s61
	s_cbranch_execnz .LBB872_842
.LBB872_1321:
	s_or_b32 exec_lo, exec_lo, s38
	s_and_saveexec_b32 s38, s62
	s_cbranch_execz .LBB872_843
.LBB872_1322:
	v_mov_b32_e32 v114, 1
	v_lshlrev_b32_sdwa v115, v114, v67 dst_sel:DWORD dst_unused:UNUSED_PAD src0_sel:DWORD src1_sel:WORD_0
	v_lshlrev_b32_sdwa v116, v114, v68 dst_sel:DWORD dst_unused:UNUSED_PAD src0_sel:DWORD src1_sel:WORD_0
	v_add_co_u32 v114, s35, v6, v115
	v_add_co_ci_u32_e64 v115, null, 0, v7, s35
	v_add_co_u32 v116, s35, v6, v116
	v_add_co_ci_u32_e64 v117, null, 0, v7, s35
	s_clause 0x1
	flat_load_ushort v114, v[114:115]
	flat_load_ushort v115, v[116:117]
	s_waitcnt vmcnt(0) lgkmcnt(0)
	v_cmp_lt_u16_e64 s35, v114, v115
	v_cndmask_b32_e64 v114, v67, v68, s35
	v_cndmask_b32_e64 v68, v68, v67, s35
	v_mov_b32_e32 v67, v114
	s_or_b32 exec_lo, exec_lo, s38
	s_and_saveexec_b32 s38, s63
	s_cbranch_execnz .LBB872_844
.LBB872_1323:
	s_or_b32 exec_lo, exec_lo, s38
	s_and_saveexec_b32 s38, s72
	s_cbranch_execz .LBB872_845
.LBB872_1324:
	v_mov_b32_e32 v114, 1
	v_lshlrev_b32_sdwa v115, v114, v54 dst_sel:DWORD dst_unused:UNUSED_PAD src0_sel:DWORD src1_sel:WORD_0
	v_lshlrev_b32_sdwa v116, v114, v55 dst_sel:DWORD dst_unused:UNUSED_PAD src0_sel:DWORD src1_sel:WORD_0
	v_add_co_u32 v114, s35, v6, v115
	v_add_co_ci_u32_e64 v115, null, 0, v7, s35
	v_add_co_u32 v116, s35, v6, v116
	v_add_co_ci_u32_e64 v117, null, 0, v7, s35
	s_clause 0x1
	flat_load_ushort v114, v[114:115]
	flat_load_ushort v115, v[116:117]
	s_waitcnt vmcnt(0) lgkmcnt(0)
	v_cmp_lt_u16_e64 s35, v114, v115
	v_cndmask_b32_e64 v114, v54, v55, s35
	v_cndmask_b32_e64 v55, v55, v54, s35
	v_mov_b32_e32 v54, v114
	s_or_b32 exec_lo, exec_lo, s38
	s_and_saveexec_b32 s38, s73
	s_cbranch_execnz .LBB872_846
.LBB872_1325:
	s_or_b32 exec_lo, exec_lo, s38
	s_and_saveexec_b32 s38, s74
	s_cbranch_execz .LBB872_847
.LBB872_1326:
	v_mov_b32_e32 v114, 1
	v_lshlrev_b32_sdwa v115, v114, v51 dst_sel:DWORD dst_unused:UNUSED_PAD src0_sel:DWORD src1_sel:WORD_0
	v_lshlrev_b32_sdwa v116, v114, v52 dst_sel:DWORD dst_unused:UNUSED_PAD src0_sel:DWORD src1_sel:WORD_0
	v_add_co_u32 v114, s35, v6, v115
	v_add_co_ci_u32_e64 v115, null, 0, v7, s35
	v_add_co_u32 v116, s35, v6, v116
	v_add_co_ci_u32_e64 v117, null, 0, v7, s35
	s_clause 0x1
	flat_load_ushort v114, v[114:115]
	flat_load_ushort v115, v[116:117]
	s_waitcnt vmcnt(0) lgkmcnt(0)
	v_cmp_lt_u16_e64 s35, v114, v115
	v_cndmask_b32_e64 v114, v52, v51, s35
	v_cndmask_b32_e64 v51, v51, v52, s35
	v_mov_b32_e32 v52, v114
	s_or_b32 exec_lo, exec_lo, s38
	s_and_saveexec_b32 s38, s75
	s_cbranch_execnz .LBB872_848
.LBB872_1327:
	s_or_b32 exec_lo, exec_lo, s38
	s_and_saveexec_b32 s38, s76
	s_cbranch_execz .LBB872_849
.LBB872_1328:
	v_mov_b32_e32 v114, 1
	v_lshlrev_b32_sdwa v115, v114, v48 dst_sel:DWORD dst_unused:UNUSED_PAD src0_sel:DWORD src1_sel:WORD_0
	v_lshlrev_b32_sdwa v116, v114, v103 dst_sel:DWORD dst_unused:UNUSED_PAD src0_sel:DWORD src1_sel:WORD_0
	v_add_co_u32 v114, s35, v6, v115
	v_add_co_ci_u32_e64 v115, null, 0, v7, s35
	v_add_co_u32 v116, s35, v6, v116
	v_add_co_ci_u32_e64 v117, null, 0, v7, s35
	s_clause 0x1
	flat_load_ushort v114, v[114:115]
	flat_load_ushort v115, v[116:117]
	s_waitcnt vmcnt(0) lgkmcnt(0)
	v_cmp_lt_u16_e64 s35, v114, v115
	v_cndmask_b32_e64 v114, v103, v48, s35
	v_cndmask_b32_e64 v48, v48, v103, s35
	v_mov_b32_e32 v103, v114
	s_or_b32 exec_lo, exec_lo, s38
	s_and_saveexec_b32 s38, s77
	s_cbranch_execnz .LBB872_850
.LBB872_1329:
	s_or_b32 exec_lo, exec_lo, s38
	s_and_saveexec_b32 s38, s78
	s_cbranch_execz .LBB872_851
.LBB872_1330:
	v_mov_b32_e32 v114, 1
	v_lshlrev_b32_sdwa v115, v114, v98 dst_sel:DWORD dst_unused:UNUSED_PAD src0_sel:DWORD src1_sel:WORD_0
	v_lshlrev_b32_sdwa v116, v114, v100 dst_sel:DWORD dst_unused:UNUSED_PAD src0_sel:DWORD src1_sel:WORD_0
	v_add_co_u32 v114, s35, v6, v115
	v_add_co_ci_u32_e64 v115, null, 0, v7, s35
	v_add_co_u32 v116, s35, v6, v116
	v_add_co_ci_u32_e64 v117, null, 0, v7, s35
	s_clause 0x1
	flat_load_ushort v114, v[114:115]
	flat_load_ushort v115, v[116:117]
	s_waitcnt vmcnt(0) lgkmcnt(0)
	v_cmp_lt_u16_e64 s35, v114, v115
	v_cndmask_b32_e64 v114, v98, v100, s35
	v_cndmask_b32_e64 v100, v100, v98, s35
	v_mov_b32_e32 v98, v114
	s_or_b32 exec_lo, exec_lo, s38
	s_and_saveexec_b32 s38, s79
	s_cbranch_execnz .LBB872_852
.LBB872_1331:
	s_or_b32 exec_lo, exec_lo, s38
	s_and_saveexec_b32 s38, s88
	s_cbranch_execz .LBB872_853
.LBB872_1332:
	v_mov_b32_e32 v114, 1
	v_lshlrev_b32_sdwa v115, v114, v86 dst_sel:DWORD dst_unused:UNUSED_PAD src0_sel:DWORD src1_sel:WORD_0
	v_lshlrev_b32_sdwa v116, v114, v87 dst_sel:DWORD dst_unused:UNUSED_PAD src0_sel:DWORD src1_sel:WORD_0
	v_add_co_u32 v114, s35, v6, v115
	v_add_co_ci_u32_e64 v115, null, 0, v7, s35
	v_add_co_u32 v116, s35, v6, v116
	v_add_co_ci_u32_e64 v117, null, 0, v7, s35
	s_clause 0x1
	flat_load_ushort v114, v[114:115]
	flat_load_ushort v115, v[116:117]
	s_waitcnt vmcnt(0) lgkmcnt(0)
	v_cmp_lt_u16_e64 s35, v114, v115
	v_cndmask_b32_e64 v114, v86, v87, s35
	v_cndmask_b32_e64 v87, v87, v86, s35
	v_mov_b32_e32 v86, v114
	s_or_b32 exec_lo, exec_lo, s38
	s_and_saveexec_b32 s38, s89
	s_cbranch_execnz .LBB872_854
.LBB872_1333:
	s_or_b32 exec_lo, exec_lo, s38
	s_and_saveexec_b32 s38, s90
	s_cbranch_execz .LBB872_855
.LBB872_1334:
	v_mov_b32_e32 v114, 1
	v_lshlrev_b32_sdwa v115, v114, v82 dst_sel:DWORD dst_unused:UNUSED_PAD src0_sel:DWORD src1_sel:WORD_0
	v_lshlrev_b32_sdwa v116, v114, v83 dst_sel:DWORD dst_unused:UNUSED_PAD src0_sel:DWORD src1_sel:WORD_0
	v_add_co_u32 v114, s35, v6, v115
	v_add_co_ci_u32_e64 v115, null, 0, v7, s35
	v_add_co_u32 v116, s35, v6, v116
	v_add_co_ci_u32_e64 v117, null, 0, v7, s35
	s_clause 0x1
	flat_load_ushort v114, v[114:115]
	flat_load_ushort v115, v[116:117]
	s_waitcnt vmcnt(0) lgkmcnt(0)
	v_cmp_lt_u16_e64 s35, v114, v115
	v_cndmask_b32_e64 v114, v82, v83, s35
	v_cndmask_b32_e64 v83, v83, v82, s35
	v_mov_b32_e32 v82, v114
	s_or_b32 exec_lo, exec_lo, s38
	s_and_saveexec_b32 s38, s91
	s_cbranch_execnz .LBB872_856
.LBB872_1335:
	s_or_b32 exec_lo, exec_lo, s38
	s_and_saveexec_b32 s38, s92
	s_cbranch_execz .LBB872_857
.LBB872_1336:
	v_mov_b32_e32 v114, 1
	v_lshlrev_b32_sdwa v115, v114, v70 dst_sel:DWORD dst_unused:UNUSED_PAD src0_sel:DWORD src1_sel:WORD_0
	v_lshlrev_b32_sdwa v116, v114, v71 dst_sel:DWORD dst_unused:UNUSED_PAD src0_sel:DWORD src1_sel:WORD_0
	v_add_co_u32 v114, s35, v6, v115
	v_add_co_ci_u32_e64 v115, null, 0, v7, s35
	v_add_co_u32 v116, s35, v6, v116
	v_add_co_ci_u32_e64 v117, null, 0, v7, s35
	s_clause 0x1
	flat_load_ushort v114, v[114:115]
	flat_load_ushort v115, v[116:117]
	s_waitcnt vmcnt(0) lgkmcnt(0)
	v_cmp_lt_u16_e64 s35, v114, v115
	v_cndmask_b32_e64 v114, v70, v71, s35
	v_cndmask_b32_e64 v71, v71, v70, s35
	v_mov_b32_e32 v70, v114
	s_or_b32 exec_lo, exec_lo, s38
	s_and_saveexec_b32 s38, s93
	s_cbranch_execnz .LBB872_858
.LBB872_1337:
	s_or_b32 exec_lo, exec_lo, s38
	s_and_saveexec_b32 s38, s94
	s_cbranch_execz .LBB872_859
.LBB872_1338:
	v_mov_b32_e32 v114, 1
	v_lshlrev_b32_sdwa v115, v114, v66 dst_sel:DWORD dst_unused:UNUSED_PAD src0_sel:DWORD src1_sel:WORD_0
	v_lshlrev_b32_sdwa v116, v114, v67 dst_sel:DWORD dst_unused:UNUSED_PAD src0_sel:DWORD src1_sel:WORD_0
	v_add_co_u32 v114, s35, v6, v115
	v_add_co_ci_u32_e64 v115, null, 0, v7, s35
	v_add_co_u32 v116, s35, v6, v116
	v_add_co_ci_u32_e64 v117, null, 0, v7, s35
	s_clause 0x1
	flat_load_ushort v114, v[114:115]
	flat_load_ushort v115, v[116:117]
	s_waitcnt vmcnt(0) lgkmcnt(0)
	v_cmp_lt_u16_e64 s35, v114, v115
	v_cndmask_b32_e64 v114, v66, v67, s35
	v_cndmask_b32_e64 v67, v67, v66, s35
	v_mov_b32_e32 v66, v114
	s_or_b32 exec_lo, exec_lo, s38
	s_and_saveexec_b32 s38, s95
	s_cbranch_execnz .LBB872_860
.LBB872_1339:
	s_or_b32 exec_lo, exec_lo, s38
	s_and_saveexec_b32 s38, vcc_hi
	s_cbranch_execz .LBB872_861
.LBB872_1340:
	v_mov_b32_e32 v114, 1
	v_lshlrev_b32_sdwa v115, v114, v53 dst_sel:DWORD dst_unused:UNUSED_PAD src0_sel:DWORD src1_sel:WORD_0
	v_lshlrev_b32_sdwa v116, v114, v54 dst_sel:DWORD dst_unused:UNUSED_PAD src0_sel:DWORD src1_sel:WORD_0
	v_add_co_u32 v114, s35, v6, v115
	v_add_co_ci_u32_e64 v115, null, 0, v7, s35
	v_add_co_u32 v116, s35, v6, v116
	v_add_co_ci_u32_e64 v117, null, 0, v7, s35
	s_clause 0x1
	flat_load_ushort v114, v[114:115]
	flat_load_ushort v115, v[116:117]
	s_waitcnt vmcnt(0) lgkmcnt(0)
	v_cmp_lt_u16_e64 s35, v114, v115
	v_cndmask_b32_e64 v114, v53, v54, s35
	v_cndmask_b32_e64 v54, v54, v53, s35
	v_mov_b32_e32 v53, v114
	s_or_b32 exec_lo, exec_lo, s38
	s_and_saveexec_b32 s38, s30
	s_cbranch_execnz .LBB872_862
.LBB872_1341:
	s_or_b32 exec_lo, exec_lo, s38
	s_and_saveexec_b32 s38, s31
	s_cbranch_execz .LBB872_863
.LBB872_1342:
	v_mov_b32_e32 v114, 1
	v_lshlrev_b32_sdwa v115, v114, v50 dst_sel:DWORD dst_unused:UNUSED_PAD src0_sel:DWORD src1_sel:WORD_0
	v_lshlrev_b32_sdwa v116, v114, v51 dst_sel:DWORD dst_unused:UNUSED_PAD src0_sel:DWORD src1_sel:WORD_0
	v_add_co_u32 v114, s35, v6, v115
	v_add_co_ci_u32_e64 v115, null, 0, v7, s35
	v_add_co_u32 v116, s35, v6, v116
	v_add_co_ci_u32_e64 v117, null, 0, v7, s35
	s_clause 0x1
	flat_load_ushort v114, v[114:115]
	flat_load_ushort v115, v[116:117]
	s_waitcnt vmcnt(0) lgkmcnt(0)
	v_cmp_lt_u16_e64 s35, v114, v115
	v_cndmask_b32_e64 v114, v51, v50, s35
	v_cndmask_b32_e64 v50, v50, v51, s35
	v_mov_b32_e32 v51, v114
	s_or_b32 exec_lo, exec_lo, s38
	s_and_saveexec_b32 s38, s34
	s_cbranch_execnz .LBB872_864
.LBB872_1343:
	s_or_b32 exec_lo, exec_lo, s38
	s_and_saveexec_b32 s38, s8
	s_cbranch_execz .LBB872_865
.LBB872_1344:
	v_mov_b32_e32 v114, 1
	v_lshlrev_b32_sdwa v115, v114, v102 dst_sel:DWORD dst_unused:UNUSED_PAD src0_sel:DWORD src1_sel:WORD_0
	v_lshlrev_b32_sdwa v116, v114, v99 dst_sel:DWORD dst_unused:UNUSED_PAD src0_sel:DWORD src1_sel:WORD_0
	v_add_co_u32 v114, s35, v6, v115
	v_add_co_ci_u32_e64 v115, null, 0, v7, s35
	v_add_co_u32 v116, s35, v6, v116
	v_add_co_ci_u32_e64 v117, null, 0, v7, s35
	s_clause 0x1
	flat_load_ushort v114, v[114:115]
	flat_load_ushort v115, v[116:117]
	s_waitcnt vmcnt(0) lgkmcnt(0)
	v_cmp_lt_u16_e64 s35, v114, v115
	v_cndmask_b32_e64 v114, v102, v99, s35
	v_cndmask_b32_e64 v99, v99, v102, s35
	v_mov_b32_e32 v102, v114
	s_or_b32 exec_lo, exec_lo, s38
	s_and_saveexec_b32 s38, s9
	s_cbranch_execnz .LBB872_866
.LBB872_1345:
	s_or_b32 exec_lo, exec_lo, s38
	s_and_saveexec_b32 s38, s12
	s_cbranch_execz .LBB872_867
.LBB872_1346:
	v_mov_b32_e32 v114, 1
	v_lshlrev_b32_sdwa v115, v114, v97 dst_sel:DWORD dst_unused:UNUSED_PAD src0_sel:DWORD src1_sel:WORD_0
	v_lshlrev_b32_sdwa v116, v114, v98 dst_sel:DWORD dst_unused:UNUSED_PAD src0_sel:DWORD src1_sel:WORD_0
	v_add_co_u32 v114, s35, v6, v115
	v_add_co_ci_u32_e64 v115, null, 0, v7, s35
	v_add_co_u32 v116, s35, v6, v116
	v_add_co_ci_u32_e64 v117, null, 0, v7, s35
	s_clause 0x1
	flat_load_ushort v114, v[114:115]
	flat_load_ushort v115, v[116:117]
	s_waitcnt vmcnt(0) lgkmcnt(0)
	v_cmp_lt_u16_e64 s35, v114, v115
	v_cndmask_b32_e64 v114, v97, v98, s35
	v_cndmask_b32_e64 v98, v98, v97, s35
	v_mov_b32_e32 v97, v114
	s_or_b32 exec_lo, exec_lo, s38
	s_and_saveexec_b32 s38, s13
	s_cbranch_execnz .LBB872_868
.LBB872_1347:
	s_or_b32 exec_lo, exec_lo, s38
	s_and_saveexec_b32 s38, s57
	s_cbranch_execz .LBB872_869
.LBB872_1348:
	v_mov_b32_e32 v114, 1
	v_lshlrev_b32_sdwa v115, v114, v85 dst_sel:DWORD dst_unused:UNUSED_PAD src0_sel:DWORD src1_sel:WORD_0
	v_lshlrev_b32_sdwa v116, v114, v86 dst_sel:DWORD dst_unused:UNUSED_PAD src0_sel:DWORD src1_sel:WORD_0
	v_add_co_u32 v114, s35, v6, v115
	v_add_co_ci_u32_e64 v115, null, 0, v7, s35
	v_add_co_u32 v116, s35, v6, v116
	v_add_co_ci_u32_e64 v117, null, 0, v7, s35
	s_clause 0x1
	flat_load_ushort v114, v[114:115]
	flat_load_ushort v115, v[116:117]
	s_waitcnt vmcnt(0) lgkmcnt(0)
	v_cmp_lt_u16_e64 s35, v114, v115
	v_cndmask_b32_e64 v114, v85, v86, s35
	v_cndmask_b32_e64 v86, v86, v85, s35
	v_mov_b32_e32 v85, v114
	s_or_b32 exec_lo, exec_lo, s38
	s_and_saveexec_b32 s38, s58
	s_cbranch_execnz .LBB872_870
.LBB872_1349:
	s_or_b32 exec_lo, exec_lo, s38
	s_and_saveexec_b32 s38, s59
	s_cbranch_execz .LBB872_871
.LBB872_1350:
	v_mov_b32_e32 v114, 1
	v_lshlrev_b32_sdwa v115, v114, v81 dst_sel:DWORD dst_unused:UNUSED_PAD src0_sel:DWORD src1_sel:WORD_0
	v_lshlrev_b32_sdwa v116, v114, v82 dst_sel:DWORD dst_unused:UNUSED_PAD src0_sel:DWORD src1_sel:WORD_0
	v_add_co_u32 v114, s35, v6, v115
	v_add_co_ci_u32_e64 v115, null, 0, v7, s35
	v_add_co_u32 v116, s35, v6, v116
	v_add_co_ci_u32_e64 v117, null, 0, v7, s35
	s_clause 0x1
	flat_load_ushort v114, v[114:115]
	flat_load_ushort v115, v[116:117]
	s_waitcnt vmcnt(0) lgkmcnt(0)
	v_cmp_lt_u16_e64 s35, v114, v115
	v_cndmask_b32_e64 v114, v81, v82, s35
	v_cndmask_b32_e64 v82, v82, v81, s35
	v_mov_b32_e32 v81, v114
	s_or_b32 exec_lo, exec_lo, s38
	s_and_saveexec_b32 s38, s60
	s_cbranch_execnz .LBB872_872
.LBB872_1351:
	s_or_b32 exec_lo, exec_lo, s38
	s_and_saveexec_b32 s38, s61
	s_cbranch_execz .LBB872_873
.LBB872_1352:
	v_mov_b32_e32 v114, 1
	v_lshlrev_b32_sdwa v115, v114, v69 dst_sel:DWORD dst_unused:UNUSED_PAD src0_sel:DWORD src1_sel:WORD_0
	v_lshlrev_b32_sdwa v116, v114, v70 dst_sel:DWORD dst_unused:UNUSED_PAD src0_sel:DWORD src1_sel:WORD_0
	v_add_co_u32 v114, s35, v6, v115
	v_add_co_ci_u32_e64 v115, null, 0, v7, s35
	v_add_co_u32 v116, s35, v6, v116
	v_add_co_ci_u32_e64 v117, null, 0, v7, s35
	s_clause 0x1
	flat_load_ushort v114, v[114:115]
	flat_load_ushort v115, v[116:117]
	s_waitcnt vmcnt(0) lgkmcnt(0)
	v_cmp_lt_u16_e64 s35, v114, v115
	v_cndmask_b32_e64 v114, v69, v70, s35
	v_cndmask_b32_e64 v70, v70, v69, s35
	v_mov_b32_e32 v69, v114
	s_or_b32 exec_lo, exec_lo, s38
	s_and_saveexec_b32 s38, s62
	s_cbranch_execnz .LBB872_874
.LBB872_1353:
	s_or_b32 exec_lo, exec_lo, s38
	s_and_saveexec_b32 s38, s63
	s_cbranch_execz .LBB872_875
.LBB872_1354:
	v_mov_b32_e32 v114, 1
	v_lshlrev_b32_sdwa v115, v114, v65 dst_sel:DWORD dst_unused:UNUSED_PAD src0_sel:DWORD src1_sel:WORD_0
	v_lshlrev_b32_sdwa v116, v114, v66 dst_sel:DWORD dst_unused:UNUSED_PAD src0_sel:DWORD src1_sel:WORD_0
	v_add_co_u32 v114, s35, v6, v115
	v_add_co_ci_u32_e64 v115, null, 0, v7, s35
	v_add_co_u32 v116, s35, v6, v116
	v_add_co_ci_u32_e64 v117, null, 0, v7, s35
	s_clause 0x1
	flat_load_ushort v114, v[114:115]
	flat_load_ushort v115, v[116:117]
	s_waitcnt vmcnt(0) lgkmcnt(0)
	v_cmp_lt_u16_e64 s35, v114, v115
	v_cndmask_b32_e64 v114, v65, v66, s35
	v_cndmask_b32_e64 v66, v66, v65, s35
	v_mov_b32_e32 v65, v114
	s_or_b32 exec_lo, exec_lo, s38
	s_and_saveexec_b32 s38, s72
	s_cbranch_execnz .LBB872_876
.LBB872_1355:
	s_or_b32 exec_lo, exec_lo, s38
	s_and_saveexec_b32 s38, s73
	s_cbranch_execz .LBB872_877
.LBB872_1356:
	v_mov_b32_e32 v114, 1
	v_lshlrev_b32_sdwa v115, v114, v64 dst_sel:DWORD dst_unused:UNUSED_PAD src0_sel:DWORD src1_sel:WORD_0
	v_lshlrev_b32_sdwa v116, v114, v53 dst_sel:DWORD dst_unused:UNUSED_PAD src0_sel:DWORD src1_sel:WORD_0
	v_add_co_u32 v114, s35, v6, v115
	v_add_co_ci_u32_e64 v115, null, 0, v7, s35
	v_add_co_u32 v116, s35, v6, v116
	v_add_co_ci_u32_e64 v117, null, 0, v7, s35
	s_clause 0x1
	flat_load_ushort v114, v[114:115]
	flat_load_ushort v115, v[116:117]
	s_waitcnt vmcnt(0) lgkmcnt(0)
	v_cmp_lt_u16_e64 s35, v114, v115
	v_cndmask_b32_e64 v114, v64, v53, s35
	v_cndmask_b32_e64 v53, v53, v64, s35
	v_mov_b32_e32 v64, v114
	s_or_b32 exec_lo, exec_lo, s38
	s_and_saveexec_b32 s38, s74
	s_cbranch_execnz .LBB872_878
.LBB872_1357:
	s_or_b32 exec_lo, exec_lo, s38
	s_and_saveexec_b32 s38, s75
	s_cbranch_execz .LBB872_879
.LBB872_1358:
	v_mov_b32_e32 v114, 1
	v_lshlrev_b32_sdwa v115, v114, v49 dst_sel:DWORD dst_unused:UNUSED_PAD src0_sel:DWORD src1_sel:WORD_0
	v_lshlrev_b32_sdwa v116, v114, v50 dst_sel:DWORD dst_unused:UNUSED_PAD src0_sel:DWORD src1_sel:WORD_0
	v_add_co_u32 v114, s35, v6, v115
	v_add_co_ci_u32_e64 v115, null, 0, v7, s35
	v_add_co_u32 v116, s35, v6, v116
	v_add_co_ci_u32_e64 v117, null, 0, v7, s35
	s_clause 0x1
	flat_load_ushort v114, v[114:115]
	flat_load_ushort v115, v[116:117]
	s_waitcnt vmcnt(0) lgkmcnt(0)
	v_cmp_lt_u16_e64 s35, v114, v115
	v_cndmask_b32_e64 v114, v50, v49, s35
	v_cndmask_b32_e64 v49, v49, v50, s35
	v_mov_b32_e32 v50, v114
	s_or_b32 exec_lo, exec_lo, s38
	s_and_saveexec_b32 s38, s76
	s_cbranch_execnz .LBB872_880
.LBB872_1359:
	s_or_b32 exec_lo, exec_lo, s38
	s_and_saveexec_b32 s38, s77
	s_cbranch_execz .LBB872_881
.LBB872_1360:
	v_mov_b32_e32 v114, 1
	v_lshlrev_b32_sdwa v115, v114, v101 dst_sel:DWORD dst_unused:UNUSED_PAD src0_sel:DWORD src1_sel:WORD_0
	v_lshlrev_b32_sdwa v116, v114, v102 dst_sel:DWORD dst_unused:UNUSED_PAD src0_sel:DWORD src1_sel:WORD_0
	v_add_co_u32 v114, s35, v6, v115
	v_add_co_ci_u32_e64 v115, null, 0, v7, s35
	v_add_co_u32 v116, s35, v6, v116
	v_add_co_ci_u32_e64 v117, null, 0, v7, s35
	s_clause 0x1
	flat_load_ushort v114, v[114:115]
	flat_load_ushort v115, v[116:117]
	s_waitcnt vmcnt(0) lgkmcnt(0)
	v_cmp_lt_u16_e64 s35, v114, v115
	v_cndmask_b32_e64 v114, v101, v102, s35
	v_cndmask_b32_e64 v102, v102, v101, s35
	v_mov_b32_e32 v101, v114
	s_or_b32 exec_lo, exec_lo, s38
	s_and_saveexec_b32 s38, s78
	s_cbranch_execnz .LBB872_882
.LBB872_1361:
	s_or_b32 exec_lo, exec_lo, s38
	s_and_saveexec_b32 s38, s79
	s_cbranch_execz .LBB872_883
.LBB872_1362:
	v_mov_b32_e32 v114, 1
	v_lshlrev_b32_sdwa v115, v114, v96 dst_sel:DWORD dst_unused:UNUSED_PAD src0_sel:DWORD src1_sel:WORD_0
	v_lshlrev_b32_sdwa v116, v114, v97 dst_sel:DWORD dst_unused:UNUSED_PAD src0_sel:DWORD src1_sel:WORD_0
	v_add_co_u32 v114, s35, v6, v115
	v_add_co_ci_u32_e64 v115, null, 0, v7, s35
	v_add_co_u32 v116, s35, v6, v116
	v_add_co_ci_u32_e64 v117, null, 0, v7, s35
	s_clause 0x1
	flat_load_ushort v114, v[114:115]
	flat_load_ushort v115, v[116:117]
	s_waitcnt vmcnt(0) lgkmcnt(0)
	v_cmp_lt_u16_e64 s35, v114, v115
	v_cndmask_b32_e64 v114, v96, v97, s35
	v_cndmask_b32_e64 v97, v97, v96, s35
	v_mov_b32_e32 v96, v114
	s_or_b32 exec_lo, exec_lo, s38
	s_and_saveexec_b32 s38, s88
	s_cbranch_execnz .LBB872_884
.LBB872_1363:
	s_or_b32 exec_lo, exec_lo, s38
	s_and_saveexec_b32 s38, s89
	s_cbranch_execz .LBB872_885
.LBB872_1364:
	v_mov_b32_e32 v114, 1
	v_lshlrev_b32_sdwa v115, v114, v84 dst_sel:DWORD dst_unused:UNUSED_PAD src0_sel:DWORD src1_sel:WORD_0
	v_lshlrev_b32_sdwa v116, v114, v85 dst_sel:DWORD dst_unused:UNUSED_PAD src0_sel:DWORD src1_sel:WORD_0
	v_add_co_u32 v114, s35, v6, v115
	v_add_co_ci_u32_e64 v115, null, 0, v7, s35
	v_add_co_u32 v116, s35, v6, v116
	v_add_co_ci_u32_e64 v117, null, 0, v7, s35
	s_clause 0x1
	flat_load_ushort v114, v[114:115]
	flat_load_ushort v115, v[116:117]
	s_waitcnt vmcnt(0) lgkmcnt(0)
	v_cmp_lt_u16_e64 s35, v114, v115
	v_cndmask_b32_e64 v114, v84, v85, s35
	v_cndmask_b32_e64 v85, v85, v84, s35
	v_mov_b32_e32 v84, v114
	s_or_b32 exec_lo, exec_lo, s38
	s_and_saveexec_b32 s38, s90
	s_cbranch_execnz .LBB872_886
.LBB872_1365:
	s_or_b32 exec_lo, exec_lo, s38
	s_and_saveexec_b32 s38, s91
	s_cbranch_execz .LBB872_887
.LBB872_1366:
	v_mov_b32_e32 v114, 1
	v_lshlrev_b32_sdwa v115, v114, v80 dst_sel:DWORD dst_unused:UNUSED_PAD src0_sel:DWORD src1_sel:WORD_0
	v_lshlrev_b32_sdwa v116, v114, v81 dst_sel:DWORD dst_unused:UNUSED_PAD src0_sel:DWORD src1_sel:WORD_0
	v_add_co_u32 v114, s35, v6, v115
	v_add_co_ci_u32_e64 v115, null, 0, v7, s35
	v_add_co_u32 v116, s35, v6, v116
	v_add_co_ci_u32_e64 v117, null, 0, v7, s35
	s_clause 0x1
	flat_load_ushort v114, v[114:115]
	flat_load_ushort v115, v[116:117]
	s_waitcnt vmcnt(0) lgkmcnt(0)
	v_cmp_lt_u16_e64 s35, v114, v115
	v_cndmask_b32_e64 v114, v80, v81, s35
	v_cndmask_b32_e64 v81, v81, v80, s35
	v_mov_b32_e32 v80, v114
	s_or_b32 exec_lo, exec_lo, s38
	s_and_saveexec_b32 s38, s92
	s_cbranch_execnz .LBB872_888
.LBB872_1367:
	s_or_b32 exec_lo, exec_lo, s38
	s_and_saveexec_b32 s38, s93
	s_cbranch_execz .LBB872_889
.LBB872_1368:
	v_mov_b32_e32 v114, 1
	v_lshlrev_b32_sdwa v115, v114, v68 dst_sel:DWORD dst_unused:UNUSED_PAD src0_sel:DWORD src1_sel:WORD_0
	v_lshlrev_b32_sdwa v116, v114, v69 dst_sel:DWORD dst_unused:UNUSED_PAD src0_sel:DWORD src1_sel:WORD_0
	v_add_co_u32 v114, s35, v6, v115
	v_add_co_ci_u32_e64 v115, null, 0, v7, s35
	v_add_co_u32 v116, s35, v6, v116
	v_add_co_ci_u32_e64 v117, null, 0, v7, s35
	s_clause 0x1
	flat_load_ushort v114, v[114:115]
	flat_load_ushort v115, v[116:117]
	s_waitcnt vmcnt(0) lgkmcnt(0)
	v_cmp_lt_u16_e64 s35, v114, v115
	v_cndmask_b32_e64 v114, v68, v69, s35
	v_cndmask_b32_e64 v69, v69, v68, s35
	v_mov_b32_e32 v68, v114
	s_or_b32 exec_lo, exec_lo, s38
	s_and_saveexec_b32 s38, s94
	s_cbranch_execnz .LBB872_890
.LBB872_1369:
	s_or_b32 exec_lo, exec_lo, s38
	s_and_saveexec_b32 s38, s95
	s_cbranch_execz .LBB872_891
.LBB872_1370:
	v_mov_b32_e32 v114, 1
	v_lshlrev_b32_sdwa v115, v114, v55 dst_sel:DWORD dst_unused:UNUSED_PAD src0_sel:DWORD src1_sel:WORD_0
	v_lshlrev_b32_sdwa v116, v114, v65 dst_sel:DWORD dst_unused:UNUSED_PAD src0_sel:DWORD src1_sel:WORD_0
	v_add_co_u32 v114, s35, v6, v115
	v_add_co_ci_u32_e64 v115, null, 0, v7, s35
	v_add_co_u32 v116, s35, v6, v116
	v_add_co_ci_u32_e64 v117, null, 0, v7, s35
	s_clause 0x1
	flat_load_ushort v114, v[114:115]
	flat_load_ushort v115, v[116:117]
	s_waitcnt vmcnt(0) lgkmcnt(0)
	v_cmp_lt_u16_e64 s35, v114, v115
	v_cndmask_b32_e64 v114, v55, v65, s35
	v_cndmask_b32_e64 v65, v65, v55, s35
	v_mov_b32_e32 v55, v114
	s_or_b32 exec_lo, exec_lo, s38
	s_and_saveexec_b32 s38, vcc_hi
	s_cbranch_execnz .LBB872_892
.LBB872_1371:
	s_or_b32 exec_lo, exec_lo, s38
	s_and_saveexec_b32 s38, s30
	s_cbranch_execz .LBB872_893
.LBB872_1372:
	v_mov_b32_e32 v114, 1
	v_lshlrev_b32_sdwa v115, v114, v52 dst_sel:DWORD dst_unused:UNUSED_PAD src0_sel:DWORD src1_sel:WORD_0
	v_lshlrev_b32_sdwa v116, v114, v64 dst_sel:DWORD dst_unused:UNUSED_PAD src0_sel:DWORD src1_sel:WORD_0
	v_add_co_u32 v114, s35, v6, v115
	v_add_co_ci_u32_e64 v115, null, 0, v7, s35
	v_add_co_u32 v116, s35, v6, v116
	v_add_co_ci_u32_e64 v117, null, 0, v7, s35
	s_clause 0x1
	flat_load_ushort v114, v[114:115]
	flat_load_ushort v115, v[116:117]
	s_waitcnt vmcnt(0) lgkmcnt(0)
	v_cmp_lt_u16_e64 s35, v114, v115
	v_cndmask_b32_e64 v114, v64, v52, s35
	v_cndmask_b32_e64 v52, v52, v64, s35
	v_mov_b32_e32 v64, v114
	s_or_b32 exec_lo, exec_lo, s38
	s_and_saveexec_b32 s38, s31
	s_cbranch_execnz .LBB872_894
.LBB872_1373:
	s_or_b32 exec_lo, exec_lo, s38
	s_and_saveexec_b32 s38, s34
	s_cbranch_execz .LBB872_895
.LBB872_1374:
	v_mov_b32_e32 v114, 1
	v_lshlrev_b32_sdwa v115, v114, v103 dst_sel:DWORD dst_unused:UNUSED_PAD src0_sel:DWORD src1_sel:WORD_0
	v_lshlrev_b32_sdwa v116, v114, v49 dst_sel:DWORD dst_unused:UNUSED_PAD src0_sel:DWORD src1_sel:WORD_0
	v_add_co_u32 v114, s35, v6, v115
	v_add_co_ci_u32_e64 v115, null, 0, v7, s35
	v_add_co_u32 v116, s35, v6, v116
	v_add_co_ci_u32_e64 v117, null, 0, v7, s35
	s_clause 0x1
	flat_load_ushort v114, v[114:115]
	flat_load_ushort v115, v[116:117]
	s_waitcnt vmcnt(0) lgkmcnt(0)
	v_cmp_lt_u16_e64 s35, v114, v115
	v_cndmask_b32_e64 v114, v49, v103, s35
	v_cndmask_b32_e64 v103, v103, v49, s35
	v_mov_b32_e32 v49, v114
	s_or_b32 exec_lo, exec_lo, s38
	s_and_saveexec_b32 s38, s8
	s_cbranch_execnz .LBB872_896
.LBB872_1375:
	s_or_b32 exec_lo, exec_lo, s38
	s_and_saveexec_b32 s38, s9
	s_cbranch_execz .LBB872_897
.LBB872_1376:
	v_mov_b32_e32 v114, 1
	v_lshlrev_b32_sdwa v115, v114, v100 dst_sel:DWORD dst_unused:UNUSED_PAD src0_sel:DWORD src1_sel:WORD_0
	v_lshlrev_b32_sdwa v116, v114, v101 dst_sel:DWORD dst_unused:UNUSED_PAD src0_sel:DWORD src1_sel:WORD_0
	v_add_co_u32 v114, s35, v6, v115
	v_add_co_ci_u32_e64 v115, null, 0, v7, s35
	v_add_co_u32 v116, s35, v6, v116
	v_add_co_ci_u32_e64 v117, null, 0, v7, s35
	s_clause 0x1
	flat_load_ushort v114, v[114:115]
	flat_load_ushort v115, v[116:117]
	s_waitcnt vmcnt(0) lgkmcnt(0)
	v_cmp_lt_u16_e64 s35, v114, v115
	v_cndmask_b32_e64 v114, v100, v101, s35
	v_cndmask_b32_e64 v101, v101, v100, s35
	v_mov_b32_e32 v100, v114
	s_or_b32 exec_lo, exec_lo, s38
	s_and_saveexec_b32 s38, s12
	s_cbranch_execnz .LBB872_898
.LBB872_1377:
	s_or_b32 exec_lo, exec_lo, s38
	s_and_saveexec_b32 s38, s13
	s_cbranch_execz .LBB872_899
.LBB872_1378:
	v_mov_b32_e32 v114, 1
	v_lshlrev_b32_sdwa v115, v114, v87 dst_sel:DWORD dst_unused:UNUSED_PAD src0_sel:DWORD src1_sel:WORD_0
	v_lshlrev_b32_sdwa v116, v114, v96 dst_sel:DWORD dst_unused:UNUSED_PAD src0_sel:DWORD src1_sel:WORD_0
	v_add_co_u32 v114, s35, v6, v115
	v_add_co_ci_u32_e64 v115, null, 0, v7, s35
	v_add_co_u32 v116, s35, v6, v116
	v_add_co_ci_u32_e64 v117, null, 0, v7, s35
	s_clause 0x1
	flat_load_ushort v114, v[114:115]
	flat_load_ushort v115, v[116:117]
	s_waitcnt vmcnt(0) lgkmcnt(0)
	v_cmp_lt_u16_e64 s35, v114, v115
	v_cndmask_b32_e64 v114, v87, v96, s35
	v_cndmask_b32_e64 v96, v96, v87, s35
	v_mov_b32_e32 v87, v114
	s_or_b32 exec_lo, exec_lo, s38
	s_and_saveexec_b32 s38, s57
	s_cbranch_execnz .LBB872_900
.LBB872_1379:
	s_or_b32 exec_lo, exec_lo, s38
	s_and_saveexec_b32 s38, s58
	s_cbranch_execz .LBB872_901
.LBB872_1380:
	v_mov_b32_e32 v114, 1
	v_lshlrev_b32_sdwa v115, v114, v83 dst_sel:DWORD dst_unused:UNUSED_PAD src0_sel:DWORD src1_sel:WORD_0
	v_lshlrev_b32_sdwa v116, v114, v84 dst_sel:DWORD dst_unused:UNUSED_PAD src0_sel:DWORD src1_sel:WORD_0
	v_add_co_u32 v114, s35, v6, v115
	v_add_co_ci_u32_e64 v115, null, 0, v7, s35
	v_add_co_u32 v116, s35, v6, v116
	v_add_co_ci_u32_e64 v117, null, 0, v7, s35
	s_clause 0x1
	flat_load_ushort v114, v[114:115]
	flat_load_ushort v115, v[116:117]
	s_waitcnt vmcnt(0) lgkmcnt(0)
	v_cmp_lt_u16_e64 s35, v114, v115
	v_cndmask_b32_e64 v114, v83, v84, s35
	v_cndmask_b32_e64 v84, v84, v83, s35
	v_mov_b32_e32 v83, v114
	s_or_b32 exec_lo, exec_lo, s38
	s_and_saveexec_b32 s38, s59
	s_cbranch_execnz .LBB872_902
.LBB872_1381:
	s_or_b32 exec_lo, exec_lo, s38
	s_and_saveexec_b32 s38, s60
	s_cbranch_execz .LBB872_903
.LBB872_1382:
	v_mov_b32_e32 v114, 1
	v_lshlrev_b32_sdwa v115, v114, v71 dst_sel:DWORD dst_unused:UNUSED_PAD src0_sel:DWORD src1_sel:WORD_0
	v_lshlrev_b32_sdwa v116, v114, v80 dst_sel:DWORD dst_unused:UNUSED_PAD src0_sel:DWORD src1_sel:WORD_0
	v_add_co_u32 v114, s35, v6, v115
	v_add_co_ci_u32_e64 v115, null, 0, v7, s35
	v_add_co_u32 v116, s35, v6, v116
	v_add_co_ci_u32_e64 v117, null, 0, v7, s35
	s_clause 0x1
	flat_load_ushort v114, v[114:115]
	flat_load_ushort v115, v[116:117]
	s_waitcnt vmcnt(0) lgkmcnt(0)
	v_cmp_lt_u16_e64 s35, v114, v115
	v_cndmask_b32_e64 v114, v71, v80, s35
	v_cndmask_b32_e64 v80, v80, v71, s35
	v_mov_b32_e32 v71, v114
	s_or_b32 exec_lo, exec_lo, s38
	s_and_saveexec_b32 s38, s61
	s_cbranch_execnz .LBB872_904
.LBB872_1383:
	s_or_b32 exec_lo, exec_lo, s38
	s_and_saveexec_b32 s38, s62
	s_cbranch_execz .LBB872_905
.LBB872_1384:
	v_mov_b32_e32 v114, 1
	v_lshlrev_b32_sdwa v115, v114, v67 dst_sel:DWORD dst_unused:UNUSED_PAD src0_sel:DWORD src1_sel:WORD_0
	v_lshlrev_b32_sdwa v116, v114, v68 dst_sel:DWORD dst_unused:UNUSED_PAD src0_sel:DWORD src1_sel:WORD_0
	v_add_co_u32 v114, s35, v6, v115
	v_add_co_ci_u32_e64 v115, null, 0, v7, s35
	v_add_co_u32 v116, s35, v6, v116
	v_add_co_ci_u32_e64 v117, null, 0, v7, s35
	s_clause 0x1
	flat_load_ushort v114, v[114:115]
	flat_load_ushort v115, v[116:117]
	s_waitcnt vmcnt(0) lgkmcnt(0)
	v_cmp_lt_u16_e64 s35, v114, v115
	v_cndmask_b32_e64 v114, v67, v68, s35
	v_cndmask_b32_e64 v68, v68, v67, s35
	v_mov_b32_e32 v67, v114
	s_or_b32 exec_lo, exec_lo, s38
	s_and_saveexec_b32 s38, s63
	s_cbranch_execnz .LBB872_906
.LBB872_1385:
	s_or_b32 exec_lo, exec_lo, s38
	s_and_saveexec_b32 s38, s72
	s_cbranch_execz .LBB872_907
.LBB872_1386:
	v_mov_b32_e32 v114, 1
	v_lshlrev_b32_sdwa v115, v114, v54 dst_sel:DWORD dst_unused:UNUSED_PAD src0_sel:DWORD src1_sel:WORD_0
	v_lshlrev_b32_sdwa v116, v114, v55 dst_sel:DWORD dst_unused:UNUSED_PAD src0_sel:DWORD src1_sel:WORD_0
	v_add_co_u32 v114, s35, v6, v115
	v_add_co_ci_u32_e64 v115, null, 0, v7, s35
	v_add_co_u32 v116, s35, v6, v116
	v_add_co_ci_u32_e64 v117, null, 0, v7, s35
	s_clause 0x1
	flat_load_ushort v114, v[114:115]
	flat_load_ushort v115, v[116:117]
	s_waitcnt vmcnt(0) lgkmcnt(0)
	v_cmp_lt_u16_e64 s35, v114, v115
	v_cndmask_b32_e64 v114, v54, v55, s35
	v_cndmask_b32_e64 v55, v55, v54, s35
	v_mov_b32_e32 v54, v114
	s_or_b32 exec_lo, exec_lo, s38
	s_and_saveexec_b32 s38, s73
	s_cbranch_execnz .LBB872_908
.LBB872_1387:
	s_or_b32 exec_lo, exec_lo, s38
	s_and_saveexec_b32 s38, s74
	s_cbranch_execz .LBB872_909
.LBB872_1388:
	v_mov_b32_e32 v114, 1
	v_lshlrev_b32_sdwa v115, v114, v51 dst_sel:DWORD dst_unused:UNUSED_PAD src0_sel:DWORD src1_sel:WORD_0
	v_lshlrev_b32_sdwa v116, v114, v52 dst_sel:DWORD dst_unused:UNUSED_PAD src0_sel:DWORD src1_sel:WORD_0
	v_add_co_u32 v114, s35, v6, v115
	v_add_co_ci_u32_e64 v115, null, 0, v7, s35
	v_add_co_u32 v116, s35, v6, v116
	v_add_co_ci_u32_e64 v117, null, 0, v7, s35
	s_clause 0x1
	flat_load_ushort v114, v[114:115]
	flat_load_ushort v115, v[116:117]
	s_waitcnt vmcnt(0) lgkmcnt(0)
	v_cmp_lt_u16_e64 s35, v114, v115
	v_cndmask_b32_e64 v114, v52, v51, s35
	v_cndmask_b32_e64 v51, v51, v52, s35
	v_mov_b32_e32 v52, v114
	s_or_b32 exec_lo, exec_lo, s38
	s_and_saveexec_b32 s38, s75
	s_cbranch_execnz .LBB872_910
.LBB872_1389:
	s_or_b32 exec_lo, exec_lo, s38
	s_and_saveexec_b32 s38, s76
	s_cbranch_execz .LBB872_911
.LBB872_1390:
	v_mov_b32_e32 v114, 1
	v_lshlrev_b32_sdwa v115, v114, v48 dst_sel:DWORD dst_unused:UNUSED_PAD src0_sel:DWORD src1_sel:WORD_0
	v_lshlrev_b32_sdwa v116, v114, v103 dst_sel:DWORD dst_unused:UNUSED_PAD src0_sel:DWORD src1_sel:WORD_0
	v_add_co_u32 v114, s35, v6, v115
	v_add_co_ci_u32_e64 v115, null, 0, v7, s35
	v_add_co_u32 v116, s35, v6, v116
	v_add_co_ci_u32_e64 v117, null, 0, v7, s35
	s_clause 0x1
	flat_load_ushort v114, v[114:115]
	flat_load_ushort v115, v[116:117]
	s_waitcnt vmcnt(0) lgkmcnt(0)
	v_cmp_lt_u16_e64 s35, v114, v115
	v_cndmask_b32_e64 v114, v103, v48, s35
	v_cndmask_b32_e64 v48, v48, v103, s35
	v_mov_b32_e32 v103, v114
	s_or_b32 exec_lo, exec_lo, s38
	s_and_saveexec_b32 s38, s77
	s_cbranch_execnz .LBB872_912
.LBB872_1391:
	s_or_b32 exec_lo, exec_lo, s38
	s_and_saveexec_b32 s38, s78
	s_cbranch_execz .LBB872_913
.LBB872_1392:
	v_mov_b32_e32 v114, 1
	v_lshlrev_b32_sdwa v115, v114, v98 dst_sel:DWORD dst_unused:UNUSED_PAD src0_sel:DWORD src1_sel:WORD_0
	v_lshlrev_b32_sdwa v116, v114, v100 dst_sel:DWORD dst_unused:UNUSED_PAD src0_sel:DWORD src1_sel:WORD_0
	v_add_co_u32 v114, s35, v6, v115
	v_add_co_ci_u32_e64 v115, null, 0, v7, s35
	v_add_co_u32 v116, s35, v6, v116
	v_add_co_ci_u32_e64 v117, null, 0, v7, s35
	s_clause 0x1
	flat_load_ushort v114, v[114:115]
	flat_load_ushort v115, v[116:117]
	s_waitcnt vmcnt(0) lgkmcnt(0)
	v_cmp_lt_u16_e64 s35, v114, v115
	v_cndmask_b32_e64 v114, v98, v100, s35
	v_cndmask_b32_e64 v100, v100, v98, s35
	v_mov_b32_e32 v98, v114
	s_or_b32 exec_lo, exec_lo, s38
	s_and_saveexec_b32 s38, s79
	s_cbranch_execnz .LBB872_914
.LBB872_1393:
	s_or_b32 exec_lo, exec_lo, s38
	s_and_saveexec_b32 s38, s88
	s_cbranch_execz .LBB872_915
.LBB872_1394:
	v_mov_b32_e32 v114, 1
	v_lshlrev_b32_sdwa v115, v114, v86 dst_sel:DWORD dst_unused:UNUSED_PAD src0_sel:DWORD src1_sel:WORD_0
	v_lshlrev_b32_sdwa v116, v114, v87 dst_sel:DWORD dst_unused:UNUSED_PAD src0_sel:DWORD src1_sel:WORD_0
	v_add_co_u32 v114, s35, v6, v115
	v_add_co_ci_u32_e64 v115, null, 0, v7, s35
	v_add_co_u32 v116, s35, v6, v116
	v_add_co_ci_u32_e64 v117, null, 0, v7, s35
	s_clause 0x1
	flat_load_ushort v114, v[114:115]
	flat_load_ushort v115, v[116:117]
	s_waitcnt vmcnt(0) lgkmcnt(0)
	v_cmp_lt_u16_e64 s35, v114, v115
	v_cndmask_b32_e64 v114, v86, v87, s35
	v_cndmask_b32_e64 v87, v87, v86, s35
	v_mov_b32_e32 v86, v114
	s_or_b32 exec_lo, exec_lo, s38
	s_and_saveexec_b32 s38, s89
	s_cbranch_execnz .LBB872_916
.LBB872_1395:
	s_or_b32 exec_lo, exec_lo, s38
	s_and_saveexec_b32 s38, s90
	s_cbranch_execz .LBB872_917
.LBB872_1396:
	v_mov_b32_e32 v114, 1
	v_lshlrev_b32_sdwa v115, v114, v82 dst_sel:DWORD dst_unused:UNUSED_PAD src0_sel:DWORD src1_sel:WORD_0
	v_lshlrev_b32_sdwa v116, v114, v83 dst_sel:DWORD dst_unused:UNUSED_PAD src0_sel:DWORD src1_sel:WORD_0
	v_add_co_u32 v114, s35, v6, v115
	v_add_co_ci_u32_e64 v115, null, 0, v7, s35
	v_add_co_u32 v116, s35, v6, v116
	v_add_co_ci_u32_e64 v117, null, 0, v7, s35
	s_clause 0x1
	flat_load_ushort v114, v[114:115]
	flat_load_ushort v115, v[116:117]
	s_waitcnt vmcnt(0) lgkmcnt(0)
	v_cmp_lt_u16_e64 s35, v114, v115
	v_cndmask_b32_e64 v114, v82, v83, s35
	v_cndmask_b32_e64 v83, v83, v82, s35
	v_mov_b32_e32 v82, v114
	s_or_b32 exec_lo, exec_lo, s38
	s_and_saveexec_b32 s38, s91
	s_cbranch_execnz .LBB872_918
.LBB872_1397:
	s_or_b32 exec_lo, exec_lo, s38
	s_and_saveexec_b32 s38, s92
	s_cbranch_execz .LBB872_919
.LBB872_1398:
	v_mov_b32_e32 v114, 1
	v_lshlrev_b32_sdwa v115, v114, v70 dst_sel:DWORD dst_unused:UNUSED_PAD src0_sel:DWORD src1_sel:WORD_0
	v_lshlrev_b32_sdwa v116, v114, v71 dst_sel:DWORD dst_unused:UNUSED_PAD src0_sel:DWORD src1_sel:WORD_0
	v_add_co_u32 v114, s35, v6, v115
	v_add_co_ci_u32_e64 v115, null, 0, v7, s35
	v_add_co_u32 v116, s35, v6, v116
	v_add_co_ci_u32_e64 v117, null, 0, v7, s35
	s_clause 0x1
	flat_load_ushort v114, v[114:115]
	flat_load_ushort v115, v[116:117]
	s_waitcnt vmcnt(0) lgkmcnt(0)
	v_cmp_lt_u16_e64 s35, v114, v115
	v_cndmask_b32_e64 v114, v70, v71, s35
	v_cndmask_b32_e64 v71, v71, v70, s35
	v_mov_b32_e32 v70, v114
	s_or_b32 exec_lo, exec_lo, s38
	s_and_saveexec_b32 s38, s93
	s_cbranch_execnz .LBB872_920
.LBB872_1399:
	s_or_b32 exec_lo, exec_lo, s38
	s_and_saveexec_b32 s38, s94
	s_cbranch_execz .LBB872_921
.LBB872_1400:
	v_mov_b32_e32 v114, 1
	v_lshlrev_b32_sdwa v115, v114, v66 dst_sel:DWORD dst_unused:UNUSED_PAD src0_sel:DWORD src1_sel:WORD_0
	v_lshlrev_b32_sdwa v116, v114, v67 dst_sel:DWORD dst_unused:UNUSED_PAD src0_sel:DWORD src1_sel:WORD_0
	v_add_co_u32 v114, s35, v6, v115
	v_add_co_ci_u32_e64 v115, null, 0, v7, s35
	v_add_co_u32 v116, s35, v6, v116
	v_add_co_ci_u32_e64 v117, null, 0, v7, s35
	s_clause 0x1
	flat_load_ushort v114, v[114:115]
	flat_load_ushort v115, v[116:117]
	s_waitcnt vmcnt(0) lgkmcnt(0)
	v_cmp_lt_u16_e64 s35, v114, v115
	v_cndmask_b32_e64 v114, v66, v67, s35
	v_cndmask_b32_e64 v67, v67, v66, s35
	v_mov_b32_e32 v66, v114
	s_or_b32 exec_lo, exec_lo, s38
	s_and_saveexec_b32 s38, s95
	s_cbranch_execnz .LBB872_922
.LBB872_1401:
	s_or_b32 exec_lo, exec_lo, s38
	s_and_saveexec_b32 s38, vcc_hi
	s_cbranch_execz .LBB872_923
.LBB872_1402:
	v_mov_b32_e32 v114, 1
	v_lshlrev_b32_sdwa v115, v114, v53 dst_sel:DWORD dst_unused:UNUSED_PAD src0_sel:DWORD src1_sel:WORD_0
	v_lshlrev_b32_sdwa v116, v114, v54 dst_sel:DWORD dst_unused:UNUSED_PAD src0_sel:DWORD src1_sel:WORD_0
	v_add_co_u32 v114, s35, v6, v115
	v_add_co_ci_u32_e64 v115, null, 0, v7, s35
	v_add_co_u32 v116, s35, v6, v116
	v_add_co_ci_u32_e64 v117, null, 0, v7, s35
	s_clause 0x1
	flat_load_ushort v114, v[114:115]
	flat_load_ushort v115, v[116:117]
	s_waitcnt vmcnt(0) lgkmcnt(0)
	v_cmp_lt_u16_e64 s35, v114, v115
	v_cndmask_b32_e64 v114, v53, v54, s35
	v_cndmask_b32_e64 v54, v54, v53, s35
	v_mov_b32_e32 v53, v114
	s_or_b32 exec_lo, exec_lo, s38
	s_and_saveexec_b32 s38, s30
	s_cbranch_execnz .LBB872_924
.LBB872_1403:
	s_or_b32 exec_lo, exec_lo, s38
	s_and_saveexec_b32 s38, s31
	s_cbranch_execz .LBB872_925
.LBB872_1404:
	v_mov_b32_e32 v114, 1
	v_lshlrev_b32_sdwa v115, v114, v50 dst_sel:DWORD dst_unused:UNUSED_PAD src0_sel:DWORD src1_sel:WORD_0
	v_lshlrev_b32_sdwa v116, v114, v51 dst_sel:DWORD dst_unused:UNUSED_PAD src0_sel:DWORD src1_sel:WORD_0
	v_add_co_u32 v114, s35, v6, v115
	v_add_co_ci_u32_e64 v115, null, 0, v7, s35
	v_add_co_u32 v116, s35, v6, v116
	v_add_co_ci_u32_e64 v117, null, 0, v7, s35
	s_clause 0x1
	flat_load_ushort v114, v[114:115]
	flat_load_ushort v115, v[116:117]
	s_waitcnt vmcnt(0) lgkmcnt(0)
	v_cmp_lt_u16_e64 s35, v114, v115
	v_cndmask_b32_e64 v114, v51, v50, s35
	v_cndmask_b32_e64 v50, v50, v51, s35
	v_mov_b32_e32 v51, v114
	s_or_b32 exec_lo, exec_lo, s38
	s_and_saveexec_b32 s38, s34
	s_cbranch_execnz .LBB872_926
.LBB872_1405:
	s_or_b32 exec_lo, exec_lo, s38
	s_and_saveexec_b32 s38, s8
	s_cbranch_execz .LBB872_927
.LBB872_1406:
	v_mov_b32_e32 v114, 1
	v_lshlrev_b32_sdwa v115, v114, v102 dst_sel:DWORD dst_unused:UNUSED_PAD src0_sel:DWORD src1_sel:WORD_0
	v_lshlrev_b32_sdwa v116, v114, v99 dst_sel:DWORD dst_unused:UNUSED_PAD src0_sel:DWORD src1_sel:WORD_0
	v_add_co_u32 v114, s35, v6, v115
	v_add_co_ci_u32_e64 v115, null, 0, v7, s35
	v_add_co_u32 v116, s35, v6, v116
	v_add_co_ci_u32_e64 v117, null, 0, v7, s35
	s_clause 0x1
	flat_load_ushort v114, v[114:115]
	flat_load_ushort v115, v[116:117]
	s_waitcnt vmcnt(0) lgkmcnt(0)
	v_cmp_lt_u16_e64 s35, v114, v115
	v_cndmask_b32_e64 v114, v102, v99, s35
	v_cndmask_b32_e64 v99, v99, v102, s35
	v_mov_b32_e32 v102, v114
	s_or_b32 exec_lo, exec_lo, s38
	s_and_saveexec_b32 s38, s9
	s_cbranch_execnz .LBB872_928
.LBB872_1407:
	s_or_b32 exec_lo, exec_lo, s38
	s_and_saveexec_b32 s38, s12
	s_cbranch_execz .LBB872_929
.LBB872_1408:
	v_mov_b32_e32 v114, 1
	v_lshlrev_b32_sdwa v115, v114, v97 dst_sel:DWORD dst_unused:UNUSED_PAD src0_sel:DWORD src1_sel:WORD_0
	v_lshlrev_b32_sdwa v116, v114, v98 dst_sel:DWORD dst_unused:UNUSED_PAD src0_sel:DWORD src1_sel:WORD_0
	v_add_co_u32 v114, s35, v6, v115
	v_add_co_ci_u32_e64 v115, null, 0, v7, s35
	v_add_co_u32 v116, s35, v6, v116
	v_add_co_ci_u32_e64 v117, null, 0, v7, s35
	s_clause 0x1
	flat_load_ushort v114, v[114:115]
	flat_load_ushort v115, v[116:117]
	s_waitcnt vmcnt(0) lgkmcnt(0)
	v_cmp_lt_u16_e64 s35, v114, v115
	v_cndmask_b32_e64 v114, v97, v98, s35
	v_cndmask_b32_e64 v98, v98, v97, s35
	v_mov_b32_e32 v97, v114
	s_or_b32 exec_lo, exec_lo, s38
	s_and_saveexec_b32 s38, s13
	s_cbranch_execnz .LBB872_930
.LBB872_1409:
	s_or_b32 exec_lo, exec_lo, s38
	s_and_saveexec_b32 s38, s57
	s_cbranch_execz .LBB872_931
.LBB872_1410:
	v_mov_b32_e32 v114, 1
	v_lshlrev_b32_sdwa v115, v114, v85 dst_sel:DWORD dst_unused:UNUSED_PAD src0_sel:DWORD src1_sel:WORD_0
	v_lshlrev_b32_sdwa v116, v114, v86 dst_sel:DWORD dst_unused:UNUSED_PAD src0_sel:DWORD src1_sel:WORD_0
	v_add_co_u32 v114, s35, v6, v115
	v_add_co_ci_u32_e64 v115, null, 0, v7, s35
	v_add_co_u32 v116, s35, v6, v116
	v_add_co_ci_u32_e64 v117, null, 0, v7, s35
	s_clause 0x1
	flat_load_ushort v114, v[114:115]
	flat_load_ushort v115, v[116:117]
	s_waitcnt vmcnt(0) lgkmcnt(0)
	v_cmp_lt_u16_e64 s35, v114, v115
	v_cndmask_b32_e64 v114, v85, v86, s35
	v_cndmask_b32_e64 v86, v86, v85, s35
	v_mov_b32_e32 v85, v114
	s_or_b32 exec_lo, exec_lo, s38
	s_and_saveexec_b32 s38, s58
	s_cbranch_execnz .LBB872_932
.LBB872_1411:
	s_or_b32 exec_lo, exec_lo, s38
	s_and_saveexec_b32 s38, s59
	s_cbranch_execz .LBB872_933
.LBB872_1412:
	v_mov_b32_e32 v114, 1
	v_lshlrev_b32_sdwa v115, v114, v81 dst_sel:DWORD dst_unused:UNUSED_PAD src0_sel:DWORD src1_sel:WORD_0
	v_lshlrev_b32_sdwa v116, v114, v82 dst_sel:DWORD dst_unused:UNUSED_PAD src0_sel:DWORD src1_sel:WORD_0
	v_add_co_u32 v114, s35, v6, v115
	v_add_co_ci_u32_e64 v115, null, 0, v7, s35
	v_add_co_u32 v116, s35, v6, v116
	v_add_co_ci_u32_e64 v117, null, 0, v7, s35
	s_clause 0x1
	flat_load_ushort v114, v[114:115]
	flat_load_ushort v115, v[116:117]
	s_waitcnt vmcnt(0) lgkmcnt(0)
	v_cmp_lt_u16_e64 s35, v114, v115
	v_cndmask_b32_e64 v114, v81, v82, s35
	v_cndmask_b32_e64 v82, v82, v81, s35
	v_mov_b32_e32 v81, v114
	s_or_b32 exec_lo, exec_lo, s38
	s_and_saveexec_b32 s38, s60
	s_cbranch_execnz .LBB872_934
.LBB872_1413:
	s_or_b32 exec_lo, exec_lo, s38
	s_and_saveexec_b32 s38, s61
	s_cbranch_execz .LBB872_935
.LBB872_1414:
	v_mov_b32_e32 v114, 1
	v_lshlrev_b32_sdwa v115, v114, v69 dst_sel:DWORD dst_unused:UNUSED_PAD src0_sel:DWORD src1_sel:WORD_0
	v_lshlrev_b32_sdwa v116, v114, v70 dst_sel:DWORD dst_unused:UNUSED_PAD src0_sel:DWORD src1_sel:WORD_0
	v_add_co_u32 v114, s35, v6, v115
	v_add_co_ci_u32_e64 v115, null, 0, v7, s35
	v_add_co_u32 v116, s35, v6, v116
	v_add_co_ci_u32_e64 v117, null, 0, v7, s35
	s_clause 0x1
	flat_load_ushort v114, v[114:115]
	flat_load_ushort v115, v[116:117]
	s_waitcnt vmcnt(0) lgkmcnt(0)
	v_cmp_lt_u16_e64 s35, v114, v115
	v_cndmask_b32_e64 v114, v69, v70, s35
	v_cndmask_b32_e64 v70, v70, v69, s35
	v_mov_b32_e32 v69, v114
	s_or_b32 exec_lo, exec_lo, s38
	s_and_saveexec_b32 s38, s62
	s_cbranch_execnz .LBB872_936
.LBB872_1415:
	s_or_b32 exec_lo, exec_lo, s38
	s_and_saveexec_b32 s38, s63
	s_cbranch_execz .LBB872_937
.LBB872_1416:
	v_mov_b32_e32 v114, 1
	v_lshlrev_b32_sdwa v115, v114, v65 dst_sel:DWORD dst_unused:UNUSED_PAD src0_sel:DWORD src1_sel:WORD_0
	v_lshlrev_b32_sdwa v116, v114, v66 dst_sel:DWORD dst_unused:UNUSED_PAD src0_sel:DWORD src1_sel:WORD_0
	v_add_co_u32 v114, s35, v6, v115
	v_add_co_ci_u32_e64 v115, null, 0, v7, s35
	v_add_co_u32 v116, s35, v6, v116
	v_add_co_ci_u32_e64 v117, null, 0, v7, s35
	s_clause 0x1
	flat_load_ushort v114, v[114:115]
	flat_load_ushort v115, v[116:117]
	s_waitcnt vmcnt(0) lgkmcnt(0)
	v_cmp_lt_u16_e64 s35, v114, v115
	v_cndmask_b32_e64 v114, v65, v66, s35
	v_cndmask_b32_e64 v66, v66, v65, s35
	v_mov_b32_e32 v65, v114
	s_or_b32 exec_lo, exec_lo, s38
	s_and_saveexec_b32 s38, s72
	s_cbranch_execnz .LBB872_938
.LBB872_1417:
	s_or_b32 exec_lo, exec_lo, s38
	s_and_saveexec_b32 s38, s73
	s_cbranch_execz .LBB872_939
.LBB872_1418:
	v_mov_b32_e32 v114, 1
	v_lshlrev_b32_sdwa v115, v114, v64 dst_sel:DWORD dst_unused:UNUSED_PAD src0_sel:DWORD src1_sel:WORD_0
	v_lshlrev_b32_sdwa v116, v114, v53 dst_sel:DWORD dst_unused:UNUSED_PAD src0_sel:DWORD src1_sel:WORD_0
	v_add_co_u32 v114, s35, v6, v115
	v_add_co_ci_u32_e64 v115, null, 0, v7, s35
	v_add_co_u32 v116, s35, v6, v116
	v_add_co_ci_u32_e64 v117, null, 0, v7, s35
	s_clause 0x1
	flat_load_ushort v114, v[114:115]
	flat_load_ushort v115, v[116:117]
	s_waitcnt vmcnt(0) lgkmcnt(0)
	v_cmp_lt_u16_e64 s35, v114, v115
	v_cndmask_b32_e64 v114, v64, v53, s35
	v_cndmask_b32_e64 v53, v53, v64, s35
	v_mov_b32_e32 v64, v114
	s_or_b32 exec_lo, exec_lo, s38
	s_and_saveexec_b32 s38, s74
	s_cbranch_execnz .LBB872_940
.LBB872_1419:
	s_or_b32 exec_lo, exec_lo, s38
	s_and_saveexec_b32 s38, s75
	s_cbranch_execz .LBB872_941
.LBB872_1420:
	v_mov_b32_e32 v114, 1
	v_lshlrev_b32_sdwa v115, v114, v49 dst_sel:DWORD dst_unused:UNUSED_PAD src0_sel:DWORD src1_sel:WORD_0
	v_lshlrev_b32_sdwa v116, v114, v50 dst_sel:DWORD dst_unused:UNUSED_PAD src0_sel:DWORD src1_sel:WORD_0
	v_add_co_u32 v114, s35, v6, v115
	v_add_co_ci_u32_e64 v115, null, 0, v7, s35
	v_add_co_u32 v116, s35, v6, v116
	v_add_co_ci_u32_e64 v117, null, 0, v7, s35
	s_clause 0x1
	flat_load_ushort v114, v[114:115]
	flat_load_ushort v115, v[116:117]
	s_waitcnt vmcnt(0) lgkmcnt(0)
	v_cmp_lt_u16_e64 s35, v114, v115
	v_cndmask_b32_e64 v114, v50, v49, s35
	v_cndmask_b32_e64 v49, v49, v50, s35
	v_mov_b32_e32 v50, v114
	s_or_b32 exec_lo, exec_lo, s38
	s_and_saveexec_b32 s38, s76
	s_cbranch_execnz .LBB872_942
.LBB872_1421:
	s_or_b32 exec_lo, exec_lo, s38
	s_and_saveexec_b32 s38, s77
	s_cbranch_execz .LBB872_943
.LBB872_1422:
	v_mov_b32_e32 v114, 1
	v_lshlrev_b32_sdwa v115, v114, v101 dst_sel:DWORD dst_unused:UNUSED_PAD src0_sel:DWORD src1_sel:WORD_0
	v_lshlrev_b32_sdwa v116, v114, v102 dst_sel:DWORD dst_unused:UNUSED_PAD src0_sel:DWORD src1_sel:WORD_0
	v_add_co_u32 v114, s35, v6, v115
	v_add_co_ci_u32_e64 v115, null, 0, v7, s35
	v_add_co_u32 v116, s35, v6, v116
	v_add_co_ci_u32_e64 v117, null, 0, v7, s35
	s_clause 0x1
	flat_load_ushort v114, v[114:115]
	flat_load_ushort v115, v[116:117]
	s_waitcnt vmcnt(0) lgkmcnt(0)
	v_cmp_lt_u16_e64 s35, v114, v115
	v_cndmask_b32_e64 v114, v101, v102, s35
	v_cndmask_b32_e64 v102, v102, v101, s35
	v_mov_b32_e32 v101, v114
	s_or_b32 exec_lo, exec_lo, s38
	s_and_saveexec_b32 s38, s78
	s_cbranch_execnz .LBB872_944
.LBB872_1423:
	s_or_b32 exec_lo, exec_lo, s38
	s_and_saveexec_b32 s38, s79
	s_cbranch_execz .LBB872_945
.LBB872_1424:
	v_mov_b32_e32 v114, 1
	v_lshlrev_b32_sdwa v115, v114, v96 dst_sel:DWORD dst_unused:UNUSED_PAD src0_sel:DWORD src1_sel:WORD_0
	v_lshlrev_b32_sdwa v116, v114, v97 dst_sel:DWORD dst_unused:UNUSED_PAD src0_sel:DWORD src1_sel:WORD_0
	v_add_co_u32 v114, s35, v6, v115
	v_add_co_ci_u32_e64 v115, null, 0, v7, s35
	v_add_co_u32 v116, s35, v6, v116
	v_add_co_ci_u32_e64 v117, null, 0, v7, s35
	s_clause 0x1
	flat_load_ushort v114, v[114:115]
	flat_load_ushort v115, v[116:117]
	s_waitcnt vmcnt(0) lgkmcnt(0)
	v_cmp_lt_u16_e64 s35, v114, v115
	v_cndmask_b32_e64 v114, v96, v97, s35
	v_cndmask_b32_e64 v97, v97, v96, s35
	v_mov_b32_e32 v96, v114
	s_or_b32 exec_lo, exec_lo, s38
	s_and_saveexec_b32 s38, s88
	s_cbranch_execnz .LBB872_946
.LBB872_1425:
	s_or_b32 exec_lo, exec_lo, s38
	s_and_saveexec_b32 s38, s89
	s_cbranch_execz .LBB872_947
.LBB872_1426:
	v_mov_b32_e32 v114, 1
	v_lshlrev_b32_sdwa v115, v114, v84 dst_sel:DWORD dst_unused:UNUSED_PAD src0_sel:DWORD src1_sel:WORD_0
	v_lshlrev_b32_sdwa v116, v114, v85 dst_sel:DWORD dst_unused:UNUSED_PAD src0_sel:DWORD src1_sel:WORD_0
	v_add_co_u32 v114, s35, v6, v115
	v_add_co_ci_u32_e64 v115, null, 0, v7, s35
	v_add_co_u32 v116, s35, v6, v116
	v_add_co_ci_u32_e64 v117, null, 0, v7, s35
	s_clause 0x1
	flat_load_ushort v114, v[114:115]
	flat_load_ushort v115, v[116:117]
	s_waitcnt vmcnt(0) lgkmcnt(0)
	v_cmp_lt_u16_e64 s35, v114, v115
	v_cndmask_b32_e64 v114, v84, v85, s35
	v_cndmask_b32_e64 v85, v85, v84, s35
	v_mov_b32_e32 v84, v114
	s_or_b32 exec_lo, exec_lo, s38
	s_and_saveexec_b32 s38, s90
	s_cbranch_execnz .LBB872_948
.LBB872_1427:
	s_or_b32 exec_lo, exec_lo, s38
	s_and_saveexec_b32 s38, s91
	s_cbranch_execz .LBB872_949
.LBB872_1428:
	v_mov_b32_e32 v114, 1
	v_lshlrev_b32_sdwa v115, v114, v80 dst_sel:DWORD dst_unused:UNUSED_PAD src0_sel:DWORD src1_sel:WORD_0
	v_lshlrev_b32_sdwa v116, v114, v81 dst_sel:DWORD dst_unused:UNUSED_PAD src0_sel:DWORD src1_sel:WORD_0
	v_add_co_u32 v114, s35, v6, v115
	v_add_co_ci_u32_e64 v115, null, 0, v7, s35
	v_add_co_u32 v116, s35, v6, v116
	v_add_co_ci_u32_e64 v117, null, 0, v7, s35
	s_clause 0x1
	flat_load_ushort v114, v[114:115]
	flat_load_ushort v115, v[116:117]
	s_waitcnt vmcnt(0) lgkmcnt(0)
	v_cmp_lt_u16_e64 s35, v114, v115
	v_cndmask_b32_e64 v114, v80, v81, s35
	v_cndmask_b32_e64 v81, v81, v80, s35
	v_mov_b32_e32 v80, v114
	s_or_b32 exec_lo, exec_lo, s38
	s_and_saveexec_b32 s38, s92
	s_cbranch_execnz .LBB872_950
.LBB872_1429:
	s_or_b32 exec_lo, exec_lo, s38
	s_and_saveexec_b32 s38, s93
	s_cbranch_execz .LBB872_951
.LBB872_1430:
	v_mov_b32_e32 v114, 1
	v_lshlrev_b32_sdwa v115, v114, v68 dst_sel:DWORD dst_unused:UNUSED_PAD src0_sel:DWORD src1_sel:WORD_0
	v_lshlrev_b32_sdwa v116, v114, v69 dst_sel:DWORD dst_unused:UNUSED_PAD src0_sel:DWORD src1_sel:WORD_0
	v_add_co_u32 v114, s35, v6, v115
	v_add_co_ci_u32_e64 v115, null, 0, v7, s35
	v_add_co_u32 v116, s35, v6, v116
	v_add_co_ci_u32_e64 v117, null, 0, v7, s35
	s_clause 0x1
	flat_load_ushort v114, v[114:115]
	flat_load_ushort v115, v[116:117]
	s_waitcnt vmcnt(0) lgkmcnt(0)
	v_cmp_lt_u16_e64 s35, v114, v115
	v_cndmask_b32_e64 v114, v68, v69, s35
	v_cndmask_b32_e64 v69, v69, v68, s35
	v_mov_b32_e32 v68, v114
	s_or_b32 exec_lo, exec_lo, s38
	s_and_saveexec_b32 s38, s94
	s_cbranch_execnz .LBB872_952
.LBB872_1431:
	s_or_b32 exec_lo, exec_lo, s38
	s_and_saveexec_b32 s38, s95
	s_cbranch_execz .LBB872_953
.LBB872_1432:
	v_mov_b32_e32 v114, 1
	v_lshlrev_b32_sdwa v115, v114, v55 dst_sel:DWORD dst_unused:UNUSED_PAD src0_sel:DWORD src1_sel:WORD_0
	v_lshlrev_b32_sdwa v116, v114, v65 dst_sel:DWORD dst_unused:UNUSED_PAD src0_sel:DWORD src1_sel:WORD_0
	v_add_co_u32 v114, s35, v6, v115
	v_add_co_ci_u32_e64 v115, null, 0, v7, s35
	v_add_co_u32 v116, s35, v6, v116
	v_add_co_ci_u32_e64 v117, null, 0, v7, s35
	s_clause 0x1
	flat_load_ushort v114, v[114:115]
	flat_load_ushort v115, v[116:117]
	s_waitcnt vmcnt(0) lgkmcnt(0)
	v_cmp_lt_u16_e64 s35, v114, v115
	v_cndmask_b32_e64 v114, v55, v65, s35
	v_cndmask_b32_e64 v65, v65, v55, s35
	v_mov_b32_e32 v55, v114
	s_or_b32 exec_lo, exec_lo, s38
	s_and_saveexec_b32 s38, vcc_hi
	s_cbranch_execnz .LBB872_954
.LBB872_1433:
	s_or_b32 exec_lo, exec_lo, s38
	s_and_saveexec_b32 s38, s30
	s_cbranch_execz .LBB872_955
.LBB872_1434:
	v_mov_b32_e32 v114, 1
	v_lshlrev_b32_sdwa v115, v114, v52 dst_sel:DWORD dst_unused:UNUSED_PAD src0_sel:DWORD src1_sel:WORD_0
	v_lshlrev_b32_sdwa v116, v114, v64 dst_sel:DWORD dst_unused:UNUSED_PAD src0_sel:DWORD src1_sel:WORD_0
	v_add_co_u32 v114, s35, v6, v115
	v_add_co_ci_u32_e64 v115, null, 0, v7, s35
	v_add_co_u32 v116, s35, v6, v116
	v_add_co_ci_u32_e64 v117, null, 0, v7, s35
	s_clause 0x1
	flat_load_ushort v114, v[114:115]
	flat_load_ushort v115, v[116:117]
	s_waitcnt vmcnt(0) lgkmcnt(0)
	v_cmp_lt_u16_e64 s35, v114, v115
	v_cndmask_b32_e64 v114, v64, v52, s35
	v_cndmask_b32_e64 v52, v52, v64, s35
	v_mov_b32_e32 v64, v114
	s_or_b32 exec_lo, exec_lo, s38
	s_and_saveexec_b32 s38, s31
	s_cbranch_execnz .LBB872_956
.LBB872_1435:
	s_or_b32 exec_lo, exec_lo, s38
	s_and_saveexec_b32 s38, s34
	s_cbranch_execz .LBB872_957
.LBB872_1436:
	v_mov_b32_e32 v114, 1
	v_lshlrev_b32_sdwa v115, v114, v103 dst_sel:DWORD dst_unused:UNUSED_PAD src0_sel:DWORD src1_sel:WORD_0
	v_lshlrev_b32_sdwa v116, v114, v49 dst_sel:DWORD dst_unused:UNUSED_PAD src0_sel:DWORD src1_sel:WORD_0
	v_add_co_u32 v114, s35, v6, v115
	v_add_co_ci_u32_e64 v115, null, 0, v7, s35
	v_add_co_u32 v116, s35, v6, v116
	v_add_co_ci_u32_e64 v117, null, 0, v7, s35
	s_clause 0x1
	flat_load_ushort v114, v[114:115]
	flat_load_ushort v115, v[116:117]
	s_waitcnt vmcnt(0) lgkmcnt(0)
	v_cmp_lt_u16_e64 s35, v114, v115
	v_cndmask_b32_e64 v114, v49, v103, s35
	v_cndmask_b32_e64 v103, v103, v49, s35
	v_mov_b32_e32 v49, v114
	s_or_b32 exec_lo, exec_lo, s38
	s_and_saveexec_b32 s38, s8
	s_cbranch_execnz .LBB872_958
.LBB872_1437:
	s_or_b32 exec_lo, exec_lo, s38
	s_and_saveexec_b32 s38, s9
	s_cbranch_execz .LBB872_959
.LBB872_1438:
	v_mov_b32_e32 v114, 1
	v_lshlrev_b32_sdwa v115, v114, v100 dst_sel:DWORD dst_unused:UNUSED_PAD src0_sel:DWORD src1_sel:WORD_0
	v_lshlrev_b32_sdwa v116, v114, v101 dst_sel:DWORD dst_unused:UNUSED_PAD src0_sel:DWORD src1_sel:WORD_0
	v_add_co_u32 v114, s35, v6, v115
	v_add_co_ci_u32_e64 v115, null, 0, v7, s35
	v_add_co_u32 v116, s35, v6, v116
	v_add_co_ci_u32_e64 v117, null, 0, v7, s35
	s_clause 0x1
	flat_load_ushort v114, v[114:115]
	flat_load_ushort v115, v[116:117]
	s_waitcnt vmcnt(0) lgkmcnt(0)
	v_cmp_lt_u16_e64 s35, v114, v115
	v_cndmask_b32_e64 v114, v100, v101, s35
	v_cndmask_b32_e64 v101, v101, v100, s35
	v_mov_b32_e32 v100, v114
	s_or_b32 exec_lo, exec_lo, s38
	s_and_saveexec_b32 s38, s12
	s_cbranch_execnz .LBB872_960
.LBB872_1439:
	s_or_b32 exec_lo, exec_lo, s38
	s_and_saveexec_b32 s38, s13
	s_cbranch_execz .LBB872_961
.LBB872_1440:
	v_mov_b32_e32 v114, 1
	v_lshlrev_b32_sdwa v115, v114, v87 dst_sel:DWORD dst_unused:UNUSED_PAD src0_sel:DWORD src1_sel:WORD_0
	v_lshlrev_b32_sdwa v116, v114, v96 dst_sel:DWORD dst_unused:UNUSED_PAD src0_sel:DWORD src1_sel:WORD_0
	v_add_co_u32 v114, s35, v6, v115
	v_add_co_ci_u32_e64 v115, null, 0, v7, s35
	v_add_co_u32 v116, s35, v6, v116
	v_add_co_ci_u32_e64 v117, null, 0, v7, s35
	s_clause 0x1
	flat_load_ushort v114, v[114:115]
	flat_load_ushort v115, v[116:117]
	s_waitcnt vmcnt(0) lgkmcnt(0)
	v_cmp_lt_u16_e64 s35, v114, v115
	v_cndmask_b32_e64 v114, v87, v96, s35
	v_cndmask_b32_e64 v96, v96, v87, s35
	v_mov_b32_e32 v87, v114
	s_or_b32 exec_lo, exec_lo, s38
	s_and_saveexec_b32 s38, s57
	s_cbranch_execnz .LBB872_962
.LBB872_1441:
	s_or_b32 exec_lo, exec_lo, s38
	s_and_saveexec_b32 s38, s58
	s_cbranch_execz .LBB872_963
.LBB872_1442:
	v_mov_b32_e32 v114, 1
	v_lshlrev_b32_sdwa v115, v114, v83 dst_sel:DWORD dst_unused:UNUSED_PAD src0_sel:DWORD src1_sel:WORD_0
	v_lshlrev_b32_sdwa v116, v114, v84 dst_sel:DWORD dst_unused:UNUSED_PAD src0_sel:DWORD src1_sel:WORD_0
	v_add_co_u32 v114, s35, v6, v115
	v_add_co_ci_u32_e64 v115, null, 0, v7, s35
	v_add_co_u32 v116, s35, v6, v116
	v_add_co_ci_u32_e64 v117, null, 0, v7, s35
	s_clause 0x1
	flat_load_ushort v114, v[114:115]
	flat_load_ushort v115, v[116:117]
	s_waitcnt vmcnt(0) lgkmcnt(0)
	v_cmp_lt_u16_e64 s35, v114, v115
	v_cndmask_b32_e64 v114, v83, v84, s35
	v_cndmask_b32_e64 v84, v84, v83, s35
	v_mov_b32_e32 v83, v114
	s_or_b32 exec_lo, exec_lo, s38
	s_and_saveexec_b32 s38, s59
	s_cbranch_execnz .LBB872_964
.LBB872_1443:
	s_or_b32 exec_lo, exec_lo, s38
	s_and_saveexec_b32 s38, s60
	s_cbranch_execz .LBB872_965
.LBB872_1444:
	v_mov_b32_e32 v114, 1
	v_lshlrev_b32_sdwa v115, v114, v71 dst_sel:DWORD dst_unused:UNUSED_PAD src0_sel:DWORD src1_sel:WORD_0
	v_lshlrev_b32_sdwa v116, v114, v80 dst_sel:DWORD dst_unused:UNUSED_PAD src0_sel:DWORD src1_sel:WORD_0
	v_add_co_u32 v114, s35, v6, v115
	v_add_co_ci_u32_e64 v115, null, 0, v7, s35
	v_add_co_u32 v116, s35, v6, v116
	v_add_co_ci_u32_e64 v117, null, 0, v7, s35
	s_clause 0x1
	flat_load_ushort v114, v[114:115]
	flat_load_ushort v115, v[116:117]
	s_waitcnt vmcnt(0) lgkmcnt(0)
	v_cmp_lt_u16_e64 s35, v114, v115
	v_cndmask_b32_e64 v114, v71, v80, s35
	v_cndmask_b32_e64 v80, v80, v71, s35
	v_mov_b32_e32 v71, v114
	s_or_b32 exec_lo, exec_lo, s38
	s_and_saveexec_b32 s38, s61
	s_cbranch_execnz .LBB872_966
.LBB872_1445:
	s_or_b32 exec_lo, exec_lo, s38
	s_and_saveexec_b32 s38, s62
	s_cbranch_execz .LBB872_967
.LBB872_1446:
	v_mov_b32_e32 v114, 1
	v_lshlrev_b32_sdwa v115, v114, v67 dst_sel:DWORD dst_unused:UNUSED_PAD src0_sel:DWORD src1_sel:WORD_0
	v_lshlrev_b32_sdwa v116, v114, v68 dst_sel:DWORD dst_unused:UNUSED_PAD src0_sel:DWORD src1_sel:WORD_0
	v_add_co_u32 v114, s35, v6, v115
	v_add_co_ci_u32_e64 v115, null, 0, v7, s35
	v_add_co_u32 v116, s35, v6, v116
	v_add_co_ci_u32_e64 v117, null, 0, v7, s35
	s_clause 0x1
	flat_load_ushort v114, v[114:115]
	flat_load_ushort v115, v[116:117]
	s_waitcnt vmcnt(0) lgkmcnt(0)
	v_cmp_lt_u16_e64 s35, v114, v115
	v_cndmask_b32_e64 v114, v67, v68, s35
	v_cndmask_b32_e64 v68, v68, v67, s35
	v_mov_b32_e32 v67, v114
	s_or_b32 exec_lo, exec_lo, s38
	s_and_saveexec_b32 s38, s63
	s_cbranch_execnz .LBB872_968
.LBB872_1447:
	s_or_b32 exec_lo, exec_lo, s38
	s_and_saveexec_b32 s38, s72
	s_cbranch_execz .LBB872_969
.LBB872_1448:
	v_mov_b32_e32 v114, 1
	v_lshlrev_b32_sdwa v115, v114, v54 dst_sel:DWORD dst_unused:UNUSED_PAD src0_sel:DWORD src1_sel:WORD_0
	v_lshlrev_b32_sdwa v116, v114, v55 dst_sel:DWORD dst_unused:UNUSED_PAD src0_sel:DWORD src1_sel:WORD_0
	v_add_co_u32 v114, s35, v6, v115
	v_add_co_ci_u32_e64 v115, null, 0, v7, s35
	v_add_co_u32 v116, s35, v6, v116
	v_add_co_ci_u32_e64 v117, null, 0, v7, s35
	s_clause 0x1
	flat_load_ushort v114, v[114:115]
	flat_load_ushort v115, v[116:117]
	s_waitcnt vmcnt(0) lgkmcnt(0)
	v_cmp_lt_u16_e64 s35, v114, v115
	v_cndmask_b32_e64 v114, v54, v55, s35
	v_cndmask_b32_e64 v55, v55, v54, s35
	v_mov_b32_e32 v54, v114
	s_or_b32 exec_lo, exec_lo, s38
	s_and_saveexec_b32 s38, s73
	s_cbranch_execnz .LBB872_970
.LBB872_1449:
	s_or_b32 exec_lo, exec_lo, s38
	s_and_saveexec_b32 s38, s74
	s_cbranch_execz .LBB872_971
.LBB872_1450:
	v_mov_b32_e32 v114, 1
	v_lshlrev_b32_sdwa v115, v114, v51 dst_sel:DWORD dst_unused:UNUSED_PAD src0_sel:DWORD src1_sel:WORD_0
	v_lshlrev_b32_sdwa v116, v114, v52 dst_sel:DWORD dst_unused:UNUSED_PAD src0_sel:DWORD src1_sel:WORD_0
	v_add_co_u32 v114, s35, v6, v115
	v_add_co_ci_u32_e64 v115, null, 0, v7, s35
	v_add_co_u32 v116, s35, v6, v116
	v_add_co_ci_u32_e64 v117, null, 0, v7, s35
	s_clause 0x1
	flat_load_ushort v114, v[114:115]
	flat_load_ushort v115, v[116:117]
	s_waitcnt vmcnt(0) lgkmcnt(0)
	v_cmp_lt_u16_e64 s35, v114, v115
	v_cndmask_b32_e64 v114, v52, v51, s35
	v_cndmask_b32_e64 v51, v51, v52, s35
	v_mov_b32_e32 v52, v114
	s_or_b32 exec_lo, exec_lo, s38
	s_and_saveexec_b32 s38, s75
	s_cbranch_execnz .LBB872_972
.LBB872_1451:
	s_or_b32 exec_lo, exec_lo, s38
	s_and_saveexec_b32 s38, s76
	s_cbranch_execz .LBB872_973
.LBB872_1452:
	v_mov_b32_e32 v114, 1
	v_lshlrev_b32_sdwa v115, v114, v48 dst_sel:DWORD dst_unused:UNUSED_PAD src0_sel:DWORD src1_sel:WORD_0
	v_lshlrev_b32_sdwa v116, v114, v103 dst_sel:DWORD dst_unused:UNUSED_PAD src0_sel:DWORD src1_sel:WORD_0
	v_add_co_u32 v114, s35, v6, v115
	v_add_co_ci_u32_e64 v115, null, 0, v7, s35
	v_add_co_u32 v116, s35, v6, v116
	v_add_co_ci_u32_e64 v117, null, 0, v7, s35
	s_clause 0x1
	flat_load_ushort v114, v[114:115]
	flat_load_ushort v115, v[116:117]
	s_waitcnt vmcnt(0) lgkmcnt(0)
	v_cmp_lt_u16_e64 s35, v114, v115
	v_cndmask_b32_e64 v114, v103, v48, s35
	v_cndmask_b32_e64 v48, v48, v103, s35
	v_mov_b32_e32 v103, v114
	s_or_b32 exec_lo, exec_lo, s38
	s_and_saveexec_b32 s38, s77
	s_cbranch_execnz .LBB872_974
.LBB872_1453:
	s_or_b32 exec_lo, exec_lo, s38
	s_and_saveexec_b32 s38, s78
	s_cbranch_execz .LBB872_975
.LBB872_1454:
	v_mov_b32_e32 v114, 1
	v_lshlrev_b32_sdwa v115, v114, v98 dst_sel:DWORD dst_unused:UNUSED_PAD src0_sel:DWORD src1_sel:WORD_0
	v_lshlrev_b32_sdwa v116, v114, v100 dst_sel:DWORD dst_unused:UNUSED_PAD src0_sel:DWORD src1_sel:WORD_0
	v_add_co_u32 v114, s35, v6, v115
	v_add_co_ci_u32_e64 v115, null, 0, v7, s35
	v_add_co_u32 v116, s35, v6, v116
	v_add_co_ci_u32_e64 v117, null, 0, v7, s35
	s_clause 0x1
	flat_load_ushort v114, v[114:115]
	flat_load_ushort v115, v[116:117]
	s_waitcnt vmcnt(0) lgkmcnt(0)
	v_cmp_lt_u16_e64 s35, v114, v115
	v_cndmask_b32_e64 v114, v98, v100, s35
	v_cndmask_b32_e64 v100, v100, v98, s35
	v_mov_b32_e32 v98, v114
	s_or_b32 exec_lo, exec_lo, s38
	s_and_saveexec_b32 s38, s79
	s_cbranch_execnz .LBB872_976
.LBB872_1455:
	s_or_b32 exec_lo, exec_lo, s38
	s_and_saveexec_b32 s38, s88
	s_cbranch_execz .LBB872_977
.LBB872_1456:
	v_mov_b32_e32 v114, 1
	v_lshlrev_b32_sdwa v115, v114, v86 dst_sel:DWORD dst_unused:UNUSED_PAD src0_sel:DWORD src1_sel:WORD_0
	v_lshlrev_b32_sdwa v116, v114, v87 dst_sel:DWORD dst_unused:UNUSED_PAD src0_sel:DWORD src1_sel:WORD_0
	v_add_co_u32 v114, s35, v6, v115
	v_add_co_ci_u32_e64 v115, null, 0, v7, s35
	v_add_co_u32 v116, s35, v6, v116
	v_add_co_ci_u32_e64 v117, null, 0, v7, s35
	s_clause 0x1
	flat_load_ushort v114, v[114:115]
	flat_load_ushort v115, v[116:117]
	s_waitcnt vmcnt(0) lgkmcnt(0)
	v_cmp_lt_u16_e64 s35, v114, v115
	v_cndmask_b32_e64 v114, v86, v87, s35
	v_cndmask_b32_e64 v87, v87, v86, s35
	v_mov_b32_e32 v86, v114
	s_or_b32 exec_lo, exec_lo, s38
	s_and_saveexec_b32 s38, s89
	s_cbranch_execnz .LBB872_978
.LBB872_1457:
	s_or_b32 exec_lo, exec_lo, s38
	s_and_saveexec_b32 s38, s90
	s_cbranch_execz .LBB872_979
.LBB872_1458:
	v_mov_b32_e32 v114, 1
	v_lshlrev_b32_sdwa v115, v114, v82 dst_sel:DWORD dst_unused:UNUSED_PAD src0_sel:DWORD src1_sel:WORD_0
	v_lshlrev_b32_sdwa v116, v114, v83 dst_sel:DWORD dst_unused:UNUSED_PAD src0_sel:DWORD src1_sel:WORD_0
	v_add_co_u32 v114, s35, v6, v115
	v_add_co_ci_u32_e64 v115, null, 0, v7, s35
	v_add_co_u32 v116, s35, v6, v116
	v_add_co_ci_u32_e64 v117, null, 0, v7, s35
	s_clause 0x1
	flat_load_ushort v114, v[114:115]
	flat_load_ushort v115, v[116:117]
	s_waitcnt vmcnt(0) lgkmcnt(0)
	v_cmp_lt_u16_e64 s35, v114, v115
	v_cndmask_b32_e64 v114, v82, v83, s35
	v_cndmask_b32_e64 v83, v83, v82, s35
	v_mov_b32_e32 v82, v114
	s_or_b32 exec_lo, exec_lo, s38
	s_and_saveexec_b32 s38, s91
	s_cbranch_execnz .LBB872_980
.LBB872_1459:
	s_or_b32 exec_lo, exec_lo, s38
	s_and_saveexec_b32 s38, s92
	s_cbranch_execz .LBB872_981
.LBB872_1460:
	v_mov_b32_e32 v114, 1
	v_lshlrev_b32_sdwa v115, v114, v70 dst_sel:DWORD dst_unused:UNUSED_PAD src0_sel:DWORD src1_sel:WORD_0
	v_lshlrev_b32_sdwa v116, v114, v71 dst_sel:DWORD dst_unused:UNUSED_PAD src0_sel:DWORD src1_sel:WORD_0
	v_add_co_u32 v114, s35, v6, v115
	v_add_co_ci_u32_e64 v115, null, 0, v7, s35
	v_add_co_u32 v116, s35, v6, v116
	v_add_co_ci_u32_e64 v117, null, 0, v7, s35
	s_clause 0x1
	flat_load_ushort v114, v[114:115]
	flat_load_ushort v115, v[116:117]
	s_waitcnt vmcnt(0) lgkmcnt(0)
	v_cmp_lt_u16_e64 s35, v114, v115
	v_cndmask_b32_e64 v114, v70, v71, s35
	v_cndmask_b32_e64 v71, v71, v70, s35
	v_mov_b32_e32 v70, v114
	s_or_b32 exec_lo, exec_lo, s38
	s_and_saveexec_b32 s38, s93
	s_cbranch_execnz .LBB872_982
.LBB872_1461:
	s_or_b32 exec_lo, exec_lo, s38
	s_and_saveexec_b32 s38, s94
	s_cbranch_execz .LBB872_983
.LBB872_1462:
	v_mov_b32_e32 v114, 1
	v_lshlrev_b32_sdwa v115, v114, v66 dst_sel:DWORD dst_unused:UNUSED_PAD src0_sel:DWORD src1_sel:WORD_0
	v_lshlrev_b32_sdwa v116, v114, v67 dst_sel:DWORD dst_unused:UNUSED_PAD src0_sel:DWORD src1_sel:WORD_0
	v_add_co_u32 v114, s35, v6, v115
	v_add_co_ci_u32_e64 v115, null, 0, v7, s35
	v_add_co_u32 v116, s35, v6, v116
	v_add_co_ci_u32_e64 v117, null, 0, v7, s35
	s_clause 0x1
	flat_load_ushort v114, v[114:115]
	flat_load_ushort v115, v[116:117]
	s_waitcnt vmcnt(0) lgkmcnt(0)
	v_cmp_lt_u16_e64 s35, v114, v115
	v_cndmask_b32_e64 v114, v66, v67, s35
	v_cndmask_b32_e64 v67, v67, v66, s35
	v_mov_b32_e32 v66, v114
	s_or_b32 exec_lo, exec_lo, s38
	s_and_saveexec_b32 s38, s95
	s_cbranch_execnz .LBB872_984
.LBB872_1463:
	s_or_b32 exec_lo, exec_lo, s38
	s_and_saveexec_b32 s38, vcc_hi
	s_cbranch_execz .LBB872_985
.LBB872_1464:
	v_mov_b32_e32 v114, 1
	v_lshlrev_b32_sdwa v115, v114, v53 dst_sel:DWORD dst_unused:UNUSED_PAD src0_sel:DWORD src1_sel:WORD_0
	v_lshlrev_b32_sdwa v116, v114, v54 dst_sel:DWORD dst_unused:UNUSED_PAD src0_sel:DWORD src1_sel:WORD_0
	v_add_co_u32 v114, s35, v6, v115
	v_add_co_ci_u32_e64 v115, null, 0, v7, s35
	v_add_co_u32 v116, s35, v6, v116
	v_add_co_ci_u32_e64 v117, null, 0, v7, s35
	s_clause 0x1
	flat_load_ushort v114, v[114:115]
	flat_load_ushort v115, v[116:117]
	s_waitcnt vmcnt(0) lgkmcnt(0)
	v_cmp_lt_u16_e64 s35, v114, v115
	v_cndmask_b32_e64 v114, v53, v54, s35
	v_cndmask_b32_e64 v54, v54, v53, s35
	v_mov_b32_e32 v53, v114
	s_or_b32 exec_lo, exec_lo, s38
	s_and_saveexec_b32 s38, s30
	s_cbranch_execnz .LBB872_986
.LBB872_1465:
	s_or_b32 exec_lo, exec_lo, s38
	s_and_saveexec_b32 s38, s31
	s_cbranch_execz .LBB872_987
.LBB872_1466:
	v_mov_b32_e32 v114, 1
	v_lshlrev_b32_sdwa v115, v114, v50 dst_sel:DWORD dst_unused:UNUSED_PAD src0_sel:DWORD src1_sel:WORD_0
	v_lshlrev_b32_sdwa v116, v114, v51 dst_sel:DWORD dst_unused:UNUSED_PAD src0_sel:DWORD src1_sel:WORD_0
	v_add_co_u32 v114, s35, v6, v115
	v_add_co_ci_u32_e64 v115, null, 0, v7, s35
	v_add_co_u32 v116, s35, v6, v116
	v_add_co_ci_u32_e64 v117, null, 0, v7, s35
	s_clause 0x1
	flat_load_ushort v114, v[114:115]
	flat_load_ushort v115, v[116:117]
	s_waitcnt vmcnt(0) lgkmcnt(0)
	v_cmp_lt_u16_e64 s35, v114, v115
	v_cndmask_b32_e64 v114, v51, v50, s35
	v_cndmask_b32_e64 v50, v50, v51, s35
	v_mov_b32_e32 v51, v114
	s_or_b32 exec_lo, exec_lo, s38
	s_and_saveexec_b32 s38, s34
	s_cbranch_execnz .LBB872_988
.LBB872_1467:
	s_or_b32 exec_lo, exec_lo, s38
	s_and_saveexec_b32 s38, s8
	s_cbranch_execz .LBB872_989
.LBB872_1468:
	v_mov_b32_e32 v114, 1
	v_lshlrev_b32_sdwa v115, v114, v102 dst_sel:DWORD dst_unused:UNUSED_PAD src0_sel:DWORD src1_sel:WORD_0
	v_lshlrev_b32_sdwa v116, v114, v99 dst_sel:DWORD dst_unused:UNUSED_PAD src0_sel:DWORD src1_sel:WORD_0
	v_add_co_u32 v114, s35, v6, v115
	v_add_co_ci_u32_e64 v115, null, 0, v7, s35
	v_add_co_u32 v116, s35, v6, v116
	v_add_co_ci_u32_e64 v117, null, 0, v7, s35
	s_clause 0x1
	flat_load_ushort v114, v[114:115]
	flat_load_ushort v115, v[116:117]
	s_waitcnt vmcnt(0) lgkmcnt(0)
	v_cmp_lt_u16_e64 s35, v114, v115
	v_cndmask_b32_e64 v114, v102, v99, s35
	v_cndmask_b32_e64 v99, v99, v102, s35
	v_mov_b32_e32 v102, v114
	s_or_b32 exec_lo, exec_lo, s38
	s_and_saveexec_b32 s38, s9
	s_cbranch_execnz .LBB872_990
.LBB872_1469:
	s_or_b32 exec_lo, exec_lo, s38
	s_and_saveexec_b32 s38, s12
	s_cbranch_execz .LBB872_991
.LBB872_1470:
	v_mov_b32_e32 v114, 1
	v_lshlrev_b32_sdwa v115, v114, v97 dst_sel:DWORD dst_unused:UNUSED_PAD src0_sel:DWORD src1_sel:WORD_0
	v_lshlrev_b32_sdwa v116, v114, v98 dst_sel:DWORD dst_unused:UNUSED_PAD src0_sel:DWORD src1_sel:WORD_0
	v_add_co_u32 v114, s35, v6, v115
	v_add_co_ci_u32_e64 v115, null, 0, v7, s35
	v_add_co_u32 v116, s35, v6, v116
	v_add_co_ci_u32_e64 v117, null, 0, v7, s35
	s_clause 0x1
	flat_load_ushort v114, v[114:115]
	flat_load_ushort v115, v[116:117]
	s_waitcnt vmcnt(0) lgkmcnt(0)
	v_cmp_lt_u16_e64 s35, v114, v115
	v_cndmask_b32_e64 v114, v97, v98, s35
	v_cndmask_b32_e64 v98, v98, v97, s35
	v_mov_b32_e32 v97, v114
	s_or_b32 exec_lo, exec_lo, s38
	s_and_saveexec_b32 s38, s13
	s_cbranch_execnz .LBB872_992
.LBB872_1471:
	s_or_b32 exec_lo, exec_lo, s38
	s_and_saveexec_b32 s38, s57
	s_cbranch_execz .LBB872_993
.LBB872_1472:
	v_mov_b32_e32 v114, 1
	v_lshlrev_b32_sdwa v115, v114, v85 dst_sel:DWORD dst_unused:UNUSED_PAD src0_sel:DWORD src1_sel:WORD_0
	v_lshlrev_b32_sdwa v116, v114, v86 dst_sel:DWORD dst_unused:UNUSED_PAD src0_sel:DWORD src1_sel:WORD_0
	v_add_co_u32 v114, s35, v6, v115
	v_add_co_ci_u32_e64 v115, null, 0, v7, s35
	v_add_co_u32 v116, s35, v6, v116
	v_add_co_ci_u32_e64 v117, null, 0, v7, s35
	s_clause 0x1
	flat_load_ushort v114, v[114:115]
	flat_load_ushort v115, v[116:117]
	s_waitcnt vmcnt(0) lgkmcnt(0)
	v_cmp_lt_u16_e64 s35, v114, v115
	v_cndmask_b32_e64 v114, v85, v86, s35
	v_cndmask_b32_e64 v86, v86, v85, s35
	v_mov_b32_e32 v85, v114
	s_or_b32 exec_lo, exec_lo, s38
	s_and_saveexec_b32 s38, s58
	s_cbranch_execnz .LBB872_994
.LBB872_1473:
	s_or_b32 exec_lo, exec_lo, s38
	s_and_saveexec_b32 s38, s59
	s_cbranch_execz .LBB872_995
.LBB872_1474:
	v_mov_b32_e32 v114, 1
	v_lshlrev_b32_sdwa v115, v114, v81 dst_sel:DWORD dst_unused:UNUSED_PAD src0_sel:DWORD src1_sel:WORD_0
	v_lshlrev_b32_sdwa v116, v114, v82 dst_sel:DWORD dst_unused:UNUSED_PAD src0_sel:DWORD src1_sel:WORD_0
	v_add_co_u32 v114, s35, v6, v115
	v_add_co_ci_u32_e64 v115, null, 0, v7, s35
	v_add_co_u32 v116, s35, v6, v116
	v_add_co_ci_u32_e64 v117, null, 0, v7, s35
	s_clause 0x1
	flat_load_ushort v114, v[114:115]
	flat_load_ushort v115, v[116:117]
	s_waitcnt vmcnt(0) lgkmcnt(0)
	v_cmp_lt_u16_e64 s35, v114, v115
	v_cndmask_b32_e64 v114, v81, v82, s35
	v_cndmask_b32_e64 v82, v82, v81, s35
	v_mov_b32_e32 v81, v114
	s_or_b32 exec_lo, exec_lo, s38
	s_and_saveexec_b32 s38, s60
	s_cbranch_execnz .LBB872_996
.LBB872_1475:
	s_or_b32 exec_lo, exec_lo, s38
	s_and_saveexec_b32 s38, s61
	s_cbranch_execz .LBB872_997
.LBB872_1476:
	v_mov_b32_e32 v114, 1
	v_lshlrev_b32_sdwa v115, v114, v69 dst_sel:DWORD dst_unused:UNUSED_PAD src0_sel:DWORD src1_sel:WORD_0
	v_lshlrev_b32_sdwa v116, v114, v70 dst_sel:DWORD dst_unused:UNUSED_PAD src0_sel:DWORD src1_sel:WORD_0
	v_add_co_u32 v114, s35, v6, v115
	v_add_co_ci_u32_e64 v115, null, 0, v7, s35
	v_add_co_u32 v116, s35, v6, v116
	v_add_co_ci_u32_e64 v117, null, 0, v7, s35
	s_clause 0x1
	flat_load_ushort v114, v[114:115]
	flat_load_ushort v115, v[116:117]
	s_waitcnt vmcnt(0) lgkmcnt(0)
	v_cmp_lt_u16_e64 s35, v114, v115
	v_cndmask_b32_e64 v114, v69, v70, s35
	v_cndmask_b32_e64 v70, v70, v69, s35
	v_mov_b32_e32 v69, v114
	s_or_b32 exec_lo, exec_lo, s38
	s_and_saveexec_b32 s38, s62
	s_cbranch_execnz .LBB872_998
.LBB872_1477:
	s_or_b32 exec_lo, exec_lo, s38
	s_and_saveexec_b32 s38, s63
	s_cbranch_execz .LBB872_999
.LBB872_1478:
	v_mov_b32_e32 v114, 1
	v_lshlrev_b32_sdwa v115, v114, v65 dst_sel:DWORD dst_unused:UNUSED_PAD src0_sel:DWORD src1_sel:WORD_0
	v_lshlrev_b32_sdwa v116, v114, v66 dst_sel:DWORD dst_unused:UNUSED_PAD src0_sel:DWORD src1_sel:WORD_0
	v_add_co_u32 v114, s35, v6, v115
	v_add_co_ci_u32_e64 v115, null, 0, v7, s35
	v_add_co_u32 v116, s35, v6, v116
	v_add_co_ci_u32_e64 v117, null, 0, v7, s35
	s_clause 0x1
	flat_load_ushort v114, v[114:115]
	flat_load_ushort v115, v[116:117]
	s_waitcnt vmcnt(0) lgkmcnt(0)
	v_cmp_lt_u16_e64 s35, v114, v115
	v_cndmask_b32_e64 v114, v65, v66, s35
	v_cndmask_b32_e64 v66, v66, v65, s35
	v_mov_b32_e32 v65, v114
	s_or_b32 exec_lo, exec_lo, s38
	s_and_saveexec_b32 s38, s72
	s_cbranch_execnz .LBB872_1000
.LBB872_1479:
	s_or_b32 exec_lo, exec_lo, s38
	s_and_saveexec_b32 s38, s73
	s_cbranch_execz .LBB872_1001
.LBB872_1480:
	v_mov_b32_e32 v114, 1
	v_lshlrev_b32_sdwa v115, v114, v64 dst_sel:DWORD dst_unused:UNUSED_PAD src0_sel:DWORD src1_sel:WORD_0
	v_lshlrev_b32_sdwa v116, v114, v53 dst_sel:DWORD dst_unused:UNUSED_PAD src0_sel:DWORD src1_sel:WORD_0
	v_add_co_u32 v114, s35, v6, v115
	v_add_co_ci_u32_e64 v115, null, 0, v7, s35
	v_add_co_u32 v116, s35, v6, v116
	v_add_co_ci_u32_e64 v117, null, 0, v7, s35
	s_clause 0x1
	flat_load_ushort v114, v[114:115]
	flat_load_ushort v115, v[116:117]
	s_waitcnt vmcnt(0) lgkmcnt(0)
	v_cmp_lt_u16_e64 s35, v114, v115
	v_cndmask_b32_e64 v114, v64, v53, s35
	v_cndmask_b32_e64 v53, v53, v64, s35
	v_mov_b32_e32 v64, v114
	s_or_b32 exec_lo, exec_lo, s38
	s_and_saveexec_b32 s38, s74
	s_cbranch_execnz .LBB872_1002
.LBB872_1481:
	s_or_b32 exec_lo, exec_lo, s38
	s_and_saveexec_b32 s38, s75
	s_cbranch_execz .LBB872_1003
.LBB872_1482:
	v_mov_b32_e32 v114, 1
	v_lshlrev_b32_sdwa v115, v114, v49 dst_sel:DWORD dst_unused:UNUSED_PAD src0_sel:DWORD src1_sel:WORD_0
	v_lshlrev_b32_sdwa v116, v114, v50 dst_sel:DWORD dst_unused:UNUSED_PAD src0_sel:DWORD src1_sel:WORD_0
	v_add_co_u32 v114, s35, v6, v115
	v_add_co_ci_u32_e64 v115, null, 0, v7, s35
	v_add_co_u32 v116, s35, v6, v116
	v_add_co_ci_u32_e64 v117, null, 0, v7, s35
	s_clause 0x1
	flat_load_ushort v114, v[114:115]
	flat_load_ushort v115, v[116:117]
	s_waitcnt vmcnt(0) lgkmcnt(0)
	v_cmp_lt_u16_e64 s35, v114, v115
	v_cndmask_b32_e64 v114, v50, v49, s35
	v_cndmask_b32_e64 v49, v49, v50, s35
	v_mov_b32_e32 v50, v114
	s_or_b32 exec_lo, exec_lo, s38
	s_and_saveexec_b32 s38, s76
	s_cbranch_execnz .LBB872_1004
.LBB872_1483:
	s_or_b32 exec_lo, exec_lo, s38
	s_and_saveexec_b32 s38, s77
	s_cbranch_execz .LBB872_1005
.LBB872_1484:
	v_mov_b32_e32 v114, 1
	v_lshlrev_b32_sdwa v115, v114, v101 dst_sel:DWORD dst_unused:UNUSED_PAD src0_sel:DWORD src1_sel:WORD_0
	v_lshlrev_b32_sdwa v116, v114, v102 dst_sel:DWORD dst_unused:UNUSED_PAD src0_sel:DWORD src1_sel:WORD_0
	v_add_co_u32 v114, s35, v6, v115
	v_add_co_ci_u32_e64 v115, null, 0, v7, s35
	v_add_co_u32 v116, s35, v6, v116
	v_add_co_ci_u32_e64 v117, null, 0, v7, s35
	s_clause 0x1
	flat_load_ushort v114, v[114:115]
	flat_load_ushort v115, v[116:117]
	s_waitcnt vmcnt(0) lgkmcnt(0)
	v_cmp_lt_u16_e64 s35, v114, v115
	v_cndmask_b32_e64 v114, v101, v102, s35
	v_cndmask_b32_e64 v102, v102, v101, s35
	v_mov_b32_e32 v101, v114
	s_or_b32 exec_lo, exec_lo, s38
	s_and_saveexec_b32 s38, s78
	s_cbranch_execnz .LBB872_1006
.LBB872_1485:
	s_or_b32 exec_lo, exec_lo, s38
	s_and_saveexec_b32 s38, s79
	s_cbranch_execz .LBB872_1007
.LBB872_1486:
	v_mov_b32_e32 v114, 1
	v_lshlrev_b32_sdwa v115, v114, v96 dst_sel:DWORD dst_unused:UNUSED_PAD src0_sel:DWORD src1_sel:WORD_0
	v_lshlrev_b32_sdwa v116, v114, v97 dst_sel:DWORD dst_unused:UNUSED_PAD src0_sel:DWORD src1_sel:WORD_0
	v_add_co_u32 v114, s35, v6, v115
	v_add_co_ci_u32_e64 v115, null, 0, v7, s35
	v_add_co_u32 v116, s35, v6, v116
	v_add_co_ci_u32_e64 v117, null, 0, v7, s35
	s_clause 0x1
	flat_load_ushort v114, v[114:115]
	flat_load_ushort v115, v[116:117]
	s_waitcnt vmcnt(0) lgkmcnt(0)
	v_cmp_lt_u16_e64 s35, v114, v115
	v_cndmask_b32_e64 v114, v96, v97, s35
	v_cndmask_b32_e64 v97, v97, v96, s35
	v_mov_b32_e32 v96, v114
	s_or_b32 exec_lo, exec_lo, s38
	s_and_saveexec_b32 s38, s88
	s_cbranch_execnz .LBB872_1008
.LBB872_1487:
	s_or_b32 exec_lo, exec_lo, s38
	s_and_saveexec_b32 s38, s89
	s_cbranch_execz .LBB872_1009
.LBB872_1488:
	v_mov_b32_e32 v114, 1
	v_lshlrev_b32_sdwa v115, v114, v84 dst_sel:DWORD dst_unused:UNUSED_PAD src0_sel:DWORD src1_sel:WORD_0
	v_lshlrev_b32_sdwa v116, v114, v85 dst_sel:DWORD dst_unused:UNUSED_PAD src0_sel:DWORD src1_sel:WORD_0
	v_add_co_u32 v114, s35, v6, v115
	v_add_co_ci_u32_e64 v115, null, 0, v7, s35
	v_add_co_u32 v116, s35, v6, v116
	v_add_co_ci_u32_e64 v117, null, 0, v7, s35
	s_clause 0x1
	flat_load_ushort v114, v[114:115]
	flat_load_ushort v115, v[116:117]
	s_waitcnt vmcnt(0) lgkmcnt(0)
	v_cmp_lt_u16_e64 s35, v114, v115
	v_cndmask_b32_e64 v114, v84, v85, s35
	v_cndmask_b32_e64 v85, v85, v84, s35
	v_mov_b32_e32 v84, v114
	s_or_b32 exec_lo, exec_lo, s38
	s_and_saveexec_b32 s38, s90
	s_cbranch_execnz .LBB872_1010
.LBB872_1489:
	s_or_b32 exec_lo, exec_lo, s38
	s_and_saveexec_b32 s38, s91
	s_cbranch_execz .LBB872_1011
.LBB872_1490:
	v_mov_b32_e32 v114, 1
	v_lshlrev_b32_sdwa v115, v114, v80 dst_sel:DWORD dst_unused:UNUSED_PAD src0_sel:DWORD src1_sel:WORD_0
	v_lshlrev_b32_sdwa v116, v114, v81 dst_sel:DWORD dst_unused:UNUSED_PAD src0_sel:DWORD src1_sel:WORD_0
	v_add_co_u32 v114, s35, v6, v115
	v_add_co_ci_u32_e64 v115, null, 0, v7, s35
	v_add_co_u32 v116, s35, v6, v116
	v_add_co_ci_u32_e64 v117, null, 0, v7, s35
	s_clause 0x1
	flat_load_ushort v114, v[114:115]
	flat_load_ushort v115, v[116:117]
	s_waitcnt vmcnt(0) lgkmcnt(0)
	v_cmp_lt_u16_e64 s35, v114, v115
	v_cndmask_b32_e64 v114, v80, v81, s35
	v_cndmask_b32_e64 v81, v81, v80, s35
	v_mov_b32_e32 v80, v114
	s_or_b32 exec_lo, exec_lo, s38
	s_and_saveexec_b32 s38, s92
	s_cbranch_execnz .LBB872_1012
.LBB872_1491:
	s_or_b32 exec_lo, exec_lo, s38
	s_and_saveexec_b32 s38, s93
	s_cbranch_execz .LBB872_1013
.LBB872_1492:
	v_mov_b32_e32 v114, 1
	v_lshlrev_b32_sdwa v115, v114, v68 dst_sel:DWORD dst_unused:UNUSED_PAD src0_sel:DWORD src1_sel:WORD_0
	v_lshlrev_b32_sdwa v116, v114, v69 dst_sel:DWORD dst_unused:UNUSED_PAD src0_sel:DWORD src1_sel:WORD_0
	v_add_co_u32 v114, s35, v6, v115
	v_add_co_ci_u32_e64 v115, null, 0, v7, s35
	v_add_co_u32 v116, s35, v6, v116
	v_add_co_ci_u32_e64 v117, null, 0, v7, s35
	s_clause 0x1
	flat_load_ushort v114, v[114:115]
	flat_load_ushort v115, v[116:117]
	s_waitcnt vmcnt(0) lgkmcnt(0)
	v_cmp_lt_u16_e64 s35, v114, v115
	v_cndmask_b32_e64 v114, v68, v69, s35
	v_cndmask_b32_e64 v69, v69, v68, s35
	v_mov_b32_e32 v68, v114
	s_or_b32 exec_lo, exec_lo, s38
	s_and_saveexec_b32 s38, s94
	s_cbranch_execnz .LBB872_1014
.LBB872_1493:
	s_or_b32 exec_lo, exec_lo, s38
	s_and_saveexec_b32 s38, s95
	s_cbranch_execz .LBB872_1015
.LBB872_1494:
	v_mov_b32_e32 v114, 1
	v_lshlrev_b32_sdwa v115, v114, v55 dst_sel:DWORD dst_unused:UNUSED_PAD src0_sel:DWORD src1_sel:WORD_0
	v_lshlrev_b32_sdwa v116, v114, v65 dst_sel:DWORD dst_unused:UNUSED_PAD src0_sel:DWORD src1_sel:WORD_0
	v_add_co_u32 v114, s35, v6, v115
	v_add_co_ci_u32_e64 v115, null, 0, v7, s35
	v_add_co_u32 v116, s35, v6, v116
	v_add_co_ci_u32_e64 v117, null, 0, v7, s35
	s_clause 0x1
	flat_load_ushort v114, v[114:115]
	flat_load_ushort v115, v[116:117]
	s_waitcnt vmcnt(0) lgkmcnt(0)
	v_cmp_lt_u16_e64 s35, v114, v115
	v_cndmask_b32_e64 v114, v55, v65, s35
	v_cndmask_b32_e64 v65, v65, v55, s35
	v_mov_b32_e32 v55, v114
	s_or_b32 exec_lo, exec_lo, s38
	s_and_saveexec_b32 s38, vcc_hi
	s_cbranch_execnz .LBB872_1016
.LBB872_1495:
	s_or_b32 exec_lo, exec_lo, s38
	s_and_saveexec_b32 s38, s30
	s_cbranch_execz .LBB872_1017
.LBB872_1496:
	v_mov_b32_e32 v114, 1
	v_lshlrev_b32_sdwa v115, v114, v52 dst_sel:DWORD dst_unused:UNUSED_PAD src0_sel:DWORD src1_sel:WORD_0
	v_lshlrev_b32_sdwa v116, v114, v64 dst_sel:DWORD dst_unused:UNUSED_PAD src0_sel:DWORD src1_sel:WORD_0
	v_add_co_u32 v114, s35, v6, v115
	v_add_co_ci_u32_e64 v115, null, 0, v7, s35
	v_add_co_u32 v116, s35, v6, v116
	v_add_co_ci_u32_e64 v117, null, 0, v7, s35
	s_clause 0x1
	flat_load_ushort v114, v[114:115]
	flat_load_ushort v115, v[116:117]
	s_waitcnt vmcnt(0) lgkmcnt(0)
	v_cmp_lt_u16_e64 s35, v114, v115
	v_cndmask_b32_e64 v114, v64, v52, s35
	v_cndmask_b32_e64 v52, v52, v64, s35
	v_mov_b32_e32 v64, v114
	s_or_b32 exec_lo, exec_lo, s38
	s_and_saveexec_b32 s38, s31
	s_cbranch_execnz .LBB872_1018
.LBB872_1497:
	s_or_b32 exec_lo, exec_lo, s38
	s_and_saveexec_b32 s38, s34
	s_cbranch_execz .LBB872_1019
.LBB872_1498:
	v_mov_b32_e32 v114, 1
	v_lshlrev_b32_sdwa v115, v114, v103 dst_sel:DWORD dst_unused:UNUSED_PAD src0_sel:DWORD src1_sel:WORD_0
	v_lshlrev_b32_sdwa v116, v114, v49 dst_sel:DWORD dst_unused:UNUSED_PAD src0_sel:DWORD src1_sel:WORD_0
	v_add_co_u32 v114, s35, v6, v115
	v_add_co_ci_u32_e64 v115, null, 0, v7, s35
	v_add_co_u32 v116, s35, v6, v116
	v_add_co_ci_u32_e64 v117, null, 0, v7, s35
	s_clause 0x1
	flat_load_ushort v114, v[114:115]
	flat_load_ushort v115, v[116:117]
	s_waitcnt vmcnt(0) lgkmcnt(0)
	v_cmp_lt_u16_e64 s35, v114, v115
	v_cndmask_b32_e64 v114, v49, v103, s35
	v_cndmask_b32_e64 v103, v103, v49, s35
	v_mov_b32_e32 v49, v114
	s_or_b32 exec_lo, exec_lo, s38
	s_and_saveexec_b32 s38, s8
	s_cbranch_execnz .LBB872_1020
.LBB872_1499:
	s_or_b32 exec_lo, exec_lo, s38
	s_and_saveexec_b32 s38, s9
	s_cbranch_execz .LBB872_1021
.LBB872_1500:
	v_mov_b32_e32 v114, 1
	v_lshlrev_b32_sdwa v115, v114, v100 dst_sel:DWORD dst_unused:UNUSED_PAD src0_sel:DWORD src1_sel:WORD_0
	v_lshlrev_b32_sdwa v116, v114, v101 dst_sel:DWORD dst_unused:UNUSED_PAD src0_sel:DWORD src1_sel:WORD_0
	v_add_co_u32 v114, s35, v6, v115
	v_add_co_ci_u32_e64 v115, null, 0, v7, s35
	v_add_co_u32 v116, s35, v6, v116
	v_add_co_ci_u32_e64 v117, null, 0, v7, s35
	s_clause 0x1
	flat_load_ushort v114, v[114:115]
	flat_load_ushort v115, v[116:117]
	s_waitcnt vmcnt(0) lgkmcnt(0)
	v_cmp_lt_u16_e64 s35, v114, v115
	v_cndmask_b32_e64 v114, v100, v101, s35
	v_cndmask_b32_e64 v101, v101, v100, s35
	v_mov_b32_e32 v100, v114
	s_or_b32 exec_lo, exec_lo, s38
	s_and_saveexec_b32 s38, s12
	s_cbranch_execnz .LBB872_1022
.LBB872_1501:
	s_or_b32 exec_lo, exec_lo, s38
	s_and_saveexec_b32 s38, s13
	s_cbranch_execz .LBB872_1023
.LBB872_1502:
	v_mov_b32_e32 v114, 1
	v_lshlrev_b32_sdwa v115, v114, v87 dst_sel:DWORD dst_unused:UNUSED_PAD src0_sel:DWORD src1_sel:WORD_0
	v_lshlrev_b32_sdwa v116, v114, v96 dst_sel:DWORD dst_unused:UNUSED_PAD src0_sel:DWORD src1_sel:WORD_0
	v_add_co_u32 v114, s35, v6, v115
	v_add_co_ci_u32_e64 v115, null, 0, v7, s35
	v_add_co_u32 v116, s35, v6, v116
	v_add_co_ci_u32_e64 v117, null, 0, v7, s35
	s_clause 0x1
	flat_load_ushort v114, v[114:115]
	flat_load_ushort v115, v[116:117]
	s_waitcnt vmcnt(0) lgkmcnt(0)
	v_cmp_lt_u16_e64 s35, v114, v115
	v_cndmask_b32_e64 v114, v87, v96, s35
	v_cndmask_b32_e64 v96, v96, v87, s35
	v_mov_b32_e32 v87, v114
	s_or_b32 exec_lo, exec_lo, s38
	s_and_saveexec_b32 s38, s57
	s_cbranch_execnz .LBB872_1024
.LBB872_1503:
	s_or_b32 exec_lo, exec_lo, s38
	s_and_saveexec_b32 s38, s58
	s_cbranch_execz .LBB872_1025
.LBB872_1504:
	v_mov_b32_e32 v114, 1
	v_lshlrev_b32_sdwa v115, v114, v83 dst_sel:DWORD dst_unused:UNUSED_PAD src0_sel:DWORD src1_sel:WORD_0
	v_lshlrev_b32_sdwa v116, v114, v84 dst_sel:DWORD dst_unused:UNUSED_PAD src0_sel:DWORD src1_sel:WORD_0
	v_add_co_u32 v114, s35, v6, v115
	v_add_co_ci_u32_e64 v115, null, 0, v7, s35
	v_add_co_u32 v116, s35, v6, v116
	v_add_co_ci_u32_e64 v117, null, 0, v7, s35
	s_clause 0x1
	flat_load_ushort v114, v[114:115]
	flat_load_ushort v115, v[116:117]
	s_waitcnt vmcnt(0) lgkmcnt(0)
	v_cmp_lt_u16_e64 s35, v114, v115
	v_cndmask_b32_e64 v114, v83, v84, s35
	v_cndmask_b32_e64 v84, v84, v83, s35
	v_mov_b32_e32 v83, v114
	s_or_b32 exec_lo, exec_lo, s38
	s_and_saveexec_b32 s38, s59
	s_cbranch_execnz .LBB872_1026
.LBB872_1505:
	s_or_b32 exec_lo, exec_lo, s38
	s_and_saveexec_b32 s38, s60
	s_cbranch_execz .LBB872_1027
.LBB872_1506:
	v_mov_b32_e32 v114, 1
	v_lshlrev_b32_sdwa v115, v114, v71 dst_sel:DWORD dst_unused:UNUSED_PAD src0_sel:DWORD src1_sel:WORD_0
	v_lshlrev_b32_sdwa v116, v114, v80 dst_sel:DWORD dst_unused:UNUSED_PAD src0_sel:DWORD src1_sel:WORD_0
	v_add_co_u32 v114, s35, v6, v115
	v_add_co_ci_u32_e64 v115, null, 0, v7, s35
	v_add_co_u32 v116, s35, v6, v116
	v_add_co_ci_u32_e64 v117, null, 0, v7, s35
	s_clause 0x1
	flat_load_ushort v114, v[114:115]
	flat_load_ushort v115, v[116:117]
	s_waitcnt vmcnt(0) lgkmcnt(0)
	v_cmp_lt_u16_e64 s35, v114, v115
	v_cndmask_b32_e64 v114, v71, v80, s35
	v_cndmask_b32_e64 v80, v80, v71, s35
	v_mov_b32_e32 v71, v114
	s_or_b32 exec_lo, exec_lo, s38
	s_and_saveexec_b32 s38, s61
	s_cbranch_execnz .LBB872_1028
.LBB872_1507:
	s_or_b32 exec_lo, exec_lo, s38
	s_and_saveexec_b32 s38, s62
	s_cbranch_execz .LBB872_1029
.LBB872_1508:
	v_mov_b32_e32 v114, 1
	v_lshlrev_b32_sdwa v115, v114, v67 dst_sel:DWORD dst_unused:UNUSED_PAD src0_sel:DWORD src1_sel:WORD_0
	v_lshlrev_b32_sdwa v116, v114, v68 dst_sel:DWORD dst_unused:UNUSED_PAD src0_sel:DWORD src1_sel:WORD_0
	v_add_co_u32 v114, s35, v6, v115
	v_add_co_ci_u32_e64 v115, null, 0, v7, s35
	v_add_co_u32 v116, s35, v6, v116
	v_add_co_ci_u32_e64 v117, null, 0, v7, s35
	s_clause 0x1
	flat_load_ushort v114, v[114:115]
	flat_load_ushort v115, v[116:117]
	s_waitcnt vmcnt(0) lgkmcnt(0)
	v_cmp_lt_u16_e64 s35, v114, v115
	v_cndmask_b32_e64 v114, v67, v68, s35
	v_cndmask_b32_e64 v68, v68, v67, s35
	v_mov_b32_e32 v67, v114
	s_or_b32 exec_lo, exec_lo, s38
	s_and_saveexec_b32 s38, s63
	s_cbranch_execnz .LBB872_1030
.LBB872_1509:
	s_or_b32 exec_lo, exec_lo, s38
	s_and_saveexec_b32 s38, s72
	s_cbranch_execz .LBB872_1031
.LBB872_1510:
	v_mov_b32_e32 v114, 1
	v_lshlrev_b32_sdwa v115, v114, v54 dst_sel:DWORD dst_unused:UNUSED_PAD src0_sel:DWORD src1_sel:WORD_0
	v_lshlrev_b32_sdwa v116, v114, v55 dst_sel:DWORD dst_unused:UNUSED_PAD src0_sel:DWORD src1_sel:WORD_0
	v_add_co_u32 v114, s35, v6, v115
	v_add_co_ci_u32_e64 v115, null, 0, v7, s35
	v_add_co_u32 v116, s35, v6, v116
	v_add_co_ci_u32_e64 v117, null, 0, v7, s35
	s_clause 0x1
	flat_load_ushort v114, v[114:115]
	flat_load_ushort v115, v[116:117]
	s_waitcnt vmcnt(0) lgkmcnt(0)
	v_cmp_lt_u16_e64 s35, v114, v115
	v_cndmask_b32_e64 v114, v54, v55, s35
	v_cndmask_b32_e64 v55, v55, v54, s35
	v_mov_b32_e32 v54, v114
	s_or_b32 exec_lo, exec_lo, s38
	s_and_saveexec_b32 s38, s73
	s_cbranch_execnz .LBB872_1032
.LBB872_1511:
	s_or_b32 exec_lo, exec_lo, s38
	s_and_saveexec_b32 s38, s74
	s_cbranch_execz .LBB872_1033
.LBB872_1512:
	v_mov_b32_e32 v114, 1
	v_lshlrev_b32_sdwa v115, v114, v51 dst_sel:DWORD dst_unused:UNUSED_PAD src0_sel:DWORD src1_sel:WORD_0
	v_lshlrev_b32_sdwa v116, v114, v52 dst_sel:DWORD dst_unused:UNUSED_PAD src0_sel:DWORD src1_sel:WORD_0
	v_add_co_u32 v114, s35, v6, v115
	v_add_co_ci_u32_e64 v115, null, 0, v7, s35
	v_add_co_u32 v116, s35, v6, v116
	v_add_co_ci_u32_e64 v117, null, 0, v7, s35
	s_clause 0x1
	flat_load_ushort v114, v[114:115]
	flat_load_ushort v115, v[116:117]
	s_waitcnt vmcnt(0) lgkmcnt(0)
	v_cmp_lt_u16_e64 s35, v114, v115
	v_cndmask_b32_e64 v114, v52, v51, s35
	v_cndmask_b32_e64 v51, v51, v52, s35
	v_mov_b32_e32 v52, v114
	s_or_b32 exec_lo, exec_lo, s38
	s_and_saveexec_b32 s38, s75
	s_cbranch_execnz .LBB872_1034
.LBB872_1513:
	s_or_b32 exec_lo, exec_lo, s38
	s_and_saveexec_b32 s38, s76
	s_cbranch_execz .LBB872_1035
.LBB872_1514:
	v_mov_b32_e32 v114, 1
	v_lshlrev_b32_sdwa v115, v114, v48 dst_sel:DWORD dst_unused:UNUSED_PAD src0_sel:DWORD src1_sel:WORD_0
	v_lshlrev_b32_sdwa v116, v114, v103 dst_sel:DWORD dst_unused:UNUSED_PAD src0_sel:DWORD src1_sel:WORD_0
	v_add_co_u32 v114, s35, v6, v115
	v_add_co_ci_u32_e64 v115, null, 0, v7, s35
	v_add_co_u32 v116, s35, v6, v116
	v_add_co_ci_u32_e64 v117, null, 0, v7, s35
	s_clause 0x1
	flat_load_ushort v114, v[114:115]
	flat_load_ushort v115, v[116:117]
	s_waitcnt vmcnt(0) lgkmcnt(0)
	v_cmp_lt_u16_e64 s35, v114, v115
	v_cndmask_b32_e64 v114, v103, v48, s35
	v_cndmask_b32_e64 v48, v48, v103, s35
	v_mov_b32_e32 v103, v114
	s_or_b32 exec_lo, exec_lo, s38
	s_and_saveexec_b32 s38, s77
	s_cbranch_execnz .LBB872_1036
.LBB872_1515:
	s_or_b32 exec_lo, exec_lo, s38
	s_and_saveexec_b32 s38, s78
	s_cbranch_execz .LBB872_1037
.LBB872_1516:
	v_mov_b32_e32 v114, 1
	v_lshlrev_b32_sdwa v115, v114, v98 dst_sel:DWORD dst_unused:UNUSED_PAD src0_sel:DWORD src1_sel:WORD_0
	v_lshlrev_b32_sdwa v116, v114, v100 dst_sel:DWORD dst_unused:UNUSED_PAD src0_sel:DWORD src1_sel:WORD_0
	v_add_co_u32 v114, s35, v6, v115
	v_add_co_ci_u32_e64 v115, null, 0, v7, s35
	v_add_co_u32 v116, s35, v6, v116
	v_add_co_ci_u32_e64 v117, null, 0, v7, s35
	s_clause 0x1
	flat_load_ushort v114, v[114:115]
	flat_load_ushort v115, v[116:117]
	s_waitcnt vmcnt(0) lgkmcnt(0)
	v_cmp_lt_u16_e64 s35, v114, v115
	v_cndmask_b32_e64 v114, v98, v100, s35
	v_cndmask_b32_e64 v100, v100, v98, s35
	v_mov_b32_e32 v98, v114
	s_or_b32 exec_lo, exec_lo, s38
	s_and_saveexec_b32 s38, s79
	s_cbranch_execnz .LBB872_1038
.LBB872_1517:
	s_or_b32 exec_lo, exec_lo, s38
	s_and_saveexec_b32 s38, s88
	s_cbranch_execz .LBB872_1039
.LBB872_1518:
	v_mov_b32_e32 v114, 1
	v_lshlrev_b32_sdwa v115, v114, v86 dst_sel:DWORD dst_unused:UNUSED_PAD src0_sel:DWORD src1_sel:WORD_0
	v_lshlrev_b32_sdwa v116, v114, v87 dst_sel:DWORD dst_unused:UNUSED_PAD src0_sel:DWORD src1_sel:WORD_0
	v_add_co_u32 v114, s35, v6, v115
	v_add_co_ci_u32_e64 v115, null, 0, v7, s35
	v_add_co_u32 v116, s35, v6, v116
	v_add_co_ci_u32_e64 v117, null, 0, v7, s35
	s_clause 0x1
	flat_load_ushort v114, v[114:115]
	flat_load_ushort v115, v[116:117]
	s_waitcnt vmcnt(0) lgkmcnt(0)
	v_cmp_lt_u16_e64 s35, v114, v115
	v_cndmask_b32_e64 v114, v86, v87, s35
	v_cndmask_b32_e64 v87, v87, v86, s35
	v_mov_b32_e32 v86, v114
	s_or_b32 exec_lo, exec_lo, s38
	s_and_saveexec_b32 s38, s89
	s_cbranch_execnz .LBB872_1040
.LBB872_1519:
	s_or_b32 exec_lo, exec_lo, s38
	s_and_saveexec_b32 s38, s90
	s_cbranch_execz .LBB872_1041
.LBB872_1520:
	v_mov_b32_e32 v114, 1
	v_lshlrev_b32_sdwa v115, v114, v82 dst_sel:DWORD dst_unused:UNUSED_PAD src0_sel:DWORD src1_sel:WORD_0
	v_lshlrev_b32_sdwa v116, v114, v83 dst_sel:DWORD dst_unused:UNUSED_PAD src0_sel:DWORD src1_sel:WORD_0
	v_add_co_u32 v114, s35, v6, v115
	v_add_co_ci_u32_e64 v115, null, 0, v7, s35
	v_add_co_u32 v116, s35, v6, v116
	v_add_co_ci_u32_e64 v117, null, 0, v7, s35
	s_clause 0x1
	flat_load_ushort v114, v[114:115]
	flat_load_ushort v115, v[116:117]
	s_waitcnt vmcnt(0) lgkmcnt(0)
	v_cmp_lt_u16_e64 s35, v114, v115
	v_cndmask_b32_e64 v114, v82, v83, s35
	v_cndmask_b32_e64 v83, v83, v82, s35
	v_mov_b32_e32 v82, v114
	s_or_b32 exec_lo, exec_lo, s38
	s_and_saveexec_b32 s38, s91
	s_cbranch_execnz .LBB872_1042
.LBB872_1521:
	s_or_b32 exec_lo, exec_lo, s38
	s_and_saveexec_b32 s38, s92
	s_cbranch_execz .LBB872_1043
.LBB872_1522:
	v_mov_b32_e32 v114, 1
	v_lshlrev_b32_sdwa v115, v114, v70 dst_sel:DWORD dst_unused:UNUSED_PAD src0_sel:DWORD src1_sel:WORD_0
	v_lshlrev_b32_sdwa v116, v114, v71 dst_sel:DWORD dst_unused:UNUSED_PAD src0_sel:DWORD src1_sel:WORD_0
	v_add_co_u32 v114, s35, v6, v115
	v_add_co_ci_u32_e64 v115, null, 0, v7, s35
	v_add_co_u32 v116, s35, v6, v116
	v_add_co_ci_u32_e64 v117, null, 0, v7, s35
	s_clause 0x1
	flat_load_ushort v114, v[114:115]
	flat_load_ushort v115, v[116:117]
	s_waitcnt vmcnt(0) lgkmcnt(0)
	v_cmp_lt_u16_e64 s35, v114, v115
	v_cndmask_b32_e64 v114, v70, v71, s35
	v_cndmask_b32_e64 v71, v71, v70, s35
	v_mov_b32_e32 v70, v114
	s_or_b32 exec_lo, exec_lo, s38
	s_and_saveexec_b32 s38, s93
	s_cbranch_execnz .LBB872_1044
.LBB872_1523:
	s_or_b32 exec_lo, exec_lo, s38
	s_and_saveexec_b32 s38, s94
	s_cbranch_execz .LBB872_1045
.LBB872_1524:
	v_mov_b32_e32 v114, 1
	v_lshlrev_b32_sdwa v115, v114, v66 dst_sel:DWORD dst_unused:UNUSED_PAD src0_sel:DWORD src1_sel:WORD_0
	v_lshlrev_b32_sdwa v116, v114, v67 dst_sel:DWORD dst_unused:UNUSED_PAD src0_sel:DWORD src1_sel:WORD_0
	v_add_co_u32 v114, s35, v6, v115
	v_add_co_ci_u32_e64 v115, null, 0, v7, s35
	v_add_co_u32 v116, s35, v6, v116
	v_add_co_ci_u32_e64 v117, null, 0, v7, s35
	s_clause 0x1
	flat_load_ushort v114, v[114:115]
	flat_load_ushort v115, v[116:117]
	s_waitcnt vmcnt(0) lgkmcnt(0)
	v_cmp_lt_u16_e64 s35, v114, v115
	v_cndmask_b32_e64 v114, v66, v67, s35
	v_cndmask_b32_e64 v67, v67, v66, s35
	v_mov_b32_e32 v66, v114
	s_or_b32 exec_lo, exec_lo, s38
	s_and_saveexec_b32 s38, s95
	s_cbranch_execnz .LBB872_1046
.LBB872_1525:
	s_or_b32 exec_lo, exec_lo, s38
	s_and_saveexec_b32 s38, vcc_hi
	s_cbranch_execz .LBB872_1047
.LBB872_1526:
	v_mov_b32_e32 v114, 1
	v_lshlrev_b32_sdwa v115, v114, v53 dst_sel:DWORD dst_unused:UNUSED_PAD src0_sel:DWORD src1_sel:WORD_0
	v_lshlrev_b32_sdwa v116, v114, v54 dst_sel:DWORD dst_unused:UNUSED_PAD src0_sel:DWORD src1_sel:WORD_0
	v_add_co_u32 v114, s35, v6, v115
	v_add_co_ci_u32_e64 v115, null, 0, v7, s35
	v_add_co_u32 v116, s35, v6, v116
	v_add_co_ci_u32_e64 v117, null, 0, v7, s35
	s_clause 0x1
	flat_load_ushort v114, v[114:115]
	flat_load_ushort v115, v[116:117]
	s_waitcnt vmcnt(0) lgkmcnt(0)
	v_cmp_lt_u16_e64 s35, v114, v115
	v_cndmask_b32_e64 v114, v53, v54, s35
	v_cndmask_b32_e64 v54, v54, v53, s35
	v_mov_b32_e32 v53, v114
	s_or_b32 exec_lo, exec_lo, s38
	s_and_saveexec_b32 s38, s30
	s_cbranch_execnz .LBB872_1048
.LBB872_1527:
	s_or_b32 exec_lo, exec_lo, s38
	s_and_saveexec_b32 s38, s31
	s_cbranch_execz .LBB872_1049
.LBB872_1528:
	v_mov_b32_e32 v114, 1
	v_lshlrev_b32_sdwa v115, v114, v50 dst_sel:DWORD dst_unused:UNUSED_PAD src0_sel:DWORD src1_sel:WORD_0
	v_lshlrev_b32_sdwa v116, v114, v51 dst_sel:DWORD dst_unused:UNUSED_PAD src0_sel:DWORD src1_sel:WORD_0
	v_add_co_u32 v114, s35, v6, v115
	v_add_co_ci_u32_e64 v115, null, 0, v7, s35
	v_add_co_u32 v116, s35, v6, v116
	v_add_co_ci_u32_e64 v117, null, 0, v7, s35
	s_clause 0x1
	flat_load_ushort v114, v[114:115]
	flat_load_ushort v115, v[116:117]
	s_waitcnt vmcnt(0) lgkmcnt(0)
	v_cmp_lt_u16_e64 s35, v114, v115
	v_cndmask_b32_e64 v114, v51, v50, s35
	v_cndmask_b32_e64 v50, v50, v51, s35
	v_mov_b32_e32 v51, v114
	s_or_b32 exec_lo, exec_lo, s38
	s_and_saveexec_b32 s38, s34
	s_cbranch_execnz .LBB872_1050
.LBB872_1529:
	s_or_b32 exec_lo, exec_lo, s38
	s_and_saveexec_b32 s38, s8
	s_cbranch_execz .LBB872_1051
.LBB872_1530:
	v_mov_b32_e32 v114, 1
	v_lshlrev_b32_sdwa v115, v114, v102 dst_sel:DWORD dst_unused:UNUSED_PAD src0_sel:DWORD src1_sel:WORD_0
	v_lshlrev_b32_sdwa v116, v114, v99 dst_sel:DWORD dst_unused:UNUSED_PAD src0_sel:DWORD src1_sel:WORD_0
	v_add_co_u32 v114, s35, v6, v115
	v_add_co_ci_u32_e64 v115, null, 0, v7, s35
	v_add_co_u32 v116, s35, v6, v116
	v_add_co_ci_u32_e64 v117, null, 0, v7, s35
	s_clause 0x1
	flat_load_ushort v114, v[114:115]
	flat_load_ushort v115, v[116:117]
	s_waitcnt vmcnt(0) lgkmcnt(0)
	v_cmp_lt_u16_e64 s35, v114, v115
	v_cndmask_b32_e64 v114, v102, v99, s35
	v_cndmask_b32_e64 v99, v99, v102, s35
	v_mov_b32_e32 v102, v114
	s_or_b32 exec_lo, exec_lo, s38
	s_and_saveexec_b32 s38, s9
	s_cbranch_execnz .LBB872_1052
.LBB872_1531:
	s_or_b32 exec_lo, exec_lo, s38
	s_and_saveexec_b32 s38, s12
	s_cbranch_execz .LBB872_1053
.LBB872_1532:
	v_mov_b32_e32 v114, 1
	v_lshlrev_b32_sdwa v115, v114, v97 dst_sel:DWORD dst_unused:UNUSED_PAD src0_sel:DWORD src1_sel:WORD_0
	v_lshlrev_b32_sdwa v116, v114, v98 dst_sel:DWORD dst_unused:UNUSED_PAD src0_sel:DWORD src1_sel:WORD_0
	v_add_co_u32 v114, s35, v6, v115
	v_add_co_ci_u32_e64 v115, null, 0, v7, s35
	v_add_co_u32 v116, s35, v6, v116
	v_add_co_ci_u32_e64 v117, null, 0, v7, s35
	s_clause 0x1
	flat_load_ushort v114, v[114:115]
	flat_load_ushort v115, v[116:117]
	s_waitcnt vmcnt(0) lgkmcnt(0)
	v_cmp_lt_u16_e64 s35, v114, v115
	v_cndmask_b32_e64 v114, v97, v98, s35
	v_cndmask_b32_e64 v98, v98, v97, s35
	v_mov_b32_e32 v97, v114
	s_or_b32 exec_lo, exec_lo, s38
	s_and_saveexec_b32 s38, s13
	s_cbranch_execnz .LBB872_1054
.LBB872_1533:
	s_or_b32 exec_lo, exec_lo, s38
	s_and_saveexec_b32 s38, s57
	s_cbranch_execz .LBB872_1055
.LBB872_1534:
	v_mov_b32_e32 v114, 1
	v_lshlrev_b32_sdwa v115, v114, v85 dst_sel:DWORD dst_unused:UNUSED_PAD src0_sel:DWORD src1_sel:WORD_0
	v_lshlrev_b32_sdwa v116, v114, v86 dst_sel:DWORD dst_unused:UNUSED_PAD src0_sel:DWORD src1_sel:WORD_0
	v_add_co_u32 v114, s35, v6, v115
	v_add_co_ci_u32_e64 v115, null, 0, v7, s35
	v_add_co_u32 v116, s35, v6, v116
	v_add_co_ci_u32_e64 v117, null, 0, v7, s35
	s_clause 0x1
	flat_load_ushort v114, v[114:115]
	flat_load_ushort v115, v[116:117]
	s_waitcnt vmcnt(0) lgkmcnt(0)
	v_cmp_lt_u16_e64 s35, v114, v115
	v_cndmask_b32_e64 v114, v85, v86, s35
	v_cndmask_b32_e64 v86, v86, v85, s35
	v_mov_b32_e32 v85, v114
	s_or_b32 exec_lo, exec_lo, s38
	s_and_saveexec_b32 s38, s58
	s_cbranch_execnz .LBB872_1056
.LBB872_1535:
	s_or_b32 exec_lo, exec_lo, s38
	s_and_saveexec_b32 s38, s59
	s_cbranch_execz .LBB872_1057
.LBB872_1536:
	v_mov_b32_e32 v114, 1
	v_lshlrev_b32_sdwa v115, v114, v81 dst_sel:DWORD dst_unused:UNUSED_PAD src0_sel:DWORD src1_sel:WORD_0
	v_lshlrev_b32_sdwa v116, v114, v82 dst_sel:DWORD dst_unused:UNUSED_PAD src0_sel:DWORD src1_sel:WORD_0
	v_add_co_u32 v114, s35, v6, v115
	v_add_co_ci_u32_e64 v115, null, 0, v7, s35
	v_add_co_u32 v116, s35, v6, v116
	v_add_co_ci_u32_e64 v117, null, 0, v7, s35
	s_clause 0x1
	flat_load_ushort v114, v[114:115]
	flat_load_ushort v115, v[116:117]
	s_waitcnt vmcnt(0) lgkmcnt(0)
	v_cmp_lt_u16_e64 s35, v114, v115
	v_cndmask_b32_e64 v114, v81, v82, s35
	v_cndmask_b32_e64 v82, v82, v81, s35
	v_mov_b32_e32 v81, v114
	s_or_b32 exec_lo, exec_lo, s38
	s_and_saveexec_b32 s38, s60
	s_cbranch_execnz .LBB872_1058
.LBB872_1537:
	s_or_b32 exec_lo, exec_lo, s38
	s_and_saveexec_b32 s38, s61
	s_cbranch_execz .LBB872_1059
.LBB872_1538:
	v_mov_b32_e32 v114, 1
	v_lshlrev_b32_sdwa v115, v114, v69 dst_sel:DWORD dst_unused:UNUSED_PAD src0_sel:DWORD src1_sel:WORD_0
	v_lshlrev_b32_sdwa v116, v114, v70 dst_sel:DWORD dst_unused:UNUSED_PAD src0_sel:DWORD src1_sel:WORD_0
	v_add_co_u32 v114, s35, v6, v115
	v_add_co_ci_u32_e64 v115, null, 0, v7, s35
	v_add_co_u32 v116, s35, v6, v116
	v_add_co_ci_u32_e64 v117, null, 0, v7, s35
	s_clause 0x1
	flat_load_ushort v114, v[114:115]
	flat_load_ushort v115, v[116:117]
	s_waitcnt vmcnt(0) lgkmcnt(0)
	v_cmp_lt_u16_e64 s35, v114, v115
	v_cndmask_b32_e64 v114, v69, v70, s35
	v_cndmask_b32_e64 v70, v70, v69, s35
	v_mov_b32_e32 v69, v114
	s_or_b32 exec_lo, exec_lo, s38
	s_and_saveexec_b32 s38, s62
	s_cbranch_execnz .LBB872_1060
.LBB872_1539:
	s_or_b32 exec_lo, exec_lo, s38
	s_and_saveexec_b32 s38, s63
	s_cbranch_execz .LBB872_1061
.LBB872_1540:
	v_mov_b32_e32 v114, 1
	v_lshlrev_b32_sdwa v115, v114, v65 dst_sel:DWORD dst_unused:UNUSED_PAD src0_sel:DWORD src1_sel:WORD_0
	v_lshlrev_b32_sdwa v116, v114, v66 dst_sel:DWORD dst_unused:UNUSED_PAD src0_sel:DWORD src1_sel:WORD_0
	v_add_co_u32 v114, s35, v6, v115
	v_add_co_ci_u32_e64 v115, null, 0, v7, s35
	v_add_co_u32 v116, s35, v6, v116
	v_add_co_ci_u32_e64 v117, null, 0, v7, s35
	s_clause 0x1
	flat_load_ushort v114, v[114:115]
	flat_load_ushort v115, v[116:117]
	s_waitcnt vmcnt(0) lgkmcnt(0)
	v_cmp_lt_u16_e64 s35, v114, v115
	v_cndmask_b32_e64 v114, v65, v66, s35
	v_cndmask_b32_e64 v66, v66, v65, s35
	v_mov_b32_e32 v65, v114
	s_or_b32 exec_lo, exec_lo, s38
	s_and_saveexec_b32 s38, s72
	s_cbranch_execnz .LBB872_1062
.LBB872_1541:
	s_or_b32 exec_lo, exec_lo, s38
	s_and_saveexec_b32 s38, s73
	s_cbranch_execz .LBB872_1063
.LBB872_1542:
	v_mov_b32_e32 v114, 1
	v_lshlrev_b32_sdwa v115, v114, v64 dst_sel:DWORD dst_unused:UNUSED_PAD src0_sel:DWORD src1_sel:WORD_0
	v_lshlrev_b32_sdwa v116, v114, v53 dst_sel:DWORD dst_unused:UNUSED_PAD src0_sel:DWORD src1_sel:WORD_0
	v_add_co_u32 v114, s35, v6, v115
	v_add_co_ci_u32_e64 v115, null, 0, v7, s35
	v_add_co_u32 v116, s35, v6, v116
	v_add_co_ci_u32_e64 v117, null, 0, v7, s35
	s_clause 0x1
	flat_load_ushort v114, v[114:115]
	flat_load_ushort v115, v[116:117]
	s_waitcnt vmcnt(0) lgkmcnt(0)
	v_cmp_lt_u16_e64 s35, v114, v115
	v_cndmask_b32_e64 v114, v64, v53, s35
	v_cndmask_b32_e64 v53, v53, v64, s35
	v_mov_b32_e32 v64, v114
	s_or_b32 exec_lo, exec_lo, s38
	s_and_saveexec_b32 s38, s74
	s_cbranch_execnz .LBB872_1064
.LBB872_1543:
	s_or_b32 exec_lo, exec_lo, s38
	s_and_saveexec_b32 s38, s75
	s_cbranch_execz .LBB872_1065
.LBB872_1544:
	v_mov_b32_e32 v114, 1
	v_lshlrev_b32_sdwa v115, v114, v49 dst_sel:DWORD dst_unused:UNUSED_PAD src0_sel:DWORD src1_sel:WORD_0
	v_lshlrev_b32_sdwa v116, v114, v50 dst_sel:DWORD dst_unused:UNUSED_PAD src0_sel:DWORD src1_sel:WORD_0
	v_add_co_u32 v114, s35, v6, v115
	v_add_co_ci_u32_e64 v115, null, 0, v7, s35
	v_add_co_u32 v116, s35, v6, v116
	v_add_co_ci_u32_e64 v117, null, 0, v7, s35
	s_clause 0x1
	flat_load_ushort v114, v[114:115]
	flat_load_ushort v115, v[116:117]
	s_waitcnt vmcnt(0) lgkmcnt(0)
	v_cmp_lt_u16_e64 s35, v114, v115
	v_cndmask_b32_e64 v114, v50, v49, s35
	v_cndmask_b32_e64 v49, v49, v50, s35
	v_mov_b32_e32 v50, v114
	s_or_b32 exec_lo, exec_lo, s38
	s_and_saveexec_b32 s38, s76
	s_cbranch_execnz .LBB872_1066
.LBB872_1545:
	s_or_b32 exec_lo, exec_lo, s38
	s_and_saveexec_b32 s38, s77
	s_cbranch_execz .LBB872_1067
.LBB872_1546:
	v_mov_b32_e32 v114, 1
	v_lshlrev_b32_sdwa v115, v114, v101 dst_sel:DWORD dst_unused:UNUSED_PAD src0_sel:DWORD src1_sel:WORD_0
	v_lshlrev_b32_sdwa v116, v114, v102 dst_sel:DWORD dst_unused:UNUSED_PAD src0_sel:DWORD src1_sel:WORD_0
	v_add_co_u32 v114, s35, v6, v115
	v_add_co_ci_u32_e64 v115, null, 0, v7, s35
	v_add_co_u32 v116, s35, v6, v116
	v_add_co_ci_u32_e64 v117, null, 0, v7, s35
	s_clause 0x1
	flat_load_ushort v114, v[114:115]
	flat_load_ushort v115, v[116:117]
	s_waitcnt vmcnt(0) lgkmcnt(0)
	v_cmp_lt_u16_e64 s35, v114, v115
	v_cndmask_b32_e64 v114, v101, v102, s35
	v_cndmask_b32_e64 v102, v102, v101, s35
	v_mov_b32_e32 v101, v114
	s_or_b32 exec_lo, exec_lo, s38
	s_and_saveexec_b32 s38, s78
	s_cbranch_execnz .LBB872_1068
.LBB872_1547:
	s_or_b32 exec_lo, exec_lo, s38
	s_and_saveexec_b32 s38, s79
	s_cbranch_execz .LBB872_1069
.LBB872_1548:
	v_mov_b32_e32 v114, 1
	v_lshlrev_b32_sdwa v115, v114, v96 dst_sel:DWORD dst_unused:UNUSED_PAD src0_sel:DWORD src1_sel:WORD_0
	v_lshlrev_b32_sdwa v116, v114, v97 dst_sel:DWORD dst_unused:UNUSED_PAD src0_sel:DWORD src1_sel:WORD_0
	v_add_co_u32 v114, s35, v6, v115
	v_add_co_ci_u32_e64 v115, null, 0, v7, s35
	v_add_co_u32 v116, s35, v6, v116
	v_add_co_ci_u32_e64 v117, null, 0, v7, s35
	s_clause 0x1
	flat_load_ushort v114, v[114:115]
	flat_load_ushort v115, v[116:117]
	s_waitcnt vmcnt(0) lgkmcnt(0)
	v_cmp_lt_u16_e64 s35, v114, v115
	v_cndmask_b32_e64 v114, v96, v97, s35
	v_cndmask_b32_e64 v97, v97, v96, s35
	v_mov_b32_e32 v96, v114
	s_or_b32 exec_lo, exec_lo, s38
	s_and_saveexec_b32 s38, s88
	s_cbranch_execnz .LBB872_1070
.LBB872_1549:
	s_or_b32 exec_lo, exec_lo, s38
	s_and_saveexec_b32 s38, s89
	s_cbranch_execz .LBB872_1071
.LBB872_1550:
	v_mov_b32_e32 v114, 1
	v_lshlrev_b32_sdwa v115, v114, v84 dst_sel:DWORD dst_unused:UNUSED_PAD src0_sel:DWORD src1_sel:WORD_0
	v_lshlrev_b32_sdwa v116, v114, v85 dst_sel:DWORD dst_unused:UNUSED_PAD src0_sel:DWORD src1_sel:WORD_0
	v_add_co_u32 v114, s35, v6, v115
	v_add_co_ci_u32_e64 v115, null, 0, v7, s35
	v_add_co_u32 v116, s35, v6, v116
	v_add_co_ci_u32_e64 v117, null, 0, v7, s35
	s_clause 0x1
	flat_load_ushort v114, v[114:115]
	flat_load_ushort v115, v[116:117]
	s_waitcnt vmcnt(0) lgkmcnt(0)
	v_cmp_lt_u16_e64 s35, v114, v115
	v_cndmask_b32_e64 v114, v84, v85, s35
	v_cndmask_b32_e64 v85, v85, v84, s35
	v_mov_b32_e32 v84, v114
	s_or_b32 exec_lo, exec_lo, s38
	s_and_saveexec_b32 s38, s90
	s_cbranch_execnz .LBB872_1072
.LBB872_1551:
	s_or_b32 exec_lo, exec_lo, s38
	s_and_saveexec_b32 s38, s91
	s_cbranch_execz .LBB872_1073
.LBB872_1552:
	v_mov_b32_e32 v114, 1
	v_lshlrev_b32_sdwa v115, v114, v80 dst_sel:DWORD dst_unused:UNUSED_PAD src0_sel:DWORD src1_sel:WORD_0
	v_lshlrev_b32_sdwa v116, v114, v81 dst_sel:DWORD dst_unused:UNUSED_PAD src0_sel:DWORD src1_sel:WORD_0
	v_add_co_u32 v114, s35, v6, v115
	v_add_co_ci_u32_e64 v115, null, 0, v7, s35
	v_add_co_u32 v116, s35, v6, v116
	v_add_co_ci_u32_e64 v117, null, 0, v7, s35
	s_clause 0x1
	flat_load_ushort v114, v[114:115]
	flat_load_ushort v115, v[116:117]
	s_waitcnt vmcnt(0) lgkmcnt(0)
	v_cmp_lt_u16_e64 s35, v114, v115
	v_cndmask_b32_e64 v114, v80, v81, s35
	v_cndmask_b32_e64 v81, v81, v80, s35
	v_mov_b32_e32 v80, v114
	s_or_b32 exec_lo, exec_lo, s38
	s_and_saveexec_b32 s38, s92
	s_cbranch_execnz .LBB872_1074
.LBB872_1553:
	s_or_b32 exec_lo, exec_lo, s38
	s_and_saveexec_b32 s38, s93
	s_cbranch_execz .LBB872_1075
.LBB872_1554:
	v_mov_b32_e32 v114, 1
	v_lshlrev_b32_sdwa v115, v114, v68 dst_sel:DWORD dst_unused:UNUSED_PAD src0_sel:DWORD src1_sel:WORD_0
	v_lshlrev_b32_sdwa v116, v114, v69 dst_sel:DWORD dst_unused:UNUSED_PAD src0_sel:DWORD src1_sel:WORD_0
	v_add_co_u32 v114, s35, v6, v115
	v_add_co_ci_u32_e64 v115, null, 0, v7, s35
	v_add_co_u32 v116, s35, v6, v116
	v_add_co_ci_u32_e64 v117, null, 0, v7, s35
	s_clause 0x1
	flat_load_ushort v114, v[114:115]
	flat_load_ushort v115, v[116:117]
	s_waitcnt vmcnt(0) lgkmcnt(0)
	v_cmp_lt_u16_e64 s35, v114, v115
	v_cndmask_b32_e64 v114, v68, v69, s35
	v_cndmask_b32_e64 v69, v69, v68, s35
	v_mov_b32_e32 v68, v114
	s_or_b32 exec_lo, exec_lo, s38
	s_and_saveexec_b32 s38, s94
	s_cbranch_execnz .LBB872_1076
.LBB872_1555:
	s_or_b32 exec_lo, exec_lo, s38
	s_and_saveexec_b32 s38, s95
	s_cbranch_execz .LBB872_1077
.LBB872_1556:
	v_mov_b32_e32 v114, 1
	v_lshlrev_b32_sdwa v115, v114, v55 dst_sel:DWORD dst_unused:UNUSED_PAD src0_sel:DWORD src1_sel:WORD_0
	v_lshlrev_b32_sdwa v116, v114, v65 dst_sel:DWORD dst_unused:UNUSED_PAD src0_sel:DWORD src1_sel:WORD_0
	v_add_co_u32 v114, s35, v6, v115
	v_add_co_ci_u32_e64 v115, null, 0, v7, s35
	v_add_co_u32 v116, s35, v6, v116
	v_add_co_ci_u32_e64 v117, null, 0, v7, s35
	s_clause 0x1
	flat_load_ushort v114, v[114:115]
	flat_load_ushort v115, v[116:117]
	s_waitcnt vmcnt(0) lgkmcnt(0)
	v_cmp_lt_u16_e64 s35, v114, v115
	v_cndmask_b32_e64 v114, v55, v65, s35
	v_cndmask_b32_e64 v65, v65, v55, s35
	v_mov_b32_e32 v55, v114
	s_or_b32 exec_lo, exec_lo, s38
	s_and_saveexec_b32 s38, vcc_hi
	s_cbranch_execnz .LBB872_1078
.LBB872_1557:
	s_or_b32 exec_lo, exec_lo, s38
	s_and_saveexec_b32 s38, s30
	s_cbranch_execz .LBB872_1079
.LBB872_1558:
	v_mov_b32_e32 v114, 1
	v_lshlrev_b32_sdwa v115, v114, v52 dst_sel:DWORD dst_unused:UNUSED_PAD src0_sel:DWORD src1_sel:WORD_0
	v_lshlrev_b32_sdwa v116, v114, v64 dst_sel:DWORD dst_unused:UNUSED_PAD src0_sel:DWORD src1_sel:WORD_0
	v_add_co_u32 v114, s35, v6, v115
	v_add_co_ci_u32_e64 v115, null, 0, v7, s35
	v_add_co_u32 v116, s35, v6, v116
	v_add_co_ci_u32_e64 v117, null, 0, v7, s35
	s_clause 0x1
	flat_load_ushort v114, v[114:115]
	flat_load_ushort v115, v[116:117]
	s_waitcnt vmcnt(0) lgkmcnt(0)
	v_cmp_lt_u16_e64 s35, v114, v115
	v_cndmask_b32_e64 v114, v64, v52, s35
	v_cndmask_b32_e64 v52, v52, v64, s35
	v_mov_b32_e32 v64, v114
	s_or_b32 exec_lo, exec_lo, s38
	s_and_saveexec_b32 s38, s31
	s_cbranch_execnz .LBB872_1080
.LBB872_1559:
	s_or_b32 exec_lo, exec_lo, s38
	s_and_saveexec_b32 s38, s34
	s_cbranch_execz .LBB872_1081
.LBB872_1560:
	v_mov_b32_e32 v114, 1
	v_lshlrev_b32_sdwa v115, v114, v103 dst_sel:DWORD dst_unused:UNUSED_PAD src0_sel:DWORD src1_sel:WORD_0
	v_lshlrev_b32_sdwa v116, v114, v49 dst_sel:DWORD dst_unused:UNUSED_PAD src0_sel:DWORD src1_sel:WORD_0
	v_add_co_u32 v114, s35, v6, v115
	v_add_co_ci_u32_e64 v115, null, 0, v7, s35
	v_add_co_u32 v116, s35, v6, v116
	v_add_co_ci_u32_e64 v117, null, 0, v7, s35
	s_clause 0x1
	flat_load_ushort v114, v[114:115]
	flat_load_ushort v115, v[116:117]
	s_waitcnt vmcnt(0) lgkmcnt(0)
	v_cmp_lt_u16_e64 s35, v114, v115
	v_cndmask_b32_e64 v114, v49, v103, s35
	v_cndmask_b32_e64 v103, v103, v49, s35
	v_mov_b32_e32 v49, v114
	s_or_b32 exec_lo, exec_lo, s38
	s_and_saveexec_b32 s38, s8
	s_cbranch_execnz .LBB872_1082
.LBB872_1561:
	s_or_b32 exec_lo, exec_lo, s38
	s_and_saveexec_b32 s38, s9
	s_cbranch_execz .LBB872_1083
.LBB872_1562:
	v_mov_b32_e32 v114, 1
	v_lshlrev_b32_sdwa v115, v114, v100 dst_sel:DWORD dst_unused:UNUSED_PAD src0_sel:DWORD src1_sel:WORD_0
	v_lshlrev_b32_sdwa v116, v114, v101 dst_sel:DWORD dst_unused:UNUSED_PAD src0_sel:DWORD src1_sel:WORD_0
	v_add_co_u32 v114, s35, v6, v115
	v_add_co_ci_u32_e64 v115, null, 0, v7, s35
	v_add_co_u32 v116, s35, v6, v116
	v_add_co_ci_u32_e64 v117, null, 0, v7, s35
	s_clause 0x1
	flat_load_ushort v114, v[114:115]
	flat_load_ushort v115, v[116:117]
	s_waitcnt vmcnt(0) lgkmcnt(0)
	v_cmp_lt_u16_e64 s35, v114, v115
	v_cndmask_b32_e64 v114, v100, v101, s35
	v_cndmask_b32_e64 v101, v101, v100, s35
	v_mov_b32_e32 v100, v114
	s_or_b32 exec_lo, exec_lo, s38
	s_and_saveexec_b32 s38, s12
	s_cbranch_execnz .LBB872_1084
.LBB872_1563:
	s_or_b32 exec_lo, exec_lo, s38
	s_and_saveexec_b32 s38, s13
	s_cbranch_execz .LBB872_1085
.LBB872_1564:
	v_mov_b32_e32 v114, 1
	v_lshlrev_b32_sdwa v115, v114, v87 dst_sel:DWORD dst_unused:UNUSED_PAD src0_sel:DWORD src1_sel:WORD_0
	v_lshlrev_b32_sdwa v116, v114, v96 dst_sel:DWORD dst_unused:UNUSED_PAD src0_sel:DWORD src1_sel:WORD_0
	v_add_co_u32 v114, s35, v6, v115
	v_add_co_ci_u32_e64 v115, null, 0, v7, s35
	v_add_co_u32 v116, s35, v6, v116
	v_add_co_ci_u32_e64 v117, null, 0, v7, s35
	s_clause 0x1
	flat_load_ushort v114, v[114:115]
	flat_load_ushort v115, v[116:117]
	s_waitcnt vmcnt(0) lgkmcnt(0)
	v_cmp_lt_u16_e64 s35, v114, v115
	v_cndmask_b32_e64 v114, v87, v96, s35
	v_cndmask_b32_e64 v96, v96, v87, s35
	v_mov_b32_e32 v87, v114
	s_or_b32 exec_lo, exec_lo, s38
	s_and_saveexec_b32 s38, s57
	s_cbranch_execnz .LBB872_1086
.LBB872_1565:
	s_or_b32 exec_lo, exec_lo, s38
	s_and_saveexec_b32 s38, s58
	s_cbranch_execz .LBB872_1087
.LBB872_1566:
	v_mov_b32_e32 v114, 1
	v_lshlrev_b32_sdwa v115, v114, v83 dst_sel:DWORD dst_unused:UNUSED_PAD src0_sel:DWORD src1_sel:WORD_0
	v_lshlrev_b32_sdwa v116, v114, v84 dst_sel:DWORD dst_unused:UNUSED_PAD src0_sel:DWORD src1_sel:WORD_0
	v_add_co_u32 v114, s35, v6, v115
	v_add_co_ci_u32_e64 v115, null, 0, v7, s35
	v_add_co_u32 v116, s35, v6, v116
	v_add_co_ci_u32_e64 v117, null, 0, v7, s35
	s_clause 0x1
	flat_load_ushort v114, v[114:115]
	flat_load_ushort v115, v[116:117]
	s_waitcnt vmcnt(0) lgkmcnt(0)
	v_cmp_lt_u16_e64 s35, v114, v115
	v_cndmask_b32_e64 v114, v83, v84, s35
	v_cndmask_b32_e64 v84, v84, v83, s35
	v_mov_b32_e32 v83, v114
	s_or_b32 exec_lo, exec_lo, s38
	s_and_saveexec_b32 s38, s59
	s_cbranch_execnz .LBB872_1088
.LBB872_1567:
	s_or_b32 exec_lo, exec_lo, s38
	s_and_saveexec_b32 s38, s60
	s_cbranch_execz .LBB872_1089
.LBB872_1568:
	v_mov_b32_e32 v114, 1
	v_lshlrev_b32_sdwa v115, v114, v71 dst_sel:DWORD dst_unused:UNUSED_PAD src0_sel:DWORD src1_sel:WORD_0
	v_lshlrev_b32_sdwa v116, v114, v80 dst_sel:DWORD dst_unused:UNUSED_PAD src0_sel:DWORD src1_sel:WORD_0
	v_add_co_u32 v114, s35, v6, v115
	v_add_co_ci_u32_e64 v115, null, 0, v7, s35
	v_add_co_u32 v116, s35, v6, v116
	v_add_co_ci_u32_e64 v117, null, 0, v7, s35
	s_clause 0x1
	flat_load_ushort v114, v[114:115]
	flat_load_ushort v115, v[116:117]
	s_waitcnt vmcnt(0) lgkmcnt(0)
	v_cmp_lt_u16_e64 s35, v114, v115
	v_cndmask_b32_e64 v114, v71, v80, s35
	v_cndmask_b32_e64 v80, v80, v71, s35
	v_mov_b32_e32 v71, v114
	s_or_b32 exec_lo, exec_lo, s38
	s_and_saveexec_b32 s38, s61
	s_cbranch_execnz .LBB872_1090
.LBB872_1569:
	s_or_b32 exec_lo, exec_lo, s38
	s_and_saveexec_b32 s38, s62
	s_cbranch_execz .LBB872_1091
.LBB872_1570:
	v_mov_b32_e32 v114, 1
	v_lshlrev_b32_sdwa v115, v114, v67 dst_sel:DWORD dst_unused:UNUSED_PAD src0_sel:DWORD src1_sel:WORD_0
	v_lshlrev_b32_sdwa v116, v114, v68 dst_sel:DWORD dst_unused:UNUSED_PAD src0_sel:DWORD src1_sel:WORD_0
	v_add_co_u32 v114, s35, v6, v115
	v_add_co_ci_u32_e64 v115, null, 0, v7, s35
	v_add_co_u32 v116, s35, v6, v116
	v_add_co_ci_u32_e64 v117, null, 0, v7, s35
	s_clause 0x1
	flat_load_ushort v114, v[114:115]
	flat_load_ushort v115, v[116:117]
	s_waitcnt vmcnt(0) lgkmcnt(0)
	v_cmp_lt_u16_e64 s35, v114, v115
	v_cndmask_b32_e64 v114, v67, v68, s35
	v_cndmask_b32_e64 v68, v68, v67, s35
	v_mov_b32_e32 v67, v114
	s_or_b32 exec_lo, exec_lo, s38
	s_and_saveexec_b32 s38, s63
	s_cbranch_execnz .LBB872_1092
.LBB872_1571:
	s_or_b32 exec_lo, exec_lo, s38
	s_and_saveexec_b32 s38, s72
	s_cbranch_execz .LBB872_1093
.LBB872_1572:
	v_mov_b32_e32 v114, 1
	v_lshlrev_b32_sdwa v115, v114, v54 dst_sel:DWORD dst_unused:UNUSED_PAD src0_sel:DWORD src1_sel:WORD_0
	v_lshlrev_b32_sdwa v116, v114, v55 dst_sel:DWORD dst_unused:UNUSED_PAD src0_sel:DWORD src1_sel:WORD_0
	v_add_co_u32 v114, s35, v6, v115
	v_add_co_ci_u32_e64 v115, null, 0, v7, s35
	v_add_co_u32 v116, s35, v6, v116
	v_add_co_ci_u32_e64 v117, null, 0, v7, s35
	s_clause 0x1
	flat_load_ushort v114, v[114:115]
	flat_load_ushort v115, v[116:117]
	s_waitcnt vmcnt(0) lgkmcnt(0)
	v_cmp_lt_u16_e64 s35, v114, v115
	v_cndmask_b32_e64 v114, v54, v55, s35
	v_cndmask_b32_e64 v55, v55, v54, s35
	v_mov_b32_e32 v54, v114
	s_or_b32 exec_lo, exec_lo, s38
	s_and_saveexec_b32 s38, s73
	s_cbranch_execnz .LBB872_1094
.LBB872_1573:
	s_or_b32 exec_lo, exec_lo, s38
	s_and_saveexec_b32 s38, s74
	s_cbranch_execz .LBB872_1095
.LBB872_1574:
	v_mov_b32_e32 v114, 1
	v_lshlrev_b32_sdwa v115, v114, v51 dst_sel:DWORD dst_unused:UNUSED_PAD src0_sel:DWORD src1_sel:WORD_0
	v_lshlrev_b32_sdwa v116, v114, v52 dst_sel:DWORD dst_unused:UNUSED_PAD src0_sel:DWORD src1_sel:WORD_0
	v_add_co_u32 v114, s35, v6, v115
	v_add_co_ci_u32_e64 v115, null, 0, v7, s35
	v_add_co_u32 v116, s35, v6, v116
	v_add_co_ci_u32_e64 v117, null, 0, v7, s35
	s_clause 0x1
	flat_load_ushort v114, v[114:115]
	flat_load_ushort v115, v[116:117]
	s_waitcnt vmcnt(0) lgkmcnt(0)
	v_cmp_lt_u16_e64 s35, v114, v115
	v_cndmask_b32_e64 v114, v52, v51, s35
	v_cndmask_b32_e64 v51, v51, v52, s35
	v_mov_b32_e32 v52, v114
	s_or_b32 exec_lo, exec_lo, s38
	s_and_saveexec_b32 s38, s75
	s_cbranch_execnz .LBB872_1096
.LBB872_1575:
	s_or_b32 exec_lo, exec_lo, s38
	s_and_saveexec_b32 s38, s76
	s_cbranch_execz .LBB872_1097
.LBB872_1576:
	v_mov_b32_e32 v114, 1
	v_lshlrev_b32_sdwa v115, v114, v48 dst_sel:DWORD dst_unused:UNUSED_PAD src0_sel:DWORD src1_sel:WORD_0
	v_lshlrev_b32_sdwa v116, v114, v103 dst_sel:DWORD dst_unused:UNUSED_PAD src0_sel:DWORD src1_sel:WORD_0
	v_add_co_u32 v114, s35, v6, v115
	v_add_co_ci_u32_e64 v115, null, 0, v7, s35
	v_add_co_u32 v116, s35, v6, v116
	v_add_co_ci_u32_e64 v117, null, 0, v7, s35
	s_clause 0x1
	flat_load_ushort v114, v[114:115]
	flat_load_ushort v115, v[116:117]
	s_waitcnt vmcnt(0) lgkmcnt(0)
	v_cmp_lt_u16_e64 s35, v114, v115
	v_cndmask_b32_e64 v114, v103, v48, s35
	v_cndmask_b32_e64 v48, v48, v103, s35
	v_mov_b32_e32 v103, v114
	s_or_b32 exec_lo, exec_lo, s38
	s_and_saveexec_b32 s38, s77
	s_cbranch_execnz .LBB872_1098
.LBB872_1577:
	s_or_b32 exec_lo, exec_lo, s38
	s_and_saveexec_b32 s38, s78
	s_cbranch_execz .LBB872_1099
.LBB872_1578:
	v_mov_b32_e32 v114, 1
	v_lshlrev_b32_sdwa v115, v114, v98 dst_sel:DWORD dst_unused:UNUSED_PAD src0_sel:DWORD src1_sel:WORD_0
	v_lshlrev_b32_sdwa v116, v114, v100 dst_sel:DWORD dst_unused:UNUSED_PAD src0_sel:DWORD src1_sel:WORD_0
	v_add_co_u32 v114, s35, v6, v115
	v_add_co_ci_u32_e64 v115, null, 0, v7, s35
	v_add_co_u32 v116, s35, v6, v116
	v_add_co_ci_u32_e64 v117, null, 0, v7, s35
	s_clause 0x1
	flat_load_ushort v114, v[114:115]
	flat_load_ushort v115, v[116:117]
	s_waitcnt vmcnt(0) lgkmcnt(0)
	v_cmp_lt_u16_e64 s35, v114, v115
	v_cndmask_b32_e64 v114, v98, v100, s35
	v_cndmask_b32_e64 v100, v100, v98, s35
	v_mov_b32_e32 v98, v114
	s_or_b32 exec_lo, exec_lo, s38
	s_and_saveexec_b32 s38, s79
	s_cbranch_execnz .LBB872_1100
.LBB872_1579:
	s_or_b32 exec_lo, exec_lo, s38
	s_and_saveexec_b32 s38, s88
	s_cbranch_execz .LBB872_1101
.LBB872_1580:
	v_mov_b32_e32 v114, 1
	v_lshlrev_b32_sdwa v115, v114, v86 dst_sel:DWORD dst_unused:UNUSED_PAD src0_sel:DWORD src1_sel:WORD_0
	v_lshlrev_b32_sdwa v116, v114, v87 dst_sel:DWORD dst_unused:UNUSED_PAD src0_sel:DWORD src1_sel:WORD_0
	v_add_co_u32 v114, s35, v6, v115
	v_add_co_ci_u32_e64 v115, null, 0, v7, s35
	v_add_co_u32 v116, s35, v6, v116
	v_add_co_ci_u32_e64 v117, null, 0, v7, s35
	s_clause 0x1
	flat_load_ushort v114, v[114:115]
	flat_load_ushort v115, v[116:117]
	s_waitcnt vmcnt(0) lgkmcnt(0)
	v_cmp_lt_u16_e64 s35, v114, v115
	v_cndmask_b32_e64 v114, v86, v87, s35
	v_cndmask_b32_e64 v87, v87, v86, s35
	v_mov_b32_e32 v86, v114
	s_or_b32 exec_lo, exec_lo, s38
	s_and_saveexec_b32 s38, s89
	s_cbranch_execnz .LBB872_1102
.LBB872_1581:
	s_or_b32 exec_lo, exec_lo, s38
	s_and_saveexec_b32 s38, s90
	s_cbranch_execz .LBB872_1103
.LBB872_1582:
	v_mov_b32_e32 v114, 1
	v_lshlrev_b32_sdwa v115, v114, v82 dst_sel:DWORD dst_unused:UNUSED_PAD src0_sel:DWORD src1_sel:WORD_0
	v_lshlrev_b32_sdwa v116, v114, v83 dst_sel:DWORD dst_unused:UNUSED_PAD src0_sel:DWORD src1_sel:WORD_0
	v_add_co_u32 v114, s35, v6, v115
	v_add_co_ci_u32_e64 v115, null, 0, v7, s35
	v_add_co_u32 v116, s35, v6, v116
	v_add_co_ci_u32_e64 v117, null, 0, v7, s35
	s_clause 0x1
	flat_load_ushort v114, v[114:115]
	flat_load_ushort v115, v[116:117]
	s_waitcnt vmcnt(0) lgkmcnt(0)
	v_cmp_lt_u16_e64 s35, v114, v115
	v_cndmask_b32_e64 v114, v82, v83, s35
	v_cndmask_b32_e64 v83, v83, v82, s35
	v_mov_b32_e32 v82, v114
	s_or_b32 exec_lo, exec_lo, s38
	s_and_saveexec_b32 s38, s91
	s_cbranch_execnz .LBB872_1104
.LBB872_1583:
	s_or_b32 exec_lo, exec_lo, s38
	s_and_saveexec_b32 s38, s92
	s_cbranch_execz .LBB872_1105
.LBB872_1584:
	v_mov_b32_e32 v114, 1
	v_lshlrev_b32_sdwa v115, v114, v70 dst_sel:DWORD dst_unused:UNUSED_PAD src0_sel:DWORD src1_sel:WORD_0
	v_lshlrev_b32_sdwa v116, v114, v71 dst_sel:DWORD dst_unused:UNUSED_PAD src0_sel:DWORD src1_sel:WORD_0
	v_add_co_u32 v114, s35, v6, v115
	v_add_co_ci_u32_e64 v115, null, 0, v7, s35
	v_add_co_u32 v116, s35, v6, v116
	v_add_co_ci_u32_e64 v117, null, 0, v7, s35
	s_clause 0x1
	flat_load_ushort v114, v[114:115]
	flat_load_ushort v115, v[116:117]
	s_waitcnt vmcnt(0) lgkmcnt(0)
	v_cmp_lt_u16_e64 s35, v114, v115
	v_cndmask_b32_e64 v114, v70, v71, s35
	v_cndmask_b32_e64 v71, v71, v70, s35
	v_mov_b32_e32 v70, v114
	s_or_b32 exec_lo, exec_lo, s38
	s_and_saveexec_b32 s38, s93
	s_cbranch_execnz .LBB872_1106
.LBB872_1585:
	s_or_b32 exec_lo, exec_lo, s38
	s_and_saveexec_b32 s38, s94
	s_cbranch_execz .LBB872_1107
.LBB872_1586:
	v_mov_b32_e32 v114, 1
	v_lshlrev_b32_sdwa v115, v114, v66 dst_sel:DWORD dst_unused:UNUSED_PAD src0_sel:DWORD src1_sel:WORD_0
	v_lshlrev_b32_sdwa v116, v114, v67 dst_sel:DWORD dst_unused:UNUSED_PAD src0_sel:DWORD src1_sel:WORD_0
	v_add_co_u32 v114, s35, v6, v115
	v_add_co_ci_u32_e64 v115, null, 0, v7, s35
	v_add_co_u32 v116, s35, v6, v116
	v_add_co_ci_u32_e64 v117, null, 0, v7, s35
	s_clause 0x1
	flat_load_ushort v114, v[114:115]
	flat_load_ushort v115, v[116:117]
	s_waitcnt vmcnt(0) lgkmcnt(0)
	v_cmp_lt_u16_e64 s35, v114, v115
	v_cndmask_b32_e64 v114, v66, v67, s35
	v_cndmask_b32_e64 v67, v67, v66, s35
	v_mov_b32_e32 v66, v114
	s_or_b32 exec_lo, exec_lo, s38
	s_and_saveexec_b32 s38, s95
	s_cbranch_execnz .LBB872_1108
.LBB872_1587:
	s_or_b32 exec_lo, exec_lo, s38
	s_and_saveexec_b32 s38, vcc_hi
	s_cbranch_execz .LBB872_1109
.LBB872_1588:
	v_mov_b32_e32 v114, 1
	v_lshlrev_b32_sdwa v115, v114, v53 dst_sel:DWORD dst_unused:UNUSED_PAD src0_sel:DWORD src1_sel:WORD_0
	v_lshlrev_b32_sdwa v116, v114, v54 dst_sel:DWORD dst_unused:UNUSED_PAD src0_sel:DWORD src1_sel:WORD_0
	v_add_co_u32 v114, s35, v6, v115
	v_add_co_ci_u32_e64 v115, null, 0, v7, s35
	v_add_co_u32 v116, s35, v6, v116
	v_add_co_ci_u32_e64 v117, null, 0, v7, s35
	s_clause 0x1
	flat_load_ushort v114, v[114:115]
	flat_load_ushort v115, v[116:117]
	s_waitcnt vmcnt(0) lgkmcnt(0)
	v_cmp_lt_u16_e64 s35, v114, v115
	v_cndmask_b32_e64 v114, v53, v54, s35
	v_cndmask_b32_e64 v54, v54, v53, s35
	v_mov_b32_e32 v53, v114
	s_or_b32 exec_lo, exec_lo, s38
	s_and_saveexec_b32 s38, s30
	s_cbranch_execnz .LBB872_1110
.LBB872_1589:
	s_or_b32 exec_lo, exec_lo, s38
	s_and_saveexec_b32 s38, s31
	s_cbranch_execz .LBB872_1111
.LBB872_1590:
	v_mov_b32_e32 v114, 1
	v_lshlrev_b32_sdwa v115, v114, v50 dst_sel:DWORD dst_unused:UNUSED_PAD src0_sel:DWORD src1_sel:WORD_0
	v_lshlrev_b32_sdwa v116, v114, v51 dst_sel:DWORD dst_unused:UNUSED_PAD src0_sel:DWORD src1_sel:WORD_0
	v_add_co_u32 v114, s35, v6, v115
	v_add_co_ci_u32_e64 v115, null, 0, v7, s35
	v_add_co_u32 v116, s35, v6, v116
	v_add_co_ci_u32_e64 v117, null, 0, v7, s35
	s_clause 0x1
	flat_load_ushort v114, v[114:115]
	flat_load_ushort v115, v[116:117]
	s_waitcnt vmcnt(0) lgkmcnt(0)
	v_cmp_lt_u16_e64 s35, v114, v115
	v_cndmask_b32_e64 v114, v51, v50, s35
	v_cndmask_b32_e64 v50, v50, v51, s35
	v_mov_b32_e32 v51, v114
	s_or_b32 exec_lo, exec_lo, s38
	s_and_saveexec_b32 s38, s34
	s_cbranch_execnz .LBB872_1112
.LBB872_1591:
	s_or_b32 exec_lo, exec_lo, s38
	s_and_saveexec_b32 s38, s8
	s_cbranch_execz .LBB872_1113
.LBB872_1592:
	v_mov_b32_e32 v114, 1
	v_lshlrev_b32_sdwa v115, v114, v102 dst_sel:DWORD dst_unused:UNUSED_PAD src0_sel:DWORD src1_sel:WORD_0
	v_lshlrev_b32_sdwa v116, v114, v99 dst_sel:DWORD dst_unused:UNUSED_PAD src0_sel:DWORD src1_sel:WORD_0
	v_add_co_u32 v114, s35, v6, v115
	v_add_co_ci_u32_e64 v115, null, 0, v7, s35
	v_add_co_u32 v116, s35, v6, v116
	v_add_co_ci_u32_e64 v117, null, 0, v7, s35
	s_clause 0x1
	flat_load_ushort v114, v[114:115]
	flat_load_ushort v115, v[116:117]
	s_waitcnt vmcnt(0) lgkmcnt(0)
	v_cmp_lt_u16_e64 s35, v114, v115
	v_cndmask_b32_e64 v114, v102, v99, s35
	v_cndmask_b32_e64 v99, v99, v102, s35
	v_mov_b32_e32 v102, v114
	s_or_b32 exec_lo, exec_lo, s38
	s_and_saveexec_b32 s38, s9
	s_cbranch_execnz .LBB872_1114
.LBB872_1593:
	s_or_b32 exec_lo, exec_lo, s38
	s_and_saveexec_b32 s38, s12
	s_cbranch_execz .LBB872_1115
.LBB872_1594:
	v_mov_b32_e32 v114, 1
	v_lshlrev_b32_sdwa v115, v114, v97 dst_sel:DWORD dst_unused:UNUSED_PAD src0_sel:DWORD src1_sel:WORD_0
	v_lshlrev_b32_sdwa v116, v114, v98 dst_sel:DWORD dst_unused:UNUSED_PAD src0_sel:DWORD src1_sel:WORD_0
	v_add_co_u32 v114, s35, v6, v115
	v_add_co_ci_u32_e64 v115, null, 0, v7, s35
	v_add_co_u32 v116, s35, v6, v116
	v_add_co_ci_u32_e64 v117, null, 0, v7, s35
	s_clause 0x1
	flat_load_ushort v114, v[114:115]
	flat_load_ushort v115, v[116:117]
	s_waitcnt vmcnt(0) lgkmcnt(0)
	v_cmp_lt_u16_e64 s35, v114, v115
	v_cndmask_b32_e64 v114, v97, v98, s35
	v_cndmask_b32_e64 v98, v98, v97, s35
	v_mov_b32_e32 v97, v114
	s_or_b32 exec_lo, exec_lo, s38
	s_and_saveexec_b32 s38, s13
	s_cbranch_execnz .LBB872_1116
.LBB872_1595:
	s_or_b32 exec_lo, exec_lo, s38
	s_and_saveexec_b32 s38, s57
	s_cbranch_execz .LBB872_1117
.LBB872_1596:
	v_mov_b32_e32 v114, 1
	v_lshlrev_b32_sdwa v115, v114, v85 dst_sel:DWORD dst_unused:UNUSED_PAD src0_sel:DWORD src1_sel:WORD_0
	v_lshlrev_b32_sdwa v116, v114, v86 dst_sel:DWORD dst_unused:UNUSED_PAD src0_sel:DWORD src1_sel:WORD_0
	v_add_co_u32 v114, s35, v6, v115
	v_add_co_ci_u32_e64 v115, null, 0, v7, s35
	v_add_co_u32 v116, s35, v6, v116
	v_add_co_ci_u32_e64 v117, null, 0, v7, s35
	s_clause 0x1
	flat_load_ushort v114, v[114:115]
	flat_load_ushort v115, v[116:117]
	s_waitcnt vmcnt(0) lgkmcnt(0)
	v_cmp_lt_u16_e64 s35, v114, v115
	v_cndmask_b32_e64 v114, v85, v86, s35
	v_cndmask_b32_e64 v86, v86, v85, s35
	v_mov_b32_e32 v85, v114
	s_or_b32 exec_lo, exec_lo, s38
	s_and_saveexec_b32 s38, s58
	s_cbranch_execnz .LBB872_1118
.LBB872_1597:
	s_or_b32 exec_lo, exec_lo, s38
	s_and_saveexec_b32 s38, s59
	s_cbranch_execz .LBB872_1119
.LBB872_1598:
	v_mov_b32_e32 v114, 1
	v_lshlrev_b32_sdwa v115, v114, v81 dst_sel:DWORD dst_unused:UNUSED_PAD src0_sel:DWORD src1_sel:WORD_0
	v_lshlrev_b32_sdwa v116, v114, v82 dst_sel:DWORD dst_unused:UNUSED_PAD src0_sel:DWORD src1_sel:WORD_0
	v_add_co_u32 v114, s35, v6, v115
	v_add_co_ci_u32_e64 v115, null, 0, v7, s35
	v_add_co_u32 v116, s35, v6, v116
	v_add_co_ci_u32_e64 v117, null, 0, v7, s35
	s_clause 0x1
	flat_load_ushort v114, v[114:115]
	flat_load_ushort v115, v[116:117]
	s_waitcnt vmcnt(0) lgkmcnt(0)
	v_cmp_lt_u16_e64 s35, v114, v115
	v_cndmask_b32_e64 v114, v81, v82, s35
	v_cndmask_b32_e64 v82, v82, v81, s35
	v_mov_b32_e32 v81, v114
	s_or_b32 exec_lo, exec_lo, s38
	s_and_saveexec_b32 s38, s60
	s_cbranch_execnz .LBB872_1120
.LBB872_1599:
	s_or_b32 exec_lo, exec_lo, s38
	s_and_saveexec_b32 s38, s61
	s_cbranch_execz .LBB872_1121
.LBB872_1600:
	v_mov_b32_e32 v114, 1
	v_lshlrev_b32_sdwa v115, v114, v69 dst_sel:DWORD dst_unused:UNUSED_PAD src0_sel:DWORD src1_sel:WORD_0
	v_lshlrev_b32_sdwa v116, v114, v70 dst_sel:DWORD dst_unused:UNUSED_PAD src0_sel:DWORD src1_sel:WORD_0
	v_add_co_u32 v114, s35, v6, v115
	v_add_co_ci_u32_e64 v115, null, 0, v7, s35
	v_add_co_u32 v116, s35, v6, v116
	v_add_co_ci_u32_e64 v117, null, 0, v7, s35
	s_clause 0x1
	flat_load_ushort v114, v[114:115]
	flat_load_ushort v115, v[116:117]
	s_waitcnt vmcnt(0) lgkmcnt(0)
	v_cmp_lt_u16_e64 s35, v114, v115
	v_cndmask_b32_e64 v114, v69, v70, s35
	v_cndmask_b32_e64 v70, v70, v69, s35
	v_mov_b32_e32 v69, v114
	s_or_b32 exec_lo, exec_lo, s38
	s_and_saveexec_b32 s38, s62
	s_cbranch_execnz .LBB872_1122
.LBB872_1601:
	s_or_b32 exec_lo, exec_lo, s38
	s_and_saveexec_b32 s38, s63
	s_cbranch_execz .LBB872_1123
.LBB872_1602:
	v_mov_b32_e32 v114, 1
	v_lshlrev_b32_sdwa v115, v114, v65 dst_sel:DWORD dst_unused:UNUSED_PAD src0_sel:DWORD src1_sel:WORD_0
	v_lshlrev_b32_sdwa v116, v114, v66 dst_sel:DWORD dst_unused:UNUSED_PAD src0_sel:DWORD src1_sel:WORD_0
	v_add_co_u32 v114, s35, v6, v115
	v_add_co_ci_u32_e64 v115, null, 0, v7, s35
	v_add_co_u32 v116, s35, v6, v116
	v_add_co_ci_u32_e64 v117, null, 0, v7, s35
	s_clause 0x1
	flat_load_ushort v114, v[114:115]
	flat_load_ushort v115, v[116:117]
	s_waitcnt vmcnt(0) lgkmcnt(0)
	v_cmp_lt_u16_e64 s35, v114, v115
	v_cndmask_b32_e64 v114, v65, v66, s35
	v_cndmask_b32_e64 v66, v66, v65, s35
	v_mov_b32_e32 v65, v114
	s_or_b32 exec_lo, exec_lo, s38
	s_and_saveexec_b32 s38, s72
	s_cbranch_execnz .LBB872_1124
.LBB872_1603:
	s_or_b32 exec_lo, exec_lo, s38
	s_and_saveexec_b32 s38, s73
	s_cbranch_execz .LBB872_1125
.LBB872_1604:
	v_mov_b32_e32 v114, 1
	v_lshlrev_b32_sdwa v115, v114, v64 dst_sel:DWORD dst_unused:UNUSED_PAD src0_sel:DWORD src1_sel:WORD_0
	v_lshlrev_b32_sdwa v116, v114, v53 dst_sel:DWORD dst_unused:UNUSED_PAD src0_sel:DWORD src1_sel:WORD_0
	v_add_co_u32 v114, s35, v6, v115
	v_add_co_ci_u32_e64 v115, null, 0, v7, s35
	v_add_co_u32 v116, s35, v6, v116
	v_add_co_ci_u32_e64 v117, null, 0, v7, s35
	s_clause 0x1
	flat_load_ushort v114, v[114:115]
	flat_load_ushort v115, v[116:117]
	s_waitcnt vmcnt(0) lgkmcnt(0)
	v_cmp_lt_u16_e64 s35, v114, v115
	v_cndmask_b32_e64 v114, v64, v53, s35
	v_cndmask_b32_e64 v53, v53, v64, s35
	v_mov_b32_e32 v64, v114
	s_or_b32 exec_lo, exec_lo, s38
	s_and_saveexec_b32 s38, s74
	s_cbranch_execnz .LBB872_1126
.LBB872_1605:
	s_or_b32 exec_lo, exec_lo, s38
	s_and_saveexec_b32 s38, s75
	s_cbranch_execz .LBB872_1127
.LBB872_1606:
	v_mov_b32_e32 v114, 1
	v_lshlrev_b32_sdwa v115, v114, v49 dst_sel:DWORD dst_unused:UNUSED_PAD src0_sel:DWORD src1_sel:WORD_0
	v_lshlrev_b32_sdwa v116, v114, v50 dst_sel:DWORD dst_unused:UNUSED_PAD src0_sel:DWORD src1_sel:WORD_0
	v_add_co_u32 v114, s35, v6, v115
	v_add_co_ci_u32_e64 v115, null, 0, v7, s35
	v_add_co_u32 v116, s35, v6, v116
	v_add_co_ci_u32_e64 v117, null, 0, v7, s35
	s_clause 0x1
	flat_load_ushort v114, v[114:115]
	flat_load_ushort v115, v[116:117]
	s_waitcnt vmcnt(0) lgkmcnt(0)
	v_cmp_lt_u16_e64 s35, v114, v115
	v_cndmask_b32_e64 v114, v50, v49, s35
	v_cndmask_b32_e64 v49, v49, v50, s35
	v_mov_b32_e32 v50, v114
	s_or_b32 exec_lo, exec_lo, s38
	s_and_saveexec_b32 s38, s76
	s_cbranch_execnz .LBB872_1128
.LBB872_1607:
	s_or_b32 exec_lo, exec_lo, s38
	s_and_saveexec_b32 s38, s77
	s_cbranch_execz .LBB872_1129
.LBB872_1608:
	v_mov_b32_e32 v114, 1
	v_lshlrev_b32_sdwa v115, v114, v101 dst_sel:DWORD dst_unused:UNUSED_PAD src0_sel:DWORD src1_sel:WORD_0
	v_lshlrev_b32_sdwa v116, v114, v102 dst_sel:DWORD dst_unused:UNUSED_PAD src0_sel:DWORD src1_sel:WORD_0
	v_add_co_u32 v114, s35, v6, v115
	v_add_co_ci_u32_e64 v115, null, 0, v7, s35
	v_add_co_u32 v116, s35, v6, v116
	v_add_co_ci_u32_e64 v117, null, 0, v7, s35
	s_clause 0x1
	flat_load_ushort v114, v[114:115]
	flat_load_ushort v115, v[116:117]
	s_waitcnt vmcnt(0) lgkmcnt(0)
	v_cmp_lt_u16_e64 s35, v114, v115
	v_cndmask_b32_e64 v114, v101, v102, s35
	v_cndmask_b32_e64 v102, v102, v101, s35
	v_mov_b32_e32 v101, v114
	s_or_b32 exec_lo, exec_lo, s38
	s_and_saveexec_b32 s38, s78
	s_cbranch_execnz .LBB872_1130
.LBB872_1609:
	s_or_b32 exec_lo, exec_lo, s38
	s_and_saveexec_b32 s38, s79
	s_cbranch_execz .LBB872_1131
.LBB872_1610:
	v_mov_b32_e32 v114, 1
	v_lshlrev_b32_sdwa v115, v114, v96 dst_sel:DWORD dst_unused:UNUSED_PAD src0_sel:DWORD src1_sel:WORD_0
	v_lshlrev_b32_sdwa v116, v114, v97 dst_sel:DWORD dst_unused:UNUSED_PAD src0_sel:DWORD src1_sel:WORD_0
	v_add_co_u32 v114, s35, v6, v115
	v_add_co_ci_u32_e64 v115, null, 0, v7, s35
	v_add_co_u32 v116, s35, v6, v116
	v_add_co_ci_u32_e64 v117, null, 0, v7, s35
	s_clause 0x1
	flat_load_ushort v114, v[114:115]
	flat_load_ushort v115, v[116:117]
	s_waitcnt vmcnt(0) lgkmcnt(0)
	v_cmp_lt_u16_e64 s35, v114, v115
	v_cndmask_b32_e64 v114, v96, v97, s35
	v_cndmask_b32_e64 v97, v97, v96, s35
	v_mov_b32_e32 v96, v114
	s_or_b32 exec_lo, exec_lo, s38
	s_and_saveexec_b32 s38, s88
	s_cbranch_execnz .LBB872_1132
.LBB872_1611:
	s_or_b32 exec_lo, exec_lo, s38
	s_and_saveexec_b32 s38, s89
	s_cbranch_execz .LBB872_1133
.LBB872_1612:
	v_mov_b32_e32 v114, 1
	v_lshlrev_b32_sdwa v115, v114, v84 dst_sel:DWORD dst_unused:UNUSED_PAD src0_sel:DWORD src1_sel:WORD_0
	v_lshlrev_b32_sdwa v116, v114, v85 dst_sel:DWORD dst_unused:UNUSED_PAD src0_sel:DWORD src1_sel:WORD_0
	v_add_co_u32 v114, s35, v6, v115
	v_add_co_ci_u32_e64 v115, null, 0, v7, s35
	v_add_co_u32 v116, s35, v6, v116
	v_add_co_ci_u32_e64 v117, null, 0, v7, s35
	s_clause 0x1
	flat_load_ushort v114, v[114:115]
	flat_load_ushort v115, v[116:117]
	s_waitcnt vmcnt(0) lgkmcnt(0)
	v_cmp_lt_u16_e64 s35, v114, v115
	v_cndmask_b32_e64 v114, v84, v85, s35
	v_cndmask_b32_e64 v85, v85, v84, s35
	v_mov_b32_e32 v84, v114
	s_or_b32 exec_lo, exec_lo, s38
	s_and_saveexec_b32 s38, s90
	s_cbranch_execnz .LBB872_1134
.LBB872_1613:
	s_or_b32 exec_lo, exec_lo, s38
	s_and_saveexec_b32 s38, s91
	s_cbranch_execz .LBB872_1135
.LBB872_1614:
	v_mov_b32_e32 v114, 1
	v_lshlrev_b32_sdwa v115, v114, v80 dst_sel:DWORD dst_unused:UNUSED_PAD src0_sel:DWORD src1_sel:WORD_0
	v_lshlrev_b32_sdwa v116, v114, v81 dst_sel:DWORD dst_unused:UNUSED_PAD src0_sel:DWORD src1_sel:WORD_0
	v_add_co_u32 v114, s35, v6, v115
	v_add_co_ci_u32_e64 v115, null, 0, v7, s35
	v_add_co_u32 v116, s35, v6, v116
	v_add_co_ci_u32_e64 v117, null, 0, v7, s35
	s_clause 0x1
	flat_load_ushort v114, v[114:115]
	flat_load_ushort v115, v[116:117]
	s_waitcnt vmcnt(0) lgkmcnt(0)
	v_cmp_lt_u16_e64 s35, v114, v115
	v_cndmask_b32_e64 v114, v80, v81, s35
	v_cndmask_b32_e64 v81, v81, v80, s35
	v_mov_b32_e32 v80, v114
	s_or_b32 exec_lo, exec_lo, s38
	s_and_saveexec_b32 s38, s92
	s_cbranch_execnz .LBB872_1136
.LBB872_1615:
	s_or_b32 exec_lo, exec_lo, s38
	s_and_saveexec_b32 s38, s93
	s_cbranch_execz .LBB872_1137
.LBB872_1616:
	v_mov_b32_e32 v114, 1
	v_lshlrev_b32_sdwa v115, v114, v68 dst_sel:DWORD dst_unused:UNUSED_PAD src0_sel:DWORD src1_sel:WORD_0
	v_lshlrev_b32_sdwa v116, v114, v69 dst_sel:DWORD dst_unused:UNUSED_PAD src0_sel:DWORD src1_sel:WORD_0
	v_add_co_u32 v114, s35, v6, v115
	v_add_co_ci_u32_e64 v115, null, 0, v7, s35
	v_add_co_u32 v116, s35, v6, v116
	v_add_co_ci_u32_e64 v117, null, 0, v7, s35
	s_clause 0x1
	flat_load_ushort v114, v[114:115]
	flat_load_ushort v115, v[116:117]
	s_waitcnt vmcnt(0) lgkmcnt(0)
	v_cmp_lt_u16_e64 s35, v114, v115
	v_cndmask_b32_e64 v114, v68, v69, s35
	v_cndmask_b32_e64 v69, v69, v68, s35
	v_mov_b32_e32 v68, v114
	s_or_b32 exec_lo, exec_lo, s38
	s_and_saveexec_b32 s38, s94
	s_cbranch_execnz .LBB872_1138
.LBB872_1617:
	s_or_b32 exec_lo, exec_lo, s38
	s_and_saveexec_b32 s38, s95
	s_cbranch_execz .LBB872_1139
.LBB872_1618:
	v_mov_b32_e32 v114, 1
	v_lshlrev_b32_sdwa v115, v114, v55 dst_sel:DWORD dst_unused:UNUSED_PAD src0_sel:DWORD src1_sel:WORD_0
	v_lshlrev_b32_sdwa v116, v114, v65 dst_sel:DWORD dst_unused:UNUSED_PAD src0_sel:DWORD src1_sel:WORD_0
	v_add_co_u32 v114, s35, v6, v115
	v_add_co_ci_u32_e64 v115, null, 0, v7, s35
	v_add_co_u32 v116, s35, v6, v116
	v_add_co_ci_u32_e64 v117, null, 0, v7, s35
	s_clause 0x1
	flat_load_ushort v114, v[114:115]
	flat_load_ushort v115, v[116:117]
	s_waitcnt vmcnt(0) lgkmcnt(0)
	v_cmp_lt_u16_e64 s35, v114, v115
	v_cndmask_b32_e64 v114, v55, v65, s35
	v_cndmask_b32_e64 v65, v65, v55, s35
	v_mov_b32_e32 v55, v114
	s_or_b32 exec_lo, exec_lo, s38
	s_and_saveexec_b32 s38, vcc_hi
	s_cbranch_execnz .LBB872_1140
.LBB872_1619:
	s_or_b32 exec_lo, exec_lo, s38
	s_and_saveexec_b32 s38, s30
	s_cbranch_execz .LBB872_1141
.LBB872_1620:
	v_mov_b32_e32 v114, 1
	v_lshlrev_b32_sdwa v115, v114, v52 dst_sel:DWORD dst_unused:UNUSED_PAD src0_sel:DWORD src1_sel:WORD_0
	v_lshlrev_b32_sdwa v116, v114, v64 dst_sel:DWORD dst_unused:UNUSED_PAD src0_sel:DWORD src1_sel:WORD_0
	v_add_co_u32 v114, s35, v6, v115
	v_add_co_ci_u32_e64 v115, null, 0, v7, s35
	v_add_co_u32 v116, s35, v6, v116
	v_add_co_ci_u32_e64 v117, null, 0, v7, s35
	s_clause 0x1
	flat_load_ushort v114, v[114:115]
	flat_load_ushort v115, v[116:117]
	s_waitcnt vmcnt(0) lgkmcnt(0)
	v_cmp_lt_u16_e64 s35, v114, v115
	v_cndmask_b32_e64 v114, v64, v52, s35
	v_cndmask_b32_e64 v52, v52, v64, s35
	v_mov_b32_e32 v64, v114
	s_or_b32 exec_lo, exec_lo, s38
	s_and_saveexec_b32 s38, s31
	s_cbranch_execnz .LBB872_1142
.LBB872_1621:
	s_or_b32 exec_lo, exec_lo, s38
	s_and_saveexec_b32 s38, s34
	s_cbranch_execz .LBB872_1143
.LBB872_1622:
	v_mov_b32_e32 v114, 1
	v_lshlrev_b32_sdwa v115, v114, v103 dst_sel:DWORD dst_unused:UNUSED_PAD src0_sel:DWORD src1_sel:WORD_0
	v_lshlrev_b32_sdwa v116, v114, v49 dst_sel:DWORD dst_unused:UNUSED_PAD src0_sel:DWORD src1_sel:WORD_0
	v_add_co_u32 v114, s35, v6, v115
	v_add_co_ci_u32_e64 v115, null, 0, v7, s35
	v_add_co_u32 v116, s35, v6, v116
	v_add_co_ci_u32_e64 v117, null, 0, v7, s35
	s_clause 0x1
	flat_load_ushort v114, v[114:115]
	flat_load_ushort v115, v[116:117]
	s_waitcnt vmcnt(0) lgkmcnt(0)
	v_cmp_lt_u16_e64 s35, v114, v115
	v_cndmask_b32_e64 v114, v49, v103, s35
	v_cndmask_b32_e64 v103, v103, v49, s35
	v_mov_b32_e32 v49, v114
	s_or_b32 exec_lo, exec_lo, s38
	s_and_saveexec_b32 s38, s8
	s_cbranch_execnz .LBB872_1144
.LBB872_1623:
	s_or_b32 exec_lo, exec_lo, s38
	s_and_saveexec_b32 s38, s9
	s_cbranch_execz .LBB872_1145
.LBB872_1624:
	v_mov_b32_e32 v114, 1
	v_lshlrev_b32_sdwa v115, v114, v100 dst_sel:DWORD dst_unused:UNUSED_PAD src0_sel:DWORD src1_sel:WORD_0
	v_lshlrev_b32_sdwa v116, v114, v101 dst_sel:DWORD dst_unused:UNUSED_PAD src0_sel:DWORD src1_sel:WORD_0
	v_add_co_u32 v114, s35, v6, v115
	v_add_co_ci_u32_e64 v115, null, 0, v7, s35
	v_add_co_u32 v116, s35, v6, v116
	v_add_co_ci_u32_e64 v117, null, 0, v7, s35
	s_clause 0x1
	flat_load_ushort v114, v[114:115]
	flat_load_ushort v115, v[116:117]
	s_waitcnt vmcnt(0) lgkmcnt(0)
	v_cmp_lt_u16_e64 s35, v114, v115
	v_cndmask_b32_e64 v114, v100, v101, s35
	v_cndmask_b32_e64 v101, v101, v100, s35
	v_mov_b32_e32 v100, v114
	s_or_b32 exec_lo, exec_lo, s38
	s_and_saveexec_b32 s38, s12
	s_cbranch_execnz .LBB872_1146
.LBB872_1625:
	s_or_b32 exec_lo, exec_lo, s38
	s_and_saveexec_b32 s38, s13
	s_cbranch_execz .LBB872_1147
.LBB872_1626:
	v_mov_b32_e32 v114, 1
	v_lshlrev_b32_sdwa v115, v114, v87 dst_sel:DWORD dst_unused:UNUSED_PAD src0_sel:DWORD src1_sel:WORD_0
	v_lshlrev_b32_sdwa v116, v114, v96 dst_sel:DWORD dst_unused:UNUSED_PAD src0_sel:DWORD src1_sel:WORD_0
	v_add_co_u32 v114, s35, v6, v115
	v_add_co_ci_u32_e64 v115, null, 0, v7, s35
	v_add_co_u32 v116, s35, v6, v116
	v_add_co_ci_u32_e64 v117, null, 0, v7, s35
	s_clause 0x1
	flat_load_ushort v114, v[114:115]
	flat_load_ushort v115, v[116:117]
	s_waitcnt vmcnt(0) lgkmcnt(0)
	v_cmp_lt_u16_e64 s35, v114, v115
	v_cndmask_b32_e64 v114, v87, v96, s35
	v_cndmask_b32_e64 v96, v96, v87, s35
	v_mov_b32_e32 v87, v114
	s_or_b32 exec_lo, exec_lo, s38
	s_and_saveexec_b32 s38, s57
	s_cbranch_execnz .LBB872_1148
.LBB872_1627:
	s_or_b32 exec_lo, exec_lo, s38
	s_and_saveexec_b32 s38, s58
	s_cbranch_execz .LBB872_1149
.LBB872_1628:
	v_mov_b32_e32 v114, 1
	v_lshlrev_b32_sdwa v115, v114, v83 dst_sel:DWORD dst_unused:UNUSED_PAD src0_sel:DWORD src1_sel:WORD_0
	v_lshlrev_b32_sdwa v116, v114, v84 dst_sel:DWORD dst_unused:UNUSED_PAD src0_sel:DWORD src1_sel:WORD_0
	v_add_co_u32 v114, s35, v6, v115
	v_add_co_ci_u32_e64 v115, null, 0, v7, s35
	v_add_co_u32 v116, s35, v6, v116
	v_add_co_ci_u32_e64 v117, null, 0, v7, s35
	s_clause 0x1
	flat_load_ushort v114, v[114:115]
	flat_load_ushort v115, v[116:117]
	s_waitcnt vmcnt(0) lgkmcnt(0)
	v_cmp_lt_u16_e64 s35, v114, v115
	v_cndmask_b32_e64 v114, v83, v84, s35
	v_cndmask_b32_e64 v84, v84, v83, s35
	v_mov_b32_e32 v83, v114
	s_or_b32 exec_lo, exec_lo, s38
	s_and_saveexec_b32 s38, s59
	s_cbranch_execnz .LBB872_1150
.LBB872_1629:
	s_or_b32 exec_lo, exec_lo, s38
	s_and_saveexec_b32 s38, s60
	s_cbranch_execz .LBB872_1151
.LBB872_1630:
	v_mov_b32_e32 v114, 1
	v_lshlrev_b32_sdwa v115, v114, v71 dst_sel:DWORD dst_unused:UNUSED_PAD src0_sel:DWORD src1_sel:WORD_0
	v_lshlrev_b32_sdwa v116, v114, v80 dst_sel:DWORD dst_unused:UNUSED_PAD src0_sel:DWORD src1_sel:WORD_0
	v_add_co_u32 v114, s35, v6, v115
	v_add_co_ci_u32_e64 v115, null, 0, v7, s35
	v_add_co_u32 v116, s35, v6, v116
	v_add_co_ci_u32_e64 v117, null, 0, v7, s35
	s_clause 0x1
	flat_load_ushort v114, v[114:115]
	flat_load_ushort v115, v[116:117]
	s_waitcnt vmcnt(0) lgkmcnt(0)
	v_cmp_lt_u16_e64 s35, v114, v115
	v_cndmask_b32_e64 v114, v71, v80, s35
	v_cndmask_b32_e64 v80, v80, v71, s35
	v_mov_b32_e32 v71, v114
	s_or_b32 exec_lo, exec_lo, s38
	s_and_saveexec_b32 s38, s61
	s_cbranch_execnz .LBB872_1152
.LBB872_1631:
	s_or_b32 exec_lo, exec_lo, s38
	s_and_saveexec_b32 s38, s62
	s_cbranch_execz .LBB872_1153
.LBB872_1632:
	v_mov_b32_e32 v114, 1
	v_lshlrev_b32_sdwa v115, v114, v67 dst_sel:DWORD dst_unused:UNUSED_PAD src0_sel:DWORD src1_sel:WORD_0
	v_lshlrev_b32_sdwa v116, v114, v68 dst_sel:DWORD dst_unused:UNUSED_PAD src0_sel:DWORD src1_sel:WORD_0
	v_add_co_u32 v114, s35, v6, v115
	v_add_co_ci_u32_e64 v115, null, 0, v7, s35
	v_add_co_u32 v116, s35, v6, v116
	v_add_co_ci_u32_e64 v117, null, 0, v7, s35
	s_clause 0x1
	flat_load_ushort v114, v[114:115]
	flat_load_ushort v115, v[116:117]
	s_waitcnt vmcnt(0) lgkmcnt(0)
	v_cmp_lt_u16_e64 s35, v114, v115
	v_cndmask_b32_e64 v114, v67, v68, s35
	v_cndmask_b32_e64 v68, v68, v67, s35
	v_mov_b32_e32 v67, v114
	s_or_b32 exec_lo, exec_lo, s38
	s_and_saveexec_b32 s38, s63
	s_cbranch_execnz .LBB872_1154
.LBB872_1633:
	s_or_b32 exec_lo, exec_lo, s38
	s_and_saveexec_b32 s38, s72
	s_cbranch_execz .LBB872_1155
.LBB872_1634:
	v_mov_b32_e32 v114, 1
	v_lshlrev_b32_sdwa v115, v114, v54 dst_sel:DWORD dst_unused:UNUSED_PAD src0_sel:DWORD src1_sel:WORD_0
	v_lshlrev_b32_sdwa v116, v114, v55 dst_sel:DWORD dst_unused:UNUSED_PAD src0_sel:DWORD src1_sel:WORD_0
	v_add_co_u32 v114, s35, v6, v115
	v_add_co_ci_u32_e64 v115, null, 0, v7, s35
	v_add_co_u32 v116, s35, v6, v116
	v_add_co_ci_u32_e64 v117, null, 0, v7, s35
	s_clause 0x1
	flat_load_ushort v114, v[114:115]
	flat_load_ushort v115, v[116:117]
	s_waitcnt vmcnt(0) lgkmcnt(0)
	v_cmp_lt_u16_e64 s35, v114, v115
	v_cndmask_b32_e64 v114, v54, v55, s35
	v_cndmask_b32_e64 v55, v55, v54, s35
	v_mov_b32_e32 v54, v114
	s_or_b32 exec_lo, exec_lo, s38
	s_and_saveexec_b32 s38, s73
	s_cbranch_execnz .LBB872_1156
.LBB872_1635:
	s_or_b32 exec_lo, exec_lo, s38
	s_and_saveexec_b32 s38, s74
	s_cbranch_execz .LBB872_1157
.LBB872_1636:
	v_mov_b32_e32 v114, 1
	v_lshlrev_b32_sdwa v115, v114, v51 dst_sel:DWORD dst_unused:UNUSED_PAD src0_sel:DWORD src1_sel:WORD_0
	v_lshlrev_b32_sdwa v116, v114, v52 dst_sel:DWORD dst_unused:UNUSED_PAD src0_sel:DWORD src1_sel:WORD_0
	v_add_co_u32 v114, s35, v6, v115
	v_add_co_ci_u32_e64 v115, null, 0, v7, s35
	v_add_co_u32 v116, s35, v6, v116
	v_add_co_ci_u32_e64 v117, null, 0, v7, s35
	s_clause 0x1
	flat_load_ushort v114, v[114:115]
	flat_load_ushort v115, v[116:117]
	s_waitcnt vmcnt(0) lgkmcnt(0)
	v_cmp_lt_u16_e64 s35, v114, v115
	v_cndmask_b32_e64 v114, v52, v51, s35
	v_cndmask_b32_e64 v51, v51, v52, s35
	v_mov_b32_e32 v52, v114
	s_or_b32 exec_lo, exec_lo, s38
	s_and_saveexec_b32 s38, s75
	s_cbranch_execnz .LBB872_1158
.LBB872_1637:
	s_or_b32 exec_lo, exec_lo, s38
	s_and_saveexec_b32 s38, s76
	s_cbranch_execz .LBB872_1159
.LBB872_1638:
	v_mov_b32_e32 v114, 1
	v_lshlrev_b32_sdwa v115, v114, v48 dst_sel:DWORD dst_unused:UNUSED_PAD src0_sel:DWORD src1_sel:WORD_0
	v_lshlrev_b32_sdwa v116, v114, v103 dst_sel:DWORD dst_unused:UNUSED_PAD src0_sel:DWORD src1_sel:WORD_0
	v_add_co_u32 v114, s35, v6, v115
	v_add_co_ci_u32_e64 v115, null, 0, v7, s35
	v_add_co_u32 v116, s35, v6, v116
	v_add_co_ci_u32_e64 v117, null, 0, v7, s35
	s_clause 0x1
	flat_load_ushort v114, v[114:115]
	flat_load_ushort v115, v[116:117]
	s_waitcnt vmcnt(0) lgkmcnt(0)
	v_cmp_lt_u16_e64 s35, v114, v115
	v_cndmask_b32_e64 v114, v103, v48, s35
	v_cndmask_b32_e64 v48, v48, v103, s35
	v_mov_b32_e32 v103, v114
	s_or_b32 exec_lo, exec_lo, s38
	s_and_saveexec_b32 s38, s77
	s_cbranch_execnz .LBB872_1160
.LBB872_1639:
	s_or_b32 exec_lo, exec_lo, s38
	s_and_saveexec_b32 s38, s78
	s_cbranch_execz .LBB872_1161
.LBB872_1640:
	v_mov_b32_e32 v114, 1
	v_lshlrev_b32_sdwa v115, v114, v98 dst_sel:DWORD dst_unused:UNUSED_PAD src0_sel:DWORD src1_sel:WORD_0
	v_lshlrev_b32_sdwa v116, v114, v100 dst_sel:DWORD dst_unused:UNUSED_PAD src0_sel:DWORD src1_sel:WORD_0
	v_add_co_u32 v114, s35, v6, v115
	v_add_co_ci_u32_e64 v115, null, 0, v7, s35
	v_add_co_u32 v116, s35, v6, v116
	v_add_co_ci_u32_e64 v117, null, 0, v7, s35
	s_clause 0x1
	flat_load_ushort v114, v[114:115]
	flat_load_ushort v115, v[116:117]
	s_waitcnt vmcnt(0) lgkmcnt(0)
	v_cmp_lt_u16_e64 s35, v114, v115
	v_cndmask_b32_e64 v114, v98, v100, s35
	v_cndmask_b32_e64 v100, v100, v98, s35
	v_mov_b32_e32 v98, v114
	s_or_b32 exec_lo, exec_lo, s38
	s_and_saveexec_b32 s38, s79
	s_cbranch_execnz .LBB872_1162
.LBB872_1641:
	s_or_b32 exec_lo, exec_lo, s38
	s_and_saveexec_b32 s38, s88
	s_cbranch_execz .LBB872_1163
.LBB872_1642:
	v_mov_b32_e32 v114, 1
	v_lshlrev_b32_sdwa v115, v114, v86 dst_sel:DWORD dst_unused:UNUSED_PAD src0_sel:DWORD src1_sel:WORD_0
	v_lshlrev_b32_sdwa v116, v114, v87 dst_sel:DWORD dst_unused:UNUSED_PAD src0_sel:DWORD src1_sel:WORD_0
	v_add_co_u32 v114, s35, v6, v115
	v_add_co_ci_u32_e64 v115, null, 0, v7, s35
	v_add_co_u32 v116, s35, v6, v116
	v_add_co_ci_u32_e64 v117, null, 0, v7, s35
	s_clause 0x1
	flat_load_ushort v114, v[114:115]
	flat_load_ushort v115, v[116:117]
	s_waitcnt vmcnt(0) lgkmcnt(0)
	v_cmp_lt_u16_e64 s35, v114, v115
	v_cndmask_b32_e64 v114, v86, v87, s35
	v_cndmask_b32_e64 v87, v87, v86, s35
	v_mov_b32_e32 v86, v114
	s_or_b32 exec_lo, exec_lo, s38
	s_and_saveexec_b32 s38, s89
	s_cbranch_execnz .LBB872_1164
.LBB872_1643:
	s_or_b32 exec_lo, exec_lo, s38
	s_and_saveexec_b32 s38, s90
	s_cbranch_execz .LBB872_1165
.LBB872_1644:
	v_mov_b32_e32 v114, 1
	v_lshlrev_b32_sdwa v115, v114, v82 dst_sel:DWORD dst_unused:UNUSED_PAD src0_sel:DWORD src1_sel:WORD_0
	v_lshlrev_b32_sdwa v116, v114, v83 dst_sel:DWORD dst_unused:UNUSED_PAD src0_sel:DWORD src1_sel:WORD_0
	v_add_co_u32 v114, s35, v6, v115
	v_add_co_ci_u32_e64 v115, null, 0, v7, s35
	v_add_co_u32 v116, s35, v6, v116
	v_add_co_ci_u32_e64 v117, null, 0, v7, s35
	s_clause 0x1
	flat_load_ushort v114, v[114:115]
	flat_load_ushort v115, v[116:117]
	s_waitcnt vmcnt(0) lgkmcnt(0)
	v_cmp_lt_u16_e64 s35, v114, v115
	v_cndmask_b32_e64 v114, v82, v83, s35
	v_cndmask_b32_e64 v83, v83, v82, s35
	v_mov_b32_e32 v82, v114
	s_or_b32 exec_lo, exec_lo, s38
	s_and_saveexec_b32 s38, s91
	s_cbranch_execnz .LBB872_1166
.LBB872_1645:
	s_or_b32 exec_lo, exec_lo, s38
	s_and_saveexec_b32 s38, s92
	s_cbranch_execz .LBB872_1167
.LBB872_1646:
	v_mov_b32_e32 v114, 1
	v_lshlrev_b32_sdwa v115, v114, v70 dst_sel:DWORD dst_unused:UNUSED_PAD src0_sel:DWORD src1_sel:WORD_0
	v_lshlrev_b32_sdwa v116, v114, v71 dst_sel:DWORD dst_unused:UNUSED_PAD src0_sel:DWORD src1_sel:WORD_0
	v_add_co_u32 v114, s35, v6, v115
	v_add_co_ci_u32_e64 v115, null, 0, v7, s35
	v_add_co_u32 v116, s35, v6, v116
	v_add_co_ci_u32_e64 v117, null, 0, v7, s35
	s_clause 0x1
	flat_load_ushort v114, v[114:115]
	flat_load_ushort v115, v[116:117]
	s_waitcnt vmcnt(0) lgkmcnt(0)
	v_cmp_lt_u16_e64 s35, v114, v115
	v_cndmask_b32_e64 v114, v70, v71, s35
	v_cndmask_b32_e64 v71, v71, v70, s35
	v_mov_b32_e32 v70, v114
	s_or_b32 exec_lo, exec_lo, s38
	s_and_saveexec_b32 s38, s93
	s_cbranch_execnz .LBB872_1168
.LBB872_1647:
	s_or_b32 exec_lo, exec_lo, s38
	s_and_saveexec_b32 s38, s94
	s_cbranch_execz .LBB872_1169
.LBB872_1648:
	v_mov_b32_e32 v114, 1
	v_lshlrev_b32_sdwa v115, v114, v66 dst_sel:DWORD dst_unused:UNUSED_PAD src0_sel:DWORD src1_sel:WORD_0
	v_lshlrev_b32_sdwa v116, v114, v67 dst_sel:DWORD dst_unused:UNUSED_PAD src0_sel:DWORD src1_sel:WORD_0
	v_add_co_u32 v114, s35, v6, v115
	v_add_co_ci_u32_e64 v115, null, 0, v7, s35
	v_add_co_u32 v116, s35, v6, v116
	v_add_co_ci_u32_e64 v117, null, 0, v7, s35
	s_clause 0x1
	flat_load_ushort v114, v[114:115]
	flat_load_ushort v115, v[116:117]
	s_waitcnt vmcnt(0) lgkmcnt(0)
	v_cmp_lt_u16_e64 s35, v114, v115
	v_cndmask_b32_e64 v114, v66, v67, s35
	v_cndmask_b32_e64 v67, v67, v66, s35
	v_mov_b32_e32 v66, v114
	s_or_b32 exec_lo, exec_lo, s38
	s_and_saveexec_b32 s38, s95
	s_cbranch_execnz .LBB872_1170
.LBB872_1649:
	s_or_b32 exec_lo, exec_lo, s38
	s_and_saveexec_b32 s38, vcc_hi
	s_cbranch_execz .LBB872_1171
.LBB872_1650:
	v_mov_b32_e32 v114, 1
	v_lshlrev_b32_sdwa v115, v114, v53 dst_sel:DWORD dst_unused:UNUSED_PAD src0_sel:DWORD src1_sel:WORD_0
	v_lshlrev_b32_sdwa v116, v114, v54 dst_sel:DWORD dst_unused:UNUSED_PAD src0_sel:DWORD src1_sel:WORD_0
	v_add_co_u32 v114, s35, v6, v115
	v_add_co_ci_u32_e64 v115, null, 0, v7, s35
	v_add_co_u32 v116, s35, v6, v116
	v_add_co_ci_u32_e64 v117, null, 0, v7, s35
	s_clause 0x1
	flat_load_ushort v114, v[114:115]
	flat_load_ushort v115, v[116:117]
	s_waitcnt vmcnt(0) lgkmcnt(0)
	v_cmp_lt_u16_e64 s35, v114, v115
	v_cndmask_b32_e64 v114, v53, v54, s35
	v_cndmask_b32_e64 v54, v54, v53, s35
	v_mov_b32_e32 v53, v114
	s_or_b32 exec_lo, exec_lo, s38
	s_and_saveexec_b32 s38, s30
	s_cbranch_execnz .LBB872_1172
.LBB872_1651:
	s_or_b32 exec_lo, exec_lo, s38
	s_and_saveexec_b32 s38, s31
	s_cbranch_execz .LBB872_1173
.LBB872_1652:
	v_mov_b32_e32 v114, 1
	v_lshlrev_b32_sdwa v115, v114, v50 dst_sel:DWORD dst_unused:UNUSED_PAD src0_sel:DWORD src1_sel:WORD_0
	v_lshlrev_b32_sdwa v116, v114, v51 dst_sel:DWORD dst_unused:UNUSED_PAD src0_sel:DWORD src1_sel:WORD_0
	v_add_co_u32 v114, s35, v6, v115
	v_add_co_ci_u32_e64 v115, null, 0, v7, s35
	v_add_co_u32 v116, s35, v6, v116
	v_add_co_ci_u32_e64 v117, null, 0, v7, s35
	s_clause 0x1
	flat_load_ushort v114, v[114:115]
	flat_load_ushort v115, v[116:117]
	s_waitcnt vmcnt(0) lgkmcnt(0)
	v_cmp_lt_u16_e64 s35, v114, v115
	v_cndmask_b32_e64 v114, v51, v50, s35
	v_cndmask_b32_e64 v50, v50, v51, s35
	v_mov_b32_e32 v51, v114
	s_or_b32 exec_lo, exec_lo, s38
	s_and_saveexec_b32 s38, s34
	s_cbranch_execnz .LBB872_1174
.LBB872_1653:
	s_or_b32 exec_lo, exec_lo, s38
	s_and_saveexec_b32 s38, s8
	s_cbranch_execz .LBB872_1175
.LBB872_1654:
	v_mov_b32_e32 v114, 1
	v_lshlrev_b32_sdwa v115, v114, v102 dst_sel:DWORD dst_unused:UNUSED_PAD src0_sel:DWORD src1_sel:WORD_0
	v_lshlrev_b32_sdwa v116, v114, v99 dst_sel:DWORD dst_unused:UNUSED_PAD src0_sel:DWORD src1_sel:WORD_0
	v_add_co_u32 v114, s35, v6, v115
	v_add_co_ci_u32_e64 v115, null, 0, v7, s35
	v_add_co_u32 v116, s35, v6, v116
	v_add_co_ci_u32_e64 v117, null, 0, v7, s35
	s_clause 0x1
	flat_load_ushort v114, v[114:115]
	flat_load_ushort v115, v[116:117]
	s_waitcnt vmcnt(0) lgkmcnt(0)
	v_cmp_lt_u16_e64 s35, v114, v115
	v_cndmask_b32_e64 v114, v102, v99, s35
	v_cndmask_b32_e64 v99, v99, v102, s35
	v_mov_b32_e32 v102, v114
	s_or_b32 exec_lo, exec_lo, s38
	s_and_saveexec_b32 s38, s9
	s_cbranch_execnz .LBB872_1176
.LBB872_1655:
	s_or_b32 exec_lo, exec_lo, s38
	s_and_saveexec_b32 s38, s12
	s_cbranch_execz .LBB872_1177
.LBB872_1656:
	v_mov_b32_e32 v114, 1
	v_lshlrev_b32_sdwa v115, v114, v97 dst_sel:DWORD dst_unused:UNUSED_PAD src0_sel:DWORD src1_sel:WORD_0
	v_lshlrev_b32_sdwa v116, v114, v98 dst_sel:DWORD dst_unused:UNUSED_PAD src0_sel:DWORD src1_sel:WORD_0
	v_add_co_u32 v114, s35, v6, v115
	v_add_co_ci_u32_e64 v115, null, 0, v7, s35
	v_add_co_u32 v116, s35, v6, v116
	v_add_co_ci_u32_e64 v117, null, 0, v7, s35
	s_clause 0x1
	flat_load_ushort v114, v[114:115]
	flat_load_ushort v115, v[116:117]
	s_waitcnt vmcnt(0) lgkmcnt(0)
	v_cmp_lt_u16_e64 s35, v114, v115
	v_cndmask_b32_e64 v114, v97, v98, s35
	v_cndmask_b32_e64 v98, v98, v97, s35
	v_mov_b32_e32 v97, v114
	s_or_b32 exec_lo, exec_lo, s38
	s_and_saveexec_b32 s38, s13
	s_cbranch_execnz .LBB872_1178
.LBB872_1657:
	s_or_b32 exec_lo, exec_lo, s38
	s_and_saveexec_b32 s38, s57
	s_cbranch_execz .LBB872_1179
.LBB872_1658:
	v_mov_b32_e32 v114, 1
	v_lshlrev_b32_sdwa v115, v114, v85 dst_sel:DWORD dst_unused:UNUSED_PAD src0_sel:DWORD src1_sel:WORD_0
	v_lshlrev_b32_sdwa v116, v114, v86 dst_sel:DWORD dst_unused:UNUSED_PAD src0_sel:DWORD src1_sel:WORD_0
	v_add_co_u32 v114, s35, v6, v115
	v_add_co_ci_u32_e64 v115, null, 0, v7, s35
	v_add_co_u32 v116, s35, v6, v116
	v_add_co_ci_u32_e64 v117, null, 0, v7, s35
	s_clause 0x1
	flat_load_ushort v114, v[114:115]
	flat_load_ushort v115, v[116:117]
	s_waitcnt vmcnt(0) lgkmcnt(0)
	v_cmp_lt_u16_e64 s35, v114, v115
	v_cndmask_b32_e64 v114, v85, v86, s35
	v_cndmask_b32_e64 v86, v86, v85, s35
	v_mov_b32_e32 v85, v114
	s_or_b32 exec_lo, exec_lo, s38
	s_and_saveexec_b32 s38, s58
	s_cbranch_execnz .LBB872_1180
.LBB872_1659:
	s_or_b32 exec_lo, exec_lo, s38
	s_and_saveexec_b32 s38, s59
	s_cbranch_execz .LBB872_1181
.LBB872_1660:
	v_mov_b32_e32 v114, 1
	v_lshlrev_b32_sdwa v115, v114, v81 dst_sel:DWORD dst_unused:UNUSED_PAD src0_sel:DWORD src1_sel:WORD_0
	v_lshlrev_b32_sdwa v116, v114, v82 dst_sel:DWORD dst_unused:UNUSED_PAD src0_sel:DWORD src1_sel:WORD_0
	v_add_co_u32 v114, s35, v6, v115
	v_add_co_ci_u32_e64 v115, null, 0, v7, s35
	v_add_co_u32 v116, s35, v6, v116
	v_add_co_ci_u32_e64 v117, null, 0, v7, s35
	s_clause 0x1
	flat_load_ushort v114, v[114:115]
	flat_load_ushort v115, v[116:117]
	s_waitcnt vmcnt(0) lgkmcnt(0)
	v_cmp_lt_u16_e64 s35, v114, v115
	v_cndmask_b32_e64 v114, v81, v82, s35
	v_cndmask_b32_e64 v82, v82, v81, s35
	v_mov_b32_e32 v81, v114
	s_or_b32 exec_lo, exec_lo, s38
	s_and_saveexec_b32 s38, s60
	s_cbranch_execnz .LBB872_1182
.LBB872_1661:
	s_or_b32 exec_lo, exec_lo, s38
	s_and_saveexec_b32 s38, s61
	s_cbranch_execz .LBB872_1183
.LBB872_1662:
	v_mov_b32_e32 v114, 1
	v_lshlrev_b32_sdwa v115, v114, v69 dst_sel:DWORD dst_unused:UNUSED_PAD src0_sel:DWORD src1_sel:WORD_0
	v_lshlrev_b32_sdwa v116, v114, v70 dst_sel:DWORD dst_unused:UNUSED_PAD src0_sel:DWORD src1_sel:WORD_0
	v_add_co_u32 v114, s35, v6, v115
	v_add_co_ci_u32_e64 v115, null, 0, v7, s35
	v_add_co_u32 v116, s35, v6, v116
	v_add_co_ci_u32_e64 v117, null, 0, v7, s35
	s_clause 0x1
	flat_load_ushort v114, v[114:115]
	flat_load_ushort v115, v[116:117]
	s_waitcnt vmcnt(0) lgkmcnt(0)
	v_cmp_lt_u16_e64 s35, v114, v115
	v_cndmask_b32_e64 v114, v69, v70, s35
	v_cndmask_b32_e64 v70, v70, v69, s35
	v_mov_b32_e32 v69, v114
	s_or_b32 exec_lo, exec_lo, s38
	s_and_saveexec_b32 s38, s62
	s_cbranch_execnz .LBB872_1184
.LBB872_1663:
	s_or_b32 exec_lo, exec_lo, s38
	s_and_saveexec_b32 s38, s63
	s_cbranch_execz .LBB872_1185
.LBB872_1664:
	v_mov_b32_e32 v114, 1
	v_lshlrev_b32_sdwa v115, v114, v65 dst_sel:DWORD dst_unused:UNUSED_PAD src0_sel:DWORD src1_sel:WORD_0
	v_lshlrev_b32_sdwa v116, v114, v66 dst_sel:DWORD dst_unused:UNUSED_PAD src0_sel:DWORD src1_sel:WORD_0
	v_add_co_u32 v114, s35, v6, v115
	v_add_co_ci_u32_e64 v115, null, 0, v7, s35
	v_add_co_u32 v116, s35, v6, v116
	v_add_co_ci_u32_e64 v117, null, 0, v7, s35
	s_clause 0x1
	flat_load_ushort v114, v[114:115]
	flat_load_ushort v115, v[116:117]
	s_waitcnt vmcnt(0) lgkmcnt(0)
	v_cmp_lt_u16_e64 s35, v114, v115
	v_cndmask_b32_e64 v114, v65, v66, s35
	v_cndmask_b32_e64 v66, v66, v65, s35
	v_mov_b32_e32 v65, v114
	s_or_b32 exec_lo, exec_lo, s38
	s_and_saveexec_b32 s38, s72
	s_cbranch_execnz .LBB872_1186
.LBB872_1665:
	s_or_b32 exec_lo, exec_lo, s38
	s_and_saveexec_b32 s38, s73
	s_cbranch_execz .LBB872_1187
.LBB872_1666:
	v_mov_b32_e32 v114, 1
	v_lshlrev_b32_sdwa v115, v114, v64 dst_sel:DWORD dst_unused:UNUSED_PAD src0_sel:DWORD src1_sel:WORD_0
	v_lshlrev_b32_sdwa v116, v114, v53 dst_sel:DWORD dst_unused:UNUSED_PAD src0_sel:DWORD src1_sel:WORD_0
	v_add_co_u32 v114, s35, v6, v115
	v_add_co_ci_u32_e64 v115, null, 0, v7, s35
	v_add_co_u32 v116, s35, v6, v116
	v_add_co_ci_u32_e64 v117, null, 0, v7, s35
	s_clause 0x1
	flat_load_ushort v114, v[114:115]
	flat_load_ushort v115, v[116:117]
	s_waitcnt vmcnt(0) lgkmcnt(0)
	v_cmp_lt_u16_e64 s35, v114, v115
	v_cndmask_b32_e64 v114, v64, v53, s35
	v_cndmask_b32_e64 v53, v53, v64, s35
	v_mov_b32_e32 v64, v114
	s_or_b32 exec_lo, exec_lo, s38
	s_and_saveexec_b32 s38, s74
	s_cbranch_execnz .LBB872_1188
.LBB872_1667:
	s_or_b32 exec_lo, exec_lo, s38
	s_and_saveexec_b32 s38, s75
	s_cbranch_execz .LBB872_1189
.LBB872_1668:
	v_mov_b32_e32 v114, 1
	v_lshlrev_b32_sdwa v115, v114, v49 dst_sel:DWORD dst_unused:UNUSED_PAD src0_sel:DWORD src1_sel:WORD_0
	v_lshlrev_b32_sdwa v116, v114, v50 dst_sel:DWORD dst_unused:UNUSED_PAD src0_sel:DWORD src1_sel:WORD_0
	v_add_co_u32 v114, s35, v6, v115
	v_add_co_ci_u32_e64 v115, null, 0, v7, s35
	v_add_co_u32 v116, s35, v6, v116
	v_add_co_ci_u32_e64 v117, null, 0, v7, s35
	s_clause 0x1
	flat_load_ushort v114, v[114:115]
	flat_load_ushort v115, v[116:117]
	s_waitcnt vmcnt(0) lgkmcnt(0)
	v_cmp_lt_u16_e64 s35, v114, v115
	v_cndmask_b32_e64 v114, v50, v49, s35
	v_cndmask_b32_e64 v49, v49, v50, s35
	v_mov_b32_e32 v50, v114
	s_or_b32 exec_lo, exec_lo, s38
	s_and_saveexec_b32 s38, s76
	s_cbranch_execnz .LBB872_1190
.LBB872_1669:
	s_or_b32 exec_lo, exec_lo, s38
	s_and_saveexec_b32 s38, s77
	s_cbranch_execz .LBB872_1191
.LBB872_1670:
	v_mov_b32_e32 v114, 1
	v_lshlrev_b32_sdwa v115, v114, v101 dst_sel:DWORD dst_unused:UNUSED_PAD src0_sel:DWORD src1_sel:WORD_0
	v_lshlrev_b32_sdwa v116, v114, v102 dst_sel:DWORD dst_unused:UNUSED_PAD src0_sel:DWORD src1_sel:WORD_0
	v_add_co_u32 v114, s35, v6, v115
	v_add_co_ci_u32_e64 v115, null, 0, v7, s35
	v_add_co_u32 v116, s35, v6, v116
	v_add_co_ci_u32_e64 v117, null, 0, v7, s35
	s_clause 0x1
	flat_load_ushort v114, v[114:115]
	flat_load_ushort v115, v[116:117]
	s_waitcnt vmcnt(0) lgkmcnt(0)
	v_cmp_lt_u16_e64 s35, v114, v115
	v_cndmask_b32_e64 v114, v101, v102, s35
	v_cndmask_b32_e64 v102, v102, v101, s35
	v_mov_b32_e32 v101, v114
	s_or_b32 exec_lo, exec_lo, s38
	s_and_saveexec_b32 s38, s78
	s_cbranch_execnz .LBB872_1192
.LBB872_1671:
	s_or_b32 exec_lo, exec_lo, s38
	s_and_saveexec_b32 s38, s79
	s_cbranch_execz .LBB872_1193
.LBB872_1672:
	v_mov_b32_e32 v114, 1
	v_lshlrev_b32_sdwa v115, v114, v96 dst_sel:DWORD dst_unused:UNUSED_PAD src0_sel:DWORD src1_sel:WORD_0
	v_lshlrev_b32_sdwa v116, v114, v97 dst_sel:DWORD dst_unused:UNUSED_PAD src0_sel:DWORD src1_sel:WORD_0
	v_add_co_u32 v114, s35, v6, v115
	v_add_co_ci_u32_e64 v115, null, 0, v7, s35
	v_add_co_u32 v116, s35, v6, v116
	v_add_co_ci_u32_e64 v117, null, 0, v7, s35
	s_clause 0x1
	flat_load_ushort v114, v[114:115]
	flat_load_ushort v115, v[116:117]
	s_waitcnt vmcnt(0) lgkmcnt(0)
	v_cmp_lt_u16_e64 s35, v114, v115
	v_cndmask_b32_e64 v114, v96, v97, s35
	v_cndmask_b32_e64 v97, v97, v96, s35
	v_mov_b32_e32 v96, v114
	s_or_b32 exec_lo, exec_lo, s38
	s_and_saveexec_b32 s38, s88
	s_cbranch_execnz .LBB872_1194
.LBB872_1673:
	s_or_b32 exec_lo, exec_lo, s38
	s_and_saveexec_b32 s38, s89
	s_cbranch_execz .LBB872_1195
.LBB872_1674:
	v_mov_b32_e32 v114, 1
	v_lshlrev_b32_sdwa v115, v114, v84 dst_sel:DWORD dst_unused:UNUSED_PAD src0_sel:DWORD src1_sel:WORD_0
	v_lshlrev_b32_sdwa v116, v114, v85 dst_sel:DWORD dst_unused:UNUSED_PAD src0_sel:DWORD src1_sel:WORD_0
	v_add_co_u32 v114, s35, v6, v115
	v_add_co_ci_u32_e64 v115, null, 0, v7, s35
	v_add_co_u32 v116, s35, v6, v116
	v_add_co_ci_u32_e64 v117, null, 0, v7, s35
	s_clause 0x1
	flat_load_ushort v114, v[114:115]
	flat_load_ushort v115, v[116:117]
	s_waitcnt vmcnt(0) lgkmcnt(0)
	v_cmp_lt_u16_e64 s35, v114, v115
	v_cndmask_b32_e64 v114, v84, v85, s35
	v_cndmask_b32_e64 v85, v85, v84, s35
	v_mov_b32_e32 v84, v114
	s_or_b32 exec_lo, exec_lo, s38
	s_and_saveexec_b32 s38, s90
	s_cbranch_execnz .LBB872_1196
.LBB872_1675:
	s_or_b32 exec_lo, exec_lo, s38
	s_and_saveexec_b32 s38, s91
	s_cbranch_execz .LBB872_1197
.LBB872_1676:
	v_mov_b32_e32 v114, 1
	v_lshlrev_b32_sdwa v115, v114, v80 dst_sel:DWORD dst_unused:UNUSED_PAD src0_sel:DWORD src1_sel:WORD_0
	v_lshlrev_b32_sdwa v116, v114, v81 dst_sel:DWORD dst_unused:UNUSED_PAD src0_sel:DWORD src1_sel:WORD_0
	v_add_co_u32 v114, s35, v6, v115
	v_add_co_ci_u32_e64 v115, null, 0, v7, s35
	v_add_co_u32 v116, s35, v6, v116
	v_add_co_ci_u32_e64 v117, null, 0, v7, s35
	s_clause 0x1
	flat_load_ushort v114, v[114:115]
	flat_load_ushort v115, v[116:117]
	s_waitcnt vmcnt(0) lgkmcnt(0)
	v_cmp_lt_u16_e64 s35, v114, v115
	v_cndmask_b32_e64 v114, v80, v81, s35
	v_cndmask_b32_e64 v81, v81, v80, s35
	v_mov_b32_e32 v80, v114
	s_or_b32 exec_lo, exec_lo, s38
	s_and_saveexec_b32 s38, s92
	s_cbranch_execnz .LBB872_1198
.LBB872_1677:
	s_or_b32 exec_lo, exec_lo, s38
	s_and_saveexec_b32 s38, s93
	s_cbranch_execz .LBB872_1199
.LBB872_1678:
	v_mov_b32_e32 v114, 1
	v_lshlrev_b32_sdwa v115, v114, v68 dst_sel:DWORD dst_unused:UNUSED_PAD src0_sel:DWORD src1_sel:WORD_0
	v_lshlrev_b32_sdwa v116, v114, v69 dst_sel:DWORD dst_unused:UNUSED_PAD src0_sel:DWORD src1_sel:WORD_0
	v_add_co_u32 v114, s35, v6, v115
	v_add_co_ci_u32_e64 v115, null, 0, v7, s35
	v_add_co_u32 v116, s35, v6, v116
	v_add_co_ci_u32_e64 v117, null, 0, v7, s35
	s_clause 0x1
	flat_load_ushort v114, v[114:115]
	flat_load_ushort v115, v[116:117]
	s_waitcnt vmcnt(0) lgkmcnt(0)
	v_cmp_lt_u16_e64 s35, v114, v115
	v_cndmask_b32_e64 v114, v68, v69, s35
	v_cndmask_b32_e64 v69, v69, v68, s35
	v_mov_b32_e32 v68, v114
	s_or_b32 exec_lo, exec_lo, s38
	s_and_saveexec_b32 s38, s94
	s_cbranch_execnz .LBB872_1200
.LBB872_1679:
	s_or_b32 exec_lo, exec_lo, s38
	s_and_saveexec_b32 s38, s95
	s_cbranch_execz .LBB872_1201
.LBB872_1680:
	v_mov_b32_e32 v114, 1
	v_lshlrev_b32_sdwa v115, v114, v55 dst_sel:DWORD dst_unused:UNUSED_PAD src0_sel:DWORD src1_sel:WORD_0
	v_lshlrev_b32_sdwa v116, v114, v65 dst_sel:DWORD dst_unused:UNUSED_PAD src0_sel:DWORD src1_sel:WORD_0
	v_add_co_u32 v114, s35, v6, v115
	v_add_co_ci_u32_e64 v115, null, 0, v7, s35
	v_add_co_u32 v116, s35, v6, v116
	v_add_co_ci_u32_e64 v117, null, 0, v7, s35
	s_clause 0x1
	flat_load_ushort v114, v[114:115]
	flat_load_ushort v115, v[116:117]
	s_waitcnt vmcnt(0) lgkmcnt(0)
	v_cmp_lt_u16_e64 s35, v114, v115
	v_cndmask_b32_e64 v114, v55, v65, s35
	v_cndmask_b32_e64 v65, v65, v55, s35
	v_mov_b32_e32 v55, v114
	s_or_b32 exec_lo, exec_lo, s38
	s_and_saveexec_b32 s38, vcc_hi
	s_cbranch_execnz .LBB872_1202
.LBB872_1681:
	s_or_b32 exec_lo, exec_lo, s38
	s_and_saveexec_b32 s38, s30
	s_cbranch_execz .LBB872_1203
.LBB872_1682:
	v_mov_b32_e32 v114, 1
	v_lshlrev_b32_sdwa v115, v114, v52 dst_sel:DWORD dst_unused:UNUSED_PAD src0_sel:DWORD src1_sel:WORD_0
	v_lshlrev_b32_sdwa v116, v114, v64 dst_sel:DWORD dst_unused:UNUSED_PAD src0_sel:DWORD src1_sel:WORD_0
	v_add_co_u32 v114, s35, v6, v115
	v_add_co_ci_u32_e64 v115, null, 0, v7, s35
	v_add_co_u32 v116, s35, v6, v116
	v_add_co_ci_u32_e64 v117, null, 0, v7, s35
	s_clause 0x1
	flat_load_ushort v114, v[114:115]
	flat_load_ushort v115, v[116:117]
	s_waitcnt vmcnt(0) lgkmcnt(0)
	v_cmp_lt_u16_e64 s35, v114, v115
	v_cndmask_b32_e64 v114, v64, v52, s35
	v_cndmask_b32_e64 v52, v52, v64, s35
	v_mov_b32_e32 v64, v114
	s_or_b32 exec_lo, exec_lo, s38
	s_and_saveexec_b32 s38, s31
	s_cbranch_execnz .LBB872_1204
.LBB872_1683:
	s_or_b32 exec_lo, exec_lo, s38
	s_and_saveexec_b32 s38, s34
	s_cbranch_execz .LBB872_1205
.LBB872_1684:
	v_mov_b32_e32 v114, 1
	v_lshlrev_b32_sdwa v115, v114, v103 dst_sel:DWORD dst_unused:UNUSED_PAD src0_sel:DWORD src1_sel:WORD_0
	v_lshlrev_b32_sdwa v116, v114, v49 dst_sel:DWORD dst_unused:UNUSED_PAD src0_sel:DWORD src1_sel:WORD_0
	v_add_co_u32 v114, s35, v6, v115
	v_add_co_ci_u32_e64 v115, null, 0, v7, s35
	v_add_co_u32 v116, s35, v6, v116
	v_add_co_ci_u32_e64 v117, null, 0, v7, s35
	s_clause 0x1
	flat_load_ushort v114, v[114:115]
	flat_load_ushort v115, v[116:117]
	s_waitcnt vmcnt(0) lgkmcnt(0)
	v_cmp_lt_u16_e64 s35, v114, v115
	v_cndmask_b32_e64 v114, v49, v103, s35
	v_cndmask_b32_e64 v103, v103, v49, s35
	v_mov_b32_e32 v49, v114
	s_or_b32 exec_lo, exec_lo, s38
	s_and_saveexec_b32 s38, s8
	s_cbranch_execnz .LBB872_1206
.LBB872_1685:
	s_or_b32 exec_lo, exec_lo, s38
	s_and_saveexec_b32 s38, s9
	s_cbranch_execz .LBB872_1207
.LBB872_1686:
	v_mov_b32_e32 v114, 1
	v_lshlrev_b32_sdwa v115, v114, v100 dst_sel:DWORD dst_unused:UNUSED_PAD src0_sel:DWORD src1_sel:WORD_0
	v_lshlrev_b32_sdwa v116, v114, v101 dst_sel:DWORD dst_unused:UNUSED_PAD src0_sel:DWORD src1_sel:WORD_0
	v_add_co_u32 v114, s35, v6, v115
	v_add_co_ci_u32_e64 v115, null, 0, v7, s35
	v_add_co_u32 v116, s35, v6, v116
	v_add_co_ci_u32_e64 v117, null, 0, v7, s35
	s_clause 0x1
	flat_load_ushort v114, v[114:115]
	flat_load_ushort v115, v[116:117]
	s_waitcnt vmcnt(0) lgkmcnt(0)
	v_cmp_lt_u16_e64 s35, v114, v115
	v_cndmask_b32_e64 v114, v100, v101, s35
	v_cndmask_b32_e64 v101, v101, v100, s35
	v_mov_b32_e32 v100, v114
	s_or_b32 exec_lo, exec_lo, s38
	s_and_saveexec_b32 s38, s12
	s_cbranch_execnz .LBB872_1208
.LBB872_1687:
	s_or_b32 exec_lo, exec_lo, s38
	s_and_saveexec_b32 s38, s13
	s_cbranch_execz .LBB872_1209
.LBB872_1688:
	v_mov_b32_e32 v114, 1
	v_lshlrev_b32_sdwa v115, v114, v87 dst_sel:DWORD dst_unused:UNUSED_PAD src0_sel:DWORD src1_sel:WORD_0
	v_lshlrev_b32_sdwa v116, v114, v96 dst_sel:DWORD dst_unused:UNUSED_PAD src0_sel:DWORD src1_sel:WORD_0
	v_add_co_u32 v114, s35, v6, v115
	v_add_co_ci_u32_e64 v115, null, 0, v7, s35
	v_add_co_u32 v116, s35, v6, v116
	v_add_co_ci_u32_e64 v117, null, 0, v7, s35
	s_clause 0x1
	flat_load_ushort v114, v[114:115]
	flat_load_ushort v115, v[116:117]
	s_waitcnt vmcnt(0) lgkmcnt(0)
	v_cmp_lt_u16_e64 s35, v114, v115
	v_cndmask_b32_e64 v114, v87, v96, s35
	v_cndmask_b32_e64 v96, v96, v87, s35
	v_mov_b32_e32 v87, v114
	s_or_b32 exec_lo, exec_lo, s38
	s_and_saveexec_b32 s38, s57
	s_cbranch_execnz .LBB872_1210
.LBB872_1689:
	s_or_b32 exec_lo, exec_lo, s38
	s_and_saveexec_b32 s38, s58
	s_cbranch_execz .LBB872_1211
.LBB872_1690:
	v_mov_b32_e32 v114, 1
	v_lshlrev_b32_sdwa v115, v114, v83 dst_sel:DWORD dst_unused:UNUSED_PAD src0_sel:DWORD src1_sel:WORD_0
	v_lshlrev_b32_sdwa v116, v114, v84 dst_sel:DWORD dst_unused:UNUSED_PAD src0_sel:DWORD src1_sel:WORD_0
	v_add_co_u32 v114, s35, v6, v115
	v_add_co_ci_u32_e64 v115, null, 0, v7, s35
	v_add_co_u32 v116, s35, v6, v116
	v_add_co_ci_u32_e64 v117, null, 0, v7, s35
	s_clause 0x1
	flat_load_ushort v114, v[114:115]
	flat_load_ushort v115, v[116:117]
	s_waitcnt vmcnt(0) lgkmcnt(0)
	v_cmp_lt_u16_e64 s35, v114, v115
	v_cndmask_b32_e64 v114, v83, v84, s35
	v_cndmask_b32_e64 v84, v84, v83, s35
	v_mov_b32_e32 v83, v114
	s_or_b32 exec_lo, exec_lo, s38
	s_and_saveexec_b32 s38, s59
	s_cbranch_execnz .LBB872_1212
.LBB872_1691:
	s_or_b32 exec_lo, exec_lo, s38
	s_and_saveexec_b32 s38, s60
	s_cbranch_execz .LBB872_1213
.LBB872_1692:
	v_mov_b32_e32 v114, 1
	v_lshlrev_b32_sdwa v115, v114, v71 dst_sel:DWORD dst_unused:UNUSED_PAD src0_sel:DWORD src1_sel:WORD_0
	v_lshlrev_b32_sdwa v116, v114, v80 dst_sel:DWORD dst_unused:UNUSED_PAD src0_sel:DWORD src1_sel:WORD_0
	v_add_co_u32 v114, s35, v6, v115
	v_add_co_ci_u32_e64 v115, null, 0, v7, s35
	v_add_co_u32 v116, s35, v6, v116
	v_add_co_ci_u32_e64 v117, null, 0, v7, s35
	s_clause 0x1
	flat_load_ushort v114, v[114:115]
	flat_load_ushort v115, v[116:117]
	s_waitcnt vmcnt(0) lgkmcnt(0)
	v_cmp_lt_u16_e64 s35, v114, v115
	v_cndmask_b32_e64 v114, v71, v80, s35
	v_cndmask_b32_e64 v80, v80, v71, s35
	v_mov_b32_e32 v71, v114
	s_or_b32 exec_lo, exec_lo, s38
	s_and_saveexec_b32 s38, s61
	s_cbranch_execnz .LBB872_1214
.LBB872_1693:
	s_or_b32 exec_lo, exec_lo, s38
	s_and_saveexec_b32 s38, s62
	s_cbranch_execz .LBB872_1215
.LBB872_1694:
	v_mov_b32_e32 v114, 1
	v_lshlrev_b32_sdwa v115, v114, v67 dst_sel:DWORD dst_unused:UNUSED_PAD src0_sel:DWORD src1_sel:WORD_0
	v_lshlrev_b32_sdwa v116, v114, v68 dst_sel:DWORD dst_unused:UNUSED_PAD src0_sel:DWORD src1_sel:WORD_0
	v_add_co_u32 v114, s35, v6, v115
	v_add_co_ci_u32_e64 v115, null, 0, v7, s35
	v_add_co_u32 v116, s35, v6, v116
	v_add_co_ci_u32_e64 v117, null, 0, v7, s35
	s_clause 0x1
	flat_load_ushort v114, v[114:115]
	flat_load_ushort v115, v[116:117]
	s_waitcnt vmcnt(0) lgkmcnt(0)
	v_cmp_lt_u16_e64 s35, v114, v115
	v_cndmask_b32_e64 v114, v67, v68, s35
	v_cndmask_b32_e64 v68, v68, v67, s35
	v_mov_b32_e32 v67, v114
	s_or_b32 exec_lo, exec_lo, s38
	s_and_saveexec_b32 s38, s63
	s_cbranch_execnz .LBB872_1216
.LBB872_1695:
	s_or_b32 exec_lo, exec_lo, s38
	s_and_saveexec_b32 s38, s72
	s_cbranch_execz .LBB872_1217
.LBB872_1696:
	v_mov_b32_e32 v114, 1
	v_lshlrev_b32_sdwa v115, v114, v54 dst_sel:DWORD dst_unused:UNUSED_PAD src0_sel:DWORD src1_sel:WORD_0
	v_lshlrev_b32_sdwa v116, v114, v55 dst_sel:DWORD dst_unused:UNUSED_PAD src0_sel:DWORD src1_sel:WORD_0
	v_add_co_u32 v114, s35, v6, v115
	v_add_co_ci_u32_e64 v115, null, 0, v7, s35
	v_add_co_u32 v116, s35, v6, v116
	v_add_co_ci_u32_e64 v117, null, 0, v7, s35
	s_clause 0x1
	flat_load_ushort v114, v[114:115]
	flat_load_ushort v115, v[116:117]
	s_waitcnt vmcnt(0) lgkmcnt(0)
	v_cmp_lt_u16_e64 s35, v114, v115
	v_cndmask_b32_e64 v114, v54, v55, s35
	v_cndmask_b32_e64 v55, v55, v54, s35
	v_mov_b32_e32 v54, v114
	s_or_b32 exec_lo, exec_lo, s38
	s_and_saveexec_b32 s38, s73
	s_cbranch_execnz .LBB872_1218
.LBB872_1697:
	s_or_b32 exec_lo, exec_lo, s38
	s_and_saveexec_b32 s38, s74
	s_cbranch_execz .LBB872_1219
.LBB872_1698:
	v_mov_b32_e32 v114, 1
	v_lshlrev_b32_sdwa v115, v114, v51 dst_sel:DWORD dst_unused:UNUSED_PAD src0_sel:DWORD src1_sel:WORD_0
	v_lshlrev_b32_sdwa v116, v114, v52 dst_sel:DWORD dst_unused:UNUSED_PAD src0_sel:DWORD src1_sel:WORD_0
	v_add_co_u32 v114, s35, v6, v115
	v_add_co_ci_u32_e64 v115, null, 0, v7, s35
	v_add_co_u32 v116, s35, v6, v116
	v_add_co_ci_u32_e64 v117, null, 0, v7, s35
	s_clause 0x1
	flat_load_ushort v114, v[114:115]
	flat_load_ushort v115, v[116:117]
	s_waitcnt vmcnt(0) lgkmcnt(0)
	v_cmp_lt_u16_e64 s35, v114, v115
	v_cndmask_b32_e64 v114, v52, v51, s35
	v_cndmask_b32_e64 v51, v51, v52, s35
	v_mov_b32_e32 v52, v114
	s_or_b32 exec_lo, exec_lo, s38
	s_and_saveexec_b32 s38, s75
	s_cbranch_execnz .LBB872_1220
.LBB872_1699:
	s_or_b32 exec_lo, exec_lo, s38
	s_and_saveexec_b32 s38, s76
	s_cbranch_execz .LBB872_1221
.LBB872_1700:
	v_mov_b32_e32 v114, 1
	v_lshlrev_b32_sdwa v115, v114, v48 dst_sel:DWORD dst_unused:UNUSED_PAD src0_sel:DWORD src1_sel:WORD_0
	v_lshlrev_b32_sdwa v116, v114, v103 dst_sel:DWORD dst_unused:UNUSED_PAD src0_sel:DWORD src1_sel:WORD_0
	v_add_co_u32 v114, s35, v6, v115
	v_add_co_ci_u32_e64 v115, null, 0, v7, s35
	v_add_co_u32 v116, s35, v6, v116
	v_add_co_ci_u32_e64 v117, null, 0, v7, s35
	s_clause 0x1
	flat_load_ushort v114, v[114:115]
	flat_load_ushort v115, v[116:117]
	s_waitcnt vmcnt(0) lgkmcnt(0)
	v_cmp_lt_u16_e64 s35, v114, v115
	v_cndmask_b32_e64 v114, v103, v48, s35
	v_cndmask_b32_e64 v48, v48, v103, s35
	v_mov_b32_e32 v103, v114
	s_or_b32 exec_lo, exec_lo, s38
	s_and_saveexec_b32 s38, s77
	s_cbranch_execnz .LBB872_1222
.LBB872_1701:
	s_or_b32 exec_lo, exec_lo, s38
	s_and_saveexec_b32 s38, s78
	s_cbranch_execz .LBB872_1223
.LBB872_1702:
	v_mov_b32_e32 v114, 1
	v_lshlrev_b32_sdwa v115, v114, v98 dst_sel:DWORD dst_unused:UNUSED_PAD src0_sel:DWORD src1_sel:WORD_0
	v_lshlrev_b32_sdwa v116, v114, v100 dst_sel:DWORD dst_unused:UNUSED_PAD src0_sel:DWORD src1_sel:WORD_0
	v_add_co_u32 v114, s35, v6, v115
	v_add_co_ci_u32_e64 v115, null, 0, v7, s35
	v_add_co_u32 v116, s35, v6, v116
	v_add_co_ci_u32_e64 v117, null, 0, v7, s35
	s_clause 0x1
	flat_load_ushort v114, v[114:115]
	flat_load_ushort v115, v[116:117]
	s_waitcnt vmcnt(0) lgkmcnt(0)
	v_cmp_lt_u16_e64 s35, v114, v115
	v_cndmask_b32_e64 v114, v98, v100, s35
	v_cndmask_b32_e64 v100, v100, v98, s35
	v_mov_b32_e32 v98, v114
	s_or_b32 exec_lo, exec_lo, s38
	s_and_saveexec_b32 s38, s79
	s_cbranch_execnz .LBB872_1224
.LBB872_1703:
	s_or_b32 exec_lo, exec_lo, s38
	s_and_saveexec_b32 s38, s88
	s_cbranch_execz .LBB872_1225
.LBB872_1704:
	v_mov_b32_e32 v114, 1
	v_lshlrev_b32_sdwa v115, v114, v86 dst_sel:DWORD dst_unused:UNUSED_PAD src0_sel:DWORD src1_sel:WORD_0
	v_lshlrev_b32_sdwa v116, v114, v87 dst_sel:DWORD dst_unused:UNUSED_PAD src0_sel:DWORD src1_sel:WORD_0
	v_add_co_u32 v114, s35, v6, v115
	v_add_co_ci_u32_e64 v115, null, 0, v7, s35
	v_add_co_u32 v116, s35, v6, v116
	v_add_co_ci_u32_e64 v117, null, 0, v7, s35
	s_clause 0x1
	flat_load_ushort v114, v[114:115]
	flat_load_ushort v115, v[116:117]
	s_waitcnt vmcnt(0) lgkmcnt(0)
	v_cmp_lt_u16_e64 s35, v114, v115
	v_cndmask_b32_e64 v114, v86, v87, s35
	v_cndmask_b32_e64 v87, v87, v86, s35
	v_mov_b32_e32 v86, v114
	s_or_b32 exec_lo, exec_lo, s38
	s_and_saveexec_b32 s38, s89
	s_cbranch_execnz .LBB872_1226
.LBB872_1705:
	s_or_b32 exec_lo, exec_lo, s38
	s_and_saveexec_b32 s38, s90
	s_cbranch_execz .LBB872_1227
.LBB872_1706:
	v_mov_b32_e32 v114, 1
	v_lshlrev_b32_sdwa v115, v114, v82 dst_sel:DWORD dst_unused:UNUSED_PAD src0_sel:DWORD src1_sel:WORD_0
	v_lshlrev_b32_sdwa v116, v114, v83 dst_sel:DWORD dst_unused:UNUSED_PAD src0_sel:DWORD src1_sel:WORD_0
	v_add_co_u32 v114, s35, v6, v115
	v_add_co_ci_u32_e64 v115, null, 0, v7, s35
	v_add_co_u32 v116, s35, v6, v116
	v_add_co_ci_u32_e64 v117, null, 0, v7, s35
	s_clause 0x1
	flat_load_ushort v114, v[114:115]
	flat_load_ushort v115, v[116:117]
	s_waitcnt vmcnt(0) lgkmcnt(0)
	v_cmp_lt_u16_e64 s35, v114, v115
	v_cndmask_b32_e64 v114, v82, v83, s35
	v_cndmask_b32_e64 v83, v83, v82, s35
	v_mov_b32_e32 v82, v114
	s_or_b32 exec_lo, exec_lo, s38
	s_and_saveexec_b32 s38, s91
	s_cbranch_execnz .LBB872_1228
.LBB872_1707:
	s_or_b32 exec_lo, exec_lo, s38
	s_and_saveexec_b32 s38, s92
	s_cbranch_execz .LBB872_1229
.LBB872_1708:
	v_mov_b32_e32 v114, 1
	v_lshlrev_b32_sdwa v115, v114, v70 dst_sel:DWORD dst_unused:UNUSED_PAD src0_sel:DWORD src1_sel:WORD_0
	v_lshlrev_b32_sdwa v116, v114, v71 dst_sel:DWORD dst_unused:UNUSED_PAD src0_sel:DWORD src1_sel:WORD_0
	v_add_co_u32 v114, s35, v6, v115
	v_add_co_ci_u32_e64 v115, null, 0, v7, s35
	v_add_co_u32 v116, s35, v6, v116
	v_add_co_ci_u32_e64 v117, null, 0, v7, s35
	s_clause 0x1
	flat_load_ushort v114, v[114:115]
	flat_load_ushort v115, v[116:117]
	s_waitcnt vmcnt(0) lgkmcnt(0)
	v_cmp_lt_u16_e64 s35, v114, v115
	v_cndmask_b32_e64 v114, v70, v71, s35
	v_cndmask_b32_e64 v71, v71, v70, s35
	v_mov_b32_e32 v70, v114
	s_or_b32 exec_lo, exec_lo, s38
	s_and_saveexec_b32 s38, s93
	s_cbranch_execnz .LBB872_1230
.LBB872_1709:
	s_or_b32 exec_lo, exec_lo, s38
	s_and_saveexec_b32 s38, s94
	s_cbranch_execz .LBB872_1231
.LBB872_1710:
	v_mov_b32_e32 v114, 1
	v_lshlrev_b32_sdwa v115, v114, v66 dst_sel:DWORD dst_unused:UNUSED_PAD src0_sel:DWORD src1_sel:WORD_0
	v_lshlrev_b32_sdwa v116, v114, v67 dst_sel:DWORD dst_unused:UNUSED_PAD src0_sel:DWORD src1_sel:WORD_0
	v_add_co_u32 v114, s35, v6, v115
	v_add_co_ci_u32_e64 v115, null, 0, v7, s35
	v_add_co_u32 v116, s35, v6, v116
	v_add_co_ci_u32_e64 v117, null, 0, v7, s35
	s_clause 0x1
	flat_load_ushort v114, v[114:115]
	flat_load_ushort v115, v[116:117]
	s_waitcnt vmcnt(0) lgkmcnt(0)
	v_cmp_lt_u16_e64 s35, v114, v115
	v_cndmask_b32_e64 v114, v66, v67, s35
	v_cndmask_b32_e64 v67, v67, v66, s35
	v_mov_b32_e32 v66, v114
	s_or_b32 exec_lo, exec_lo, s38
	s_and_saveexec_b32 s38, s95
	s_cbranch_execnz .LBB872_1232
.LBB872_1711:
	s_or_b32 exec_lo, exec_lo, s38
	s_and_saveexec_b32 s38, vcc_hi
	s_cbranch_execz .LBB872_1233
.LBB872_1712:
	v_mov_b32_e32 v114, 1
	v_lshlrev_b32_sdwa v115, v114, v53 dst_sel:DWORD dst_unused:UNUSED_PAD src0_sel:DWORD src1_sel:WORD_0
	v_lshlrev_b32_sdwa v116, v114, v54 dst_sel:DWORD dst_unused:UNUSED_PAD src0_sel:DWORD src1_sel:WORD_0
	v_add_co_u32 v114, s35, v6, v115
	v_add_co_ci_u32_e64 v115, null, 0, v7, s35
	v_add_co_u32 v116, s35, v6, v116
	v_add_co_ci_u32_e64 v117, null, 0, v7, s35
	s_clause 0x1
	flat_load_ushort v114, v[114:115]
	flat_load_ushort v115, v[116:117]
	s_waitcnt vmcnt(0) lgkmcnt(0)
	v_cmp_lt_u16_e64 s35, v114, v115
	v_cndmask_b32_e64 v114, v53, v54, s35
	v_cndmask_b32_e64 v54, v54, v53, s35
	v_mov_b32_e32 v53, v114
	s_or_b32 exec_lo, exec_lo, s38
	s_and_saveexec_b32 s38, s30
	s_cbranch_execnz .LBB872_1234
.LBB872_1713:
	s_or_b32 exec_lo, exec_lo, s38
	s_and_saveexec_b32 s38, s31
	s_cbranch_execz .LBB872_1235
.LBB872_1714:
	v_mov_b32_e32 v114, 1
	v_lshlrev_b32_sdwa v115, v114, v50 dst_sel:DWORD dst_unused:UNUSED_PAD src0_sel:DWORD src1_sel:WORD_0
	v_lshlrev_b32_sdwa v116, v114, v51 dst_sel:DWORD dst_unused:UNUSED_PAD src0_sel:DWORD src1_sel:WORD_0
	v_add_co_u32 v114, s35, v6, v115
	v_add_co_ci_u32_e64 v115, null, 0, v7, s35
	v_add_co_u32 v116, s35, v6, v116
	v_add_co_ci_u32_e64 v117, null, 0, v7, s35
	s_clause 0x1
	flat_load_ushort v114, v[114:115]
	flat_load_ushort v115, v[116:117]
	s_waitcnt vmcnt(0) lgkmcnt(0)
	v_cmp_lt_u16_e64 s35, v114, v115
	v_cndmask_b32_e64 v114, v51, v50, s35
	v_cndmask_b32_e64 v50, v50, v51, s35
	v_mov_b32_e32 v51, v114
	s_or_b32 exec_lo, exec_lo, s38
	s_and_saveexec_b32 s38, s34
	s_cbranch_execnz .LBB872_1236
.LBB872_1715:
	s_or_b32 exec_lo, exec_lo, s38
	s_and_saveexec_b32 s35, s8
	s_cbranch_execz .LBB872_1237
.LBB872_1716:
	v_mov_b32_e32 v114, 1
	v_lshlrev_b32_sdwa v115, v114, v102 dst_sel:DWORD dst_unused:UNUSED_PAD src0_sel:DWORD src1_sel:WORD_0
	v_lshlrev_b32_sdwa v116, v114, v99 dst_sel:DWORD dst_unused:UNUSED_PAD src0_sel:DWORD src1_sel:WORD_0
	v_add_co_u32 v114, s8, v6, v115
	v_add_co_ci_u32_e64 v115, null, 0, v7, s8
	v_add_co_u32 v116, s8, v6, v116
	v_add_co_ci_u32_e64 v117, null, 0, v7, s8
	s_clause 0x1
	flat_load_ushort v114, v[114:115]
	flat_load_ushort v115, v[116:117]
	s_waitcnt vmcnt(0) lgkmcnt(0)
	v_cmp_lt_u16_e64 s8, v114, v115
	v_cndmask_b32_e64 v114, v102, v99, s8
	v_cndmask_b32_e64 v99, v99, v102, s8
	v_mov_b32_e32 v102, v114
	s_or_b32 exec_lo, exec_lo, s35
	s_and_saveexec_b32 s35, s9
	s_cbranch_execnz .LBB872_1238
.LBB872_1717:
	s_or_b32 exec_lo, exec_lo, s35
	s_and_saveexec_b32 s9, s12
	s_cbranch_execz .LBB872_1239
.LBB872_1718:
	v_mov_b32_e32 v114, 1
	v_lshlrev_b32_sdwa v115, v114, v97 dst_sel:DWORD dst_unused:UNUSED_PAD src0_sel:DWORD src1_sel:WORD_0
	v_lshlrev_b32_sdwa v116, v114, v98 dst_sel:DWORD dst_unused:UNUSED_PAD src0_sel:DWORD src1_sel:WORD_0
	v_add_co_u32 v114, s8, v6, v115
	v_add_co_ci_u32_e64 v115, null, 0, v7, s8
	v_add_co_u32 v116, s8, v6, v116
	v_add_co_ci_u32_e64 v117, null, 0, v7, s8
	s_clause 0x1
	flat_load_ushort v114, v[114:115]
	flat_load_ushort v115, v[116:117]
	s_waitcnt vmcnt(0) lgkmcnt(0)
	v_cmp_lt_u16_e64 s8, v114, v115
	v_cndmask_b32_e64 v114, v97, v98, s8
	v_cndmask_b32_e64 v98, v98, v97, s8
	v_mov_b32_e32 v97, v114
	s_or_b32 exec_lo, exec_lo, s9
	s_and_saveexec_b32 s9, s13
	s_cbranch_execnz .LBB872_1240
.LBB872_1719:
	s_or_b32 exec_lo, exec_lo, s9
	s_and_saveexec_b32 s9, s57
	s_cbranch_execz .LBB872_1241
.LBB872_1720:
	v_mov_b32_e32 v114, 1
	v_lshlrev_b32_sdwa v115, v114, v85 dst_sel:DWORD dst_unused:UNUSED_PAD src0_sel:DWORD src1_sel:WORD_0
	v_lshlrev_b32_sdwa v116, v114, v86 dst_sel:DWORD dst_unused:UNUSED_PAD src0_sel:DWORD src1_sel:WORD_0
	v_add_co_u32 v114, s8, v6, v115
	v_add_co_ci_u32_e64 v115, null, 0, v7, s8
	v_add_co_u32 v116, s8, v6, v116
	v_add_co_ci_u32_e64 v117, null, 0, v7, s8
	s_clause 0x1
	flat_load_ushort v114, v[114:115]
	flat_load_ushort v115, v[116:117]
	s_waitcnt vmcnt(0) lgkmcnt(0)
	v_cmp_lt_u16_e64 s8, v114, v115
	v_cndmask_b32_e64 v114, v85, v86, s8
	v_cndmask_b32_e64 v86, v86, v85, s8
	v_mov_b32_e32 v85, v114
	s_or_b32 exec_lo, exec_lo, s9
	s_and_saveexec_b32 s9, s58
	s_cbranch_execnz .LBB872_1242
.LBB872_1721:
	s_or_b32 exec_lo, exec_lo, s9
	s_and_saveexec_b32 s9, s59
	s_cbranch_execz .LBB872_1243
.LBB872_1722:
	v_mov_b32_e32 v114, 1
	v_lshlrev_b32_sdwa v115, v114, v81 dst_sel:DWORD dst_unused:UNUSED_PAD src0_sel:DWORD src1_sel:WORD_0
	v_lshlrev_b32_sdwa v116, v114, v82 dst_sel:DWORD dst_unused:UNUSED_PAD src0_sel:DWORD src1_sel:WORD_0
	v_add_co_u32 v114, s8, v6, v115
	v_add_co_ci_u32_e64 v115, null, 0, v7, s8
	v_add_co_u32 v116, s8, v6, v116
	v_add_co_ci_u32_e64 v117, null, 0, v7, s8
	s_clause 0x1
	flat_load_ushort v114, v[114:115]
	flat_load_ushort v115, v[116:117]
	s_waitcnt vmcnt(0) lgkmcnt(0)
	v_cmp_lt_u16_e64 s8, v114, v115
	v_cndmask_b32_e64 v114, v81, v82, s8
	v_cndmask_b32_e64 v82, v82, v81, s8
	v_mov_b32_e32 v81, v114
	s_or_b32 exec_lo, exec_lo, s9
	s_and_saveexec_b32 s9, s60
	s_cbranch_execnz .LBB872_1244
.LBB872_1723:
	s_or_b32 exec_lo, exec_lo, s9
	s_and_saveexec_b32 s9, s61
	s_cbranch_execz .LBB872_1245
.LBB872_1724:
	v_mov_b32_e32 v114, 1
	v_lshlrev_b32_sdwa v115, v114, v69 dst_sel:DWORD dst_unused:UNUSED_PAD src0_sel:DWORD src1_sel:WORD_0
	v_lshlrev_b32_sdwa v116, v114, v70 dst_sel:DWORD dst_unused:UNUSED_PAD src0_sel:DWORD src1_sel:WORD_0
	v_add_co_u32 v114, s8, v6, v115
	v_add_co_ci_u32_e64 v115, null, 0, v7, s8
	v_add_co_u32 v116, s8, v6, v116
	v_add_co_ci_u32_e64 v117, null, 0, v7, s8
	s_clause 0x1
	flat_load_ushort v114, v[114:115]
	flat_load_ushort v115, v[116:117]
	s_waitcnt vmcnt(0) lgkmcnt(0)
	v_cmp_lt_u16_e64 s8, v114, v115
	v_cndmask_b32_e64 v114, v69, v70, s8
	v_cndmask_b32_e64 v70, v70, v69, s8
	v_mov_b32_e32 v69, v114
	s_or_b32 exec_lo, exec_lo, s9
	s_and_saveexec_b32 s9, s62
	s_cbranch_execnz .LBB872_1246
.LBB872_1725:
	s_or_b32 exec_lo, exec_lo, s9
	s_and_saveexec_b32 s9, s63
	s_cbranch_execz .LBB872_1247
.LBB872_1726:
	v_mov_b32_e32 v114, 1
	v_lshlrev_b32_sdwa v115, v114, v65 dst_sel:DWORD dst_unused:UNUSED_PAD src0_sel:DWORD src1_sel:WORD_0
	v_lshlrev_b32_sdwa v116, v114, v66 dst_sel:DWORD dst_unused:UNUSED_PAD src0_sel:DWORD src1_sel:WORD_0
	v_add_co_u32 v114, s8, v6, v115
	v_add_co_ci_u32_e64 v115, null, 0, v7, s8
	v_add_co_u32 v116, s8, v6, v116
	v_add_co_ci_u32_e64 v117, null, 0, v7, s8
	s_clause 0x1
	flat_load_ushort v114, v[114:115]
	flat_load_ushort v115, v[116:117]
	s_waitcnt vmcnt(0) lgkmcnt(0)
	v_cmp_lt_u16_e64 s8, v114, v115
	v_cndmask_b32_e64 v114, v65, v66, s8
	v_cndmask_b32_e64 v66, v66, v65, s8
	v_mov_b32_e32 v65, v114
	s_or_b32 exec_lo, exec_lo, s9
	s_and_saveexec_b32 s9, s72
	s_cbranch_execnz .LBB872_1248
.LBB872_1727:
	s_or_b32 exec_lo, exec_lo, s9
	s_and_saveexec_b32 s9, s73
	s_cbranch_execz .LBB872_1249
.LBB872_1728:
	v_mov_b32_e32 v114, 1
	v_lshlrev_b32_sdwa v115, v114, v64 dst_sel:DWORD dst_unused:UNUSED_PAD src0_sel:DWORD src1_sel:WORD_0
	v_lshlrev_b32_sdwa v116, v114, v53 dst_sel:DWORD dst_unused:UNUSED_PAD src0_sel:DWORD src1_sel:WORD_0
	v_add_co_u32 v114, s8, v6, v115
	v_add_co_ci_u32_e64 v115, null, 0, v7, s8
	v_add_co_u32 v116, s8, v6, v116
	v_add_co_ci_u32_e64 v117, null, 0, v7, s8
	s_clause 0x1
	flat_load_ushort v114, v[114:115]
	flat_load_ushort v115, v[116:117]
	s_waitcnt vmcnt(0) lgkmcnt(0)
	v_cmp_lt_u16_e64 s8, v114, v115
	v_cndmask_b32_e64 v114, v64, v53, s8
	v_cndmask_b32_e64 v53, v53, v64, s8
	v_mov_b32_e32 v64, v114
	s_or_b32 exec_lo, exec_lo, s9
	s_and_saveexec_b32 s9, s74
	s_cbranch_execnz .LBB872_1250
.LBB872_1729:
	s_or_b32 exec_lo, exec_lo, s9
	s_and_saveexec_b32 s9, s75
	s_cbranch_execz .LBB872_1251
.LBB872_1730:
	v_mov_b32_e32 v114, 1
	v_lshlrev_b32_sdwa v115, v114, v49 dst_sel:DWORD dst_unused:UNUSED_PAD src0_sel:DWORD src1_sel:WORD_0
	v_lshlrev_b32_sdwa v116, v114, v50 dst_sel:DWORD dst_unused:UNUSED_PAD src0_sel:DWORD src1_sel:WORD_0
	v_add_co_u32 v114, s8, v6, v115
	v_add_co_ci_u32_e64 v115, null, 0, v7, s8
	v_add_co_u32 v116, s8, v6, v116
	v_add_co_ci_u32_e64 v117, null, 0, v7, s8
	s_clause 0x1
	flat_load_ushort v114, v[114:115]
	flat_load_ushort v115, v[116:117]
	s_waitcnt vmcnt(0) lgkmcnt(0)
	v_cmp_lt_u16_e64 s8, v114, v115
	v_cndmask_b32_e64 v114, v50, v49, s8
	v_cndmask_b32_e64 v49, v49, v50, s8
	v_mov_b32_e32 v50, v114
	s_or_b32 exec_lo, exec_lo, s9
	s_and_saveexec_b32 s9, s76
	s_cbranch_execnz .LBB872_1252
.LBB872_1731:
	s_or_b32 exec_lo, exec_lo, s9
	s_and_saveexec_b32 s9, s77
	s_cbranch_execz .LBB872_1253
.LBB872_1732:
	v_mov_b32_e32 v114, 1
	v_lshlrev_b32_sdwa v115, v114, v101 dst_sel:DWORD dst_unused:UNUSED_PAD src0_sel:DWORD src1_sel:WORD_0
	v_lshlrev_b32_sdwa v116, v114, v102 dst_sel:DWORD dst_unused:UNUSED_PAD src0_sel:DWORD src1_sel:WORD_0
	v_add_co_u32 v114, s8, v6, v115
	v_add_co_ci_u32_e64 v115, null, 0, v7, s8
	v_add_co_u32 v116, s8, v6, v116
	v_add_co_ci_u32_e64 v117, null, 0, v7, s8
	s_clause 0x1
	flat_load_ushort v114, v[114:115]
	flat_load_ushort v115, v[116:117]
	s_waitcnt vmcnt(0) lgkmcnt(0)
	v_cmp_lt_u16_e64 s8, v114, v115
	v_cndmask_b32_e64 v114, v101, v102, s8
	v_cndmask_b32_e64 v102, v102, v101, s8
	v_mov_b32_e32 v101, v114
	s_or_b32 exec_lo, exec_lo, s9
	s_and_saveexec_b32 s9, s78
	s_cbranch_execnz .LBB872_1254
.LBB872_1733:
	s_or_b32 exec_lo, exec_lo, s9
	s_and_saveexec_b32 s9, s79
	s_cbranch_execz .LBB872_1255
.LBB872_1734:
	v_mov_b32_e32 v114, 1
	v_lshlrev_b32_sdwa v115, v114, v96 dst_sel:DWORD dst_unused:UNUSED_PAD src0_sel:DWORD src1_sel:WORD_0
	v_lshlrev_b32_sdwa v116, v114, v97 dst_sel:DWORD dst_unused:UNUSED_PAD src0_sel:DWORD src1_sel:WORD_0
	v_add_co_u32 v114, s8, v6, v115
	v_add_co_ci_u32_e64 v115, null, 0, v7, s8
	v_add_co_u32 v116, s8, v6, v116
	v_add_co_ci_u32_e64 v117, null, 0, v7, s8
	s_clause 0x1
	flat_load_ushort v114, v[114:115]
	flat_load_ushort v115, v[116:117]
	s_waitcnt vmcnt(0) lgkmcnt(0)
	v_cmp_lt_u16_e64 s8, v114, v115
	v_cndmask_b32_e64 v114, v96, v97, s8
	v_cndmask_b32_e64 v97, v97, v96, s8
	v_mov_b32_e32 v96, v114
	s_or_b32 exec_lo, exec_lo, s9
	s_and_saveexec_b32 s9, s88
	s_cbranch_execnz .LBB872_1256
.LBB872_1735:
	s_or_b32 exec_lo, exec_lo, s9
	s_and_saveexec_b32 s9, s89
	s_cbranch_execz .LBB872_1257
.LBB872_1736:
	v_mov_b32_e32 v114, 1
	v_lshlrev_b32_sdwa v115, v114, v84 dst_sel:DWORD dst_unused:UNUSED_PAD src0_sel:DWORD src1_sel:WORD_0
	v_lshlrev_b32_sdwa v116, v114, v85 dst_sel:DWORD dst_unused:UNUSED_PAD src0_sel:DWORD src1_sel:WORD_0
	v_add_co_u32 v114, s8, v6, v115
	v_add_co_ci_u32_e64 v115, null, 0, v7, s8
	v_add_co_u32 v116, s8, v6, v116
	v_add_co_ci_u32_e64 v117, null, 0, v7, s8
	s_clause 0x1
	flat_load_ushort v114, v[114:115]
	flat_load_ushort v115, v[116:117]
	s_waitcnt vmcnt(0) lgkmcnt(0)
	v_cmp_lt_u16_e64 s8, v114, v115
	v_cndmask_b32_e64 v114, v84, v85, s8
	v_cndmask_b32_e64 v85, v85, v84, s8
	v_mov_b32_e32 v84, v114
	s_or_b32 exec_lo, exec_lo, s9
	s_and_saveexec_b32 s9, s90
	s_cbranch_execnz .LBB872_1258
.LBB872_1737:
	s_or_b32 exec_lo, exec_lo, s9
	s_and_saveexec_b32 s9, s91
	s_cbranch_execz .LBB872_1259
.LBB872_1738:
	v_mov_b32_e32 v114, 1
	v_lshlrev_b32_sdwa v115, v114, v80 dst_sel:DWORD dst_unused:UNUSED_PAD src0_sel:DWORD src1_sel:WORD_0
	v_lshlrev_b32_sdwa v116, v114, v81 dst_sel:DWORD dst_unused:UNUSED_PAD src0_sel:DWORD src1_sel:WORD_0
	v_add_co_u32 v114, s8, v6, v115
	v_add_co_ci_u32_e64 v115, null, 0, v7, s8
	v_add_co_u32 v116, s8, v6, v116
	v_add_co_ci_u32_e64 v117, null, 0, v7, s8
	s_clause 0x1
	flat_load_ushort v114, v[114:115]
	flat_load_ushort v115, v[116:117]
	s_waitcnt vmcnt(0) lgkmcnt(0)
	v_cmp_lt_u16_e64 s8, v114, v115
	v_cndmask_b32_e64 v114, v80, v81, s8
	v_cndmask_b32_e64 v81, v81, v80, s8
	v_mov_b32_e32 v80, v114
	s_or_b32 exec_lo, exec_lo, s9
	s_and_saveexec_b32 s9, s92
	s_cbranch_execnz .LBB872_1260
.LBB872_1739:
	s_or_b32 exec_lo, exec_lo, s9
	s_and_saveexec_b32 s9, s93
	s_cbranch_execz .LBB872_1261
.LBB872_1740:
	v_mov_b32_e32 v114, 1
	v_lshlrev_b32_sdwa v115, v114, v68 dst_sel:DWORD dst_unused:UNUSED_PAD src0_sel:DWORD src1_sel:WORD_0
	v_lshlrev_b32_sdwa v116, v114, v69 dst_sel:DWORD dst_unused:UNUSED_PAD src0_sel:DWORD src1_sel:WORD_0
	v_add_co_u32 v114, s8, v6, v115
	v_add_co_ci_u32_e64 v115, null, 0, v7, s8
	v_add_co_u32 v116, s8, v6, v116
	v_add_co_ci_u32_e64 v117, null, 0, v7, s8
	s_clause 0x1
	flat_load_ushort v114, v[114:115]
	flat_load_ushort v115, v[116:117]
	s_waitcnt vmcnt(0) lgkmcnt(0)
	v_cmp_lt_u16_e64 s8, v114, v115
	v_cndmask_b32_e64 v114, v68, v69, s8
	v_cndmask_b32_e64 v69, v69, v68, s8
	v_mov_b32_e32 v68, v114
	s_or_b32 exec_lo, exec_lo, s9
	s_and_saveexec_b32 s9, s94
	s_cbranch_execnz .LBB872_1262
.LBB872_1741:
	s_or_b32 exec_lo, exec_lo, s9
	s_and_saveexec_b32 s9, s95
	s_cbranch_execz .LBB872_1263
.LBB872_1742:
	v_mov_b32_e32 v114, 1
	v_lshlrev_b32_sdwa v115, v114, v55 dst_sel:DWORD dst_unused:UNUSED_PAD src0_sel:DWORD src1_sel:WORD_0
	v_lshlrev_b32_sdwa v116, v114, v65 dst_sel:DWORD dst_unused:UNUSED_PAD src0_sel:DWORD src1_sel:WORD_0
	v_add_co_u32 v114, s8, v6, v115
	v_add_co_ci_u32_e64 v115, null, 0, v7, s8
	v_add_co_u32 v116, s8, v6, v116
	v_add_co_ci_u32_e64 v117, null, 0, v7, s8
	s_clause 0x1
	flat_load_ushort v114, v[114:115]
	flat_load_ushort v115, v[116:117]
	s_waitcnt vmcnt(0) lgkmcnt(0)
	v_cmp_lt_u16_e64 s8, v114, v115
	v_cndmask_b32_e64 v114, v55, v65, s8
	v_cndmask_b32_e64 v65, v65, v55, s8
	v_mov_b32_e32 v55, v114
	s_or_b32 exec_lo, exec_lo, s9
	s_and_saveexec_b32 s9, vcc_hi
	s_cbranch_execnz .LBB872_1264
.LBB872_1743:
	s_or_b32 exec_lo, exec_lo, s9
	s_and_saveexec_b32 s9, s30
	s_cbranch_execz .LBB872_1265
.LBB872_1744:
	v_mov_b32_e32 v114, 1
	v_lshlrev_b32_sdwa v115, v114, v52 dst_sel:DWORD dst_unused:UNUSED_PAD src0_sel:DWORD src1_sel:WORD_0
	v_lshlrev_b32_sdwa v116, v114, v64 dst_sel:DWORD dst_unused:UNUSED_PAD src0_sel:DWORD src1_sel:WORD_0
	v_add_co_u32 v114, s8, v6, v115
	v_add_co_ci_u32_e64 v115, null, 0, v7, s8
	v_add_co_u32 v116, s8, v6, v116
	v_add_co_ci_u32_e64 v117, null, 0, v7, s8
	s_clause 0x1
	flat_load_ushort v114, v[114:115]
	flat_load_ushort v115, v[116:117]
	s_waitcnt vmcnt(0) lgkmcnt(0)
	v_cmp_lt_u16_e64 s8, v114, v115
	v_cndmask_b32_e64 v114, v64, v52, s8
	v_cndmask_b32_e64 v52, v52, v64, s8
	v_mov_b32_e32 v64, v114
	s_or_b32 exec_lo, exec_lo, s9
	s_and_saveexec_b32 s9, s31
	s_cbranch_execnz .LBB872_1266
.LBB872_1745:
	s_or_b32 exec_lo, exec_lo, s9
	s_and_saveexec_b32 s9, s34
	s_cbranch_execz .LBB872_1747
.LBB872_1746:
	v_mov_b32_e32 v114, 1
	v_lshlrev_b32_sdwa v115, v114, v103 dst_sel:DWORD dst_unused:UNUSED_PAD src0_sel:DWORD src1_sel:WORD_0
	v_lshlrev_b32_sdwa v116, v114, v49 dst_sel:DWORD dst_unused:UNUSED_PAD src0_sel:DWORD src1_sel:WORD_0
	v_add_co_u32 v114, s8, v6, v115
	v_add_co_ci_u32_e64 v115, null, 0, v7, s8
	v_add_co_u32 v116, s8, v6, v116
	v_add_co_ci_u32_e64 v117, null, 0, v7, s8
	s_clause 0x1
	flat_load_ushort v114, v[114:115]
	flat_load_ushort v115, v[116:117]
	s_waitcnt vmcnt(0) lgkmcnt(0)
	v_cmp_lt_u16_e64 s8, v114, v115
	v_cndmask_b32_e64 v114, v49, v103, s8
	v_cndmask_b32_e64 v103, v103, v49, s8
	v_mov_b32_e32 v49, v114
.LBB872_1747:
	s_or_b32 exec_lo, exec_lo, s9
	v_and_b32_e32 v113, 0xfffffc00, v113
	v_mov_b32_e32 v114, 0
	s_mov_b32 s9, 0
	s_mov_b32 s12, exec_lo
	v_sub_nc_u32_e64 v179, v0, v113 clamp
	v_lshlrev_b64 v[114:115], 1, v[113:114]
	v_mbcnt_lo_u32_b32 v115, -1, 0
	v_lshlrev_b32_e32 v180, 5, v115
	v_add_co_u32 v178, null, 0, v114
	v_or_b32_e32 v113, 32, v180
	v_and_b32_e32 v114, 32, v180
	v_and_b32_e32 v245, 0x3c0, v180
	v_lshl_add_u32 v181, v115, 6, v178
	ds_write_b16 v181, v99
	ds_write_b16 v181, v102 offset:2
	ds_write_b16 v181, v101 offset:4
	;; [unrolled: 1-line block ×13, first 2 shown]
	v_min_u32_e32 v243, v179, v113
	v_min_u32_e32 v246, v179, v114
	ds_write_b16 v181, v80 offset:28
	ds_write_b16 v181, v71 offset:30
	;; [unrolled: 1-line block ×9, first 2 shown]
	v_add_nc_u32_e32 v113, 32, v243
	v_sub_nc_u32_e32 v114, v243, v245
	ds_write_b16 v181, v54 offset:46
	ds_write_b16 v181, v53 offset:48
	;; [unrolled: 1-line block ×9, first 2 shown]
	v_min_u32_e32 v244, v179, v113
	; wave barrier
	v_sub_nc_u32_e32 v113, v244, v243
	v_sub_nc_u32_e64 v247, v246, v113 clamp
	v_min_u32_e32 v113, v246, v114
	v_cmpx_lt_u32_e64 v247, v113
	s_cbranch_execz .LBB872_1751
; %bb.1748:
	v_lshlrev_b32_e32 v114, 1, v245
	v_lshlrev_b32_e32 v115, 1, v243
	v_add_co_u32 v114, null, v178, v114
	v_add_co_u32 v115, null, v178, v115
	s_inst_prefetch 0x1
	.p2align	6
.LBB872_1749:                           ; =>This Inner Loop Header: Depth=1
	v_add_nc_u32_e32 v116, v113, v247
	v_lshrrev_b32_e32 v128, 1, v116
	v_and_b32_e32 v116, -2, v116
	v_xad_u32 v117, v128, -1, v246
	v_add_nc_u32_e32 v116, v114, v116
	v_lshl_add_u32 v117, v117, 1, v115
	ds_read_u16 v116, v116
	ds_read_u16 v117, v117
	s_waitcnt lgkmcnt(1)
	v_lshlrev_b32_e32 v116, 1, v116
	s_waitcnt lgkmcnt(0)
	v_lshlrev_b32_e32 v118, 1, v117
	v_add_co_u32 v116, s8, v6, v116
	v_add_co_ci_u32_e64 v117, null, 0, v7, s8
	v_add_co_u32 v118, s8, v6, v118
	v_add_co_ci_u32_e64 v119, null, 0, v7, s8
	s_clause 0x1
	flat_load_ushort v118, v[118:119]
	flat_load_ushort v116, v[116:117]
	v_add_nc_u32_e32 v117, 1, v128
	s_waitcnt vmcnt(0) lgkmcnt(0)
	v_cmp_lt_u16_e64 s8, v118, v116
	v_cndmask_b32_e64 v113, v113, v128, s8
	v_cndmask_b32_e64 v247, v117, v247, s8
	v_cmp_ge_u32_e64 s8, v247, v113
	s_or_b32 s9, s8, s9
	s_andn2_b32 exec_lo, exec_lo, s9
	s_cbranch_execnz .LBB872_1749
; %bb.1750:
	s_inst_prefetch 0x2
	s_or_b32 exec_lo, exec_lo, s9
.LBB872_1751:
	s_or_b32 exec_lo, exec_lo, s12
	v_add_nc_u32_e32 v246, v243, v246
	v_add_nc_u32_e32 v245, v247, v245
	;; [unrolled: 1-line block ×5, first 2 shown]
	v_sub_nc_u32_e32 v246, v246, v247
	v_cmp_le_u32_e64 s8, v245, v243
	v_or_b32_e32 v115, 2, v39
	v_add_nc_u32_e32 v116, 4, v39
	v_add_nc_u32_e32 v117, 6, v39
	v_cmp_le_u32_e64 s9, v246, v244
	v_add_nc_u32_e32 v118, 8, v39
	v_add_nc_u32_e32 v119, 10, v39
	;; [unrolled: 1-line block ×59, first 2 shown]
	s_or_b32 s8, s8, s9
	s_and_saveexec_b32 s12, s8
	s_cbranch_execz .LBB872_1883
; %bb.1752:
	v_cmp_ge_u32_e64 s8, v245, v243
	s_mov_b32 s13, exec_lo
                                        ; implicit-def: $vgpr99
	v_cmpx_lt_u32_e64 v245, v243
; %bb.1753:
	v_lshl_add_u32 v48, v245, 1, v178
	ds_read_u16 v99, v48
; %bb.1754:
	s_or_b32 exec_lo, exec_lo, s13
	v_cmp_ge_u32_e64 s13, v246, v244
	s_mov_b32 s57, exec_lo
                                        ; implicit-def: $vgpr103
	v_cmpx_lt_u32_e64 v246, v244
; %bb.1755:
	v_lshl_add_u32 v48, v246, 1, v178
	ds_read_u16 v103, v48
; %bb.1756:
	s_or_b32 exec_lo, exec_lo, s57
	s_nor_b32 s8, s8, s13
	s_and_saveexec_b32 s9, s8
	s_cbranch_execz .LBB872_1758
; %bb.1757:
	v_mov_b32_e32 v48, 1
	s_andn2_b32 s13, s13, exec_lo
	s_waitcnt lgkmcnt(0)
	v_lshlrev_b32_sdwa v49, v48, v103 dst_sel:DWORD dst_unused:UNUSED_PAD src0_sel:DWORD src1_sel:WORD_0
	v_lshlrev_b32_sdwa v50, v48, v99 dst_sel:DWORD dst_unused:UNUSED_PAD src0_sel:DWORD src1_sel:WORD_0
	v_add_co_u32 v48, s8, v6, v49
	v_add_co_ci_u32_e64 v49, null, 0, v7, s8
	v_add_co_u32 v50, s8, v6, v50
	v_add_co_ci_u32_e64 v51, null, 0, v7, s8
	s_clause 0x1
	flat_load_ushort v48, v[48:49]
	flat_load_ushort v49, v[50:51]
	s_waitcnt vmcnt(0) lgkmcnt(0)
	v_cmp_ge_u16_e64 s8, v48, v49
	s_and_b32 s8, s8, exec_lo
	s_or_b32 s13, s13, s8
.LBB872_1758:
	s_or_b32 exec_lo, exec_lo, s9
	v_cndmask_b32_e64 v48, v246, v245, s13
	v_cndmask_b32_e64 v49, v244, v243, s13
	s_mov_b32 s57, -1
	s_mov_b32 s9, -1
	s_mov_b32 s58, exec_lo
	v_add_nc_u32_e32 v50, 1, v48
	v_add_nc_u32_e32 v48, -1, v49
	v_cndmask_b32_e64 v49, v245, v50, s13
	v_min_u32_e32 v48, v50, v48
	v_lshl_add_u32 v48, v48, 1, v178
	ds_read_u16 v51, v48
	v_cndmask_b32_e64 v48, v50, v246, s13
	s_waitcnt lgkmcnt(0)
	v_cndmask_b32_e64 v102, v51, v103, s13
	v_cndmask_b32_e64 v245, v99, v51, s13
	v_cmpx_lt_u32_e64 v48, v244
	s_cbranch_execz .LBB872_1762
; %bb.1759:
	s_mov_b32 s59, 0
	s_mov_b32 s9, exec_lo
	v_cmpx_lt_u32_e64 v49, v243
	s_cbranch_execz .LBB872_1761
; %bb.1760:
	v_mov_b32_e32 v50, 1
	v_lshlrev_b32_sdwa v51, v50, v102 dst_sel:DWORD dst_unused:UNUSED_PAD src0_sel:DWORD src1_sel:WORD_0
	v_lshlrev_b32_sdwa v52, v50, v245 dst_sel:DWORD dst_unused:UNUSED_PAD src0_sel:DWORD src1_sel:WORD_0
	v_add_co_u32 v50, s8, v6, v51
	v_add_co_ci_u32_e64 v51, null, 0, v7, s8
	v_add_co_u32 v52, s8, v6, v52
	v_add_co_ci_u32_e64 v53, null, 0, v7, s8
	s_clause 0x1
	flat_load_ushort v50, v[50:51]
	flat_load_ushort v51, v[52:53]
	s_waitcnt vmcnt(0) lgkmcnt(0)
	v_cmp_ge_u16_e64 s8, v50, v51
	s_and_b32 s59, s8, exec_lo
.LBB872_1761:
	s_or_b32 exec_lo, exec_lo, s9
	s_orn2_b32 s9, s59, exec_lo
.LBB872_1762:
	s_or_b32 exec_lo, exec_lo, s58
	v_cndmask_b32_e64 v50, v48, v49, s9
	v_cndmask_b32_e64 v51, v244, v243, s9
	s_mov_b32 s58, exec_lo
	v_add_nc_u32_e32 v50, 1, v50
	v_add_nc_u32_e32 v51, -1, v51
	v_cndmask_b32_e64 v48, v50, v48, s9
	v_min_u32_e32 v51, v50, v51
	v_cndmask_b32_e64 v49, v49, v50, s9
	v_lshl_add_u32 v51, v51, 1, v178
	ds_read_u16 v51, v51
	s_waitcnt lgkmcnt(0)
	v_cndmask_b32_e64 v101, v51, v102, s9
	v_cndmask_b32_e64 v246, v245, v51, s9
	v_cmpx_lt_u32_e64 v48, v244
	s_cbranch_execz .LBB872_1766
; %bb.1763:
	s_mov_b32 s59, 0
	s_mov_b32 s57, exec_lo
	v_cmpx_lt_u32_e64 v49, v243
	s_cbranch_execz .LBB872_1765
; %bb.1764:
	v_mov_b32_e32 v50, 1
	v_lshlrev_b32_sdwa v51, v50, v101 dst_sel:DWORD dst_unused:UNUSED_PAD src0_sel:DWORD src1_sel:WORD_0
	v_lshlrev_b32_sdwa v52, v50, v246 dst_sel:DWORD dst_unused:UNUSED_PAD src0_sel:DWORD src1_sel:WORD_0
	v_add_co_u32 v50, s8, v6, v51
	v_add_co_ci_u32_e64 v51, null, 0, v7, s8
	v_add_co_u32 v52, s8, v6, v52
	v_add_co_ci_u32_e64 v53, null, 0, v7, s8
	s_clause 0x1
	flat_load_ushort v50, v[50:51]
	flat_load_ushort v51, v[52:53]
	s_waitcnt vmcnt(0) lgkmcnt(0)
	v_cmp_ge_u16_e64 s8, v50, v51
	s_and_b32 s59, s8, exec_lo
.LBB872_1765:
	s_or_b32 exec_lo, exec_lo, s57
	s_orn2_b32 s57, s59, exec_lo
.LBB872_1766:
	s_or_b32 exec_lo, exec_lo, s58
	v_cndmask_b32_e64 v50, v48, v49, s57
	v_cndmask_b32_e64 v51, v244, v243, s57
	s_mov_b32 s59, -1
	s_mov_b32 s58, -1
	s_mov_b32 s60, exec_lo
	v_add_nc_u32_e32 v50, 1, v50
	v_add_nc_u32_e32 v51, -1, v51
	v_cndmask_b32_e64 v48, v50, v48, s57
	v_min_u32_e32 v51, v50, v51
	v_cndmask_b32_e64 v49, v49, v50, s57
	v_lshl_add_u32 v51, v51, 1, v178
	ds_read_u16 v51, v51
	s_waitcnt lgkmcnt(0)
	v_cndmask_b32_e64 v100, v51, v101, s57
	v_cndmask_b32_e64 v247, v246, v51, s57
	v_cmpx_lt_u32_e64 v48, v244
	s_cbranch_execz .LBB872_1770
; %bb.1767:
	s_mov_b32 s61, 0
	s_mov_b32 s58, exec_lo
	v_cmpx_lt_u32_e64 v49, v243
	s_cbranch_execz .LBB872_1769
; %bb.1768:
	v_mov_b32_e32 v50, 1
	v_lshlrev_b32_sdwa v51, v50, v100 dst_sel:DWORD dst_unused:UNUSED_PAD src0_sel:DWORD src1_sel:WORD_0
	v_lshlrev_b32_sdwa v52, v50, v247 dst_sel:DWORD dst_unused:UNUSED_PAD src0_sel:DWORD src1_sel:WORD_0
	v_add_co_u32 v50, s8, v6, v51
	v_add_co_ci_u32_e64 v51, null, 0, v7, s8
	v_add_co_u32 v52, s8, v6, v52
	v_add_co_ci_u32_e64 v53, null, 0, v7, s8
	s_clause 0x1
	flat_load_ushort v50, v[50:51]
	flat_load_ushort v51, v[52:53]
	s_waitcnt vmcnt(0) lgkmcnt(0)
	v_cmp_ge_u16_e64 s8, v50, v51
	s_and_b32 s61, s8, exec_lo
.LBB872_1769:
	s_or_b32 exec_lo, exec_lo, s58
	s_orn2_b32 s58, s61, exec_lo
.LBB872_1770:
	s_or_b32 exec_lo, exec_lo, s60
	v_cndmask_b32_e64 v50, v48, v49, s58
	v_cndmask_b32_e64 v51, v244, v243, s58
	s_mov_b32 s60, exec_lo
	v_add_nc_u32_e32 v50, 1, v50
	v_add_nc_u32_e32 v51, -1, v51
	v_cndmask_b32_e64 v48, v50, v48, s58
	v_min_u32_e32 v51, v50, v51
	v_cndmask_b32_e64 v49, v49, v50, s58
	v_lshl_add_u32 v51, v51, 1, v178
	ds_read_u16 v51, v51
	s_waitcnt lgkmcnt(0)
	v_cndmask_b32_e64 v98, v51, v100, s58
	v_cndmask_b32_e64 v40, v247, v51, s58
	v_cmpx_lt_u32_e64 v48, v244
	s_cbranch_execz .LBB872_1774
; %bb.1771:
	s_mov_b32 s61, 0
	s_mov_b32 s59, exec_lo
	v_cmpx_lt_u32_e64 v49, v243
	s_cbranch_execz .LBB872_1773
; %bb.1772:
	v_mov_b32_e32 v50, 1
	v_lshlrev_b32_sdwa v51, v50, v98 dst_sel:DWORD dst_unused:UNUSED_PAD src0_sel:DWORD src1_sel:WORD_0
	v_lshlrev_b32_sdwa v52, v50, v40 dst_sel:DWORD dst_unused:UNUSED_PAD src0_sel:DWORD src1_sel:WORD_0
	v_add_co_u32 v50, s8, v6, v51
	v_add_co_ci_u32_e64 v51, null, 0, v7, s8
	v_add_co_u32 v52, s8, v6, v52
	v_add_co_ci_u32_e64 v53, null, 0, v7, s8
	s_clause 0x1
	flat_load_ushort v50, v[50:51]
	flat_load_ushort v51, v[52:53]
	s_waitcnt vmcnt(0) lgkmcnt(0)
	v_cmp_ge_u16_e64 s8, v50, v51
	s_and_b32 s61, s8, exec_lo
.LBB872_1773:
	s_or_b32 exec_lo, exec_lo, s59
	s_orn2_b32 s59, s61, exec_lo
.LBB872_1774:
	s_or_b32 exec_lo, exec_lo, s60
	v_cndmask_b32_e64 v50, v48, v49, s59
	v_cndmask_b32_e64 v51, v244, v243, s59
	s_mov_b32 s61, -1
	s_mov_b32 s60, -1
	s_mov_b32 s62, exec_lo
	v_add_nc_u32_e32 v50, 1, v50
	v_add_nc_u32_e32 v51, -1, v51
	v_cndmask_b32_e64 v48, v50, v48, s59
	v_min_u32_e32 v51, v50, v51
	v_cndmask_b32_e64 v49, v49, v50, s59
	v_lshl_add_u32 v51, v51, 1, v178
	ds_read_u16 v51, v51
	s_waitcnt lgkmcnt(0)
	v_cndmask_b32_e64 v97, v51, v98, s59
	v_cndmask_b32_e64 v41, v40, v51, s59
	v_cmpx_lt_u32_e64 v48, v244
	s_cbranch_execz .LBB872_1778
; %bb.1775:
	s_mov_b32 s63, 0
	s_mov_b32 s60, exec_lo
	v_cmpx_lt_u32_e64 v49, v243
	s_cbranch_execz .LBB872_1777
; %bb.1776:
	v_mov_b32_e32 v50, 1
	v_lshlrev_b32_sdwa v51, v50, v97 dst_sel:DWORD dst_unused:UNUSED_PAD src0_sel:DWORD src1_sel:WORD_0
	v_lshlrev_b32_sdwa v52, v50, v41 dst_sel:DWORD dst_unused:UNUSED_PAD src0_sel:DWORD src1_sel:WORD_0
	v_add_co_u32 v50, s8, v6, v51
	v_add_co_ci_u32_e64 v51, null, 0, v7, s8
	v_add_co_u32 v52, s8, v6, v52
	v_add_co_ci_u32_e64 v53, null, 0, v7, s8
	s_clause 0x1
	flat_load_ushort v50, v[50:51]
	flat_load_ushort v51, v[52:53]
	s_waitcnt vmcnt(0) lgkmcnt(0)
	v_cmp_ge_u16_e64 s8, v50, v51
	s_and_b32 s63, s8, exec_lo
.LBB872_1777:
	s_or_b32 exec_lo, exec_lo, s60
	s_orn2_b32 s60, s63, exec_lo
.LBB872_1778:
	s_or_b32 exec_lo, exec_lo, s62
	v_cndmask_b32_e64 v50, v48, v49, s60
	v_cndmask_b32_e64 v51, v244, v243, s60
	s_mov_b32 s62, exec_lo
	v_add_nc_u32_e32 v50, 1, v50
	v_add_nc_u32_e32 v51, -1, v51
	v_cndmask_b32_e64 v48, v50, v48, s60
	v_min_u32_e32 v51, v50, v51
	v_cndmask_b32_e64 v49, v49, v50, s60
	v_lshl_add_u32 v51, v51, 1, v178
	ds_read_u16 v51, v51
	s_waitcnt lgkmcnt(0)
	v_cndmask_b32_e64 v96, v51, v97, s60
	v_cndmask_b32_e64 v42, v41, v51, s60
	v_cmpx_lt_u32_e64 v48, v244
	s_cbranch_execz .LBB872_1782
; %bb.1779:
	s_mov_b32 s63, 0
	s_mov_b32 s61, exec_lo
	v_cmpx_lt_u32_e64 v49, v243
	s_cbranch_execz .LBB872_1781
; %bb.1780:
	v_mov_b32_e32 v50, 1
	v_lshlrev_b32_sdwa v51, v50, v96 dst_sel:DWORD dst_unused:UNUSED_PAD src0_sel:DWORD src1_sel:WORD_0
	v_lshlrev_b32_sdwa v52, v50, v42 dst_sel:DWORD dst_unused:UNUSED_PAD src0_sel:DWORD src1_sel:WORD_0
	v_add_co_u32 v50, s8, v6, v51
	v_add_co_ci_u32_e64 v51, null, 0, v7, s8
	v_add_co_u32 v52, s8, v6, v52
	v_add_co_ci_u32_e64 v53, null, 0, v7, s8
	s_clause 0x1
	flat_load_ushort v50, v[50:51]
	flat_load_ushort v51, v[52:53]
	s_waitcnt vmcnt(0) lgkmcnt(0)
	v_cmp_ge_u16_e64 s8, v50, v51
	s_and_b32 s63, s8, exec_lo
.LBB872_1781:
	s_or_b32 exec_lo, exec_lo, s61
	s_orn2_b32 s61, s63, exec_lo
.LBB872_1782:
	s_or_b32 exec_lo, exec_lo, s62
	v_cndmask_b32_e64 v50, v48, v49, s61
	v_cndmask_b32_e64 v51, v244, v243, s61
	s_mov_b32 s63, -1
	s_mov_b32 s62, -1
	s_mov_b32 s72, exec_lo
	v_add_nc_u32_e32 v50, 1, v50
	v_add_nc_u32_e32 v51, -1, v51
	v_cndmask_b32_e64 v48, v50, v48, s61
	v_min_u32_e32 v51, v50, v51
	v_cndmask_b32_e64 v49, v49, v50, s61
	v_lshl_add_u32 v51, v51, 1, v178
	ds_read_u16 v51, v51
	s_waitcnt lgkmcnt(0)
	v_cndmask_b32_e64 v87, v51, v96, s61
	v_cndmask_b32_e64 v43, v42, v51, s61
	v_cmpx_lt_u32_e64 v48, v244
	s_cbranch_execz .LBB872_1786
; %bb.1783:
	s_mov_b32 s73, 0
	s_mov_b32 s62, exec_lo
	v_cmpx_lt_u32_e64 v49, v243
	s_cbranch_execz .LBB872_1785
; %bb.1784:
	v_mov_b32_e32 v50, 1
	v_lshlrev_b32_sdwa v51, v50, v87 dst_sel:DWORD dst_unused:UNUSED_PAD src0_sel:DWORD src1_sel:WORD_0
	v_lshlrev_b32_sdwa v52, v50, v43 dst_sel:DWORD dst_unused:UNUSED_PAD src0_sel:DWORD src1_sel:WORD_0
	v_add_co_u32 v50, s8, v6, v51
	v_add_co_ci_u32_e64 v51, null, 0, v7, s8
	v_add_co_u32 v52, s8, v6, v52
	v_add_co_ci_u32_e64 v53, null, 0, v7, s8
	s_clause 0x1
	flat_load_ushort v50, v[50:51]
	flat_load_ushort v51, v[52:53]
	s_waitcnt vmcnt(0) lgkmcnt(0)
	v_cmp_ge_u16_e64 s8, v50, v51
	s_and_b32 s73, s8, exec_lo
.LBB872_1785:
	s_or_b32 exec_lo, exec_lo, s62
	s_orn2_b32 s62, s73, exec_lo
.LBB872_1786:
	s_or_b32 exec_lo, exec_lo, s72
	v_cndmask_b32_e64 v50, v48, v49, s62
	v_cndmask_b32_e64 v51, v244, v243, s62
	s_mov_b32 s72, exec_lo
	v_add_nc_u32_e32 v50, 1, v50
	v_add_nc_u32_e32 v51, -1, v51
	v_cndmask_b32_e64 v48, v50, v48, s62
	v_min_u32_e32 v51, v50, v51
	v_cndmask_b32_e64 v49, v49, v50, s62
	v_lshl_add_u32 v51, v51, 1, v178
	ds_read_u16 v51, v51
	s_waitcnt lgkmcnt(0)
	v_cndmask_b32_e64 v86, v51, v87, s62
	v_cndmask_b32_e64 v44, v43, v51, s62
	v_cmpx_lt_u32_e64 v48, v244
	s_cbranch_execz .LBB872_1790
; %bb.1787:
	s_mov_b32 s73, 0
	s_mov_b32 s63, exec_lo
	v_cmpx_lt_u32_e64 v49, v243
	s_cbranch_execz .LBB872_1789
; %bb.1788:
	v_mov_b32_e32 v50, 1
	v_lshlrev_b32_sdwa v51, v50, v86 dst_sel:DWORD dst_unused:UNUSED_PAD src0_sel:DWORD src1_sel:WORD_0
	v_lshlrev_b32_sdwa v52, v50, v44 dst_sel:DWORD dst_unused:UNUSED_PAD src0_sel:DWORD src1_sel:WORD_0
	v_add_co_u32 v50, s8, v6, v51
	v_add_co_ci_u32_e64 v51, null, 0, v7, s8
	v_add_co_u32 v52, s8, v6, v52
	v_add_co_ci_u32_e64 v53, null, 0, v7, s8
	s_clause 0x1
	flat_load_ushort v50, v[50:51]
	flat_load_ushort v51, v[52:53]
	s_waitcnt vmcnt(0) lgkmcnt(0)
	v_cmp_ge_u16_e64 s8, v50, v51
	s_and_b32 s73, s8, exec_lo
.LBB872_1789:
	s_or_b32 exec_lo, exec_lo, s63
	s_orn2_b32 s63, s73, exec_lo
.LBB872_1790:
	s_or_b32 exec_lo, exec_lo, s72
	v_cndmask_b32_e64 v50, v48, v49, s63
	v_cndmask_b32_e64 v51, v244, v243, s63
	s_mov_b32 s73, -1
	s_mov_b32 s72, -1
	s_mov_b32 s74, exec_lo
	v_add_nc_u32_e32 v50, 1, v50
	v_add_nc_u32_e32 v51, -1, v51
	v_cndmask_b32_e64 v48, v50, v48, s63
	v_min_u32_e32 v51, v50, v51
	v_cndmask_b32_e64 v49, v49, v50, s63
	v_lshl_add_u32 v51, v51, 1, v178
	ds_read_u16 v51, v51
	s_waitcnt lgkmcnt(0)
	v_cndmask_b32_e64 v85, v51, v86, s63
	v_cndmask_b32_e64 v45, v44, v51, s63
	v_cmpx_lt_u32_e64 v48, v244
	s_cbranch_execz .LBB872_1794
; %bb.1791:
	s_mov_b32 s75, 0
	s_mov_b32 s72, exec_lo
	v_cmpx_lt_u32_e64 v49, v243
	s_cbranch_execz .LBB872_1793
; %bb.1792:
	v_mov_b32_e32 v50, 1
	v_lshlrev_b32_sdwa v51, v50, v85 dst_sel:DWORD dst_unused:UNUSED_PAD src0_sel:DWORD src1_sel:WORD_0
	v_lshlrev_b32_sdwa v52, v50, v45 dst_sel:DWORD dst_unused:UNUSED_PAD src0_sel:DWORD src1_sel:WORD_0
	v_add_co_u32 v50, s8, v6, v51
	v_add_co_ci_u32_e64 v51, null, 0, v7, s8
	v_add_co_u32 v52, s8, v6, v52
	v_add_co_ci_u32_e64 v53, null, 0, v7, s8
	s_clause 0x1
	flat_load_ushort v50, v[50:51]
	flat_load_ushort v51, v[52:53]
	s_waitcnt vmcnt(0) lgkmcnt(0)
	v_cmp_ge_u16_e64 s8, v50, v51
	s_and_b32 s75, s8, exec_lo
.LBB872_1793:
	s_or_b32 exec_lo, exec_lo, s72
	s_orn2_b32 s72, s75, exec_lo
.LBB872_1794:
	s_or_b32 exec_lo, exec_lo, s74
	v_cndmask_b32_e64 v50, v48, v49, s72
	v_cndmask_b32_e64 v51, v244, v243, s72
	s_mov_b32 s74, exec_lo
	v_add_nc_u32_e32 v50, 1, v50
	v_add_nc_u32_e32 v51, -1, v51
	v_cndmask_b32_e64 v48, v50, v48, s72
	v_min_u32_e32 v51, v50, v51
	v_cndmask_b32_e64 v49, v49, v50, s72
	v_lshl_add_u32 v51, v51, 1, v178
	ds_read_u16 v51, v51
	s_waitcnt lgkmcnt(0)
	v_cndmask_b32_e64 v84, v51, v85, s72
	v_cndmask_b32_e64 v46, v45, v51, s72
	v_cmpx_lt_u32_e64 v48, v244
	s_cbranch_execz .LBB872_1798
; %bb.1795:
	s_mov_b32 s75, 0
	s_mov_b32 s73, exec_lo
	v_cmpx_lt_u32_e64 v49, v243
	s_cbranch_execz .LBB872_1797
; %bb.1796:
	v_mov_b32_e32 v50, 1
	v_lshlrev_b32_sdwa v51, v50, v84 dst_sel:DWORD dst_unused:UNUSED_PAD src0_sel:DWORD src1_sel:WORD_0
	v_lshlrev_b32_sdwa v52, v50, v46 dst_sel:DWORD dst_unused:UNUSED_PAD src0_sel:DWORD src1_sel:WORD_0
	v_add_co_u32 v50, s8, v6, v51
	v_add_co_ci_u32_e64 v51, null, 0, v7, s8
	v_add_co_u32 v52, s8, v6, v52
	v_add_co_ci_u32_e64 v53, null, 0, v7, s8
	s_clause 0x1
	flat_load_ushort v50, v[50:51]
	flat_load_ushort v51, v[52:53]
	s_waitcnt vmcnt(0) lgkmcnt(0)
	v_cmp_ge_u16_e64 s8, v50, v51
	s_and_b32 s75, s8, exec_lo
.LBB872_1797:
	s_or_b32 exec_lo, exec_lo, s73
	s_orn2_b32 s73, s75, exec_lo
.LBB872_1798:
	s_or_b32 exec_lo, exec_lo, s74
	v_cndmask_b32_e64 v50, v48, v49, s73
	v_cndmask_b32_e64 v51, v244, v243, s73
	s_mov_b32 s75, -1
	s_mov_b32 s74, -1
	s_mov_b32 s76, exec_lo
	v_add_nc_u32_e32 v50, 1, v50
	v_add_nc_u32_e32 v51, -1, v51
	v_cndmask_b32_e64 v48, v50, v48, s73
	v_min_u32_e32 v51, v50, v51
	v_cndmask_b32_e64 v49, v49, v50, s73
	v_lshl_add_u32 v51, v51, 1, v178
	ds_read_u16 v51, v51
	s_waitcnt lgkmcnt(0)
	v_cndmask_b32_e64 v83, v51, v84, s73
	v_cndmask_b32_e64 v47, v46, v51, s73
	v_cmpx_lt_u32_e64 v48, v244
	s_cbranch_execz .LBB872_1802
; %bb.1799:
	s_mov_b32 s77, 0
	s_mov_b32 s74, exec_lo
	v_cmpx_lt_u32_e64 v49, v243
	s_cbranch_execz .LBB872_1801
; %bb.1800:
	v_mov_b32_e32 v50, 1
	v_lshlrev_b32_sdwa v51, v50, v83 dst_sel:DWORD dst_unused:UNUSED_PAD src0_sel:DWORD src1_sel:WORD_0
	v_lshlrev_b32_sdwa v52, v50, v47 dst_sel:DWORD dst_unused:UNUSED_PAD src0_sel:DWORD src1_sel:WORD_0
	v_add_co_u32 v50, s8, v6, v51
	v_add_co_ci_u32_e64 v51, null, 0, v7, s8
	v_add_co_u32 v52, s8, v6, v52
	v_add_co_ci_u32_e64 v53, null, 0, v7, s8
	s_clause 0x1
	flat_load_ushort v50, v[50:51]
	flat_load_ushort v51, v[52:53]
	s_waitcnt vmcnt(0) lgkmcnt(0)
	v_cmp_ge_u16_e64 s8, v50, v51
	s_and_b32 s77, s8, exec_lo
.LBB872_1801:
	s_or_b32 exec_lo, exec_lo, s74
	s_orn2_b32 s74, s77, exec_lo
.LBB872_1802:
	s_or_b32 exec_lo, exec_lo, s76
	v_cndmask_b32_e64 v50, v48, v49, s74
	v_cndmask_b32_e64 v51, v244, v243, s74
	s_mov_b32 s76, exec_lo
	v_add_nc_u32_e32 v50, 1, v50
	v_add_nc_u32_e32 v51, -1, v51
	v_cndmask_b32_e64 v48, v50, v48, s74
	v_min_u32_e32 v51, v50, v51
	v_cndmask_b32_e64 v49, v49, v50, s74
	v_lshl_add_u32 v51, v51, 1, v178
	ds_read_u16 v51, v51
	s_waitcnt lgkmcnt(0)
	v_cndmask_b32_e64 v82, v51, v83, s74
	v_cndmask_b32_e64 v56, v47, v51, s74
	v_cmpx_lt_u32_e64 v48, v244
	s_cbranch_execz .LBB872_1806
; %bb.1803:
	s_mov_b32 s77, 0
	s_mov_b32 s75, exec_lo
	v_cmpx_lt_u32_e64 v49, v243
	s_cbranch_execz .LBB872_1805
; %bb.1804:
	v_mov_b32_e32 v50, 1
	v_lshlrev_b32_sdwa v51, v50, v82 dst_sel:DWORD dst_unused:UNUSED_PAD src0_sel:DWORD src1_sel:WORD_0
	v_lshlrev_b32_sdwa v52, v50, v56 dst_sel:DWORD dst_unused:UNUSED_PAD src0_sel:DWORD src1_sel:WORD_0
	v_add_co_u32 v50, s8, v6, v51
	v_add_co_ci_u32_e64 v51, null, 0, v7, s8
	v_add_co_u32 v52, s8, v6, v52
	v_add_co_ci_u32_e64 v53, null, 0, v7, s8
	s_clause 0x1
	flat_load_ushort v50, v[50:51]
	flat_load_ushort v51, v[52:53]
	s_waitcnt vmcnt(0) lgkmcnt(0)
	v_cmp_ge_u16_e64 s8, v50, v51
	s_and_b32 s77, s8, exec_lo
.LBB872_1805:
	s_or_b32 exec_lo, exec_lo, s75
	s_orn2_b32 s75, s77, exec_lo
.LBB872_1806:
	s_or_b32 exec_lo, exec_lo, s76
	v_cndmask_b32_e64 v50, v48, v49, s75
	v_cndmask_b32_e64 v51, v244, v243, s75
	s_mov_b32 s77, -1
	s_mov_b32 s76, -1
	s_mov_b32 s78, exec_lo
	v_add_nc_u32_e32 v50, 1, v50
	v_add_nc_u32_e32 v51, -1, v51
	v_cndmask_b32_e64 v48, v50, v48, s75
	v_min_u32_e32 v51, v50, v51
	v_cndmask_b32_e64 v49, v49, v50, s75
	v_lshl_add_u32 v51, v51, 1, v178
	ds_read_u16 v51, v51
	s_waitcnt lgkmcnt(0)
	v_cndmask_b32_e64 v81, v51, v82, s75
	v_cndmask_b32_e64 v57, v56, v51, s75
	v_cmpx_lt_u32_e64 v48, v244
	s_cbranch_execz .LBB872_1810
; %bb.1807:
	s_mov_b32 s79, 0
	s_mov_b32 s76, exec_lo
	v_cmpx_lt_u32_e64 v49, v243
	s_cbranch_execz .LBB872_1809
; %bb.1808:
	v_mov_b32_e32 v50, 1
	v_lshlrev_b32_sdwa v51, v50, v81 dst_sel:DWORD dst_unused:UNUSED_PAD src0_sel:DWORD src1_sel:WORD_0
	v_lshlrev_b32_sdwa v52, v50, v57 dst_sel:DWORD dst_unused:UNUSED_PAD src0_sel:DWORD src1_sel:WORD_0
	v_add_co_u32 v50, s8, v6, v51
	v_add_co_ci_u32_e64 v51, null, 0, v7, s8
	v_add_co_u32 v52, s8, v6, v52
	v_add_co_ci_u32_e64 v53, null, 0, v7, s8
	s_clause 0x1
	flat_load_ushort v50, v[50:51]
	flat_load_ushort v51, v[52:53]
	s_waitcnt vmcnt(0) lgkmcnt(0)
	v_cmp_ge_u16_e64 s8, v50, v51
	s_and_b32 s79, s8, exec_lo
.LBB872_1809:
	s_or_b32 exec_lo, exec_lo, s76
	s_orn2_b32 s76, s79, exec_lo
.LBB872_1810:
	s_or_b32 exec_lo, exec_lo, s78
	v_cndmask_b32_e64 v50, v48, v49, s76
	v_cndmask_b32_e64 v51, v244, v243, s76
	s_mov_b32 s78, exec_lo
	v_add_nc_u32_e32 v50, 1, v50
	v_add_nc_u32_e32 v51, -1, v51
	v_cndmask_b32_e64 v48, v50, v48, s76
	v_min_u32_e32 v51, v50, v51
	v_cndmask_b32_e64 v49, v49, v50, s76
	v_lshl_add_u32 v51, v51, 1, v178
	ds_read_u16 v51, v51
	s_waitcnt lgkmcnt(0)
	v_cndmask_b32_e64 v80, v51, v81, s76
	v_cndmask_b32_e64 v58, v57, v51, s76
	v_cmpx_lt_u32_e64 v48, v244
	s_cbranch_execz .LBB872_1814
; %bb.1811:
	s_mov_b32 s79, 0
	s_mov_b32 s77, exec_lo
	v_cmpx_lt_u32_e64 v49, v243
	s_cbranch_execz .LBB872_1813
; %bb.1812:
	v_mov_b32_e32 v50, 1
	v_lshlrev_b32_sdwa v51, v50, v80 dst_sel:DWORD dst_unused:UNUSED_PAD src0_sel:DWORD src1_sel:WORD_0
	v_lshlrev_b32_sdwa v52, v50, v58 dst_sel:DWORD dst_unused:UNUSED_PAD src0_sel:DWORD src1_sel:WORD_0
	v_add_co_u32 v50, s8, v6, v51
	v_add_co_ci_u32_e64 v51, null, 0, v7, s8
	v_add_co_u32 v52, s8, v6, v52
	v_add_co_ci_u32_e64 v53, null, 0, v7, s8
	s_clause 0x1
	flat_load_ushort v50, v[50:51]
	flat_load_ushort v51, v[52:53]
	s_waitcnt vmcnt(0) lgkmcnt(0)
	v_cmp_ge_u16_e64 s8, v50, v51
	s_and_b32 s79, s8, exec_lo
.LBB872_1813:
	s_or_b32 exec_lo, exec_lo, s77
	s_orn2_b32 s77, s79, exec_lo
.LBB872_1814:
	s_or_b32 exec_lo, exec_lo, s78
	v_cndmask_b32_e64 v50, v48, v49, s77
	v_cndmask_b32_e64 v51, v244, v243, s77
	s_mov_b32 s79, -1
	s_mov_b32 s78, -1
	s_mov_b32 s88, exec_lo
	v_add_nc_u32_e32 v50, 1, v50
	v_add_nc_u32_e32 v51, -1, v51
	v_cndmask_b32_e64 v48, v50, v48, s77
	v_min_u32_e32 v51, v50, v51
	v_cndmask_b32_e64 v49, v49, v50, s77
	v_lshl_add_u32 v51, v51, 1, v178
	ds_read_u16 v51, v51
	s_waitcnt lgkmcnt(0)
	v_cndmask_b32_e64 v71, v51, v80, s77
	v_cndmask_b32_e64 v59, v58, v51, s77
	v_cmpx_lt_u32_e64 v48, v244
	s_cbranch_execz .LBB872_1818
; %bb.1815:
	s_mov_b32 s89, 0
	s_mov_b32 s78, exec_lo
	v_cmpx_lt_u32_e64 v49, v243
	s_cbranch_execz .LBB872_1817
; %bb.1816:
	v_mov_b32_e32 v50, 1
	v_lshlrev_b32_sdwa v51, v50, v71 dst_sel:DWORD dst_unused:UNUSED_PAD src0_sel:DWORD src1_sel:WORD_0
	v_lshlrev_b32_sdwa v52, v50, v59 dst_sel:DWORD dst_unused:UNUSED_PAD src0_sel:DWORD src1_sel:WORD_0
	v_add_co_u32 v50, s8, v6, v51
	v_add_co_ci_u32_e64 v51, null, 0, v7, s8
	v_add_co_u32 v52, s8, v6, v52
	v_add_co_ci_u32_e64 v53, null, 0, v7, s8
	s_clause 0x1
	flat_load_ushort v50, v[50:51]
	flat_load_ushort v51, v[52:53]
	s_waitcnt vmcnt(0) lgkmcnt(0)
	v_cmp_ge_u16_e64 s8, v50, v51
	s_and_b32 s89, s8, exec_lo
.LBB872_1817:
	s_or_b32 exec_lo, exec_lo, s78
	s_orn2_b32 s78, s89, exec_lo
.LBB872_1818:
	s_or_b32 exec_lo, exec_lo, s88
	v_cndmask_b32_e64 v50, v48, v49, s78
	v_cndmask_b32_e64 v51, v244, v243, s78
	s_mov_b32 s88, exec_lo
	v_add_nc_u32_e32 v50, 1, v50
	v_add_nc_u32_e32 v51, -1, v51
	v_cndmask_b32_e64 v48, v50, v48, s78
	v_min_u32_e32 v51, v50, v51
	v_cndmask_b32_e64 v49, v49, v50, s78
	v_lshl_add_u32 v51, v51, 1, v178
	ds_read_u16 v51, v51
	s_waitcnt lgkmcnt(0)
	v_cndmask_b32_e64 v70, v51, v71, s78
	v_cndmask_b32_e64 v60, v59, v51, s78
	v_cmpx_lt_u32_e64 v48, v244
	s_cbranch_execz .LBB872_1822
; %bb.1819:
	s_mov_b32 s89, 0
	s_mov_b32 s79, exec_lo
	v_cmpx_lt_u32_e64 v49, v243
	s_cbranch_execz .LBB872_1821
; %bb.1820:
	v_mov_b32_e32 v50, 1
	v_lshlrev_b32_sdwa v51, v50, v70 dst_sel:DWORD dst_unused:UNUSED_PAD src0_sel:DWORD src1_sel:WORD_0
	v_lshlrev_b32_sdwa v52, v50, v60 dst_sel:DWORD dst_unused:UNUSED_PAD src0_sel:DWORD src1_sel:WORD_0
	v_add_co_u32 v50, s8, v6, v51
	v_add_co_ci_u32_e64 v51, null, 0, v7, s8
	v_add_co_u32 v52, s8, v6, v52
	v_add_co_ci_u32_e64 v53, null, 0, v7, s8
	s_clause 0x1
	flat_load_ushort v50, v[50:51]
	flat_load_ushort v51, v[52:53]
	s_waitcnt vmcnt(0) lgkmcnt(0)
	v_cmp_ge_u16_e64 s8, v50, v51
	s_and_b32 s89, s8, exec_lo
.LBB872_1821:
	s_or_b32 exec_lo, exec_lo, s79
	s_orn2_b32 s79, s89, exec_lo
.LBB872_1822:
	s_or_b32 exec_lo, exec_lo, s88
	v_cndmask_b32_e64 v50, v48, v49, s79
	v_cndmask_b32_e64 v51, v244, v243, s79
	s_mov_b32 s89, -1
	s_mov_b32 s88, -1
	s_mov_b32 s90, exec_lo
	v_add_nc_u32_e32 v50, 1, v50
	v_add_nc_u32_e32 v51, -1, v51
	v_cndmask_b32_e64 v48, v50, v48, s79
	v_min_u32_e32 v51, v50, v51
	v_cndmask_b32_e64 v49, v49, v50, s79
	v_lshl_add_u32 v51, v51, 1, v178
	ds_read_u16 v51, v51
	s_waitcnt lgkmcnt(0)
	v_cndmask_b32_e64 v69, v51, v70, s79
	v_cndmask_b32_e64 v61, v60, v51, s79
	v_cmpx_lt_u32_e64 v48, v244
	s_cbranch_execz .LBB872_1826
; %bb.1823:
	s_mov_b32 s91, 0
	s_mov_b32 s88, exec_lo
	v_cmpx_lt_u32_e64 v49, v243
	s_cbranch_execz .LBB872_1825
; %bb.1824:
	v_mov_b32_e32 v50, 1
	v_lshlrev_b32_sdwa v51, v50, v69 dst_sel:DWORD dst_unused:UNUSED_PAD src0_sel:DWORD src1_sel:WORD_0
	v_lshlrev_b32_sdwa v52, v50, v61 dst_sel:DWORD dst_unused:UNUSED_PAD src0_sel:DWORD src1_sel:WORD_0
	v_add_co_u32 v50, s8, v6, v51
	v_add_co_ci_u32_e64 v51, null, 0, v7, s8
	v_add_co_u32 v52, s8, v6, v52
	v_add_co_ci_u32_e64 v53, null, 0, v7, s8
	s_clause 0x1
	flat_load_ushort v50, v[50:51]
	flat_load_ushort v51, v[52:53]
	s_waitcnt vmcnt(0) lgkmcnt(0)
	v_cmp_ge_u16_e64 s8, v50, v51
	s_and_b32 s91, s8, exec_lo
.LBB872_1825:
	s_or_b32 exec_lo, exec_lo, s88
	s_orn2_b32 s88, s91, exec_lo
.LBB872_1826:
	s_or_b32 exec_lo, exec_lo, s90
	v_cndmask_b32_e64 v50, v48, v49, s88
	v_cndmask_b32_e64 v51, v244, v243, s88
	s_mov_b32 s90, exec_lo
	v_add_nc_u32_e32 v50, 1, v50
	v_add_nc_u32_e32 v51, -1, v51
	v_cndmask_b32_e64 v48, v50, v48, s88
	v_min_u32_e32 v51, v50, v51
	v_cndmask_b32_e64 v49, v49, v50, s88
	v_lshl_add_u32 v51, v51, 1, v178
	ds_read_u16 v51, v51
	s_waitcnt lgkmcnt(0)
	v_cndmask_b32_e64 v68, v51, v69, s88
	v_cndmask_b32_e64 v62, v61, v51, s88
	v_cmpx_lt_u32_e64 v48, v244
	s_cbranch_execz .LBB872_1830
; %bb.1827:
	s_mov_b32 s91, 0
	s_mov_b32 s89, exec_lo
	v_cmpx_lt_u32_e64 v49, v243
	s_cbranch_execz .LBB872_1829
; %bb.1828:
	v_mov_b32_e32 v50, 1
	v_lshlrev_b32_sdwa v51, v50, v68 dst_sel:DWORD dst_unused:UNUSED_PAD src0_sel:DWORD src1_sel:WORD_0
	v_lshlrev_b32_sdwa v52, v50, v62 dst_sel:DWORD dst_unused:UNUSED_PAD src0_sel:DWORD src1_sel:WORD_0
	v_add_co_u32 v50, s8, v6, v51
	v_add_co_ci_u32_e64 v51, null, 0, v7, s8
	v_add_co_u32 v52, s8, v6, v52
	v_add_co_ci_u32_e64 v53, null, 0, v7, s8
	s_clause 0x1
	flat_load_ushort v50, v[50:51]
	flat_load_ushort v51, v[52:53]
	s_waitcnt vmcnt(0) lgkmcnt(0)
	v_cmp_ge_u16_e64 s8, v50, v51
	s_and_b32 s91, s8, exec_lo
.LBB872_1829:
	s_or_b32 exec_lo, exec_lo, s89
	s_orn2_b32 s89, s91, exec_lo
.LBB872_1830:
	s_or_b32 exec_lo, exec_lo, s90
	v_cndmask_b32_e64 v50, v48, v49, s89
	v_cndmask_b32_e64 v51, v244, v243, s89
	s_mov_b32 s91, -1
	s_mov_b32 s90, -1
	s_mov_b32 s92, exec_lo
	v_add_nc_u32_e32 v50, 1, v50
	v_add_nc_u32_e32 v51, -1, v51
	v_cndmask_b32_e64 v48, v50, v48, s89
	v_min_u32_e32 v51, v50, v51
	v_cndmask_b32_e64 v49, v49, v50, s89
	v_lshl_add_u32 v51, v51, 1, v178
	ds_read_u16 v51, v51
	s_waitcnt lgkmcnt(0)
	v_cndmask_b32_e64 v67, v51, v68, s89
	v_cndmask_b32_e64 v63, v62, v51, s89
	v_cmpx_lt_u32_e64 v48, v244
	s_cbranch_execz .LBB872_1834
; %bb.1831:
	s_mov_b32 s93, 0
	s_mov_b32 s90, exec_lo
	v_cmpx_lt_u32_e64 v49, v243
	s_cbranch_execz .LBB872_1833
; %bb.1832:
	v_mov_b32_e32 v50, 1
	v_lshlrev_b32_sdwa v51, v50, v67 dst_sel:DWORD dst_unused:UNUSED_PAD src0_sel:DWORD src1_sel:WORD_0
	v_lshlrev_b32_sdwa v52, v50, v63 dst_sel:DWORD dst_unused:UNUSED_PAD src0_sel:DWORD src1_sel:WORD_0
	v_add_co_u32 v50, s8, v6, v51
	v_add_co_ci_u32_e64 v51, null, 0, v7, s8
	v_add_co_u32 v52, s8, v6, v52
	v_add_co_ci_u32_e64 v53, null, 0, v7, s8
	s_clause 0x1
	flat_load_ushort v50, v[50:51]
	flat_load_ushort v51, v[52:53]
	s_waitcnt vmcnt(0) lgkmcnt(0)
	v_cmp_ge_u16_e64 s8, v50, v51
	s_and_b32 s93, s8, exec_lo
.LBB872_1833:
	s_or_b32 exec_lo, exec_lo, s90
	s_orn2_b32 s90, s93, exec_lo
.LBB872_1834:
	s_or_b32 exec_lo, exec_lo, s92
	v_cndmask_b32_e64 v50, v48, v49, s90
	v_cndmask_b32_e64 v51, v244, v243, s90
	s_mov_b32 s92, exec_lo
	v_add_nc_u32_e32 v50, 1, v50
	v_add_nc_u32_e32 v51, -1, v51
	v_cndmask_b32_e64 v48, v50, v48, s90
	v_min_u32_e32 v51, v50, v51
	v_cndmask_b32_e64 v49, v49, v50, s90
	v_lshl_add_u32 v51, v51, 1, v178
	ds_read_u16 v51, v51
	s_waitcnt lgkmcnt(0)
	v_cndmask_b32_e64 v66, v51, v67, s90
	v_cndmask_b32_e64 v72, v63, v51, s90
	v_cmpx_lt_u32_e64 v48, v244
	s_cbranch_execz .LBB872_1838
; %bb.1835:
	s_mov_b32 s93, 0
	s_mov_b32 s91, exec_lo
	v_cmpx_lt_u32_e64 v49, v243
	s_cbranch_execz .LBB872_1837
; %bb.1836:
	v_mov_b32_e32 v50, 1
	v_lshlrev_b32_sdwa v51, v50, v66 dst_sel:DWORD dst_unused:UNUSED_PAD src0_sel:DWORD src1_sel:WORD_0
	v_lshlrev_b32_sdwa v52, v50, v72 dst_sel:DWORD dst_unused:UNUSED_PAD src0_sel:DWORD src1_sel:WORD_0
	v_add_co_u32 v50, s8, v6, v51
	v_add_co_ci_u32_e64 v51, null, 0, v7, s8
	v_add_co_u32 v52, s8, v6, v52
	v_add_co_ci_u32_e64 v53, null, 0, v7, s8
	s_clause 0x1
	flat_load_ushort v50, v[50:51]
	flat_load_ushort v51, v[52:53]
	s_waitcnt vmcnt(0) lgkmcnt(0)
	v_cmp_ge_u16_e64 s8, v50, v51
	s_and_b32 s93, s8, exec_lo
.LBB872_1837:
	s_or_b32 exec_lo, exec_lo, s91
	s_orn2_b32 s91, s93, exec_lo
.LBB872_1838:
	s_or_b32 exec_lo, exec_lo, s92
	v_cndmask_b32_e64 v50, v48, v49, s91
	v_cndmask_b32_e64 v51, v244, v243, s91
	s_mov_b32 s93, -1
	s_mov_b32 s92, -1
	s_mov_b32 s94, exec_lo
	v_add_nc_u32_e32 v50, 1, v50
	v_add_nc_u32_e32 v51, -1, v51
	v_cndmask_b32_e64 v48, v50, v48, s91
	v_min_u32_e32 v51, v50, v51
	v_cndmask_b32_e64 v49, v49, v50, s91
	v_lshl_add_u32 v51, v51, 1, v178
	ds_read_u16 v51, v51
	s_waitcnt lgkmcnt(0)
	v_cndmask_b32_e64 v65, v51, v66, s91
	v_cndmask_b32_e64 v73, v72, v51, s91
	v_cmpx_lt_u32_e64 v48, v244
	s_cbranch_execz .LBB872_1842
; %bb.1839:
	s_mov_b32 s95, 0
	s_mov_b32 s92, exec_lo
	v_cmpx_lt_u32_e64 v49, v243
	s_cbranch_execz .LBB872_1841
; %bb.1840:
	v_mov_b32_e32 v50, 1
	v_lshlrev_b32_sdwa v51, v50, v65 dst_sel:DWORD dst_unused:UNUSED_PAD src0_sel:DWORD src1_sel:WORD_0
	v_lshlrev_b32_sdwa v52, v50, v73 dst_sel:DWORD dst_unused:UNUSED_PAD src0_sel:DWORD src1_sel:WORD_0
	v_add_co_u32 v50, s8, v6, v51
	v_add_co_ci_u32_e64 v51, null, 0, v7, s8
	v_add_co_u32 v52, s8, v6, v52
	v_add_co_ci_u32_e64 v53, null, 0, v7, s8
	s_clause 0x1
	flat_load_ushort v50, v[50:51]
	flat_load_ushort v51, v[52:53]
	s_waitcnt vmcnt(0) lgkmcnt(0)
	v_cmp_ge_u16_e64 s8, v50, v51
	s_and_b32 s95, s8, exec_lo
.LBB872_1841:
	s_or_b32 exec_lo, exec_lo, s92
	s_orn2_b32 s92, s95, exec_lo
.LBB872_1842:
	s_or_b32 exec_lo, exec_lo, s94
	v_cndmask_b32_e64 v50, v48, v49, s92
	v_cndmask_b32_e64 v51, v244, v243, s92
	s_mov_b32 s94, exec_lo
	v_add_nc_u32_e32 v50, 1, v50
	v_add_nc_u32_e32 v51, -1, v51
	v_cndmask_b32_e64 v48, v50, v48, s92
	v_min_u32_e32 v51, v50, v51
	v_cndmask_b32_e64 v49, v49, v50, s92
	v_lshl_add_u32 v51, v51, 1, v178
	ds_read_u16 v51, v51
	s_waitcnt lgkmcnt(0)
	v_cndmask_b32_e64 v55, v51, v65, s92
	v_cndmask_b32_e64 v74, v73, v51, s92
	v_cmpx_lt_u32_e64 v48, v244
	s_cbranch_execz .LBB872_1846
; %bb.1843:
	s_mov_b32 s95, 0
	s_mov_b32 s93, exec_lo
	v_cmpx_lt_u32_e64 v49, v243
	s_cbranch_execz .LBB872_1845
; %bb.1844:
	v_mov_b32_e32 v50, 1
	v_lshlrev_b32_sdwa v51, v50, v55 dst_sel:DWORD dst_unused:UNUSED_PAD src0_sel:DWORD src1_sel:WORD_0
	v_lshlrev_b32_sdwa v52, v50, v74 dst_sel:DWORD dst_unused:UNUSED_PAD src0_sel:DWORD src1_sel:WORD_0
	v_add_co_u32 v50, s8, v6, v51
	v_add_co_ci_u32_e64 v51, null, 0, v7, s8
	v_add_co_u32 v52, s8, v6, v52
	v_add_co_ci_u32_e64 v53, null, 0, v7, s8
	s_clause 0x1
	flat_load_ushort v50, v[50:51]
	flat_load_ushort v51, v[52:53]
	s_waitcnt vmcnt(0) lgkmcnt(0)
	v_cmp_ge_u16_e64 s8, v50, v51
	s_and_b32 s95, s8, exec_lo
.LBB872_1845:
	s_or_b32 exec_lo, exec_lo, s93
	s_orn2_b32 s93, s95, exec_lo
.LBB872_1846:
	s_or_b32 exec_lo, exec_lo, s94
	v_cndmask_b32_e64 v50, v48, v49, s93
	v_cndmask_b32_e64 v51, v244, v243, s93
	s_mov_b32 s95, -1
	s_mov_b32 s94, -1
	s_mov_b32 vcc_hi, exec_lo
	v_add_nc_u32_e32 v50, 1, v50
	v_add_nc_u32_e32 v51, -1, v51
	v_cndmask_b32_e64 v48, v50, v48, s93
	v_min_u32_e32 v51, v50, v51
	v_cndmask_b32_e64 v49, v49, v50, s93
	v_lshl_add_u32 v51, v51, 1, v178
	ds_read_u16 v51, v51
	s_waitcnt lgkmcnt(0)
	v_cndmask_b32_e64 v54, v51, v55, s93
	v_cndmask_b32_e64 v75, v74, v51, s93
	v_cmpx_lt_u32_e64 v48, v244
	s_cbranch_execz .LBB872_1850
; %bb.1847:
	s_mov_b32 s30, 0
	s_mov_b32 s94, exec_lo
	v_cmpx_lt_u32_e64 v49, v243
	s_cbranch_execz .LBB872_1849
; %bb.1848:
	v_mov_b32_e32 v50, 1
	v_lshlrev_b32_sdwa v51, v50, v54 dst_sel:DWORD dst_unused:UNUSED_PAD src0_sel:DWORD src1_sel:WORD_0
	v_lshlrev_b32_sdwa v52, v50, v75 dst_sel:DWORD dst_unused:UNUSED_PAD src0_sel:DWORD src1_sel:WORD_0
	v_add_co_u32 v50, s8, v6, v51
	v_add_co_ci_u32_e64 v51, null, 0, v7, s8
	v_add_co_u32 v52, s8, v6, v52
	v_add_co_ci_u32_e64 v53, null, 0, v7, s8
	s_clause 0x1
	flat_load_ushort v50, v[50:51]
	flat_load_ushort v51, v[52:53]
	s_waitcnt vmcnt(0) lgkmcnt(0)
	v_cmp_ge_u16_e64 s8, v50, v51
	s_and_b32 s30, s8, exec_lo
.LBB872_1849:
	s_or_b32 exec_lo, exec_lo, s94
	s_orn2_b32 s94, s30, exec_lo
.LBB872_1850:
	s_or_b32 exec_lo, exec_lo, vcc_hi
	v_cndmask_b32_e64 v50, v48, v49, s94
	v_cndmask_b32_e64 v51, v244, v243, s94
	s_mov_b32 vcc_hi, exec_lo
	v_add_nc_u32_e32 v50, 1, v50
	v_add_nc_u32_e32 v51, -1, v51
	v_cndmask_b32_e64 v48, v50, v48, s94
	v_min_u32_e32 v51, v50, v51
	v_cndmask_b32_e64 v49, v49, v50, s94
	v_lshl_add_u32 v51, v51, 1, v178
	ds_read_u16 v51, v51
	s_waitcnt lgkmcnt(0)
	v_cndmask_b32_e64 v53, v51, v54, s94
	v_cndmask_b32_e64 v76, v75, v51, s94
	v_cmpx_lt_u32_e64 v48, v244
	s_cbranch_execz .LBB872_1854
; %bb.1851:
	s_mov_b32 s30, 0
	s_mov_b32 s95, exec_lo
	v_cmpx_lt_u32_e64 v49, v243
	s_cbranch_execz .LBB872_1853
; %bb.1852:
	v_mov_b32_e32 v50, 1
	v_lshlrev_b32_sdwa v51, v50, v53 dst_sel:DWORD dst_unused:UNUSED_PAD src0_sel:DWORD src1_sel:WORD_0
	v_lshlrev_b32_sdwa v52, v50, v76 dst_sel:DWORD dst_unused:UNUSED_PAD src0_sel:DWORD src1_sel:WORD_0
	v_add_co_u32 v50, s8, v6, v51
	v_add_co_ci_u32_e64 v51, null, 0, v7, s8
	v_add_co_u32 v77, s8, v6, v52
	v_add_co_ci_u32_e64 v78, null, 0, v7, s8
	s_clause 0x1
	flat_load_ushort v50, v[50:51]
	flat_load_ushort v51, v[77:78]
	s_waitcnt vmcnt(0) lgkmcnt(0)
	v_cmp_ge_u16_e64 s8, v50, v51
	s_and_b32 s30, s8, exec_lo
.LBB872_1853:
	s_or_b32 exec_lo, exec_lo, s95
	s_orn2_b32 s95, s30, exec_lo
.LBB872_1854:
	s_or_b32 exec_lo, exec_lo, vcc_hi
	v_cndmask_b32_e64 v50, v48, v49, s95
	v_cndmask_b32_e64 v51, v244, v243, s95
	s_mov_b32 s30, -1
	s_mov_b32 vcc_hi, -1
	s_mov_b32 s31, exec_lo
	v_add_nc_u32_e32 v50, 1, v50
	v_add_nc_u32_e32 v51, -1, v51
	v_cndmask_b32_e64 v48, v50, v48, s95
	v_min_u32_e32 v51, v50, v51
	v_cndmask_b32_e64 v49, v49, v50, s95
	v_lshl_add_u32 v51, v51, 1, v178
	ds_read_u16 v51, v51
	s_waitcnt lgkmcnt(0)
	v_cndmask_b32_e64 v64, v51, v53, s95
	v_cndmask_b32_e64 v77, v76, v51, s95
	v_cmpx_lt_u32_e64 v48, v244
	s_cbranch_execz .LBB872_1858
; %bb.1855:
	s_mov_b32 s34, 0
	s_mov_b32 vcc_hi, exec_lo
	v_cmpx_lt_u32_e64 v49, v243
	s_cbranch_execz .LBB872_1857
; %bb.1856:
	v_mov_b32_e32 v50, 1
	v_lshlrev_b32_sdwa v51, v50, v64 dst_sel:DWORD dst_unused:UNUSED_PAD src0_sel:DWORD src1_sel:WORD_0
	v_lshlrev_b32_sdwa v52, v50, v77 dst_sel:DWORD dst_unused:UNUSED_PAD src0_sel:DWORD src1_sel:WORD_0
	v_add_co_u32 v50, s8, v6, v51
	v_add_co_ci_u32_e64 v51, null, 0, v7, s8
	v_add_co_u32 v78, s8, v6, v52
	v_add_co_ci_u32_e64 v79, null, 0, v7, s8
	s_clause 0x1
	flat_load_ushort v50, v[50:51]
	flat_load_ushort v51, v[78:79]
	s_waitcnt vmcnt(0) lgkmcnt(0)
	v_cmp_ge_u16_e64 s8, v50, v51
	s_and_b32 s34, s8, exec_lo
.LBB872_1857:
	s_or_b32 exec_lo, exec_lo, vcc_hi
	s_orn2_b32 vcc_hi, s34, exec_lo
.LBB872_1858:
	s_or_b32 exec_lo, exec_lo, s31
	v_cndmask_b32_e64 v50, v48, v49, vcc_hi
	v_cndmask_b32_e64 v51, v244, v243, vcc_hi
	s_mov_b32 s31, exec_lo
	v_add_nc_u32_e32 v50, 1, v50
	v_add_nc_u32_e32 v51, -1, v51
	v_cndmask_b32_e64 v48, v50, v48, vcc_hi
	v_min_u32_e32 v51, v50, v51
	v_cndmask_b32_e64 v49, v49, v50, vcc_hi
	v_lshl_add_u32 v51, v51, 1, v178
	ds_read_u16 v51, v51
	s_waitcnt lgkmcnt(0)
	v_cndmask_b32_e64 v52, v51, v64, vcc_hi
	v_cndmask_b32_e64 v78, v77, v51, vcc_hi
	v_cmpx_lt_u32_e64 v48, v244
	s_cbranch_execz .LBB872_1862
; %bb.1859:
	s_mov_b32 s34, 0
	s_mov_b32 s30, exec_lo
	v_cmpx_lt_u32_e64 v49, v243
	s_cbranch_execz .LBB872_1861
; %bb.1860:
	v_mov_b32_e32 v50, 1
	v_lshlrev_b32_sdwa v51, v50, v52 dst_sel:DWORD dst_unused:UNUSED_PAD src0_sel:DWORD src1_sel:WORD_0
	v_lshlrev_b32_sdwa v79, v50, v78 dst_sel:DWORD dst_unused:UNUSED_PAD src0_sel:DWORD src1_sel:WORD_0
	v_add_co_u32 v50, s8, v6, v51
	v_add_co_ci_u32_e64 v51, null, 0, v7, s8
	v_add_co_u32 v88, s8, v6, v79
	v_add_co_ci_u32_e64 v89, null, 0, v7, s8
	s_clause 0x1
	flat_load_ushort v50, v[50:51]
	flat_load_ushort v51, v[88:89]
	s_waitcnt vmcnt(0) lgkmcnt(0)
	v_cmp_ge_u16_e64 s8, v50, v51
	s_and_b32 s34, s8, exec_lo
.LBB872_1861:
	s_or_b32 exec_lo, exec_lo, s30
	s_orn2_b32 s30, s34, exec_lo
.LBB872_1862:
	s_or_b32 exec_lo, exec_lo, s31
	v_cndmask_b32_e64 v50, v48, v49, s30
	v_cndmask_b32_e64 v51, v244, v243, s30
	s_mov_b32 s34, -1
	s_mov_b32 s31, -1
	s_mov_b32 s35, exec_lo
	v_add_nc_u32_e32 v50, 1, v50
	v_add_nc_u32_e32 v51, -1, v51
	v_cndmask_b32_e64 v48, v50, v48, s30
	v_min_u32_e32 v51, v50, v51
	v_cndmask_b32_e64 v49, v49, v50, s30
	v_lshl_add_u32 v51, v51, 1, v178
	ds_read_u16 v79, v51
	s_waitcnt lgkmcnt(0)
	v_cndmask_b32_e64 v51, v79, v52, s30
	v_cndmask_b32_e64 v79, v78, v79, s30
	v_cmpx_lt_u32_e64 v48, v244
	s_cbranch_execz .LBB872_1866
; %bb.1863:
	s_mov_b32 s38, 0
	s_mov_b32 s31, exec_lo
	v_cmpx_lt_u32_e64 v49, v243
	s_cbranch_execz .LBB872_1865
; %bb.1864:
	v_mov_b32_e32 v50, 1
	v_lshlrev_b32_sdwa v88, v50, v51 dst_sel:DWORD dst_unused:UNUSED_PAD src0_sel:DWORD src1_sel:WORD_0
	v_lshlrev_b32_sdwa v50, v50, v79 dst_sel:DWORD dst_unused:UNUSED_PAD src0_sel:DWORD src1_sel:WORD_0
	v_add_co_u32 v88, s8, v6, v88
	v_add_co_ci_u32_e64 v89, null, 0, v7, s8
	v_add_co_u32 v90, s8, v6, v50
	v_add_co_ci_u32_e64 v91, null, 0, v7, s8
	s_clause 0x1
	flat_load_ushort v50, v[88:89]
	flat_load_ushort v88, v[90:91]
	s_waitcnt vmcnt(0) lgkmcnt(0)
	v_cmp_ge_u16_e64 s8, v50, v88
	s_and_b32 s38, s8, exec_lo
.LBB872_1865:
	s_or_b32 exec_lo, exec_lo, s31
	s_orn2_b32 s31, s38, exec_lo
.LBB872_1866:
	s_or_b32 exec_lo, exec_lo, s35
	v_cndmask_b32_e64 v50, v48, v49, s31
	v_cndmask_b32_e64 v88, v244, v243, s31
	s_mov_b32 s35, exec_lo
	v_add_nc_u32_e32 v50, 1, v50
	v_add_nc_u32_e32 v88, -1, v88
	v_cndmask_b32_e64 v48, v50, v48, s31
	v_min_u32_e32 v88, v50, v88
	v_cndmask_b32_e64 v49, v49, v50, s31
	v_lshl_add_u32 v88, v88, 1, v178
	ds_read_u16 v88, v88
	s_waitcnt lgkmcnt(0)
	v_cndmask_b32_e64 v50, v88, v51, s31
	v_cndmask_b32_e64 v88, v79, v88, s31
	v_cmpx_lt_u32_e64 v48, v244
	s_cbranch_execz .LBB872_1870
; %bb.1867:
	s_mov_b32 s38, 0
	s_mov_b32 s34, exec_lo
	v_cmpx_lt_u32_e64 v49, v243
	s_cbranch_execz .LBB872_1869
; %bb.1868:
	v_mov_b32_e32 v89, 1
	v_lshlrev_b32_sdwa v90, v89, v50 dst_sel:DWORD dst_unused:UNUSED_PAD src0_sel:DWORD src1_sel:WORD_0
	v_lshlrev_b32_sdwa v91, v89, v88 dst_sel:DWORD dst_unused:UNUSED_PAD src0_sel:DWORD src1_sel:WORD_0
	v_add_co_u32 v89, s8, v6, v90
	v_add_co_ci_u32_e64 v90, null, 0, v7, s8
	v_add_co_u32 v91, s8, v6, v91
	v_add_co_ci_u32_e64 v92, null, 0, v7, s8
	s_clause 0x1
	flat_load_ushort v89, v[89:90]
	flat_load_ushort v90, v[91:92]
	s_waitcnt vmcnt(0) lgkmcnt(0)
	v_cmp_ge_u16_e64 s8, v89, v90
	s_and_b32 s38, s8, exec_lo
.LBB872_1869:
	s_or_b32 exec_lo, exec_lo, s34
	s_orn2_b32 s34, s38, exec_lo
.LBB872_1870:
	s_or_b32 exec_lo, exec_lo, s35
	v_cndmask_b32_e64 v89, v48, v49, s34
	v_cndmask_b32_e64 v90, v244, v243, s34
	s_mov_b32 s35, -1
	s_mov_b32 s38, -1
	s_mov_b32 s39, exec_lo
	v_add_nc_u32_e32 v89, 1, v89
	v_add_nc_u32_e32 v90, -1, v90
	v_cndmask_b32_e64 v48, v89, v48, s34
	v_min_u32_e32 v90, v89, v90
	v_lshl_add_u32 v90, v90, 1, v178
	ds_read_u16 v91, v90
	v_cndmask_b32_e64 v90, v49, v89, s34
	s_waitcnt lgkmcnt(0)
	v_cndmask_b32_e64 v49, v91, v50, s34
	v_cndmask_b32_e64 v89, v88, v91, s34
	v_cmpx_lt_u32_e64 v48, v244
	s_cbranch_execz .LBB872_1874
; %bb.1871:
	s_mov_b32 s48, 0
	s_mov_b32 s38, exec_lo
	v_cmpx_lt_u32_e64 v90, v243
	s_cbranch_execz .LBB872_1873
; %bb.1872:
	v_mov_b32_e32 v91, 1
	v_lshlrev_b32_sdwa v92, v91, v49 dst_sel:DWORD dst_unused:UNUSED_PAD src0_sel:DWORD src1_sel:WORD_0
	v_lshlrev_b32_sdwa v93, v91, v89 dst_sel:DWORD dst_unused:UNUSED_PAD src0_sel:DWORD src1_sel:WORD_0
	v_add_co_u32 v91, s8, v6, v92
	v_add_co_ci_u32_e64 v92, null, 0, v7, s8
	v_add_co_u32 v93, s8, v6, v93
	v_add_co_ci_u32_e64 v94, null, 0, v7, s8
	s_clause 0x1
	flat_load_ushort v91, v[91:92]
	flat_load_ushort v92, v[93:94]
	s_waitcnt vmcnt(0) lgkmcnt(0)
	v_cmp_ge_u16_e64 s8, v91, v92
	s_and_b32 s48, s8, exec_lo
.LBB872_1873:
	s_or_b32 exec_lo, exec_lo, s38
	s_orn2_b32 s38, s48, exec_lo
.LBB872_1874:
	s_or_b32 exec_lo, exec_lo, s39
	v_cndmask_b32_e64 v91, v48, v90, s38
	v_cndmask_b32_e64 v92, v244, v243, s38
	s_mov_b32 s39, exec_lo
	v_add_nc_u32_e32 v91, 1, v91
	v_add_nc_u32_e32 v92, -1, v92
	v_cndmask_b32_e64 v48, v91, v48, s38
	v_min_u32_e32 v92, v91, v92
	v_lshl_add_u32 v92, v92, 1, v178
	ds_read_u16 v93, v92
	v_cndmask_b32_e64 v92, v90, v91, s38
	s_waitcnt lgkmcnt(0)
	v_cndmask_b32_e64 v90, v93, v49, s38
	v_cndmask_b32_e64 v91, v89, v93, s38
	v_cmpx_lt_u32_e64 v48, v244
	s_cbranch_execz .LBB872_1878
; %bb.1875:
	s_mov_b32 s48, 0
	s_mov_b32 s35, exec_lo
	v_cmpx_lt_u32_e64 v92, v243
	s_cbranch_execz .LBB872_1877
; %bb.1876:
	v_mov_b32_e32 v93, 1
	v_lshlrev_b32_sdwa v94, v93, v90 dst_sel:DWORD dst_unused:UNUSED_PAD src0_sel:DWORD src1_sel:WORD_0
	v_lshlrev_b32_sdwa v95, v93, v91 dst_sel:DWORD dst_unused:UNUSED_PAD src0_sel:DWORD src1_sel:WORD_0
	v_add_co_u32 v93, s8, v6, v94
	v_add_co_ci_u32_e64 v94, null, 0, v7, s8
	v_add_co_u32 v104, s8, v6, v95
	v_add_co_ci_u32_e64 v105, null, 0, v7, s8
	s_clause 0x1
	flat_load_ushort v93, v[93:94]
	flat_load_ushort v94, v[104:105]
	s_waitcnt vmcnt(0) lgkmcnt(0)
	v_cmp_ge_u16_e64 s8, v93, v94
	s_and_b32 s48, s8, exec_lo
.LBB872_1877:
	s_or_b32 exec_lo, exec_lo, s35
	s_orn2_b32 s35, s48, exec_lo
.LBB872_1878:
	s_or_b32 exec_lo, exec_lo, s39
	v_cndmask_b32_e64 v93, v48, v92, s35
	v_cndmask_b32_e64 v94, v244, v243, s35
	s_mov_b32 s39, exec_lo
	v_add_nc_u32_e32 v93, 1, v93
	v_add_nc_u32_e32 v94, -1, v94
	v_cndmask_b32_e64 v95, v93, v48, s35
	v_min_u32_e32 v94, v93, v94
	v_lshl_add_u32 v94, v94, 1, v178
	ds_read_u16 v94, v94
	s_waitcnt lgkmcnt(0)
	v_cndmask_b32_e64 v48, v91, v94, s35
	v_cmpx_lt_u32_e64 v95, v244
	s_cbranch_execz .LBB872_1882
; %bb.1879:
	v_cndmask_b32_e64 v92, v92, v93, s35
	v_cndmask_b32_e64 v244, v94, v90, s35
	s_mov_b32 s48, exec_lo
	v_cmpx_lt_u32_e64 v92, v243
	s_cbranch_execz .LBB872_1881
; %bb.1880:
	v_mov_b32_e32 v243, 1
	v_lshlrev_b32_sdwa v92, v243, v244 dst_sel:DWORD dst_unused:UNUSED_PAD src0_sel:DWORD src1_sel:WORD_0
	v_lshlrev_b32_sdwa v243, v243, v48 dst_sel:DWORD dst_unused:UNUSED_PAD src0_sel:DWORD src1_sel:WORD_0
	v_add_co_u32 v92, s8, v6, v92
	v_add_co_ci_u32_e64 v93, null, 0, v7, s8
	v_add_co_u32 v94, s8, v6, v243
	v_add_co_ci_u32_e64 v95, null, 0, v7, s8
	s_clause 0x1
	flat_load_ushort v243, v[92:93]
	flat_load_ushort v92, v[94:95]
	s_waitcnt vmcnt(0) lgkmcnt(0)
	v_cmp_lt_u16_e64 s8, v243, v92
	v_cndmask_b32_e64 v244, v48, v244, s8
.LBB872_1881:
	s_or_b32 exec_lo, exec_lo, s48
	v_mov_b32_e32 v48, v244
.LBB872_1882:
	s_or_b32 exec_lo, exec_lo, s39
	v_cndmask_b32_e64 v49, v49, v89, s38
	v_cndmask_b32_e64 v50, v50, v88, s34
	;; [unrolled: 1-line block ×4, first 2 shown]
	v_cndmask_b32_e64 v64, v64, v77, vcc_hi
	v_cndmask_b32_e64 v53, v53, v76, s95
	v_cndmask_b32_e64 v54, v54, v75, s94
	;; [unrolled: 1-line block ×26, first 2 shown]
.LBB872_1883:
	s_or_b32 exec_lo, exec_lo, s12
	v_and_b32_e32 v245, 0x380, v180
	v_and_b32_e32 v246, 0x60, v180
	s_mov_b32 s9, exec_lo
	; wave barrier
	v_or_b32_e32 v243, 64, v245
	v_min_u32_e32 v246, v179, v246
	ds_write_b16 v181, v99
	ds_write_b16 v231, v102
	;; [unrolled: 1-line block ×13, first 2 shown]
	v_min_u32_e32 v243, v179, v243
	ds_write_b16 v211, v81
	ds_write_b16 v212, v80
	;; [unrolled: 1-line block ×13, first 2 shown]
	v_add_nc_u32_e32 v244, 64, v243
	v_sub_nc_u32_e32 v40, v243, v245
	ds_write_b16 v182, v52
	ds_write_b16 v183, v51
	;; [unrolled: 1-line block ×6, first 2 shown]
	; wave barrier
	v_min_u32_e32 v244, v179, v244
	v_min_u32_e32 v40, v246, v40
	v_sub_nc_u32_e32 v247, v244, v243
	v_sub_nc_u32_e64 v247, v246, v247 clamp
	v_cmpx_lt_u32_e64 v247, v40
	s_cbranch_execz .LBB872_1887
; %bb.1884:
	v_lshlrev_b32_e32 v41, 1, v245
	v_lshlrev_b32_e32 v42, 1, v243
	s_mov_b32 s12, 0
	v_add_co_u32 v41, null, v178, v41
	v_add_co_u32 v42, null, v178, v42
	s_inst_prefetch 0x1
	.p2align	6
.LBB872_1885:                           ; =>This Inner Loop Header: Depth=1
	v_add_nc_u32_e32 v43, v40, v247
	v_lshrrev_b32_e32 v47, 1, v43
	v_and_b32_e32 v43, -2, v43
	v_xad_u32 v44, v47, -1, v246
	v_add_nc_u32_e32 v43, v41, v43
	v_lshl_add_u32 v44, v44, 1, v42
	ds_read_u16 v43, v43
	ds_read_u16 v44, v44
	s_waitcnt lgkmcnt(1)
	v_lshlrev_b32_e32 v43, 1, v43
	s_waitcnt lgkmcnt(0)
	v_lshlrev_b32_e32 v45, 1, v44
	v_add_co_u32 v43, s8, v6, v43
	v_add_co_ci_u32_e64 v44, null, 0, v7, s8
	v_add_co_u32 v45, s8, v6, v45
	v_add_co_ci_u32_e64 v46, null, 0, v7, s8
	s_clause 0x1
	flat_load_ushort v45, v[45:46]
	flat_load_ushort v43, v[43:44]
	v_add_nc_u32_e32 v44, 1, v47
	s_waitcnt vmcnt(0) lgkmcnt(0)
	v_cmp_lt_u16_e64 s8, v45, v43
	v_cndmask_b32_e64 v40, v40, v47, s8
	v_cndmask_b32_e64 v247, v44, v247, s8
	v_cmp_ge_u32_e64 s8, v247, v40
	s_or_b32 s12, s8, s12
	s_andn2_b32 exec_lo, exec_lo, s12
	s_cbranch_execnz .LBB872_1885
; %bb.1886:
	s_inst_prefetch 0x2
	s_or_b32 exec_lo, exec_lo, s12
.LBB872_1887:
	s_or_b32 exec_lo, exec_lo, s9
	v_add_nc_u32_e32 v246, v243, v246
	v_add_nc_u32_e32 v245, v247, v245
	v_sub_nc_u32_e32 v246, v246, v247
	v_cmp_le_u32_e64 s8, v245, v243
	v_cmp_le_u32_e64 s9, v246, v244
	s_or_b32 s8, s8, s9
	s_and_saveexec_b32 s12, s8
	s_cbranch_execz .LBB872_2019
; %bb.1888:
	v_cmp_ge_u32_e64 s8, v245, v243
	s_mov_b32 s13, exec_lo
                                        ; implicit-def: $vgpr99
	v_cmpx_lt_u32_e64 v245, v243
; %bb.1889:
	v_lshl_add_u32 v48, v245, 1, v178
	ds_read_u16 v99, v48
; %bb.1890:
	s_or_b32 exec_lo, exec_lo, s13
	v_cmp_ge_u32_e64 s13, v246, v244
	s_mov_b32 s57, exec_lo
                                        ; implicit-def: $vgpr103
	v_cmpx_lt_u32_e64 v246, v244
; %bb.1891:
	v_lshl_add_u32 v48, v246, 1, v178
	ds_read_u16 v103, v48
; %bb.1892:
	s_or_b32 exec_lo, exec_lo, s57
	s_nor_b32 s8, s8, s13
	s_and_saveexec_b32 s9, s8
	s_cbranch_execz .LBB872_1894
; %bb.1893:
	v_mov_b32_e32 v48, 1
	s_andn2_b32 s13, s13, exec_lo
	s_waitcnt lgkmcnt(0)
	v_lshlrev_b32_sdwa v49, v48, v103 dst_sel:DWORD dst_unused:UNUSED_PAD src0_sel:DWORD src1_sel:WORD_0
	v_lshlrev_b32_sdwa v50, v48, v99 dst_sel:DWORD dst_unused:UNUSED_PAD src0_sel:DWORD src1_sel:WORD_0
	v_add_co_u32 v48, s8, v6, v49
	v_add_co_ci_u32_e64 v49, null, 0, v7, s8
	v_add_co_u32 v50, s8, v6, v50
	v_add_co_ci_u32_e64 v51, null, 0, v7, s8
	s_clause 0x1
	flat_load_ushort v48, v[48:49]
	flat_load_ushort v49, v[50:51]
	s_waitcnt vmcnt(0) lgkmcnt(0)
	v_cmp_ge_u16_e64 s8, v48, v49
	s_and_b32 s8, s8, exec_lo
	s_or_b32 s13, s13, s8
.LBB872_1894:
	s_or_b32 exec_lo, exec_lo, s9
	v_cndmask_b32_e64 v48, v246, v245, s13
	v_cndmask_b32_e64 v49, v244, v243, s13
	s_mov_b32 s57, -1
	s_mov_b32 s9, -1
	s_mov_b32 s58, exec_lo
	v_add_nc_u32_e32 v50, 1, v48
	v_add_nc_u32_e32 v48, -1, v49
	v_cndmask_b32_e64 v49, v245, v50, s13
	v_min_u32_e32 v48, v50, v48
	v_lshl_add_u32 v48, v48, 1, v178
	ds_read_u16 v51, v48
	v_cndmask_b32_e64 v48, v50, v246, s13
	s_waitcnt lgkmcnt(0)
	v_cndmask_b32_e64 v102, v51, v103, s13
	v_cndmask_b32_e64 v245, v99, v51, s13
	v_cmpx_lt_u32_e64 v48, v244
	s_cbranch_execz .LBB872_1898
; %bb.1895:
	s_mov_b32 s59, 0
	s_mov_b32 s9, exec_lo
	v_cmpx_lt_u32_e64 v49, v243
	s_cbranch_execz .LBB872_1897
; %bb.1896:
	v_mov_b32_e32 v50, 1
	v_lshlrev_b32_sdwa v51, v50, v102 dst_sel:DWORD dst_unused:UNUSED_PAD src0_sel:DWORD src1_sel:WORD_0
	v_lshlrev_b32_sdwa v52, v50, v245 dst_sel:DWORD dst_unused:UNUSED_PAD src0_sel:DWORD src1_sel:WORD_0
	v_add_co_u32 v50, s8, v6, v51
	v_add_co_ci_u32_e64 v51, null, 0, v7, s8
	v_add_co_u32 v52, s8, v6, v52
	v_add_co_ci_u32_e64 v53, null, 0, v7, s8
	s_clause 0x1
	flat_load_ushort v50, v[50:51]
	flat_load_ushort v51, v[52:53]
	s_waitcnt vmcnt(0) lgkmcnt(0)
	v_cmp_ge_u16_e64 s8, v50, v51
	s_and_b32 s59, s8, exec_lo
.LBB872_1897:
	s_or_b32 exec_lo, exec_lo, s9
	s_orn2_b32 s9, s59, exec_lo
.LBB872_1898:
	s_or_b32 exec_lo, exec_lo, s58
	v_cndmask_b32_e64 v50, v48, v49, s9
	v_cndmask_b32_e64 v51, v244, v243, s9
	s_mov_b32 s58, exec_lo
	v_add_nc_u32_e32 v50, 1, v50
	v_add_nc_u32_e32 v51, -1, v51
	v_cndmask_b32_e64 v48, v50, v48, s9
	v_min_u32_e32 v51, v50, v51
	v_cndmask_b32_e64 v49, v49, v50, s9
	v_lshl_add_u32 v51, v51, 1, v178
	ds_read_u16 v51, v51
	s_waitcnt lgkmcnt(0)
	v_cndmask_b32_e64 v101, v51, v102, s9
	v_cndmask_b32_e64 v246, v245, v51, s9
	v_cmpx_lt_u32_e64 v48, v244
	s_cbranch_execz .LBB872_1902
; %bb.1899:
	s_mov_b32 s59, 0
	s_mov_b32 s57, exec_lo
	v_cmpx_lt_u32_e64 v49, v243
	s_cbranch_execz .LBB872_1901
; %bb.1900:
	v_mov_b32_e32 v50, 1
	v_lshlrev_b32_sdwa v51, v50, v101 dst_sel:DWORD dst_unused:UNUSED_PAD src0_sel:DWORD src1_sel:WORD_0
	v_lshlrev_b32_sdwa v52, v50, v246 dst_sel:DWORD dst_unused:UNUSED_PAD src0_sel:DWORD src1_sel:WORD_0
	v_add_co_u32 v50, s8, v6, v51
	v_add_co_ci_u32_e64 v51, null, 0, v7, s8
	v_add_co_u32 v52, s8, v6, v52
	v_add_co_ci_u32_e64 v53, null, 0, v7, s8
	s_clause 0x1
	flat_load_ushort v50, v[50:51]
	flat_load_ushort v51, v[52:53]
	s_waitcnt vmcnt(0) lgkmcnt(0)
	v_cmp_ge_u16_e64 s8, v50, v51
	s_and_b32 s59, s8, exec_lo
.LBB872_1901:
	s_or_b32 exec_lo, exec_lo, s57
	s_orn2_b32 s57, s59, exec_lo
.LBB872_1902:
	s_or_b32 exec_lo, exec_lo, s58
	v_cndmask_b32_e64 v50, v48, v49, s57
	v_cndmask_b32_e64 v51, v244, v243, s57
	s_mov_b32 s59, -1
	s_mov_b32 s58, -1
	s_mov_b32 s60, exec_lo
	v_add_nc_u32_e32 v50, 1, v50
	v_add_nc_u32_e32 v51, -1, v51
	v_cndmask_b32_e64 v48, v50, v48, s57
	v_min_u32_e32 v51, v50, v51
	v_cndmask_b32_e64 v49, v49, v50, s57
	v_lshl_add_u32 v51, v51, 1, v178
	ds_read_u16 v51, v51
	s_waitcnt lgkmcnt(0)
	v_cndmask_b32_e64 v100, v51, v101, s57
	v_cndmask_b32_e64 v247, v246, v51, s57
	v_cmpx_lt_u32_e64 v48, v244
	s_cbranch_execz .LBB872_1906
; %bb.1903:
	s_mov_b32 s61, 0
	s_mov_b32 s58, exec_lo
	v_cmpx_lt_u32_e64 v49, v243
	s_cbranch_execz .LBB872_1905
; %bb.1904:
	v_mov_b32_e32 v50, 1
	v_lshlrev_b32_sdwa v51, v50, v100 dst_sel:DWORD dst_unused:UNUSED_PAD src0_sel:DWORD src1_sel:WORD_0
	v_lshlrev_b32_sdwa v52, v50, v247 dst_sel:DWORD dst_unused:UNUSED_PAD src0_sel:DWORD src1_sel:WORD_0
	v_add_co_u32 v50, s8, v6, v51
	v_add_co_ci_u32_e64 v51, null, 0, v7, s8
	v_add_co_u32 v52, s8, v6, v52
	v_add_co_ci_u32_e64 v53, null, 0, v7, s8
	s_clause 0x1
	flat_load_ushort v50, v[50:51]
	flat_load_ushort v51, v[52:53]
	s_waitcnt vmcnt(0) lgkmcnt(0)
	v_cmp_ge_u16_e64 s8, v50, v51
	s_and_b32 s61, s8, exec_lo
.LBB872_1905:
	s_or_b32 exec_lo, exec_lo, s58
	s_orn2_b32 s58, s61, exec_lo
.LBB872_1906:
	s_or_b32 exec_lo, exec_lo, s60
	v_cndmask_b32_e64 v50, v48, v49, s58
	v_cndmask_b32_e64 v51, v244, v243, s58
	s_mov_b32 s60, exec_lo
	v_add_nc_u32_e32 v50, 1, v50
	v_add_nc_u32_e32 v51, -1, v51
	v_cndmask_b32_e64 v48, v50, v48, s58
	v_min_u32_e32 v51, v50, v51
	v_cndmask_b32_e64 v49, v49, v50, s58
	v_lshl_add_u32 v51, v51, 1, v178
	ds_read_u16 v51, v51
	s_waitcnt lgkmcnt(0)
	v_cndmask_b32_e64 v98, v51, v100, s58
	v_cndmask_b32_e64 v40, v247, v51, s58
	v_cmpx_lt_u32_e64 v48, v244
	s_cbranch_execz .LBB872_1910
; %bb.1907:
	s_mov_b32 s61, 0
	s_mov_b32 s59, exec_lo
	v_cmpx_lt_u32_e64 v49, v243
	s_cbranch_execz .LBB872_1909
; %bb.1908:
	v_mov_b32_e32 v50, 1
	v_lshlrev_b32_sdwa v51, v50, v98 dst_sel:DWORD dst_unused:UNUSED_PAD src0_sel:DWORD src1_sel:WORD_0
	v_lshlrev_b32_sdwa v52, v50, v40 dst_sel:DWORD dst_unused:UNUSED_PAD src0_sel:DWORD src1_sel:WORD_0
	v_add_co_u32 v50, s8, v6, v51
	v_add_co_ci_u32_e64 v51, null, 0, v7, s8
	v_add_co_u32 v52, s8, v6, v52
	v_add_co_ci_u32_e64 v53, null, 0, v7, s8
	s_clause 0x1
	flat_load_ushort v50, v[50:51]
	flat_load_ushort v51, v[52:53]
	s_waitcnt vmcnt(0) lgkmcnt(0)
	v_cmp_ge_u16_e64 s8, v50, v51
	s_and_b32 s61, s8, exec_lo
.LBB872_1909:
	s_or_b32 exec_lo, exec_lo, s59
	s_orn2_b32 s59, s61, exec_lo
.LBB872_1910:
	s_or_b32 exec_lo, exec_lo, s60
	v_cndmask_b32_e64 v50, v48, v49, s59
	v_cndmask_b32_e64 v51, v244, v243, s59
	s_mov_b32 s61, -1
	s_mov_b32 s60, -1
	s_mov_b32 s62, exec_lo
	v_add_nc_u32_e32 v50, 1, v50
	v_add_nc_u32_e32 v51, -1, v51
	v_cndmask_b32_e64 v48, v50, v48, s59
	v_min_u32_e32 v51, v50, v51
	v_cndmask_b32_e64 v49, v49, v50, s59
	v_lshl_add_u32 v51, v51, 1, v178
	ds_read_u16 v51, v51
	s_waitcnt lgkmcnt(0)
	v_cndmask_b32_e64 v97, v51, v98, s59
	v_cndmask_b32_e64 v41, v40, v51, s59
	v_cmpx_lt_u32_e64 v48, v244
	s_cbranch_execz .LBB872_1914
; %bb.1911:
	s_mov_b32 s63, 0
	s_mov_b32 s60, exec_lo
	v_cmpx_lt_u32_e64 v49, v243
	s_cbranch_execz .LBB872_1913
; %bb.1912:
	v_mov_b32_e32 v50, 1
	v_lshlrev_b32_sdwa v51, v50, v97 dst_sel:DWORD dst_unused:UNUSED_PAD src0_sel:DWORD src1_sel:WORD_0
	v_lshlrev_b32_sdwa v52, v50, v41 dst_sel:DWORD dst_unused:UNUSED_PAD src0_sel:DWORD src1_sel:WORD_0
	v_add_co_u32 v50, s8, v6, v51
	v_add_co_ci_u32_e64 v51, null, 0, v7, s8
	v_add_co_u32 v52, s8, v6, v52
	v_add_co_ci_u32_e64 v53, null, 0, v7, s8
	s_clause 0x1
	flat_load_ushort v50, v[50:51]
	flat_load_ushort v51, v[52:53]
	s_waitcnt vmcnt(0) lgkmcnt(0)
	v_cmp_ge_u16_e64 s8, v50, v51
	s_and_b32 s63, s8, exec_lo
.LBB872_1913:
	s_or_b32 exec_lo, exec_lo, s60
	s_orn2_b32 s60, s63, exec_lo
.LBB872_1914:
	s_or_b32 exec_lo, exec_lo, s62
	v_cndmask_b32_e64 v50, v48, v49, s60
	v_cndmask_b32_e64 v51, v244, v243, s60
	s_mov_b32 s62, exec_lo
	v_add_nc_u32_e32 v50, 1, v50
	v_add_nc_u32_e32 v51, -1, v51
	v_cndmask_b32_e64 v48, v50, v48, s60
	v_min_u32_e32 v51, v50, v51
	v_cndmask_b32_e64 v49, v49, v50, s60
	v_lshl_add_u32 v51, v51, 1, v178
	ds_read_u16 v51, v51
	s_waitcnt lgkmcnt(0)
	v_cndmask_b32_e64 v96, v51, v97, s60
	v_cndmask_b32_e64 v42, v41, v51, s60
	v_cmpx_lt_u32_e64 v48, v244
	s_cbranch_execz .LBB872_1918
; %bb.1915:
	s_mov_b32 s63, 0
	s_mov_b32 s61, exec_lo
	v_cmpx_lt_u32_e64 v49, v243
	s_cbranch_execz .LBB872_1917
; %bb.1916:
	v_mov_b32_e32 v50, 1
	v_lshlrev_b32_sdwa v51, v50, v96 dst_sel:DWORD dst_unused:UNUSED_PAD src0_sel:DWORD src1_sel:WORD_0
	v_lshlrev_b32_sdwa v52, v50, v42 dst_sel:DWORD dst_unused:UNUSED_PAD src0_sel:DWORD src1_sel:WORD_0
	v_add_co_u32 v50, s8, v6, v51
	v_add_co_ci_u32_e64 v51, null, 0, v7, s8
	v_add_co_u32 v52, s8, v6, v52
	v_add_co_ci_u32_e64 v53, null, 0, v7, s8
	s_clause 0x1
	flat_load_ushort v50, v[50:51]
	flat_load_ushort v51, v[52:53]
	s_waitcnt vmcnt(0) lgkmcnt(0)
	v_cmp_ge_u16_e64 s8, v50, v51
	s_and_b32 s63, s8, exec_lo
.LBB872_1917:
	s_or_b32 exec_lo, exec_lo, s61
	s_orn2_b32 s61, s63, exec_lo
.LBB872_1918:
	s_or_b32 exec_lo, exec_lo, s62
	v_cndmask_b32_e64 v50, v48, v49, s61
	v_cndmask_b32_e64 v51, v244, v243, s61
	s_mov_b32 s63, -1
	s_mov_b32 s62, -1
	s_mov_b32 s72, exec_lo
	v_add_nc_u32_e32 v50, 1, v50
	v_add_nc_u32_e32 v51, -1, v51
	v_cndmask_b32_e64 v48, v50, v48, s61
	v_min_u32_e32 v51, v50, v51
	v_cndmask_b32_e64 v49, v49, v50, s61
	v_lshl_add_u32 v51, v51, 1, v178
	ds_read_u16 v51, v51
	s_waitcnt lgkmcnt(0)
	v_cndmask_b32_e64 v87, v51, v96, s61
	v_cndmask_b32_e64 v43, v42, v51, s61
	v_cmpx_lt_u32_e64 v48, v244
	s_cbranch_execz .LBB872_1922
; %bb.1919:
	s_mov_b32 s73, 0
	s_mov_b32 s62, exec_lo
	v_cmpx_lt_u32_e64 v49, v243
	s_cbranch_execz .LBB872_1921
; %bb.1920:
	v_mov_b32_e32 v50, 1
	v_lshlrev_b32_sdwa v51, v50, v87 dst_sel:DWORD dst_unused:UNUSED_PAD src0_sel:DWORD src1_sel:WORD_0
	v_lshlrev_b32_sdwa v52, v50, v43 dst_sel:DWORD dst_unused:UNUSED_PAD src0_sel:DWORD src1_sel:WORD_0
	v_add_co_u32 v50, s8, v6, v51
	v_add_co_ci_u32_e64 v51, null, 0, v7, s8
	v_add_co_u32 v52, s8, v6, v52
	v_add_co_ci_u32_e64 v53, null, 0, v7, s8
	s_clause 0x1
	flat_load_ushort v50, v[50:51]
	flat_load_ushort v51, v[52:53]
	s_waitcnt vmcnt(0) lgkmcnt(0)
	v_cmp_ge_u16_e64 s8, v50, v51
	s_and_b32 s73, s8, exec_lo
.LBB872_1921:
	s_or_b32 exec_lo, exec_lo, s62
	s_orn2_b32 s62, s73, exec_lo
.LBB872_1922:
	s_or_b32 exec_lo, exec_lo, s72
	v_cndmask_b32_e64 v50, v48, v49, s62
	v_cndmask_b32_e64 v51, v244, v243, s62
	s_mov_b32 s72, exec_lo
	v_add_nc_u32_e32 v50, 1, v50
	v_add_nc_u32_e32 v51, -1, v51
	v_cndmask_b32_e64 v48, v50, v48, s62
	v_min_u32_e32 v51, v50, v51
	v_cndmask_b32_e64 v49, v49, v50, s62
	v_lshl_add_u32 v51, v51, 1, v178
	ds_read_u16 v51, v51
	s_waitcnt lgkmcnt(0)
	v_cndmask_b32_e64 v86, v51, v87, s62
	v_cndmask_b32_e64 v44, v43, v51, s62
	v_cmpx_lt_u32_e64 v48, v244
	s_cbranch_execz .LBB872_1926
; %bb.1923:
	s_mov_b32 s73, 0
	s_mov_b32 s63, exec_lo
	v_cmpx_lt_u32_e64 v49, v243
	s_cbranch_execz .LBB872_1925
; %bb.1924:
	v_mov_b32_e32 v50, 1
	v_lshlrev_b32_sdwa v51, v50, v86 dst_sel:DWORD dst_unused:UNUSED_PAD src0_sel:DWORD src1_sel:WORD_0
	v_lshlrev_b32_sdwa v52, v50, v44 dst_sel:DWORD dst_unused:UNUSED_PAD src0_sel:DWORD src1_sel:WORD_0
	v_add_co_u32 v50, s8, v6, v51
	v_add_co_ci_u32_e64 v51, null, 0, v7, s8
	v_add_co_u32 v52, s8, v6, v52
	v_add_co_ci_u32_e64 v53, null, 0, v7, s8
	s_clause 0x1
	flat_load_ushort v50, v[50:51]
	flat_load_ushort v51, v[52:53]
	s_waitcnt vmcnt(0) lgkmcnt(0)
	v_cmp_ge_u16_e64 s8, v50, v51
	s_and_b32 s73, s8, exec_lo
.LBB872_1925:
	s_or_b32 exec_lo, exec_lo, s63
	s_orn2_b32 s63, s73, exec_lo
.LBB872_1926:
	s_or_b32 exec_lo, exec_lo, s72
	v_cndmask_b32_e64 v50, v48, v49, s63
	v_cndmask_b32_e64 v51, v244, v243, s63
	s_mov_b32 s73, -1
	s_mov_b32 s72, -1
	s_mov_b32 s74, exec_lo
	v_add_nc_u32_e32 v50, 1, v50
	v_add_nc_u32_e32 v51, -1, v51
	v_cndmask_b32_e64 v48, v50, v48, s63
	v_min_u32_e32 v51, v50, v51
	v_cndmask_b32_e64 v49, v49, v50, s63
	v_lshl_add_u32 v51, v51, 1, v178
	ds_read_u16 v51, v51
	s_waitcnt lgkmcnt(0)
	v_cndmask_b32_e64 v85, v51, v86, s63
	v_cndmask_b32_e64 v45, v44, v51, s63
	v_cmpx_lt_u32_e64 v48, v244
	s_cbranch_execz .LBB872_1930
; %bb.1927:
	s_mov_b32 s75, 0
	s_mov_b32 s72, exec_lo
	v_cmpx_lt_u32_e64 v49, v243
	s_cbranch_execz .LBB872_1929
; %bb.1928:
	v_mov_b32_e32 v50, 1
	v_lshlrev_b32_sdwa v51, v50, v85 dst_sel:DWORD dst_unused:UNUSED_PAD src0_sel:DWORD src1_sel:WORD_0
	v_lshlrev_b32_sdwa v52, v50, v45 dst_sel:DWORD dst_unused:UNUSED_PAD src0_sel:DWORD src1_sel:WORD_0
	v_add_co_u32 v50, s8, v6, v51
	v_add_co_ci_u32_e64 v51, null, 0, v7, s8
	v_add_co_u32 v52, s8, v6, v52
	v_add_co_ci_u32_e64 v53, null, 0, v7, s8
	s_clause 0x1
	flat_load_ushort v50, v[50:51]
	flat_load_ushort v51, v[52:53]
	s_waitcnt vmcnt(0) lgkmcnt(0)
	v_cmp_ge_u16_e64 s8, v50, v51
	s_and_b32 s75, s8, exec_lo
.LBB872_1929:
	s_or_b32 exec_lo, exec_lo, s72
	s_orn2_b32 s72, s75, exec_lo
.LBB872_1930:
	s_or_b32 exec_lo, exec_lo, s74
	v_cndmask_b32_e64 v50, v48, v49, s72
	v_cndmask_b32_e64 v51, v244, v243, s72
	s_mov_b32 s74, exec_lo
	v_add_nc_u32_e32 v50, 1, v50
	v_add_nc_u32_e32 v51, -1, v51
	v_cndmask_b32_e64 v48, v50, v48, s72
	v_min_u32_e32 v51, v50, v51
	v_cndmask_b32_e64 v49, v49, v50, s72
	v_lshl_add_u32 v51, v51, 1, v178
	ds_read_u16 v51, v51
	s_waitcnt lgkmcnt(0)
	v_cndmask_b32_e64 v84, v51, v85, s72
	v_cndmask_b32_e64 v46, v45, v51, s72
	v_cmpx_lt_u32_e64 v48, v244
	s_cbranch_execz .LBB872_1934
; %bb.1931:
	s_mov_b32 s75, 0
	s_mov_b32 s73, exec_lo
	v_cmpx_lt_u32_e64 v49, v243
	s_cbranch_execz .LBB872_1933
; %bb.1932:
	v_mov_b32_e32 v50, 1
	v_lshlrev_b32_sdwa v51, v50, v84 dst_sel:DWORD dst_unused:UNUSED_PAD src0_sel:DWORD src1_sel:WORD_0
	v_lshlrev_b32_sdwa v52, v50, v46 dst_sel:DWORD dst_unused:UNUSED_PAD src0_sel:DWORD src1_sel:WORD_0
	v_add_co_u32 v50, s8, v6, v51
	v_add_co_ci_u32_e64 v51, null, 0, v7, s8
	v_add_co_u32 v52, s8, v6, v52
	v_add_co_ci_u32_e64 v53, null, 0, v7, s8
	s_clause 0x1
	flat_load_ushort v50, v[50:51]
	flat_load_ushort v51, v[52:53]
	s_waitcnt vmcnt(0) lgkmcnt(0)
	v_cmp_ge_u16_e64 s8, v50, v51
	s_and_b32 s75, s8, exec_lo
.LBB872_1933:
	s_or_b32 exec_lo, exec_lo, s73
	s_orn2_b32 s73, s75, exec_lo
.LBB872_1934:
	s_or_b32 exec_lo, exec_lo, s74
	v_cndmask_b32_e64 v50, v48, v49, s73
	v_cndmask_b32_e64 v51, v244, v243, s73
	s_mov_b32 s75, -1
	s_mov_b32 s74, -1
	s_mov_b32 s76, exec_lo
	v_add_nc_u32_e32 v50, 1, v50
	v_add_nc_u32_e32 v51, -1, v51
	v_cndmask_b32_e64 v48, v50, v48, s73
	v_min_u32_e32 v51, v50, v51
	v_cndmask_b32_e64 v49, v49, v50, s73
	v_lshl_add_u32 v51, v51, 1, v178
	ds_read_u16 v51, v51
	s_waitcnt lgkmcnt(0)
	v_cndmask_b32_e64 v83, v51, v84, s73
	v_cndmask_b32_e64 v47, v46, v51, s73
	v_cmpx_lt_u32_e64 v48, v244
	s_cbranch_execz .LBB872_1938
; %bb.1935:
	s_mov_b32 s77, 0
	s_mov_b32 s74, exec_lo
	v_cmpx_lt_u32_e64 v49, v243
	s_cbranch_execz .LBB872_1937
; %bb.1936:
	v_mov_b32_e32 v50, 1
	v_lshlrev_b32_sdwa v51, v50, v83 dst_sel:DWORD dst_unused:UNUSED_PAD src0_sel:DWORD src1_sel:WORD_0
	v_lshlrev_b32_sdwa v52, v50, v47 dst_sel:DWORD dst_unused:UNUSED_PAD src0_sel:DWORD src1_sel:WORD_0
	v_add_co_u32 v50, s8, v6, v51
	v_add_co_ci_u32_e64 v51, null, 0, v7, s8
	v_add_co_u32 v52, s8, v6, v52
	v_add_co_ci_u32_e64 v53, null, 0, v7, s8
	s_clause 0x1
	flat_load_ushort v50, v[50:51]
	flat_load_ushort v51, v[52:53]
	s_waitcnt vmcnt(0) lgkmcnt(0)
	v_cmp_ge_u16_e64 s8, v50, v51
	s_and_b32 s77, s8, exec_lo
.LBB872_1937:
	s_or_b32 exec_lo, exec_lo, s74
	s_orn2_b32 s74, s77, exec_lo
.LBB872_1938:
	s_or_b32 exec_lo, exec_lo, s76
	v_cndmask_b32_e64 v50, v48, v49, s74
	v_cndmask_b32_e64 v51, v244, v243, s74
	s_mov_b32 s76, exec_lo
	v_add_nc_u32_e32 v50, 1, v50
	v_add_nc_u32_e32 v51, -1, v51
	v_cndmask_b32_e64 v48, v50, v48, s74
	v_min_u32_e32 v51, v50, v51
	v_cndmask_b32_e64 v49, v49, v50, s74
	v_lshl_add_u32 v51, v51, 1, v178
	ds_read_u16 v51, v51
	s_waitcnt lgkmcnt(0)
	v_cndmask_b32_e64 v82, v51, v83, s74
	v_cndmask_b32_e64 v56, v47, v51, s74
	v_cmpx_lt_u32_e64 v48, v244
	s_cbranch_execz .LBB872_1942
; %bb.1939:
	s_mov_b32 s77, 0
	s_mov_b32 s75, exec_lo
	v_cmpx_lt_u32_e64 v49, v243
	s_cbranch_execz .LBB872_1941
; %bb.1940:
	v_mov_b32_e32 v50, 1
	v_lshlrev_b32_sdwa v51, v50, v82 dst_sel:DWORD dst_unused:UNUSED_PAD src0_sel:DWORD src1_sel:WORD_0
	v_lshlrev_b32_sdwa v52, v50, v56 dst_sel:DWORD dst_unused:UNUSED_PAD src0_sel:DWORD src1_sel:WORD_0
	v_add_co_u32 v50, s8, v6, v51
	v_add_co_ci_u32_e64 v51, null, 0, v7, s8
	v_add_co_u32 v52, s8, v6, v52
	v_add_co_ci_u32_e64 v53, null, 0, v7, s8
	s_clause 0x1
	flat_load_ushort v50, v[50:51]
	flat_load_ushort v51, v[52:53]
	s_waitcnt vmcnt(0) lgkmcnt(0)
	v_cmp_ge_u16_e64 s8, v50, v51
	s_and_b32 s77, s8, exec_lo
.LBB872_1941:
	s_or_b32 exec_lo, exec_lo, s75
	s_orn2_b32 s75, s77, exec_lo
.LBB872_1942:
	s_or_b32 exec_lo, exec_lo, s76
	v_cndmask_b32_e64 v50, v48, v49, s75
	v_cndmask_b32_e64 v51, v244, v243, s75
	s_mov_b32 s77, -1
	s_mov_b32 s76, -1
	s_mov_b32 s78, exec_lo
	v_add_nc_u32_e32 v50, 1, v50
	v_add_nc_u32_e32 v51, -1, v51
	v_cndmask_b32_e64 v48, v50, v48, s75
	v_min_u32_e32 v51, v50, v51
	v_cndmask_b32_e64 v49, v49, v50, s75
	v_lshl_add_u32 v51, v51, 1, v178
	ds_read_u16 v51, v51
	s_waitcnt lgkmcnt(0)
	v_cndmask_b32_e64 v81, v51, v82, s75
	v_cndmask_b32_e64 v57, v56, v51, s75
	v_cmpx_lt_u32_e64 v48, v244
	s_cbranch_execz .LBB872_1946
; %bb.1943:
	s_mov_b32 s79, 0
	s_mov_b32 s76, exec_lo
	v_cmpx_lt_u32_e64 v49, v243
	s_cbranch_execz .LBB872_1945
; %bb.1944:
	v_mov_b32_e32 v50, 1
	v_lshlrev_b32_sdwa v51, v50, v81 dst_sel:DWORD dst_unused:UNUSED_PAD src0_sel:DWORD src1_sel:WORD_0
	v_lshlrev_b32_sdwa v52, v50, v57 dst_sel:DWORD dst_unused:UNUSED_PAD src0_sel:DWORD src1_sel:WORD_0
	v_add_co_u32 v50, s8, v6, v51
	v_add_co_ci_u32_e64 v51, null, 0, v7, s8
	v_add_co_u32 v52, s8, v6, v52
	v_add_co_ci_u32_e64 v53, null, 0, v7, s8
	s_clause 0x1
	flat_load_ushort v50, v[50:51]
	flat_load_ushort v51, v[52:53]
	s_waitcnt vmcnt(0) lgkmcnt(0)
	v_cmp_ge_u16_e64 s8, v50, v51
	s_and_b32 s79, s8, exec_lo
.LBB872_1945:
	s_or_b32 exec_lo, exec_lo, s76
	s_orn2_b32 s76, s79, exec_lo
.LBB872_1946:
	s_or_b32 exec_lo, exec_lo, s78
	v_cndmask_b32_e64 v50, v48, v49, s76
	v_cndmask_b32_e64 v51, v244, v243, s76
	s_mov_b32 s78, exec_lo
	v_add_nc_u32_e32 v50, 1, v50
	v_add_nc_u32_e32 v51, -1, v51
	v_cndmask_b32_e64 v48, v50, v48, s76
	v_min_u32_e32 v51, v50, v51
	v_cndmask_b32_e64 v49, v49, v50, s76
	v_lshl_add_u32 v51, v51, 1, v178
	ds_read_u16 v51, v51
	s_waitcnt lgkmcnt(0)
	v_cndmask_b32_e64 v80, v51, v81, s76
	v_cndmask_b32_e64 v58, v57, v51, s76
	v_cmpx_lt_u32_e64 v48, v244
	s_cbranch_execz .LBB872_1950
; %bb.1947:
	s_mov_b32 s79, 0
	s_mov_b32 s77, exec_lo
	v_cmpx_lt_u32_e64 v49, v243
	s_cbranch_execz .LBB872_1949
; %bb.1948:
	v_mov_b32_e32 v50, 1
	v_lshlrev_b32_sdwa v51, v50, v80 dst_sel:DWORD dst_unused:UNUSED_PAD src0_sel:DWORD src1_sel:WORD_0
	v_lshlrev_b32_sdwa v52, v50, v58 dst_sel:DWORD dst_unused:UNUSED_PAD src0_sel:DWORD src1_sel:WORD_0
	v_add_co_u32 v50, s8, v6, v51
	v_add_co_ci_u32_e64 v51, null, 0, v7, s8
	v_add_co_u32 v52, s8, v6, v52
	v_add_co_ci_u32_e64 v53, null, 0, v7, s8
	s_clause 0x1
	flat_load_ushort v50, v[50:51]
	flat_load_ushort v51, v[52:53]
	s_waitcnt vmcnt(0) lgkmcnt(0)
	v_cmp_ge_u16_e64 s8, v50, v51
	s_and_b32 s79, s8, exec_lo
.LBB872_1949:
	s_or_b32 exec_lo, exec_lo, s77
	s_orn2_b32 s77, s79, exec_lo
.LBB872_1950:
	s_or_b32 exec_lo, exec_lo, s78
	v_cndmask_b32_e64 v50, v48, v49, s77
	v_cndmask_b32_e64 v51, v244, v243, s77
	s_mov_b32 s79, -1
	s_mov_b32 s78, -1
	s_mov_b32 s88, exec_lo
	v_add_nc_u32_e32 v50, 1, v50
	v_add_nc_u32_e32 v51, -1, v51
	v_cndmask_b32_e64 v48, v50, v48, s77
	v_min_u32_e32 v51, v50, v51
	v_cndmask_b32_e64 v49, v49, v50, s77
	v_lshl_add_u32 v51, v51, 1, v178
	ds_read_u16 v51, v51
	s_waitcnt lgkmcnt(0)
	v_cndmask_b32_e64 v71, v51, v80, s77
	v_cndmask_b32_e64 v59, v58, v51, s77
	v_cmpx_lt_u32_e64 v48, v244
	s_cbranch_execz .LBB872_1954
; %bb.1951:
	s_mov_b32 s89, 0
	s_mov_b32 s78, exec_lo
	v_cmpx_lt_u32_e64 v49, v243
	s_cbranch_execz .LBB872_1953
; %bb.1952:
	v_mov_b32_e32 v50, 1
	v_lshlrev_b32_sdwa v51, v50, v71 dst_sel:DWORD dst_unused:UNUSED_PAD src0_sel:DWORD src1_sel:WORD_0
	v_lshlrev_b32_sdwa v52, v50, v59 dst_sel:DWORD dst_unused:UNUSED_PAD src0_sel:DWORD src1_sel:WORD_0
	v_add_co_u32 v50, s8, v6, v51
	v_add_co_ci_u32_e64 v51, null, 0, v7, s8
	v_add_co_u32 v52, s8, v6, v52
	v_add_co_ci_u32_e64 v53, null, 0, v7, s8
	s_clause 0x1
	flat_load_ushort v50, v[50:51]
	flat_load_ushort v51, v[52:53]
	s_waitcnt vmcnt(0) lgkmcnt(0)
	v_cmp_ge_u16_e64 s8, v50, v51
	s_and_b32 s89, s8, exec_lo
.LBB872_1953:
	s_or_b32 exec_lo, exec_lo, s78
	s_orn2_b32 s78, s89, exec_lo
.LBB872_1954:
	s_or_b32 exec_lo, exec_lo, s88
	v_cndmask_b32_e64 v50, v48, v49, s78
	v_cndmask_b32_e64 v51, v244, v243, s78
	s_mov_b32 s88, exec_lo
	v_add_nc_u32_e32 v50, 1, v50
	v_add_nc_u32_e32 v51, -1, v51
	v_cndmask_b32_e64 v48, v50, v48, s78
	v_min_u32_e32 v51, v50, v51
	v_cndmask_b32_e64 v49, v49, v50, s78
	v_lshl_add_u32 v51, v51, 1, v178
	ds_read_u16 v51, v51
	s_waitcnt lgkmcnt(0)
	v_cndmask_b32_e64 v70, v51, v71, s78
	v_cndmask_b32_e64 v60, v59, v51, s78
	v_cmpx_lt_u32_e64 v48, v244
	s_cbranch_execz .LBB872_1958
; %bb.1955:
	s_mov_b32 s89, 0
	s_mov_b32 s79, exec_lo
	v_cmpx_lt_u32_e64 v49, v243
	s_cbranch_execz .LBB872_1957
; %bb.1956:
	v_mov_b32_e32 v50, 1
	v_lshlrev_b32_sdwa v51, v50, v70 dst_sel:DWORD dst_unused:UNUSED_PAD src0_sel:DWORD src1_sel:WORD_0
	v_lshlrev_b32_sdwa v52, v50, v60 dst_sel:DWORD dst_unused:UNUSED_PAD src0_sel:DWORD src1_sel:WORD_0
	v_add_co_u32 v50, s8, v6, v51
	v_add_co_ci_u32_e64 v51, null, 0, v7, s8
	v_add_co_u32 v52, s8, v6, v52
	v_add_co_ci_u32_e64 v53, null, 0, v7, s8
	s_clause 0x1
	flat_load_ushort v50, v[50:51]
	flat_load_ushort v51, v[52:53]
	s_waitcnt vmcnt(0) lgkmcnt(0)
	v_cmp_ge_u16_e64 s8, v50, v51
	s_and_b32 s89, s8, exec_lo
.LBB872_1957:
	s_or_b32 exec_lo, exec_lo, s79
	s_orn2_b32 s79, s89, exec_lo
.LBB872_1958:
	s_or_b32 exec_lo, exec_lo, s88
	v_cndmask_b32_e64 v50, v48, v49, s79
	v_cndmask_b32_e64 v51, v244, v243, s79
	s_mov_b32 s89, -1
	s_mov_b32 s88, -1
	s_mov_b32 s90, exec_lo
	v_add_nc_u32_e32 v50, 1, v50
	v_add_nc_u32_e32 v51, -1, v51
	v_cndmask_b32_e64 v48, v50, v48, s79
	v_min_u32_e32 v51, v50, v51
	v_cndmask_b32_e64 v49, v49, v50, s79
	v_lshl_add_u32 v51, v51, 1, v178
	ds_read_u16 v51, v51
	s_waitcnt lgkmcnt(0)
	v_cndmask_b32_e64 v69, v51, v70, s79
	v_cndmask_b32_e64 v61, v60, v51, s79
	v_cmpx_lt_u32_e64 v48, v244
	s_cbranch_execz .LBB872_1962
; %bb.1959:
	s_mov_b32 s91, 0
	s_mov_b32 s88, exec_lo
	v_cmpx_lt_u32_e64 v49, v243
	s_cbranch_execz .LBB872_1961
; %bb.1960:
	v_mov_b32_e32 v50, 1
	v_lshlrev_b32_sdwa v51, v50, v69 dst_sel:DWORD dst_unused:UNUSED_PAD src0_sel:DWORD src1_sel:WORD_0
	v_lshlrev_b32_sdwa v52, v50, v61 dst_sel:DWORD dst_unused:UNUSED_PAD src0_sel:DWORD src1_sel:WORD_0
	v_add_co_u32 v50, s8, v6, v51
	v_add_co_ci_u32_e64 v51, null, 0, v7, s8
	v_add_co_u32 v52, s8, v6, v52
	v_add_co_ci_u32_e64 v53, null, 0, v7, s8
	s_clause 0x1
	flat_load_ushort v50, v[50:51]
	flat_load_ushort v51, v[52:53]
	s_waitcnt vmcnt(0) lgkmcnt(0)
	v_cmp_ge_u16_e64 s8, v50, v51
	s_and_b32 s91, s8, exec_lo
.LBB872_1961:
	s_or_b32 exec_lo, exec_lo, s88
	s_orn2_b32 s88, s91, exec_lo
.LBB872_1962:
	s_or_b32 exec_lo, exec_lo, s90
	v_cndmask_b32_e64 v50, v48, v49, s88
	v_cndmask_b32_e64 v51, v244, v243, s88
	s_mov_b32 s90, exec_lo
	v_add_nc_u32_e32 v50, 1, v50
	v_add_nc_u32_e32 v51, -1, v51
	v_cndmask_b32_e64 v48, v50, v48, s88
	v_min_u32_e32 v51, v50, v51
	v_cndmask_b32_e64 v49, v49, v50, s88
	v_lshl_add_u32 v51, v51, 1, v178
	ds_read_u16 v51, v51
	s_waitcnt lgkmcnt(0)
	v_cndmask_b32_e64 v68, v51, v69, s88
	v_cndmask_b32_e64 v62, v61, v51, s88
	v_cmpx_lt_u32_e64 v48, v244
	s_cbranch_execz .LBB872_1966
; %bb.1963:
	s_mov_b32 s91, 0
	s_mov_b32 s89, exec_lo
	v_cmpx_lt_u32_e64 v49, v243
	s_cbranch_execz .LBB872_1965
; %bb.1964:
	v_mov_b32_e32 v50, 1
	v_lshlrev_b32_sdwa v51, v50, v68 dst_sel:DWORD dst_unused:UNUSED_PAD src0_sel:DWORD src1_sel:WORD_0
	v_lshlrev_b32_sdwa v52, v50, v62 dst_sel:DWORD dst_unused:UNUSED_PAD src0_sel:DWORD src1_sel:WORD_0
	v_add_co_u32 v50, s8, v6, v51
	v_add_co_ci_u32_e64 v51, null, 0, v7, s8
	v_add_co_u32 v52, s8, v6, v52
	v_add_co_ci_u32_e64 v53, null, 0, v7, s8
	s_clause 0x1
	flat_load_ushort v50, v[50:51]
	flat_load_ushort v51, v[52:53]
	s_waitcnt vmcnt(0) lgkmcnt(0)
	v_cmp_ge_u16_e64 s8, v50, v51
	s_and_b32 s91, s8, exec_lo
.LBB872_1965:
	s_or_b32 exec_lo, exec_lo, s89
	s_orn2_b32 s89, s91, exec_lo
.LBB872_1966:
	s_or_b32 exec_lo, exec_lo, s90
	v_cndmask_b32_e64 v50, v48, v49, s89
	v_cndmask_b32_e64 v51, v244, v243, s89
	s_mov_b32 s91, -1
	s_mov_b32 s90, -1
	s_mov_b32 s92, exec_lo
	v_add_nc_u32_e32 v50, 1, v50
	v_add_nc_u32_e32 v51, -1, v51
	v_cndmask_b32_e64 v48, v50, v48, s89
	v_min_u32_e32 v51, v50, v51
	v_cndmask_b32_e64 v49, v49, v50, s89
	v_lshl_add_u32 v51, v51, 1, v178
	ds_read_u16 v51, v51
	s_waitcnt lgkmcnt(0)
	v_cndmask_b32_e64 v67, v51, v68, s89
	v_cndmask_b32_e64 v63, v62, v51, s89
	v_cmpx_lt_u32_e64 v48, v244
	s_cbranch_execz .LBB872_1970
; %bb.1967:
	s_mov_b32 s93, 0
	s_mov_b32 s90, exec_lo
	v_cmpx_lt_u32_e64 v49, v243
	s_cbranch_execz .LBB872_1969
; %bb.1968:
	v_mov_b32_e32 v50, 1
	v_lshlrev_b32_sdwa v51, v50, v67 dst_sel:DWORD dst_unused:UNUSED_PAD src0_sel:DWORD src1_sel:WORD_0
	v_lshlrev_b32_sdwa v52, v50, v63 dst_sel:DWORD dst_unused:UNUSED_PAD src0_sel:DWORD src1_sel:WORD_0
	v_add_co_u32 v50, s8, v6, v51
	v_add_co_ci_u32_e64 v51, null, 0, v7, s8
	v_add_co_u32 v52, s8, v6, v52
	v_add_co_ci_u32_e64 v53, null, 0, v7, s8
	s_clause 0x1
	flat_load_ushort v50, v[50:51]
	flat_load_ushort v51, v[52:53]
	s_waitcnt vmcnt(0) lgkmcnt(0)
	v_cmp_ge_u16_e64 s8, v50, v51
	s_and_b32 s93, s8, exec_lo
.LBB872_1969:
	s_or_b32 exec_lo, exec_lo, s90
	s_orn2_b32 s90, s93, exec_lo
.LBB872_1970:
	s_or_b32 exec_lo, exec_lo, s92
	v_cndmask_b32_e64 v50, v48, v49, s90
	v_cndmask_b32_e64 v51, v244, v243, s90
	s_mov_b32 s92, exec_lo
	v_add_nc_u32_e32 v50, 1, v50
	v_add_nc_u32_e32 v51, -1, v51
	v_cndmask_b32_e64 v48, v50, v48, s90
	v_min_u32_e32 v51, v50, v51
	v_cndmask_b32_e64 v49, v49, v50, s90
	v_lshl_add_u32 v51, v51, 1, v178
	ds_read_u16 v51, v51
	s_waitcnt lgkmcnt(0)
	v_cndmask_b32_e64 v66, v51, v67, s90
	v_cndmask_b32_e64 v72, v63, v51, s90
	v_cmpx_lt_u32_e64 v48, v244
	s_cbranch_execz .LBB872_1974
; %bb.1971:
	s_mov_b32 s93, 0
	s_mov_b32 s91, exec_lo
	v_cmpx_lt_u32_e64 v49, v243
	s_cbranch_execz .LBB872_1973
; %bb.1972:
	v_mov_b32_e32 v50, 1
	v_lshlrev_b32_sdwa v51, v50, v66 dst_sel:DWORD dst_unused:UNUSED_PAD src0_sel:DWORD src1_sel:WORD_0
	v_lshlrev_b32_sdwa v52, v50, v72 dst_sel:DWORD dst_unused:UNUSED_PAD src0_sel:DWORD src1_sel:WORD_0
	v_add_co_u32 v50, s8, v6, v51
	v_add_co_ci_u32_e64 v51, null, 0, v7, s8
	v_add_co_u32 v52, s8, v6, v52
	v_add_co_ci_u32_e64 v53, null, 0, v7, s8
	s_clause 0x1
	flat_load_ushort v50, v[50:51]
	flat_load_ushort v51, v[52:53]
	s_waitcnt vmcnt(0) lgkmcnt(0)
	v_cmp_ge_u16_e64 s8, v50, v51
	s_and_b32 s93, s8, exec_lo
.LBB872_1973:
	s_or_b32 exec_lo, exec_lo, s91
	s_orn2_b32 s91, s93, exec_lo
.LBB872_1974:
	s_or_b32 exec_lo, exec_lo, s92
	v_cndmask_b32_e64 v50, v48, v49, s91
	v_cndmask_b32_e64 v51, v244, v243, s91
	s_mov_b32 s93, -1
	s_mov_b32 s92, -1
	s_mov_b32 s94, exec_lo
	v_add_nc_u32_e32 v50, 1, v50
	v_add_nc_u32_e32 v51, -1, v51
	v_cndmask_b32_e64 v48, v50, v48, s91
	v_min_u32_e32 v51, v50, v51
	v_cndmask_b32_e64 v49, v49, v50, s91
	v_lshl_add_u32 v51, v51, 1, v178
	ds_read_u16 v51, v51
	s_waitcnt lgkmcnt(0)
	v_cndmask_b32_e64 v65, v51, v66, s91
	v_cndmask_b32_e64 v73, v72, v51, s91
	v_cmpx_lt_u32_e64 v48, v244
	s_cbranch_execz .LBB872_1978
; %bb.1975:
	s_mov_b32 s95, 0
	s_mov_b32 s92, exec_lo
	v_cmpx_lt_u32_e64 v49, v243
	s_cbranch_execz .LBB872_1977
; %bb.1976:
	v_mov_b32_e32 v50, 1
	v_lshlrev_b32_sdwa v51, v50, v65 dst_sel:DWORD dst_unused:UNUSED_PAD src0_sel:DWORD src1_sel:WORD_0
	v_lshlrev_b32_sdwa v52, v50, v73 dst_sel:DWORD dst_unused:UNUSED_PAD src0_sel:DWORD src1_sel:WORD_0
	v_add_co_u32 v50, s8, v6, v51
	v_add_co_ci_u32_e64 v51, null, 0, v7, s8
	v_add_co_u32 v52, s8, v6, v52
	v_add_co_ci_u32_e64 v53, null, 0, v7, s8
	s_clause 0x1
	flat_load_ushort v50, v[50:51]
	flat_load_ushort v51, v[52:53]
	s_waitcnt vmcnt(0) lgkmcnt(0)
	v_cmp_ge_u16_e64 s8, v50, v51
	s_and_b32 s95, s8, exec_lo
.LBB872_1977:
	s_or_b32 exec_lo, exec_lo, s92
	s_orn2_b32 s92, s95, exec_lo
.LBB872_1978:
	s_or_b32 exec_lo, exec_lo, s94
	v_cndmask_b32_e64 v50, v48, v49, s92
	v_cndmask_b32_e64 v51, v244, v243, s92
	s_mov_b32 s94, exec_lo
	v_add_nc_u32_e32 v50, 1, v50
	v_add_nc_u32_e32 v51, -1, v51
	v_cndmask_b32_e64 v48, v50, v48, s92
	v_min_u32_e32 v51, v50, v51
	v_cndmask_b32_e64 v49, v49, v50, s92
	v_lshl_add_u32 v51, v51, 1, v178
	ds_read_u16 v51, v51
	s_waitcnt lgkmcnt(0)
	v_cndmask_b32_e64 v55, v51, v65, s92
	v_cndmask_b32_e64 v74, v73, v51, s92
	v_cmpx_lt_u32_e64 v48, v244
	s_cbranch_execz .LBB872_1982
; %bb.1979:
	s_mov_b32 s95, 0
	s_mov_b32 s93, exec_lo
	v_cmpx_lt_u32_e64 v49, v243
	s_cbranch_execz .LBB872_1981
; %bb.1980:
	v_mov_b32_e32 v50, 1
	v_lshlrev_b32_sdwa v51, v50, v55 dst_sel:DWORD dst_unused:UNUSED_PAD src0_sel:DWORD src1_sel:WORD_0
	v_lshlrev_b32_sdwa v52, v50, v74 dst_sel:DWORD dst_unused:UNUSED_PAD src0_sel:DWORD src1_sel:WORD_0
	v_add_co_u32 v50, s8, v6, v51
	v_add_co_ci_u32_e64 v51, null, 0, v7, s8
	v_add_co_u32 v52, s8, v6, v52
	v_add_co_ci_u32_e64 v53, null, 0, v7, s8
	s_clause 0x1
	flat_load_ushort v50, v[50:51]
	flat_load_ushort v51, v[52:53]
	s_waitcnt vmcnt(0) lgkmcnt(0)
	v_cmp_ge_u16_e64 s8, v50, v51
	s_and_b32 s95, s8, exec_lo
.LBB872_1981:
	s_or_b32 exec_lo, exec_lo, s93
	s_orn2_b32 s93, s95, exec_lo
.LBB872_1982:
	s_or_b32 exec_lo, exec_lo, s94
	v_cndmask_b32_e64 v50, v48, v49, s93
	v_cndmask_b32_e64 v51, v244, v243, s93
	s_mov_b32 s95, -1
	s_mov_b32 s94, -1
	s_mov_b32 vcc_hi, exec_lo
	v_add_nc_u32_e32 v50, 1, v50
	v_add_nc_u32_e32 v51, -1, v51
	v_cndmask_b32_e64 v48, v50, v48, s93
	v_min_u32_e32 v51, v50, v51
	v_cndmask_b32_e64 v49, v49, v50, s93
	v_lshl_add_u32 v51, v51, 1, v178
	ds_read_u16 v51, v51
	s_waitcnt lgkmcnt(0)
	v_cndmask_b32_e64 v54, v51, v55, s93
	v_cndmask_b32_e64 v75, v74, v51, s93
	v_cmpx_lt_u32_e64 v48, v244
	s_cbranch_execz .LBB872_1986
; %bb.1983:
	s_mov_b32 s30, 0
	s_mov_b32 s94, exec_lo
	v_cmpx_lt_u32_e64 v49, v243
	s_cbranch_execz .LBB872_1985
; %bb.1984:
	v_mov_b32_e32 v50, 1
	v_lshlrev_b32_sdwa v51, v50, v54 dst_sel:DWORD dst_unused:UNUSED_PAD src0_sel:DWORD src1_sel:WORD_0
	v_lshlrev_b32_sdwa v52, v50, v75 dst_sel:DWORD dst_unused:UNUSED_PAD src0_sel:DWORD src1_sel:WORD_0
	v_add_co_u32 v50, s8, v6, v51
	v_add_co_ci_u32_e64 v51, null, 0, v7, s8
	v_add_co_u32 v52, s8, v6, v52
	v_add_co_ci_u32_e64 v53, null, 0, v7, s8
	s_clause 0x1
	flat_load_ushort v50, v[50:51]
	flat_load_ushort v51, v[52:53]
	s_waitcnt vmcnt(0) lgkmcnt(0)
	v_cmp_ge_u16_e64 s8, v50, v51
	s_and_b32 s30, s8, exec_lo
.LBB872_1985:
	s_or_b32 exec_lo, exec_lo, s94
	s_orn2_b32 s94, s30, exec_lo
.LBB872_1986:
	s_or_b32 exec_lo, exec_lo, vcc_hi
	v_cndmask_b32_e64 v50, v48, v49, s94
	v_cndmask_b32_e64 v51, v244, v243, s94
	s_mov_b32 vcc_hi, exec_lo
	v_add_nc_u32_e32 v50, 1, v50
	v_add_nc_u32_e32 v51, -1, v51
	v_cndmask_b32_e64 v48, v50, v48, s94
	v_min_u32_e32 v51, v50, v51
	v_cndmask_b32_e64 v49, v49, v50, s94
	v_lshl_add_u32 v51, v51, 1, v178
	ds_read_u16 v51, v51
	s_waitcnt lgkmcnt(0)
	v_cndmask_b32_e64 v53, v51, v54, s94
	v_cndmask_b32_e64 v76, v75, v51, s94
	v_cmpx_lt_u32_e64 v48, v244
	s_cbranch_execz .LBB872_1990
; %bb.1987:
	s_mov_b32 s30, 0
	s_mov_b32 s95, exec_lo
	v_cmpx_lt_u32_e64 v49, v243
	s_cbranch_execz .LBB872_1989
; %bb.1988:
	v_mov_b32_e32 v50, 1
	v_lshlrev_b32_sdwa v51, v50, v53 dst_sel:DWORD dst_unused:UNUSED_PAD src0_sel:DWORD src1_sel:WORD_0
	v_lshlrev_b32_sdwa v52, v50, v76 dst_sel:DWORD dst_unused:UNUSED_PAD src0_sel:DWORD src1_sel:WORD_0
	v_add_co_u32 v50, s8, v6, v51
	v_add_co_ci_u32_e64 v51, null, 0, v7, s8
	v_add_co_u32 v77, s8, v6, v52
	v_add_co_ci_u32_e64 v78, null, 0, v7, s8
	s_clause 0x1
	flat_load_ushort v50, v[50:51]
	flat_load_ushort v51, v[77:78]
	s_waitcnt vmcnt(0) lgkmcnt(0)
	v_cmp_ge_u16_e64 s8, v50, v51
	s_and_b32 s30, s8, exec_lo
.LBB872_1989:
	s_or_b32 exec_lo, exec_lo, s95
	s_orn2_b32 s95, s30, exec_lo
.LBB872_1990:
	s_or_b32 exec_lo, exec_lo, vcc_hi
	v_cndmask_b32_e64 v50, v48, v49, s95
	v_cndmask_b32_e64 v51, v244, v243, s95
	s_mov_b32 s30, -1
	s_mov_b32 vcc_hi, -1
	s_mov_b32 s31, exec_lo
	v_add_nc_u32_e32 v50, 1, v50
	v_add_nc_u32_e32 v51, -1, v51
	v_cndmask_b32_e64 v48, v50, v48, s95
	v_min_u32_e32 v51, v50, v51
	v_cndmask_b32_e64 v49, v49, v50, s95
	v_lshl_add_u32 v51, v51, 1, v178
	ds_read_u16 v51, v51
	s_waitcnt lgkmcnt(0)
	v_cndmask_b32_e64 v64, v51, v53, s95
	v_cndmask_b32_e64 v77, v76, v51, s95
	v_cmpx_lt_u32_e64 v48, v244
	s_cbranch_execz .LBB872_1994
; %bb.1991:
	s_mov_b32 s34, 0
	s_mov_b32 vcc_hi, exec_lo
	v_cmpx_lt_u32_e64 v49, v243
	s_cbranch_execz .LBB872_1993
; %bb.1992:
	v_mov_b32_e32 v50, 1
	v_lshlrev_b32_sdwa v51, v50, v64 dst_sel:DWORD dst_unused:UNUSED_PAD src0_sel:DWORD src1_sel:WORD_0
	v_lshlrev_b32_sdwa v52, v50, v77 dst_sel:DWORD dst_unused:UNUSED_PAD src0_sel:DWORD src1_sel:WORD_0
	v_add_co_u32 v50, s8, v6, v51
	v_add_co_ci_u32_e64 v51, null, 0, v7, s8
	v_add_co_u32 v78, s8, v6, v52
	v_add_co_ci_u32_e64 v79, null, 0, v7, s8
	s_clause 0x1
	flat_load_ushort v50, v[50:51]
	flat_load_ushort v51, v[78:79]
	s_waitcnt vmcnt(0) lgkmcnt(0)
	v_cmp_ge_u16_e64 s8, v50, v51
	s_and_b32 s34, s8, exec_lo
.LBB872_1993:
	s_or_b32 exec_lo, exec_lo, vcc_hi
	s_orn2_b32 vcc_hi, s34, exec_lo
.LBB872_1994:
	s_or_b32 exec_lo, exec_lo, s31
	v_cndmask_b32_e64 v50, v48, v49, vcc_hi
	v_cndmask_b32_e64 v51, v244, v243, vcc_hi
	s_mov_b32 s31, exec_lo
	v_add_nc_u32_e32 v50, 1, v50
	v_add_nc_u32_e32 v51, -1, v51
	v_cndmask_b32_e64 v48, v50, v48, vcc_hi
	v_min_u32_e32 v51, v50, v51
	v_cndmask_b32_e64 v49, v49, v50, vcc_hi
	v_lshl_add_u32 v51, v51, 1, v178
	ds_read_u16 v51, v51
	s_waitcnt lgkmcnt(0)
	v_cndmask_b32_e64 v52, v51, v64, vcc_hi
	v_cndmask_b32_e64 v78, v77, v51, vcc_hi
	v_cmpx_lt_u32_e64 v48, v244
	s_cbranch_execz .LBB872_1998
; %bb.1995:
	s_mov_b32 s34, 0
	s_mov_b32 s30, exec_lo
	v_cmpx_lt_u32_e64 v49, v243
	s_cbranch_execz .LBB872_1997
; %bb.1996:
	v_mov_b32_e32 v50, 1
	v_lshlrev_b32_sdwa v51, v50, v52 dst_sel:DWORD dst_unused:UNUSED_PAD src0_sel:DWORD src1_sel:WORD_0
	v_lshlrev_b32_sdwa v79, v50, v78 dst_sel:DWORD dst_unused:UNUSED_PAD src0_sel:DWORD src1_sel:WORD_0
	v_add_co_u32 v50, s8, v6, v51
	v_add_co_ci_u32_e64 v51, null, 0, v7, s8
	v_add_co_u32 v88, s8, v6, v79
	v_add_co_ci_u32_e64 v89, null, 0, v7, s8
	s_clause 0x1
	flat_load_ushort v50, v[50:51]
	flat_load_ushort v51, v[88:89]
	s_waitcnt vmcnt(0) lgkmcnt(0)
	v_cmp_ge_u16_e64 s8, v50, v51
	s_and_b32 s34, s8, exec_lo
.LBB872_1997:
	s_or_b32 exec_lo, exec_lo, s30
	s_orn2_b32 s30, s34, exec_lo
.LBB872_1998:
	s_or_b32 exec_lo, exec_lo, s31
	v_cndmask_b32_e64 v50, v48, v49, s30
	v_cndmask_b32_e64 v51, v244, v243, s30
	s_mov_b32 s34, -1
	s_mov_b32 s31, -1
	s_mov_b32 s35, exec_lo
	v_add_nc_u32_e32 v50, 1, v50
	v_add_nc_u32_e32 v51, -1, v51
	v_cndmask_b32_e64 v48, v50, v48, s30
	v_min_u32_e32 v51, v50, v51
	v_cndmask_b32_e64 v49, v49, v50, s30
	v_lshl_add_u32 v51, v51, 1, v178
	ds_read_u16 v79, v51
	s_waitcnt lgkmcnt(0)
	v_cndmask_b32_e64 v51, v79, v52, s30
	v_cndmask_b32_e64 v79, v78, v79, s30
	v_cmpx_lt_u32_e64 v48, v244
	s_cbranch_execz .LBB872_2002
; %bb.1999:
	s_mov_b32 s38, 0
	s_mov_b32 s31, exec_lo
	v_cmpx_lt_u32_e64 v49, v243
	s_cbranch_execz .LBB872_2001
; %bb.2000:
	v_mov_b32_e32 v50, 1
	v_lshlrev_b32_sdwa v88, v50, v51 dst_sel:DWORD dst_unused:UNUSED_PAD src0_sel:DWORD src1_sel:WORD_0
	v_lshlrev_b32_sdwa v50, v50, v79 dst_sel:DWORD dst_unused:UNUSED_PAD src0_sel:DWORD src1_sel:WORD_0
	v_add_co_u32 v88, s8, v6, v88
	v_add_co_ci_u32_e64 v89, null, 0, v7, s8
	v_add_co_u32 v90, s8, v6, v50
	v_add_co_ci_u32_e64 v91, null, 0, v7, s8
	s_clause 0x1
	flat_load_ushort v50, v[88:89]
	flat_load_ushort v88, v[90:91]
	s_waitcnt vmcnt(0) lgkmcnt(0)
	v_cmp_ge_u16_e64 s8, v50, v88
	s_and_b32 s38, s8, exec_lo
.LBB872_2001:
	s_or_b32 exec_lo, exec_lo, s31
	s_orn2_b32 s31, s38, exec_lo
.LBB872_2002:
	s_or_b32 exec_lo, exec_lo, s35
	v_cndmask_b32_e64 v50, v48, v49, s31
	v_cndmask_b32_e64 v88, v244, v243, s31
	s_mov_b32 s35, exec_lo
	v_add_nc_u32_e32 v50, 1, v50
	v_add_nc_u32_e32 v88, -1, v88
	v_cndmask_b32_e64 v48, v50, v48, s31
	v_min_u32_e32 v88, v50, v88
	v_cndmask_b32_e64 v49, v49, v50, s31
	v_lshl_add_u32 v88, v88, 1, v178
	ds_read_u16 v88, v88
	s_waitcnt lgkmcnt(0)
	v_cndmask_b32_e64 v50, v88, v51, s31
	v_cndmask_b32_e64 v88, v79, v88, s31
	v_cmpx_lt_u32_e64 v48, v244
	s_cbranch_execz .LBB872_2006
; %bb.2003:
	s_mov_b32 s38, 0
	s_mov_b32 s34, exec_lo
	v_cmpx_lt_u32_e64 v49, v243
	s_cbranch_execz .LBB872_2005
; %bb.2004:
	v_mov_b32_e32 v89, 1
	v_lshlrev_b32_sdwa v90, v89, v50 dst_sel:DWORD dst_unused:UNUSED_PAD src0_sel:DWORD src1_sel:WORD_0
	v_lshlrev_b32_sdwa v91, v89, v88 dst_sel:DWORD dst_unused:UNUSED_PAD src0_sel:DWORD src1_sel:WORD_0
	v_add_co_u32 v89, s8, v6, v90
	v_add_co_ci_u32_e64 v90, null, 0, v7, s8
	v_add_co_u32 v91, s8, v6, v91
	v_add_co_ci_u32_e64 v92, null, 0, v7, s8
	s_clause 0x1
	flat_load_ushort v89, v[89:90]
	flat_load_ushort v90, v[91:92]
	s_waitcnt vmcnt(0) lgkmcnt(0)
	v_cmp_ge_u16_e64 s8, v89, v90
	s_and_b32 s38, s8, exec_lo
.LBB872_2005:
	s_or_b32 exec_lo, exec_lo, s34
	s_orn2_b32 s34, s38, exec_lo
.LBB872_2006:
	s_or_b32 exec_lo, exec_lo, s35
	v_cndmask_b32_e64 v89, v48, v49, s34
	v_cndmask_b32_e64 v90, v244, v243, s34
	s_mov_b32 s35, -1
	s_mov_b32 s38, -1
	s_mov_b32 s39, exec_lo
	v_add_nc_u32_e32 v89, 1, v89
	v_add_nc_u32_e32 v90, -1, v90
	v_cndmask_b32_e64 v48, v89, v48, s34
	v_min_u32_e32 v90, v89, v90
	v_lshl_add_u32 v90, v90, 1, v178
	ds_read_u16 v91, v90
	v_cndmask_b32_e64 v90, v49, v89, s34
	s_waitcnt lgkmcnt(0)
	v_cndmask_b32_e64 v49, v91, v50, s34
	v_cndmask_b32_e64 v89, v88, v91, s34
	v_cmpx_lt_u32_e64 v48, v244
	s_cbranch_execz .LBB872_2010
; %bb.2007:
	s_mov_b32 s48, 0
	s_mov_b32 s38, exec_lo
	v_cmpx_lt_u32_e64 v90, v243
	s_cbranch_execz .LBB872_2009
; %bb.2008:
	v_mov_b32_e32 v91, 1
	v_lshlrev_b32_sdwa v92, v91, v49 dst_sel:DWORD dst_unused:UNUSED_PAD src0_sel:DWORD src1_sel:WORD_0
	v_lshlrev_b32_sdwa v93, v91, v89 dst_sel:DWORD dst_unused:UNUSED_PAD src0_sel:DWORD src1_sel:WORD_0
	v_add_co_u32 v91, s8, v6, v92
	v_add_co_ci_u32_e64 v92, null, 0, v7, s8
	v_add_co_u32 v93, s8, v6, v93
	v_add_co_ci_u32_e64 v94, null, 0, v7, s8
	s_clause 0x1
	flat_load_ushort v91, v[91:92]
	flat_load_ushort v92, v[93:94]
	s_waitcnt vmcnt(0) lgkmcnt(0)
	v_cmp_ge_u16_e64 s8, v91, v92
	s_and_b32 s48, s8, exec_lo
.LBB872_2009:
	s_or_b32 exec_lo, exec_lo, s38
	s_orn2_b32 s38, s48, exec_lo
.LBB872_2010:
	s_or_b32 exec_lo, exec_lo, s39
	v_cndmask_b32_e64 v91, v48, v90, s38
	v_cndmask_b32_e64 v92, v244, v243, s38
	s_mov_b32 s39, exec_lo
	v_add_nc_u32_e32 v91, 1, v91
	v_add_nc_u32_e32 v92, -1, v92
	v_cndmask_b32_e64 v48, v91, v48, s38
	v_min_u32_e32 v92, v91, v92
	v_lshl_add_u32 v92, v92, 1, v178
	ds_read_u16 v93, v92
	v_cndmask_b32_e64 v92, v90, v91, s38
	s_waitcnt lgkmcnt(0)
	v_cndmask_b32_e64 v90, v93, v49, s38
	v_cndmask_b32_e64 v91, v89, v93, s38
	v_cmpx_lt_u32_e64 v48, v244
	s_cbranch_execz .LBB872_2014
; %bb.2011:
	s_mov_b32 s48, 0
	s_mov_b32 s35, exec_lo
	v_cmpx_lt_u32_e64 v92, v243
	s_cbranch_execz .LBB872_2013
; %bb.2012:
	v_mov_b32_e32 v93, 1
	v_lshlrev_b32_sdwa v94, v93, v90 dst_sel:DWORD dst_unused:UNUSED_PAD src0_sel:DWORD src1_sel:WORD_0
	v_lshlrev_b32_sdwa v95, v93, v91 dst_sel:DWORD dst_unused:UNUSED_PAD src0_sel:DWORD src1_sel:WORD_0
	v_add_co_u32 v93, s8, v6, v94
	v_add_co_ci_u32_e64 v94, null, 0, v7, s8
	v_add_co_u32 v104, s8, v6, v95
	v_add_co_ci_u32_e64 v105, null, 0, v7, s8
	s_clause 0x1
	flat_load_ushort v93, v[93:94]
	flat_load_ushort v94, v[104:105]
	s_waitcnt vmcnt(0) lgkmcnt(0)
	v_cmp_ge_u16_e64 s8, v93, v94
	s_and_b32 s48, s8, exec_lo
.LBB872_2013:
	s_or_b32 exec_lo, exec_lo, s35
	s_orn2_b32 s35, s48, exec_lo
.LBB872_2014:
	s_or_b32 exec_lo, exec_lo, s39
	v_cndmask_b32_e64 v93, v48, v92, s35
	v_cndmask_b32_e64 v94, v244, v243, s35
	s_mov_b32 s39, exec_lo
	v_add_nc_u32_e32 v93, 1, v93
	v_add_nc_u32_e32 v94, -1, v94
	v_cndmask_b32_e64 v95, v93, v48, s35
	v_min_u32_e32 v94, v93, v94
	v_lshl_add_u32 v94, v94, 1, v178
	ds_read_u16 v94, v94
	s_waitcnt lgkmcnt(0)
	v_cndmask_b32_e64 v48, v91, v94, s35
	v_cmpx_lt_u32_e64 v95, v244
	s_cbranch_execz .LBB872_2018
; %bb.2015:
	v_cndmask_b32_e64 v92, v92, v93, s35
	v_cndmask_b32_e64 v244, v94, v90, s35
	s_mov_b32 s48, exec_lo
	v_cmpx_lt_u32_e64 v92, v243
	s_cbranch_execz .LBB872_2017
; %bb.2016:
	v_mov_b32_e32 v243, 1
	v_lshlrev_b32_sdwa v92, v243, v244 dst_sel:DWORD dst_unused:UNUSED_PAD src0_sel:DWORD src1_sel:WORD_0
	v_lshlrev_b32_sdwa v243, v243, v48 dst_sel:DWORD dst_unused:UNUSED_PAD src0_sel:DWORD src1_sel:WORD_0
	v_add_co_u32 v92, s8, v6, v92
	v_add_co_ci_u32_e64 v93, null, 0, v7, s8
	v_add_co_u32 v94, s8, v6, v243
	v_add_co_ci_u32_e64 v95, null, 0, v7, s8
	s_clause 0x1
	flat_load_ushort v243, v[92:93]
	flat_load_ushort v92, v[94:95]
	s_waitcnt vmcnt(0) lgkmcnt(0)
	v_cmp_lt_u16_e64 s8, v243, v92
	v_cndmask_b32_e64 v244, v48, v244, s8
.LBB872_2017:
	s_or_b32 exec_lo, exec_lo, s48
	v_mov_b32_e32 v48, v244
.LBB872_2018:
	s_or_b32 exec_lo, exec_lo, s39
	v_cndmask_b32_e64 v49, v49, v89, s38
	v_cndmask_b32_e64 v50, v50, v88, s34
	;; [unrolled: 1-line block ×4, first 2 shown]
	v_cndmask_b32_e64 v64, v64, v77, vcc_hi
	v_cndmask_b32_e64 v53, v53, v76, s95
	v_cndmask_b32_e64 v54, v54, v75, s94
	v_cndmask_b32_e64 v55, v55, v74, s93
	v_cndmask_b32_e64 v65, v65, v73, s92
	v_cndmask_b32_e64 v66, v66, v72, s91
	v_cndmask_b32_e64 v67, v67, v63, s90
	v_cndmask_b32_e64 v68, v68, v62, s89
	v_cndmask_b32_e64 v69, v69, v61, s88
	v_cndmask_b32_e64 v70, v70, v60, s79
	v_cndmask_b32_e64 v71, v71, v59, s78
	v_cndmask_b32_e64 v80, v80, v58, s77
	v_cndmask_b32_e64 v81, v81, v57, s76
	v_cndmask_b32_e64 v82, v82, v56, s75
	v_cndmask_b32_e64 v83, v83, v47, s74
	v_cndmask_b32_e64 v84, v84, v46, s73
	v_cndmask_b32_e64 v85, v85, v45, s72
	v_cndmask_b32_e64 v86, v86, v44, s63
	v_cndmask_b32_e64 v87, v87, v43, s62
	v_cndmask_b32_e64 v96, v96, v42, s61
	v_cndmask_b32_e64 v97, v97, v41, s60
	v_cndmask_b32_e64 v98, v98, v40, s59
	v_cndmask_b32_e64 v100, v100, v247, s58
	v_cndmask_b32_e64 v101, v101, v246, s57
	v_cndmask_b32_e64 v102, v102, v245, s9
	v_cndmask_b32_e64 v99, v103, v99, s13
	v_cndmask_b32_e64 v103, v90, v91, s35
.LBB872_2019:
	s_or_b32 exec_lo, exec_lo, s12
	v_and_b32_e32 v245, 0x300, v180
	v_and_b32_e32 v246, 0xe0, v180
	s_mov_b32 s9, exec_lo
	; wave barrier
	v_or_b32_e32 v243, 0x80, v245
	v_min_u32_e32 v246, v179, v246
	ds_write_b16 v181, v99
	ds_write_b16 v231, v102
	;; [unrolled: 1-line block ×13, first 2 shown]
	v_min_u32_e32 v243, v179, v243
	ds_write_b16 v211, v81
	ds_write_b16 v212, v80
	;; [unrolled: 1-line block ×13, first 2 shown]
	v_add_nc_u32_e32 v244, 0x80, v243
	v_sub_nc_u32_e32 v40, v243, v245
	ds_write_b16 v182, v52
	ds_write_b16 v183, v51
	ds_write_b16 v192, v50
	ds_write_b16 v193, v49
	ds_write_b16 v1, v103
	ds_write_b16 v2, v48
	; wave barrier
	v_min_u32_e32 v244, v179, v244
	v_min_u32_e32 v40, v246, v40
	v_sub_nc_u32_e32 v247, v244, v243
	v_sub_nc_u32_e64 v247, v246, v247 clamp
	v_cmpx_lt_u32_e64 v247, v40
	s_cbranch_execz .LBB872_2023
; %bb.2020:
	v_lshlrev_b32_e32 v41, 1, v245
	v_lshlrev_b32_e32 v42, 1, v243
	s_mov_b32 s12, 0
	v_add_co_u32 v41, null, v178, v41
	v_add_co_u32 v42, null, v178, v42
	s_inst_prefetch 0x1
	.p2align	6
.LBB872_2021:                           ; =>This Inner Loop Header: Depth=1
	v_add_nc_u32_e32 v43, v40, v247
	v_lshrrev_b32_e32 v47, 1, v43
	v_and_b32_e32 v43, -2, v43
	v_xad_u32 v44, v47, -1, v246
	v_add_nc_u32_e32 v43, v41, v43
	v_lshl_add_u32 v44, v44, 1, v42
	ds_read_u16 v43, v43
	ds_read_u16 v44, v44
	s_waitcnt lgkmcnt(1)
	v_lshlrev_b32_e32 v43, 1, v43
	s_waitcnt lgkmcnt(0)
	v_lshlrev_b32_e32 v45, 1, v44
	v_add_co_u32 v43, s8, v6, v43
	v_add_co_ci_u32_e64 v44, null, 0, v7, s8
	v_add_co_u32 v45, s8, v6, v45
	v_add_co_ci_u32_e64 v46, null, 0, v7, s8
	s_clause 0x1
	flat_load_ushort v45, v[45:46]
	flat_load_ushort v43, v[43:44]
	v_add_nc_u32_e32 v44, 1, v47
	s_waitcnt vmcnt(0) lgkmcnt(0)
	v_cmp_lt_u16_e64 s8, v45, v43
	v_cndmask_b32_e64 v40, v40, v47, s8
	v_cndmask_b32_e64 v247, v44, v247, s8
	v_cmp_ge_u32_e64 s8, v247, v40
	s_or_b32 s12, s8, s12
	s_andn2_b32 exec_lo, exec_lo, s12
	s_cbranch_execnz .LBB872_2021
; %bb.2022:
	s_inst_prefetch 0x2
	s_or_b32 exec_lo, exec_lo, s12
.LBB872_2023:
	s_or_b32 exec_lo, exec_lo, s9
	v_add_nc_u32_e32 v246, v243, v246
	v_add_nc_u32_e32 v245, v247, v245
	v_sub_nc_u32_e32 v246, v246, v247
	v_cmp_le_u32_e64 s8, v245, v243
	v_cmp_le_u32_e64 s9, v246, v244
	s_or_b32 s8, s8, s9
	s_and_saveexec_b32 s12, s8
	s_cbranch_execz .LBB872_2155
; %bb.2024:
	v_cmp_ge_u32_e64 s8, v245, v243
	s_mov_b32 s13, exec_lo
                                        ; implicit-def: $vgpr99
	v_cmpx_lt_u32_e64 v245, v243
; %bb.2025:
	v_lshl_add_u32 v48, v245, 1, v178
	ds_read_u16 v99, v48
; %bb.2026:
	s_or_b32 exec_lo, exec_lo, s13
	v_cmp_ge_u32_e64 s13, v246, v244
	s_mov_b32 s57, exec_lo
                                        ; implicit-def: $vgpr103
	v_cmpx_lt_u32_e64 v246, v244
; %bb.2027:
	v_lshl_add_u32 v48, v246, 1, v178
	ds_read_u16 v103, v48
; %bb.2028:
	s_or_b32 exec_lo, exec_lo, s57
	s_nor_b32 s8, s8, s13
	s_and_saveexec_b32 s9, s8
	s_cbranch_execz .LBB872_2030
; %bb.2029:
	v_mov_b32_e32 v48, 1
	s_andn2_b32 s13, s13, exec_lo
	s_waitcnt lgkmcnt(0)
	v_lshlrev_b32_sdwa v49, v48, v103 dst_sel:DWORD dst_unused:UNUSED_PAD src0_sel:DWORD src1_sel:WORD_0
	v_lshlrev_b32_sdwa v50, v48, v99 dst_sel:DWORD dst_unused:UNUSED_PAD src0_sel:DWORD src1_sel:WORD_0
	v_add_co_u32 v48, s8, v6, v49
	v_add_co_ci_u32_e64 v49, null, 0, v7, s8
	v_add_co_u32 v50, s8, v6, v50
	v_add_co_ci_u32_e64 v51, null, 0, v7, s8
	s_clause 0x1
	flat_load_ushort v48, v[48:49]
	flat_load_ushort v49, v[50:51]
	s_waitcnt vmcnt(0) lgkmcnt(0)
	v_cmp_ge_u16_e64 s8, v48, v49
	s_and_b32 s8, s8, exec_lo
	s_or_b32 s13, s13, s8
.LBB872_2030:
	s_or_b32 exec_lo, exec_lo, s9
	v_cndmask_b32_e64 v48, v246, v245, s13
	v_cndmask_b32_e64 v49, v244, v243, s13
	s_mov_b32 s57, -1
	s_mov_b32 s9, -1
	s_mov_b32 s58, exec_lo
	v_add_nc_u32_e32 v50, 1, v48
	v_add_nc_u32_e32 v48, -1, v49
	v_cndmask_b32_e64 v49, v245, v50, s13
	v_min_u32_e32 v48, v50, v48
	v_lshl_add_u32 v48, v48, 1, v178
	ds_read_u16 v51, v48
	v_cndmask_b32_e64 v48, v50, v246, s13
	s_waitcnt lgkmcnt(0)
	v_cndmask_b32_e64 v102, v51, v103, s13
	v_cndmask_b32_e64 v245, v99, v51, s13
	v_cmpx_lt_u32_e64 v48, v244
	s_cbranch_execz .LBB872_2034
; %bb.2031:
	s_mov_b32 s59, 0
	s_mov_b32 s9, exec_lo
	v_cmpx_lt_u32_e64 v49, v243
	s_cbranch_execz .LBB872_2033
; %bb.2032:
	v_mov_b32_e32 v50, 1
	v_lshlrev_b32_sdwa v51, v50, v102 dst_sel:DWORD dst_unused:UNUSED_PAD src0_sel:DWORD src1_sel:WORD_0
	v_lshlrev_b32_sdwa v52, v50, v245 dst_sel:DWORD dst_unused:UNUSED_PAD src0_sel:DWORD src1_sel:WORD_0
	v_add_co_u32 v50, s8, v6, v51
	v_add_co_ci_u32_e64 v51, null, 0, v7, s8
	v_add_co_u32 v52, s8, v6, v52
	v_add_co_ci_u32_e64 v53, null, 0, v7, s8
	s_clause 0x1
	flat_load_ushort v50, v[50:51]
	flat_load_ushort v51, v[52:53]
	s_waitcnt vmcnt(0) lgkmcnt(0)
	v_cmp_ge_u16_e64 s8, v50, v51
	s_and_b32 s59, s8, exec_lo
.LBB872_2033:
	s_or_b32 exec_lo, exec_lo, s9
	s_orn2_b32 s9, s59, exec_lo
.LBB872_2034:
	s_or_b32 exec_lo, exec_lo, s58
	v_cndmask_b32_e64 v50, v48, v49, s9
	v_cndmask_b32_e64 v51, v244, v243, s9
	s_mov_b32 s58, exec_lo
	v_add_nc_u32_e32 v50, 1, v50
	v_add_nc_u32_e32 v51, -1, v51
	v_cndmask_b32_e64 v48, v50, v48, s9
	v_min_u32_e32 v51, v50, v51
	v_cndmask_b32_e64 v49, v49, v50, s9
	v_lshl_add_u32 v51, v51, 1, v178
	ds_read_u16 v51, v51
	s_waitcnt lgkmcnt(0)
	v_cndmask_b32_e64 v101, v51, v102, s9
	v_cndmask_b32_e64 v246, v245, v51, s9
	v_cmpx_lt_u32_e64 v48, v244
	s_cbranch_execz .LBB872_2038
; %bb.2035:
	s_mov_b32 s59, 0
	s_mov_b32 s57, exec_lo
	v_cmpx_lt_u32_e64 v49, v243
	s_cbranch_execz .LBB872_2037
; %bb.2036:
	v_mov_b32_e32 v50, 1
	v_lshlrev_b32_sdwa v51, v50, v101 dst_sel:DWORD dst_unused:UNUSED_PAD src0_sel:DWORD src1_sel:WORD_0
	v_lshlrev_b32_sdwa v52, v50, v246 dst_sel:DWORD dst_unused:UNUSED_PAD src0_sel:DWORD src1_sel:WORD_0
	v_add_co_u32 v50, s8, v6, v51
	v_add_co_ci_u32_e64 v51, null, 0, v7, s8
	v_add_co_u32 v52, s8, v6, v52
	v_add_co_ci_u32_e64 v53, null, 0, v7, s8
	s_clause 0x1
	flat_load_ushort v50, v[50:51]
	flat_load_ushort v51, v[52:53]
	s_waitcnt vmcnt(0) lgkmcnt(0)
	v_cmp_ge_u16_e64 s8, v50, v51
	s_and_b32 s59, s8, exec_lo
.LBB872_2037:
	s_or_b32 exec_lo, exec_lo, s57
	s_orn2_b32 s57, s59, exec_lo
.LBB872_2038:
	s_or_b32 exec_lo, exec_lo, s58
	v_cndmask_b32_e64 v50, v48, v49, s57
	v_cndmask_b32_e64 v51, v244, v243, s57
	s_mov_b32 s59, -1
	s_mov_b32 s58, -1
	s_mov_b32 s60, exec_lo
	v_add_nc_u32_e32 v50, 1, v50
	v_add_nc_u32_e32 v51, -1, v51
	v_cndmask_b32_e64 v48, v50, v48, s57
	v_min_u32_e32 v51, v50, v51
	v_cndmask_b32_e64 v49, v49, v50, s57
	v_lshl_add_u32 v51, v51, 1, v178
	ds_read_u16 v51, v51
	s_waitcnt lgkmcnt(0)
	v_cndmask_b32_e64 v100, v51, v101, s57
	v_cndmask_b32_e64 v247, v246, v51, s57
	v_cmpx_lt_u32_e64 v48, v244
	s_cbranch_execz .LBB872_2042
; %bb.2039:
	s_mov_b32 s61, 0
	s_mov_b32 s58, exec_lo
	v_cmpx_lt_u32_e64 v49, v243
	s_cbranch_execz .LBB872_2041
; %bb.2040:
	v_mov_b32_e32 v50, 1
	v_lshlrev_b32_sdwa v51, v50, v100 dst_sel:DWORD dst_unused:UNUSED_PAD src0_sel:DWORD src1_sel:WORD_0
	v_lshlrev_b32_sdwa v52, v50, v247 dst_sel:DWORD dst_unused:UNUSED_PAD src0_sel:DWORD src1_sel:WORD_0
	v_add_co_u32 v50, s8, v6, v51
	v_add_co_ci_u32_e64 v51, null, 0, v7, s8
	v_add_co_u32 v52, s8, v6, v52
	v_add_co_ci_u32_e64 v53, null, 0, v7, s8
	s_clause 0x1
	flat_load_ushort v50, v[50:51]
	flat_load_ushort v51, v[52:53]
	s_waitcnt vmcnt(0) lgkmcnt(0)
	v_cmp_ge_u16_e64 s8, v50, v51
	s_and_b32 s61, s8, exec_lo
.LBB872_2041:
	s_or_b32 exec_lo, exec_lo, s58
	s_orn2_b32 s58, s61, exec_lo
.LBB872_2042:
	s_or_b32 exec_lo, exec_lo, s60
	v_cndmask_b32_e64 v50, v48, v49, s58
	v_cndmask_b32_e64 v51, v244, v243, s58
	s_mov_b32 s60, exec_lo
	v_add_nc_u32_e32 v50, 1, v50
	v_add_nc_u32_e32 v51, -1, v51
	v_cndmask_b32_e64 v48, v50, v48, s58
	v_min_u32_e32 v51, v50, v51
	v_cndmask_b32_e64 v49, v49, v50, s58
	v_lshl_add_u32 v51, v51, 1, v178
	ds_read_u16 v51, v51
	s_waitcnt lgkmcnt(0)
	v_cndmask_b32_e64 v98, v51, v100, s58
	v_cndmask_b32_e64 v40, v247, v51, s58
	v_cmpx_lt_u32_e64 v48, v244
	s_cbranch_execz .LBB872_2046
; %bb.2043:
	s_mov_b32 s61, 0
	s_mov_b32 s59, exec_lo
	v_cmpx_lt_u32_e64 v49, v243
	s_cbranch_execz .LBB872_2045
; %bb.2044:
	v_mov_b32_e32 v50, 1
	v_lshlrev_b32_sdwa v51, v50, v98 dst_sel:DWORD dst_unused:UNUSED_PAD src0_sel:DWORD src1_sel:WORD_0
	v_lshlrev_b32_sdwa v52, v50, v40 dst_sel:DWORD dst_unused:UNUSED_PAD src0_sel:DWORD src1_sel:WORD_0
	v_add_co_u32 v50, s8, v6, v51
	v_add_co_ci_u32_e64 v51, null, 0, v7, s8
	v_add_co_u32 v52, s8, v6, v52
	v_add_co_ci_u32_e64 v53, null, 0, v7, s8
	s_clause 0x1
	flat_load_ushort v50, v[50:51]
	flat_load_ushort v51, v[52:53]
	s_waitcnt vmcnt(0) lgkmcnt(0)
	v_cmp_ge_u16_e64 s8, v50, v51
	s_and_b32 s61, s8, exec_lo
.LBB872_2045:
	s_or_b32 exec_lo, exec_lo, s59
	s_orn2_b32 s59, s61, exec_lo
.LBB872_2046:
	s_or_b32 exec_lo, exec_lo, s60
	v_cndmask_b32_e64 v50, v48, v49, s59
	v_cndmask_b32_e64 v51, v244, v243, s59
	s_mov_b32 s61, -1
	s_mov_b32 s60, -1
	s_mov_b32 s62, exec_lo
	v_add_nc_u32_e32 v50, 1, v50
	v_add_nc_u32_e32 v51, -1, v51
	v_cndmask_b32_e64 v48, v50, v48, s59
	v_min_u32_e32 v51, v50, v51
	v_cndmask_b32_e64 v49, v49, v50, s59
	v_lshl_add_u32 v51, v51, 1, v178
	ds_read_u16 v51, v51
	s_waitcnt lgkmcnt(0)
	v_cndmask_b32_e64 v97, v51, v98, s59
	v_cndmask_b32_e64 v41, v40, v51, s59
	v_cmpx_lt_u32_e64 v48, v244
	s_cbranch_execz .LBB872_2050
; %bb.2047:
	s_mov_b32 s63, 0
	s_mov_b32 s60, exec_lo
	v_cmpx_lt_u32_e64 v49, v243
	s_cbranch_execz .LBB872_2049
; %bb.2048:
	v_mov_b32_e32 v50, 1
	v_lshlrev_b32_sdwa v51, v50, v97 dst_sel:DWORD dst_unused:UNUSED_PAD src0_sel:DWORD src1_sel:WORD_0
	v_lshlrev_b32_sdwa v52, v50, v41 dst_sel:DWORD dst_unused:UNUSED_PAD src0_sel:DWORD src1_sel:WORD_0
	v_add_co_u32 v50, s8, v6, v51
	v_add_co_ci_u32_e64 v51, null, 0, v7, s8
	v_add_co_u32 v52, s8, v6, v52
	v_add_co_ci_u32_e64 v53, null, 0, v7, s8
	s_clause 0x1
	flat_load_ushort v50, v[50:51]
	flat_load_ushort v51, v[52:53]
	s_waitcnt vmcnt(0) lgkmcnt(0)
	v_cmp_ge_u16_e64 s8, v50, v51
	s_and_b32 s63, s8, exec_lo
.LBB872_2049:
	s_or_b32 exec_lo, exec_lo, s60
	s_orn2_b32 s60, s63, exec_lo
.LBB872_2050:
	s_or_b32 exec_lo, exec_lo, s62
	v_cndmask_b32_e64 v50, v48, v49, s60
	v_cndmask_b32_e64 v51, v244, v243, s60
	s_mov_b32 s62, exec_lo
	v_add_nc_u32_e32 v50, 1, v50
	v_add_nc_u32_e32 v51, -1, v51
	v_cndmask_b32_e64 v48, v50, v48, s60
	v_min_u32_e32 v51, v50, v51
	v_cndmask_b32_e64 v49, v49, v50, s60
	v_lshl_add_u32 v51, v51, 1, v178
	ds_read_u16 v51, v51
	s_waitcnt lgkmcnt(0)
	v_cndmask_b32_e64 v96, v51, v97, s60
	v_cndmask_b32_e64 v42, v41, v51, s60
	v_cmpx_lt_u32_e64 v48, v244
	s_cbranch_execz .LBB872_2054
; %bb.2051:
	s_mov_b32 s63, 0
	s_mov_b32 s61, exec_lo
	v_cmpx_lt_u32_e64 v49, v243
	s_cbranch_execz .LBB872_2053
; %bb.2052:
	v_mov_b32_e32 v50, 1
	v_lshlrev_b32_sdwa v51, v50, v96 dst_sel:DWORD dst_unused:UNUSED_PAD src0_sel:DWORD src1_sel:WORD_0
	v_lshlrev_b32_sdwa v52, v50, v42 dst_sel:DWORD dst_unused:UNUSED_PAD src0_sel:DWORD src1_sel:WORD_0
	v_add_co_u32 v50, s8, v6, v51
	v_add_co_ci_u32_e64 v51, null, 0, v7, s8
	v_add_co_u32 v52, s8, v6, v52
	v_add_co_ci_u32_e64 v53, null, 0, v7, s8
	s_clause 0x1
	flat_load_ushort v50, v[50:51]
	flat_load_ushort v51, v[52:53]
	s_waitcnt vmcnt(0) lgkmcnt(0)
	v_cmp_ge_u16_e64 s8, v50, v51
	s_and_b32 s63, s8, exec_lo
.LBB872_2053:
	s_or_b32 exec_lo, exec_lo, s61
	s_orn2_b32 s61, s63, exec_lo
.LBB872_2054:
	s_or_b32 exec_lo, exec_lo, s62
	v_cndmask_b32_e64 v50, v48, v49, s61
	v_cndmask_b32_e64 v51, v244, v243, s61
	s_mov_b32 s63, -1
	s_mov_b32 s62, -1
	s_mov_b32 s72, exec_lo
	v_add_nc_u32_e32 v50, 1, v50
	v_add_nc_u32_e32 v51, -1, v51
	v_cndmask_b32_e64 v48, v50, v48, s61
	v_min_u32_e32 v51, v50, v51
	v_cndmask_b32_e64 v49, v49, v50, s61
	v_lshl_add_u32 v51, v51, 1, v178
	ds_read_u16 v51, v51
	s_waitcnt lgkmcnt(0)
	v_cndmask_b32_e64 v87, v51, v96, s61
	v_cndmask_b32_e64 v43, v42, v51, s61
	v_cmpx_lt_u32_e64 v48, v244
	s_cbranch_execz .LBB872_2058
; %bb.2055:
	s_mov_b32 s73, 0
	s_mov_b32 s62, exec_lo
	v_cmpx_lt_u32_e64 v49, v243
	s_cbranch_execz .LBB872_2057
; %bb.2056:
	v_mov_b32_e32 v50, 1
	v_lshlrev_b32_sdwa v51, v50, v87 dst_sel:DWORD dst_unused:UNUSED_PAD src0_sel:DWORD src1_sel:WORD_0
	v_lshlrev_b32_sdwa v52, v50, v43 dst_sel:DWORD dst_unused:UNUSED_PAD src0_sel:DWORD src1_sel:WORD_0
	v_add_co_u32 v50, s8, v6, v51
	v_add_co_ci_u32_e64 v51, null, 0, v7, s8
	v_add_co_u32 v52, s8, v6, v52
	v_add_co_ci_u32_e64 v53, null, 0, v7, s8
	s_clause 0x1
	flat_load_ushort v50, v[50:51]
	flat_load_ushort v51, v[52:53]
	s_waitcnt vmcnt(0) lgkmcnt(0)
	v_cmp_ge_u16_e64 s8, v50, v51
	s_and_b32 s73, s8, exec_lo
.LBB872_2057:
	s_or_b32 exec_lo, exec_lo, s62
	s_orn2_b32 s62, s73, exec_lo
.LBB872_2058:
	s_or_b32 exec_lo, exec_lo, s72
	v_cndmask_b32_e64 v50, v48, v49, s62
	v_cndmask_b32_e64 v51, v244, v243, s62
	s_mov_b32 s72, exec_lo
	v_add_nc_u32_e32 v50, 1, v50
	v_add_nc_u32_e32 v51, -1, v51
	v_cndmask_b32_e64 v48, v50, v48, s62
	v_min_u32_e32 v51, v50, v51
	v_cndmask_b32_e64 v49, v49, v50, s62
	v_lshl_add_u32 v51, v51, 1, v178
	ds_read_u16 v51, v51
	s_waitcnt lgkmcnt(0)
	v_cndmask_b32_e64 v86, v51, v87, s62
	v_cndmask_b32_e64 v44, v43, v51, s62
	v_cmpx_lt_u32_e64 v48, v244
	s_cbranch_execz .LBB872_2062
; %bb.2059:
	s_mov_b32 s73, 0
	s_mov_b32 s63, exec_lo
	v_cmpx_lt_u32_e64 v49, v243
	s_cbranch_execz .LBB872_2061
; %bb.2060:
	v_mov_b32_e32 v50, 1
	v_lshlrev_b32_sdwa v51, v50, v86 dst_sel:DWORD dst_unused:UNUSED_PAD src0_sel:DWORD src1_sel:WORD_0
	v_lshlrev_b32_sdwa v52, v50, v44 dst_sel:DWORD dst_unused:UNUSED_PAD src0_sel:DWORD src1_sel:WORD_0
	v_add_co_u32 v50, s8, v6, v51
	v_add_co_ci_u32_e64 v51, null, 0, v7, s8
	v_add_co_u32 v52, s8, v6, v52
	v_add_co_ci_u32_e64 v53, null, 0, v7, s8
	s_clause 0x1
	flat_load_ushort v50, v[50:51]
	flat_load_ushort v51, v[52:53]
	s_waitcnt vmcnt(0) lgkmcnt(0)
	v_cmp_ge_u16_e64 s8, v50, v51
	s_and_b32 s73, s8, exec_lo
.LBB872_2061:
	s_or_b32 exec_lo, exec_lo, s63
	s_orn2_b32 s63, s73, exec_lo
.LBB872_2062:
	s_or_b32 exec_lo, exec_lo, s72
	v_cndmask_b32_e64 v50, v48, v49, s63
	v_cndmask_b32_e64 v51, v244, v243, s63
	s_mov_b32 s73, -1
	s_mov_b32 s72, -1
	s_mov_b32 s74, exec_lo
	v_add_nc_u32_e32 v50, 1, v50
	v_add_nc_u32_e32 v51, -1, v51
	v_cndmask_b32_e64 v48, v50, v48, s63
	v_min_u32_e32 v51, v50, v51
	v_cndmask_b32_e64 v49, v49, v50, s63
	v_lshl_add_u32 v51, v51, 1, v178
	ds_read_u16 v51, v51
	s_waitcnt lgkmcnt(0)
	v_cndmask_b32_e64 v85, v51, v86, s63
	v_cndmask_b32_e64 v45, v44, v51, s63
	v_cmpx_lt_u32_e64 v48, v244
	s_cbranch_execz .LBB872_2066
; %bb.2063:
	s_mov_b32 s75, 0
	s_mov_b32 s72, exec_lo
	v_cmpx_lt_u32_e64 v49, v243
	s_cbranch_execz .LBB872_2065
; %bb.2064:
	v_mov_b32_e32 v50, 1
	v_lshlrev_b32_sdwa v51, v50, v85 dst_sel:DWORD dst_unused:UNUSED_PAD src0_sel:DWORD src1_sel:WORD_0
	v_lshlrev_b32_sdwa v52, v50, v45 dst_sel:DWORD dst_unused:UNUSED_PAD src0_sel:DWORD src1_sel:WORD_0
	v_add_co_u32 v50, s8, v6, v51
	v_add_co_ci_u32_e64 v51, null, 0, v7, s8
	v_add_co_u32 v52, s8, v6, v52
	v_add_co_ci_u32_e64 v53, null, 0, v7, s8
	s_clause 0x1
	flat_load_ushort v50, v[50:51]
	flat_load_ushort v51, v[52:53]
	s_waitcnt vmcnt(0) lgkmcnt(0)
	v_cmp_ge_u16_e64 s8, v50, v51
	s_and_b32 s75, s8, exec_lo
.LBB872_2065:
	s_or_b32 exec_lo, exec_lo, s72
	s_orn2_b32 s72, s75, exec_lo
.LBB872_2066:
	s_or_b32 exec_lo, exec_lo, s74
	v_cndmask_b32_e64 v50, v48, v49, s72
	v_cndmask_b32_e64 v51, v244, v243, s72
	s_mov_b32 s74, exec_lo
	v_add_nc_u32_e32 v50, 1, v50
	v_add_nc_u32_e32 v51, -1, v51
	v_cndmask_b32_e64 v48, v50, v48, s72
	v_min_u32_e32 v51, v50, v51
	v_cndmask_b32_e64 v49, v49, v50, s72
	v_lshl_add_u32 v51, v51, 1, v178
	ds_read_u16 v51, v51
	s_waitcnt lgkmcnt(0)
	v_cndmask_b32_e64 v84, v51, v85, s72
	v_cndmask_b32_e64 v46, v45, v51, s72
	v_cmpx_lt_u32_e64 v48, v244
	s_cbranch_execz .LBB872_2070
; %bb.2067:
	s_mov_b32 s75, 0
	s_mov_b32 s73, exec_lo
	v_cmpx_lt_u32_e64 v49, v243
	s_cbranch_execz .LBB872_2069
; %bb.2068:
	v_mov_b32_e32 v50, 1
	v_lshlrev_b32_sdwa v51, v50, v84 dst_sel:DWORD dst_unused:UNUSED_PAD src0_sel:DWORD src1_sel:WORD_0
	v_lshlrev_b32_sdwa v52, v50, v46 dst_sel:DWORD dst_unused:UNUSED_PAD src0_sel:DWORD src1_sel:WORD_0
	v_add_co_u32 v50, s8, v6, v51
	v_add_co_ci_u32_e64 v51, null, 0, v7, s8
	v_add_co_u32 v52, s8, v6, v52
	v_add_co_ci_u32_e64 v53, null, 0, v7, s8
	s_clause 0x1
	flat_load_ushort v50, v[50:51]
	flat_load_ushort v51, v[52:53]
	s_waitcnt vmcnt(0) lgkmcnt(0)
	v_cmp_ge_u16_e64 s8, v50, v51
	s_and_b32 s75, s8, exec_lo
.LBB872_2069:
	s_or_b32 exec_lo, exec_lo, s73
	s_orn2_b32 s73, s75, exec_lo
.LBB872_2070:
	s_or_b32 exec_lo, exec_lo, s74
	v_cndmask_b32_e64 v50, v48, v49, s73
	v_cndmask_b32_e64 v51, v244, v243, s73
	s_mov_b32 s75, -1
	s_mov_b32 s74, -1
	s_mov_b32 s76, exec_lo
	v_add_nc_u32_e32 v50, 1, v50
	v_add_nc_u32_e32 v51, -1, v51
	v_cndmask_b32_e64 v48, v50, v48, s73
	v_min_u32_e32 v51, v50, v51
	v_cndmask_b32_e64 v49, v49, v50, s73
	v_lshl_add_u32 v51, v51, 1, v178
	ds_read_u16 v51, v51
	s_waitcnt lgkmcnt(0)
	v_cndmask_b32_e64 v83, v51, v84, s73
	v_cndmask_b32_e64 v47, v46, v51, s73
	v_cmpx_lt_u32_e64 v48, v244
	s_cbranch_execz .LBB872_2074
; %bb.2071:
	s_mov_b32 s77, 0
	s_mov_b32 s74, exec_lo
	v_cmpx_lt_u32_e64 v49, v243
	s_cbranch_execz .LBB872_2073
; %bb.2072:
	v_mov_b32_e32 v50, 1
	v_lshlrev_b32_sdwa v51, v50, v83 dst_sel:DWORD dst_unused:UNUSED_PAD src0_sel:DWORD src1_sel:WORD_0
	v_lshlrev_b32_sdwa v52, v50, v47 dst_sel:DWORD dst_unused:UNUSED_PAD src0_sel:DWORD src1_sel:WORD_0
	v_add_co_u32 v50, s8, v6, v51
	v_add_co_ci_u32_e64 v51, null, 0, v7, s8
	v_add_co_u32 v52, s8, v6, v52
	v_add_co_ci_u32_e64 v53, null, 0, v7, s8
	s_clause 0x1
	flat_load_ushort v50, v[50:51]
	flat_load_ushort v51, v[52:53]
	s_waitcnt vmcnt(0) lgkmcnt(0)
	v_cmp_ge_u16_e64 s8, v50, v51
	s_and_b32 s77, s8, exec_lo
.LBB872_2073:
	s_or_b32 exec_lo, exec_lo, s74
	s_orn2_b32 s74, s77, exec_lo
.LBB872_2074:
	s_or_b32 exec_lo, exec_lo, s76
	v_cndmask_b32_e64 v50, v48, v49, s74
	v_cndmask_b32_e64 v51, v244, v243, s74
	s_mov_b32 s76, exec_lo
	v_add_nc_u32_e32 v50, 1, v50
	v_add_nc_u32_e32 v51, -1, v51
	v_cndmask_b32_e64 v48, v50, v48, s74
	v_min_u32_e32 v51, v50, v51
	v_cndmask_b32_e64 v49, v49, v50, s74
	v_lshl_add_u32 v51, v51, 1, v178
	ds_read_u16 v51, v51
	s_waitcnt lgkmcnt(0)
	v_cndmask_b32_e64 v82, v51, v83, s74
	v_cndmask_b32_e64 v56, v47, v51, s74
	v_cmpx_lt_u32_e64 v48, v244
	s_cbranch_execz .LBB872_2078
; %bb.2075:
	s_mov_b32 s77, 0
	s_mov_b32 s75, exec_lo
	v_cmpx_lt_u32_e64 v49, v243
	s_cbranch_execz .LBB872_2077
; %bb.2076:
	v_mov_b32_e32 v50, 1
	v_lshlrev_b32_sdwa v51, v50, v82 dst_sel:DWORD dst_unused:UNUSED_PAD src0_sel:DWORD src1_sel:WORD_0
	v_lshlrev_b32_sdwa v52, v50, v56 dst_sel:DWORD dst_unused:UNUSED_PAD src0_sel:DWORD src1_sel:WORD_0
	v_add_co_u32 v50, s8, v6, v51
	v_add_co_ci_u32_e64 v51, null, 0, v7, s8
	v_add_co_u32 v52, s8, v6, v52
	v_add_co_ci_u32_e64 v53, null, 0, v7, s8
	s_clause 0x1
	flat_load_ushort v50, v[50:51]
	flat_load_ushort v51, v[52:53]
	s_waitcnt vmcnt(0) lgkmcnt(0)
	v_cmp_ge_u16_e64 s8, v50, v51
	s_and_b32 s77, s8, exec_lo
.LBB872_2077:
	s_or_b32 exec_lo, exec_lo, s75
	s_orn2_b32 s75, s77, exec_lo
.LBB872_2078:
	s_or_b32 exec_lo, exec_lo, s76
	v_cndmask_b32_e64 v50, v48, v49, s75
	v_cndmask_b32_e64 v51, v244, v243, s75
	s_mov_b32 s77, -1
	s_mov_b32 s76, -1
	s_mov_b32 s78, exec_lo
	v_add_nc_u32_e32 v50, 1, v50
	v_add_nc_u32_e32 v51, -1, v51
	v_cndmask_b32_e64 v48, v50, v48, s75
	v_min_u32_e32 v51, v50, v51
	v_cndmask_b32_e64 v49, v49, v50, s75
	v_lshl_add_u32 v51, v51, 1, v178
	ds_read_u16 v51, v51
	s_waitcnt lgkmcnt(0)
	v_cndmask_b32_e64 v81, v51, v82, s75
	v_cndmask_b32_e64 v57, v56, v51, s75
	v_cmpx_lt_u32_e64 v48, v244
	s_cbranch_execz .LBB872_2082
; %bb.2079:
	s_mov_b32 s79, 0
	s_mov_b32 s76, exec_lo
	v_cmpx_lt_u32_e64 v49, v243
	s_cbranch_execz .LBB872_2081
; %bb.2080:
	v_mov_b32_e32 v50, 1
	v_lshlrev_b32_sdwa v51, v50, v81 dst_sel:DWORD dst_unused:UNUSED_PAD src0_sel:DWORD src1_sel:WORD_0
	v_lshlrev_b32_sdwa v52, v50, v57 dst_sel:DWORD dst_unused:UNUSED_PAD src0_sel:DWORD src1_sel:WORD_0
	v_add_co_u32 v50, s8, v6, v51
	v_add_co_ci_u32_e64 v51, null, 0, v7, s8
	v_add_co_u32 v52, s8, v6, v52
	v_add_co_ci_u32_e64 v53, null, 0, v7, s8
	s_clause 0x1
	flat_load_ushort v50, v[50:51]
	flat_load_ushort v51, v[52:53]
	s_waitcnt vmcnt(0) lgkmcnt(0)
	v_cmp_ge_u16_e64 s8, v50, v51
	s_and_b32 s79, s8, exec_lo
.LBB872_2081:
	s_or_b32 exec_lo, exec_lo, s76
	s_orn2_b32 s76, s79, exec_lo
.LBB872_2082:
	s_or_b32 exec_lo, exec_lo, s78
	v_cndmask_b32_e64 v50, v48, v49, s76
	v_cndmask_b32_e64 v51, v244, v243, s76
	s_mov_b32 s78, exec_lo
	v_add_nc_u32_e32 v50, 1, v50
	v_add_nc_u32_e32 v51, -1, v51
	v_cndmask_b32_e64 v48, v50, v48, s76
	v_min_u32_e32 v51, v50, v51
	v_cndmask_b32_e64 v49, v49, v50, s76
	v_lshl_add_u32 v51, v51, 1, v178
	ds_read_u16 v51, v51
	s_waitcnt lgkmcnt(0)
	v_cndmask_b32_e64 v80, v51, v81, s76
	v_cndmask_b32_e64 v58, v57, v51, s76
	v_cmpx_lt_u32_e64 v48, v244
	s_cbranch_execz .LBB872_2086
; %bb.2083:
	s_mov_b32 s79, 0
	s_mov_b32 s77, exec_lo
	v_cmpx_lt_u32_e64 v49, v243
	s_cbranch_execz .LBB872_2085
; %bb.2084:
	v_mov_b32_e32 v50, 1
	v_lshlrev_b32_sdwa v51, v50, v80 dst_sel:DWORD dst_unused:UNUSED_PAD src0_sel:DWORD src1_sel:WORD_0
	v_lshlrev_b32_sdwa v52, v50, v58 dst_sel:DWORD dst_unused:UNUSED_PAD src0_sel:DWORD src1_sel:WORD_0
	v_add_co_u32 v50, s8, v6, v51
	v_add_co_ci_u32_e64 v51, null, 0, v7, s8
	v_add_co_u32 v52, s8, v6, v52
	v_add_co_ci_u32_e64 v53, null, 0, v7, s8
	s_clause 0x1
	flat_load_ushort v50, v[50:51]
	flat_load_ushort v51, v[52:53]
	s_waitcnt vmcnt(0) lgkmcnt(0)
	v_cmp_ge_u16_e64 s8, v50, v51
	s_and_b32 s79, s8, exec_lo
.LBB872_2085:
	s_or_b32 exec_lo, exec_lo, s77
	s_orn2_b32 s77, s79, exec_lo
.LBB872_2086:
	s_or_b32 exec_lo, exec_lo, s78
	v_cndmask_b32_e64 v50, v48, v49, s77
	v_cndmask_b32_e64 v51, v244, v243, s77
	s_mov_b32 s79, -1
	s_mov_b32 s78, -1
	s_mov_b32 s88, exec_lo
	v_add_nc_u32_e32 v50, 1, v50
	v_add_nc_u32_e32 v51, -1, v51
	v_cndmask_b32_e64 v48, v50, v48, s77
	v_min_u32_e32 v51, v50, v51
	v_cndmask_b32_e64 v49, v49, v50, s77
	v_lshl_add_u32 v51, v51, 1, v178
	ds_read_u16 v51, v51
	s_waitcnt lgkmcnt(0)
	v_cndmask_b32_e64 v71, v51, v80, s77
	v_cndmask_b32_e64 v59, v58, v51, s77
	v_cmpx_lt_u32_e64 v48, v244
	s_cbranch_execz .LBB872_2090
; %bb.2087:
	s_mov_b32 s89, 0
	s_mov_b32 s78, exec_lo
	v_cmpx_lt_u32_e64 v49, v243
	s_cbranch_execz .LBB872_2089
; %bb.2088:
	v_mov_b32_e32 v50, 1
	v_lshlrev_b32_sdwa v51, v50, v71 dst_sel:DWORD dst_unused:UNUSED_PAD src0_sel:DWORD src1_sel:WORD_0
	v_lshlrev_b32_sdwa v52, v50, v59 dst_sel:DWORD dst_unused:UNUSED_PAD src0_sel:DWORD src1_sel:WORD_0
	v_add_co_u32 v50, s8, v6, v51
	v_add_co_ci_u32_e64 v51, null, 0, v7, s8
	v_add_co_u32 v52, s8, v6, v52
	v_add_co_ci_u32_e64 v53, null, 0, v7, s8
	s_clause 0x1
	flat_load_ushort v50, v[50:51]
	flat_load_ushort v51, v[52:53]
	s_waitcnt vmcnt(0) lgkmcnt(0)
	v_cmp_ge_u16_e64 s8, v50, v51
	s_and_b32 s89, s8, exec_lo
.LBB872_2089:
	s_or_b32 exec_lo, exec_lo, s78
	s_orn2_b32 s78, s89, exec_lo
.LBB872_2090:
	s_or_b32 exec_lo, exec_lo, s88
	v_cndmask_b32_e64 v50, v48, v49, s78
	v_cndmask_b32_e64 v51, v244, v243, s78
	s_mov_b32 s88, exec_lo
	v_add_nc_u32_e32 v50, 1, v50
	v_add_nc_u32_e32 v51, -1, v51
	v_cndmask_b32_e64 v48, v50, v48, s78
	v_min_u32_e32 v51, v50, v51
	v_cndmask_b32_e64 v49, v49, v50, s78
	v_lshl_add_u32 v51, v51, 1, v178
	ds_read_u16 v51, v51
	s_waitcnt lgkmcnt(0)
	v_cndmask_b32_e64 v70, v51, v71, s78
	v_cndmask_b32_e64 v60, v59, v51, s78
	v_cmpx_lt_u32_e64 v48, v244
	s_cbranch_execz .LBB872_2094
; %bb.2091:
	s_mov_b32 s89, 0
	s_mov_b32 s79, exec_lo
	v_cmpx_lt_u32_e64 v49, v243
	s_cbranch_execz .LBB872_2093
; %bb.2092:
	v_mov_b32_e32 v50, 1
	v_lshlrev_b32_sdwa v51, v50, v70 dst_sel:DWORD dst_unused:UNUSED_PAD src0_sel:DWORD src1_sel:WORD_0
	v_lshlrev_b32_sdwa v52, v50, v60 dst_sel:DWORD dst_unused:UNUSED_PAD src0_sel:DWORD src1_sel:WORD_0
	v_add_co_u32 v50, s8, v6, v51
	v_add_co_ci_u32_e64 v51, null, 0, v7, s8
	v_add_co_u32 v52, s8, v6, v52
	v_add_co_ci_u32_e64 v53, null, 0, v7, s8
	s_clause 0x1
	flat_load_ushort v50, v[50:51]
	flat_load_ushort v51, v[52:53]
	s_waitcnt vmcnt(0) lgkmcnt(0)
	v_cmp_ge_u16_e64 s8, v50, v51
	s_and_b32 s89, s8, exec_lo
.LBB872_2093:
	s_or_b32 exec_lo, exec_lo, s79
	s_orn2_b32 s79, s89, exec_lo
.LBB872_2094:
	s_or_b32 exec_lo, exec_lo, s88
	v_cndmask_b32_e64 v50, v48, v49, s79
	v_cndmask_b32_e64 v51, v244, v243, s79
	s_mov_b32 s89, -1
	s_mov_b32 s88, -1
	s_mov_b32 s90, exec_lo
	v_add_nc_u32_e32 v50, 1, v50
	v_add_nc_u32_e32 v51, -1, v51
	v_cndmask_b32_e64 v48, v50, v48, s79
	v_min_u32_e32 v51, v50, v51
	v_cndmask_b32_e64 v49, v49, v50, s79
	v_lshl_add_u32 v51, v51, 1, v178
	ds_read_u16 v51, v51
	s_waitcnt lgkmcnt(0)
	v_cndmask_b32_e64 v69, v51, v70, s79
	v_cndmask_b32_e64 v61, v60, v51, s79
	v_cmpx_lt_u32_e64 v48, v244
	s_cbranch_execz .LBB872_2098
; %bb.2095:
	s_mov_b32 s91, 0
	s_mov_b32 s88, exec_lo
	v_cmpx_lt_u32_e64 v49, v243
	s_cbranch_execz .LBB872_2097
; %bb.2096:
	v_mov_b32_e32 v50, 1
	v_lshlrev_b32_sdwa v51, v50, v69 dst_sel:DWORD dst_unused:UNUSED_PAD src0_sel:DWORD src1_sel:WORD_0
	v_lshlrev_b32_sdwa v52, v50, v61 dst_sel:DWORD dst_unused:UNUSED_PAD src0_sel:DWORD src1_sel:WORD_0
	v_add_co_u32 v50, s8, v6, v51
	v_add_co_ci_u32_e64 v51, null, 0, v7, s8
	v_add_co_u32 v52, s8, v6, v52
	v_add_co_ci_u32_e64 v53, null, 0, v7, s8
	s_clause 0x1
	flat_load_ushort v50, v[50:51]
	flat_load_ushort v51, v[52:53]
	s_waitcnt vmcnt(0) lgkmcnt(0)
	v_cmp_ge_u16_e64 s8, v50, v51
	s_and_b32 s91, s8, exec_lo
.LBB872_2097:
	s_or_b32 exec_lo, exec_lo, s88
	s_orn2_b32 s88, s91, exec_lo
.LBB872_2098:
	s_or_b32 exec_lo, exec_lo, s90
	v_cndmask_b32_e64 v50, v48, v49, s88
	v_cndmask_b32_e64 v51, v244, v243, s88
	s_mov_b32 s90, exec_lo
	v_add_nc_u32_e32 v50, 1, v50
	v_add_nc_u32_e32 v51, -1, v51
	v_cndmask_b32_e64 v48, v50, v48, s88
	v_min_u32_e32 v51, v50, v51
	v_cndmask_b32_e64 v49, v49, v50, s88
	v_lshl_add_u32 v51, v51, 1, v178
	ds_read_u16 v51, v51
	s_waitcnt lgkmcnt(0)
	v_cndmask_b32_e64 v68, v51, v69, s88
	v_cndmask_b32_e64 v62, v61, v51, s88
	v_cmpx_lt_u32_e64 v48, v244
	s_cbranch_execz .LBB872_2102
; %bb.2099:
	s_mov_b32 s91, 0
	s_mov_b32 s89, exec_lo
	v_cmpx_lt_u32_e64 v49, v243
	s_cbranch_execz .LBB872_2101
; %bb.2100:
	v_mov_b32_e32 v50, 1
	v_lshlrev_b32_sdwa v51, v50, v68 dst_sel:DWORD dst_unused:UNUSED_PAD src0_sel:DWORD src1_sel:WORD_0
	v_lshlrev_b32_sdwa v52, v50, v62 dst_sel:DWORD dst_unused:UNUSED_PAD src0_sel:DWORD src1_sel:WORD_0
	v_add_co_u32 v50, s8, v6, v51
	v_add_co_ci_u32_e64 v51, null, 0, v7, s8
	v_add_co_u32 v52, s8, v6, v52
	v_add_co_ci_u32_e64 v53, null, 0, v7, s8
	s_clause 0x1
	flat_load_ushort v50, v[50:51]
	flat_load_ushort v51, v[52:53]
	s_waitcnt vmcnt(0) lgkmcnt(0)
	v_cmp_ge_u16_e64 s8, v50, v51
	s_and_b32 s91, s8, exec_lo
.LBB872_2101:
	s_or_b32 exec_lo, exec_lo, s89
	s_orn2_b32 s89, s91, exec_lo
.LBB872_2102:
	s_or_b32 exec_lo, exec_lo, s90
	v_cndmask_b32_e64 v50, v48, v49, s89
	v_cndmask_b32_e64 v51, v244, v243, s89
	s_mov_b32 s91, -1
	s_mov_b32 s90, -1
	s_mov_b32 s92, exec_lo
	v_add_nc_u32_e32 v50, 1, v50
	v_add_nc_u32_e32 v51, -1, v51
	v_cndmask_b32_e64 v48, v50, v48, s89
	v_min_u32_e32 v51, v50, v51
	v_cndmask_b32_e64 v49, v49, v50, s89
	v_lshl_add_u32 v51, v51, 1, v178
	ds_read_u16 v51, v51
	s_waitcnt lgkmcnt(0)
	v_cndmask_b32_e64 v67, v51, v68, s89
	v_cndmask_b32_e64 v63, v62, v51, s89
	v_cmpx_lt_u32_e64 v48, v244
	s_cbranch_execz .LBB872_2106
; %bb.2103:
	s_mov_b32 s93, 0
	s_mov_b32 s90, exec_lo
	v_cmpx_lt_u32_e64 v49, v243
	s_cbranch_execz .LBB872_2105
; %bb.2104:
	v_mov_b32_e32 v50, 1
	v_lshlrev_b32_sdwa v51, v50, v67 dst_sel:DWORD dst_unused:UNUSED_PAD src0_sel:DWORD src1_sel:WORD_0
	v_lshlrev_b32_sdwa v52, v50, v63 dst_sel:DWORD dst_unused:UNUSED_PAD src0_sel:DWORD src1_sel:WORD_0
	v_add_co_u32 v50, s8, v6, v51
	v_add_co_ci_u32_e64 v51, null, 0, v7, s8
	v_add_co_u32 v52, s8, v6, v52
	v_add_co_ci_u32_e64 v53, null, 0, v7, s8
	s_clause 0x1
	flat_load_ushort v50, v[50:51]
	flat_load_ushort v51, v[52:53]
	s_waitcnt vmcnt(0) lgkmcnt(0)
	v_cmp_ge_u16_e64 s8, v50, v51
	s_and_b32 s93, s8, exec_lo
.LBB872_2105:
	s_or_b32 exec_lo, exec_lo, s90
	s_orn2_b32 s90, s93, exec_lo
.LBB872_2106:
	s_or_b32 exec_lo, exec_lo, s92
	v_cndmask_b32_e64 v50, v48, v49, s90
	v_cndmask_b32_e64 v51, v244, v243, s90
	s_mov_b32 s92, exec_lo
	v_add_nc_u32_e32 v50, 1, v50
	v_add_nc_u32_e32 v51, -1, v51
	v_cndmask_b32_e64 v48, v50, v48, s90
	v_min_u32_e32 v51, v50, v51
	v_cndmask_b32_e64 v49, v49, v50, s90
	v_lshl_add_u32 v51, v51, 1, v178
	ds_read_u16 v51, v51
	s_waitcnt lgkmcnt(0)
	v_cndmask_b32_e64 v66, v51, v67, s90
	v_cndmask_b32_e64 v72, v63, v51, s90
	v_cmpx_lt_u32_e64 v48, v244
	s_cbranch_execz .LBB872_2110
; %bb.2107:
	s_mov_b32 s93, 0
	s_mov_b32 s91, exec_lo
	v_cmpx_lt_u32_e64 v49, v243
	s_cbranch_execz .LBB872_2109
; %bb.2108:
	v_mov_b32_e32 v50, 1
	v_lshlrev_b32_sdwa v51, v50, v66 dst_sel:DWORD dst_unused:UNUSED_PAD src0_sel:DWORD src1_sel:WORD_0
	v_lshlrev_b32_sdwa v52, v50, v72 dst_sel:DWORD dst_unused:UNUSED_PAD src0_sel:DWORD src1_sel:WORD_0
	v_add_co_u32 v50, s8, v6, v51
	v_add_co_ci_u32_e64 v51, null, 0, v7, s8
	v_add_co_u32 v52, s8, v6, v52
	v_add_co_ci_u32_e64 v53, null, 0, v7, s8
	s_clause 0x1
	flat_load_ushort v50, v[50:51]
	flat_load_ushort v51, v[52:53]
	s_waitcnt vmcnt(0) lgkmcnt(0)
	v_cmp_ge_u16_e64 s8, v50, v51
	s_and_b32 s93, s8, exec_lo
.LBB872_2109:
	s_or_b32 exec_lo, exec_lo, s91
	s_orn2_b32 s91, s93, exec_lo
.LBB872_2110:
	s_or_b32 exec_lo, exec_lo, s92
	v_cndmask_b32_e64 v50, v48, v49, s91
	v_cndmask_b32_e64 v51, v244, v243, s91
	s_mov_b32 s93, -1
	s_mov_b32 s92, -1
	s_mov_b32 s94, exec_lo
	v_add_nc_u32_e32 v50, 1, v50
	v_add_nc_u32_e32 v51, -1, v51
	v_cndmask_b32_e64 v48, v50, v48, s91
	v_min_u32_e32 v51, v50, v51
	v_cndmask_b32_e64 v49, v49, v50, s91
	v_lshl_add_u32 v51, v51, 1, v178
	ds_read_u16 v51, v51
	s_waitcnt lgkmcnt(0)
	v_cndmask_b32_e64 v65, v51, v66, s91
	v_cndmask_b32_e64 v73, v72, v51, s91
	v_cmpx_lt_u32_e64 v48, v244
	s_cbranch_execz .LBB872_2114
; %bb.2111:
	s_mov_b32 s95, 0
	s_mov_b32 s92, exec_lo
	v_cmpx_lt_u32_e64 v49, v243
	s_cbranch_execz .LBB872_2113
; %bb.2112:
	v_mov_b32_e32 v50, 1
	v_lshlrev_b32_sdwa v51, v50, v65 dst_sel:DWORD dst_unused:UNUSED_PAD src0_sel:DWORD src1_sel:WORD_0
	v_lshlrev_b32_sdwa v52, v50, v73 dst_sel:DWORD dst_unused:UNUSED_PAD src0_sel:DWORD src1_sel:WORD_0
	v_add_co_u32 v50, s8, v6, v51
	v_add_co_ci_u32_e64 v51, null, 0, v7, s8
	v_add_co_u32 v52, s8, v6, v52
	v_add_co_ci_u32_e64 v53, null, 0, v7, s8
	s_clause 0x1
	flat_load_ushort v50, v[50:51]
	flat_load_ushort v51, v[52:53]
	s_waitcnt vmcnt(0) lgkmcnt(0)
	v_cmp_ge_u16_e64 s8, v50, v51
	s_and_b32 s95, s8, exec_lo
.LBB872_2113:
	s_or_b32 exec_lo, exec_lo, s92
	s_orn2_b32 s92, s95, exec_lo
.LBB872_2114:
	s_or_b32 exec_lo, exec_lo, s94
	v_cndmask_b32_e64 v50, v48, v49, s92
	v_cndmask_b32_e64 v51, v244, v243, s92
	s_mov_b32 s94, exec_lo
	v_add_nc_u32_e32 v50, 1, v50
	v_add_nc_u32_e32 v51, -1, v51
	v_cndmask_b32_e64 v48, v50, v48, s92
	v_min_u32_e32 v51, v50, v51
	v_cndmask_b32_e64 v49, v49, v50, s92
	v_lshl_add_u32 v51, v51, 1, v178
	ds_read_u16 v51, v51
	s_waitcnt lgkmcnt(0)
	v_cndmask_b32_e64 v55, v51, v65, s92
	v_cndmask_b32_e64 v74, v73, v51, s92
	v_cmpx_lt_u32_e64 v48, v244
	s_cbranch_execz .LBB872_2118
; %bb.2115:
	s_mov_b32 s95, 0
	s_mov_b32 s93, exec_lo
	v_cmpx_lt_u32_e64 v49, v243
	s_cbranch_execz .LBB872_2117
; %bb.2116:
	v_mov_b32_e32 v50, 1
	v_lshlrev_b32_sdwa v51, v50, v55 dst_sel:DWORD dst_unused:UNUSED_PAD src0_sel:DWORD src1_sel:WORD_0
	v_lshlrev_b32_sdwa v52, v50, v74 dst_sel:DWORD dst_unused:UNUSED_PAD src0_sel:DWORD src1_sel:WORD_0
	v_add_co_u32 v50, s8, v6, v51
	v_add_co_ci_u32_e64 v51, null, 0, v7, s8
	v_add_co_u32 v52, s8, v6, v52
	v_add_co_ci_u32_e64 v53, null, 0, v7, s8
	s_clause 0x1
	flat_load_ushort v50, v[50:51]
	flat_load_ushort v51, v[52:53]
	s_waitcnt vmcnt(0) lgkmcnt(0)
	v_cmp_ge_u16_e64 s8, v50, v51
	s_and_b32 s95, s8, exec_lo
.LBB872_2117:
	s_or_b32 exec_lo, exec_lo, s93
	s_orn2_b32 s93, s95, exec_lo
.LBB872_2118:
	s_or_b32 exec_lo, exec_lo, s94
	v_cndmask_b32_e64 v50, v48, v49, s93
	v_cndmask_b32_e64 v51, v244, v243, s93
	s_mov_b32 s95, -1
	s_mov_b32 s94, -1
	s_mov_b32 vcc_hi, exec_lo
	v_add_nc_u32_e32 v50, 1, v50
	v_add_nc_u32_e32 v51, -1, v51
	v_cndmask_b32_e64 v48, v50, v48, s93
	v_min_u32_e32 v51, v50, v51
	v_cndmask_b32_e64 v49, v49, v50, s93
	v_lshl_add_u32 v51, v51, 1, v178
	ds_read_u16 v51, v51
	s_waitcnt lgkmcnt(0)
	v_cndmask_b32_e64 v54, v51, v55, s93
	v_cndmask_b32_e64 v75, v74, v51, s93
	v_cmpx_lt_u32_e64 v48, v244
	s_cbranch_execz .LBB872_2122
; %bb.2119:
	s_mov_b32 s30, 0
	s_mov_b32 s94, exec_lo
	v_cmpx_lt_u32_e64 v49, v243
	s_cbranch_execz .LBB872_2121
; %bb.2120:
	v_mov_b32_e32 v50, 1
	v_lshlrev_b32_sdwa v51, v50, v54 dst_sel:DWORD dst_unused:UNUSED_PAD src0_sel:DWORD src1_sel:WORD_0
	v_lshlrev_b32_sdwa v52, v50, v75 dst_sel:DWORD dst_unused:UNUSED_PAD src0_sel:DWORD src1_sel:WORD_0
	v_add_co_u32 v50, s8, v6, v51
	v_add_co_ci_u32_e64 v51, null, 0, v7, s8
	v_add_co_u32 v52, s8, v6, v52
	v_add_co_ci_u32_e64 v53, null, 0, v7, s8
	s_clause 0x1
	flat_load_ushort v50, v[50:51]
	flat_load_ushort v51, v[52:53]
	s_waitcnt vmcnt(0) lgkmcnt(0)
	v_cmp_ge_u16_e64 s8, v50, v51
	s_and_b32 s30, s8, exec_lo
.LBB872_2121:
	s_or_b32 exec_lo, exec_lo, s94
	s_orn2_b32 s94, s30, exec_lo
.LBB872_2122:
	s_or_b32 exec_lo, exec_lo, vcc_hi
	v_cndmask_b32_e64 v50, v48, v49, s94
	v_cndmask_b32_e64 v51, v244, v243, s94
	s_mov_b32 vcc_hi, exec_lo
	v_add_nc_u32_e32 v50, 1, v50
	v_add_nc_u32_e32 v51, -1, v51
	v_cndmask_b32_e64 v48, v50, v48, s94
	v_min_u32_e32 v51, v50, v51
	v_cndmask_b32_e64 v49, v49, v50, s94
	v_lshl_add_u32 v51, v51, 1, v178
	ds_read_u16 v51, v51
	s_waitcnt lgkmcnt(0)
	v_cndmask_b32_e64 v53, v51, v54, s94
	v_cndmask_b32_e64 v76, v75, v51, s94
	v_cmpx_lt_u32_e64 v48, v244
	s_cbranch_execz .LBB872_2126
; %bb.2123:
	s_mov_b32 s30, 0
	s_mov_b32 s95, exec_lo
	v_cmpx_lt_u32_e64 v49, v243
	s_cbranch_execz .LBB872_2125
; %bb.2124:
	v_mov_b32_e32 v50, 1
	v_lshlrev_b32_sdwa v51, v50, v53 dst_sel:DWORD dst_unused:UNUSED_PAD src0_sel:DWORD src1_sel:WORD_0
	v_lshlrev_b32_sdwa v52, v50, v76 dst_sel:DWORD dst_unused:UNUSED_PAD src0_sel:DWORD src1_sel:WORD_0
	v_add_co_u32 v50, s8, v6, v51
	v_add_co_ci_u32_e64 v51, null, 0, v7, s8
	v_add_co_u32 v77, s8, v6, v52
	v_add_co_ci_u32_e64 v78, null, 0, v7, s8
	s_clause 0x1
	flat_load_ushort v50, v[50:51]
	flat_load_ushort v51, v[77:78]
	s_waitcnt vmcnt(0) lgkmcnt(0)
	v_cmp_ge_u16_e64 s8, v50, v51
	s_and_b32 s30, s8, exec_lo
.LBB872_2125:
	s_or_b32 exec_lo, exec_lo, s95
	s_orn2_b32 s95, s30, exec_lo
.LBB872_2126:
	s_or_b32 exec_lo, exec_lo, vcc_hi
	v_cndmask_b32_e64 v50, v48, v49, s95
	v_cndmask_b32_e64 v51, v244, v243, s95
	s_mov_b32 s30, -1
	s_mov_b32 vcc_hi, -1
	s_mov_b32 s31, exec_lo
	v_add_nc_u32_e32 v50, 1, v50
	v_add_nc_u32_e32 v51, -1, v51
	v_cndmask_b32_e64 v48, v50, v48, s95
	v_min_u32_e32 v51, v50, v51
	v_cndmask_b32_e64 v49, v49, v50, s95
	v_lshl_add_u32 v51, v51, 1, v178
	ds_read_u16 v51, v51
	s_waitcnt lgkmcnt(0)
	v_cndmask_b32_e64 v64, v51, v53, s95
	v_cndmask_b32_e64 v77, v76, v51, s95
	v_cmpx_lt_u32_e64 v48, v244
	s_cbranch_execz .LBB872_2130
; %bb.2127:
	s_mov_b32 s34, 0
	s_mov_b32 vcc_hi, exec_lo
	v_cmpx_lt_u32_e64 v49, v243
	s_cbranch_execz .LBB872_2129
; %bb.2128:
	v_mov_b32_e32 v50, 1
	v_lshlrev_b32_sdwa v51, v50, v64 dst_sel:DWORD dst_unused:UNUSED_PAD src0_sel:DWORD src1_sel:WORD_0
	v_lshlrev_b32_sdwa v52, v50, v77 dst_sel:DWORD dst_unused:UNUSED_PAD src0_sel:DWORD src1_sel:WORD_0
	v_add_co_u32 v50, s8, v6, v51
	v_add_co_ci_u32_e64 v51, null, 0, v7, s8
	v_add_co_u32 v78, s8, v6, v52
	v_add_co_ci_u32_e64 v79, null, 0, v7, s8
	s_clause 0x1
	flat_load_ushort v50, v[50:51]
	flat_load_ushort v51, v[78:79]
	s_waitcnt vmcnt(0) lgkmcnt(0)
	v_cmp_ge_u16_e64 s8, v50, v51
	s_and_b32 s34, s8, exec_lo
.LBB872_2129:
	s_or_b32 exec_lo, exec_lo, vcc_hi
	s_orn2_b32 vcc_hi, s34, exec_lo
.LBB872_2130:
	s_or_b32 exec_lo, exec_lo, s31
	v_cndmask_b32_e64 v50, v48, v49, vcc_hi
	v_cndmask_b32_e64 v51, v244, v243, vcc_hi
	s_mov_b32 s31, exec_lo
	v_add_nc_u32_e32 v50, 1, v50
	v_add_nc_u32_e32 v51, -1, v51
	v_cndmask_b32_e64 v48, v50, v48, vcc_hi
	v_min_u32_e32 v51, v50, v51
	v_cndmask_b32_e64 v49, v49, v50, vcc_hi
	v_lshl_add_u32 v51, v51, 1, v178
	ds_read_u16 v51, v51
	s_waitcnt lgkmcnt(0)
	v_cndmask_b32_e64 v52, v51, v64, vcc_hi
	v_cndmask_b32_e64 v78, v77, v51, vcc_hi
	v_cmpx_lt_u32_e64 v48, v244
	s_cbranch_execz .LBB872_2134
; %bb.2131:
	s_mov_b32 s34, 0
	s_mov_b32 s30, exec_lo
	v_cmpx_lt_u32_e64 v49, v243
	s_cbranch_execz .LBB872_2133
; %bb.2132:
	v_mov_b32_e32 v50, 1
	v_lshlrev_b32_sdwa v51, v50, v52 dst_sel:DWORD dst_unused:UNUSED_PAD src0_sel:DWORD src1_sel:WORD_0
	v_lshlrev_b32_sdwa v79, v50, v78 dst_sel:DWORD dst_unused:UNUSED_PAD src0_sel:DWORD src1_sel:WORD_0
	v_add_co_u32 v50, s8, v6, v51
	v_add_co_ci_u32_e64 v51, null, 0, v7, s8
	v_add_co_u32 v88, s8, v6, v79
	v_add_co_ci_u32_e64 v89, null, 0, v7, s8
	s_clause 0x1
	flat_load_ushort v50, v[50:51]
	flat_load_ushort v51, v[88:89]
	s_waitcnt vmcnt(0) lgkmcnt(0)
	v_cmp_ge_u16_e64 s8, v50, v51
	s_and_b32 s34, s8, exec_lo
.LBB872_2133:
	s_or_b32 exec_lo, exec_lo, s30
	s_orn2_b32 s30, s34, exec_lo
.LBB872_2134:
	s_or_b32 exec_lo, exec_lo, s31
	v_cndmask_b32_e64 v50, v48, v49, s30
	v_cndmask_b32_e64 v51, v244, v243, s30
	s_mov_b32 s34, -1
	s_mov_b32 s31, -1
	s_mov_b32 s35, exec_lo
	v_add_nc_u32_e32 v50, 1, v50
	v_add_nc_u32_e32 v51, -1, v51
	v_cndmask_b32_e64 v48, v50, v48, s30
	v_min_u32_e32 v51, v50, v51
	v_cndmask_b32_e64 v49, v49, v50, s30
	v_lshl_add_u32 v51, v51, 1, v178
	ds_read_u16 v79, v51
	s_waitcnt lgkmcnt(0)
	v_cndmask_b32_e64 v51, v79, v52, s30
	v_cndmask_b32_e64 v79, v78, v79, s30
	v_cmpx_lt_u32_e64 v48, v244
	s_cbranch_execz .LBB872_2138
; %bb.2135:
	s_mov_b32 s38, 0
	s_mov_b32 s31, exec_lo
	v_cmpx_lt_u32_e64 v49, v243
	s_cbranch_execz .LBB872_2137
; %bb.2136:
	v_mov_b32_e32 v50, 1
	v_lshlrev_b32_sdwa v88, v50, v51 dst_sel:DWORD dst_unused:UNUSED_PAD src0_sel:DWORD src1_sel:WORD_0
	v_lshlrev_b32_sdwa v50, v50, v79 dst_sel:DWORD dst_unused:UNUSED_PAD src0_sel:DWORD src1_sel:WORD_0
	v_add_co_u32 v88, s8, v6, v88
	v_add_co_ci_u32_e64 v89, null, 0, v7, s8
	v_add_co_u32 v90, s8, v6, v50
	v_add_co_ci_u32_e64 v91, null, 0, v7, s8
	s_clause 0x1
	flat_load_ushort v50, v[88:89]
	flat_load_ushort v88, v[90:91]
	s_waitcnt vmcnt(0) lgkmcnt(0)
	v_cmp_ge_u16_e64 s8, v50, v88
	s_and_b32 s38, s8, exec_lo
.LBB872_2137:
	s_or_b32 exec_lo, exec_lo, s31
	s_orn2_b32 s31, s38, exec_lo
.LBB872_2138:
	s_or_b32 exec_lo, exec_lo, s35
	v_cndmask_b32_e64 v50, v48, v49, s31
	v_cndmask_b32_e64 v88, v244, v243, s31
	s_mov_b32 s35, exec_lo
	v_add_nc_u32_e32 v50, 1, v50
	v_add_nc_u32_e32 v88, -1, v88
	v_cndmask_b32_e64 v48, v50, v48, s31
	v_min_u32_e32 v88, v50, v88
	v_cndmask_b32_e64 v49, v49, v50, s31
	v_lshl_add_u32 v88, v88, 1, v178
	ds_read_u16 v88, v88
	s_waitcnt lgkmcnt(0)
	v_cndmask_b32_e64 v50, v88, v51, s31
	v_cndmask_b32_e64 v88, v79, v88, s31
	v_cmpx_lt_u32_e64 v48, v244
	s_cbranch_execz .LBB872_2142
; %bb.2139:
	s_mov_b32 s38, 0
	s_mov_b32 s34, exec_lo
	v_cmpx_lt_u32_e64 v49, v243
	s_cbranch_execz .LBB872_2141
; %bb.2140:
	v_mov_b32_e32 v89, 1
	v_lshlrev_b32_sdwa v90, v89, v50 dst_sel:DWORD dst_unused:UNUSED_PAD src0_sel:DWORD src1_sel:WORD_0
	v_lshlrev_b32_sdwa v91, v89, v88 dst_sel:DWORD dst_unused:UNUSED_PAD src0_sel:DWORD src1_sel:WORD_0
	v_add_co_u32 v89, s8, v6, v90
	v_add_co_ci_u32_e64 v90, null, 0, v7, s8
	v_add_co_u32 v91, s8, v6, v91
	v_add_co_ci_u32_e64 v92, null, 0, v7, s8
	s_clause 0x1
	flat_load_ushort v89, v[89:90]
	flat_load_ushort v90, v[91:92]
	s_waitcnt vmcnt(0) lgkmcnt(0)
	v_cmp_ge_u16_e64 s8, v89, v90
	s_and_b32 s38, s8, exec_lo
.LBB872_2141:
	s_or_b32 exec_lo, exec_lo, s34
	s_orn2_b32 s34, s38, exec_lo
.LBB872_2142:
	s_or_b32 exec_lo, exec_lo, s35
	v_cndmask_b32_e64 v89, v48, v49, s34
	v_cndmask_b32_e64 v90, v244, v243, s34
	s_mov_b32 s35, -1
	s_mov_b32 s38, -1
	s_mov_b32 s39, exec_lo
	v_add_nc_u32_e32 v89, 1, v89
	v_add_nc_u32_e32 v90, -1, v90
	v_cndmask_b32_e64 v48, v89, v48, s34
	v_min_u32_e32 v90, v89, v90
	v_lshl_add_u32 v90, v90, 1, v178
	ds_read_u16 v91, v90
	v_cndmask_b32_e64 v90, v49, v89, s34
	s_waitcnt lgkmcnt(0)
	v_cndmask_b32_e64 v49, v91, v50, s34
	v_cndmask_b32_e64 v89, v88, v91, s34
	v_cmpx_lt_u32_e64 v48, v244
	s_cbranch_execz .LBB872_2146
; %bb.2143:
	s_mov_b32 s48, 0
	s_mov_b32 s38, exec_lo
	v_cmpx_lt_u32_e64 v90, v243
	s_cbranch_execz .LBB872_2145
; %bb.2144:
	v_mov_b32_e32 v91, 1
	v_lshlrev_b32_sdwa v92, v91, v49 dst_sel:DWORD dst_unused:UNUSED_PAD src0_sel:DWORD src1_sel:WORD_0
	v_lshlrev_b32_sdwa v93, v91, v89 dst_sel:DWORD dst_unused:UNUSED_PAD src0_sel:DWORD src1_sel:WORD_0
	v_add_co_u32 v91, s8, v6, v92
	v_add_co_ci_u32_e64 v92, null, 0, v7, s8
	v_add_co_u32 v93, s8, v6, v93
	v_add_co_ci_u32_e64 v94, null, 0, v7, s8
	s_clause 0x1
	flat_load_ushort v91, v[91:92]
	flat_load_ushort v92, v[93:94]
	s_waitcnt vmcnt(0) lgkmcnt(0)
	v_cmp_ge_u16_e64 s8, v91, v92
	s_and_b32 s48, s8, exec_lo
.LBB872_2145:
	s_or_b32 exec_lo, exec_lo, s38
	s_orn2_b32 s38, s48, exec_lo
.LBB872_2146:
	s_or_b32 exec_lo, exec_lo, s39
	v_cndmask_b32_e64 v91, v48, v90, s38
	v_cndmask_b32_e64 v92, v244, v243, s38
	s_mov_b32 s39, exec_lo
	v_add_nc_u32_e32 v91, 1, v91
	v_add_nc_u32_e32 v92, -1, v92
	v_cndmask_b32_e64 v48, v91, v48, s38
	v_min_u32_e32 v92, v91, v92
	v_lshl_add_u32 v92, v92, 1, v178
	ds_read_u16 v93, v92
	v_cndmask_b32_e64 v92, v90, v91, s38
	s_waitcnt lgkmcnt(0)
	v_cndmask_b32_e64 v90, v93, v49, s38
	v_cndmask_b32_e64 v91, v89, v93, s38
	v_cmpx_lt_u32_e64 v48, v244
	s_cbranch_execz .LBB872_2150
; %bb.2147:
	s_mov_b32 s48, 0
	s_mov_b32 s35, exec_lo
	v_cmpx_lt_u32_e64 v92, v243
	s_cbranch_execz .LBB872_2149
; %bb.2148:
	v_mov_b32_e32 v93, 1
	v_lshlrev_b32_sdwa v94, v93, v90 dst_sel:DWORD dst_unused:UNUSED_PAD src0_sel:DWORD src1_sel:WORD_0
	v_lshlrev_b32_sdwa v95, v93, v91 dst_sel:DWORD dst_unused:UNUSED_PAD src0_sel:DWORD src1_sel:WORD_0
	v_add_co_u32 v93, s8, v6, v94
	v_add_co_ci_u32_e64 v94, null, 0, v7, s8
	v_add_co_u32 v104, s8, v6, v95
	v_add_co_ci_u32_e64 v105, null, 0, v7, s8
	s_clause 0x1
	flat_load_ushort v93, v[93:94]
	flat_load_ushort v94, v[104:105]
	s_waitcnt vmcnt(0) lgkmcnt(0)
	v_cmp_ge_u16_e64 s8, v93, v94
	s_and_b32 s48, s8, exec_lo
.LBB872_2149:
	s_or_b32 exec_lo, exec_lo, s35
	s_orn2_b32 s35, s48, exec_lo
.LBB872_2150:
	s_or_b32 exec_lo, exec_lo, s39
	v_cndmask_b32_e64 v93, v48, v92, s35
	v_cndmask_b32_e64 v94, v244, v243, s35
	s_mov_b32 s39, exec_lo
	v_add_nc_u32_e32 v93, 1, v93
	v_add_nc_u32_e32 v94, -1, v94
	v_cndmask_b32_e64 v95, v93, v48, s35
	v_min_u32_e32 v94, v93, v94
	v_lshl_add_u32 v94, v94, 1, v178
	ds_read_u16 v94, v94
	s_waitcnt lgkmcnt(0)
	v_cndmask_b32_e64 v48, v91, v94, s35
	v_cmpx_lt_u32_e64 v95, v244
	s_cbranch_execz .LBB872_2154
; %bb.2151:
	v_cndmask_b32_e64 v92, v92, v93, s35
	v_cndmask_b32_e64 v244, v94, v90, s35
	s_mov_b32 s48, exec_lo
	v_cmpx_lt_u32_e64 v92, v243
	s_cbranch_execz .LBB872_2153
; %bb.2152:
	v_mov_b32_e32 v243, 1
	v_lshlrev_b32_sdwa v92, v243, v244 dst_sel:DWORD dst_unused:UNUSED_PAD src0_sel:DWORD src1_sel:WORD_0
	v_lshlrev_b32_sdwa v243, v243, v48 dst_sel:DWORD dst_unused:UNUSED_PAD src0_sel:DWORD src1_sel:WORD_0
	v_add_co_u32 v92, s8, v6, v92
	v_add_co_ci_u32_e64 v93, null, 0, v7, s8
	v_add_co_u32 v94, s8, v6, v243
	v_add_co_ci_u32_e64 v95, null, 0, v7, s8
	s_clause 0x1
	flat_load_ushort v243, v[92:93]
	flat_load_ushort v92, v[94:95]
	s_waitcnt vmcnt(0) lgkmcnt(0)
	v_cmp_lt_u16_e64 s8, v243, v92
	v_cndmask_b32_e64 v244, v48, v244, s8
.LBB872_2153:
	s_or_b32 exec_lo, exec_lo, s48
	v_mov_b32_e32 v48, v244
.LBB872_2154:
	s_or_b32 exec_lo, exec_lo, s39
	v_cndmask_b32_e64 v49, v49, v89, s38
	v_cndmask_b32_e64 v50, v50, v88, s34
	;; [unrolled: 1-line block ×4, first 2 shown]
	v_cndmask_b32_e64 v64, v64, v77, vcc_hi
	v_cndmask_b32_e64 v53, v53, v76, s95
	v_cndmask_b32_e64 v54, v54, v75, s94
	;; [unrolled: 1-line block ×26, first 2 shown]
.LBB872_2155:
	s_or_b32 exec_lo, exec_lo, s12
	; wave barrier
	ds_write_b16 v181, v99
	ds_write_b16 v231, v102
	;; [unrolled: 1-line block ×5, first 2 shown]
	v_and_b32_e32 v231, 0x200, v180
	ds_write_b16 v227, v97
	ds_write_b16 v228, v96
	;; [unrolled: 1-line block ×15, first 2 shown]
	v_or_b32_e32 v181, 0x100, v231
	v_and_b32_e32 v208, 0x1e0, v180
	ds_write_b16 v197, v66
	ds_write_b16 v198, v65
	;; [unrolled: 1-line block ×6, first 2 shown]
	s_mov_b32 s9, exec_lo
	v_min_u32_e32 v181, v179, v181
	ds_write_b16 v182, v52
	ds_write_b16 v183, v51
	;; [unrolled: 1-line block ×6, first 2 shown]
	; wave barrier
	v_add_nc_u32_e32 v211, 0x100, v181
	v_sub_nc_u32_e32 v198, v181, v231
	v_min_u32_e32 v180, v179, v211
	v_min_u32_e32 v179, v179, v208
	v_sub_nc_u32_e32 v197, v180, v181
	v_min_u32_e32 v195, v179, v198
	v_sub_nc_u32_e64 v194, v179, v197 clamp
	v_cmpx_lt_u32_e64 v194, v195
	s_cbranch_execz .LBB872_2159
; %bb.2156:
	v_lshlrev_b32_e32 v1, 1, v231
	v_lshlrev_b32_e32 v2, 1, v181
	s_mov_b32 s12, 0
	v_add_co_u32 v1, null, v178, v1
	v_add_co_u32 v2, null, v178, v2
	s_inst_prefetch 0x1
	.p2align	6
.LBB872_2157:                           ; =>This Inner Loop Header: Depth=1
	v_add_nc_u32_e32 v182, v195, v194
	v_lshrrev_b32_e32 v196, 1, v182
	v_and_b32_e32 v182, -2, v182
	v_xad_u32 v183, v196, -1, v179
	v_add_nc_u32_e32 v182, v1, v182
	v_lshl_add_u32 v183, v183, 1, v2
	ds_read_u16 v182, v182
	ds_read_u16 v183, v183
	s_waitcnt lgkmcnt(1)
	v_lshlrev_b32_e32 v182, 1, v182
	s_waitcnt lgkmcnt(0)
	v_lshlrev_b32_e32 v192, 1, v183
	v_add_co_u32 v182, s8, v6, v182
	v_add_co_ci_u32_e64 v183, null, 0, v7, s8
	v_add_co_u32 v192, s8, v6, v192
	v_add_co_ci_u32_e64 v193, null, 0, v7, s8
	s_clause 0x1
	flat_load_ushort v192, v[192:193]
	flat_load_ushort v182, v[182:183]
	v_add_nc_u32_e32 v183, 1, v196
	s_waitcnt vmcnt(0) lgkmcnt(0)
	v_cmp_lt_u16_e64 s8, v192, v182
	v_cndmask_b32_e64 v195, v195, v196, s8
	v_cndmask_b32_e64 v194, v183, v194, s8
	v_cmp_ge_u32_e64 s8, v194, v195
	s_or_b32 s12, s8, s12
	s_andn2_b32 exec_lo, exec_lo, s12
	s_cbranch_execnz .LBB872_2157
; %bb.2158:
	s_inst_prefetch 0x2
	s_or_b32 exec_lo, exec_lo, s12
.LBB872_2159:
	s_or_b32 exec_lo, exec_lo, s9
	v_add_nc_u32_e32 v1, v181, v179
	v_add_nc_u32_e32 v179, v194, v231
	v_sub_nc_u32_e32 v182, v1, v194
	v_cmp_le_u32_e64 s8, v179, v181
	v_cmp_le_u32_e64 s9, v182, v180
	s_or_b32 s8, s8, s9
	s_and_saveexec_b32 s12, s8
	s_cbranch_execz .LBB872_2291
; %bb.2160:
	v_cmp_ge_u32_e64 s8, v179, v181
	s_mov_b32 s13, exec_lo
                                        ; implicit-def: $vgpr1
	v_cmpx_lt_u32_e64 v179, v181
; %bb.2161:
	v_lshl_add_u32 v1, v179, 1, v178
	ds_read_u16 v1, v1
; %bb.2162:
	s_or_b32 exec_lo, exec_lo, s13
	v_cmp_ge_u32_e64 s13, v182, v180
	s_mov_b32 s57, exec_lo
                                        ; implicit-def: $vgpr2
	v_cmpx_lt_u32_e64 v182, v180
; %bb.2163:
	v_lshl_add_u32 v2, v182, 1, v178
	ds_read_u16 v2, v2
; %bb.2164:
	s_or_b32 exec_lo, exec_lo, s57
	s_nor_b32 s8, s8, s13
	s_and_saveexec_b32 s9, s8
	s_cbranch_execz .LBB872_2166
; %bb.2165:
	v_mov_b32_e32 v48, 1
	s_andn2_b32 s13, s13, exec_lo
	s_waitcnt lgkmcnt(0)
	v_lshlrev_b32_sdwa v49, v48, v2 dst_sel:DWORD dst_unused:UNUSED_PAD src0_sel:DWORD src1_sel:WORD_0
	v_lshlrev_b32_sdwa v50, v48, v1 dst_sel:DWORD dst_unused:UNUSED_PAD src0_sel:DWORD src1_sel:WORD_0
	v_add_co_u32 v48, s8, v6, v49
	v_add_co_ci_u32_e64 v49, null, 0, v7, s8
	v_add_co_u32 v50, s8, v6, v50
	v_add_co_ci_u32_e64 v51, null, 0, v7, s8
	s_clause 0x1
	flat_load_ushort v48, v[48:49]
	flat_load_ushort v49, v[50:51]
	s_waitcnt vmcnt(0) lgkmcnt(0)
	v_cmp_ge_u16_e64 s8, v48, v49
	s_and_b32 s8, s8, exec_lo
	s_or_b32 s13, s13, s8
.LBB872_2166:
	s_or_b32 exec_lo, exec_lo, s9
	v_cndmask_b32_e64 v48, v182, v179, s13
	v_cndmask_b32_e64 v49, v180, v181, s13
	s_mov_b32 s57, -1
	s_mov_b32 s9, -1
	s_mov_b32 s58, exec_lo
	v_add_nc_u32_e32 v50, 1, v48
	v_add_nc_u32_e32 v48, -1, v49
	v_cndmask_b32_e64 v49, v179, v50, s13
	v_min_u32_e32 v48, v50, v48
	v_lshl_add_u32 v48, v48, 1, v178
	ds_read_u16 v51, v48
	v_cndmask_b32_e64 v48, v50, v182, s13
	s_waitcnt lgkmcnt(0)
	v_cndmask_b32_e64 v99, v51, v2, s13
	v_cndmask_b32_e64 v102, v1, v51, s13
	v_cmpx_lt_u32_e64 v48, v180
	s_cbranch_execz .LBB872_2170
; %bb.2167:
	s_mov_b32 s59, 0
	s_mov_b32 s9, exec_lo
	v_cmpx_lt_u32_e64 v49, v181
	s_cbranch_execz .LBB872_2169
; %bb.2168:
	v_mov_b32_e32 v50, 1
	v_lshlrev_b32_sdwa v51, v50, v99 dst_sel:DWORD dst_unused:UNUSED_PAD src0_sel:DWORD src1_sel:WORD_0
	v_lshlrev_b32_sdwa v52, v50, v102 dst_sel:DWORD dst_unused:UNUSED_PAD src0_sel:DWORD src1_sel:WORD_0
	v_add_co_u32 v50, s8, v6, v51
	v_add_co_ci_u32_e64 v51, null, 0, v7, s8
	v_add_co_u32 v52, s8, v6, v52
	v_add_co_ci_u32_e64 v53, null, 0, v7, s8
	s_clause 0x1
	flat_load_ushort v50, v[50:51]
	flat_load_ushort v51, v[52:53]
	s_waitcnt vmcnt(0) lgkmcnt(0)
	v_cmp_ge_u16_e64 s8, v50, v51
	s_and_b32 s59, s8, exec_lo
.LBB872_2169:
	s_or_b32 exec_lo, exec_lo, s9
	s_orn2_b32 s9, s59, exec_lo
.LBB872_2170:
	s_or_b32 exec_lo, exec_lo, s58
	v_cndmask_b32_e64 v50, v48, v49, s9
	v_cndmask_b32_e64 v51, v180, v181, s9
	s_mov_b32 s58, exec_lo
	v_add_nc_u32_e32 v50, 1, v50
	v_add_nc_u32_e32 v51, -1, v51
	v_cndmask_b32_e64 v48, v50, v48, s9
	v_min_u32_e32 v51, v50, v51
	v_cndmask_b32_e64 v49, v49, v50, s9
	v_lshl_add_u32 v51, v51, 1, v178
	ds_read_u16 v51, v51
	s_waitcnt lgkmcnt(0)
	v_cndmask_b32_e64 v101, v51, v99, s9
	v_cndmask_b32_e64 v103, v102, v51, s9
	v_cmpx_lt_u32_e64 v48, v180
	s_cbranch_execz .LBB872_2174
; %bb.2171:
	s_mov_b32 s59, 0
	s_mov_b32 s57, exec_lo
	v_cmpx_lt_u32_e64 v49, v181
	s_cbranch_execz .LBB872_2173
; %bb.2172:
	v_mov_b32_e32 v50, 1
	v_lshlrev_b32_sdwa v51, v50, v101 dst_sel:DWORD dst_unused:UNUSED_PAD src0_sel:DWORD src1_sel:WORD_0
	v_lshlrev_b32_sdwa v52, v50, v103 dst_sel:DWORD dst_unused:UNUSED_PAD src0_sel:DWORD src1_sel:WORD_0
	v_add_co_u32 v50, s8, v6, v51
	v_add_co_ci_u32_e64 v51, null, 0, v7, s8
	v_add_co_u32 v52, s8, v6, v52
	v_add_co_ci_u32_e64 v53, null, 0, v7, s8
	s_clause 0x1
	flat_load_ushort v50, v[50:51]
	flat_load_ushort v51, v[52:53]
	s_waitcnt vmcnt(0) lgkmcnt(0)
	v_cmp_ge_u16_e64 s8, v50, v51
	s_and_b32 s59, s8, exec_lo
.LBB872_2173:
	s_or_b32 exec_lo, exec_lo, s57
	s_orn2_b32 s57, s59, exec_lo
.LBB872_2174:
	s_or_b32 exec_lo, exec_lo, s58
	v_cndmask_b32_e64 v50, v48, v49, s57
	v_cndmask_b32_e64 v51, v180, v181, s57
	s_mov_b32 s59, -1
	s_mov_b32 s58, -1
	s_mov_b32 s60, exec_lo
	v_add_nc_u32_e32 v50, 1, v50
	v_add_nc_u32_e32 v51, -1, v51
	v_cndmask_b32_e64 v48, v50, v48, s57
	v_min_u32_e32 v51, v50, v51
	v_cndmask_b32_e64 v49, v49, v50, s57
	v_lshl_add_u32 v51, v51, 1, v178
	ds_read_u16 v51, v51
	s_waitcnt lgkmcnt(0)
	v_cndmask_b32_e64 v100, v51, v101, s57
	v_cndmask_b32_e64 v179, v103, v51, s57
	v_cmpx_lt_u32_e64 v48, v180
	s_cbranch_execz .LBB872_2178
; %bb.2175:
	s_mov_b32 s61, 0
	s_mov_b32 s58, exec_lo
	v_cmpx_lt_u32_e64 v49, v181
	s_cbranch_execz .LBB872_2177
; %bb.2176:
	v_mov_b32_e32 v50, 1
	v_lshlrev_b32_sdwa v51, v50, v100 dst_sel:DWORD dst_unused:UNUSED_PAD src0_sel:DWORD src1_sel:WORD_0
	v_lshlrev_b32_sdwa v52, v50, v179 dst_sel:DWORD dst_unused:UNUSED_PAD src0_sel:DWORD src1_sel:WORD_0
	v_add_co_u32 v50, s8, v6, v51
	v_add_co_ci_u32_e64 v51, null, 0, v7, s8
	v_add_co_u32 v52, s8, v6, v52
	v_add_co_ci_u32_e64 v53, null, 0, v7, s8
	s_clause 0x1
	flat_load_ushort v50, v[50:51]
	flat_load_ushort v51, v[52:53]
	s_waitcnt vmcnt(0) lgkmcnt(0)
	v_cmp_ge_u16_e64 s8, v50, v51
	s_and_b32 s61, s8, exec_lo
.LBB872_2177:
	s_or_b32 exec_lo, exec_lo, s58
	s_orn2_b32 s58, s61, exec_lo
.LBB872_2178:
	s_or_b32 exec_lo, exec_lo, s60
	v_cndmask_b32_e64 v50, v48, v49, s58
	v_cndmask_b32_e64 v51, v180, v181, s58
	s_mov_b32 s60, exec_lo
	v_add_nc_u32_e32 v50, 1, v50
	v_add_nc_u32_e32 v51, -1, v51
	v_cndmask_b32_e64 v48, v50, v48, s58
	v_min_u32_e32 v51, v50, v51
	v_cndmask_b32_e64 v49, v49, v50, s58
	v_lshl_add_u32 v51, v51, 1, v178
	ds_read_u16 v51, v51
	s_waitcnt lgkmcnt(0)
	v_cndmask_b32_e64 v98, v51, v100, s58
	v_cndmask_b32_e64 v182, v179, v51, s58
	v_cmpx_lt_u32_e64 v48, v180
	s_cbranch_execz .LBB872_2182
; %bb.2179:
	s_mov_b32 s61, 0
	s_mov_b32 s59, exec_lo
	v_cmpx_lt_u32_e64 v49, v181
	s_cbranch_execz .LBB872_2181
; %bb.2180:
	v_mov_b32_e32 v50, 1
	v_lshlrev_b32_sdwa v51, v50, v98 dst_sel:DWORD dst_unused:UNUSED_PAD src0_sel:DWORD src1_sel:WORD_0
	v_lshlrev_b32_sdwa v52, v50, v182 dst_sel:DWORD dst_unused:UNUSED_PAD src0_sel:DWORD src1_sel:WORD_0
	v_add_co_u32 v50, s8, v6, v51
	v_add_co_ci_u32_e64 v51, null, 0, v7, s8
	v_add_co_u32 v52, s8, v6, v52
	v_add_co_ci_u32_e64 v53, null, 0, v7, s8
	s_clause 0x1
	flat_load_ushort v50, v[50:51]
	flat_load_ushort v51, v[52:53]
	s_waitcnt vmcnt(0) lgkmcnt(0)
	v_cmp_ge_u16_e64 s8, v50, v51
	s_and_b32 s61, s8, exec_lo
.LBB872_2181:
	s_or_b32 exec_lo, exec_lo, s59
	s_orn2_b32 s59, s61, exec_lo
.LBB872_2182:
	s_or_b32 exec_lo, exec_lo, s60
	v_cndmask_b32_e64 v50, v48, v49, s59
	v_cndmask_b32_e64 v51, v180, v181, s59
	s_mov_b32 s61, -1
	s_mov_b32 s60, -1
	s_mov_b32 s62, exec_lo
	v_add_nc_u32_e32 v50, 1, v50
	v_add_nc_u32_e32 v51, -1, v51
	v_cndmask_b32_e64 v48, v50, v48, s59
	v_min_u32_e32 v51, v50, v51
	v_cndmask_b32_e64 v49, v49, v50, s59
	v_lshl_add_u32 v51, v51, 1, v178
	ds_read_u16 v51, v51
	s_waitcnt lgkmcnt(0)
	v_cndmask_b32_e64 v97, v51, v98, s59
	v_cndmask_b32_e64 v183, v182, v51, s59
	v_cmpx_lt_u32_e64 v48, v180
	s_cbranch_execz .LBB872_2186
; %bb.2183:
	s_mov_b32 s63, 0
	s_mov_b32 s60, exec_lo
	v_cmpx_lt_u32_e64 v49, v181
	s_cbranch_execz .LBB872_2185
; %bb.2184:
	v_mov_b32_e32 v50, 1
	v_lshlrev_b32_sdwa v51, v50, v97 dst_sel:DWORD dst_unused:UNUSED_PAD src0_sel:DWORD src1_sel:WORD_0
	v_lshlrev_b32_sdwa v52, v50, v183 dst_sel:DWORD dst_unused:UNUSED_PAD src0_sel:DWORD src1_sel:WORD_0
	v_add_co_u32 v50, s8, v6, v51
	v_add_co_ci_u32_e64 v51, null, 0, v7, s8
	v_add_co_u32 v52, s8, v6, v52
	v_add_co_ci_u32_e64 v53, null, 0, v7, s8
	s_clause 0x1
	flat_load_ushort v50, v[50:51]
	flat_load_ushort v51, v[52:53]
	s_waitcnt vmcnt(0) lgkmcnt(0)
	v_cmp_ge_u16_e64 s8, v50, v51
	s_and_b32 s63, s8, exec_lo
.LBB872_2185:
	s_or_b32 exec_lo, exec_lo, s60
	s_orn2_b32 s60, s63, exec_lo
.LBB872_2186:
	s_or_b32 exec_lo, exec_lo, s62
	v_cndmask_b32_e64 v50, v48, v49, s60
	v_cndmask_b32_e64 v51, v180, v181, s60
	s_mov_b32 s62, exec_lo
	v_add_nc_u32_e32 v50, 1, v50
	v_add_nc_u32_e32 v51, -1, v51
	v_cndmask_b32_e64 v48, v50, v48, s60
	v_min_u32_e32 v51, v50, v51
	v_cndmask_b32_e64 v49, v49, v50, s60
	v_lshl_add_u32 v51, v51, 1, v178
	ds_read_u16 v51, v51
	s_waitcnt lgkmcnt(0)
	v_cndmask_b32_e64 v96, v51, v97, s60
	v_cndmask_b32_e64 v192, v183, v51, s60
	v_cmpx_lt_u32_e64 v48, v180
	s_cbranch_execz .LBB872_2190
; %bb.2187:
	s_mov_b32 s63, 0
	s_mov_b32 s61, exec_lo
	v_cmpx_lt_u32_e64 v49, v181
	s_cbranch_execz .LBB872_2189
; %bb.2188:
	v_mov_b32_e32 v50, 1
	v_lshlrev_b32_sdwa v51, v50, v96 dst_sel:DWORD dst_unused:UNUSED_PAD src0_sel:DWORD src1_sel:WORD_0
	v_lshlrev_b32_sdwa v52, v50, v192 dst_sel:DWORD dst_unused:UNUSED_PAD src0_sel:DWORD src1_sel:WORD_0
	v_add_co_u32 v50, s8, v6, v51
	v_add_co_ci_u32_e64 v51, null, 0, v7, s8
	v_add_co_u32 v52, s8, v6, v52
	v_add_co_ci_u32_e64 v53, null, 0, v7, s8
	s_clause 0x1
	flat_load_ushort v50, v[50:51]
	flat_load_ushort v51, v[52:53]
	s_waitcnt vmcnt(0) lgkmcnt(0)
	v_cmp_ge_u16_e64 s8, v50, v51
	s_and_b32 s63, s8, exec_lo
.LBB872_2189:
	s_or_b32 exec_lo, exec_lo, s61
	s_orn2_b32 s61, s63, exec_lo
.LBB872_2190:
	s_or_b32 exec_lo, exec_lo, s62
	v_cndmask_b32_e64 v50, v48, v49, s61
	v_cndmask_b32_e64 v51, v180, v181, s61
	s_mov_b32 s63, -1
	s_mov_b32 s62, -1
	s_mov_b32 s72, exec_lo
	v_add_nc_u32_e32 v50, 1, v50
	v_add_nc_u32_e32 v51, -1, v51
	v_cndmask_b32_e64 v48, v50, v48, s61
	v_min_u32_e32 v51, v50, v51
	v_cndmask_b32_e64 v49, v49, v50, s61
	v_lshl_add_u32 v51, v51, 1, v178
	ds_read_u16 v51, v51
	s_waitcnt lgkmcnt(0)
	v_cndmask_b32_e64 v87, v51, v96, s61
	v_cndmask_b32_e64 v193, v192, v51, s61
	v_cmpx_lt_u32_e64 v48, v180
	s_cbranch_execz .LBB872_2194
; %bb.2191:
	s_mov_b32 s73, 0
	s_mov_b32 s62, exec_lo
	v_cmpx_lt_u32_e64 v49, v181
	s_cbranch_execz .LBB872_2193
; %bb.2192:
	v_mov_b32_e32 v50, 1
	v_lshlrev_b32_sdwa v51, v50, v87 dst_sel:DWORD dst_unused:UNUSED_PAD src0_sel:DWORD src1_sel:WORD_0
	v_lshlrev_b32_sdwa v52, v50, v193 dst_sel:DWORD dst_unused:UNUSED_PAD src0_sel:DWORD src1_sel:WORD_0
	v_add_co_u32 v50, s8, v6, v51
	v_add_co_ci_u32_e64 v51, null, 0, v7, s8
	v_add_co_u32 v52, s8, v6, v52
	v_add_co_ci_u32_e64 v53, null, 0, v7, s8
	s_clause 0x1
	flat_load_ushort v50, v[50:51]
	flat_load_ushort v51, v[52:53]
	s_waitcnt vmcnt(0) lgkmcnt(0)
	v_cmp_ge_u16_e64 s8, v50, v51
	s_and_b32 s73, s8, exec_lo
.LBB872_2193:
	s_or_b32 exec_lo, exec_lo, s62
	s_orn2_b32 s62, s73, exec_lo
.LBB872_2194:
	s_or_b32 exec_lo, exec_lo, s72
	v_cndmask_b32_e64 v50, v48, v49, s62
	v_cndmask_b32_e64 v51, v180, v181, s62
	s_mov_b32 s72, exec_lo
	v_add_nc_u32_e32 v50, 1, v50
	v_add_nc_u32_e32 v51, -1, v51
	v_cndmask_b32_e64 v48, v50, v48, s62
	v_min_u32_e32 v51, v50, v51
	v_cndmask_b32_e64 v49, v49, v50, s62
	v_lshl_add_u32 v51, v51, 1, v178
	ds_read_u16 v51, v51
	s_waitcnt lgkmcnt(0)
	v_cndmask_b32_e64 v86, v51, v87, s62
	v_cndmask_b32_e64 v194, v193, v51, s62
	v_cmpx_lt_u32_e64 v48, v180
	s_cbranch_execz .LBB872_2198
; %bb.2195:
	s_mov_b32 s73, 0
	s_mov_b32 s63, exec_lo
	v_cmpx_lt_u32_e64 v49, v181
	s_cbranch_execz .LBB872_2197
; %bb.2196:
	v_mov_b32_e32 v50, 1
	v_lshlrev_b32_sdwa v51, v50, v86 dst_sel:DWORD dst_unused:UNUSED_PAD src0_sel:DWORD src1_sel:WORD_0
	v_lshlrev_b32_sdwa v52, v50, v194 dst_sel:DWORD dst_unused:UNUSED_PAD src0_sel:DWORD src1_sel:WORD_0
	v_add_co_u32 v50, s8, v6, v51
	v_add_co_ci_u32_e64 v51, null, 0, v7, s8
	v_add_co_u32 v52, s8, v6, v52
	v_add_co_ci_u32_e64 v53, null, 0, v7, s8
	s_clause 0x1
	flat_load_ushort v50, v[50:51]
	flat_load_ushort v51, v[52:53]
	s_waitcnt vmcnt(0) lgkmcnt(0)
	v_cmp_ge_u16_e64 s8, v50, v51
	s_and_b32 s73, s8, exec_lo
.LBB872_2197:
	s_or_b32 exec_lo, exec_lo, s63
	s_orn2_b32 s63, s73, exec_lo
.LBB872_2198:
	s_or_b32 exec_lo, exec_lo, s72
	v_cndmask_b32_e64 v50, v48, v49, s63
	v_cndmask_b32_e64 v51, v180, v181, s63
	s_mov_b32 s73, -1
	s_mov_b32 s72, -1
	s_mov_b32 s74, exec_lo
	v_add_nc_u32_e32 v50, 1, v50
	v_add_nc_u32_e32 v51, -1, v51
	v_cndmask_b32_e64 v48, v50, v48, s63
	v_min_u32_e32 v51, v50, v51
	v_cndmask_b32_e64 v49, v49, v50, s63
	v_lshl_add_u32 v51, v51, 1, v178
	ds_read_u16 v51, v51
	s_waitcnt lgkmcnt(0)
	v_cndmask_b32_e64 v85, v51, v86, s63
	v_cndmask_b32_e64 v195, v194, v51, s63
	v_cmpx_lt_u32_e64 v48, v180
	s_cbranch_execz .LBB872_2202
; %bb.2199:
	s_mov_b32 s75, 0
	s_mov_b32 s72, exec_lo
	v_cmpx_lt_u32_e64 v49, v181
	s_cbranch_execz .LBB872_2201
; %bb.2200:
	v_mov_b32_e32 v50, 1
	v_lshlrev_b32_sdwa v51, v50, v85 dst_sel:DWORD dst_unused:UNUSED_PAD src0_sel:DWORD src1_sel:WORD_0
	v_lshlrev_b32_sdwa v52, v50, v195 dst_sel:DWORD dst_unused:UNUSED_PAD src0_sel:DWORD src1_sel:WORD_0
	v_add_co_u32 v50, s8, v6, v51
	v_add_co_ci_u32_e64 v51, null, 0, v7, s8
	v_add_co_u32 v52, s8, v6, v52
	v_add_co_ci_u32_e64 v53, null, 0, v7, s8
	s_clause 0x1
	flat_load_ushort v50, v[50:51]
	flat_load_ushort v51, v[52:53]
	s_waitcnt vmcnt(0) lgkmcnt(0)
	v_cmp_ge_u16_e64 s8, v50, v51
	s_and_b32 s75, s8, exec_lo
.LBB872_2201:
	s_or_b32 exec_lo, exec_lo, s72
	s_orn2_b32 s72, s75, exec_lo
.LBB872_2202:
	s_or_b32 exec_lo, exec_lo, s74
	v_cndmask_b32_e64 v50, v48, v49, s72
	v_cndmask_b32_e64 v51, v180, v181, s72
	s_mov_b32 s74, exec_lo
	v_add_nc_u32_e32 v50, 1, v50
	v_add_nc_u32_e32 v51, -1, v51
	v_cndmask_b32_e64 v48, v50, v48, s72
	v_min_u32_e32 v51, v50, v51
	v_cndmask_b32_e64 v49, v49, v50, s72
	v_lshl_add_u32 v51, v51, 1, v178
	ds_read_u16 v51, v51
	s_waitcnt lgkmcnt(0)
	v_cndmask_b32_e64 v84, v51, v85, s72
	v_cndmask_b32_e64 v196, v195, v51, s72
	v_cmpx_lt_u32_e64 v48, v180
	s_cbranch_execz .LBB872_2206
; %bb.2203:
	s_mov_b32 s75, 0
	s_mov_b32 s73, exec_lo
	v_cmpx_lt_u32_e64 v49, v181
	s_cbranch_execz .LBB872_2205
; %bb.2204:
	v_mov_b32_e32 v50, 1
	v_lshlrev_b32_sdwa v51, v50, v84 dst_sel:DWORD dst_unused:UNUSED_PAD src0_sel:DWORD src1_sel:WORD_0
	v_lshlrev_b32_sdwa v52, v50, v196 dst_sel:DWORD dst_unused:UNUSED_PAD src0_sel:DWORD src1_sel:WORD_0
	v_add_co_u32 v50, s8, v6, v51
	v_add_co_ci_u32_e64 v51, null, 0, v7, s8
	v_add_co_u32 v52, s8, v6, v52
	v_add_co_ci_u32_e64 v53, null, 0, v7, s8
	s_clause 0x1
	flat_load_ushort v50, v[50:51]
	flat_load_ushort v51, v[52:53]
	s_waitcnt vmcnt(0) lgkmcnt(0)
	v_cmp_ge_u16_e64 s8, v50, v51
	s_and_b32 s75, s8, exec_lo
.LBB872_2205:
	s_or_b32 exec_lo, exec_lo, s73
	s_orn2_b32 s73, s75, exec_lo
.LBB872_2206:
	s_or_b32 exec_lo, exec_lo, s74
	v_cndmask_b32_e64 v50, v48, v49, s73
	v_cndmask_b32_e64 v51, v180, v181, s73
	s_mov_b32 s75, -1
	s_mov_b32 s74, -1
	s_mov_b32 s76, exec_lo
	v_add_nc_u32_e32 v50, 1, v50
	v_add_nc_u32_e32 v51, -1, v51
	v_cndmask_b32_e64 v48, v50, v48, s73
	v_min_u32_e32 v51, v50, v51
	v_cndmask_b32_e64 v49, v49, v50, s73
	v_lshl_add_u32 v51, v51, 1, v178
	ds_read_u16 v51, v51
	s_waitcnt lgkmcnt(0)
	v_cndmask_b32_e64 v83, v51, v84, s73
	v_cndmask_b32_e64 v197, v196, v51, s73
	v_cmpx_lt_u32_e64 v48, v180
	s_cbranch_execz .LBB872_2210
; %bb.2207:
	s_mov_b32 s77, 0
	s_mov_b32 s74, exec_lo
	v_cmpx_lt_u32_e64 v49, v181
	s_cbranch_execz .LBB872_2209
; %bb.2208:
	v_mov_b32_e32 v50, 1
	v_lshlrev_b32_sdwa v51, v50, v83 dst_sel:DWORD dst_unused:UNUSED_PAD src0_sel:DWORD src1_sel:WORD_0
	v_lshlrev_b32_sdwa v52, v50, v197 dst_sel:DWORD dst_unused:UNUSED_PAD src0_sel:DWORD src1_sel:WORD_0
	v_add_co_u32 v50, s8, v6, v51
	v_add_co_ci_u32_e64 v51, null, 0, v7, s8
	v_add_co_u32 v52, s8, v6, v52
	v_add_co_ci_u32_e64 v53, null, 0, v7, s8
	s_clause 0x1
	flat_load_ushort v50, v[50:51]
	flat_load_ushort v51, v[52:53]
	s_waitcnt vmcnt(0) lgkmcnt(0)
	v_cmp_ge_u16_e64 s8, v50, v51
	s_and_b32 s77, s8, exec_lo
.LBB872_2209:
	s_or_b32 exec_lo, exec_lo, s74
	s_orn2_b32 s74, s77, exec_lo
.LBB872_2210:
	s_or_b32 exec_lo, exec_lo, s76
	v_cndmask_b32_e64 v50, v48, v49, s74
	v_cndmask_b32_e64 v51, v180, v181, s74
	s_mov_b32 s76, exec_lo
	v_add_nc_u32_e32 v50, 1, v50
	v_add_nc_u32_e32 v51, -1, v51
	v_cndmask_b32_e64 v48, v50, v48, s74
	v_min_u32_e32 v51, v50, v51
	v_cndmask_b32_e64 v49, v49, v50, s74
	v_lshl_add_u32 v51, v51, 1, v178
	ds_read_u16 v51, v51
	s_waitcnt lgkmcnt(0)
	v_cndmask_b32_e64 v82, v51, v83, s74
	v_cndmask_b32_e64 v198, v197, v51, s74
	v_cmpx_lt_u32_e64 v48, v180
	s_cbranch_execz .LBB872_2214
; %bb.2211:
	s_mov_b32 s77, 0
	s_mov_b32 s75, exec_lo
	v_cmpx_lt_u32_e64 v49, v181
	s_cbranch_execz .LBB872_2213
; %bb.2212:
	v_mov_b32_e32 v50, 1
	v_lshlrev_b32_sdwa v51, v50, v82 dst_sel:DWORD dst_unused:UNUSED_PAD src0_sel:DWORD src1_sel:WORD_0
	v_lshlrev_b32_sdwa v52, v50, v198 dst_sel:DWORD dst_unused:UNUSED_PAD src0_sel:DWORD src1_sel:WORD_0
	v_add_co_u32 v50, s8, v6, v51
	v_add_co_ci_u32_e64 v51, null, 0, v7, s8
	v_add_co_u32 v52, s8, v6, v52
	v_add_co_ci_u32_e64 v53, null, 0, v7, s8
	s_clause 0x1
	flat_load_ushort v50, v[50:51]
	flat_load_ushort v51, v[52:53]
	s_waitcnt vmcnt(0) lgkmcnt(0)
	v_cmp_ge_u16_e64 s8, v50, v51
	s_and_b32 s77, s8, exec_lo
.LBB872_2213:
	s_or_b32 exec_lo, exec_lo, s75
	s_orn2_b32 s75, s77, exec_lo
.LBB872_2214:
	s_or_b32 exec_lo, exec_lo, s76
	v_cndmask_b32_e64 v50, v48, v49, s75
	v_cndmask_b32_e64 v51, v180, v181, s75
	s_mov_b32 s77, -1
	s_mov_b32 s76, -1
	s_mov_b32 s78, exec_lo
	v_add_nc_u32_e32 v50, 1, v50
	v_add_nc_u32_e32 v51, -1, v51
	v_cndmask_b32_e64 v48, v50, v48, s75
	v_min_u32_e32 v51, v50, v51
	v_cndmask_b32_e64 v49, v49, v50, s75
	v_lshl_add_u32 v51, v51, 1, v178
	ds_read_u16 v51, v51
	s_waitcnt lgkmcnt(0)
	v_cndmask_b32_e64 v81, v51, v82, s75
	v_cndmask_b32_e64 v199, v198, v51, s75
	v_cmpx_lt_u32_e64 v48, v180
	s_cbranch_execz .LBB872_2218
; %bb.2215:
	s_mov_b32 s79, 0
	s_mov_b32 s76, exec_lo
	v_cmpx_lt_u32_e64 v49, v181
	s_cbranch_execz .LBB872_2217
; %bb.2216:
	v_mov_b32_e32 v50, 1
	v_lshlrev_b32_sdwa v51, v50, v81 dst_sel:DWORD dst_unused:UNUSED_PAD src0_sel:DWORD src1_sel:WORD_0
	v_lshlrev_b32_sdwa v52, v50, v199 dst_sel:DWORD dst_unused:UNUSED_PAD src0_sel:DWORD src1_sel:WORD_0
	v_add_co_u32 v50, s8, v6, v51
	v_add_co_ci_u32_e64 v51, null, 0, v7, s8
	v_add_co_u32 v52, s8, v6, v52
	v_add_co_ci_u32_e64 v53, null, 0, v7, s8
	s_clause 0x1
	flat_load_ushort v50, v[50:51]
	flat_load_ushort v51, v[52:53]
	s_waitcnt vmcnt(0) lgkmcnt(0)
	v_cmp_ge_u16_e64 s8, v50, v51
	s_and_b32 s79, s8, exec_lo
.LBB872_2217:
	s_or_b32 exec_lo, exec_lo, s76
	s_orn2_b32 s76, s79, exec_lo
.LBB872_2218:
	s_or_b32 exec_lo, exec_lo, s78
	v_cndmask_b32_e64 v50, v48, v49, s76
	v_cndmask_b32_e64 v51, v180, v181, s76
	s_mov_b32 s78, exec_lo
	v_add_nc_u32_e32 v50, 1, v50
	v_add_nc_u32_e32 v51, -1, v51
	v_cndmask_b32_e64 v48, v50, v48, s76
	v_min_u32_e32 v51, v50, v51
	v_cndmask_b32_e64 v49, v49, v50, s76
	v_lshl_add_u32 v51, v51, 1, v178
	ds_read_u16 v51, v51
	s_waitcnt lgkmcnt(0)
	v_cndmask_b32_e64 v80, v51, v81, s76
	v_cndmask_b32_e64 v208, v199, v51, s76
	v_cmpx_lt_u32_e64 v48, v180
	s_cbranch_execz .LBB872_2222
; %bb.2219:
	s_mov_b32 s79, 0
	s_mov_b32 s77, exec_lo
	v_cmpx_lt_u32_e64 v49, v181
	s_cbranch_execz .LBB872_2221
; %bb.2220:
	v_mov_b32_e32 v50, 1
	v_lshlrev_b32_sdwa v51, v50, v80 dst_sel:DWORD dst_unused:UNUSED_PAD src0_sel:DWORD src1_sel:WORD_0
	v_lshlrev_b32_sdwa v52, v50, v208 dst_sel:DWORD dst_unused:UNUSED_PAD src0_sel:DWORD src1_sel:WORD_0
	v_add_co_u32 v50, s8, v6, v51
	v_add_co_ci_u32_e64 v51, null, 0, v7, s8
	v_add_co_u32 v52, s8, v6, v52
	v_add_co_ci_u32_e64 v53, null, 0, v7, s8
	s_clause 0x1
	flat_load_ushort v50, v[50:51]
	flat_load_ushort v51, v[52:53]
	s_waitcnt vmcnt(0) lgkmcnt(0)
	v_cmp_ge_u16_e64 s8, v50, v51
	s_and_b32 s79, s8, exec_lo
.LBB872_2221:
	s_or_b32 exec_lo, exec_lo, s77
	s_orn2_b32 s77, s79, exec_lo
.LBB872_2222:
	s_or_b32 exec_lo, exec_lo, s78
	v_cndmask_b32_e64 v50, v48, v49, s77
	v_cndmask_b32_e64 v51, v180, v181, s77
	s_mov_b32 s79, -1
	s_mov_b32 s78, -1
	s_mov_b32 s88, exec_lo
	v_add_nc_u32_e32 v50, 1, v50
	v_add_nc_u32_e32 v51, -1, v51
	v_cndmask_b32_e64 v48, v50, v48, s77
	v_min_u32_e32 v51, v50, v51
	v_cndmask_b32_e64 v49, v49, v50, s77
	v_lshl_add_u32 v51, v51, 1, v178
	ds_read_u16 v51, v51
	s_waitcnt lgkmcnt(0)
	v_cndmask_b32_e64 v71, v51, v80, s77
	v_cndmask_b32_e64 v209, v208, v51, s77
	v_cmpx_lt_u32_e64 v48, v180
	s_cbranch_execz .LBB872_2226
; %bb.2223:
	s_mov_b32 s89, 0
	s_mov_b32 s78, exec_lo
	v_cmpx_lt_u32_e64 v49, v181
	s_cbranch_execz .LBB872_2225
; %bb.2224:
	v_mov_b32_e32 v50, 1
	v_lshlrev_b32_sdwa v51, v50, v71 dst_sel:DWORD dst_unused:UNUSED_PAD src0_sel:DWORD src1_sel:WORD_0
	v_lshlrev_b32_sdwa v52, v50, v209 dst_sel:DWORD dst_unused:UNUSED_PAD src0_sel:DWORD src1_sel:WORD_0
	v_add_co_u32 v50, s8, v6, v51
	v_add_co_ci_u32_e64 v51, null, 0, v7, s8
	v_add_co_u32 v52, s8, v6, v52
	v_add_co_ci_u32_e64 v53, null, 0, v7, s8
	s_clause 0x1
	flat_load_ushort v50, v[50:51]
	flat_load_ushort v51, v[52:53]
	s_waitcnt vmcnt(0) lgkmcnt(0)
	v_cmp_ge_u16_e64 s8, v50, v51
	s_and_b32 s89, s8, exec_lo
.LBB872_2225:
	s_or_b32 exec_lo, exec_lo, s78
	s_orn2_b32 s78, s89, exec_lo
.LBB872_2226:
	s_or_b32 exec_lo, exec_lo, s88
	v_cndmask_b32_e64 v50, v48, v49, s78
	v_cndmask_b32_e64 v51, v180, v181, s78
	s_mov_b32 s88, exec_lo
	v_add_nc_u32_e32 v50, 1, v50
	v_add_nc_u32_e32 v51, -1, v51
	v_cndmask_b32_e64 v48, v50, v48, s78
	v_min_u32_e32 v51, v50, v51
	v_cndmask_b32_e64 v49, v49, v50, s78
	v_lshl_add_u32 v51, v51, 1, v178
	ds_read_u16 v51, v51
	s_waitcnt lgkmcnt(0)
	v_cndmask_b32_e64 v70, v51, v71, s78
	v_cndmask_b32_e64 v210, v209, v51, s78
	v_cmpx_lt_u32_e64 v48, v180
	s_cbranch_execz .LBB872_2230
; %bb.2227:
	s_mov_b32 s89, 0
	s_mov_b32 s79, exec_lo
	v_cmpx_lt_u32_e64 v49, v181
	s_cbranch_execz .LBB872_2229
; %bb.2228:
	v_mov_b32_e32 v50, 1
	v_lshlrev_b32_sdwa v51, v50, v70 dst_sel:DWORD dst_unused:UNUSED_PAD src0_sel:DWORD src1_sel:WORD_0
	v_lshlrev_b32_sdwa v52, v50, v210 dst_sel:DWORD dst_unused:UNUSED_PAD src0_sel:DWORD src1_sel:WORD_0
	v_add_co_u32 v50, s8, v6, v51
	v_add_co_ci_u32_e64 v51, null, 0, v7, s8
	v_add_co_u32 v52, s8, v6, v52
	v_add_co_ci_u32_e64 v53, null, 0, v7, s8
	s_clause 0x1
	flat_load_ushort v50, v[50:51]
	flat_load_ushort v51, v[52:53]
	s_waitcnt vmcnt(0) lgkmcnt(0)
	v_cmp_ge_u16_e64 s8, v50, v51
	s_and_b32 s89, s8, exec_lo
.LBB872_2229:
	s_or_b32 exec_lo, exec_lo, s79
	s_orn2_b32 s79, s89, exec_lo
.LBB872_2230:
	s_or_b32 exec_lo, exec_lo, s88
	v_cndmask_b32_e64 v50, v48, v49, s79
	v_cndmask_b32_e64 v51, v180, v181, s79
	s_mov_b32 s89, -1
	s_mov_b32 s88, -1
	s_mov_b32 s90, exec_lo
	v_add_nc_u32_e32 v50, 1, v50
	v_add_nc_u32_e32 v51, -1, v51
	v_cndmask_b32_e64 v48, v50, v48, s79
	v_min_u32_e32 v51, v50, v51
	v_cndmask_b32_e64 v49, v49, v50, s79
	v_lshl_add_u32 v51, v51, 1, v178
	ds_read_u16 v51, v51
	s_waitcnt lgkmcnt(0)
	v_cndmask_b32_e64 v69, v51, v70, s79
	v_cndmask_b32_e64 v211, v210, v51, s79
	v_cmpx_lt_u32_e64 v48, v180
	s_cbranch_execz .LBB872_2234
; %bb.2231:
	s_mov_b32 s91, 0
	s_mov_b32 s88, exec_lo
	v_cmpx_lt_u32_e64 v49, v181
	s_cbranch_execz .LBB872_2233
; %bb.2232:
	v_mov_b32_e32 v50, 1
	v_lshlrev_b32_sdwa v51, v50, v69 dst_sel:DWORD dst_unused:UNUSED_PAD src0_sel:DWORD src1_sel:WORD_0
	v_lshlrev_b32_sdwa v52, v50, v211 dst_sel:DWORD dst_unused:UNUSED_PAD src0_sel:DWORD src1_sel:WORD_0
	v_add_co_u32 v50, s8, v6, v51
	v_add_co_ci_u32_e64 v51, null, 0, v7, s8
	v_add_co_u32 v52, s8, v6, v52
	v_add_co_ci_u32_e64 v53, null, 0, v7, s8
	s_clause 0x1
	flat_load_ushort v50, v[50:51]
	flat_load_ushort v51, v[52:53]
	s_waitcnt vmcnt(0) lgkmcnt(0)
	v_cmp_ge_u16_e64 s8, v50, v51
	s_and_b32 s91, s8, exec_lo
.LBB872_2233:
	s_or_b32 exec_lo, exec_lo, s88
	s_orn2_b32 s88, s91, exec_lo
.LBB872_2234:
	s_or_b32 exec_lo, exec_lo, s90
	v_cndmask_b32_e64 v50, v48, v49, s88
	v_cndmask_b32_e64 v51, v180, v181, s88
	s_mov_b32 s90, exec_lo
	v_add_nc_u32_e32 v50, 1, v50
	v_add_nc_u32_e32 v51, -1, v51
	v_cndmask_b32_e64 v48, v50, v48, s88
	v_min_u32_e32 v51, v50, v51
	v_cndmask_b32_e64 v49, v49, v50, s88
	v_lshl_add_u32 v51, v51, 1, v178
	ds_read_u16 v51, v51
	s_waitcnt lgkmcnt(0)
	v_cndmask_b32_e64 v68, v51, v69, s88
	v_cndmask_b32_e64 v212, v211, v51, s88
	v_cmpx_lt_u32_e64 v48, v180
	s_cbranch_execz .LBB872_2238
; %bb.2235:
	s_mov_b32 s91, 0
	s_mov_b32 s89, exec_lo
	v_cmpx_lt_u32_e64 v49, v181
	s_cbranch_execz .LBB872_2237
; %bb.2236:
	v_mov_b32_e32 v50, 1
	v_lshlrev_b32_sdwa v51, v50, v68 dst_sel:DWORD dst_unused:UNUSED_PAD src0_sel:DWORD src1_sel:WORD_0
	v_lshlrev_b32_sdwa v52, v50, v212 dst_sel:DWORD dst_unused:UNUSED_PAD src0_sel:DWORD src1_sel:WORD_0
	v_add_co_u32 v50, s8, v6, v51
	v_add_co_ci_u32_e64 v51, null, 0, v7, s8
	v_add_co_u32 v52, s8, v6, v52
	v_add_co_ci_u32_e64 v53, null, 0, v7, s8
	s_clause 0x1
	flat_load_ushort v50, v[50:51]
	flat_load_ushort v51, v[52:53]
	s_waitcnt vmcnt(0) lgkmcnt(0)
	v_cmp_ge_u16_e64 s8, v50, v51
	s_and_b32 s91, s8, exec_lo
.LBB872_2237:
	s_or_b32 exec_lo, exec_lo, s89
	s_orn2_b32 s89, s91, exec_lo
.LBB872_2238:
	s_or_b32 exec_lo, exec_lo, s90
	v_cndmask_b32_e64 v50, v48, v49, s89
	v_cndmask_b32_e64 v51, v180, v181, s89
	s_mov_b32 s91, -1
	s_mov_b32 s90, -1
	s_mov_b32 s92, exec_lo
	v_add_nc_u32_e32 v50, 1, v50
	v_add_nc_u32_e32 v51, -1, v51
	v_cndmask_b32_e64 v48, v50, v48, s89
	v_min_u32_e32 v51, v50, v51
	v_cndmask_b32_e64 v49, v49, v50, s89
	v_lshl_add_u32 v51, v51, 1, v178
	ds_read_u16 v51, v51
	s_waitcnt lgkmcnt(0)
	v_cndmask_b32_e64 v67, v51, v68, s89
	v_cndmask_b32_e64 v213, v212, v51, s89
	v_cmpx_lt_u32_e64 v48, v180
	s_cbranch_execz .LBB872_2242
; %bb.2239:
	s_mov_b32 s93, 0
	s_mov_b32 s90, exec_lo
	v_cmpx_lt_u32_e64 v49, v181
	s_cbranch_execz .LBB872_2241
; %bb.2240:
	v_mov_b32_e32 v50, 1
	v_lshlrev_b32_sdwa v51, v50, v67 dst_sel:DWORD dst_unused:UNUSED_PAD src0_sel:DWORD src1_sel:WORD_0
	v_lshlrev_b32_sdwa v52, v50, v213 dst_sel:DWORD dst_unused:UNUSED_PAD src0_sel:DWORD src1_sel:WORD_0
	v_add_co_u32 v50, s8, v6, v51
	v_add_co_ci_u32_e64 v51, null, 0, v7, s8
	v_add_co_u32 v52, s8, v6, v52
	v_add_co_ci_u32_e64 v53, null, 0, v7, s8
	s_clause 0x1
	flat_load_ushort v50, v[50:51]
	flat_load_ushort v51, v[52:53]
	s_waitcnt vmcnt(0) lgkmcnt(0)
	v_cmp_ge_u16_e64 s8, v50, v51
	s_and_b32 s93, s8, exec_lo
.LBB872_2241:
	s_or_b32 exec_lo, exec_lo, s90
	s_orn2_b32 s90, s93, exec_lo
.LBB872_2242:
	s_or_b32 exec_lo, exec_lo, s92
	v_cndmask_b32_e64 v50, v48, v49, s90
	v_cndmask_b32_e64 v51, v180, v181, s90
	s_mov_b32 s92, exec_lo
	v_add_nc_u32_e32 v50, 1, v50
	v_add_nc_u32_e32 v51, -1, v51
	v_cndmask_b32_e64 v48, v50, v48, s90
	v_min_u32_e32 v51, v50, v51
	v_cndmask_b32_e64 v49, v49, v50, s90
	v_lshl_add_u32 v51, v51, 1, v178
	ds_read_u16 v51, v51
	s_waitcnt lgkmcnt(0)
	v_cndmask_b32_e64 v66, v51, v67, s90
	v_cndmask_b32_e64 v214, v213, v51, s90
	v_cmpx_lt_u32_e64 v48, v180
	s_cbranch_execz .LBB872_2246
; %bb.2243:
	s_mov_b32 s93, 0
	s_mov_b32 s91, exec_lo
	v_cmpx_lt_u32_e64 v49, v181
	s_cbranch_execz .LBB872_2245
; %bb.2244:
	v_mov_b32_e32 v50, 1
	v_lshlrev_b32_sdwa v51, v50, v66 dst_sel:DWORD dst_unused:UNUSED_PAD src0_sel:DWORD src1_sel:WORD_0
	v_lshlrev_b32_sdwa v52, v50, v214 dst_sel:DWORD dst_unused:UNUSED_PAD src0_sel:DWORD src1_sel:WORD_0
	v_add_co_u32 v50, s8, v6, v51
	v_add_co_ci_u32_e64 v51, null, 0, v7, s8
	v_add_co_u32 v52, s8, v6, v52
	v_add_co_ci_u32_e64 v53, null, 0, v7, s8
	s_clause 0x1
	flat_load_ushort v50, v[50:51]
	flat_load_ushort v51, v[52:53]
	s_waitcnt vmcnt(0) lgkmcnt(0)
	v_cmp_ge_u16_e64 s8, v50, v51
	s_and_b32 s93, s8, exec_lo
.LBB872_2245:
	s_or_b32 exec_lo, exec_lo, s91
	s_orn2_b32 s91, s93, exec_lo
.LBB872_2246:
	s_or_b32 exec_lo, exec_lo, s92
	v_cndmask_b32_e64 v50, v48, v49, s91
	v_cndmask_b32_e64 v51, v180, v181, s91
	s_mov_b32 s93, -1
	s_mov_b32 s92, -1
	s_mov_b32 s94, exec_lo
	v_add_nc_u32_e32 v50, 1, v50
	v_add_nc_u32_e32 v51, -1, v51
	v_cndmask_b32_e64 v48, v50, v48, s91
	v_min_u32_e32 v51, v50, v51
	v_cndmask_b32_e64 v49, v49, v50, s91
	v_lshl_add_u32 v51, v51, 1, v178
	ds_read_u16 v51, v51
	s_waitcnt lgkmcnt(0)
	v_cndmask_b32_e64 v65, v51, v66, s91
	v_cndmask_b32_e64 v215, v214, v51, s91
	v_cmpx_lt_u32_e64 v48, v180
	s_cbranch_execz .LBB872_2250
; %bb.2247:
	s_mov_b32 s95, 0
	s_mov_b32 s92, exec_lo
	v_cmpx_lt_u32_e64 v49, v181
	s_cbranch_execz .LBB872_2249
; %bb.2248:
	v_mov_b32_e32 v50, 1
	v_lshlrev_b32_sdwa v51, v50, v65 dst_sel:DWORD dst_unused:UNUSED_PAD src0_sel:DWORD src1_sel:WORD_0
	v_lshlrev_b32_sdwa v52, v50, v215 dst_sel:DWORD dst_unused:UNUSED_PAD src0_sel:DWORD src1_sel:WORD_0
	v_add_co_u32 v50, s8, v6, v51
	v_add_co_ci_u32_e64 v51, null, 0, v7, s8
	v_add_co_u32 v52, s8, v6, v52
	v_add_co_ci_u32_e64 v53, null, 0, v7, s8
	s_clause 0x1
	flat_load_ushort v50, v[50:51]
	flat_load_ushort v51, v[52:53]
	s_waitcnt vmcnt(0) lgkmcnt(0)
	v_cmp_ge_u16_e64 s8, v50, v51
	s_and_b32 s95, s8, exec_lo
.LBB872_2249:
	s_or_b32 exec_lo, exec_lo, s92
	s_orn2_b32 s92, s95, exec_lo
.LBB872_2250:
	s_or_b32 exec_lo, exec_lo, s94
	v_cndmask_b32_e64 v50, v48, v49, s92
	v_cndmask_b32_e64 v51, v180, v181, s92
	s_mov_b32 s94, exec_lo
	v_add_nc_u32_e32 v50, 1, v50
	v_add_nc_u32_e32 v51, -1, v51
	v_cndmask_b32_e64 v48, v50, v48, s92
	v_min_u32_e32 v51, v50, v51
	v_cndmask_b32_e64 v49, v49, v50, s92
	v_lshl_add_u32 v51, v51, 1, v178
	ds_read_u16 v51, v51
	s_waitcnt lgkmcnt(0)
	v_cndmask_b32_e64 v55, v51, v65, s92
	v_cndmask_b32_e64 v224, v215, v51, s92
	v_cmpx_lt_u32_e64 v48, v180
	s_cbranch_execz .LBB872_2254
; %bb.2251:
	s_mov_b32 s95, 0
	s_mov_b32 s93, exec_lo
	v_cmpx_lt_u32_e64 v49, v181
	s_cbranch_execz .LBB872_2253
; %bb.2252:
	v_mov_b32_e32 v50, 1
	v_lshlrev_b32_sdwa v51, v50, v55 dst_sel:DWORD dst_unused:UNUSED_PAD src0_sel:DWORD src1_sel:WORD_0
	v_lshlrev_b32_sdwa v52, v50, v224 dst_sel:DWORD dst_unused:UNUSED_PAD src0_sel:DWORD src1_sel:WORD_0
	v_add_co_u32 v50, s8, v6, v51
	v_add_co_ci_u32_e64 v51, null, 0, v7, s8
	v_add_co_u32 v52, s8, v6, v52
	v_add_co_ci_u32_e64 v53, null, 0, v7, s8
	s_clause 0x1
	flat_load_ushort v50, v[50:51]
	flat_load_ushort v51, v[52:53]
	s_waitcnt vmcnt(0) lgkmcnt(0)
	v_cmp_ge_u16_e64 s8, v50, v51
	s_and_b32 s95, s8, exec_lo
.LBB872_2253:
	s_or_b32 exec_lo, exec_lo, s93
	s_orn2_b32 s93, s95, exec_lo
.LBB872_2254:
	s_or_b32 exec_lo, exec_lo, s94
	v_cndmask_b32_e64 v50, v48, v49, s93
	v_cndmask_b32_e64 v51, v180, v181, s93
	s_mov_b32 s95, -1
	s_mov_b32 s94, -1
	s_mov_b32 vcc_hi, exec_lo
	v_add_nc_u32_e32 v50, 1, v50
	v_add_nc_u32_e32 v51, -1, v51
	v_cndmask_b32_e64 v48, v50, v48, s93
	v_min_u32_e32 v51, v50, v51
	v_cndmask_b32_e64 v49, v49, v50, s93
	v_lshl_add_u32 v51, v51, 1, v178
	ds_read_u16 v51, v51
	s_waitcnt lgkmcnt(0)
	v_cndmask_b32_e64 v54, v51, v55, s93
	v_cndmask_b32_e64 v225, v224, v51, s93
	v_cmpx_lt_u32_e64 v48, v180
	s_cbranch_execz .LBB872_2258
; %bb.2255:
	s_mov_b32 s30, 0
	s_mov_b32 s94, exec_lo
	v_cmpx_lt_u32_e64 v49, v181
	s_cbranch_execz .LBB872_2257
; %bb.2256:
	v_mov_b32_e32 v50, 1
	v_lshlrev_b32_sdwa v51, v50, v54 dst_sel:DWORD dst_unused:UNUSED_PAD src0_sel:DWORD src1_sel:WORD_0
	v_lshlrev_b32_sdwa v52, v50, v225 dst_sel:DWORD dst_unused:UNUSED_PAD src0_sel:DWORD src1_sel:WORD_0
	v_add_co_u32 v50, s8, v6, v51
	v_add_co_ci_u32_e64 v51, null, 0, v7, s8
	v_add_co_u32 v52, s8, v6, v52
	v_add_co_ci_u32_e64 v53, null, 0, v7, s8
	s_clause 0x1
	flat_load_ushort v50, v[50:51]
	flat_load_ushort v51, v[52:53]
	s_waitcnt vmcnt(0) lgkmcnt(0)
	v_cmp_ge_u16_e64 s8, v50, v51
	s_and_b32 s30, s8, exec_lo
.LBB872_2257:
	s_or_b32 exec_lo, exec_lo, s94
	s_orn2_b32 s94, s30, exec_lo
.LBB872_2258:
	s_or_b32 exec_lo, exec_lo, vcc_hi
	v_cndmask_b32_e64 v50, v48, v49, s94
	v_cndmask_b32_e64 v51, v180, v181, s94
	s_mov_b32 vcc_hi, exec_lo
	v_add_nc_u32_e32 v50, 1, v50
	v_add_nc_u32_e32 v51, -1, v51
	v_cndmask_b32_e64 v48, v50, v48, s94
	v_min_u32_e32 v51, v50, v51
	v_cndmask_b32_e64 v49, v49, v50, s94
	v_lshl_add_u32 v51, v51, 1, v178
	ds_read_u16 v51, v51
	s_waitcnt lgkmcnt(0)
	v_cndmask_b32_e64 v53, v51, v54, s94
	v_cndmask_b32_e64 v226, v225, v51, s94
	v_cmpx_lt_u32_e64 v48, v180
	s_cbranch_execz .LBB872_2262
; %bb.2259:
	s_mov_b32 s30, 0
	s_mov_b32 s95, exec_lo
	v_cmpx_lt_u32_e64 v49, v181
	s_cbranch_execz .LBB872_2261
; %bb.2260:
	v_mov_b32_e32 v50, 1
	v_lshlrev_b32_sdwa v51, v50, v53 dst_sel:DWORD dst_unused:UNUSED_PAD src0_sel:DWORD src1_sel:WORD_0
	v_lshlrev_b32_sdwa v52, v50, v226 dst_sel:DWORD dst_unused:UNUSED_PAD src0_sel:DWORD src1_sel:WORD_0
	v_add_co_u32 v50, s8, v6, v51
	v_add_co_ci_u32_e64 v51, null, 0, v7, s8
	v_add_co_u32 v227, s8, v6, v52
	v_add_co_ci_u32_e64 v228, null, 0, v7, s8
	s_clause 0x1
	flat_load_ushort v50, v[50:51]
	flat_load_ushort v51, v[227:228]
	s_waitcnt vmcnt(0) lgkmcnt(0)
	v_cmp_ge_u16_e64 s8, v50, v51
	s_and_b32 s30, s8, exec_lo
.LBB872_2261:
	s_or_b32 exec_lo, exec_lo, s95
	s_orn2_b32 s95, s30, exec_lo
.LBB872_2262:
	s_or_b32 exec_lo, exec_lo, vcc_hi
	v_cndmask_b32_e64 v50, v48, v49, s95
	v_cndmask_b32_e64 v51, v180, v181, s95
	s_mov_b32 s30, -1
	s_mov_b32 vcc_hi, -1
	s_mov_b32 s31, exec_lo
	v_add_nc_u32_e32 v50, 1, v50
	v_add_nc_u32_e32 v51, -1, v51
	v_cndmask_b32_e64 v48, v50, v48, s95
	v_min_u32_e32 v51, v50, v51
	v_cndmask_b32_e64 v49, v49, v50, s95
	v_lshl_add_u32 v51, v51, 1, v178
	ds_read_u16 v51, v51
	s_waitcnt lgkmcnt(0)
	v_cndmask_b32_e64 v64, v51, v53, s95
	v_cndmask_b32_e64 v227, v226, v51, s95
	v_cmpx_lt_u32_e64 v48, v180
	s_cbranch_execz .LBB872_2266
; %bb.2263:
	s_mov_b32 s34, 0
	s_mov_b32 vcc_hi, exec_lo
	v_cmpx_lt_u32_e64 v49, v181
	s_cbranch_execz .LBB872_2265
; %bb.2264:
	v_mov_b32_e32 v50, 1
	v_lshlrev_b32_sdwa v51, v50, v64 dst_sel:DWORD dst_unused:UNUSED_PAD src0_sel:DWORD src1_sel:WORD_0
	v_lshlrev_b32_sdwa v52, v50, v227 dst_sel:DWORD dst_unused:UNUSED_PAD src0_sel:DWORD src1_sel:WORD_0
	v_add_co_u32 v50, s8, v6, v51
	v_add_co_ci_u32_e64 v51, null, 0, v7, s8
	v_add_co_u32 v228, s8, v6, v52
	v_add_co_ci_u32_e64 v229, null, 0, v7, s8
	s_clause 0x1
	flat_load_ushort v50, v[50:51]
	flat_load_ushort v51, v[228:229]
	s_waitcnt vmcnt(0) lgkmcnt(0)
	v_cmp_ge_u16_e64 s8, v50, v51
	s_and_b32 s34, s8, exec_lo
.LBB872_2265:
	s_or_b32 exec_lo, exec_lo, vcc_hi
	s_orn2_b32 vcc_hi, s34, exec_lo
.LBB872_2266:
	s_or_b32 exec_lo, exec_lo, s31
	v_cndmask_b32_e64 v50, v48, v49, vcc_hi
	v_cndmask_b32_e64 v51, v180, v181, vcc_hi
	s_mov_b32 s31, exec_lo
	v_add_nc_u32_e32 v50, 1, v50
	v_add_nc_u32_e32 v51, -1, v51
	v_cndmask_b32_e64 v48, v50, v48, vcc_hi
	v_min_u32_e32 v51, v50, v51
	v_cndmask_b32_e64 v49, v49, v50, vcc_hi
	v_lshl_add_u32 v51, v51, 1, v178
	ds_read_u16 v51, v51
	s_waitcnt lgkmcnt(0)
	v_cndmask_b32_e64 v52, v51, v64, vcc_hi
	v_cndmask_b32_e64 v228, v227, v51, vcc_hi
	v_cmpx_lt_u32_e64 v48, v180
	s_cbranch_execz .LBB872_2270
; %bb.2267:
	s_mov_b32 s34, 0
	s_mov_b32 s30, exec_lo
	v_cmpx_lt_u32_e64 v49, v181
	s_cbranch_execz .LBB872_2269
; %bb.2268:
	v_mov_b32_e32 v50, 1
	v_lshlrev_b32_sdwa v51, v50, v52 dst_sel:DWORD dst_unused:UNUSED_PAD src0_sel:DWORD src1_sel:WORD_0
	v_lshlrev_b32_sdwa v229, v50, v228 dst_sel:DWORD dst_unused:UNUSED_PAD src0_sel:DWORD src1_sel:WORD_0
	v_add_co_u32 v50, s8, v6, v51
	v_add_co_ci_u32_e64 v51, null, 0, v7, s8
	v_add_co_u32 v229, s8, v6, v229
	v_add_co_ci_u32_e64 v230, null, 0, v7, s8
	s_clause 0x1
	flat_load_ushort v50, v[50:51]
	flat_load_ushort v51, v[229:230]
	s_waitcnt vmcnt(0) lgkmcnt(0)
	v_cmp_ge_u16_e64 s8, v50, v51
	s_and_b32 s34, s8, exec_lo
.LBB872_2269:
	s_or_b32 exec_lo, exec_lo, s30
	s_orn2_b32 s30, s34, exec_lo
.LBB872_2270:
	s_or_b32 exec_lo, exec_lo, s31
	v_cndmask_b32_e64 v50, v48, v49, s30
	v_cndmask_b32_e64 v51, v180, v181, s30
	s_mov_b32 s34, -1
	s_mov_b32 s31, -1
	s_mov_b32 s35, exec_lo
	v_add_nc_u32_e32 v50, 1, v50
	v_add_nc_u32_e32 v51, -1, v51
	v_cndmask_b32_e64 v48, v50, v48, s30
	v_min_u32_e32 v51, v50, v51
	v_cndmask_b32_e64 v49, v49, v50, s30
	v_lshl_add_u32 v51, v51, 1, v178
	ds_read_u16 v229, v51
	s_waitcnt lgkmcnt(0)
	v_cndmask_b32_e64 v51, v229, v52, s30
	v_cndmask_b32_e64 v229, v228, v229, s30
	v_cmpx_lt_u32_e64 v48, v180
	s_cbranch_execz .LBB872_2274
; %bb.2271:
	s_mov_b32 s38, 0
	s_mov_b32 s31, exec_lo
	v_cmpx_lt_u32_e64 v49, v181
	s_cbranch_execz .LBB872_2273
; %bb.2272:
	v_mov_b32_e32 v50, 1
	v_lshlrev_b32_sdwa v230, v50, v51 dst_sel:DWORD dst_unused:UNUSED_PAD src0_sel:DWORD src1_sel:WORD_0
	v_lshlrev_b32_sdwa v50, v50, v229 dst_sel:DWORD dst_unused:UNUSED_PAD src0_sel:DWORD src1_sel:WORD_0
	v_add_co_u32 v230, s8, v6, v230
	v_add_co_ci_u32_e64 v231, null, 0, v7, s8
	v_add_co_u32 v240, s8, v6, v50
	v_add_co_ci_u32_e64 v241, null, 0, v7, s8
	s_clause 0x1
	flat_load_ushort v50, v[230:231]
	flat_load_ushort v230, v[240:241]
	s_waitcnt vmcnt(0) lgkmcnt(0)
	v_cmp_ge_u16_e64 s8, v50, v230
	s_and_b32 s38, s8, exec_lo
.LBB872_2273:
	s_or_b32 exec_lo, exec_lo, s31
	s_orn2_b32 s31, s38, exec_lo
.LBB872_2274:
	s_or_b32 exec_lo, exec_lo, s35
	v_cndmask_b32_e64 v50, v48, v49, s31
	v_cndmask_b32_e64 v230, v180, v181, s31
	s_mov_b32 s35, exec_lo
	v_add_nc_u32_e32 v50, 1, v50
	v_add_nc_u32_e32 v230, -1, v230
	v_cndmask_b32_e64 v48, v50, v48, s31
	v_min_u32_e32 v230, v50, v230
	v_cndmask_b32_e64 v49, v49, v50, s31
	v_lshl_add_u32 v230, v230, 1, v178
	ds_read_u16 v230, v230
	s_waitcnt lgkmcnt(0)
	v_cndmask_b32_e64 v50, v230, v51, s31
	v_cndmask_b32_e64 v230, v229, v230, s31
	v_cmpx_lt_u32_e64 v48, v180
	s_cbranch_execz .LBB872_2278
; %bb.2275:
	s_mov_b32 s38, 0
	s_mov_b32 s34, exec_lo
	v_cmpx_lt_u32_e64 v49, v181
	s_cbranch_execz .LBB872_2277
; %bb.2276:
	v_mov_b32_e32 v231, 1
	v_lshlrev_b32_sdwa v240, v231, v50 dst_sel:DWORD dst_unused:UNUSED_PAD src0_sel:DWORD src1_sel:WORD_0
	v_lshlrev_b32_sdwa v231, v231, v230 dst_sel:DWORD dst_unused:UNUSED_PAD src0_sel:DWORD src1_sel:WORD_0
	v_add_co_u32 v240, s8, v6, v240
	v_add_co_ci_u32_e64 v241, null, 0, v7, s8
	v_add_co_u32 v242, s8, v6, v231
	v_add_co_ci_u32_e64 v243, null, 0, v7, s8
	s_clause 0x1
	flat_load_ushort v231, v[240:241]
	flat_load_ushort v240, v[242:243]
	s_waitcnt vmcnt(0) lgkmcnt(0)
	v_cmp_ge_u16_e64 s8, v231, v240
	s_and_b32 s38, s8, exec_lo
.LBB872_2277:
	s_or_b32 exec_lo, exec_lo, s34
	s_orn2_b32 s34, s38, exec_lo
.LBB872_2278:
	s_or_b32 exec_lo, exec_lo, s35
	v_cndmask_b32_e64 v231, v48, v49, s34
	v_cndmask_b32_e64 v240, v180, v181, s34
	s_mov_b32 s35, -1
	s_mov_b32 s38, -1
	s_mov_b32 s39, exec_lo
	v_add_nc_u32_e32 v231, 1, v231
	v_add_nc_u32_e32 v240, -1, v240
	v_cndmask_b32_e64 v48, v231, v48, s34
	v_min_u32_e32 v240, v231, v240
	v_lshl_add_u32 v240, v240, 1, v178
	ds_read_u16 v241, v240
	v_cndmask_b32_e64 v240, v49, v231, s34
	s_waitcnt lgkmcnt(0)
	v_cndmask_b32_e64 v49, v241, v50, s34
	v_cndmask_b32_e64 v231, v230, v241, s34
	v_cmpx_lt_u32_e64 v48, v180
	s_cbranch_execz .LBB872_2282
; %bb.2279:
	s_mov_b32 s48, 0
	s_mov_b32 s38, exec_lo
	v_cmpx_lt_u32_e64 v240, v181
	s_cbranch_execz .LBB872_2281
; %bb.2280:
	v_mov_b32_e32 v241, 1
	v_lshlrev_b32_sdwa v242, v241, v49 dst_sel:DWORD dst_unused:UNUSED_PAD src0_sel:DWORD src1_sel:WORD_0
	v_lshlrev_b32_sdwa v243, v241, v231 dst_sel:DWORD dst_unused:UNUSED_PAD src0_sel:DWORD src1_sel:WORD_0
	v_add_co_u32 v241, s8, v6, v242
	v_add_co_ci_u32_e64 v242, null, 0, v7, s8
	v_add_co_u32 v243, s8, v6, v243
	v_add_co_ci_u32_e64 v244, null, 0, v7, s8
	s_clause 0x1
	flat_load_ushort v241, v[241:242]
	flat_load_ushort v242, v[243:244]
	s_waitcnt vmcnt(0) lgkmcnt(0)
	v_cmp_ge_u16_e64 s8, v241, v242
	s_and_b32 s48, s8, exec_lo
.LBB872_2281:
	s_or_b32 exec_lo, exec_lo, s38
	s_orn2_b32 s38, s48, exec_lo
.LBB872_2282:
	s_or_b32 exec_lo, exec_lo, s39
	v_cndmask_b32_e64 v241, v48, v240, s38
	v_cndmask_b32_e64 v242, v180, v181, s38
	s_mov_b32 s39, exec_lo
	v_add_nc_u32_e32 v241, 1, v241
	v_add_nc_u32_e32 v242, -1, v242
	v_cndmask_b32_e64 v48, v241, v48, s38
	v_min_u32_e32 v242, v241, v242
	v_lshl_add_u32 v242, v242, 1, v178
	ds_read_u16 v243, v242
	v_cndmask_b32_e64 v242, v240, v241, s38
	s_waitcnt lgkmcnt(0)
	v_cndmask_b32_e64 v240, v243, v49, s38
	v_cndmask_b32_e64 v241, v231, v243, s38
	v_cmpx_lt_u32_e64 v48, v180
	s_cbranch_execz .LBB872_2286
; %bb.2283:
	s_mov_b32 s48, 0
	s_mov_b32 s35, exec_lo
	v_cmpx_lt_u32_e64 v242, v181
	s_cbranch_execz .LBB872_2285
; %bb.2284:
	v_mov_b32_e32 v243, 1
	v_lshlrev_b32_sdwa v244, v243, v240 dst_sel:DWORD dst_unused:UNUSED_PAD src0_sel:DWORD src1_sel:WORD_0
	v_lshlrev_b32_sdwa v245, v243, v241 dst_sel:DWORD dst_unused:UNUSED_PAD src0_sel:DWORD src1_sel:WORD_0
	v_add_co_u32 v243, s8, v6, v244
	v_add_co_ci_u32_e64 v244, null, 0, v7, s8
	v_add_co_u32 v245, s8, v6, v245
	v_add_co_ci_u32_e64 v246, null, 0, v7, s8
	s_clause 0x1
	flat_load_ushort v243, v[243:244]
	flat_load_ushort v244, v[245:246]
	s_waitcnt vmcnt(0) lgkmcnt(0)
	v_cmp_ge_u16_e64 s8, v243, v244
	s_and_b32 s48, s8, exec_lo
.LBB872_2285:
	s_or_b32 exec_lo, exec_lo, s35
	s_orn2_b32 s35, s48, exec_lo
.LBB872_2286:
	s_or_b32 exec_lo, exec_lo, s39
	v_cndmask_b32_e64 v243, v48, v242, s35
	v_cndmask_b32_e64 v244, v180, v181, s35
	s_mov_b32 s39, exec_lo
	v_add_nc_u32_e32 v243, 1, v243
	v_add_nc_u32_e32 v244, -1, v244
	v_min_u32_e32 v244, v243, v244
	v_lshl_add_u32 v178, v244, 1, v178
	v_cndmask_b32_e64 v244, v243, v48, s35
	ds_read_u16 v178, v178
	s_waitcnt lgkmcnt(0)
	v_cndmask_b32_e64 v48, v241, v178, s35
	v_cmpx_lt_u32_e64 v244, v180
	s_cbranch_execz .LBB872_2290
; %bb.2287:
	v_cndmask_b32_e64 v180, v242, v243, s35
	v_cndmask_b32_e64 v178, v178, v240, s35
	s_mov_b32 s48, exec_lo
	v_cmpx_lt_u32_e64 v180, v181
	s_cbranch_execz .LBB872_2289
; %bb.2288:
	v_mov_b32_e32 v180, 1
	v_lshlrev_b32_sdwa v181, v180, v178 dst_sel:DWORD dst_unused:UNUSED_PAD src0_sel:DWORD src1_sel:WORD_0
	v_lshlrev_b32_sdwa v242, v180, v48 dst_sel:DWORD dst_unused:UNUSED_PAD src0_sel:DWORD src1_sel:WORD_0
	v_add_co_u32 v180, s8, v6, v181
	v_add_co_ci_u32_e64 v181, null, 0, v7, s8
	v_add_co_u32 v242, s8, v6, v242
	v_add_co_ci_u32_e64 v243, null, 0, v7, s8
	s_clause 0x1
	flat_load_ushort v180, v[180:181]
	flat_load_ushort v181, v[242:243]
	s_waitcnt vmcnt(0) lgkmcnt(0)
	v_cmp_lt_u16_e64 s8, v180, v181
	v_cndmask_b32_e64 v178, v48, v178, s8
.LBB872_2289:
	s_or_b32 exec_lo, exec_lo, s48
	v_mov_b32_e32 v48, v178
.LBB872_2290:
	s_or_b32 exec_lo, exec_lo, s39
	v_cndmask_b32_e64 v49, v49, v231, s38
	v_cndmask_b32_e64 v50, v50, v230, s34
	;; [unrolled: 1-line block ×4, first 2 shown]
	v_cndmask_b32_e64 v64, v64, v227, vcc_hi
	v_cndmask_b32_e64 v53, v53, v226, s95
	v_cndmask_b32_e64 v54, v54, v225, s94
	;; [unrolled: 1-line block ×26, first 2 shown]
.LBB872_2291:
	s_or_b32 exec_lo, exec_lo, s12
	s_movk_i32 s13, 0x200
	s_mov_b32 s12, exec_lo
	; wave barrier
	s_waitcnt lgkmcnt(0)
	s_barrier
	buffer_gl0_inv
	v_cmpx_lt_u32_e32 0x200, v0
	s_cbranch_execz .LBB872_2431
; %bb.2292:
	v_lshlrev_b32_e32 v178, 1, v11
	v_mov_b32_e32 v2, 0
	v_mov_b32_e32 v242, 1
	s_mov_b32 s57, 0
	v_add_nc_u32_e32 v179, 2, v178
	v_add_nc_u32_e32 v180, 4, v178
	;; [unrolled: 1-line block ×31, first 2 shown]
	s_branch .LBB872_2296
.LBB872_2293:                           ;   in Loop: Header=BB872_2296 Depth=1
	s_or_b32 exec_lo, exec_lo, s51
	v_mov_b32_e32 v48, v243
.LBB872_2294:                           ;   in Loop: Header=BB872_2296 Depth=1
	s_or_b32 exec_lo, exec_lo, s50
	v_cndmask_b32_e64 v49, v49, v88, s49
	v_cndmask_b32_e64 v50, v50, v79, s39
	;; [unrolled: 1-line block ×7, first 2 shown]
	v_cndmask_b32_e64 v55, v55, v73, vcc_hi
	v_cndmask_b32_e64 v65, v65, v72, s95
	v_cndmask_b32_e64 v66, v66, v63, s94
	;; [unrolled: 1-line block ×23, first 2 shown]
.LBB872_2295:                           ;   in Loop: Header=BB872_2296 Depth=1
	s_or_b32 exec_lo, exec_lo, s58
	v_cmp_ge_u32_e64 s8, s13, v0
	s_barrier
	buffer_gl0_inv
	s_or_b32 s57, s8, s57
	s_andn2_b32 exec_lo, exec_lo, s57
	s_cbranch_execz .LBB872_2430
.LBB872_2296:                           ; =>This Loop Header: Depth=1
                                        ;     Child Loop BB872_2298 Depth 2
	s_mov_b32 s8, s13
	s_lshl_b32 s13, s13, 1
	ds_write_b16 v178, v99
	ds_write_b16 v179, v102
	;; [unrolled: 1-line block ×4, first 2 shown]
	s_sub_i32 s9, 0, s13
	ds_write_b16 v182, v98
	v_and_b32_e32 v244, s9, v11
	s_mov_b32 s9, exec_lo
	ds_write_b16 v183, v97
	ds_write_b16 v192, v96
	;; [unrolled: 1-line block ×6, first 2 shown]
	v_add_nc_u32_e32 v1, s8, v244
	ds_write_b16 v197, v83
	ds_write_b16 v198, v82
	ds_write_b16 v199, v81
	ds_write_b16 v208, v80
	ds_write_b16 v209, v71
	ds_write_b16 v210, v70
	ds_write_b16 v211, v69
	ds_write_b16 v212, v68
	ds_write_b16 v213, v67
	ds_write_b16 v214, v66
	v_min_u32_e32 v1, v1, v0
	ds_write_b16 v215, v65
	ds_write_b16 v224, v55
	;; [unrolled: 1-line block ×11, first 2 shown]
	s_waitcnt lgkmcnt(0)
	v_add_nc_u32_e32 v243, s8, v1
	s_add_i32 s8, s13, -1
	v_sub_nc_u32_e32 v247, v1, v244
	v_and_b32_e32 v245, s8, v11
	s_barrier
	v_min_u32_e32 v243, v243, v0
	buffer_gl0_inv
	v_min_u32_e32 v245, v245, v0
	v_sub_nc_u32_e32 v246, v243, v1
	v_min_u32_e32 v247, v245, v247
	v_sub_nc_u32_e64 v246, v245, v246 clamp
	v_cmpx_lt_u32_e64 v246, v247
	s_cbranch_execz .LBB872_2300
; %bb.2297:                             ;   in Loop: Header=BB872_2296 Depth=1
	v_lshlrev_b64 v[41:42], 1, v[1:2]
	v_lshlrev_b32_e32 v40, 1, v244
	s_mov_b32 s58, 0
	v_add_co_u32 v41, null, 0, v41
	s_inst_prefetch 0x1
	.p2align	6
.LBB872_2298:                           ;   Parent Loop BB872_2296 Depth=1
                                        ; =>  This Inner Loop Header: Depth=2
	v_add_nc_u32_e32 v42, v247, v246
	v_lshrrev_b32_e32 v46, 1, v42
	v_and_b32_e32 v42, -2, v42
	v_xad_u32 v43, v46, -1, v245
	v_add_nc_u32_e32 v42, v40, v42
	v_lshl_add_u32 v43, v43, 1, v41
	ds_read_u16 v42, v42
	ds_read_u16 v43, v43
	s_waitcnt lgkmcnt(1)
	v_lshlrev_b32_e32 v42, 1, v42
	s_waitcnt lgkmcnt(0)
	v_lshlrev_b32_e32 v44, 1, v43
	v_add_co_u32 v42, s8, v6, v42
	v_add_co_ci_u32_e64 v43, null, 0, v7, s8
	v_add_co_u32 v44, s8, v6, v44
	v_add_co_ci_u32_e64 v45, null, 0, v7, s8
	s_clause 0x1
	flat_load_ushort v44, v[44:45]
	flat_load_ushort v42, v[42:43]
	v_add_nc_u32_e32 v43, 1, v46
	s_waitcnt vmcnt(0) lgkmcnt(0)
	v_cmp_lt_u16_e64 s8, v44, v42
	v_cndmask_b32_e64 v247, v247, v46, s8
	v_cndmask_b32_e64 v246, v43, v246, s8
	v_cmp_ge_u32_e64 s8, v246, v247
	s_or_b32 s58, s8, s58
	s_andn2_b32 exec_lo, exec_lo, s58
	s_cbranch_execnz .LBB872_2298
; %bb.2299:                             ;   in Loop: Header=BB872_2296 Depth=1
	s_inst_prefetch 0x2
	s_or_b32 exec_lo, exec_lo, s58
.LBB872_2300:                           ;   in Loop: Header=BB872_2296 Depth=1
	s_or_b32 exec_lo, exec_lo, s9
	v_sub_nc_u32_e32 v245, v245, v246
	v_add_nc_u32_e32 v244, v246, v244
	v_add_nc_u32_e32 v245, v245, v1
	v_cmp_le_u32_e64 s8, v244, v1
	v_cmp_le_u32_e64 s9, v245, v243
	s_or_b32 s8, s8, s9
	s_and_saveexec_b32 s58, s8
	s_cbranch_execz .LBB872_2295
; %bb.2301:                             ;   in Loop: Header=BB872_2296 Depth=1
	v_cmp_ge_u32_e64 s8, v244, v1
	s_mov_b32 s59, exec_lo
                                        ; implicit-def: $vgpr99
	v_cmpx_lt_u32_e64 v244, v1
; %bb.2302:                             ;   in Loop: Header=BB872_2296 Depth=1
	v_lshlrev_b32_e32 v48, 1, v244
	ds_read_u16 v99, v48
; %bb.2303:                             ;   in Loop: Header=BB872_2296 Depth=1
	s_or_b32 exec_lo, exec_lo, s59
	v_cmp_ge_u32_e64 s59, v245, v243
	s_mov_b32 s60, exec_lo
                                        ; implicit-def: $vgpr103
	v_cmpx_lt_u32_e64 v245, v243
; %bb.2304:                             ;   in Loop: Header=BB872_2296 Depth=1
	v_lshlrev_b32_e32 v48, 1, v245
	ds_read_u16 v103, v48
; %bb.2305:                             ;   in Loop: Header=BB872_2296 Depth=1
	s_or_b32 exec_lo, exec_lo, s60
	s_nor_b32 s8, s8, s59
	s_and_saveexec_b32 s9, s8
	s_cbranch_execz .LBB872_2307
; %bb.2306:                             ;   in Loop: Header=BB872_2296 Depth=1
	s_waitcnt lgkmcnt(0)
	v_lshlrev_b32_sdwa v48, v242, v103 dst_sel:DWORD dst_unused:UNUSED_PAD src0_sel:DWORD src1_sel:WORD_0
	v_lshlrev_b32_sdwa v50, v242, v99 dst_sel:DWORD dst_unused:UNUSED_PAD src0_sel:DWORD src1_sel:WORD_0
	s_andn2_b32 s59, s59, exec_lo
	v_add_co_u32 v48, s8, v6, v48
	v_add_co_ci_u32_e64 v49, null, 0, v7, s8
	v_add_co_u32 v50, s8, v6, v50
	v_add_co_ci_u32_e64 v51, null, 0, v7, s8
	s_clause 0x1
	flat_load_ushort v48, v[48:49]
	flat_load_ushort v49, v[50:51]
	s_waitcnt vmcnt(0) lgkmcnt(0)
	v_cmp_ge_u16_e64 s8, v48, v49
	s_and_b32 s8, s8, exec_lo
	s_or_b32 s59, s59, s8
.LBB872_2307:                           ;   in Loop: Header=BB872_2296 Depth=1
	s_or_b32 exec_lo, exec_lo, s9
	v_cndmask_b32_e64 v48, v245, v244, s59
	v_cndmask_b32_e64 v49, v243, v1, s59
	s_mov_b32 s60, -1
	s_mov_b32 s9, -1
	s_mov_b32 s61, exec_lo
	v_add_nc_u32_e32 v50, 1, v48
	v_add_nc_u32_e32 v48, -1, v49
	v_cndmask_b32_e64 v49, v244, v50, s59
	v_min_u32_e32 v48, v50, v48
	v_lshlrev_b32_e32 v48, 1, v48
	ds_read_u16 v51, v48
	v_cndmask_b32_e64 v48, v50, v245, s59
	s_waitcnt lgkmcnt(0)
	v_cndmask_b32_e64 v102, v51, v103, s59
	v_cndmask_b32_e64 v244, v99, v51, s59
	v_cmpx_lt_u32_e64 v48, v243
	s_cbranch_execz .LBB872_2311
; %bb.2308:                             ;   in Loop: Header=BB872_2296 Depth=1
	s_mov_b32 s62, 0
	s_mov_b32 s9, exec_lo
	v_cmpx_lt_u32_e64 v49, v1
	s_cbranch_execz .LBB872_2310
; %bb.2309:                             ;   in Loop: Header=BB872_2296 Depth=1
	v_lshlrev_b32_sdwa v50, v242, v102 dst_sel:DWORD dst_unused:UNUSED_PAD src0_sel:DWORD src1_sel:WORD_0
	v_lshlrev_b32_sdwa v52, v242, v244 dst_sel:DWORD dst_unused:UNUSED_PAD src0_sel:DWORD src1_sel:WORD_0
	v_add_co_u32 v50, s8, v6, v50
	v_add_co_ci_u32_e64 v51, null, 0, v7, s8
	v_add_co_u32 v52, s8, v6, v52
	v_add_co_ci_u32_e64 v53, null, 0, v7, s8
	s_clause 0x1
	flat_load_ushort v50, v[50:51]
	flat_load_ushort v51, v[52:53]
	s_waitcnt vmcnt(0) lgkmcnt(0)
	v_cmp_ge_u16_e64 s8, v50, v51
	s_and_b32 s62, s8, exec_lo
.LBB872_2310:                           ;   in Loop: Header=BB872_2296 Depth=1
	s_or_b32 exec_lo, exec_lo, s9
	s_orn2_b32 s9, s62, exec_lo
.LBB872_2311:                           ;   in Loop: Header=BB872_2296 Depth=1
	s_or_b32 exec_lo, exec_lo, s61
	v_cndmask_b32_e64 v50, v48, v49, s9
	v_cndmask_b32_e64 v51, v243, v1, s9
	s_mov_b32 s61, exec_lo
	v_add_nc_u32_e32 v50, 1, v50
	v_add_nc_u32_e32 v51, -1, v51
	v_cndmask_b32_e64 v48, v50, v48, s9
	v_min_u32_e32 v51, v50, v51
	v_cndmask_b32_e64 v49, v49, v50, s9
	v_lshlrev_b32_e32 v51, 1, v51
	ds_read_u16 v51, v51
	s_waitcnt lgkmcnt(0)
	v_cndmask_b32_e64 v101, v51, v102, s9
	v_cndmask_b32_e64 v245, v244, v51, s9
	v_cmpx_lt_u32_e64 v48, v243
	s_cbranch_execz .LBB872_2315
; %bb.2312:                             ;   in Loop: Header=BB872_2296 Depth=1
	s_mov_b32 s62, 0
	s_mov_b32 s60, exec_lo
	v_cmpx_lt_u32_e64 v49, v1
	s_cbranch_execz .LBB872_2314
; %bb.2313:                             ;   in Loop: Header=BB872_2296 Depth=1
	v_lshlrev_b32_sdwa v50, v242, v101 dst_sel:DWORD dst_unused:UNUSED_PAD src0_sel:DWORD src1_sel:WORD_0
	v_lshlrev_b32_sdwa v52, v242, v245 dst_sel:DWORD dst_unused:UNUSED_PAD src0_sel:DWORD src1_sel:WORD_0
	v_add_co_u32 v50, s8, v6, v50
	v_add_co_ci_u32_e64 v51, null, 0, v7, s8
	v_add_co_u32 v52, s8, v6, v52
	v_add_co_ci_u32_e64 v53, null, 0, v7, s8
	s_clause 0x1
	flat_load_ushort v50, v[50:51]
	flat_load_ushort v51, v[52:53]
	s_waitcnt vmcnt(0) lgkmcnt(0)
	v_cmp_ge_u16_e64 s8, v50, v51
	s_and_b32 s62, s8, exec_lo
.LBB872_2314:                           ;   in Loop: Header=BB872_2296 Depth=1
	s_or_b32 exec_lo, exec_lo, s60
	s_orn2_b32 s60, s62, exec_lo
.LBB872_2315:                           ;   in Loop: Header=BB872_2296 Depth=1
	s_or_b32 exec_lo, exec_lo, s61
	v_cndmask_b32_e64 v50, v48, v49, s60
	v_cndmask_b32_e64 v51, v243, v1, s60
	s_mov_b32 s62, -1
	s_mov_b32 s61, -1
	s_mov_b32 s63, exec_lo
	v_add_nc_u32_e32 v50, 1, v50
	v_add_nc_u32_e32 v51, -1, v51
	v_cndmask_b32_e64 v48, v50, v48, s60
	v_min_u32_e32 v51, v50, v51
	v_cndmask_b32_e64 v49, v49, v50, s60
	v_lshlrev_b32_e32 v51, 1, v51
	ds_read_u16 v51, v51
	s_waitcnt lgkmcnt(0)
	v_cndmask_b32_e64 v100, v51, v101, s60
	v_cndmask_b32_e64 v246, v245, v51, s60
	v_cmpx_lt_u32_e64 v48, v243
	s_cbranch_execz .LBB872_2319
; %bb.2316:                             ;   in Loop: Header=BB872_2296 Depth=1
	s_mov_b32 s72, 0
	s_mov_b32 s61, exec_lo
	v_cmpx_lt_u32_e64 v49, v1
	s_cbranch_execz .LBB872_2318
; %bb.2317:                             ;   in Loop: Header=BB872_2296 Depth=1
	v_lshlrev_b32_sdwa v50, v242, v100 dst_sel:DWORD dst_unused:UNUSED_PAD src0_sel:DWORD src1_sel:WORD_0
	v_lshlrev_b32_sdwa v52, v242, v246 dst_sel:DWORD dst_unused:UNUSED_PAD src0_sel:DWORD src1_sel:WORD_0
	v_add_co_u32 v50, s8, v6, v50
	v_add_co_ci_u32_e64 v51, null, 0, v7, s8
	v_add_co_u32 v52, s8, v6, v52
	v_add_co_ci_u32_e64 v53, null, 0, v7, s8
	s_clause 0x1
	flat_load_ushort v50, v[50:51]
	flat_load_ushort v51, v[52:53]
	s_waitcnt vmcnt(0) lgkmcnt(0)
	v_cmp_ge_u16_e64 s8, v50, v51
	s_and_b32 s72, s8, exec_lo
.LBB872_2318:                           ;   in Loop: Header=BB872_2296 Depth=1
	s_or_b32 exec_lo, exec_lo, s61
	s_orn2_b32 s61, s72, exec_lo
.LBB872_2319:                           ;   in Loop: Header=BB872_2296 Depth=1
	s_or_b32 exec_lo, exec_lo, s63
	v_cndmask_b32_e64 v50, v48, v49, s61
	v_cndmask_b32_e64 v51, v243, v1, s61
	s_mov_b32 s63, exec_lo
	v_add_nc_u32_e32 v50, 1, v50
	v_add_nc_u32_e32 v51, -1, v51
	v_cndmask_b32_e64 v48, v50, v48, s61
	v_min_u32_e32 v51, v50, v51
	v_cndmask_b32_e64 v49, v49, v50, s61
	v_lshlrev_b32_e32 v51, 1, v51
	ds_read_u16 v51, v51
	s_waitcnt lgkmcnt(0)
	v_cndmask_b32_e64 v98, v51, v100, s61
	v_cndmask_b32_e64 v247, v246, v51, s61
	v_cmpx_lt_u32_e64 v48, v243
	s_cbranch_execz .LBB872_2323
; %bb.2320:                             ;   in Loop: Header=BB872_2296 Depth=1
	s_mov_b32 s72, 0
	s_mov_b32 s62, exec_lo
	v_cmpx_lt_u32_e64 v49, v1
	s_cbranch_execz .LBB872_2322
; %bb.2321:                             ;   in Loop: Header=BB872_2296 Depth=1
	v_lshlrev_b32_sdwa v50, v242, v98 dst_sel:DWORD dst_unused:UNUSED_PAD src0_sel:DWORD src1_sel:WORD_0
	v_lshlrev_b32_sdwa v52, v242, v247 dst_sel:DWORD dst_unused:UNUSED_PAD src0_sel:DWORD src1_sel:WORD_0
	v_add_co_u32 v50, s8, v6, v50
	v_add_co_ci_u32_e64 v51, null, 0, v7, s8
	v_add_co_u32 v52, s8, v6, v52
	v_add_co_ci_u32_e64 v53, null, 0, v7, s8
	s_clause 0x1
	flat_load_ushort v50, v[50:51]
	flat_load_ushort v51, v[52:53]
	s_waitcnt vmcnt(0) lgkmcnt(0)
	v_cmp_ge_u16_e64 s8, v50, v51
	s_and_b32 s72, s8, exec_lo
.LBB872_2322:                           ;   in Loop: Header=BB872_2296 Depth=1
	s_or_b32 exec_lo, exec_lo, s62
	s_orn2_b32 s62, s72, exec_lo
.LBB872_2323:                           ;   in Loop: Header=BB872_2296 Depth=1
	s_or_b32 exec_lo, exec_lo, s63
	v_cndmask_b32_e64 v50, v48, v49, s62
	v_cndmask_b32_e64 v51, v243, v1, s62
	s_mov_b32 s72, -1
	s_mov_b32 s63, -1
	s_mov_b32 s73, exec_lo
	v_add_nc_u32_e32 v50, 1, v50
	v_add_nc_u32_e32 v51, -1, v51
	v_cndmask_b32_e64 v48, v50, v48, s62
	v_min_u32_e32 v51, v50, v51
	v_cndmask_b32_e64 v49, v49, v50, s62
	v_lshlrev_b32_e32 v51, 1, v51
	ds_read_u16 v51, v51
	s_waitcnt lgkmcnt(0)
	v_cndmask_b32_e64 v97, v51, v98, s62
	v_cndmask_b32_e64 v40, v247, v51, s62
	v_cmpx_lt_u32_e64 v48, v243
	s_cbranch_execz .LBB872_2327
; %bb.2324:                             ;   in Loop: Header=BB872_2296 Depth=1
	s_mov_b32 s74, 0
	s_mov_b32 s63, exec_lo
	v_cmpx_lt_u32_e64 v49, v1
	s_cbranch_execz .LBB872_2326
; %bb.2325:                             ;   in Loop: Header=BB872_2296 Depth=1
	v_lshlrev_b32_sdwa v50, v242, v97 dst_sel:DWORD dst_unused:UNUSED_PAD src0_sel:DWORD src1_sel:WORD_0
	v_lshlrev_b32_sdwa v52, v242, v40 dst_sel:DWORD dst_unused:UNUSED_PAD src0_sel:DWORD src1_sel:WORD_0
	v_add_co_u32 v50, s8, v6, v50
	v_add_co_ci_u32_e64 v51, null, 0, v7, s8
	v_add_co_u32 v52, s8, v6, v52
	v_add_co_ci_u32_e64 v53, null, 0, v7, s8
	s_clause 0x1
	flat_load_ushort v50, v[50:51]
	flat_load_ushort v51, v[52:53]
	s_waitcnt vmcnt(0) lgkmcnt(0)
	v_cmp_ge_u16_e64 s8, v50, v51
	s_and_b32 s74, s8, exec_lo
.LBB872_2326:                           ;   in Loop: Header=BB872_2296 Depth=1
	s_or_b32 exec_lo, exec_lo, s63
	s_orn2_b32 s63, s74, exec_lo
.LBB872_2327:                           ;   in Loop: Header=BB872_2296 Depth=1
	s_or_b32 exec_lo, exec_lo, s73
	v_cndmask_b32_e64 v50, v48, v49, s63
	v_cndmask_b32_e64 v51, v243, v1, s63
	s_mov_b32 s73, exec_lo
	v_add_nc_u32_e32 v50, 1, v50
	v_add_nc_u32_e32 v51, -1, v51
	v_cndmask_b32_e64 v48, v50, v48, s63
	v_min_u32_e32 v51, v50, v51
	v_cndmask_b32_e64 v49, v49, v50, s63
	v_lshlrev_b32_e32 v51, 1, v51
	ds_read_u16 v51, v51
	s_waitcnt lgkmcnt(0)
	v_cndmask_b32_e64 v96, v51, v97, s63
	v_cndmask_b32_e64 v41, v40, v51, s63
	v_cmpx_lt_u32_e64 v48, v243
	s_cbranch_execz .LBB872_2331
; %bb.2328:                             ;   in Loop: Header=BB872_2296 Depth=1
	s_mov_b32 s74, 0
	s_mov_b32 s72, exec_lo
	v_cmpx_lt_u32_e64 v49, v1
	s_cbranch_execz .LBB872_2330
; %bb.2329:                             ;   in Loop: Header=BB872_2296 Depth=1
	v_lshlrev_b32_sdwa v50, v242, v96 dst_sel:DWORD dst_unused:UNUSED_PAD src0_sel:DWORD src1_sel:WORD_0
	v_lshlrev_b32_sdwa v52, v242, v41 dst_sel:DWORD dst_unused:UNUSED_PAD src0_sel:DWORD src1_sel:WORD_0
	v_add_co_u32 v50, s8, v6, v50
	v_add_co_ci_u32_e64 v51, null, 0, v7, s8
	v_add_co_u32 v52, s8, v6, v52
	v_add_co_ci_u32_e64 v53, null, 0, v7, s8
	s_clause 0x1
	flat_load_ushort v50, v[50:51]
	flat_load_ushort v51, v[52:53]
	s_waitcnt vmcnt(0) lgkmcnt(0)
	v_cmp_ge_u16_e64 s8, v50, v51
	s_and_b32 s74, s8, exec_lo
.LBB872_2330:                           ;   in Loop: Header=BB872_2296 Depth=1
	s_or_b32 exec_lo, exec_lo, s72
	s_orn2_b32 s72, s74, exec_lo
.LBB872_2331:                           ;   in Loop: Header=BB872_2296 Depth=1
	s_or_b32 exec_lo, exec_lo, s73
	v_cndmask_b32_e64 v50, v48, v49, s72
	v_cndmask_b32_e64 v51, v243, v1, s72
	s_mov_b32 s74, -1
	s_mov_b32 s73, -1
	s_mov_b32 s75, exec_lo
	v_add_nc_u32_e32 v50, 1, v50
	v_add_nc_u32_e32 v51, -1, v51
	v_cndmask_b32_e64 v48, v50, v48, s72
	v_min_u32_e32 v51, v50, v51
	v_cndmask_b32_e64 v49, v49, v50, s72
	v_lshlrev_b32_e32 v51, 1, v51
	ds_read_u16 v51, v51
	s_waitcnt lgkmcnt(0)
	v_cndmask_b32_e64 v87, v51, v96, s72
	v_cndmask_b32_e64 v42, v41, v51, s72
	v_cmpx_lt_u32_e64 v48, v243
	s_cbranch_execz .LBB872_2335
; %bb.2332:                             ;   in Loop: Header=BB872_2296 Depth=1
	s_mov_b32 s76, 0
	s_mov_b32 s73, exec_lo
	v_cmpx_lt_u32_e64 v49, v1
	s_cbranch_execz .LBB872_2334
; %bb.2333:                             ;   in Loop: Header=BB872_2296 Depth=1
	v_lshlrev_b32_sdwa v50, v242, v87 dst_sel:DWORD dst_unused:UNUSED_PAD src0_sel:DWORD src1_sel:WORD_0
	v_lshlrev_b32_sdwa v52, v242, v42 dst_sel:DWORD dst_unused:UNUSED_PAD src0_sel:DWORD src1_sel:WORD_0
	v_add_co_u32 v50, s8, v6, v50
	v_add_co_ci_u32_e64 v51, null, 0, v7, s8
	v_add_co_u32 v52, s8, v6, v52
	v_add_co_ci_u32_e64 v53, null, 0, v7, s8
	s_clause 0x1
	flat_load_ushort v50, v[50:51]
	flat_load_ushort v51, v[52:53]
	s_waitcnt vmcnt(0) lgkmcnt(0)
	v_cmp_ge_u16_e64 s8, v50, v51
	s_and_b32 s76, s8, exec_lo
.LBB872_2334:                           ;   in Loop: Header=BB872_2296 Depth=1
	s_or_b32 exec_lo, exec_lo, s73
	s_orn2_b32 s73, s76, exec_lo
.LBB872_2335:                           ;   in Loop: Header=BB872_2296 Depth=1
	s_or_b32 exec_lo, exec_lo, s75
	v_cndmask_b32_e64 v50, v48, v49, s73
	v_cndmask_b32_e64 v51, v243, v1, s73
	s_mov_b32 s75, exec_lo
	v_add_nc_u32_e32 v50, 1, v50
	v_add_nc_u32_e32 v51, -1, v51
	v_cndmask_b32_e64 v48, v50, v48, s73
	v_min_u32_e32 v51, v50, v51
	v_cndmask_b32_e64 v49, v49, v50, s73
	v_lshlrev_b32_e32 v51, 1, v51
	ds_read_u16 v51, v51
	s_waitcnt lgkmcnt(0)
	v_cndmask_b32_e64 v86, v51, v87, s73
	v_cndmask_b32_e64 v43, v42, v51, s73
	v_cmpx_lt_u32_e64 v48, v243
	s_cbranch_execz .LBB872_2339
; %bb.2336:                             ;   in Loop: Header=BB872_2296 Depth=1
	s_mov_b32 s76, 0
	s_mov_b32 s74, exec_lo
	v_cmpx_lt_u32_e64 v49, v1
	s_cbranch_execz .LBB872_2338
; %bb.2337:                             ;   in Loop: Header=BB872_2296 Depth=1
	v_lshlrev_b32_sdwa v50, v242, v86 dst_sel:DWORD dst_unused:UNUSED_PAD src0_sel:DWORD src1_sel:WORD_0
	v_lshlrev_b32_sdwa v52, v242, v43 dst_sel:DWORD dst_unused:UNUSED_PAD src0_sel:DWORD src1_sel:WORD_0
	v_add_co_u32 v50, s8, v6, v50
	v_add_co_ci_u32_e64 v51, null, 0, v7, s8
	v_add_co_u32 v52, s8, v6, v52
	v_add_co_ci_u32_e64 v53, null, 0, v7, s8
	s_clause 0x1
	flat_load_ushort v50, v[50:51]
	flat_load_ushort v51, v[52:53]
	s_waitcnt vmcnt(0) lgkmcnt(0)
	v_cmp_ge_u16_e64 s8, v50, v51
	s_and_b32 s76, s8, exec_lo
.LBB872_2338:                           ;   in Loop: Header=BB872_2296 Depth=1
	s_or_b32 exec_lo, exec_lo, s74
	s_orn2_b32 s74, s76, exec_lo
.LBB872_2339:                           ;   in Loop: Header=BB872_2296 Depth=1
	s_or_b32 exec_lo, exec_lo, s75
	v_cndmask_b32_e64 v50, v48, v49, s74
	v_cndmask_b32_e64 v51, v243, v1, s74
	s_mov_b32 s76, -1
	s_mov_b32 s75, -1
	s_mov_b32 s77, exec_lo
	v_add_nc_u32_e32 v50, 1, v50
	v_add_nc_u32_e32 v51, -1, v51
	v_cndmask_b32_e64 v48, v50, v48, s74
	v_min_u32_e32 v51, v50, v51
	v_cndmask_b32_e64 v49, v49, v50, s74
	v_lshlrev_b32_e32 v51, 1, v51
	ds_read_u16 v51, v51
	s_waitcnt lgkmcnt(0)
	v_cndmask_b32_e64 v85, v51, v86, s74
	v_cndmask_b32_e64 v44, v43, v51, s74
	v_cmpx_lt_u32_e64 v48, v243
	s_cbranch_execz .LBB872_2343
; %bb.2340:                             ;   in Loop: Header=BB872_2296 Depth=1
	s_mov_b32 s78, 0
	s_mov_b32 s75, exec_lo
	v_cmpx_lt_u32_e64 v49, v1
	s_cbranch_execz .LBB872_2342
; %bb.2341:                             ;   in Loop: Header=BB872_2296 Depth=1
	v_lshlrev_b32_sdwa v50, v242, v85 dst_sel:DWORD dst_unused:UNUSED_PAD src0_sel:DWORD src1_sel:WORD_0
	v_lshlrev_b32_sdwa v52, v242, v44 dst_sel:DWORD dst_unused:UNUSED_PAD src0_sel:DWORD src1_sel:WORD_0
	v_add_co_u32 v50, s8, v6, v50
	v_add_co_ci_u32_e64 v51, null, 0, v7, s8
	v_add_co_u32 v52, s8, v6, v52
	v_add_co_ci_u32_e64 v53, null, 0, v7, s8
	s_clause 0x1
	flat_load_ushort v50, v[50:51]
	flat_load_ushort v51, v[52:53]
	s_waitcnt vmcnt(0) lgkmcnt(0)
	v_cmp_ge_u16_e64 s8, v50, v51
	s_and_b32 s78, s8, exec_lo
.LBB872_2342:                           ;   in Loop: Header=BB872_2296 Depth=1
	s_or_b32 exec_lo, exec_lo, s75
	s_orn2_b32 s75, s78, exec_lo
.LBB872_2343:                           ;   in Loop: Header=BB872_2296 Depth=1
	s_or_b32 exec_lo, exec_lo, s77
	v_cndmask_b32_e64 v50, v48, v49, s75
	v_cndmask_b32_e64 v51, v243, v1, s75
	s_mov_b32 s77, exec_lo
	v_add_nc_u32_e32 v50, 1, v50
	v_add_nc_u32_e32 v51, -1, v51
	v_cndmask_b32_e64 v48, v50, v48, s75
	v_min_u32_e32 v51, v50, v51
	v_cndmask_b32_e64 v49, v49, v50, s75
	v_lshlrev_b32_e32 v51, 1, v51
	ds_read_u16 v51, v51
	s_waitcnt lgkmcnt(0)
	v_cndmask_b32_e64 v84, v51, v85, s75
	v_cndmask_b32_e64 v45, v44, v51, s75
	v_cmpx_lt_u32_e64 v48, v243
	s_cbranch_execz .LBB872_2347
; %bb.2344:                             ;   in Loop: Header=BB872_2296 Depth=1
	s_mov_b32 s78, 0
	s_mov_b32 s76, exec_lo
	v_cmpx_lt_u32_e64 v49, v1
	s_cbranch_execz .LBB872_2346
; %bb.2345:                             ;   in Loop: Header=BB872_2296 Depth=1
	v_lshlrev_b32_sdwa v50, v242, v84 dst_sel:DWORD dst_unused:UNUSED_PAD src0_sel:DWORD src1_sel:WORD_0
	v_lshlrev_b32_sdwa v52, v242, v45 dst_sel:DWORD dst_unused:UNUSED_PAD src0_sel:DWORD src1_sel:WORD_0
	v_add_co_u32 v50, s8, v6, v50
	v_add_co_ci_u32_e64 v51, null, 0, v7, s8
	v_add_co_u32 v52, s8, v6, v52
	v_add_co_ci_u32_e64 v53, null, 0, v7, s8
	s_clause 0x1
	flat_load_ushort v50, v[50:51]
	flat_load_ushort v51, v[52:53]
	s_waitcnt vmcnt(0) lgkmcnt(0)
	v_cmp_ge_u16_e64 s8, v50, v51
	s_and_b32 s78, s8, exec_lo
.LBB872_2346:                           ;   in Loop: Header=BB872_2296 Depth=1
	s_or_b32 exec_lo, exec_lo, s76
	s_orn2_b32 s76, s78, exec_lo
.LBB872_2347:                           ;   in Loop: Header=BB872_2296 Depth=1
	s_or_b32 exec_lo, exec_lo, s77
	v_cndmask_b32_e64 v50, v48, v49, s76
	v_cndmask_b32_e64 v51, v243, v1, s76
	s_mov_b32 s78, -1
	s_mov_b32 s77, -1
	s_mov_b32 s79, exec_lo
	v_add_nc_u32_e32 v50, 1, v50
	v_add_nc_u32_e32 v51, -1, v51
	v_cndmask_b32_e64 v48, v50, v48, s76
	v_min_u32_e32 v51, v50, v51
	v_cndmask_b32_e64 v49, v49, v50, s76
	v_lshlrev_b32_e32 v51, 1, v51
	ds_read_u16 v51, v51
	s_waitcnt lgkmcnt(0)
	v_cndmask_b32_e64 v83, v51, v84, s76
	v_cndmask_b32_e64 v46, v45, v51, s76
	v_cmpx_lt_u32_e64 v48, v243
	s_cbranch_execz .LBB872_2351
; %bb.2348:                             ;   in Loop: Header=BB872_2296 Depth=1
	s_mov_b32 s88, 0
	s_mov_b32 s77, exec_lo
	v_cmpx_lt_u32_e64 v49, v1
	s_cbranch_execz .LBB872_2350
; %bb.2349:                             ;   in Loop: Header=BB872_2296 Depth=1
	v_lshlrev_b32_sdwa v50, v242, v83 dst_sel:DWORD dst_unused:UNUSED_PAD src0_sel:DWORD src1_sel:WORD_0
	v_lshlrev_b32_sdwa v52, v242, v46 dst_sel:DWORD dst_unused:UNUSED_PAD src0_sel:DWORD src1_sel:WORD_0
	v_add_co_u32 v50, s8, v6, v50
	v_add_co_ci_u32_e64 v51, null, 0, v7, s8
	v_add_co_u32 v52, s8, v6, v52
	v_add_co_ci_u32_e64 v53, null, 0, v7, s8
	s_clause 0x1
	flat_load_ushort v50, v[50:51]
	flat_load_ushort v51, v[52:53]
	s_waitcnt vmcnt(0) lgkmcnt(0)
	v_cmp_ge_u16_e64 s8, v50, v51
	s_and_b32 s88, s8, exec_lo
.LBB872_2350:                           ;   in Loop: Header=BB872_2296 Depth=1
	s_or_b32 exec_lo, exec_lo, s77
	s_orn2_b32 s77, s88, exec_lo
.LBB872_2351:                           ;   in Loop: Header=BB872_2296 Depth=1
	s_or_b32 exec_lo, exec_lo, s79
	v_cndmask_b32_e64 v50, v48, v49, s77
	v_cndmask_b32_e64 v51, v243, v1, s77
	s_mov_b32 s79, exec_lo
	v_add_nc_u32_e32 v50, 1, v50
	v_add_nc_u32_e32 v51, -1, v51
	v_cndmask_b32_e64 v48, v50, v48, s77
	v_min_u32_e32 v51, v50, v51
	v_cndmask_b32_e64 v49, v49, v50, s77
	v_lshlrev_b32_e32 v51, 1, v51
	ds_read_u16 v51, v51
	s_waitcnt lgkmcnt(0)
	v_cndmask_b32_e64 v82, v51, v83, s77
	v_cndmask_b32_e64 v47, v46, v51, s77
	v_cmpx_lt_u32_e64 v48, v243
	s_cbranch_execz .LBB872_2355
; %bb.2352:                             ;   in Loop: Header=BB872_2296 Depth=1
	s_mov_b32 s88, 0
	s_mov_b32 s78, exec_lo
	v_cmpx_lt_u32_e64 v49, v1
	s_cbranch_execz .LBB872_2354
; %bb.2353:                             ;   in Loop: Header=BB872_2296 Depth=1
	v_lshlrev_b32_sdwa v50, v242, v82 dst_sel:DWORD dst_unused:UNUSED_PAD src0_sel:DWORD src1_sel:WORD_0
	v_lshlrev_b32_sdwa v52, v242, v47 dst_sel:DWORD dst_unused:UNUSED_PAD src0_sel:DWORD src1_sel:WORD_0
	v_add_co_u32 v50, s8, v6, v50
	v_add_co_ci_u32_e64 v51, null, 0, v7, s8
	v_add_co_u32 v52, s8, v6, v52
	v_add_co_ci_u32_e64 v53, null, 0, v7, s8
	s_clause 0x1
	flat_load_ushort v50, v[50:51]
	flat_load_ushort v51, v[52:53]
	s_waitcnt vmcnt(0) lgkmcnt(0)
	v_cmp_ge_u16_e64 s8, v50, v51
	s_and_b32 s88, s8, exec_lo
.LBB872_2354:                           ;   in Loop: Header=BB872_2296 Depth=1
	s_or_b32 exec_lo, exec_lo, s78
	s_orn2_b32 s78, s88, exec_lo
.LBB872_2355:                           ;   in Loop: Header=BB872_2296 Depth=1
	s_or_b32 exec_lo, exec_lo, s79
	v_cndmask_b32_e64 v50, v48, v49, s78
	v_cndmask_b32_e64 v51, v243, v1, s78
	s_mov_b32 s88, -1
	s_mov_b32 s79, -1
	s_mov_b32 s89, exec_lo
	v_add_nc_u32_e32 v50, 1, v50
	v_add_nc_u32_e32 v51, -1, v51
	v_cndmask_b32_e64 v48, v50, v48, s78
	v_min_u32_e32 v51, v50, v51
	v_cndmask_b32_e64 v49, v49, v50, s78
	v_lshlrev_b32_e32 v51, 1, v51
	ds_read_u16 v51, v51
	s_waitcnt lgkmcnt(0)
	v_cndmask_b32_e64 v81, v51, v82, s78
	v_cndmask_b32_e64 v56, v47, v51, s78
	v_cmpx_lt_u32_e64 v48, v243
	s_cbranch_execz .LBB872_2359
; %bb.2356:                             ;   in Loop: Header=BB872_2296 Depth=1
	s_mov_b32 s90, 0
	s_mov_b32 s79, exec_lo
	v_cmpx_lt_u32_e64 v49, v1
	s_cbranch_execz .LBB872_2358
; %bb.2357:                             ;   in Loop: Header=BB872_2296 Depth=1
	v_lshlrev_b32_sdwa v50, v242, v81 dst_sel:DWORD dst_unused:UNUSED_PAD src0_sel:DWORD src1_sel:WORD_0
	v_lshlrev_b32_sdwa v52, v242, v56 dst_sel:DWORD dst_unused:UNUSED_PAD src0_sel:DWORD src1_sel:WORD_0
	v_add_co_u32 v50, s8, v6, v50
	v_add_co_ci_u32_e64 v51, null, 0, v7, s8
	v_add_co_u32 v52, s8, v6, v52
	v_add_co_ci_u32_e64 v53, null, 0, v7, s8
	s_clause 0x1
	flat_load_ushort v50, v[50:51]
	flat_load_ushort v51, v[52:53]
	s_waitcnt vmcnt(0) lgkmcnt(0)
	v_cmp_ge_u16_e64 s8, v50, v51
	s_and_b32 s90, s8, exec_lo
.LBB872_2358:                           ;   in Loop: Header=BB872_2296 Depth=1
	s_or_b32 exec_lo, exec_lo, s79
	s_orn2_b32 s79, s90, exec_lo
.LBB872_2359:                           ;   in Loop: Header=BB872_2296 Depth=1
	s_or_b32 exec_lo, exec_lo, s89
	v_cndmask_b32_e64 v50, v48, v49, s79
	v_cndmask_b32_e64 v51, v243, v1, s79
	s_mov_b32 s89, exec_lo
	v_add_nc_u32_e32 v50, 1, v50
	v_add_nc_u32_e32 v51, -1, v51
	v_cndmask_b32_e64 v48, v50, v48, s79
	v_min_u32_e32 v51, v50, v51
	v_cndmask_b32_e64 v49, v49, v50, s79
	v_lshlrev_b32_e32 v51, 1, v51
	ds_read_u16 v51, v51
	s_waitcnt lgkmcnt(0)
	v_cndmask_b32_e64 v80, v51, v81, s79
	v_cndmask_b32_e64 v57, v56, v51, s79
	v_cmpx_lt_u32_e64 v48, v243
	s_cbranch_execz .LBB872_2363
; %bb.2360:                             ;   in Loop: Header=BB872_2296 Depth=1
	s_mov_b32 s90, 0
	s_mov_b32 s88, exec_lo
	v_cmpx_lt_u32_e64 v49, v1
	s_cbranch_execz .LBB872_2362
; %bb.2361:                             ;   in Loop: Header=BB872_2296 Depth=1
	v_lshlrev_b32_sdwa v50, v242, v80 dst_sel:DWORD dst_unused:UNUSED_PAD src0_sel:DWORD src1_sel:WORD_0
	v_lshlrev_b32_sdwa v52, v242, v57 dst_sel:DWORD dst_unused:UNUSED_PAD src0_sel:DWORD src1_sel:WORD_0
	v_add_co_u32 v50, s8, v6, v50
	v_add_co_ci_u32_e64 v51, null, 0, v7, s8
	v_add_co_u32 v52, s8, v6, v52
	v_add_co_ci_u32_e64 v53, null, 0, v7, s8
	s_clause 0x1
	flat_load_ushort v50, v[50:51]
	flat_load_ushort v51, v[52:53]
	s_waitcnt vmcnt(0) lgkmcnt(0)
	v_cmp_ge_u16_e64 s8, v50, v51
	s_and_b32 s90, s8, exec_lo
.LBB872_2362:                           ;   in Loop: Header=BB872_2296 Depth=1
	s_or_b32 exec_lo, exec_lo, s88
	s_orn2_b32 s88, s90, exec_lo
.LBB872_2363:                           ;   in Loop: Header=BB872_2296 Depth=1
	s_or_b32 exec_lo, exec_lo, s89
	v_cndmask_b32_e64 v50, v48, v49, s88
	v_cndmask_b32_e64 v51, v243, v1, s88
	s_mov_b32 s90, -1
	s_mov_b32 s89, -1
	s_mov_b32 s91, exec_lo
	v_add_nc_u32_e32 v50, 1, v50
	v_add_nc_u32_e32 v51, -1, v51
	v_cndmask_b32_e64 v48, v50, v48, s88
	v_min_u32_e32 v51, v50, v51
	v_cndmask_b32_e64 v49, v49, v50, s88
	v_lshlrev_b32_e32 v51, 1, v51
	ds_read_u16 v51, v51
	s_waitcnt lgkmcnt(0)
	v_cndmask_b32_e64 v71, v51, v80, s88
	v_cndmask_b32_e64 v58, v57, v51, s88
	v_cmpx_lt_u32_e64 v48, v243
	s_cbranch_execz .LBB872_2367
; %bb.2364:                             ;   in Loop: Header=BB872_2296 Depth=1
	s_mov_b32 s92, 0
	s_mov_b32 s89, exec_lo
	v_cmpx_lt_u32_e64 v49, v1
	s_cbranch_execz .LBB872_2366
; %bb.2365:                             ;   in Loop: Header=BB872_2296 Depth=1
	v_lshlrev_b32_sdwa v50, v242, v71 dst_sel:DWORD dst_unused:UNUSED_PAD src0_sel:DWORD src1_sel:WORD_0
	v_lshlrev_b32_sdwa v52, v242, v58 dst_sel:DWORD dst_unused:UNUSED_PAD src0_sel:DWORD src1_sel:WORD_0
	v_add_co_u32 v50, s8, v6, v50
	v_add_co_ci_u32_e64 v51, null, 0, v7, s8
	v_add_co_u32 v52, s8, v6, v52
	v_add_co_ci_u32_e64 v53, null, 0, v7, s8
	s_clause 0x1
	flat_load_ushort v50, v[50:51]
	flat_load_ushort v51, v[52:53]
	s_waitcnt vmcnt(0) lgkmcnt(0)
	v_cmp_ge_u16_e64 s8, v50, v51
	s_and_b32 s92, s8, exec_lo
.LBB872_2366:                           ;   in Loop: Header=BB872_2296 Depth=1
	s_or_b32 exec_lo, exec_lo, s89
	s_orn2_b32 s89, s92, exec_lo
.LBB872_2367:                           ;   in Loop: Header=BB872_2296 Depth=1
	s_or_b32 exec_lo, exec_lo, s91
	v_cndmask_b32_e64 v50, v48, v49, s89
	v_cndmask_b32_e64 v51, v243, v1, s89
	s_mov_b32 s91, exec_lo
	v_add_nc_u32_e32 v50, 1, v50
	v_add_nc_u32_e32 v51, -1, v51
	v_cndmask_b32_e64 v48, v50, v48, s89
	v_min_u32_e32 v51, v50, v51
	v_cndmask_b32_e64 v49, v49, v50, s89
	v_lshlrev_b32_e32 v51, 1, v51
	ds_read_u16 v51, v51
	s_waitcnt lgkmcnt(0)
	v_cndmask_b32_e64 v70, v51, v71, s89
	v_cndmask_b32_e64 v59, v58, v51, s89
	v_cmpx_lt_u32_e64 v48, v243
	s_cbranch_execz .LBB872_2371
; %bb.2368:                             ;   in Loop: Header=BB872_2296 Depth=1
	s_mov_b32 s92, 0
	s_mov_b32 s90, exec_lo
	v_cmpx_lt_u32_e64 v49, v1
	s_cbranch_execz .LBB872_2370
; %bb.2369:                             ;   in Loop: Header=BB872_2296 Depth=1
	v_lshlrev_b32_sdwa v50, v242, v70 dst_sel:DWORD dst_unused:UNUSED_PAD src0_sel:DWORD src1_sel:WORD_0
	v_lshlrev_b32_sdwa v52, v242, v59 dst_sel:DWORD dst_unused:UNUSED_PAD src0_sel:DWORD src1_sel:WORD_0
	v_add_co_u32 v50, s8, v6, v50
	v_add_co_ci_u32_e64 v51, null, 0, v7, s8
	v_add_co_u32 v52, s8, v6, v52
	v_add_co_ci_u32_e64 v53, null, 0, v7, s8
	s_clause 0x1
	flat_load_ushort v50, v[50:51]
	flat_load_ushort v51, v[52:53]
	s_waitcnt vmcnt(0) lgkmcnt(0)
	v_cmp_ge_u16_e64 s8, v50, v51
	s_and_b32 s92, s8, exec_lo
.LBB872_2370:                           ;   in Loop: Header=BB872_2296 Depth=1
	s_or_b32 exec_lo, exec_lo, s90
	s_orn2_b32 s90, s92, exec_lo
.LBB872_2371:                           ;   in Loop: Header=BB872_2296 Depth=1
	s_or_b32 exec_lo, exec_lo, s91
	v_cndmask_b32_e64 v50, v48, v49, s90
	v_cndmask_b32_e64 v51, v243, v1, s90
	s_mov_b32 s92, -1
	s_mov_b32 s91, -1
	s_mov_b32 s93, exec_lo
	v_add_nc_u32_e32 v50, 1, v50
	v_add_nc_u32_e32 v51, -1, v51
	v_cndmask_b32_e64 v48, v50, v48, s90
	v_min_u32_e32 v51, v50, v51
	v_cndmask_b32_e64 v49, v49, v50, s90
	v_lshlrev_b32_e32 v51, 1, v51
	ds_read_u16 v51, v51
	s_waitcnt lgkmcnt(0)
	v_cndmask_b32_e64 v69, v51, v70, s90
	v_cndmask_b32_e64 v60, v59, v51, s90
	v_cmpx_lt_u32_e64 v48, v243
	s_cbranch_execz .LBB872_2375
; %bb.2372:                             ;   in Loop: Header=BB872_2296 Depth=1
	s_mov_b32 s94, 0
	s_mov_b32 s91, exec_lo
	v_cmpx_lt_u32_e64 v49, v1
	s_cbranch_execz .LBB872_2374
; %bb.2373:                             ;   in Loop: Header=BB872_2296 Depth=1
	v_lshlrev_b32_sdwa v50, v242, v69 dst_sel:DWORD dst_unused:UNUSED_PAD src0_sel:DWORD src1_sel:WORD_0
	v_lshlrev_b32_sdwa v52, v242, v60 dst_sel:DWORD dst_unused:UNUSED_PAD src0_sel:DWORD src1_sel:WORD_0
	v_add_co_u32 v50, s8, v6, v50
	v_add_co_ci_u32_e64 v51, null, 0, v7, s8
	v_add_co_u32 v52, s8, v6, v52
	v_add_co_ci_u32_e64 v53, null, 0, v7, s8
	s_clause 0x1
	flat_load_ushort v50, v[50:51]
	flat_load_ushort v51, v[52:53]
	s_waitcnt vmcnt(0) lgkmcnt(0)
	v_cmp_ge_u16_e64 s8, v50, v51
	s_and_b32 s94, s8, exec_lo
.LBB872_2374:                           ;   in Loop: Header=BB872_2296 Depth=1
	s_or_b32 exec_lo, exec_lo, s91
	s_orn2_b32 s91, s94, exec_lo
.LBB872_2375:                           ;   in Loop: Header=BB872_2296 Depth=1
	s_or_b32 exec_lo, exec_lo, s93
	v_cndmask_b32_e64 v50, v48, v49, s91
	v_cndmask_b32_e64 v51, v243, v1, s91
	s_mov_b32 s93, exec_lo
	v_add_nc_u32_e32 v50, 1, v50
	v_add_nc_u32_e32 v51, -1, v51
	v_cndmask_b32_e64 v48, v50, v48, s91
	v_min_u32_e32 v51, v50, v51
	v_cndmask_b32_e64 v49, v49, v50, s91
	v_lshlrev_b32_e32 v51, 1, v51
	ds_read_u16 v51, v51
	s_waitcnt lgkmcnt(0)
	v_cndmask_b32_e64 v68, v51, v69, s91
	v_cndmask_b32_e64 v61, v60, v51, s91
	v_cmpx_lt_u32_e64 v48, v243
	s_cbranch_execz .LBB872_2379
; %bb.2376:                             ;   in Loop: Header=BB872_2296 Depth=1
	s_mov_b32 s94, 0
	s_mov_b32 s92, exec_lo
	v_cmpx_lt_u32_e64 v49, v1
	s_cbranch_execz .LBB872_2378
; %bb.2377:                             ;   in Loop: Header=BB872_2296 Depth=1
	v_lshlrev_b32_sdwa v50, v242, v68 dst_sel:DWORD dst_unused:UNUSED_PAD src0_sel:DWORD src1_sel:WORD_0
	v_lshlrev_b32_sdwa v52, v242, v61 dst_sel:DWORD dst_unused:UNUSED_PAD src0_sel:DWORD src1_sel:WORD_0
	v_add_co_u32 v50, s8, v6, v50
	v_add_co_ci_u32_e64 v51, null, 0, v7, s8
	v_add_co_u32 v52, s8, v6, v52
	v_add_co_ci_u32_e64 v53, null, 0, v7, s8
	s_clause 0x1
	flat_load_ushort v50, v[50:51]
	flat_load_ushort v51, v[52:53]
	s_waitcnt vmcnt(0) lgkmcnt(0)
	v_cmp_ge_u16_e64 s8, v50, v51
	s_and_b32 s94, s8, exec_lo
.LBB872_2378:                           ;   in Loop: Header=BB872_2296 Depth=1
	s_or_b32 exec_lo, exec_lo, s92
	s_orn2_b32 s92, s94, exec_lo
.LBB872_2379:                           ;   in Loop: Header=BB872_2296 Depth=1
	s_or_b32 exec_lo, exec_lo, s93
	v_cndmask_b32_e64 v50, v48, v49, s92
	v_cndmask_b32_e64 v51, v243, v1, s92
	s_mov_b32 s94, -1
	s_mov_b32 s93, -1
	s_mov_b32 s95, exec_lo
	v_add_nc_u32_e32 v50, 1, v50
	v_add_nc_u32_e32 v51, -1, v51
	v_cndmask_b32_e64 v48, v50, v48, s92
	v_min_u32_e32 v51, v50, v51
	v_cndmask_b32_e64 v49, v49, v50, s92
	v_lshlrev_b32_e32 v51, 1, v51
	ds_read_u16 v51, v51
	s_waitcnt lgkmcnt(0)
	v_cndmask_b32_e64 v67, v51, v68, s92
	v_cndmask_b32_e64 v62, v61, v51, s92
	v_cmpx_lt_u32_e64 v48, v243
	s_cbranch_execz .LBB872_2383
; %bb.2380:                             ;   in Loop: Header=BB872_2296 Depth=1
	s_mov_b32 vcc_hi, 0
	s_mov_b32 s93, exec_lo
	v_cmpx_lt_u32_e64 v49, v1
	s_cbranch_execz .LBB872_2382
; %bb.2381:                             ;   in Loop: Header=BB872_2296 Depth=1
	v_lshlrev_b32_sdwa v50, v242, v67 dst_sel:DWORD dst_unused:UNUSED_PAD src0_sel:DWORD src1_sel:WORD_0
	v_lshlrev_b32_sdwa v52, v242, v62 dst_sel:DWORD dst_unused:UNUSED_PAD src0_sel:DWORD src1_sel:WORD_0
	v_add_co_u32 v50, s8, v6, v50
	v_add_co_ci_u32_e64 v51, null, 0, v7, s8
	v_add_co_u32 v52, s8, v6, v52
	v_add_co_ci_u32_e64 v53, null, 0, v7, s8
	s_clause 0x1
	flat_load_ushort v50, v[50:51]
	flat_load_ushort v51, v[52:53]
	s_waitcnt vmcnt(0) lgkmcnt(0)
	v_cmp_ge_u16_e64 s8, v50, v51
	s_and_b32 vcc_hi, s8, exec_lo
.LBB872_2382:                           ;   in Loop: Header=BB872_2296 Depth=1
	s_or_b32 exec_lo, exec_lo, s93
	s_orn2_b32 s93, vcc_hi, exec_lo
.LBB872_2383:                           ;   in Loop: Header=BB872_2296 Depth=1
	s_or_b32 exec_lo, exec_lo, s95
	v_cndmask_b32_e64 v50, v48, v49, s93
	v_cndmask_b32_e64 v51, v243, v1, s93
	s_mov_b32 s95, exec_lo
	v_add_nc_u32_e32 v50, 1, v50
	v_add_nc_u32_e32 v51, -1, v51
	v_cndmask_b32_e64 v48, v50, v48, s93
	v_min_u32_e32 v51, v50, v51
	v_cndmask_b32_e64 v49, v49, v50, s93
	v_lshlrev_b32_e32 v51, 1, v51
	ds_read_u16 v51, v51
	s_waitcnt lgkmcnt(0)
	v_cndmask_b32_e64 v66, v51, v67, s93
	v_cndmask_b32_e64 v63, v62, v51, s93
	v_cmpx_lt_u32_e64 v48, v243
	s_cbranch_execz .LBB872_2387
; %bb.2384:                             ;   in Loop: Header=BB872_2296 Depth=1
	s_mov_b32 vcc_hi, 0
	s_mov_b32 s94, exec_lo
	v_cmpx_lt_u32_e64 v49, v1
	s_cbranch_execz .LBB872_2386
; %bb.2385:                             ;   in Loop: Header=BB872_2296 Depth=1
	v_lshlrev_b32_sdwa v50, v242, v66 dst_sel:DWORD dst_unused:UNUSED_PAD src0_sel:DWORD src1_sel:WORD_0
	v_lshlrev_b32_sdwa v52, v242, v63 dst_sel:DWORD dst_unused:UNUSED_PAD src0_sel:DWORD src1_sel:WORD_0
	v_add_co_u32 v50, s8, v6, v50
	v_add_co_ci_u32_e64 v51, null, 0, v7, s8
	v_add_co_u32 v52, s8, v6, v52
	v_add_co_ci_u32_e64 v53, null, 0, v7, s8
	s_clause 0x1
	flat_load_ushort v50, v[50:51]
	flat_load_ushort v51, v[52:53]
	s_waitcnt vmcnt(0) lgkmcnt(0)
	v_cmp_ge_u16_e64 s8, v50, v51
	s_and_b32 vcc_hi, s8, exec_lo
.LBB872_2386:                           ;   in Loop: Header=BB872_2296 Depth=1
	s_or_b32 exec_lo, exec_lo, s94
	s_orn2_b32 s94, vcc_hi, exec_lo
.LBB872_2387:                           ;   in Loop: Header=BB872_2296 Depth=1
	s_or_b32 exec_lo, exec_lo, s95
	v_cndmask_b32_e64 v50, v48, v49, s94
	v_cndmask_b32_e64 v51, v243, v1, s94
	s_mov_b32 vcc_hi, -1
	s_mov_b32 s95, -1
	s_mov_b32 s30, exec_lo
	v_add_nc_u32_e32 v50, 1, v50
	v_add_nc_u32_e32 v51, -1, v51
	v_cndmask_b32_e64 v48, v50, v48, s94
	v_min_u32_e32 v51, v50, v51
	v_cndmask_b32_e64 v49, v49, v50, s94
	v_lshlrev_b32_e32 v51, 1, v51
	ds_read_u16 v51, v51
	s_waitcnt lgkmcnt(0)
	v_cndmask_b32_e64 v65, v51, v66, s94
	v_cndmask_b32_e64 v72, v63, v51, s94
	v_cmpx_lt_u32_e64 v48, v243
	s_cbranch_execz .LBB872_2391
; %bb.2388:                             ;   in Loop: Header=BB872_2296 Depth=1
	s_mov_b32 s31, 0
	s_mov_b32 s95, exec_lo
	v_cmpx_lt_u32_e64 v49, v1
	s_cbranch_execz .LBB872_2390
; %bb.2389:                             ;   in Loop: Header=BB872_2296 Depth=1
	v_lshlrev_b32_sdwa v50, v242, v65 dst_sel:DWORD dst_unused:UNUSED_PAD src0_sel:DWORD src1_sel:WORD_0
	v_lshlrev_b32_sdwa v52, v242, v72 dst_sel:DWORD dst_unused:UNUSED_PAD src0_sel:DWORD src1_sel:WORD_0
	v_add_co_u32 v50, s8, v6, v50
	v_add_co_ci_u32_e64 v51, null, 0, v7, s8
	v_add_co_u32 v52, s8, v6, v52
	v_add_co_ci_u32_e64 v53, null, 0, v7, s8
	s_clause 0x1
	flat_load_ushort v50, v[50:51]
	flat_load_ushort v51, v[52:53]
	s_waitcnt vmcnt(0) lgkmcnt(0)
	v_cmp_ge_u16_e64 s8, v50, v51
	s_and_b32 s31, s8, exec_lo
.LBB872_2390:                           ;   in Loop: Header=BB872_2296 Depth=1
	s_or_b32 exec_lo, exec_lo, s95
	s_orn2_b32 s95, s31, exec_lo
.LBB872_2391:                           ;   in Loop: Header=BB872_2296 Depth=1
	s_or_b32 exec_lo, exec_lo, s30
	v_cndmask_b32_e64 v50, v48, v49, s95
	v_cndmask_b32_e64 v51, v243, v1, s95
	s_mov_b32 s30, exec_lo
	v_add_nc_u32_e32 v50, 1, v50
	v_add_nc_u32_e32 v51, -1, v51
	v_cndmask_b32_e64 v48, v50, v48, s95
	v_min_u32_e32 v51, v50, v51
	v_cndmask_b32_e64 v49, v49, v50, s95
	v_lshlrev_b32_e32 v51, 1, v51
	ds_read_u16 v51, v51
	s_waitcnt lgkmcnt(0)
	v_cndmask_b32_e64 v55, v51, v65, s95
	v_cndmask_b32_e64 v73, v72, v51, s95
	v_cmpx_lt_u32_e64 v48, v243
	s_cbranch_execz .LBB872_2395
; %bb.2392:                             ;   in Loop: Header=BB872_2296 Depth=1
	s_mov_b32 s31, 0
	s_mov_b32 vcc_hi, exec_lo
	v_cmpx_lt_u32_e64 v49, v1
	s_cbranch_execz .LBB872_2394
; %bb.2393:                             ;   in Loop: Header=BB872_2296 Depth=1
	v_lshlrev_b32_sdwa v50, v242, v55 dst_sel:DWORD dst_unused:UNUSED_PAD src0_sel:DWORD src1_sel:WORD_0
	v_lshlrev_b32_sdwa v52, v242, v73 dst_sel:DWORD dst_unused:UNUSED_PAD src0_sel:DWORD src1_sel:WORD_0
	v_add_co_u32 v50, s8, v6, v50
	v_add_co_ci_u32_e64 v51, null, 0, v7, s8
	v_add_co_u32 v52, s8, v6, v52
	v_add_co_ci_u32_e64 v53, null, 0, v7, s8
	s_clause 0x1
	flat_load_ushort v50, v[50:51]
	flat_load_ushort v51, v[52:53]
	s_waitcnt vmcnt(0) lgkmcnt(0)
	v_cmp_ge_u16_e64 s8, v50, v51
	s_and_b32 s31, s8, exec_lo
.LBB872_2394:                           ;   in Loop: Header=BB872_2296 Depth=1
	s_or_b32 exec_lo, exec_lo, vcc_hi
	s_orn2_b32 vcc_hi, s31, exec_lo
.LBB872_2395:                           ;   in Loop: Header=BB872_2296 Depth=1
	s_or_b32 exec_lo, exec_lo, s30
	v_cndmask_b32_e64 v50, v48, v49, vcc_hi
	v_cndmask_b32_e64 v51, v243, v1, vcc_hi
	s_mov_b32 s31, -1
	s_mov_b32 s30, -1
	s_mov_b32 s34, exec_lo
	v_add_nc_u32_e32 v50, 1, v50
	v_add_nc_u32_e32 v51, -1, v51
	v_cndmask_b32_e64 v48, v50, v48, vcc_hi
	v_min_u32_e32 v51, v50, v51
	v_cndmask_b32_e64 v49, v49, v50, vcc_hi
	v_lshlrev_b32_e32 v51, 1, v51
	ds_read_u16 v51, v51
	s_waitcnt lgkmcnt(0)
	v_cndmask_b32_e64 v54, v51, v55, vcc_hi
	v_cndmask_b32_e64 v74, v73, v51, vcc_hi
	v_cmpx_lt_u32_e64 v48, v243
	s_cbranch_execz .LBB872_2399
; %bb.2396:                             ;   in Loop: Header=BB872_2296 Depth=1
	s_mov_b32 s35, 0
	s_mov_b32 s30, exec_lo
	v_cmpx_lt_u32_e64 v49, v1
	s_cbranch_execz .LBB872_2398
; %bb.2397:                             ;   in Loop: Header=BB872_2296 Depth=1
	v_lshlrev_b32_sdwa v50, v242, v54 dst_sel:DWORD dst_unused:UNUSED_PAD src0_sel:DWORD src1_sel:WORD_0
	v_lshlrev_b32_sdwa v52, v242, v74 dst_sel:DWORD dst_unused:UNUSED_PAD src0_sel:DWORD src1_sel:WORD_0
	v_add_co_u32 v50, s8, v6, v50
	v_add_co_ci_u32_e64 v51, null, 0, v7, s8
	v_add_co_u32 v52, s8, v6, v52
	v_add_co_ci_u32_e64 v53, null, 0, v7, s8
	s_clause 0x1
	flat_load_ushort v50, v[50:51]
	flat_load_ushort v51, v[52:53]
	s_waitcnt vmcnt(0) lgkmcnt(0)
	v_cmp_ge_u16_e64 s8, v50, v51
	s_and_b32 s35, s8, exec_lo
.LBB872_2398:                           ;   in Loop: Header=BB872_2296 Depth=1
	s_or_b32 exec_lo, exec_lo, s30
	s_orn2_b32 s30, s35, exec_lo
.LBB872_2399:                           ;   in Loop: Header=BB872_2296 Depth=1
	s_or_b32 exec_lo, exec_lo, s34
	v_cndmask_b32_e64 v50, v48, v49, s30
	v_cndmask_b32_e64 v51, v243, v1, s30
	s_mov_b32 s34, exec_lo
	v_add_nc_u32_e32 v50, 1, v50
	v_add_nc_u32_e32 v51, -1, v51
	v_cndmask_b32_e64 v48, v50, v48, s30
	v_min_u32_e32 v51, v50, v51
	v_cndmask_b32_e64 v49, v49, v50, s30
	v_lshlrev_b32_e32 v51, 1, v51
	ds_read_u16 v51, v51
	s_waitcnt lgkmcnt(0)
	v_cndmask_b32_e64 v53, v51, v54, s30
	v_cndmask_b32_e64 v75, v74, v51, s30
	v_cmpx_lt_u32_e64 v48, v243
	s_cbranch_execz .LBB872_2403
; %bb.2400:                             ;   in Loop: Header=BB872_2296 Depth=1
	s_mov_b32 s35, 0
	s_mov_b32 s31, exec_lo
	v_cmpx_lt_u32_e64 v49, v1
	s_cbranch_execz .LBB872_2402
; %bb.2401:                             ;   in Loop: Header=BB872_2296 Depth=1
	v_lshlrev_b32_sdwa v50, v242, v53 dst_sel:DWORD dst_unused:UNUSED_PAD src0_sel:DWORD src1_sel:WORD_0
	v_lshlrev_b32_sdwa v52, v242, v75 dst_sel:DWORD dst_unused:UNUSED_PAD src0_sel:DWORD src1_sel:WORD_0
	v_add_co_u32 v50, s8, v6, v50
	v_add_co_ci_u32_e64 v51, null, 0, v7, s8
	v_add_co_u32 v76, s8, v6, v52
	v_add_co_ci_u32_e64 v77, null, 0, v7, s8
	s_clause 0x1
	flat_load_ushort v50, v[50:51]
	flat_load_ushort v51, v[76:77]
	s_waitcnt vmcnt(0) lgkmcnt(0)
	v_cmp_ge_u16_e64 s8, v50, v51
	s_and_b32 s35, s8, exec_lo
.LBB872_2402:                           ;   in Loop: Header=BB872_2296 Depth=1
	s_or_b32 exec_lo, exec_lo, s31
	s_orn2_b32 s31, s35, exec_lo
.LBB872_2403:                           ;   in Loop: Header=BB872_2296 Depth=1
	s_or_b32 exec_lo, exec_lo, s34
	v_cndmask_b32_e64 v50, v48, v49, s31
	v_cndmask_b32_e64 v51, v243, v1, s31
	s_mov_b32 s35, -1
	s_mov_b32 s34, -1
	s_mov_b32 s38, exec_lo
	v_add_nc_u32_e32 v50, 1, v50
	v_add_nc_u32_e32 v51, -1, v51
	v_cndmask_b32_e64 v48, v50, v48, s31
	v_min_u32_e32 v51, v50, v51
	v_cndmask_b32_e64 v49, v49, v50, s31
	v_lshlrev_b32_e32 v51, 1, v51
	ds_read_u16 v51, v51
	s_waitcnt lgkmcnt(0)
	v_cndmask_b32_e64 v64, v51, v53, s31
	v_cndmask_b32_e64 v76, v75, v51, s31
	v_cmpx_lt_u32_e64 v48, v243
	s_cbranch_execz .LBB872_2407
; %bb.2404:                             ;   in Loop: Header=BB872_2296 Depth=1
	s_mov_b32 s39, 0
	s_mov_b32 s34, exec_lo
	v_cmpx_lt_u32_e64 v49, v1
	s_cbranch_execz .LBB872_2406
; %bb.2405:                             ;   in Loop: Header=BB872_2296 Depth=1
	v_lshlrev_b32_sdwa v50, v242, v64 dst_sel:DWORD dst_unused:UNUSED_PAD src0_sel:DWORD src1_sel:WORD_0
	v_lshlrev_b32_sdwa v52, v242, v76 dst_sel:DWORD dst_unused:UNUSED_PAD src0_sel:DWORD src1_sel:WORD_0
	v_add_co_u32 v50, s8, v6, v50
	v_add_co_ci_u32_e64 v51, null, 0, v7, s8
	v_add_co_u32 v77, s8, v6, v52
	v_add_co_ci_u32_e64 v78, null, 0, v7, s8
	s_clause 0x1
	flat_load_ushort v50, v[50:51]
	flat_load_ushort v51, v[77:78]
	s_waitcnt vmcnt(0) lgkmcnt(0)
	v_cmp_ge_u16_e64 s8, v50, v51
	s_and_b32 s39, s8, exec_lo
.LBB872_2406:                           ;   in Loop: Header=BB872_2296 Depth=1
	s_or_b32 exec_lo, exec_lo, s34
	s_orn2_b32 s34, s39, exec_lo
.LBB872_2407:                           ;   in Loop: Header=BB872_2296 Depth=1
	s_or_b32 exec_lo, exec_lo, s38
	v_cndmask_b32_e64 v50, v48, v49, s34
	v_cndmask_b32_e64 v51, v243, v1, s34
	s_mov_b32 s38, exec_lo
	v_add_nc_u32_e32 v50, 1, v50
	v_add_nc_u32_e32 v51, -1, v51
	v_cndmask_b32_e64 v48, v50, v48, s34
	v_min_u32_e32 v51, v50, v51
	v_cndmask_b32_e64 v49, v49, v50, s34
	v_lshlrev_b32_e32 v51, 1, v51
	ds_read_u16 v51, v51
	s_waitcnt lgkmcnt(0)
	v_cndmask_b32_e64 v52, v51, v64, s34
	v_cndmask_b32_e64 v77, v76, v51, s34
	v_cmpx_lt_u32_e64 v48, v243
	s_cbranch_execz .LBB872_2411
; %bb.2408:                             ;   in Loop: Header=BB872_2296 Depth=1
	s_mov_b32 s39, 0
	s_mov_b32 s35, exec_lo
	v_cmpx_lt_u32_e64 v49, v1
	s_cbranch_execz .LBB872_2410
; %bb.2409:                             ;   in Loop: Header=BB872_2296 Depth=1
	v_lshlrev_b32_sdwa v50, v242, v52 dst_sel:DWORD dst_unused:UNUSED_PAD src0_sel:DWORD src1_sel:WORD_0
	v_lshlrev_b32_sdwa v78, v242, v77 dst_sel:DWORD dst_unused:UNUSED_PAD src0_sel:DWORD src1_sel:WORD_0
	v_add_co_u32 v50, s8, v6, v50
	v_add_co_ci_u32_e64 v51, null, 0, v7, s8
	v_add_co_u32 v78, s8, v6, v78
	v_add_co_ci_u32_e64 v79, null, 0, v7, s8
	s_clause 0x1
	flat_load_ushort v50, v[50:51]
	flat_load_ushort v51, v[78:79]
	s_waitcnt vmcnt(0) lgkmcnt(0)
	v_cmp_ge_u16_e64 s8, v50, v51
	s_and_b32 s39, s8, exec_lo
.LBB872_2410:                           ;   in Loop: Header=BB872_2296 Depth=1
	s_or_b32 exec_lo, exec_lo, s35
	s_orn2_b32 s35, s39, exec_lo
.LBB872_2411:                           ;   in Loop: Header=BB872_2296 Depth=1
	s_or_b32 exec_lo, exec_lo, s38
	v_cndmask_b32_e64 v50, v48, v49, s35
	v_cndmask_b32_e64 v51, v243, v1, s35
	s_mov_b32 s39, -1
	s_mov_b32 s38, -1
	s_mov_b32 s48, exec_lo
	v_add_nc_u32_e32 v50, 1, v50
	v_add_nc_u32_e32 v51, -1, v51
	v_cndmask_b32_e64 v48, v50, v48, s35
	v_min_u32_e32 v51, v50, v51
	v_cndmask_b32_e64 v49, v49, v50, s35
	v_lshlrev_b32_e32 v51, 1, v51
	ds_read_u16 v78, v51
	s_waitcnt lgkmcnt(0)
	v_cndmask_b32_e64 v51, v78, v52, s35
	v_cndmask_b32_e64 v78, v77, v78, s35
	v_cmpx_lt_u32_e64 v48, v243
	s_cbranch_execz .LBB872_2415
; %bb.2412:                             ;   in Loop: Header=BB872_2296 Depth=1
	s_mov_b32 s49, 0
	s_mov_b32 s38, exec_lo
	v_cmpx_lt_u32_e64 v49, v1
	s_cbranch_execz .LBB872_2414
; %bb.2413:                             ;   in Loop: Header=BB872_2296 Depth=1
	v_lshlrev_b32_sdwa v50, v242, v51 dst_sel:DWORD dst_unused:UNUSED_PAD src0_sel:DWORD src1_sel:WORD_0
	v_lshlrev_b32_sdwa v79, v242, v78 dst_sel:DWORD dst_unused:UNUSED_PAD src0_sel:DWORD src1_sel:WORD_0
	v_add_co_u32 v88, s8, v6, v50
	v_add_co_ci_u32_e64 v89, null, 0, v7, s8
	v_add_co_u32 v90, s8, v6, v79
	v_add_co_ci_u32_e64 v91, null, 0, v7, s8
	s_clause 0x1
	flat_load_ushort v50, v[88:89]
	flat_load_ushort v79, v[90:91]
	s_waitcnt vmcnt(0) lgkmcnt(0)
	v_cmp_ge_u16_e64 s8, v50, v79
	s_and_b32 s49, s8, exec_lo
.LBB872_2414:                           ;   in Loop: Header=BB872_2296 Depth=1
	s_or_b32 exec_lo, exec_lo, s38
	s_orn2_b32 s38, s49, exec_lo
.LBB872_2415:                           ;   in Loop: Header=BB872_2296 Depth=1
	s_or_b32 exec_lo, exec_lo, s48
	v_cndmask_b32_e64 v50, v48, v49, s38
	v_cndmask_b32_e64 v79, v243, v1, s38
	s_mov_b32 s48, exec_lo
	v_add_nc_u32_e32 v50, 1, v50
	v_add_nc_u32_e32 v79, -1, v79
	v_cndmask_b32_e64 v48, v50, v48, s38
	v_min_u32_e32 v79, v50, v79
	v_cndmask_b32_e64 v49, v49, v50, s38
	v_lshlrev_b32_e32 v79, 1, v79
	ds_read_u16 v79, v79
	s_waitcnt lgkmcnt(0)
	v_cndmask_b32_e64 v50, v79, v51, s38
	v_cndmask_b32_e64 v79, v78, v79, s38
	v_cmpx_lt_u32_e64 v48, v243
	s_cbranch_execz .LBB872_2419
; %bb.2416:                             ;   in Loop: Header=BB872_2296 Depth=1
	s_mov_b32 s49, 0
	s_mov_b32 s39, exec_lo
	v_cmpx_lt_u32_e64 v49, v1
	s_cbranch_execz .LBB872_2418
; %bb.2417:                             ;   in Loop: Header=BB872_2296 Depth=1
	v_lshlrev_b32_sdwa v88, v242, v50 dst_sel:DWORD dst_unused:UNUSED_PAD src0_sel:DWORD src1_sel:WORD_0
	v_lshlrev_b32_sdwa v90, v242, v79 dst_sel:DWORD dst_unused:UNUSED_PAD src0_sel:DWORD src1_sel:WORD_0
	v_add_co_u32 v88, s8, v6, v88
	v_add_co_ci_u32_e64 v89, null, 0, v7, s8
	v_add_co_u32 v90, s8, v6, v90
	v_add_co_ci_u32_e64 v91, null, 0, v7, s8
	s_clause 0x1
	flat_load_ushort v88, v[88:89]
	flat_load_ushort v89, v[90:91]
	s_waitcnt vmcnt(0) lgkmcnt(0)
	v_cmp_ge_u16_e64 s8, v88, v89
	s_and_b32 s49, s8, exec_lo
.LBB872_2418:                           ;   in Loop: Header=BB872_2296 Depth=1
	s_or_b32 exec_lo, exec_lo, s39
	s_orn2_b32 s39, s49, exec_lo
.LBB872_2419:                           ;   in Loop: Header=BB872_2296 Depth=1
	s_or_b32 exec_lo, exec_lo, s48
	v_cndmask_b32_e64 v88, v48, v49, s39
	v_cndmask_b32_e64 v89, v243, v1, s39
	s_mov_b32 s48, -1
	s_mov_b32 s49, -1
	s_mov_b32 s50, exec_lo
	v_add_nc_u32_e32 v88, 1, v88
	v_add_nc_u32_e32 v89, -1, v89
	v_cndmask_b32_e64 v48, v88, v48, s39
	v_min_u32_e32 v89, v88, v89
	v_lshlrev_b32_e32 v89, 1, v89
	ds_read_u16 v90, v89
	v_cndmask_b32_e64 v89, v49, v88, s39
	s_waitcnt lgkmcnt(0)
	v_cndmask_b32_e64 v49, v90, v50, s39
	v_cndmask_b32_e64 v88, v79, v90, s39
	v_cmpx_lt_u32_e64 v48, v243
	s_cbranch_execz .LBB872_2423
; %bb.2420:                             ;   in Loop: Header=BB872_2296 Depth=1
	s_mov_b32 s51, 0
	s_mov_b32 s49, exec_lo
	v_cmpx_lt_u32_e64 v89, v1
	s_cbranch_execz .LBB872_2422
; %bb.2421:                             ;   in Loop: Header=BB872_2296 Depth=1
	v_lshlrev_b32_sdwa v90, v242, v49 dst_sel:DWORD dst_unused:UNUSED_PAD src0_sel:DWORD src1_sel:WORD_0
	v_lshlrev_b32_sdwa v92, v242, v88 dst_sel:DWORD dst_unused:UNUSED_PAD src0_sel:DWORD src1_sel:WORD_0
	v_add_co_u32 v90, s8, v6, v90
	v_add_co_ci_u32_e64 v91, null, 0, v7, s8
	v_add_co_u32 v92, s8, v6, v92
	v_add_co_ci_u32_e64 v93, null, 0, v7, s8
	s_clause 0x1
	flat_load_ushort v90, v[90:91]
	flat_load_ushort v91, v[92:93]
	s_waitcnt vmcnt(0) lgkmcnt(0)
	v_cmp_ge_u16_e64 s8, v90, v91
	s_and_b32 s51, s8, exec_lo
.LBB872_2422:                           ;   in Loop: Header=BB872_2296 Depth=1
	s_or_b32 exec_lo, exec_lo, s49
	s_orn2_b32 s49, s51, exec_lo
.LBB872_2423:                           ;   in Loop: Header=BB872_2296 Depth=1
	s_or_b32 exec_lo, exec_lo, s50
	v_cndmask_b32_e64 v90, v48, v89, s49
	v_cndmask_b32_e64 v91, v243, v1, s49
	s_mov_b32 s50, exec_lo
	v_add_nc_u32_e32 v90, 1, v90
	v_add_nc_u32_e32 v91, -1, v91
	v_cndmask_b32_e64 v48, v90, v48, s49
	v_min_u32_e32 v91, v90, v91
	v_lshlrev_b32_e32 v91, 1, v91
	ds_read_u16 v92, v91
	v_cndmask_b32_e64 v91, v89, v90, s49
	s_waitcnt lgkmcnt(0)
	v_cndmask_b32_e64 v89, v92, v49, s49
	v_cndmask_b32_e64 v90, v88, v92, s49
	v_cmpx_lt_u32_e64 v48, v243
	s_cbranch_execz .LBB872_2427
; %bb.2424:                             ;   in Loop: Header=BB872_2296 Depth=1
	s_mov_b32 s51, 0
	s_mov_b32 s48, exec_lo
	v_cmpx_lt_u32_e64 v91, v1
	s_cbranch_execz .LBB872_2426
; %bb.2425:                             ;   in Loop: Header=BB872_2296 Depth=1
	v_lshlrev_b32_sdwa v92, v242, v89 dst_sel:DWORD dst_unused:UNUSED_PAD src0_sel:DWORD src1_sel:WORD_0
	v_lshlrev_b32_sdwa v94, v242, v90 dst_sel:DWORD dst_unused:UNUSED_PAD src0_sel:DWORD src1_sel:WORD_0
	v_add_co_u32 v92, s8, v6, v92
	v_add_co_ci_u32_e64 v93, null, 0, v7, s8
	v_add_co_u32 v94, s8, v6, v94
	v_add_co_ci_u32_e64 v95, null, 0, v7, s8
	s_clause 0x1
	flat_load_ushort v92, v[92:93]
	flat_load_ushort v93, v[94:95]
	s_waitcnt vmcnt(0) lgkmcnt(0)
	v_cmp_ge_u16_e64 s8, v92, v93
	s_and_b32 s51, s8, exec_lo
.LBB872_2426:                           ;   in Loop: Header=BB872_2296 Depth=1
	s_or_b32 exec_lo, exec_lo, s48
	s_orn2_b32 s48, s51, exec_lo
.LBB872_2427:                           ;   in Loop: Header=BB872_2296 Depth=1
	s_or_b32 exec_lo, exec_lo, s50
	v_cndmask_b32_e64 v92, v48, v91, s48
	v_cndmask_b32_e64 v93, v243, v1, s48
	s_mov_b32 s50, exec_lo
	v_add_nc_u32_e32 v92, 1, v92
	v_add_nc_u32_e32 v93, -1, v93
	v_cndmask_b32_e64 v94, v92, v48, s48
	v_min_u32_e32 v93, v92, v93
	v_lshlrev_b32_e32 v93, 1, v93
	ds_read_u16 v93, v93
	s_waitcnt lgkmcnt(0)
	v_cndmask_b32_e64 v48, v90, v93, s48
	v_cmpx_lt_u32_e64 v94, v243
	s_cbranch_execz .LBB872_2294
; %bb.2428:                             ;   in Loop: Header=BB872_2296 Depth=1
	v_cndmask_b32_e64 v91, v91, v92, s48
	v_cndmask_b32_e64 v243, v93, v89, s48
	s_mov_b32 s51, exec_lo
	v_cmpx_lt_u32_e64 v91, v1
	s_cbranch_execz .LBB872_2293
; %bb.2429:                             ;   in Loop: Header=BB872_2296 Depth=1
	v_lshlrev_b32_sdwa v1, v242, v243 dst_sel:DWORD dst_unused:UNUSED_PAD src0_sel:DWORD src1_sel:WORD_0
	v_lshlrev_b32_sdwa v93, v242, v48 dst_sel:DWORD dst_unused:UNUSED_PAD src0_sel:DWORD src1_sel:WORD_0
	v_add_co_u32 v91, s8, v6, v1
	v_add_co_ci_u32_e64 v92, null, 0, v7, s8
	v_add_co_u32 v93, s8, v6, v93
	v_add_co_ci_u32_e64 v94, null, 0, v7, s8
	s_clause 0x1
	flat_load_ushort v1, v[91:92]
	flat_load_ushort v91, v[93:94]
	s_waitcnt vmcnt(0) lgkmcnt(0)
	v_cmp_lt_u16_e64 s8, v1, v91
	v_cndmask_b32_e64 v243, v48, v243, s8
	s_branch .LBB872_2293
.LBB872_2430:
	s_or_b32 exec_lo, exec_lo, s57
.LBB872_2431:
	s_or_b32 exec_lo, exec_lo, s12
	s_barrier
	buffer_gl0_inv
	ds_write_b16 v39, v99
	ds_write_b16 v115, v102
	ds_write_b16 v116, v101
	ds_write_b16 v117, v100
	ds_write_b16 v118, v98
	ds_write_b16 v119, v97
	ds_write_b16 v128, v96
	ds_write_b16 v129, v87
	ds_write_b16 v130, v86
	ds_write_b16 v131, v85
	ds_write_b16 v132, v84
	ds_write_b16 v133, v83
	ds_write_b16 v134, v82
	ds_write_b16 v135, v81
	ds_write_b16 v144, v80
	ds_write_b16 v145, v71
	ds_write_b16 v146, v70
	ds_write_b16 v147, v69
	ds_write_b16 v148, v68
	ds_write_b16 v149, v67
	ds_write_b16 v150, v66
	ds_write_b16 v151, v65
	ds_write_b16 v160, v55
	ds_write_b16 v161, v54
	ds_write_b16 v162, v53
	ds_write_b16 v163, v64
	ds_write_b16 v164, v52
	ds_write_b16 v165, v51
	ds_write_b16 v166, v50
	ds_write_b16 v167, v49
	ds_write_b16 v176, v103
	ds_write_b16 v177, v48
	s_waitcnt lgkmcnt(0)
	s_barrier
	buffer_gl0_inv
	ds_read_u16 v70, v113
	ds_read_u16 v69, v114
	;; [unrolled: 1-line block ×31, first 2 shown]
	v_add_co_u32 v0, s8, v4, v10
	v_mov_b32_e32 v9, 0
	v_add_co_ci_u32_e64 v1, null, 0, v5, s8
	s_and_saveexec_b32 s8, vcc_lo
	s_cbranch_execz .LBB872_2464
; %bb.2432:
	ds_read_u16 v3, v3
	s_waitcnt lgkmcnt(0)
	flat_store_short v[0:1], v3
	s_or_b32 exec_lo, exec_lo, s8
	s_and_saveexec_b32 s8, s4
	s_cbranch_execnz .LBB872_2465
.LBB872_2433:
	s_or_b32 exec_lo, exec_lo, s8
	s_and_saveexec_b32 s4, s5
	s_cbranch_execz .LBB872_2466
.LBB872_2434:
	s_waitcnt lgkmcnt(29)
	flat_store_short v[0:1], v69 offset:1024
	s_or_b32 exec_lo, exec_lo, s4
	s_and_saveexec_b32 s4, s6
	s_cbranch_execnz .LBB872_2467
.LBB872_2435:
	s_or_b32 exec_lo, exec_lo, s4
	s_and_saveexec_b32 s4, s7
	s_cbranch_execz .LBB872_2468
.LBB872_2436:
	v_add_co_u32 v23, vcc_lo, 0x800, v0
	v_add_co_ci_u32_e64 v24, null, 0, v1, vcc_lo
	s_waitcnt lgkmcnt(27)
	flat_store_short v[23:24], v67
	s_or_b32 exec_lo, exec_lo, s4
	s_and_saveexec_b32 s4, s10
	s_cbranch_execnz .LBB872_2469
.LBB872_2437:
	s_or_b32 exec_lo, exec_lo, s4
	s_and_saveexec_b32 s4, s11
	s_cbranch_execz .LBB872_2470
.LBB872_2438:
	v_add_co_u32 v23, vcc_lo, 0x800, v0
	v_add_co_ci_u32_e64 v24, null, 0, v1, vcc_lo
	s_waitcnt lgkmcnt(25)
	flat_store_short v[23:24], v65 offset:1024
	s_or_b32 exec_lo, exec_lo, s4
	s_and_saveexec_b32 s4, s47
	s_cbranch_execnz .LBB872_2471
.LBB872_2439:
	s_or_b32 exec_lo, exec_lo, s4
	s_and_saveexec_b32 s4, s56
	s_cbranch_execz .LBB872_2472
.LBB872_2440:
	v_add_co_u32 v23, vcc_lo, 0x1000, v0
	v_add_co_ci_u32_e64 v24, null, 0, v1, vcc_lo
	s_waitcnt lgkmcnt(23)
	flat_store_short v[23:24], v55
	s_or_b32 exec_lo, exec_lo, s4
	s_and_saveexec_b32 s4, s14
	s_cbranch_execnz .LBB872_2473
.LBB872_2441:
	s_or_b32 exec_lo, exec_lo, s4
	s_and_saveexec_b32 s4, s15
	s_cbranch_execz .LBB872_2474
.LBB872_2442:
	v_add_co_u32 v23, vcc_lo, 0x1000, v0
	v_add_co_ci_u32_e64 v24, null, 0, v1, vcc_lo
	s_waitcnt lgkmcnt(21)
	flat_store_short v[23:24], v53 offset:1024
	s_or_b32 exec_lo, exec_lo, s4
	s_and_saveexec_b32 s4, s16
	s_cbranch_execnz .LBB872_2475
.LBB872_2443:
	s_or_b32 exec_lo, exec_lo, s4
	s_and_saveexec_b32 s4, s17
	s_cbranch_execz .LBB872_2476
.LBB872_2444:
	v_add_co_u32 v23, vcc_lo, 0x1800, v0
	v_add_co_ci_u32_e64 v24, null, 0, v1, vcc_lo
	s_waitcnt lgkmcnt(19)
	flat_store_short v[23:24], v50
	s_or_b32 exec_lo, exec_lo, s4
	s_and_saveexec_b32 s4, s18
	s_cbranch_execnz .LBB872_2477
.LBB872_2445:
	s_or_b32 exec_lo, exec_lo, s4
	s_and_saveexec_b32 s4, s19
	s_cbranch_execz .LBB872_2478
.LBB872_2446:
	v_add_co_u32 v23, vcc_lo, 0x1800, v0
	v_add_co_ci_u32_e64 v24, null, 0, v1, vcc_lo
	s_waitcnt lgkmcnt(17)
	flat_store_short v[23:24], v48 offset:1024
	s_or_b32 exec_lo, exec_lo, s4
	s_and_saveexec_b32 s4, s20
	s_cbranch_execnz .LBB872_2479
.LBB872_2447:
	s_or_b32 exec_lo, exec_lo, s4
	s_and_saveexec_b32 s4, s21
	s_cbranch_execz .LBB872_2480
.LBB872_2448:
	v_add_co_u32 v23, vcc_lo, 0x2000, v0
	v_add_co_ci_u32_e64 v24, null, 0, v1, vcc_lo
	s_waitcnt lgkmcnt(15)
	flat_store_short v[23:24], v22
	s_or_b32 exec_lo, exec_lo, s4
	s_and_saveexec_b32 s4, s22
	s_cbranch_execnz .LBB872_2481
.LBB872_2449:
	s_or_b32 exec_lo, exec_lo, s4
	s_and_saveexec_b32 s4, s23
	s_cbranch_execz .LBB872_2482
.LBB872_2450:
	s_waitcnt lgkmcnt(14)
	v_add_co_u32 v21, vcc_lo, 0x2000, v0
	v_add_co_ci_u32_e64 v22, null, 0, v1, vcc_lo
	s_waitcnt lgkmcnt(13)
	flat_store_short v[21:22], v20 offset:1024
	s_or_b32 exec_lo, exec_lo, s4
	s_and_saveexec_b32 s4, s24
	s_cbranch_execnz .LBB872_2483
.LBB872_2451:
	s_or_b32 exec_lo, exec_lo, s4
	s_and_saveexec_b32 s4, s25
	s_cbranch_execz .LBB872_2484
.LBB872_2452:
	s_waitcnt lgkmcnt(12)
	v_add_co_u32 v19, vcc_lo, 0x2800, v0
	v_add_co_ci_u32_e64 v20, null, 0, v1, vcc_lo
	s_waitcnt lgkmcnt(11)
	flat_store_short v[19:20], v18
	s_or_b32 exec_lo, exec_lo, s4
	s_and_saveexec_b32 s4, s26
	s_cbranch_execnz .LBB872_2485
.LBB872_2453:
	s_or_b32 exec_lo, exec_lo, s4
	s_and_saveexec_b32 s4, s27
	s_cbranch_execz .LBB872_2486
.LBB872_2454:
	s_waitcnt lgkmcnt(10)
	v_add_co_u32 v17, vcc_lo, 0x2800, v0
	v_add_co_ci_u32_e64 v18, null, 0, v1, vcc_lo
	s_waitcnt lgkmcnt(9)
	flat_store_short v[17:18], v16 offset:1024
	s_or_b32 exec_lo, exec_lo, s4
	s_and_saveexec_b32 s4, s28
	s_cbranch_execnz .LBB872_2487
.LBB872_2455:
	s_or_b32 exec_lo, exec_lo, s4
	s_and_saveexec_b32 s4, s29
	s_cbranch_execz .LBB872_2488
.LBB872_2456:
	s_waitcnt lgkmcnt(8)
	v_add_co_u32 v15, vcc_lo, 0x3000, v0
	v_add_co_ci_u32_e64 v16, null, 0, v1, vcc_lo
	s_waitcnt lgkmcnt(7)
	flat_store_short v[15:16], v14
	s_or_b32 exec_lo, exec_lo, s4
	s_and_saveexec_b32 s4, s40
	s_cbranch_execnz .LBB872_2489
.LBB872_2457:
	s_or_b32 exec_lo, exec_lo, s4
	s_and_saveexec_b32 s4, s41
	s_cbranch_execz .LBB872_2490
.LBB872_2458:
	s_waitcnt lgkmcnt(6)
	v_add_co_u32 v13, vcc_lo, 0x3000, v0
	v_add_co_ci_u32_e64 v14, null, 0, v1, vcc_lo
	s_waitcnt lgkmcnt(5)
	flat_store_short v[13:14], v12 offset:1024
	s_or_b32 exec_lo, exec_lo, s4
	s_and_saveexec_b32 s4, s42
	s_cbranch_execnz .LBB872_2491
.LBB872_2459:
	s_or_b32 exec_lo, exec_lo, s4
	s_and_saveexec_b32 s4, s43
	s_cbranch_execz .LBB872_2492
.LBB872_2460:
	v_add_co_u32 v10, vcc_lo, 0x3800, v0
	s_waitcnt lgkmcnt(4)
	v_add_co_ci_u32_e64 v11, null, 0, v1, vcc_lo
	s_waitcnt lgkmcnt(3)
	flat_store_short v[10:11], v7
	s_or_b32 exec_lo, exec_lo, s4
	s_and_saveexec_b32 s4, s44
	s_cbranch_execnz .LBB872_2493
.LBB872_2461:
	s_or_b32 exec_lo, exec_lo, s4
	s_and_saveexec_b32 s4, s45
	s_cbranch_execz .LBB872_2463
.LBB872_2462:
	v_add_co_u32 v0, vcc_lo, 0x3800, v0
	v_add_co_ci_u32_e64 v1, null, 0, v1, vcc_lo
	s_waitcnt lgkmcnt(1)
	flat_store_short v[0:1], v2 offset:1024
.LBB872_2463:
	s_or_b32 exec_lo, exec_lo, s4
	s_andn2_b32 s4, s36, exec_lo
	s_and_b32 s5, s46, exec_lo
	s_or_b32 s36, s4, s5
	s_or_b32 exec_lo, exec_lo, s37
	s_and_saveexec_b32 s4, s36
	s_cbranch_execnz .LBB872_769
	s_branch .LBB872_770
.LBB872_2464:
	s_or_b32 exec_lo, exec_lo, s8
	s_and_saveexec_b32 s8, s4
	s_cbranch_execz .LBB872_2433
.LBB872_2465:
	s_waitcnt lgkmcnt(30)
	flat_store_short v[0:1], v70 offset:512
	s_or_b32 exec_lo, exec_lo, s8
	s_and_saveexec_b32 s4, s5
	s_cbranch_execnz .LBB872_2434
.LBB872_2466:
	s_or_b32 exec_lo, exec_lo, s4
	s_and_saveexec_b32 s4, s6
	s_cbranch_execz .LBB872_2435
.LBB872_2467:
	s_waitcnt lgkmcnt(28)
	flat_store_short v[0:1], v68 offset:1536
	s_or_b32 exec_lo, exec_lo, s4
	s_and_saveexec_b32 s4, s7
	s_cbranch_execnz .LBB872_2436
.LBB872_2468:
	s_or_b32 exec_lo, exec_lo, s4
	s_and_saveexec_b32 s4, s10
	s_cbranch_execz .LBB872_2437
.LBB872_2469:
	v_add_co_u32 v23, vcc_lo, 0x800, v0
	v_add_co_ci_u32_e64 v24, null, 0, v1, vcc_lo
	s_waitcnt lgkmcnt(26)
	flat_store_short v[23:24], v66 offset:512
	s_or_b32 exec_lo, exec_lo, s4
	s_and_saveexec_b32 s4, s11
	s_cbranch_execnz .LBB872_2438
.LBB872_2470:
	s_or_b32 exec_lo, exec_lo, s4
	s_and_saveexec_b32 s4, s47
	s_cbranch_execz .LBB872_2439
.LBB872_2471:
	v_add_co_u32 v23, vcc_lo, 0x800, v0
	v_add_co_ci_u32_e64 v24, null, 0, v1, vcc_lo
	s_waitcnt lgkmcnt(24)
	flat_store_short v[23:24], v64 offset:1536
	s_or_b32 exec_lo, exec_lo, s4
	s_and_saveexec_b32 s4, s56
	s_cbranch_execnz .LBB872_2440
.LBB872_2472:
	s_or_b32 exec_lo, exec_lo, s4
	s_and_saveexec_b32 s4, s14
	s_cbranch_execz .LBB872_2441
.LBB872_2473:
	v_add_co_u32 v23, vcc_lo, 0x1000, v0
	v_add_co_ci_u32_e64 v24, null, 0, v1, vcc_lo
	s_waitcnt lgkmcnt(22)
	flat_store_short v[23:24], v54 offset:512
	s_or_b32 exec_lo, exec_lo, s4
	s_and_saveexec_b32 s4, s15
	s_cbranch_execnz .LBB872_2442
.LBB872_2474:
	s_or_b32 exec_lo, exec_lo, s4
	s_and_saveexec_b32 s4, s16
	s_cbranch_execz .LBB872_2443
.LBB872_2475:
	v_add_co_u32 v23, vcc_lo, 0x1000, v0
	v_add_co_ci_u32_e64 v24, null, 0, v1, vcc_lo
	s_waitcnt lgkmcnt(20)
	flat_store_short v[23:24], v51 offset:1536
	s_or_b32 exec_lo, exec_lo, s4
	s_and_saveexec_b32 s4, s17
	s_cbranch_execnz .LBB872_2444
.LBB872_2476:
	s_or_b32 exec_lo, exec_lo, s4
	s_and_saveexec_b32 s4, s18
	s_cbranch_execz .LBB872_2445
.LBB872_2477:
	v_add_co_u32 v23, vcc_lo, 0x1800, v0
	v_add_co_ci_u32_e64 v24, null, 0, v1, vcc_lo
	s_waitcnt lgkmcnt(18)
	flat_store_short v[23:24], v49 offset:512
	s_or_b32 exec_lo, exec_lo, s4
	s_and_saveexec_b32 s4, s19
	s_cbranch_execnz .LBB872_2446
.LBB872_2478:
	s_or_b32 exec_lo, exec_lo, s4
	s_and_saveexec_b32 s4, s20
	s_cbranch_execz .LBB872_2447
.LBB872_2479:
	v_add_co_u32 v23, vcc_lo, 0x1800, v0
	v_add_co_ci_u32_e64 v24, null, 0, v1, vcc_lo
	s_waitcnt lgkmcnt(16)
	flat_store_short v[23:24], v39 offset:1536
	s_or_b32 exec_lo, exec_lo, s4
	s_and_saveexec_b32 s4, s21
	s_cbranch_execnz .LBB872_2448
.LBB872_2480:
	s_or_b32 exec_lo, exec_lo, s4
	s_and_saveexec_b32 s4, s22
	s_cbranch_execz .LBB872_2449
.LBB872_2481:
	s_waitcnt lgkmcnt(15)
	v_add_co_u32 v22, vcc_lo, 0x2000, v0
	v_add_co_ci_u32_e64 v23, null, 0, v1, vcc_lo
	s_waitcnt lgkmcnt(14)
	flat_store_short v[22:23], v21 offset:512
	s_or_b32 exec_lo, exec_lo, s4
	s_and_saveexec_b32 s4, s23
	s_cbranch_execnz .LBB872_2450
.LBB872_2482:
	s_or_b32 exec_lo, exec_lo, s4
	s_and_saveexec_b32 s4, s24
	s_cbranch_execz .LBB872_2451
.LBB872_2483:
	s_waitcnt lgkmcnt(13)
	v_add_co_u32 v20, vcc_lo, 0x2000, v0
	v_add_co_ci_u32_e64 v21, null, 0, v1, vcc_lo
	s_waitcnt lgkmcnt(12)
	flat_store_short v[20:21], v19 offset:1536
	s_or_b32 exec_lo, exec_lo, s4
	s_and_saveexec_b32 s4, s25
	s_cbranch_execnz .LBB872_2452
.LBB872_2484:
	s_or_b32 exec_lo, exec_lo, s4
	s_and_saveexec_b32 s4, s26
	s_cbranch_execz .LBB872_2453
.LBB872_2485:
	s_waitcnt lgkmcnt(11)
	v_add_co_u32 v18, vcc_lo, 0x2800, v0
	v_add_co_ci_u32_e64 v19, null, 0, v1, vcc_lo
	s_waitcnt lgkmcnt(10)
	flat_store_short v[18:19], v17 offset:512
	s_or_b32 exec_lo, exec_lo, s4
	s_and_saveexec_b32 s4, s27
	s_cbranch_execnz .LBB872_2454
.LBB872_2486:
	s_or_b32 exec_lo, exec_lo, s4
	s_and_saveexec_b32 s4, s28
	s_cbranch_execz .LBB872_2455
.LBB872_2487:
	s_waitcnt lgkmcnt(9)
	v_add_co_u32 v16, vcc_lo, 0x2800, v0
	v_add_co_ci_u32_e64 v17, null, 0, v1, vcc_lo
	s_waitcnt lgkmcnt(8)
	flat_store_short v[16:17], v15 offset:1536
	s_or_b32 exec_lo, exec_lo, s4
	s_and_saveexec_b32 s4, s29
	s_cbranch_execnz .LBB872_2456
.LBB872_2488:
	s_or_b32 exec_lo, exec_lo, s4
	s_and_saveexec_b32 s4, s40
	s_cbranch_execz .LBB872_2457
.LBB872_2489:
	s_waitcnt lgkmcnt(7)
	v_add_co_u32 v14, vcc_lo, 0x3000, v0
	v_add_co_ci_u32_e64 v15, null, 0, v1, vcc_lo
	s_waitcnt lgkmcnt(6)
	flat_store_short v[14:15], v13 offset:512
	s_or_b32 exec_lo, exec_lo, s4
	s_and_saveexec_b32 s4, s41
	s_cbranch_execnz .LBB872_2458
.LBB872_2490:
	s_or_b32 exec_lo, exec_lo, s4
	s_and_saveexec_b32 s4, s42
	s_cbranch_execz .LBB872_2459
.LBB872_2491:
	s_waitcnt lgkmcnt(5)
	v_add_co_u32 v12, vcc_lo, 0x3000, v0
	v_add_co_ci_u32_e64 v13, null, 0, v1, vcc_lo
	s_waitcnt lgkmcnt(4)
	flat_store_short v[12:13], v11 offset:1536
	s_or_b32 exec_lo, exec_lo, s4
	s_and_saveexec_b32 s4, s43
	s_cbranch_execnz .LBB872_2460
.LBB872_2492:
	s_or_b32 exec_lo, exec_lo, s4
	s_and_saveexec_b32 s4, s44
	s_cbranch_execz .LBB872_2461
.LBB872_2493:
	v_add_co_u32 v10, vcc_lo, 0x3800, v0
	s_waitcnt lgkmcnt(4)
	v_add_co_ci_u32_e64 v11, null, 0, v1, vcc_lo
	s_waitcnt lgkmcnt(2)
	flat_store_short v[10:11], v6 offset:512
	s_or_b32 exec_lo, exec_lo, s4
	s_and_saveexec_b32 s4, s45
	s_cbranch_execnz .LBB872_2462
	s_branch .LBB872_2463
.Lfunc_end872:
	.size	_ZN7rocprim17ROCPRIM_400000_NS6detail15block_sort_implItNS0_10empty_typeELj256ELj32ELNS0_4arch9wavefront6targetE0EvE4sortIN6thrust23THRUST_200600_302600_NS6detail15normal_iteratorINSA_10device_ptrItEEEESF_PS3_SG_9comp_mod3ItEEEvjbT_T0_T1_T2_T3_RNS7_12storage_typeE, .Lfunc_end872-_ZN7rocprim17ROCPRIM_400000_NS6detail15block_sort_implItNS0_10empty_typeELj256ELj32ELNS0_4arch9wavefront6targetE0EvE4sortIN6thrust23THRUST_200600_302600_NS6detail15normal_iteratorINSA_10device_ptrItEEEESF_PS3_SG_9comp_mod3ItEEEvjbT_T0_T1_T2_T3_RNS7_12storage_typeE
                                        ; -- End function
	.set .L_ZN7rocprim17ROCPRIM_400000_NS6detail15block_sort_implItNS0_10empty_typeELj256ELj32ELNS0_4arch9wavefront6targetE0EvE4sortIN6thrust23THRUST_200600_302600_NS6detail15normal_iteratorINSA_10device_ptrItEEEESF_PS3_SG_9comp_mod3ItEEEvjbT_T0_T1_T2_T3_RNS7_12storage_typeE.num_vgpr, 248
	.set .L_ZN7rocprim17ROCPRIM_400000_NS6detail15block_sort_implItNS0_10empty_typeELj256ELj32ELNS0_4arch9wavefront6targetE0EvE4sortIN6thrust23THRUST_200600_302600_NS6detail15normal_iteratorINSA_10device_ptrItEEEESF_PS3_SG_9comp_mod3ItEEEvjbT_T0_T1_T2_T3_RNS7_12storage_typeE.num_agpr, 0
	.set .L_ZN7rocprim17ROCPRIM_400000_NS6detail15block_sort_implItNS0_10empty_typeELj256ELj32ELNS0_4arch9wavefront6targetE0EvE4sortIN6thrust23THRUST_200600_302600_NS6detail15normal_iteratorINSA_10device_ptrItEEEESF_PS3_SG_9comp_mod3ItEEEvjbT_T0_T1_T2_T3_RNS7_12storage_typeE.numbered_sgpr, 96
	.set .L_ZN7rocprim17ROCPRIM_400000_NS6detail15block_sort_implItNS0_10empty_typeELj256ELj32ELNS0_4arch9wavefront6targetE0EvE4sortIN6thrust23THRUST_200600_302600_NS6detail15normal_iteratorINSA_10device_ptrItEEEESF_PS3_SG_9comp_mod3ItEEEvjbT_T0_T1_T2_T3_RNS7_12storage_typeE.num_named_barrier, 0
	.set .L_ZN7rocprim17ROCPRIM_400000_NS6detail15block_sort_implItNS0_10empty_typeELj256ELj32ELNS0_4arch9wavefront6targetE0EvE4sortIN6thrust23THRUST_200600_302600_NS6detail15normal_iteratorINSA_10device_ptrItEEEESF_PS3_SG_9comp_mod3ItEEEvjbT_T0_T1_T2_T3_RNS7_12storage_typeE.private_seg_size, 144
	.set .L_ZN7rocprim17ROCPRIM_400000_NS6detail15block_sort_implItNS0_10empty_typeELj256ELj32ELNS0_4arch9wavefront6targetE0EvE4sortIN6thrust23THRUST_200600_302600_NS6detail15normal_iteratorINSA_10device_ptrItEEEESF_PS3_SG_9comp_mod3ItEEEvjbT_T0_T1_T2_T3_RNS7_12storage_typeE.uses_vcc, 1
	.set .L_ZN7rocprim17ROCPRIM_400000_NS6detail15block_sort_implItNS0_10empty_typeELj256ELj32ELNS0_4arch9wavefront6targetE0EvE4sortIN6thrust23THRUST_200600_302600_NS6detail15normal_iteratorINSA_10device_ptrItEEEESF_PS3_SG_9comp_mod3ItEEEvjbT_T0_T1_T2_T3_RNS7_12storage_typeE.uses_flat_scratch, 1
	.set .L_ZN7rocprim17ROCPRIM_400000_NS6detail15block_sort_implItNS0_10empty_typeELj256ELj32ELNS0_4arch9wavefront6targetE0EvE4sortIN6thrust23THRUST_200600_302600_NS6detail15normal_iteratorINSA_10device_ptrItEEEESF_PS3_SG_9comp_mod3ItEEEvjbT_T0_T1_T2_T3_RNS7_12storage_typeE.has_dyn_sized_stack, 0
	.set .L_ZN7rocprim17ROCPRIM_400000_NS6detail15block_sort_implItNS0_10empty_typeELj256ELj32ELNS0_4arch9wavefront6targetE0EvE4sortIN6thrust23THRUST_200600_302600_NS6detail15normal_iteratorINSA_10device_ptrItEEEESF_PS3_SG_9comp_mod3ItEEEvjbT_T0_T1_T2_T3_RNS7_12storage_typeE.has_recursion, 0
	.set .L_ZN7rocprim17ROCPRIM_400000_NS6detail15block_sort_implItNS0_10empty_typeELj256ELj32ELNS0_4arch9wavefront6targetE0EvE4sortIN6thrust23THRUST_200600_302600_NS6detail15normal_iteratorINSA_10device_ptrItEEEESF_PS3_SG_9comp_mod3ItEEEvjbT_T0_T1_T2_T3_RNS7_12storage_typeE.has_indirect_call, 0
	.section	.AMDGPU.csdata,"",@progbits
; Function info:
; codeLenInByte = 196908
; TotalNumSgprs: 98
; NumVgprs: 248
; ScratchSize: 144
; MemoryBound: 0
	.section	.text._ZN7rocprim17ROCPRIM_400000_NS6detail17trampoline_kernelINS0_14default_configENS1_37merge_sort_block_sort_config_selectorItNS0_10empty_typeEEEZNS1_21merge_sort_block_sortIS3_N6thrust23THRUST_200600_302600_NS6detail15normal_iteratorINS9_10device_ptrItEEEESE_PS5_SF_9comp_mod3ItEEE10hipError_tT0_T1_T2_T3_mRjT4_P12ihipStream_tbNS1_7vsmem_tEEUlT_E_NS1_11comp_targetILNS1_3genE8ELNS1_11target_archE1030ELNS1_3gpuE2ELNS1_3repE0EEENS1_30default_config_static_selectorELNS0_4arch9wavefront6targetE0EEEvSK_,"axG",@progbits,_ZN7rocprim17ROCPRIM_400000_NS6detail17trampoline_kernelINS0_14default_configENS1_37merge_sort_block_sort_config_selectorItNS0_10empty_typeEEEZNS1_21merge_sort_block_sortIS3_N6thrust23THRUST_200600_302600_NS6detail15normal_iteratorINS9_10device_ptrItEEEESE_PS5_SF_9comp_mod3ItEEE10hipError_tT0_T1_T2_T3_mRjT4_P12ihipStream_tbNS1_7vsmem_tEEUlT_E_NS1_11comp_targetILNS1_3genE8ELNS1_11target_archE1030ELNS1_3gpuE2ELNS1_3repE0EEENS1_30default_config_static_selectorELNS0_4arch9wavefront6targetE0EEEvSK_,comdat
	.protected	_ZN7rocprim17ROCPRIM_400000_NS6detail17trampoline_kernelINS0_14default_configENS1_37merge_sort_block_sort_config_selectorItNS0_10empty_typeEEEZNS1_21merge_sort_block_sortIS3_N6thrust23THRUST_200600_302600_NS6detail15normal_iteratorINS9_10device_ptrItEEEESE_PS5_SF_9comp_mod3ItEEE10hipError_tT0_T1_T2_T3_mRjT4_P12ihipStream_tbNS1_7vsmem_tEEUlT_E_NS1_11comp_targetILNS1_3genE8ELNS1_11target_archE1030ELNS1_3gpuE2ELNS1_3repE0EEENS1_30default_config_static_selectorELNS0_4arch9wavefront6targetE0EEEvSK_ ; -- Begin function _ZN7rocprim17ROCPRIM_400000_NS6detail17trampoline_kernelINS0_14default_configENS1_37merge_sort_block_sort_config_selectorItNS0_10empty_typeEEEZNS1_21merge_sort_block_sortIS3_N6thrust23THRUST_200600_302600_NS6detail15normal_iteratorINS9_10device_ptrItEEEESE_PS5_SF_9comp_mod3ItEEE10hipError_tT0_T1_T2_T3_mRjT4_P12ihipStream_tbNS1_7vsmem_tEEUlT_E_NS1_11comp_targetILNS1_3genE8ELNS1_11target_archE1030ELNS1_3gpuE2ELNS1_3repE0EEENS1_30default_config_static_selectorELNS0_4arch9wavefront6targetE0EEEvSK_
	.globl	_ZN7rocprim17ROCPRIM_400000_NS6detail17trampoline_kernelINS0_14default_configENS1_37merge_sort_block_sort_config_selectorItNS0_10empty_typeEEEZNS1_21merge_sort_block_sortIS3_N6thrust23THRUST_200600_302600_NS6detail15normal_iteratorINS9_10device_ptrItEEEESE_PS5_SF_9comp_mod3ItEEE10hipError_tT0_T1_T2_T3_mRjT4_P12ihipStream_tbNS1_7vsmem_tEEUlT_E_NS1_11comp_targetILNS1_3genE8ELNS1_11target_archE1030ELNS1_3gpuE2ELNS1_3repE0EEENS1_30default_config_static_selectorELNS0_4arch9wavefront6targetE0EEEvSK_
	.p2align	8
	.type	_ZN7rocprim17ROCPRIM_400000_NS6detail17trampoline_kernelINS0_14default_configENS1_37merge_sort_block_sort_config_selectorItNS0_10empty_typeEEEZNS1_21merge_sort_block_sortIS3_N6thrust23THRUST_200600_302600_NS6detail15normal_iteratorINS9_10device_ptrItEEEESE_PS5_SF_9comp_mod3ItEEE10hipError_tT0_T1_T2_T3_mRjT4_P12ihipStream_tbNS1_7vsmem_tEEUlT_E_NS1_11comp_targetILNS1_3genE8ELNS1_11target_archE1030ELNS1_3gpuE2ELNS1_3repE0EEENS1_30default_config_static_selectorELNS0_4arch9wavefront6targetE0EEEvSK_,@function
_ZN7rocprim17ROCPRIM_400000_NS6detail17trampoline_kernelINS0_14default_configENS1_37merge_sort_block_sort_config_selectorItNS0_10empty_typeEEEZNS1_21merge_sort_block_sortIS3_N6thrust23THRUST_200600_302600_NS6detail15normal_iteratorINS9_10device_ptrItEEEESE_PS5_SF_9comp_mod3ItEEE10hipError_tT0_T1_T2_T3_mRjT4_P12ihipStream_tbNS1_7vsmem_tEEUlT_E_NS1_11comp_targetILNS1_3genE8ELNS1_11target_archE1030ELNS1_3gpuE2ELNS1_3repE0EEENS1_30default_config_static_selectorELNS0_4arch9wavefront6targetE0EEEvSK_: ; @_ZN7rocprim17ROCPRIM_400000_NS6detail17trampoline_kernelINS0_14default_configENS1_37merge_sort_block_sort_config_selectorItNS0_10empty_typeEEEZNS1_21merge_sort_block_sortIS3_N6thrust23THRUST_200600_302600_NS6detail15normal_iteratorINS9_10device_ptrItEEEESE_PS5_SF_9comp_mod3ItEEE10hipError_tT0_T1_T2_T3_mRjT4_P12ihipStream_tbNS1_7vsmem_tEEUlT_E_NS1_11comp_targetILNS1_3genE8ELNS1_11target_archE1030ELNS1_3gpuE2ELNS1_3repE0EEENS1_30default_config_static_selectorELNS0_4arch9wavefront6targetE0EEEvSK_
; %bb.0:
	s_add_u32 s0, s0, s9
	s_clause 0x1
	s_load_dwordx2 s[10:11], s[4:5], 0x40
	s_load_dword s9, s[4:5], 0x0
	s_addc_u32 s1, s1, 0
	s_mov_b32 s32, 0
	s_waitcnt lgkmcnt(0)
	s_mul_i32 s8, s11, s8
	s_add_i32 s8, s8, s7
	s_mul_i32 s8, s8, s10
	s_add_i32 s8, s8, s6
	s_cmp_ge_u32 s8, s9
	s_cbranch_scc1 .LBB873_2
; %bb.1:
	s_clause 0x2
	s_load_dwordx2 s[16:17], s[4:5], 0x8
	s_load_dwordx4 s[12:15], s[4:5], 0x18
	s_load_dwordx2 s[18:19], s[4:5], 0x38
	s_mov_b64 s[10:11], src_shared_base
	s_lshl_b32 s10, s8, 13
	s_mov_b32 s9, 0
	v_lshlrev_b32_e32 v2, 20, v2
	v_lshlrev_b32_e32 v1, 10, v1
	v_mov_b32_e32 v8, 0
	v_mov_b32_e32 v9, s11
	v_or3_b32 v31, v0, v1, v2
	s_waitcnt lgkmcnt(0)
	s_lshr_b64 s[20:21], s[16:17], 13
	s_sub_i32 s10, s16, s10
	s_cmp_eq_u64 s[20:21], s[8:9]
	v_mov_b32_e32 v6, s18
	s_cselect_b32 s16, -1, 0
	s_lshl_b64 s[8:9], s[8:9], 14
	v_cndmask_b32_e64 v1, 0, 1, s16
	s_add_u32 s12, s12, s8
	s_addc_u32 s13, s13, s9
	s_add_u32 s14, s14, s8
	s_addc_u32 s15, s15, s9
	v_mov_b32_e32 v7, s19
	v_mov_b32_e32 v0, s10
	;; [unrolled: 1-line block ×6, first 2 shown]
	s_add_u32 s8, s4, 64
	s_addc_u32 s9, s5, 0
	s_getpc_b64 s[4:5]
	s_add_u32 s4, s4, _ZN7rocprim17ROCPRIM_400000_NS6detail15block_sort_implItNS0_10empty_typeELj256ELj32ELNS0_4arch9wavefront6targetE0EvE4sortIN6thrust23THRUST_200600_302600_NS6detail15normal_iteratorINSA_10device_ptrItEEEESF_PS3_SG_9comp_mod3ItEEEvjbT_T0_T1_T2_T3_RNS7_12storage_typeE@rel32@lo+4
	s_addc_u32 s5, s5, _ZN7rocprim17ROCPRIM_400000_NS6detail15block_sort_implItNS0_10empty_typeELj256ELj32ELNS0_4arch9wavefront6targetE0EvE4sortIN6thrust23THRUST_200600_302600_NS6detail15normal_iteratorINSA_10device_ptrItEEEESF_PS3_SG_9comp_mod3ItEEEvjbT_T0_T1_T2_T3_RNS7_12storage_typeE@rel32@hi+12
	s_mov_b32 s12, s6
	s_mov_b32 s13, s7
	s_swappc_b64 s[30:31], s[4:5]
.LBB873_2:
	s_endpgm
	.section	.rodata,"a",@progbits
	.p2align	6, 0x0
	.amdhsa_kernel _ZN7rocprim17ROCPRIM_400000_NS6detail17trampoline_kernelINS0_14default_configENS1_37merge_sort_block_sort_config_selectorItNS0_10empty_typeEEEZNS1_21merge_sort_block_sortIS3_N6thrust23THRUST_200600_302600_NS6detail15normal_iteratorINS9_10device_ptrItEEEESE_PS5_SF_9comp_mod3ItEEE10hipError_tT0_T1_T2_T3_mRjT4_P12ihipStream_tbNS1_7vsmem_tEEUlT_E_NS1_11comp_targetILNS1_3genE8ELNS1_11target_archE1030ELNS1_3gpuE2ELNS1_3repE0EEENS1_30default_config_static_selectorELNS0_4arch9wavefront6targetE0EEEvSK_
		.amdhsa_group_segment_fixed_size 16896
		.amdhsa_private_segment_fixed_size 144
		.amdhsa_kernarg_size 320
		.amdhsa_user_sgpr_count 6
		.amdhsa_user_sgpr_private_segment_buffer 1
		.amdhsa_user_sgpr_dispatch_ptr 0
		.amdhsa_user_sgpr_queue_ptr 0
		.amdhsa_user_sgpr_kernarg_segment_ptr 1
		.amdhsa_user_sgpr_dispatch_id 0
		.amdhsa_user_sgpr_flat_scratch_init 0
		.amdhsa_user_sgpr_private_segment_size 0
		.amdhsa_wavefront_size32 1
		.amdhsa_uses_dynamic_stack 0
		.amdhsa_system_sgpr_private_segment_wavefront_offset 1
		.amdhsa_system_sgpr_workgroup_id_x 1
		.amdhsa_system_sgpr_workgroup_id_y 1
		.amdhsa_system_sgpr_workgroup_id_z 1
		.amdhsa_system_sgpr_workgroup_info 0
		.amdhsa_system_vgpr_workitem_id 2
		.amdhsa_next_free_vgpr 248
		.amdhsa_next_free_sgpr 96
		.amdhsa_reserve_vcc 1
		.amdhsa_reserve_flat_scratch 1
		.amdhsa_float_round_mode_32 0
		.amdhsa_float_round_mode_16_64 0
		.amdhsa_float_denorm_mode_32 3
		.amdhsa_float_denorm_mode_16_64 3
		.amdhsa_dx10_clamp 1
		.amdhsa_ieee_mode 1
		.amdhsa_fp16_overflow 0
		.amdhsa_workgroup_processor_mode 1
		.amdhsa_memory_ordered 1
		.amdhsa_forward_progress 1
		.amdhsa_shared_vgpr_count 0
		.amdhsa_exception_fp_ieee_invalid_op 0
		.amdhsa_exception_fp_denorm_src 0
		.amdhsa_exception_fp_ieee_div_zero 0
		.amdhsa_exception_fp_ieee_overflow 0
		.amdhsa_exception_fp_ieee_underflow 0
		.amdhsa_exception_fp_ieee_inexact 0
		.amdhsa_exception_int_div_zero 0
	.end_amdhsa_kernel
	.section	.text._ZN7rocprim17ROCPRIM_400000_NS6detail17trampoline_kernelINS0_14default_configENS1_37merge_sort_block_sort_config_selectorItNS0_10empty_typeEEEZNS1_21merge_sort_block_sortIS3_N6thrust23THRUST_200600_302600_NS6detail15normal_iteratorINS9_10device_ptrItEEEESE_PS5_SF_9comp_mod3ItEEE10hipError_tT0_T1_T2_T3_mRjT4_P12ihipStream_tbNS1_7vsmem_tEEUlT_E_NS1_11comp_targetILNS1_3genE8ELNS1_11target_archE1030ELNS1_3gpuE2ELNS1_3repE0EEENS1_30default_config_static_selectorELNS0_4arch9wavefront6targetE0EEEvSK_,"axG",@progbits,_ZN7rocprim17ROCPRIM_400000_NS6detail17trampoline_kernelINS0_14default_configENS1_37merge_sort_block_sort_config_selectorItNS0_10empty_typeEEEZNS1_21merge_sort_block_sortIS3_N6thrust23THRUST_200600_302600_NS6detail15normal_iteratorINS9_10device_ptrItEEEESE_PS5_SF_9comp_mod3ItEEE10hipError_tT0_T1_T2_T3_mRjT4_P12ihipStream_tbNS1_7vsmem_tEEUlT_E_NS1_11comp_targetILNS1_3genE8ELNS1_11target_archE1030ELNS1_3gpuE2ELNS1_3repE0EEENS1_30default_config_static_selectorELNS0_4arch9wavefront6targetE0EEEvSK_,comdat
.Lfunc_end873:
	.size	_ZN7rocprim17ROCPRIM_400000_NS6detail17trampoline_kernelINS0_14default_configENS1_37merge_sort_block_sort_config_selectorItNS0_10empty_typeEEEZNS1_21merge_sort_block_sortIS3_N6thrust23THRUST_200600_302600_NS6detail15normal_iteratorINS9_10device_ptrItEEEESE_PS5_SF_9comp_mod3ItEEE10hipError_tT0_T1_T2_T3_mRjT4_P12ihipStream_tbNS1_7vsmem_tEEUlT_E_NS1_11comp_targetILNS1_3genE8ELNS1_11target_archE1030ELNS1_3gpuE2ELNS1_3repE0EEENS1_30default_config_static_selectorELNS0_4arch9wavefront6targetE0EEEvSK_, .Lfunc_end873-_ZN7rocprim17ROCPRIM_400000_NS6detail17trampoline_kernelINS0_14default_configENS1_37merge_sort_block_sort_config_selectorItNS0_10empty_typeEEEZNS1_21merge_sort_block_sortIS3_N6thrust23THRUST_200600_302600_NS6detail15normal_iteratorINS9_10device_ptrItEEEESE_PS5_SF_9comp_mod3ItEEE10hipError_tT0_T1_T2_T3_mRjT4_P12ihipStream_tbNS1_7vsmem_tEEUlT_E_NS1_11comp_targetILNS1_3genE8ELNS1_11target_archE1030ELNS1_3gpuE2ELNS1_3repE0EEENS1_30default_config_static_selectorELNS0_4arch9wavefront6targetE0EEEvSK_
                                        ; -- End function
	.set _ZN7rocprim17ROCPRIM_400000_NS6detail17trampoline_kernelINS0_14default_configENS1_37merge_sort_block_sort_config_selectorItNS0_10empty_typeEEEZNS1_21merge_sort_block_sortIS3_N6thrust23THRUST_200600_302600_NS6detail15normal_iteratorINS9_10device_ptrItEEEESE_PS5_SF_9comp_mod3ItEEE10hipError_tT0_T1_T2_T3_mRjT4_P12ihipStream_tbNS1_7vsmem_tEEUlT_E_NS1_11comp_targetILNS1_3genE8ELNS1_11target_archE1030ELNS1_3gpuE2ELNS1_3repE0EEENS1_30default_config_static_selectorELNS0_4arch9wavefront6targetE0EEEvSK_.num_vgpr, max(32, .L_ZN7rocprim17ROCPRIM_400000_NS6detail15block_sort_implItNS0_10empty_typeELj256ELj32ELNS0_4arch9wavefront6targetE0EvE4sortIN6thrust23THRUST_200600_302600_NS6detail15normal_iteratorINSA_10device_ptrItEEEESF_PS3_SG_9comp_mod3ItEEEvjbT_T0_T1_T2_T3_RNS7_12storage_typeE.num_vgpr)
	.set _ZN7rocprim17ROCPRIM_400000_NS6detail17trampoline_kernelINS0_14default_configENS1_37merge_sort_block_sort_config_selectorItNS0_10empty_typeEEEZNS1_21merge_sort_block_sortIS3_N6thrust23THRUST_200600_302600_NS6detail15normal_iteratorINS9_10device_ptrItEEEESE_PS5_SF_9comp_mod3ItEEE10hipError_tT0_T1_T2_T3_mRjT4_P12ihipStream_tbNS1_7vsmem_tEEUlT_E_NS1_11comp_targetILNS1_3genE8ELNS1_11target_archE1030ELNS1_3gpuE2ELNS1_3repE0EEENS1_30default_config_static_selectorELNS0_4arch9wavefront6targetE0EEEvSK_.num_agpr, max(0, .L_ZN7rocprim17ROCPRIM_400000_NS6detail15block_sort_implItNS0_10empty_typeELj256ELj32ELNS0_4arch9wavefront6targetE0EvE4sortIN6thrust23THRUST_200600_302600_NS6detail15normal_iteratorINSA_10device_ptrItEEEESF_PS3_SG_9comp_mod3ItEEEvjbT_T0_T1_T2_T3_RNS7_12storage_typeE.num_agpr)
	.set _ZN7rocprim17ROCPRIM_400000_NS6detail17trampoline_kernelINS0_14default_configENS1_37merge_sort_block_sort_config_selectorItNS0_10empty_typeEEEZNS1_21merge_sort_block_sortIS3_N6thrust23THRUST_200600_302600_NS6detail15normal_iteratorINS9_10device_ptrItEEEESE_PS5_SF_9comp_mod3ItEEE10hipError_tT0_T1_T2_T3_mRjT4_P12ihipStream_tbNS1_7vsmem_tEEUlT_E_NS1_11comp_targetILNS1_3genE8ELNS1_11target_archE1030ELNS1_3gpuE2ELNS1_3repE0EEENS1_30default_config_static_selectorELNS0_4arch9wavefront6targetE0EEEvSK_.numbered_sgpr, max(33, .L_ZN7rocprim17ROCPRIM_400000_NS6detail15block_sort_implItNS0_10empty_typeELj256ELj32ELNS0_4arch9wavefront6targetE0EvE4sortIN6thrust23THRUST_200600_302600_NS6detail15normal_iteratorINSA_10device_ptrItEEEESF_PS3_SG_9comp_mod3ItEEEvjbT_T0_T1_T2_T3_RNS7_12storage_typeE.numbered_sgpr)
	.set _ZN7rocprim17ROCPRIM_400000_NS6detail17trampoline_kernelINS0_14default_configENS1_37merge_sort_block_sort_config_selectorItNS0_10empty_typeEEEZNS1_21merge_sort_block_sortIS3_N6thrust23THRUST_200600_302600_NS6detail15normal_iteratorINS9_10device_ptrItEEEESE_PS5_SF_9comp_mod3ItEEE10hipError_tT0_T1_T2_T3_mRjT4_P12ihipStream_tbNS1_7vsmem_tEEUlT_E_NS1_11comp_targetILNS1_3genE8ELNS1_11target_archE1030ELNS1_3gpuE2ELNS1_3repE0EEENS1_30default_config_static_selectorELNS0_4arch9wavefront6targetE0EEEvSK_.num_named_barrier, max(0, .L_ZN7rocprim17ROCPRIM_400000_NS6detail15block_sort_implItNS0_10empty_typeELj256ELj32ELNS0_4arch9wavefront6targetE0EvE4sortIN6thrust23THRUST_200600_302600_NS6detail15normal_iteratorINSA_10device_ptrItEEEESF_PS3_SG_9comp_mod3ItEEEvjbT_T0_T1_T2_T3_RNS7_12storage_typeE.num_named_barrier)
	.set _ZN7rocprim17ROCPRIM_400000_NS6detail17trampoline_kernelINS0_14default_configENS1_37merge_sort_block_sort_config_selectorItNS0_10empty_typeEEEZNS1_21merge_sort_block_sortIS3_N6thrust23THRUST_200600_302600_NS6detail15normal_iteratorINS9_10device_ptrItEEEESE_PS5_SF_9comp_mod3ItEEE10hipError_tT0_T1_T2_T3_mRjT4_P12ihipStream_tbNS1_7vsmem_tEEUlT_E_NS1_11comp_targetILNS1_3genE8ELNS1_11target_archE1030ELNS1_3gpuE2ELNS1_3repE0EEENS1_30default_config_static_selectorELNS0_4arch9wavefront6targetE0EEEvSK_.private_seg_size, 0+max(.L_ZN7rocprim17ROCPRIM_400000_NS6detail15block_sort_implItNS0_10empty_typeELj256ELj32ELNS0_4arch9wavefront6targetE0EvE4sortIN6thrust23THRUST_200600_302600_NS6detail15normal_iteratorINSA_10device_ptrItEEEESF_PS3_SG_9comp_mod3ItEEEvjbT_T0_T1_T2_T3_RNS7_12storage_typeE.private_seg_size)
	.set _ZN7rocprim17ROCPRIM_400000_NS6detail17trampoline_kernelINS0_14default_configENS1_37merge_sort_block_sort_config_selectorItNS0_10empty_typeEEEZNS1_21merge_sort_block_sortIS3_N6thrust23THRUST_200600_302600_NS6detail15normal_iteratorINS9_10device_ptrItEEEESE_PS5_SF_9comp_mod3ItEEE10hipError_tT0_T1_T2_T3_mRjT4_P12ihipStream_tbNS1_7vsmem_tEEUlT_E_NS1_11comp_targetILNS1_3genE8ELNS1_11target_archE1030ELNS1_3gpuE2ELNS1_3repE0EEENS1_30default_config_static_selectorELNS0_4arch9wavefront6targetE0EEEvSK_.uses_vcc, or(1, .L_ZN7rocprim17ROCPRIM_400000_NS6detail15block_sort_implItNS0_10empty_typeELj256ELj32ELNS0_4arch9wavefront6targetE0EvE4sortIN6thrust23THRUST_200600_302600_NS6detail15normal_iteratorINSA_10device_ptrItEEEESF_PS3_SG_9comp_mod3ItEEEvjbT_T0_T1_T2_T3_RNS7_12storage_typeE.uses_vcc)
	.set _ZN7rocprim17ROCPRIM_400000_NS6detail17trampoline_kernelINS0_14default_configENS1_37merge_sort_block_sort_config_selectorItNS0_10empty_typeEEEZNS1_21merge_sort_block_sortIS3_N6thrust23THRUST_200600_302600_NS6detail15normal_iteratorINS9_10device_ptrItEEEESE_PS5_SF_9comp_mod3ItEEE10hipError_tT0_T1_T2_T3_mRjT4_P12ihipStream_tbNS1_7vsmem_tEEUlT_E_NS1_11comp_targetILNS1_3genE8ELNS1_11target_archE1030ELNS1_3gpuE2ELNS1_3repE0EEENS1_30default_config_static_selectorELNS0_4arch9wavefront6targetE0EEEvSK_.uses_flat_scratch, or(0, .L_ZN7rocprim17ROCPRIM_400000_NS6detail15block_sort_implItNS0_10empty_typeELj256ELj32ELNS0_4arch9wavefront6targetE0EvE4sortIN6thrust23THRUST_200600_302600_NS6detail15normal_iteratorINSA_10device_ptrItEEEESF_PS3_SG_9comp_mod3ItEEEvjbT_T0_T1_T2_T3_RNS7_12storage_typeE.uses_flat_scratch)
	.set _ZN7rocprim17ROCPRIM_400000_NS6detail17trampoline_kernelINS0_14default_configENS1_37merge_sort_block_sort_config_selectorItNS0_10empty_typeEEEZNS1_21merge_sort_block_sortIS3_N6thrust23THRUST_200600_302600_NS6detail15normal_iteratorINS9_10device_ptrItEEEESE_PS5_SF_9comp_mod3ItEEE10hipError_tT0_T1_T2_T3_mRjT4_P12ihipStream_tbNS1_7vsmem_tEEUlT_E_NS1_11comp_targetILNS1_3genE8ELNS1_11target_archE1030ELNS1_3gpuE2ELNS1_3repE0EEENS1_30default_config_static_selectorELNS0_4arch9wavefront6targetE0EEEvSK_.has_dyn_sized_stack, or(0, .L_ZN7rocprim17ROCPRIM_400000_NS6detail15block_sort_implItNS0_10empty_typeELj256ELj32ELNS0_4arch9wavefront6targetE0EvE4sortIN6thrust23THRUST_200600_302600_NS6detail15normal_iteratorINSA_10device_ptrItEEEESF_PS3_SG_9comp_mod3ItEEEvjbT_T0_T1_T2_T3_RNS7_12storage_typeE.has_dyn_sized_stack)
	.set _ZN7rocprim17ROCPRIM_400000_NS6detail17trampoline_kernelINS0_14default_configENS1_37merge_sort_block_sort_config_selectorItNS0_10empty_typeEEEZNS1_21merge_sort_block_sortIS3_N6thrust23THRUST_200600_302600_NS6detail15normal_iteratorINS9_10device_ptrItEEEESE_PS5_SF_9comp_mod3ItEEE10hipError_tT0_T1_T2_T3_mRjT4_P12ihipStream_tbNS1_7vsmem_tEEUlT_E_NS1_11comp_targetILNS1_3genE8ELNS1_11target_archE1030ELNS1_3gpuE2ELNS1_3repE0EEENS1_30default_config_static_selectorELNS0_4arch9wavefront6targetE0EEEvSK_.has_recursion, or(0, .L_ZN7rocprim17ROCPRIM_400000_NS6detail15block_sort_implItNS0_10empty_typeELj256ELj32ELNS0_4arch9wavefront6targetE0EvE4sortIN6thrust23THRUST_200600_302600_NS6detail15normal_iteratorINSA_10device_ptrItEEEESF_PS3_SG_9comp_mod3ItEEEvjbT_T0_T1_T2_T3_RNS7_12storage_typeE.has_recursion)
	.set _ZN7rocprim17ROCPRIM_400000_NS6detail17trampoline_kernelINS0_14default_configENS1_37merge_sort_block_sort_config_selectorItNS0_10empty_typeEEEZNS1_21merge_sort_block_sortIS3_N6thrust23THRUST_200600_302600_NS6detail15normal_iteratorINS9_10device_ptrItEEEESE_PS5_SF_9comp_mod3ItEEE10hipError_tT0_T1_T2_T3_mRjT4_P12ihipStream_tbNS1_7vsmem_tEEUlT_E_NS1_11comp_targetILNS1_3genE8ELNS1_11target_archE1030ELNS1_3gpuE2ELNS1_3repE0EEENS1_30default_config_static_selectorELNS0_4arch9wavefront6targetE0EEEvSK_.has_indirect_call, or(0, .L_ZN7rocprim17ROCPRIM_400000_NS6detail15block_sort_implItNS0_10empty_typeELj256ELj32ELNS0_4arch9wavefront6targetE0EvE4sortIN6thrust23THRUST_200600_302600_NS6detail15normal_iteratorINSA_10device_ptrItEEEESF_PS3_SG_9comp_mod3ItEEEvjbT_T0_T1_T2_T3_RNS7_12storage_typeE.has_indirect_call)
	.section	.AMDGPU.csdata,"",@progbits
; Kernel info:
; codeLenInByte = 244
; TotalNumSgprs: 98
; NumVgprs: 248
; ScratchSize: 144
; MemoryBound: 0
; FloatMode: 240
; IeeeMode: 1
; LDSByteSize: 16896 bytes/workgroup (compile time only)
; SGPRBlocks: 0
; VGPRBlocks: 30
; NumSGPRsForWavesPerEU: 98
; NumVGPRsForWavesPerEU: 248
; Occupancy: 4
; WaveLimiterHint : 1
; COMPUTE_PGM_RSRC2:SCRATCH_EN: 1
; COMPUTE_PGM_RSRC2:USER_SGPR: 6
; COMPUTE_PGM_RSRC2:TRAP_HANDLER: 0
; COMPUTE_PGM_RSRC2:TGID_X_EN: 1
; COMPUTE_PGM_RSRC2:TGID_Y_EN: 1
; COMPUTE_PGM_RSRC2:TGID_Z_EN: 1
; COMPUTE_PGM_RSRC2:TIDIG_COMP_CNT: 2
	.section	.text._ZN7rocprim17ROCPRIM_400000_NS6detail17trampoline_kernelINS0_14default_configENS1_38merge_sort_block_merge_config_selectorItNS0_10empty_typeEEEZZNS1_27merge_sort_block_merge_implIS3_N6thrust23THRUST_200600_302600_NS6detail15normal_iteratorINS9_10device_ptrItEEEEPS5_m9comp_mod3ItEEE10hipError_tT0_T1_T2_jT3_P12ihipStream_tbPNSt15iterator_traitsISJ_E10value_typeEPNSP_ISK_E10value_typeEPSL_NS1_7vsmem_tEENKUlT_SJ_SK_SL_E_clIPtSE_SF_SF_EESI_SY_SJ_SK_SL_EUlSY_E_NS1_11comp_targetILNS1_3genE0ELNS1_11target_archE4294967295ELNS1_3gpuE0ELNS1_3repE0EEENS1_48merge_mergepath_partition_config_static_selectorELNS0_4arch9wavefront6targetE0EEEvSK_,"axG",@progbits,_ZN7rocprim17ROCPRIM_400000_NS6detail17trampoline_kernelINS0_14default_configENS1_38merge_sort_block_merge_config_selectorItNS0_10empty_typeEEEZZNS1_27merge_sort_block_merge_implIS3_N6thrust23THRUST_200600_302600_NS6detail15normal_iteratorINS9_10device_ptrItEEEEPS5_m9comp_mod3ItEEE10hipError_tT0_T1_T2_jT3_P12ihipStream_tbPNSt15iterator_traitsISJ_E10value_typeEPNSP_ISK_E10value_typeEPSL_NS1_7vsmem_tEENKUlT_SJ_SK_SL_E_clIPtSE_SF_SF_EESI_SY_SJ_SK_SL_EUlSY_E_NS1_11comp_targetILNS1_3genE0ELNS1_11target_archE4294967295ELNS1_3gpuE0ELNS1_3repE0EEENS1_48merge_mergepath_partition_config_static_selectorELNS0_4arch9wavefront6targetE0EEEvSK_,comdat
	.protected	_ZN7rocprim17ROCPRIM_400000_NS6detail17trampoline_kernelINS0_14default_configENS1_38merge_sort_block_merge_config_selectorItNS0_10empty_typeEEEZZNS1_27merge_sort_block_merge_implIS3_N6thrust23THRUST_200600_302600_NS6detail15normal_iteratorINS9_10device_ptrItEEEEPS5_m9comp_mod3ItEEE10hipError_tT0_T1_T2_jT3_P12ihipStream_tbPNSt15iterator_traitsISJ_E10value_typeEPNSP_ISK_E10value_typeEPSL_NS1_7vsmem_tEENKUlT_SJ_SK_SL_E_clIPtSE_SF_SF_EESI_SY_SJ_SK_SL_EUlSY_E_NS1_11comp_targetILNS1_3genE0ELNS1_11target_archE4294967295ELNS1_3gpuE0ELNS1_3repE0EEENS1_48merge_mergepath_partition_config_static_selectorELNS0_4arch9wavefront6targetE0EEEvSK_ ; -- Begin function _ZN7rocprim17ROCPRIM_400000_NS6detail17trampoline_kernelINS0_14default_configENS1_38merge_sort_block_merge_config_selectorItNS0_10empty_typeEEEZZNS1_27merge_sort_block_merge_implIS3_N6thrust23THRUST_200600_302600_NS6detail15normal_iteratorINS9_10device_ptrItEEEEPS5_m9comp_mod3ItEEE10hipError_tT0_T1_T2_jT3_P12ihipStream_tbPNSt15iterator_traitsISJ_E10value_typeEPNSP_ISK_E10value_typeEPSL_NS1_7vsmem_tEENKUlT_SJ_SK_SL_E_clIPtSE_SF_SF_EESI_SY_SJ_SK_SL_EUlSY_E_NS1_11comp_targetILNS1_3genE0ELNS1_11target_archE4294967295ELNS1_3gpuE0ELNS1_3repE0EEENS1_48merge_mergepath_partition_config_static_selectorELNS0_4arch9wavefront6targetE0EEEvSK_
	.globl	_ZN7rocprim17ROCPRIM_400000_NS6detail17trampoline_kernelINS0_14default_configENS1_38merge_sort_block_merge_config_selectorItNS0_10empty_typeEEEZZNS1_27merge_sort_block_merge_implIS3_N6thrust23THRUST_200600_302600_NS6detail15normal_iteratorINS9_10device_ptrItEEEEPS5_m9comp_mod3ItEEE10hipError_tT0_T1_T2_jT3_P12ihipStream_tbPNSt15iterator_traitsISJ_E10value_typeEPNSP_ISK_E10value_typeEPSL_NS1_7vsmem_tEENKUlT_SJ_SK_SL_E_clIPtSE_SF_SF_EESI_SY_SJ_SK_SL_EUlSY_E_NS1_11comp_targetILNS1_3genE0ELNS1_11target_archE4294967295ELNS1_3gpuE0ELNS1_3repE0EEENS1_48merge_mergepath_partition_config_static_selectorELNS0_4arch9wavefront6targetE0EEEvSK_
	.p2align	8
	.type	_ZN7rocprim17ROCPRIM_400000_NS6detail17trampoline_kernelINS0_14default_configENS1_38merge_sort_block_merge_config_selectorItNS0_10empty_typeEEEZZNS1_27merge_sort_block_merge_implIS3_N6thrust23THRUST_200600_302600_NS6detail15normal_iteratorINS9_10device_ptrItEEEEPS5_m9comp_mod3ItEEE10hipError_tT0_T1_T2_jT3_P12ihipStream_tbPNSt15iterator_traitsISJ_E10value_typeEPNSP_ISK_E10value_typeEPSL_NS1_7vsmem_tEENKUlT_SJ_SK_SL_E_clIPtSE_SF_SF_EESI_SY_SJ_SK_SL_EUlSY_E_NS1_11comp_targetILNS1_3genE0ELNS1_11target_archE4294967295ELNS1_3gpuE0ELNS1_3repE0EEENS1_48merge_mergepath_partition_config_static_selectorELNS0_4arch9wavefront6targetE0EEEvSK_,@function
_ZN7rocprim17ROCPRIM_400000_NS6detail17trampoline_kernelINS0_14default_configENS1_38merge_sort_block_merge_config_selectorItNS0_10empty_typeEEEZZNS1_27merge_sort_block_merge_implIS3_N6thrust23THRUST_200600_302600_NS6detail15normal_iteratorINS9_10device_ptrItEEEEPS5_m9comp_mod3ItEEE10hipError_tT0_T1_T2_jT3_P12ihipStream_tbPNSt15iterator_traitsISJ_E10value_typeEPNSP_ISK_E10value_typeEPSL_NS1_7vsmem_tEENKUlT_SJ_SK_SL_E_clIPtSE_SF_SF_EESI_SY_SJ_SK_SL_EUlSY_E_NS1_11comp_targetILNS1_3genE0ELNS1_11target_archE4294967295ELNS1_3gpuE0ELNS1_3repE0EEENS1_48merge_mergepath_partition_config_static_selectorELNS0_4arch9wavefront6targetE0EEEvSK_: ; @_ZN7rocprim17ROCPRIM_400000_NS6detail17trampoline_kernelINS0_14default_configENS1_38merge_sort_block_merge_config_selectorItNS0_10empty_typeEEEZZNS1_27merge_sort_block_merge_implIS3_N6thrust23THRUST_200600_302600_NS6detail15normal_iteratorINS9_10device_ptrItEEEEPS5_m9comp_mod3ItEEE10hipError_tT0_T1_T2_jT3_P12ihipStream_tbPNSt15iterator_traitsISJ_E10value_typeEPNSP_ISK_E10value_typeEPSL_NS1_7vsmem_tEENKUlT_SJ_SK_SL_E_clIPtSE_SF_SF_EESI_SY_SJ_SK_SL_EUlSY_E_NS1_11comp_targetILNS1_3genE0ELNS1_11target_archE4294967295ELNS1_3gpuE0ELNS1_3repE0EEENS1_48merge_mergepath_partition_config_static_selectorELNS0_4arch9wavefront6targetE0EEEvSK_
; %bb.0:
	.section	.rodata,"a",@progbits
	.p2align	6, 0x0
	.amdhsa_kernel _ZN7rocprim17ROCPRIM_400000_NS6detail17trampoline_kernelINS0_14default_configENS1_38merge_sort_block_merge_config_selectorItNS0_10empty_typeEEEZZNS1_27merge_sort_block_merge_implIS3_N6thrust23THRUST_200600_302600_NS6detail15normal_iteratorINS9_10device_ptrItEEEEPS5_m9comp_mod3ItEEE10hipError_tT0_T1_T2_jT3_P12ihipStream_tbPNSt15iterator_traitsISJ_E10value_typeEPNSP_ISK_E10value_typeEPSL_NS1_7vsmem_tEENKUlT_SJ_SK_SL_E_clIPtSE_SF_SF_EESI_SY_SJ_SK_SL_EUlSY_E_NS1_11comp_targetILNS1_3genE0ELNS1_11target_archE4294967295ELNS1_3gpuE0ELNS1_3repE0EEENS1_48merge_mergepath_partition_config_static_selectorELNS0_4arch9wavefront6targetE0EEEvSK_
		.amdhsa_group_segment_fixed_size 0
		.amdhsa_private_segment_fixed_size 0
		.amdhsa_kernarg_size 48
		.amdhsa_user_sgpr_count 6
		.amdhsa_user_sgpr_private_segment_buffer 1
		.amdhsa_user_sgpr_dispatch_ptr 0
		.amdhsa_user_sgpr_queue_ptr 0
		.amdhsa_user_sgpr_kernarg_segment_ptr 1
		.amdhsa_user_sgpr_dispatch_id 0
		.amdhsa_user_sgpr_flat_scratch_init 0
		.amdhsa_user_sgpr_private_segment_size 0
		.amdhsa_wavefront_size32 1
		.amdhsa_uses_dynamic_stack 0
		.amdhsa_system_sgpr_private_segment_wavefront_offset 0
		.amdhsa_system_sgpr_workgroup_id_x 1
		.amdhsa_system_sgpr_workgroup_id_y 0
		.amdhsa_system_sgpr_workgroup_id_z 0
		.amdhsa_system_sgpr_workgroup_info 0
		.amdhsa_system_vgpr_workitem_id 0
		.amdhsa_next_free_vgpr 1
		.amdhsa_next_free_sgpr 1
		.amdhsa_reserve_vcc 0
		.amdhsa_reserve_flat_scratch 0
		.amdhsa_float_round_mode_32 0
		.amdhsa_float_round_mode_16_64 0
		.amdhsa_float_denorm_mode_32 3
		.amdhsa_float_denorm_mode_16_64 3
		.amdhsa_dx10_clamp 1
		.amdhsa_ieee_mode 1
		.amdhsa_fp16_overflow 0
		.amdhsa_workgroup_processor_mode 1
		.amdhsa_memory_ordered 1
		.amdhsa_forward_progress 1
		.amdhsa_shared_vgpr_count 0
		.amdhsa_exception_fp_ieee_invalid_op 0
		.amdhsa_exception_fp_denorm_src 0
		.amdhsa_exception_fp_ieee_div_zero 0
		.amdhsa_exception_fp_ieee_overflow 0
		.amdhsa_exception_fp_ieee_underflow 0
		.amdhsa_exception_fp_ieee_inexact 0
		.amdhsa_exception_int_div_zero 0
	.end_amdhsa_kernel
	.section	.text._ZN7rocprim17ROCPRIM_400000_NS6detail17trampoline_kernelINS0_14default_configENS1_38merge_sort_block_merge_config_selectorItNS0_10empty_typeEEEZZNS1_27merge_sort_block_merge_implIS3_N6thrust23THRUST_200600_302600_NS6detail15normal_iteratorINS9_10device_ptrItEEEEPS5_m9comp_mod3ItEEE10hipError_tT0_T1_T2_jT3_P12ihipStream_tbPNSt15iterator_traitsISJ_E10value_typeEPNSP_ISK_E10value_typeEPSL_NS1_7vsmem_tEENKUlT_SJ_SK_SL_E_clIPtSE_SF_SF_EESI_SY_SJ_SK_SL_EUlSY_E_NS1_11comp_targetILNS1_3genE0ELNS1_11target_archE4294967295ELNS1_3gpuE0ELNS1_3repE0EEENS1_48merge_mergepath_partition_config_static_selectorELNS0_4arch9wavefront6targetE0EEEvSK_,"axG",@progbits,_ZN7rocprim17ROCPRIM_400000_NS6detail17trampoline_kernelINS0_14default_configENS1_38merge_sort_block_merge_config_selectorItNS0_10empty_typeEEEZZNS1_27merge_sort_block_merge_implIS3_N6thrust23THRUST_200600_302600_NS6detail15normal_iteratorINS9_10device_ptrItEEEEPS5_m9comp_mod3ItEEE10hipError_tT0_T1_T2_jT3_P12ihipStream_tbPNSt15iterator_traitsISJ_E10value_typeEPNSP_ISK_E10value_typeEPSL_NS1_7vsmem_tEENKUlT_SJ_SK_SL_E_clIPtSE_SF_SF_EESI_SY_SJ_SK_SL_EUlSY_E_NS1_11comp_targetILNS1_3genE0ELNS1_11target_archE4294967295ELNS1_3gpuE0ELNS1_3repE0EEENS1_48merge_mergepath_partition_config_static_selectorELNS0_4arch9wavefront6targetE0EEEvSK_,comdat
.Lfunc_end874:
	.size	_ZN7rocprim17ROCPRIM_400000_NS6detail17trampoline_kernelINS0_14default_configENS1_38merge_sort_block_merge_config_selectorItNS0_10empty_typeEEEZZNS1_27merge_sort_block_merge_implIS3_N6thrust23THRUST_200600_302600_NS6detail15normal_iteratorINS9_10device_ptrItEEEEPS5_m9comp_mod3ItEEE10hipError_tT0_T1_T2_jT3_P12ihipStream_tbPNSt15iterator_traitsISJ_E10value_typeEPNSP_ISK_E10value_typeEPSL_NS1_7vsmem_tEENKUlT_SJ_SK_SL_E_clIPtSE_SF_SF_EESI_SY_SJ_SK_SL_EUlSY_E_NS1_11comp_targetILNS1_3genE0ELNS1_11target_archE4294967295ELNS1_3gpuE0ELNS1_3repE0EEENS1_48merge_mergepath_partition_config_static_selectorELNS0_4arch9wavefront6targetE0EEEvSK_, .Lfunc_end874-_ZN7rocprim17ROCPRIM_400000_NS6detail17trampoline_kernelINS0_14default_configENS1_38merge_sort_block_merge_config_selectorItNS0_10empty_typeEEEZZNS1_27merge_sort_block_merge_implIS3_N6thrust23THRUST_200600_302600_NS6detail15normal_iteratorINS9_10device_ptrItEEEEPS5_m9comp_mod3ItEEE10hipError_tT0_T1_T2_jT3_P12ihipStream_tbPNSt15iterator_traitsISJ_E10value_typeEPNSP_ISK_E10value_typeEPSL_NS1_7vsmem_tEENKUlT_SJ_SK_SL_E_clIPtSE_SF_SF_EESI_SY_SJ_SK_SL_EUlSY_E_NS1_11comp_targetILNS1_3genE0ELNS1_11target_archE4294967295ELNS1_3gpuE0ELNS1_3repE0EEENS1_48merge_mergepath_partition_config_static_selectorELNS0_4arch9wavefront6targetE0EEEvSK_
                                        ; -- End function
	.set _ZN7rocprim17ROCPRIM_400000_NS6detail17trampoline_kernelINS0_14default_configENS1_38merge_sort_block_merge_config_selectorItNS0_10empty_typeEEEZZNS1_27merge_sort_block_merge_implIS3_N6thrust23THRUST_200600_302600_NS6detail15normal_iteratorINS9_10device_ptrItEEEEPS5_m9comp_mod3ItEEE10hipError_tT0_T1_T2_jT3_P12ihipStream_tbPNSt15iterator_traitsISJ_E10value_typeEPNSP_ISK_E10value_typeEPSL_NS1_7vsmem_tEENKUlT_SJ_SK_SL_E_clIPtSE_SF_SF_EESI_SY_SJ_SK_SL_EUlSY_E_NS1_11comp_targetILNS1_3genE0ELNS1_11target_archE4294967295ELNS1_3gpuE0ELNS1_3repE0EEENS1_48merge_mergepath_partition_config_static_selectorELNS0_4arch9wavefront6targetE0EEEvSK_.num_vgpr, 0
	.set _ZN7rocprim17ROCPRIM_400000_NS6detail17trampoline_kernelINS0_14default_configENS1_38merge_sort_block_merge_config_selectorItNS0_10empty_typeEEEZZNS1_27merge_sort_block_merge_implIS3_N6thrust23THRUST_200600_302600_NS6detail15normal_iteratorINS9_10device_ptrItEEEEPS5_m9comp_mod3ItEEE10hipError_tT0_T1_T2_jT3_P12ihipStream_tbPNSt15iterator_traitsISJ_E10value_typeEPNSP_ISK_E10value_typeEPSL_NS1_7vsmem_tEENKUlT_SJ_SK_SL_E_clIPtSE_SF_SF_EESI_SY_SJ_SK_SL_EUlSY_E_NS1_11comp_targetILNS1_3genE0ELNS1_11target_archE4294967295ELNS1_3gpuE0ELNS1_3repE0EEENS1_48merge_mergepath_partition_config_static_selectorELNS0_4arch9wavefront6targetE0EEEvSK_.num_agpr, 0
	.set _ZN7rocprim17ROCPRIM_400000_NS6detail17trampoline_kernelINS0_14default_configENS1_38merge_sort_block_merge_config_selectorItNS0_10empty_typeEEEZZNS1_27merge_sort_block_merge_implIS3_N6thrust23THRUST_200600_302600_NS6detail15normal_iteratorINS9_10device_ptrItEEEEPS5_m9comp_mod3ItEEE10hipError_tT0_T1_T2_jT3_P12ihipStream_tbPNSt15iterator_traitsISJ_E10value_typeEPNSP_ISK_E10value_typeEPSL_NS1_7vsmem_tEENKUlT_SJ_SK_SL_E_clIPtSE_SF_SF_EESI_SY_SJ_SK_SL_EUlSY_E_NS1_11comp_targetILNS1_3genE0ELNS1_11target_archE4294967295ELNS1_3gpuE0ELNS1_3repE0EEENS1_48merge_mergepath_partition_config_static_selectorELNS0_4arch9wavefront6targetE0EEEvSK_.numbered_sgpr, 0
	.set _ZN7rocprim17ROCPRIM_400000_NS6detail17trampoline_kernelINS0_14default_configENS1_38merge_sort_block_merge_config_selectorItNS0_10empty_typeEEEZZNS1_27merge_sort_block_merge_implIS3_N6thrust23THRUST_200600_302600_NS6detail15normal_iteratorINS9_10device_ptrItEEEEPS5_m9comp_mod3ItEEE10hipError_tT0_T1_T2_jT3_P12ihipStream_tbPNSt15iterator_traitsISJ_E10value_typeEPNSP_ISK_E10value_typeEPSL_NS1_7vsmem_tEENKUlT_SJ_SK_SL_E_clIPtSE_SF_SF_EESI_SY_SJ_SK_SL_EUlSY_E_NS1_11comp_targetILNS1_3genE0ELNS1_11target_archE4294967295ELNS1_3gpuE0ELNS1_3repE0EEENS1_48merge_mergepath_partition_config_static_selectorELNS0_4arch9wavefront6targetE0EEEvSK_.num_named_barrier, 0
	.set _ZN7rocprim17ROCPRIM_400000_NS6detail17trampoline_kernelINS0_14default_configENS1_38merge_sort_block_merge_config_selectorItNS0_10empty_typeEEEZZNS1_27merge_sort_block_merge_implIS3_N6thrust23THRUST_200600_302600_NS6detail15normal_iteratorINS9_10device_ptrItEEEEPS5_m9comp_mod3ItEEE10hipError_tT0_T1_T2_jT3_P12ihipStream_tbPNSt15iterator_traitsISJ_E10value_typeEPNSP_ISK_E10value_typeEPSL_NS1_7vsmem_tEENKUlT_SJ_SK_SL_E_clIPtSE_SF_SF_EESI_SY_SJ_SK_SL_EUlSY_E_NS1_11comp_targetILNS1_3genE0ELNS1_11target_archE4294967295ELNS1_3gpuE0ELNS1_3repE0EEENS1_48merge_mergepath_partition_config_static_selectorELNS0_4arch9wavefront6targetE0EEEvSK_.private_seg_size, 0
	.set _ZN7rocprim17ROCPRIM_400000_NS6detail17trampoline_kernelINS0_14default_configENS1_38merge_sort_block_merge_config_selectorItNS0_10empty_typeEEEZZNS1_27merge_sort_block_merge_implIS3_N6thrust23THRUST_200600_302600_NS6detail15normal_iteratorINS9_10device_ptrItEEEEPS5_m9comp_mod3ItEEE10hipError_tT0_T1_T2_jT3_P12ihipStream_tbPNSt15iterator_traitsISJ_E10value_typeEPNSP_ISK_E10value_typeEPSL_NS1_7vsmem_tEENKUlT_SJ_SK_SL_E_clIPtSE_SF_SF_EESI_SY_SJ_SK_SL_EUlSY_E_NS1_11comp_targetILNS1_3genE0ELNS1_11target_archE4294967295ELNS1_3gpuE0ELNS1_3repE0EEENS1_48merge_mergepath_partition_config_static_selectorELNS0_4arch9wavefront6targetE0EEEvSK_.uses_vcc, 0
	.set _ZN7rocprim17ROCPRIM_400000_NS6detail17trampoline_kernelINS0_14default_configENS1_38merge_sort_block_merge_config_selectorItNS0_10empty_typeEEEZZNS1_27merge_sort_block_merge_implIS3_N6thrust23THRUST_200600_302600_NS6detail15normal_iteratorINS9_10device_ptrItEEEEPS5_m9comp_mod3ItEEE10hipError_tT0_T1_T2_jT3_P12ihipStream_tbPNSt15iterator_traitsISJ_E10value_typeEPNSP_ISK_E10value_typeEPSL_NS1_7vsmem_tEENKUlT_SJ_SK_SL_E_clIPtSE_SF_SF_EESI_SY_SJ_SK_SL_EUlSY_E_NS1_11comp_targetILNS1_3genE0ELNS1_11target_archE4294967295ELNS1_3gpuE0ELNS1_3repE0EEENS1_48merge_mergepath_partition_config_static_selectorELNS0_4arch9wavefront6targetE0EEEvSK_.uses_flat_scratch, 0
	.set _ZN7rocprim17ROCPRIM_400000_NS6detail17trampoline_kernelINS0_14default_configENS1_38merge_sort_block_merge_config_selectorItNS0_10empty_typeEEEZZNS1_27merge_sort_block_merge_implIS3_N6thrust23THRUST_200600_302600_NS6detail15normal_iteratorINS9_10device_ptrItEEEEPS5_m9comp_mod3ItEEE10hipError_tT0_T1_T2_jT3_P12ihipStream_tbPNSt15iterator_traitsISJ_E10value_typeEPNSP_ISK_E10value_typeEPSL_NS1_7vsmem_tEENKUlT_SJ_SK_SL_E_clIPtSE_SF_SF_EESI_SY_SJ_SK_SL_EUlSY_E_NS1_11comp_targetILNS1_3genE0ELNS1_11target_archE4294967295ELNS1_3gpuE0ELNS1_3repE0EEENS1_48merge_mergepath_partition_config_static_selectorELNS0_4arch9wavefront6targetE0EEEvSK_.has_dyn_sized_stack, 0
	.set _ZN7rocprim17ROCPRIM_400000_NS6detail17trampoline_kernelINS0_14default_configENS1_38merge_sort_block_merge_config_selectorItNS0_10empty_typeEEEZZNS1_27merge_sort_block_merge_implIS3_N6thrust23THRUST_200600_302600_NS6detail15normal_iteratorINS9_10device_ptrItEEEEPS5_m9comp_mod3ItEEE10hipError_tT0_T1_T2_jT3_P12ihipStream_tbPNSt15iterator_traitsISJ_E10value_typeEPNSP_ISK_E10value_typeEPSL_NS1_7vsmem_tEENKUlT_SJ_SK_SL_E_clIPtSE_SF_SF_EESI_SY_SJ_SK_SL_EUlSY_E_NS1_11comp_targetILNS1_3genE0ELNS1_11target_archE4294967295ELNS1_3gpuE0ELNS1_3repE0EEENS1_48merge_mergepath_partition_config_static_selectorELNS0_4arch9wavefront6targetE0EEEvSK_.has_recursion, 0
	.set _ZN7rocprim17ROCPRIM_400000_NS6detail17trampoline_kernelINS0_14default_configENS1_38merge_sort_block_merge_config_selectorItNS0_10empty_typeEEEZZNS1_27merge_sort_block_merge_implIS3_N6thrust23THRUST_200600_302600_NS6detail15normal_iteratorINS9_10device_ptrItEEEEPS5_m9comp_mod3ItEEE10hipError_tT0_T1_T2_jT3_P12ihipStream_tbPNSt15iterator_traitsISJ_E10value_typeEPNSP_ISK_E10value_typeEPSL_NS1_7vsmem_tEENKUlT_SJ_SK_SL_E_clIPtSE_SF_SF_EESI_SY_SJ_SK_SL_EUlSY_E_NS1_11comp_targetILNS1_3genE0ELNS1_11target_archE4294967295ELNS1_3gpuE0ELNS1_3repE0EEENS1_48merge_mergepath_partition_config_static_selectorELNS0_4arch9wavefront6targetE0EEEvSK_.has_indirect_call, 0
	.section	.AMDGPU.csdata,"",@progbits
; Kernel info:
; codeLenInByte = 0
; TotalNumSgprs: 0
; NumVgprs: 0
; ScratchSize: 0
; MemoryBound: 0
; FloatMode: 240
; IeeeMode: 1
; LDSByteSize: 0 bytes/workgroup (compile time only)
; SGPRBlocks: 0
; VGPRBlocks: 0
; NumSGPRsForWavesPerEU: 1
; NumVGPRsForWavesPerEU: 1
; Occupancy: 16
; WaveLimiterHint : 0
; COMPUTE_PGM_RSRC2:SCRATCH_EN: 0
; COMPUTE_PGM_RSRC2:USER_SGPR: 6
; COMPUTE_PGM_RSRC2:TRAP_HANDLER: 0
; COMPUTE_PGM_RSRC2:TGID_X_EN: 1
; COMPUTE_PGM_RSRC2:TGID_Y_EN: 0
; COMPUTE_PGM_RSRC2:TGID_Z_EN: 0
; COMPUTE_PGM_RSRC2:TIDIG_COMP_CNT: 0
	.section	.text._ZN7rocprim17ROCPRIM_400000_NS6detail17trampoline_kernelINS0_14default_configENS1_38merge_sort_block_merge_config_selectorItNS0_10empty_typeEEEZZNS1_27merge_sort_block_merge_implIS3_N6thrust23THRUST_200600_302600_NS6detail15normal_iteratorINS9_10device_ptrItEEEEPS5_m9comp_mod3ItEEE10hipError_tT0_T1_T2_jT3_P12ihipStream_tbPNSt15iterator_traitsISJ_E10value_typeEPNSP_ISK_E10value_typeEPSL_NS1_7vsmem_tEENKUlT_SJ_SK_SL_E_clIPtSE_SF_SF_EESI_SY_SJ_SK_SL_EUlSY_E_NS1_11comp_targetILNS1_3genE10ELNS1_11target_archE1201ELNS1_3gpuE5ELNS1_3repE0EEENS1_48merge_mergepath_partition_config_static_selectorELNS0_4arch9wavefront6targetE0EEEvSK_,"axG",@progbits,_ZN7rocprim17ROCPRIM_400000_NS6detail17trampoline_kernelINS0_14default_configENS1_38merge_sort_block_merge_config_selectorItNS0_10empty_typeEEEZZNS1_27merge_sort_block_merge_implIS3_N6thrust23THRUST_200600_302600_NS6detail15normal_iteratorINS9_10device_ptrItEEEEPS5_m9comp_mod3ItEEE10hipError_tT0_T1_T2_jT3_P12ihipStream_tbPNSt15iterator_traitsISJ_E10value_typeEPNSP_ISK_E10value_typeEPSL_NS1_7vsmem_tEENKUlT_SJ_SK_SL_E_clIPtSE_SF_SF_EESI_SY_SJ_SK_SL_EUlSY_E_NS1_11comp_targetILNS1_3genE10ELNS1_11target_archE1201ELNS1_3gpuE5ELNS1_3repE0EEENS1_48merge_mergepath_partition_config_static_selectorELNS0_4arch9wavefront6targetE0EEEvSK_,comdat
	.protected	_ZN7rocprim17ROCPRIM_400000_NS6detail17trampoline_kernelINS0_14default_configENS1_38merge_sort_block_merge_config_selectorItNS0_10empty_typeEEEZZNS1_27merge_sort_block_merge_implIS3_N6thrust23THRUST_200600_302600_NS6detail15normal_iteratorINS9_10device_ptrItEEEEPS5_m9comp_mod3ItEEE10hipError_tT0_T1_T2_jT3_P12ihipStream_tbPNSt15iterator_traitsISJ_E10value_typeEPNSP_ISK_E10value_typeEPSL_NS1_7vsmem_tEENKUlT_SJ_SK_SL_E_clIPtSE_SF_SF_EESI_SY_SJ_SK_SL_EUlSY_E_NS1_11comp_targetILNS1_3genE10ELNS1_11target_archE1201ELNS1_3gpuE5ELNS1_3repE0EEENS1_48merge_mergepath_partition_config_static_selectorELNS0_4arch9wavefront6targetE0EEEvSK_ ; -- Begin function _ZN7rocprim17ROCPRIM_400000_NS6detail17trampoline_kernelINS0_14default_configENS1_38merge_sort_block_merge_config_selectorItNS0_10empty_typeEEEZZNS1_27merge_sort_block_merge_implIS3_N6thrust23THRUST_200600_302600_NS6detail15normal_iteratorINS9_10device_ptrItEEEEPS5_m9comp_mod3ItEEE10hipError_tT0_T1_T2_jT3_P12ihipStream_tbPNSt15iterator_traitsISJ_E10value_typeEPNSP_ISK_E10value_typeEPSL_NS1_7vsmem_tEENKUlT_SJ_SK_SL_E_clIPtSE_SF_SF_EESI_SY_SJ_SK_SL_EUlSY_E_NS1_11comp_targetILNS1_3genE10ELNS1_11target_archE1201ELNS1_3gpuE5ELNS1_3repE0EEENS1_48merge_mergepath_partition_config_static_selectorELNS0_4arch9wavefront6targetE0EEEvSK_
	.globl	_ZN7rocprim17ROCPRIM_400000_NS6detail17trampoline_kernelINS0_14default_configENS1_38merge_sort_block_merge_config_selectorItNS0_10empty_typeEEEZZNS1_27merge_sort_block_merge_implIS3_N6thrust23THRUST_200600_302600_NS6detail15normal_iteratorINS9_10device_ptrItEEEEPS5_m9comp_mod3ItEEE10hipError_tT0_T1_T2_jT3_P12ihipStream_tbPNSt15iterator_traitsISJ_E10value_typeEPNSP_ISK_E10value_typeEPSL_NS1_7vsmem_tEENKUlT_SJ_SK_SL_E_clIPtSE_SF_SF_EESI_SY_SJ_SK_SL_EUlSY_E_NS1_11comp_targetILNS1_3genE10ELNS1_11target_archE1201ELNS1_3gpuE5ELNS1_3repE0EEENS1_48merge_mergepath_partition_config_static_selectorELNS0_4arch9wavefront6targetE0EEEvSK_
	.p2align	8
	.type	_ZN7rocprim17ROCPRIM_400000_NS6detail17trampoline_kernelINS0_14default_configENS1_38merge_sort_block_merge_config_selectorItNS0_10empty_typeEEEZZNS1_27merge_sort_block_merge_implIS3_N6thrust23THRUST_200600_302600_NS6detail15normal_iteratorINS9_10device_ptrItEEEEPS5_m9comp_mod3ItEEE10hipError_tT0_T1_T2_jT3_P12ihipStream_tbPNSt15iterator_traitsISJ_E10value_typeEPNSP_ISK_E10value_typeEPSL_NS1_7vsmem_tEENKUlT_SJ_SK_SL_E_clIPtSE_SF_SF_EESI_SY_SJ_SK_SL_EUlSY_E_NS1_11comp_targetILNS1_3genE10ELNS1_11target_archE1201ELNS1_3gpuE5ELNS1_3repE0EEENS1_48merge_mergepath_partition_config_static_selectorELNS0_4arch9wavefront6targetE0EEEvSK_,@function
_ZN7rocprim17ROCPRIM_400000_NS6detail17trampoline_kernelINS0_14default_configENS1_38merge_sort_block_merge_config_selectorItNS0_10empty_typeEEEZZNS1_27merge_sort_block_merge_implIS3_N6thrust23THRUST_200600_302600_NS6detail15normal_iteratorINS9_10device_ptrItEEEEPS5_m9comp_mod3ItEEE10hipError_tT0_T1_T2_jT3_P12ihipStream_tbPNSt15iterator_traitsISJ_E10value_typeEPNSP_ISK_E10value_typeEPSL_NS1_7vsmem_tEENKUlT_SJ_SK_SL_E_clIPtSE_SF_SF_EESI_SY_SJ_SK_SL_EUlSY_E_NS1_11comp_targetILNS1_3genE10ELNS1_11target_archE1201ELNS1_3gpuE5ELNS1_3repE0EEENS1_48merge_mergepath_partition_config_static_selectorELNS0_4arch9wavefront6targetE0EEEvSK_: ; @_ZN7rocprim17ROCPRIM_400000_NS6detail17trampoline_kernelINS0_14default_configENS1_38merge_sort_block_merge_config_selectorItNS0_10empty_typeEEEZZNS1_27merge_sort_block_merge_implIS3_N6thrust23THRUST_200600_302600_NS6detail15normal_iteratorINS9_10device_ptrItEEEEPS5_m9comp_mod3ItEEE10hipError_tT0_T1_T2_jT3_P12ihipStream_tbPNSt15iterator_traitsISJ_E10value_typeEPNSP_ISK_E10value_typeEPSL_NS1_7vsmem_tEENKUlT_SJ_SK_SL_E_clIPtSE_SF_SF_EESI_SY_SJ_SK_SL_EUlSY_E_NS1_11comp_targetILNS1_3genE10ELNS1_11target_archE1201ELNS1_3gpuE5ELNS1_3repE0EEENS1_48merge_mergepath_partition_config_static_selectorELNS0_4arch9wavefront6targetE0EEEvSK_
; %bb.0:
	.section	.rodata,"a",@progbits
	.p2align	6, 0x0
	.amdhsa_kernel _ZN7rocprim17ROCPRIM_400000_NS6detail17trampoline_kernelINS0_14default_configENS1_38merge_sort_block_merge_config_selectorItNS0_10empty_typeEEEZZNS1_27merge_sort_block_merge_implIS3_N6thrust23THRUST_200600_302600_NS6detail15normal_iteratorINS9_10device_ptrItEEEEPS5_m9comp_mod3ItEEE10hipError_tT0_T1_T2_jT3_P12ihipStream_tbPNSt15iterator_traitsISJ_E10value_typeEPNSP_ISK_E10value_typeEPSL_NS1_7vsmem_tEENKUlT_SJ_SK_SL_E_clIPtSE_SF_SF_EESI_SY_SJ_SK_SL_EUlSY_E_NS1_11comp_targetILNS1_3genE10ELNS1_11target_archE1201ELNS1_3gpuE5ELNS1_3repE0EEENS1_48merge_mergepath_partition_config_static_selectorELNS0_4arch9wavefront6targetE0EEEvSK_
		.amdhsa_group_segment_fixed_size 0
		.amdhsa_private_segment_fixed_size 0
		.amdhsa_kernarg_size 48
		.amdhsa_user_sgpr_count 6
		.amdhsa_user_sgpr_private_segment_buffer 1
		.amdhsa_user_sgpr_dispatch_ptr 0
		.amdhsa_user_sgpr_queue_ptr 0
		.amdhsa_user_sgpr_kernarg_segment_ptr 1
		.amdhsa_user_sgpr_dispatch_id 0
		.amdhsa_user_sgpr_flat_scratch_init 0
		.amdhsa_user_sgpr_private_segment_size 0
		.amdhsa_wavefront_size32 1
		.amdhsa_uses_dynamic_stack 0
		.amdhsa_system_sgpr_private_segment_wavefront_offset 0
		.amdhsa_system_sgpr_workgroup_id_x 1
		.amdhsa_system_sgpr_workgroup_id_y 0
		.amdhsa_system_sgpr_workgroup_id_z 0
		.amdhsa_system_sgpr_workgroup_info 0
		.amdhsa_system_vgpr_workitem_id 0
		.amdhsa_next_free_vgpr 1
		.amdhsa_next_free_sgpr 1
		.amdhsa_reserve_vcc 0
		.amdhsa_reserve_flat_scratch 0
		.amdhsa_float_round_mode_32 0
		.amdhsa_float_round_mode_16_64 0
		.amdhsa_float_denorm_mode_32 3
		.amdhsa_float_denorm_mode_16_64 3
		.amdhsa_dx10_clamp 1
		.amdhsa_ieee_mode 1
		.amdhsa_fp16_overflow 0
		.amdhsa_workgroup_processor_mode 1
		.amdhsa_memory_ordered 1
		.amdhsa_forward_progress 1
		.amdhsa_shared_vgpr_count 0
		.amdhsa_exception_fp_ieee_invalid_op 0
		.amdhsa_exception_fp_denorm_src 0
		.amdhsa_exception_fp_ieee_div_zero 0
		.amdhsa_exception_fp_ieee_overflow 0
		.amdhsa_exception_fp_ieee_underflow 0
		.amdhsa_exception_fp_ieee_inexact 0
		.amdhsa_exception_int_div_zero 0
	.end_amdhsa_kernel
	.section	.text._ZN7rocprim17ROCPRIM_400000_NS6detail17trampoline_kernelINS0_14default_configENS1_38merge_sort_block_merge_config_selectorItNS0_10empty_typeEEEZZNS1_27merge_sort_block_merge_implIS3_N6thrust23THRUST_200600_302600_NS6detail15normal_iteratorINS9_10device_ptrItEEEEPS5_m9comp_mod3ItEEE10hipError_tT0_T1_T2_jT3_P12ihipStream_tbPNSt15iterator_traitsISJ_E10value_typeEPNSP_ISK_E10value_typeEPSL_NS1_7vsmem_tEENKUlT_SJ_SK_SL_E_clIPtSE_SF_SF_EESI_SY_SJ_SK_SL_EUlSY_E_NS1_11comp_targetILNS1_3genE10ELNS1_11target_archE1201ELNS1_3gpuE5ELNS1_3repE0EEENS1_48merge_mergepath_partition_config_static_selectorELNS0_4arch9wavefront6targetE0EEEvSK_,"axG",@progbits,_ZN7rocprim17ROCPRIM_400000_NS6detail17trampoline_kernelINS0_14default_configENS1_38merge_sort_block_merge_config_selectorItNS0_10empty_typeEEEZZNS1_27merge_sort_block_merge_implIS3_N6thrust23THRUST_200600_302600_NS6detail15normal_iteratorINS9_10device_ptrItEEEEPS5_m9comp_mod3ItEEE10hipError_tT0_T1_T2_jT3_P12ihipStream_tbPNSt15iterator_traitsISJ_E10value_typeEPNSP_ISK_E10value_typeEPSL_NS1_7vsmem_tEENKUlT_SJ_SK_SL_E_clIPtSE_SF_SF_EESI_SY_SJ_SK_SL_EUlSY_E_NS1_11comp_targetILNS1_3genE10ELNS1_11target_archE1201ELNS1_3gpuE5ELNS1_3repE0EEENS1_48merge_mergepath_partition_config_static_selectorELNS0_4arch9wavefront6targetE0EEEvSK_,comdat
.Lfunc_end875:
	.size	_ZN7rocprim17ROCPRIM_400000_NS6detail17trampoline_kernelINS0_14default_configENS1_38merge_sort_block_merge_config_selectorItNS0_10empty_typeEEEZZNS1_27merge_sort_block_merge_implIS3_N6thrust23THRUST_200600_302600_NS6detail15normal_iteratorINS9_10device_ptrItEEEEPS5_m9comp_mod3ItEEE10hipError_tT0_T1_T2_jT3_P12ihipStream_tbPNSt15iterator_traitsISJ_E10value_typeEPNSP_ISK_E10value_typeEPSL_NS1_7vsmem_tEENKUlT_SJ_SK_SL_E_clIPtSE_SF_SF_EESI_SY_SJ_SK_SL_EUlSY_E_NS1_11comp_targetILNS1_3genE10ELNS1_11target_archE1201ELNS1_3gpuE5ELNS1_3repE0EEENS1_48merge_mergepath_partition_config_static_selectorELNS0_4arch9wavefront6targetE0EEEvSK_, .Lfunc_end875-_ZN7rocprim17ROCPRIM_400000_NS6detail17trampoline_kernelINS0_14default_configENS1_38merge_sort_block_merge_config_selectorItNS0_10empty_typeEEEZZNS1_27merge_sort_block_merge_implIS3_N6thrust23THRUST_200600_302600_NS6detail15normal_iteratorINS9_10device_ptrItEEEEPS5_m9comp_mod3ItEEE10hipError_tT0_T1_T2_jT3_P12ihipStream_tbPNSt15iterator_traitsISJ_E10value_typeEPNSP_ISK_E10value_typeEPSL_NS1_7vsmem_tEENKUlT_SJ_SK_SL_E_clIPtSE_SF_SF_EESI_SY_SJ_SK_SL_EUlSY_E_NS1_11comp_targetILNS1_3genE10ELNS1_11target_archE1201ELNS1_3gpuE5ELNS1_3repE0EEENS1_48merge_mergepath_partition_config_static_selectorELNS0_4arch9wavefront6targetE0EEEvSK_
                                        ; -- End function
	.set _ZN7rocprim17ROCPRIM_400000_NS6detail17trampoline_kernelINS0_14default_configENS1_38merge_sort_block_merge_config_selectorItNS0_10empty_typeEEEZZNS1_27merge_sort_block_merge_implIS3_N6thrust23THRUST_200600_302600_NS6detail15normal_iteratorINS9_10device_ptrItEEEEPS5_m9comp_mod3ItEEE10hipError_tT0_T1_T2_jT3_P12ihipStream_tbPNSt15iterator_traitsISJ_E10value_typeEPNSP_ISK_E10value_typeEPSL_NS1_7vsmem_tEENKUlT_SJ_SK_SL_E_clIPtSE_SF_SF_EESI_SY_SJ_SK_SL_EUlSY_E_NS1_11comp_targetILNS1_3genE10ELNS1_11target_archE1201ELNS1_3gpuE5ELNS1_3repE0EEENS1_48merge_mergepath_partition_config_static_selectorELNS0_4arch9wavefront6targetE0EEEvSK_.num_vgpr, 0
	.set _ZN7rocprim17ROCPRIM_400000_NS6detail17trampoline_kernelINS0_14default_configENS1_38merge_sort_block_merge_config_selectorItNS0_10empty_typeEEEZZNS1_27merge_sort_block_merge_implIS3_N6thrust23THRUST_200600_302600_NS6detail15normal_iteratorINS9_10device_ptrItEEEEPS5_m9comp_mod3ItEEE10hipError_tT0_T1_T2_jT3_P12ihipStream_tbPNSt15iterator_traitsISJ_E10value_typeEPNSP_ISK_E10value_typeEPSL_NS1_7vsmem_tEENKUlT_SJ_SK_SL_E_clIPtSE_SF_SF_EESI_SY_SJ_SK_SL_EUlSY_E_NS1_11comp_targetILNS1_3genE10ELNS1_11target_archE1201ELNS1_3gpuE5ELNS1_3repE0EEENS1_48merge_mergepath_partition_config_static_selectorELNS0_4arch9wavefront6targetE0EEEvSK_.num_agpr, 0
	.set _ZN7rocprim17ROCPRIM_400000_NS6detail17trampoline_kernelINS0_14default_configENS1_38merge_sort_block_merge_config_selectorItNS0_10empty_typeEEEZZNS1_27merge_sort_block_merge_implIS3_N6thrust23THRUST_200600_302600_NS6detail15normal_iteratorINS9_10device_ptrItEEEEPS5_m9comp_mod3ItEEE10hipError_tT0_T1_T2_jT3_P12ihipStream_tbPNSt15iterator_traitsISJ_E10value_typeEPNSP_ISK_E10value_typeEPSL_NS1_7vsmem_tEENKUlT_SJ_SK_SL_E_clIPtSE_SF_SF_EESI_SY_SJ_SK_SL_EUlSY_E_NS1_11comp_targetILNS1_3genE10ELNS1_11target_archE1201ELNS1_3gpuE5ELNS1_3repE0EEENS1_48merge_mergepath_partition_config_static_selectorELNS0_4arch9wavefront6targetE0EEEvSK_.numbered_sgpr, 0
	.set _ZN7rocprim17ROCPRIM_400000_NS6detail17trampoline_kernelINS0_14default_configENS1_38merge_sort_block_merge_config_selectorItNS0_10empty_typeEEEZZNS1_27merge_sort_block_merge_implIS3_N6thrust23THRUST_200600_302600_NS6detail15normal_iteratorINS9_10device_ptrItEEEEPS5_m9comp_mod3ItEEE10hipError_tT0_T1_T2_jT3_P12ihipStream_tbPNSt15iterator_traitsISJ_E10value_typeEPNSP_ISK_E10value_typeEPSL_NS1_7vsmem_tEENKUlT_SJ_SK_SL_E_clIPtSE_SF_SF_EESI_SY_SJ_SK_SL_EUlSY_E_NS1_11comp_targetILNS1_3genE10ELNS1_11target_archE1201ELNS1_3gpuE5ELNS1_3repE0EEENS1_48merge_mergepath_partition_config_static_selectorELNS0_4arch9wavefront6targetE0EEEvSK_.num_named_barrier, 0
	.set _ZN7rocprim17ROCPRIM_400000_NS6detail17trampoline_kernelINS0_14default_configENS1_38merge_sort_block_merge_config_selectorItNS0_10empty_typeEEEZZNS1_27merge_sort_block_merge_implIS3_N6thrust23THRUST_200600_302600_NS6detail15normal_iteratorINS9_10device_ptrItEEEEPS5_m9comp_mod3ItEEE10hipError_tT0_T1_T2_jT3_P12ihipStream_tbPNSt15iterator_traitsISJ_E10value_typeEPNSP_ISK_E10value_typeEPSL_NS1_7vsmem_tEENKUlT_SJ_SK_SL_E_clIPtSE_SF_SF_EESI_SY_SJ_SK_SL_EUlSY_E_NS1_11comp_targetILNS1_3genE10ELNS1_11target_archE1201ELNS1_3gpuE5ELNS1_3repE0EEENS1_48merge_mergepath_partition_config_static_selectorELNS0_4arch9wavefront6targetE0EEEvSK_.private_seg_size, 0
	.set _ZN7rocprim17ROCPRIM_400000_NS6detail17trampoline_kernelINS0_14default_configENS1_38merge_sort_block_merge_config_selectorItNS0_10empty_typeEEEZZNS1_27merge_sort_block_merge_implIS3_N6thrust23THRUST_200600_302600_NS6detail15normal_iteratorINS9_10device_ptrItEEEEPS5_m9comp_mod3ItEEE10hipError_tT0_T1_T2_jT3_P12ihipStream_tbPNSt15iterator_traitsISJ_E10value_typeEPNSP_ISK_E10value_typeEPSL_NS1_7vsmem_tEENKUlT_SJ_SK_SL_E_clIPtSE_SF_SF_EESI_SY_SJ_SK_SL_EUlSY_E_NS1_11comp_targetILNS1_3genE10ELNS1_11target_archE1201ELNS1_3gpuE5ELNS1_3repE0EEENS1_48merge_mergepath_partition_config_static_selectorELNS0_4arch9wavefront6targetE0EEEvSK_.uses_vcc, 0
	.set _ZN7rocprim17ROCPRIM_400000_NS6detail17trampoline_kernelINS0_14default_configENS1_38merge_sort_block_merge_config_selectorItNS0_10empty_typeEEEZZNS1_27merge_sort_block_merge_implIS3_N6thrust23THRUST_200600_302600_NS6detail15normal_iteratorINS9_10device_ptrItEEEEPS5_m9comp_mod3ItEEE10hipError_tT0_T1_T2_jT3_P12ihipStream_tbPNSt15iterator_traitsISJ_E10value_typeEPNSP_ISK_E10value_typeEPSL_NS1_7vsmem_tEENKUlT_SJ_SK_SL_E_clIPtSE_SF_SF_EESI_SY_SJ_SK_SL_EUlSY_E_NS1_11comp_targetILNS1_3genE10ELNS1_11target_archE1201ELNS1_3gpuE5ELNS1_3repE0EEENS1_48merge_mergepath_partition_config_static_selectorELNS0_4arch9wavefront6targetE0EEEvSK_.uses_flat_scratch, 0
	.set _ZN7rocprim17ROCPRIM_400000_NS6detail17trampoline_kernelINS0_14default_configENS1_38merge_sort_block_merge_config_selectorItNS0_10empty_typeEEEZZNS1_27merge_sort_block_merge_implIS3_N6thrust23THRUST_200600_302600_NS6detail15normal_iteratorINS9_10device_ptrItEEEEPS5_m9comp_mod3ItEEE10hipError_tT0_T1_T2_jT3_P12ihipStream_tbPNSt15iterator_traitsISJ_E10value_typeEPNSP_ISK_E10value_typeEPSL_NS1_7vsmem_tEENKUlT_SJ_SK_SL_E_clIPtSE_SF_SF_EESI_SY_SJ_SK_SL_EUlSY_E_NS1_11comp_targetILNS1_3genE10ELNS1_11target_archE1201ELNS1_3gpuE5ELNS1_3repE0EEENS1_48merge_mergepath_partition_config_static_selectorELNS0_4arch9wavefront6targetE0EEEvSK_.has_dyn_sized_stack, 0
	.set _ZN7rocprim17ROCPRIM_400000_NS6detail17trampoline_kernelINS0_14default_configENS1_38merge_sort_block_merge_config_selectorItNS0_10empty_typeEEEZZNS1_27merge_sort_block_merge_implIS3_N6thrust23THRUST_200600_302600_NS6detail15normal_iteratorINS9_10device_ptrItEEEEPS5_m9comp_mod3ItEEE10hipError_tT0_T1_T2_jT3_P12ihipStream_tbPNSt15iterator_traitsISJ_E10value_typeEPNSP_ISK_E10value_typeEPSL_NS1_7vsmem_tEENKUlT_SJ_SK_SL_E_clIPtSE_SF_SF_EESI_SY_SJ_SK_SL_EUlSY_E_NS1_11comp_targetILNS1_3genE10ELNS1_11target_archE1201ELNS1_3gpuE5ELNS1_3repE0EEENS1_48merge_mergepath_partition_config_static_selectorELNS0_4arch9wavefront6targetE0EEEvSK_.has_recursion, 0
	.set _ZN7rocprim17ROCPRIM_400000_NS6detail17trampoline_kernelINS0_14default_configENS1_38merge_sort_block_merge_config_selectorItNS0_10empty_typeEEEZZNS1_27merge_sort_block_merge_implIS3_N6thrust23THRUST_200600_302600_NS6detail15normal_iteratorINS9_10device_ptrItEEEEPS5_m9comp_mod3ItEEE10hipError_tT0_T1_T2_jT3_P12ihipStream_tbPNSt15iterator_traitsISJ_E10value_typeEPNSP_ISK_E10value_typeEPSL_NS1_7vsmem_tEENKUlT_SJ_SK_SL_E_clIPtSE_SF_SF_EESI_SY_SJ_SK_SL_EUlSY_E_NS1_11comp_targetILNS1_3genE10ELNS1_11target_archE1201ELNS1_3gpuE5ELNS1_3repE0EEENS1_48merge_mergepath_partition_config_static_selectorELNS0_4arch9wavefront6targetE0EEEvSK_.has_indirect_call, 0
	.section	.AMDGPU.csdata,"",@progbits
; Kernel info:
; codeLenInByte = 0
; TotalNumSgprs: 0
; NumVgprs: 0
; ScratchSize: 0
; MemoryBound: 0
; FloatMode: 240
; IeeeMode: 1
; LDSByteSize: 0 bytes/workgroup (compile time only)
; SGPRBlocks: 0
; VGPRBlocks: 0
; NumSGPRsForWavesPerEU: 1
; NumVGPRsForWavesPerEU: 1
; Occupancy: 16
; WaveLimiterHint : 0
; COMPUTE_PGM_RSRC2:SCRATCH_EN: 0
; COMPUTE_PGM_RSRC2:USER_SGPR: 6
; COMPUTE_PGM_RSRC2:TRAP_HANDLER: 0
; COMPUTE_PGM_RSRC2:TGID_X_EN: 1
; COMPUTE_PGM_RSRC2:TGID_Y_EN: 0
; COMPUTE_PGM_RSRC2:TGID_Z_EN: 0
; COMPUTE_PGM_RSRC2:TIDIG_COMP_CNT: 0
	.section	.text._ZN7rocprim17ROCPRIM_400000_NS6detail17trampoline_kernelINS0_14default_configENS1_38merge_sort_block_merge_config_selectorItNS0_10empty_typeEEEZZNS1_27merge_sort_block_merge_implIS3_N6thrust23THRUST_200600_302600_NS6detail15normal_iteratorINS9_10device_ptrItEEEEPS5_m9comp_mod3ItEEE10hipError_tT0_T1_T2_jT3_P12ihipStream_tbPNSt15iterator_traitsISJ_E10value_typeEPNSP_ISK_E10value_typeEPSL_NS1_7vsmem_tEENKUlT_SJ_SK_SL_E_clIPtSE_SF_SF_EESI_SY_SJ_SK_SL_EUlSY_E_NS1_11comp_targetILNS1_3genE5ELNS1_11target_archE942ELNS1_3gpuE9ELNS1_3repE0EEENS1_48merge_mergepath_partition_config_static_selectorELNS0_4arch9wavefront6targetE0EEEvSK_,"axG",@progbits,_ZN7rocprim17ROCPRIM_400000_NS6detail17trampoline_kernelINS0_14default_configENS1_38merge_sort_block_merge_config_selectorItNS0_10empty_typeEEEZZNS1_27merge_sort_block_merge_implIS3_N6thrust23THRUST_200600_302600_NS6detail15normal_iteratorINS9_10device_ptrItEEEEPS5_m9comp_mod3ItEEE10hipError_tT0_T1_T2_jT3_P12ihipStream_tbPNSt15iterator_traitsISJ_E10value_typeEPNSP_ISK_E10value_typeEPSL_NS1_7vsmem_tEENKUlT_SJ_SK_SL_E_clIPtSE_SF_SF_EESI_SY_SJ_SK_SL_EUlSY_E_NS1_11comp_targetILNS1_3genE5ELNS1_11target_archE942ELNS1_3gpuE9ELNS1_3repE0EEENS1_48merge_mergepath_partition_config_static_selectorELNS0_4arch9wavefront6targetE0EEEvSK_,comdat
	.protected	_ZN7rocprim17ROCPRIM_400000_NS6detail17trampoline_kernelINS0_14default_configENS1_38merge_sort_block_merge_config_selectorItNS0_10empty_typeEEEZZNS1_27merge_sort_block_merge_implIS3_N6thrust23THRUST_200600_302600_NS6detail15normal_iteratorINS9_10device_ptrItEEEEPS5_m9comp_mod3ItEEE10hipError_tT0_T1_T2_jT3_P12ihipStream_tbPNSt15iterator_traitsISJ_E10value_typeEPNSP_ISK_E10value_typeEPSL_NS1_7vsmem_tEENKUlT_SJ_SK_SL_E_clIPtSE_SF_SF_EESI_SY_SJ_SK_SL_EUlSY_E_NS1_11comp_targetILNS1_3genE5ELNS1_11target_archE942ELNS1_3gpuE9ELNS1_3repE0EEENS1_48merge_mergepath_partition_config_static_selectorELNS0_4arch9wavefront6targetE0EEEvSK_ ; -- Begin function _ZN7rocprim17ROCPRIM_400000_NS6detail17trampoline_kernelINS0_14default_configENS1_38merge_sort_block_merge_config_selectorItNS0_10empty_typeEEEZZNS1_27merge_sort_block_merge_implIS3_N6thrust23THRUST_200600_302600_NS6detail15normal_iteratorINS9_10device_ptrItEEEEPS5_m9comp_mod3ItEEE10hipError_tT0_T1_T2_jT3_P12ihipStream_tbPNSt15iterator_traitsISJ_E10value_typeEPNSP_ISK_E10value_typeEPSL_NS1_7vsmem_tEENKUlT_SJ_SK_SL_E_clIPtSE_SF_SF_EESI_SY_SJ_SK_SL_EUlSY_E_NS1_11comp_targetILNS1_3genE5ELNS1_11target_archE942ELNS1_3gpuE9ELNS1_3repE0EEENS1_48merge_mergepath_partition_config_static_selectorELNS0_4arch9wavefront6targetE0EEEvSK_
	.globl	_ZN7rocprim17ROCPRIM_400000_NS6detail17trampoline_kernelINS0_14default_configENS1_38merge_sort_block_merge_config_selectorItNS0_10empty_typeEEEZZNS1_27merge_sort_block_merge_implIS3_N6thrust23THRUST_200600_302600_NS6detail15normal_iteratorINS9_10device_ptrItEEEEPS5_m9comp_mod3ItEEE10hipError_tT0_T1_T2_jT3_P12ihipStream_tbPNSt15iterator_traitsISJ_E10value_typeEPNSP_ISK_E10value_typeEPSL_NS1_7vsmem_tEENKUlT_SJ_SK_SL_E_clIPtSE_SF_SF_EESI_SY_SJ_SK_SL_EUlSY_E_NS1_11comp_targetILNS1_3genE5ELNS1_11target_archE942ELNS1_3gpuE9ELNS1_3repE0EEENS1_48merge_mergepath_partition_config_static_selectorELNS0_4arch9wavefront6targetE0EEEvSK_
	.p2align	8
	.type	_ZN7rocprim17ROCPRIM_400000_NS6detail17trampoline_kernelINS0_14default_configENS1_38merge_sort_block_merge_config_selectorItNS0_10empty_typeEEEZZNS1_27merge_sort_block_merge_implIS3_N6thrust23THRUST_200600_302600_NS6detail15normal_iteratorINS9_10device_ptrItEEEEPS5_m9comp_mod3ItEEE10hipError_tT0_T1_T2_jT3_P12ihipStream_tbPNSt15iterator_traitsISJ_E10value_typeEPNSP_ISK_E10value_typeEPSL_NS1_7vsmem_tEENKUlT_SJ_SK_SL_E_clIPtSE_SF_SF_EESI_SY_SJ_SK_SL_EUlSY_E_NS1_11comp_targetILNS1_3genE5ELNS1_11target_archE942ELNS1_3gpuE9ELNS1_3repE0EEENS1_48merge_mergepath_partition_config_static_selectorELNS0_4arch9wavefront6targetE0EEEvSK_,@function
_ZN7rocprim17ROCPRIM_400000_NS6detail17trampoline_kernelINS0_14default_configENS1_38merge_sort_block_merge_config_selectorItNS0_10empty_typeEEEZZNS1_27merge_sort_block_merge_implIS3_N6thrust23THRUST_200600_302600_NS6detail15normal_iteratorINS9_10device_ptrItEEEEPS5_m9comp_mod3ItEEE10hipError_tT0_T1_T2_jT3_P12ihipStream_tbPNSt15iterator_traitsISJ_E10value_typeEPNSP_ISK_E10value_typeEPSL_NS1_7vsmem_tEENKUlT_SJ_SK_SL_E_clIPtSE_SF_SF_EESI_SY_SJ_SK_SL_EUlSY_E_NS1_11comp_targetILNS1_3genE5ELNS1_11target_archE942ELNS1_3gpuE9ELNS1_3repE0EEENS1_48merge_mergepath_partition_config_static_selectorELNS0_4arch9wavefront6targetE0EEEvSK_: ; @_ZN7rocprim17ROCPRIM_400000_NS6detail17trampoline_kernelINS0_14default_configENS1_38merge_sort_block_merge_config_selectorItNS0_10empty_typeEEEZZNS1_27merge_sort_block_merge_implIS3_N6thrust23THRUST_200600_302600_NS6detail15normal_iteratorINS9_10device_ptrItEEEEPS5_m9comp_mod3ItEEE10hipError_tT0_T1_T2_jT3_P12ihipStream_tbPNSt15iterator_traitsISJ_E10value_typeEPNSP_ISK_E10value_typeEPSL_NS1_7vsmem_tEENKUlT_SJ_SK_SL_E_clIPtSE_SF_SF_EESI_SY_SJ_SK_SL_EUlSY_E_NS1_11comp_targetILNS1_3genE5ELNS1_11target_archE942ELNS1_3gpuE9ELNS1_3repE0EEENS1_48merge_mergepath_partition_config_static_selectorELNS0_4arch9wavefront6targetE0EEEvSK_
; %bb.0:
	.section	.rodata,"a",@progbits
	.p2align	6, 0x0
	.amdhsa_kernel _ZN7rocprim17ROCPRIM_400000_NS6detail17trampoline_kernelINS0_14default_configENS1_38merge_sort_block_merge_config_selectorItNS0_10empty_typeEEEZZNS1_27merge_sort_block_merge_implIS3_N6thrust23THRUST_200600_302600_NS6detail15normal_iteratorINS9_10device_ptrItEEEEPS5_m9comp_mod3ItEEE10hipError_tT0_T1_T2_jT3_P12ihipStream_tbPNSt15iterator_traitsISJ_E10value_typeEPNSP_ISK_E10value_typeEPSL_NS1_7vsmem_tEENKUlT_SJ_SK_SL_E_clIPtSE_SF_SF_EESI_SY_SJ_SK_SL_EUlSY_E_NS1_11comp_targetILNS1_3genE5ELNS1_11target_archE942ELNS1_3gpuE9ELNS1_3repE0EEENS1_48merge_mergepath_partition_config_static_selectorELNS0_4arch9wavefront6targetE0EEEvSK_
		.amdhsa_group_segment_fixed_size 0
		.amdhsa_private_segment_fixed_size 0
		.amdhsa_kernarg_size 48
		.amdhsa_user_sgpr_count 6
		.amdhsa_user_sgpr_private_segment_buffer 1
		.amdhsa_user_sgpr_dispatch_ptr 0
		.amdhsa_user_sgpr_queue_ptr 0
		.amdhsa_user_sgpr_kernarg_segment_ptr 1
		.amdhsa_user_sgpr_dispatch_id 0
		.amdhsa_user_sgpr_flat_scratch_init 0
		.amdhsa_user_sgpr_private_segment_size 0
		.amdhsa_wavefront_size32 1
		.amdhsa_uses_dynamic_stack 0
		.amdhsa_system_sgpr_private_segment_wavefront_offset 0
		.amdhsa_system_sgpr_workgroup_id_x 1
		.amdhsa_system_sgpr_workgroup_id_y 0
		.amdhsa_system_sgpr_workgroup_id_z 0
		.amdhsa_system_sgpr_workgroup_info 0
		.amdhsa_system_vgpr_workitem_id 0
		.amdhsa_next_free_vgpr 1
		.amdhsa_next_free_sgpr 1
		.amdhsa_reserve_vcc 0
		.amdhsa_reserve_flat_scratch 0
		.amdhsa_float_round_mode_32 0
		.amdhsa_float_round_mode_16_64 0
		.amdhsa_float_denorm_mode_32 3
		.amdhsa_float_denorm_mode_16_64 3
		.amdhsa_dx10_clamp 1
		.amdhsa_ieee_mode 1
		.amdhsa_fp16_overflow 0
		.amdhsa_workgroup_processor_mode 1
		.amdhsa_memory_ordered 1
		.amdhsa_forward_progress 1
		.amdhsa_shared_vgpr_count 0
		.amdhsa_exception_fp_ieee_invalid_op 0
		.amdhsa_exception_fp_denorm_src 0
		.amdhsa_exception_fp_ieee_div_zero 0
		.amdhsa_exception_fp_ieee_overflow 0
		.amdhsa_exception_fp_ieee_underflow 0
		.amdhsa_exception_fp_ieee_inexact 0
		.amdhsa_exception_int_div_zero 0
	.end_amdhsa_kernel
	.section	.text._ZN7rocprim17ROCPRIM_400000_NS6detail17trampoline_kernelINS0_14default_configENS1_38merge_sort_block_merge_config_selectorItNS0_10empty_typeEEEZZNS1_27merge_sort_block_merge_implIS3_N6thrust23THRUST_200600_302600_NS6detail15normal_iteratorINS9_10device_ptrItEEEEPS5_m9comp_mod3ItEEE10hipError_tT0_T1_T2_jT3_P12ihipStream_tbPNSt15iterator_traitsISJ_E10value_typeEPNSP_ISK_E10value_typeEPSL_NS1_7vsmem_tEENKUlT_SJ_SK_SL_E_clIPtSE_SF_SF_EESI_SY_SJ_SK_SL_EUlSY_E_NS1_11comp_targetILNS1_3genE5ELNS1_11target_archE942ELNS1_3gpuE9ELNS1_3repE0EEENS1_48merge_mergepath_partition_config_static_selectorELNS0_4arch9wavefront6targetE0EEEvSK_,"axG",@progbits,_ZN7rocprim17ROCPRIM_400000_NS6detail17trampoline_kernelINS0_14default_configENS1_38merge_sort_block_merge_config_selectorItNS0_10empty_typeEEEZZNS1_27merge_sort_block_merge_implIS3_N6thrust23THRUST_200600_302600_NS6detail15normal_iteratorINS9_10device_ptrItEEEEPS5_m9comp_mod3ItEEE10hipError_tT0_T1_T2_jT3_P12ihipStream_tbPNSt15iterator_traitsISJ_E10value_typeEPNSP_ISK_E10value_typeEPSL_NS1_7vsmem_tEENKUlT_SJ_SK_SL_E_clIPtSE_SF_SF_EESI_SY_SJ_SK_SL_EUlSY_E_NS1_11comp_targetILNS1_3genE5ELNS1_11target_archE942ELNS1_3gpuE9ELNS1_3repE0EEENS1_48merge_mergepath_partition_config_static_selectorELNS0_4arch9wavefront6targetE0EEEvSK_,comdat
.Lfunc_end876:
	.size	_ZN7rocprim17ROCPRIM_400000_NS6detail17trampoline_kernelINS0_14default_configENS1_38merge_sort_block_merge_config_selectorItNS0_10empty_typeEEEZZNS1_27merge_sort_block_merge_implIS3_N6thrust23THRUST_200600_302600_NS6detail15normal_iteratorINS9_10device_ptrItEEEEPS5_m9comp_mod3ItEEE10hipError_tT0_T1_T2_jT3_P12ihipStream_tbPNSt15iterator_traitsISJ_E10value_typeEPNSP_ISK_E10value_typeEPSL_NS1_7vsmem_tEENKUlT_SJ_SK_SL_E_clIPtSE_SF_SF_EESI_SY_SJ_SK_SL_EUlSY_E_NS1_11comp_targetILNS1_3genE5ELNS1_11target_archE942ELNS1_3gpuE9ELNS1_3repE0EEENS1_48merge_mergepath_partition_config_static_selectorELNS0_4arch9wavefront6targetE0EEEvSK_, .Lfunc_end876-_ZN7rocprim17ROCPRIM_400000_NS6detail17trampoline_kernelINS0_14default_configENS1_38merge_sort_block_merge_config_selectorItNS0_10empty_typeEEEZZNS1_27merge_sort_block_merge_implIS3_N6thrust23THRUST_200600_302600_NS6detail15normal_iteratorINS9_10device_ptrItEEEEPS5_m9comp_mod3ItEEE10hipError_tT0_T1_T2_jT3_P12ihipStream_tbPNSt15iterator_traitsISJ_E10value_typeEPNSP_ISK_E10value_typeEPSL_NS1_7vsmem_tEENKUlT_SJ_SK_SL_E_clIPtSE_SF_SF_EESI_SY_SJ_SK_SL_EUlSY_E_NS1_11comp_targetILNS1_3genE5ELNS1_11target_archE942ELNS1_3gpuE9ELNS1_3repE0EEENS1_48merge_mergepath_partition_config_static_selectorELNS0_4arch9wavefront6targetE0EEEvSK_
                                        ; -- End function
	.set _ZN7rocprim17ROCPRIM_400000_NS6detail17trampoline_kernelINS0_14default_configENS1_38merge_sort_block_merge_config_selectorItNS0_10empty_typeEEEZZNS1_27merge_sort_block_merge_implIS3_N6thrust23THRUST_200600_302600_NS6detail15normal_iteratorINS9_10device_ptrItEEEEPS5_m9comp_mod3ItEEE10hipError_tT0_T1_T2_jT3_P12ihipStream_tbPNSt15iterator_traitsISJ_E10value_typeEPNSP_ISK_E10value_typeEPSL_NS1_7vsmem_tEENKUlT_SJ_SK_SL_E_clIPtSE_SF_SF_EESI_SY_SJ_SK_SL_EUlSY_E_NS1_11comp_targetILNS1_3genE5ELNS1_11target_archE942ELNS1_3gpuE9ELNS1_3repE0EEENS1_48merge_mergepath_partition_config_static_selectorELNS0_4arch9wavefront6targetE0EEEvSK_.num_vgpr, 0
	.set _ZN7rocprim17ROCPRIM_400000_NS6detail17trampoline_kernelINS0_14default_configENS1_38merge_sort_block_merge_config_selectorItNS0_10empty_typeEEEZZNS1_27merge_sort_block_merge_implIS3_N6thrust23THRUST_200600_302600_NS6detail15normal_iteratorINS9_10device_ptrItEEEEPS5_m9comp_mod3ItEEE10hipError_tT0_T1_T2_jT3_P12ihipStream_tbPNSt15iterator_traitsISJ_E10value_typeEPNSP_ISK_E10value_typeEPSL_NS1_7vsmem_tEENKUlT_SJ_SK_SL_E_clIPtSE_SF_SF_EESI_SY_SJ_SK_SL_EUlSY_E_NS1_11comp_targetILNS1_3genE5ELNS1_11target_archE942ELNS1_3gpuE9ELNS1_3repE0EEENS1_48merge_mergepath_partition_config_static_selectorELNS0_4arch9wavefront6targetE0EEEvSK_.num_agpr, 0
	.set _ZN7rocprim17ROCPRIM_400000_NS6detail17trampoline_kernelINS0_14default_configENS1_38merge_sort_block_merge_config_selectorItNS0_10empty_typeEEEZZNS1_27merge_sort_block_merge_implIS3_N6thrust23THRUST_200600_302600_NS6detail15normal_iteratorINS9_10device_ptrItEEEEPS5_m9comp_mod3ItEEE10hipError_tT0_T1_T2_jT3_P12ihipStream_tbPNSt15iterator_traitsISJ_E10value_typeEPNSP_ISK_E10value_typeEPSL_NS1_7vsmem_tEENKUlT_SJ_SK_SL_E_clIPtSE_SF_SF_EESI_SY_SJ_SK_SL_EUlSY_E_NS1_11comp_targetILNS1_3genE5ELNS1_11target_archE942ELNS1_3gpuE9ELNS1_3repE0EEENS1_48merge_mergepath_partition_config_static_selectorELNS0_4arch9wavefront6targetE0EEEvSK_.numbered_sgpr, 0
	.set _ZN7rocprim17ROCPRIM_400000_NS6detail17trampoline_kernelINS0_14default_configENS1_38merge_sort_block_merge_config_selectorItNS0_10empty_typeEEEZZNS1_27merge_sort_block_merge_implIS3_N6thrust23THRUST_200600_302600_NS6detail15normal_iteratorINS9_10device_ptrItEEEEPS5_m9comp_mod3ItEEE10hipError_tT0_T1_T2_jT3_P12ihipStream_tbPNSt15iterator_traitsISJ_E10value_typeEPNSP_ISK_E10value_typeEPSL_NS1_7vsmem_tEENKUlT_SJ_SK_SL_E_clIPtSE_SF_SF_EESI_SY_SJ_SK_SL_EUlSY_E_NS1_11comp_targetILNS1_3genE5ELNS1_11target_archE942ELNS1_3gpuE9ELNS1_3repE0EEENS1_48merge_mergepath_partition_config_static_selectorELNS0_4arch9wavefront6targetE0EEEvSK_.num_named_barrier, 0
	.set _ZN7rocprim17ROCPRIM_400000_NS6detail17trampoline_kernelINS0_14default_configENS1_38merge_sort_block_merge_config_selectorItNS0_10empty_typeEEEZZNS1_27merge_sort_block_merge_implIS3_N6thrust23THRUST_200600_302600_NS6detail15normal_iteratorINS9_10device_ptrItEEEEPS5_m9comp_mod3ItEEE10hipError_tT0_T1_T2_jT3_P12ihipStream_tbPNSt15iterator_traitsISJ_E10value_typeEPNSP_ISK_E10value_typeEPSL_NS1_7vsmem_tEENKUlT_SJ_SK_SL_E_clIPtSE_SF_SF_EESI_SY_SJ_SK_SL_EUlSY_E_NS1_11comp_targetILNS1_3genE5ELNS1_11target_archE942ELNS1_3gpuE9ELNS1_3repE0EEENS1_48merge_mergepath_partition_config_static_selectorELNS0_4arch9wavefront6targetE0EEEvSK_.private_seg_size, 0
	.set _ZN7rocprim17ROCPRIM_400000_NS6detail17trampoline_kernelINS0_14default_configENS1_38merge_sort_block_merge_config_selectorItNS0_10empty_typeEEEZZNS1_27merge_sort_block_merge_implIS3_N6thrust23THRUST_200600_302600_NS6detail15normal_iteratorINS9_10device_ptrItEEEEPS5_m9comp_mod3ItEEE10hipError_tT0_T1_T2_jT3_P12ihipStream_tbPNSt15iterator_traitsISJ_E10value_typeEPNSP_ISK_E10value_typeEPSL_NS1_7vsmem_tEENKUlT_SJ_SK_SL_E_clIPtSE_SF_SF_EESI_SY_SJ_SK_SL_EUlSY_E_NS1_11comp_targetILNS1_3genE5ELNS1_11target_archE942ELNS1_3gpuE9ELNS1_3repE0EEENS1_48merge_mergepath_partition_config_static_selectorELNS0_4arch9wavefront6targetE0EEEvSK_.uses_vcc, 0
	.set _ZN7rocprim17ROCPRIM_400000_NS6detail17trampoline_kernelINS0_14default_configENS1_38merge_sort_block_merge_config_selectorItNS0_10empty_typeEEEZZNS1_27merge_sort_block_merge_implIS3_N6thrust23THRUST_200600_302600_NS6detail15normal_iteratorINS9_10device_ptrItEEEEPS5_m9comp_mod3ItEEE10hipError_tT0_T1_T2_jT3_P12ihipStream_tbPNSt15iterator_traitsISJ_E10value_typeEPNSP_ISK_E10value_typeEPSL_NS1_7vsmem_tEENKUlT_SJ_SK_SL_E_clIPtSE_SF_SF_EESI_SY_SJ_SK_SL_EUlSY_E_NS1_11comp_targetILNS1_3genE5ELNS1_11target_archE942ELNS1_3gpuE9ELNS1_3repE0EEENS1_48merge_mergepath_partition_config_static_selectorELNS0_4arch9wavefront6targetE0EEEvSK_.uses_flat_scratch, 0
	.set _ZN7rocprim17ROCPRIM_400000_NS6detail17trampoline_kernelINS0_14default_configENS1_38merge_sort_block_merge_config_selectorItNS0_10empty_typeEEEZZNS1_27merge_sort_block_merge_implIS3_N6thrust23THRUST_200600_302600_NS6detail15normal_iteratorINS9_10device_ptrItEEEEPS5_m9comp_mod3ItEEE10hipError_tT0_T1_T2_jT3_P12ihipStream_tbPNSt15iterator_traitsISJ_E10value_typeEPNSP_ISK_E10value_typeEPSL_NS1_7vsmem_tEENKUlT_SJ_SK_SL_E_clIPtSE_SF_SF_EESI_SY_SJ_SK_SL_EUlSY_E_NS1_11comp_targetILNS1_3genE5ELNS1_11target_archE942ELNS1_3gpuE9ELNS1_3repE0EEENS1_48merge_mergepath_partition_config_static_selectorELNS0_4arch9wavefront6targetE0EEEvSK_.has_dyn_sized_stack, 0
	.set _ZN7rocprim17ROCPRIM_400000_NS6detail17trampoline_kernelINS0_14default_configENS1_38merge_sort_block_merge_config_selectorItNS0_10empty_typeEEEZZNS1_27merge_sort_block_merge_implIS3_N6thrust23THRUST_200600_302600_NS6detail15normal_iteratorINS9_10device_ptrItEEEEPS5_m9comp_mod3ItEEE10hipError_tT0_T1_T2_jT3_P12ihipStream_tbPNSt15iterator_traitsISJ_E10value_typeEPNSP_ISK_E10value_typeEPSL_NS1_7vsmem_tEENKUlT_SJ_SK_SL_E_clIPtSE_SF_SF_EESI_SY_SJ_SK_SL_EUlSY_E_NS1_11comp_targetILNS1_3genE5ELNS1_11target_archE942ELNS1_3gpuE9ELNS1_3repE0EEENS1_48merge_mergepath_partition_config_static_selectorELNS0_4arch9wavefront6targetE0EEEvSK_.has_recursion, 0
	.set _ZN7rocprim17ROCPRIM_400000_NS6detail17trampoline_kernelINS0_14default_configENS1_38merge_sort_block_merge_config_selectorItNS0_10empty_typeEEEZZNS1_27merge_sort_block_merge_implIS3_N6thrust23THRUST_200600_302600_NS6detail15normal_iteratorINS9_10device_ptrItEEEEPS5_m9comp_mod3ItEEE10hipError_tT0_T1_T2_jT3_P12ihipStream_tbPNSt15iterator_traitsISJ_E10value_typeEPNSP_ISK_E10value_typeEPSL_NS1_7vsmem_tEENKUlT_SJ_SK_SL_E_clIPtSE_SF_SF_EESI_SY_SJ_SK_SL_EUlSY_E_NS1_11comp_targetILNS1_3genE5ELNS1_11target_archE942ELNS1_3gpuE9ELNS1_3repE0EEENS1_48merge_mergepath_partition_config_static_selectorELNS0_4arch9wavefront6targetE0EEEvSK_.has_indirect_call, 0
	.section	.AMDGPU.csdata,"",@progbits
; Kernel info:
; codeLenInByte = 0
; TotalNumSgprs: 0
; NumVgprs: 0
; ScratchSize: 0
; MemoryBound: 0
; FloatMode: 240
; IeeeMode: 1
; LDSByteSize: 0 bytes/workgroup (compile time only)
; SGPRBlocks: 0
; VGPRBlocks: 0
; NumSGPRsForWavesPerEU: 1
; NumVGPRsForWavesPerEU: 1
; Occupancy: 16
; WaveLimiterHint : 0
; COMPUTE_PGM_RSRC2:SCRATCH_EN: 0
; COMPUTE_PGM_RSRC2:USER_SGPR: 6
; COMPUTE_PGM_RSRC2:TRAP_HANDLER: 0
; COMPUTE_PGM_RSRC2:TGID_X_EN: 1
; COMPUTE_PGM_RSRC2:TGID_Y_EN: 0
; COMPUTE_PGM_RSRC2:TGID_Z_EN: 0
; COMPUTE_PGM_RSRC2:TIDIG_COMP_CNT: 0
	.section	.text._ZN7rocprim17ROCPRIM_400000_NS6detail17trampoline_kernelINS0_14default_configENS1_38merge_sort_block_merge_config_selectorItNS0_10empty_typeEEEZZNS1_27merge_sort_block_merge_implIS3_N6thrust23THRUST_200600_302600_NS6detail15normal_iteratorINS9_10device_ptrItEEEEPS5_m9comp_mod3ItEEE10hipError_tT0_T1_T2_jT3_P12ihipStream_tbPNSt15iterator_traitsISJ_E10value_typeEPNSP_ISK_E10value_typeEPSL_NS1_7vsmem_tEENKUlT_SJ_SK_SL_E_clIPtSE_SF_SF_EESI_SY_SJ_SK_SL_EUlSY_E_NS1_11comp_targetILNS1_3genE4ELNS1_11target_archE910ELNS1_3gpuE8ELNS1_3repE0EEENS1_48merge_mergepath_partition_config_static_selectorELNS0_4arch9wavefront6targetE0EEEvSK_,"axG",@progbits,_ZN7rocprim17ROCPRIM_400000_NS6detail17trampoline_kernelINS0_14default_configENS1_38merge_sort_block_merge_config_selectorItNS0_10empty_typeEEEZZNS1_27merge_sort_block_merge_implIS3_N6thrust23THRUST_200600_302600_NS6detail15normal_iteratorINS9_10device_ptrItEEEEPS5_m9comp_mod3ItEEE10hipError_tT0_T1_T2_jT3_P12ihipStream_tbPNSt15iterator_traitsISJ_E10value_typeEPNSP_ISK_E10value_typeEPSL_NS1_7vsmem_tEENKUlT_SJ_SK_SL_E_clIPtSE_SF_SF_EESI_SY_SJ_SK_SL_EUlSY_E_NS1_11comp_targetILNS1_3genE4ELNS1_11target_archE910ELNS1_3gpuE8ELNS1_3repE0EEENS1_48merge_mergepath_partition_config_static_selectorELNS0_4arch9wavefront6targetE0EEEvSK_,comdat
	.protected	_ZN7rocprim17ROCPRIM_400000_NS6detail17trampoline_kernelINS0_14default_configENS1_38merge_sort_block_merge_config_selectorItNS0_10empty_typeEEEZZNS1_27merge_sort_block_merge_implIS3_N6thrust23THRUST_200600_302600_NS6detail15normal_iteratorINS9_10device_ptrItEEEEPS5_m9comp_mod3ItEEE10hipError_tT0_T1_T2_jT3_P12ihipStream_tbPNSt15iterator_traitsISJ_E10value_typeEPNSP_ISK_E10value_typeEPSL_NS1_7vsmem_tEENKUlT_SJ_SK_SL_E_clIPtSE_SF_SF_EESI_SY_SJ_SK_SL_EUlSY_E_NS1_11comp_targetILNS1_3genE4ELNS1_11target_archE910ELNS1_3gpuE8ELNS1_3repE0EEENS1_48merge_mergepath_partition_config_static_selectorELNS0_4arch9wavefront6targetE0EEEvSK_ ; -- Begin function _ZN7rocprim17ROCPRIM_400000_NS6detail17trampoline_kernelINS0_14default_configENS1_38merge_sort_block_merge_config_selectorItNS0_10empty_typeEEEZZNS1_27merge_sort_block_merge_implIS3_N6thrust23THRUST_200600_302600_NS6detail15normal_iteratorINS9_10device_ptrItEEEEPS5_m9comp_mod3ItEEE10hipError_tT0_T1_T2_jT3_P12ihipStream_tbPNSt15iterator_traitsISJ_E10value_typeEPNSP_ISK_E10value_typeEPSL_NS1_7vsmem_tEENKUlT_SJ_SK_SL_E_clIPtSE_SF_SF_EESI_SY_SJ_SK_SL_EUlSY_E_NS1_11comp_targetILNS1_3genE4ELNS1_11target_archE910ELNS1_3gpuE8ELNS1_3repE0EEENS1_48merge_mergepath_partition_config_static_selectorELNS0_4arch9wavefront6targetE0EEEvSK_
	.globl	_ZN7rocprim17ROCPRIM_400000_NS6detail17trampoline_kernelINS0_14default_configENS1_38merge_sort_block_merge_config_selectorItNS0_10empty_typeEEEZZNS1_27merge_sort_block_merge_implIS3_N6thrust23THRUST_200600_302600_NS6detail15normal_iteratorINS9_10device_ptrItEEEEPS5_m9comp_mod3ItEEE10hipError_tT0_T1_T2_jT3_P12ihipStream_tbPNSt15iterator_traitsISJ_E10value_typeEPNSP_ISK_E10value_typeEPSL_NS1_7vsmem_tEENKUlT_SJ_SK_SL_E_clIPtSE_SF_SF_EESI_SY_SJ_SK_SL_EUlSY_E_NS1_11comp_targetILNS1_3genE4ELNS1_11target_archE910ELNS1_3gpuE8ELNS1_3repE0EEENS1_48merge_mergepath_partition_config_static_selectorELNS0_4arch9wavefront6targetE0EEEvSK_
	.p2align	8
	.type	_ZN7rocprim17ROCPRIM_400000_NS6detail17trampoline_kernelINS0_14default_configENS1_38merge_sort_block_merge_config_selectorItNS0_10empty_typeEEEZZNS1_27merge_sort_block_merge_implIS3_N6thrust23THRUST_200600_302600_NS6detail15normal_iteratorINS9_10device_ptrItEEEEPS5_m9comp_mod3ItEEE10hipError_tT0_T1_T2_jT3_P12ihipStream_tbPNSt15iterator_traitsISJ_E10value_typeEPNSP_ISK_E10value_typeEPSL_NS1_7vsmem_tEENKUlT_SJ_SK_SL_E_clIPtSE_SF_SF_EESI_SY_SJ_SK_SL_EUlSY_E_NS1_11comp_targetILNS1_3genE4ELNS1_11target_archE910ELNS1_3gpuE8ELNS1_3repE0EEENS1_48merge_mergepath_partition_config_static_selectorELNS0_4arch9wavefront6targetE0EEEvSK_,@function
_ZN7rocprim17ROCPRIM_400000_NS6detail17trampoline_kernelINS0_14default_configENS1_38merge_sort_block_merge_config_selectorItNS0_10empty_typeEEEZZNS1_27merge_sort_block_merge_implIS3_N6thrust23THRUST_200600_302600_NS6detail15normal_iteratorINS9_10device_ptrItEEEEPS5_m9comp_mod3ItEEE10hipError_tT0_T1_T2_jT3_P12ihipStream_tbPNSt15iterator_traitsISJ_E10value_typeEPNSP_ISK_E10value_typeEPSL_NS1_7vsmem_tEENKUlT_SJ_SK_SL_E_clIPtSE_SF_SF_EESI_SY_SJ_SK_SL_EUlSY_E_NS1_11comp_targetILNS1_3genE4ELNS1_11target_archE910ELNS1_3gpuE8ELNS1_3repE0EEENS1_48merge_mergepath_partition_config_static_selectorELNS0_4arch9wavefront6targetE0EEEvSK_: ; @_ZN7rocprim17ROCPRIM_400000_NS6detail17trampoline_kernelINS0_14default_configENS1_38merge_sort_block_merge_config_selectorItNS0_10empty_typeEEEZZNS1_27merge_sort_block_merge_implIS3_N6thrust23THRUST_200600_302600_NS6detail15normal_iteratorINS9_10device_ptrItEEEEPS5_m9comp_mod3ItEEE10hipError_tT0_T1_T2_jT3_P12ihipStream_tbPNSt15iterator_traitsISJ_E10value_typeEPNSP_ISK_E10value_typeEPSL_NS1_7vsmem_tEENKUlT_SJ_SK_SL_E_clIPtSE_SF_SF_EESI_SY_SJ_SK_SL_EUlSY_E_NS1_11comp_targetILNS1_3genE4ELNS1_11target_archE910ELNS1_3gpuE8ELNS1_3repE0EEENS1_48merge_mergepath_partition_config_static_selectorELNS0_4arch9wavefront6targetE0EEEvSK_
; %bb.0:
	.section	.rodata,"a",@progbits
	.p2align	6, 0x0
	.amdhsa_kernel _ZN7rocprim17ROCPRIM_400000_NS6detail17trampoline_kernelINS0_14default_configENS1_38merge_sort_block_merge_config_selectorItNS0_10empty_typeEEEZZNS1_27merge_sort_block_merge_implIS3_N6thrust23THRUST_200600_302600_NS6detail15normal_iteratorINS9_10device_ptrItEEEEPS5_m9comp_mod3ItEEE10hipError_tT0_T1_T2_jT3_P12ihipStream_tbPNSt15iterator_traitsISJ_E10value_typeEPNSP_ISK_E10value_typeEPSL_NS1_7vsmem_tEENKUlT_SJ_SK_SL_E_clIPtSE_SF_SF_EESI_SY_SJ_SK_SL_EUlSY_E_NS1_11comp_targetILNS1_3genE4ELNS1_11target_archE910ELNS1_3gpuE8ELNS1_3repE0EEENS1_48merge_mergepath_partition_config_static_selectorELNS0_4arch9wavefront6targetE0EEEvSK_
		.amdhsa_group_segment_fixed_size 0
		.amdhsa_private_segment_fixed_size 0
		.amdhsa_kernarg_size 48
		.amdhsa_user_sgpr_count 6
		.amdhsa_user_sgpr_private_segment_buffer 1
		.amdhsa_user_sgpr_dispatch_ptr 0
		.amdhsa_user_sgpr_queue_ptr 0
		.amdhsa_user_sgpr_kernarg_segment_ptr 1
		.amdhsa_user_sgpr_dispatch_id 0
		.amdhsa_user_sgpr_flat_scratch_init 0
		.amdhsa_user_sgpr_private_segment_size 0
		.amdhsa_wavefront_size32 1
		.amdhsa_uses_dynamic_stack 0
		.amdhsa_system_sgpr_private_segment_wavefront_offset 0
		.amdhsa_system_sgpr_workgroup_id_x 1
		.amdhsa_system_sgpr_workgroup_id_y 0
		.amdhsa_system_sgpr_workgroup_id_z 0
		.amdhsa_system_sgpr_workgroup_info 0
		.amdhsa_system_vgpr_workitem_id 0
		.amdhsa_next_free_vgpr 1
		.amdhsa_next_free_sgpr 1
		.amdhsa_reserve_vcc 0
		.amdhsa_reserve_flat_scratch 0
		.amdhsa_float_round_mode_32 0
		.amdhsa_float_round_mode_16_64 0
		.amdhsa_float_denorm_mode_32 3
		.amdhsa_float_denorm_mode_16_64 3
		.amdhsa_dx10_clamp 1
		.amdhsa_ieee_mode 1
		.amdhsa_fp16_overflow 0
		.amdhsa_workgroup_processor_mode 1
		.amdhsa_memory_ordered 1
		.amdhsa_forward_progress 1
		.amdhsa_shared_vgpr_count 0
		.amdhsa_exception_fp_ieee_invalid_op 0
		.amdhsa_exception_fp_denorm_src 0
		.amdhsa_exception_fp_ieee_div_zero 0
		.amdhsa_exception_fp_ieee_overflow 0
		.amdhsa_exception_fp_ieee_underflow 0
		.amdhsa_exception_fp_ieee_inexact 0
		.amdhsa_exception_int_div_zero 0
	.end_amdhsa_kernel
	.section	.text._ZN7rocprim17ROCPRIM_400000_NS6detail17trampoline_kernelINS0_14default_configENS1_38merge_sort_block_merge_config_selectorItNS0_10empty_typeEEEZZNS1_27merge_sort_block_merge_implIS3_N6thrust23THRUST_200600_302600_NS6detail15normal_iteratorINS9_10device_ptrItEEEEPS5_m9comp_mod3ItEEE10hipError_tT0_T1_T2_jT3_P12ihipStream_tbPNSt15iterator_traitsISJ_E10value_typeEPNSP_ISK_E10value_typeEPSL_NS1_7vsmem_tEENKUlT_SJ_SK_SL_E_clIPtSE_SF_SF_EESI_SY_SJ_SK_SL_EUlSY_E_NS1_11comp_targetILNS1_3genE4ELNS1_11target_archE910ELNS1_3gpuE8ELNS1_3repE0EEENS1_48merge_mergepath_partition_config_static_selectorELNS0_4arch9wavefront6targetE0EEEvSK_,"axG",@progbits,_ZN7rocprim17ROCPRIM_400000_NS6detail17trampoline_kernelINS0_14default_configENS1_38merge_sort_block_merge_config_selectorItNS0_10empty_typeEEEZZNS1_27merge_sort_block_merge_implIS3_N6thrust23THRUST_200600_302600_NS6detail15normal_iteratorINS9_10device_ptrItEEEEPS5_m9comp_mod3ItEEE10hipError_tT0_T1_T2_jT3_P12ihipStream_tbPNSt15iterator_traitsISJ_E10value_typeEPNSP_ISK_E10value_typeEPSL_NS1_7vsmem_tEENKUlT_SJ_SK_SL_E_clIPtSE_SF_SF_EESI_SY_SJ_SK_SL_EUlSY_E_NS1_11comp_targetILNS1_3genE4ELNS1_11target_archE910ELNS1_3gpuE8ELNS1_3repE0EEENS1_48merge_mergepath_partition_config_static_selectorELNS0_4arch9wavefront6targetE0EEEvSK_,comdat
.Lfunc_end877:
	.size	_ZN7rocprim17ROCPRIM_400000_NS6detail17trampoline_kernelINS0_14default_configENS1_38merge_sort_block_merge_config_selectorItNS0_10empty_typeEEEZZNS1_27merge_sort_block_merge_implIS3_N6thrust23THRUST_200600_302600_NS6detail15normal_iteratorINS9_10device_ptrItEEEEPS5_m9comp_mod3ItEEE10hipError_tT0_T1_T2_jT3_P12ihipStream_tbPNSt15iterator_traitsISJ_E10value_typeEPNSP_ISK_E10value_typeEPSL_NS1_7vsmem_tEENKUlT_SJ_SK_SL_E_clIPtSE_SF_SF_EESI_SY_SJ_SK_SL_EUlSY_E_NS1_11comp_targetILNS1_3genE4ELNS1_11target_archE910ELNS1_3gpuE8ELNS1_3repE0EEENS1_48merge_mergepath_partition_config_static_selectorELNS0_4arch9wavefront6targetE0EEEvSK_, .Lfunc_end877-_ZN7rocprim17ROCPRIM_400000_NS6detail17trampoline_kernelINS0_14default_configENS1_38merge_sort_block_merge_config_selectorItNS0_10empty_typeEEEZZNS1_27merge_sort_block_merge_implIS3_N6thrust23THRUST_200600_302600_NS6detail15normal_iteratorINS9_10device_ptrItEEEEPS5_m9comp_mod3ItEEE10hipError_tT0_T1_T2_jT3_P12ihipStream_tbPNSt15iterator_traitsISJ_E10value_typeEPNSP_ISK_E10value_typeEPSL_NS1_7vsmem_tEENKUlT_SJ_SK_SL_E_clIPtSE_SF_SF_EESI_SY_SJ_SK_SL_EUlSY_E_NS1_11comp_targetILNS1_3genE4ELNS1_11target_archE910ELNS1_3gpuE8ELNS1_3repE0EEENS1_48merge_mergepath_partition_config_static_selectorELNS0_4arch9wavefront6targetE0EEEvSK_
                                        ; -- End function
	.set _ZN7rocprim17ROCPRIM_400000_NS6detail17trampoline_kernelINS0_14default_configENS1_38merge_sort_block_merge_config_selectorItNS0_10empty_typeEEEZZNS1_27merge_sort_block_merge_implIS3_N6thrust23THRUST_200600_302600_NS6detail15normal_iteratorINS9_10device_ptrItEEEEPS5_m9comp_mod3ItEEE10hipError_tT0_T1_T2_jT3_P12ihipStream_tbPNSt15iterator_traitsISJ_E10value_typeEPNSP_ISK_E10value_typeEPSL_NS1_7vsmem_tEENKUlT_SJ_SK_SL_E_clIPtSE_SF_SF_EESI_SY_SJ_SK_SL_EUlSY_E_NS1_11comp_targetILNS1_3genE4ELNS1_11target_archE910ELNS1_3gpuE8ELNS1_3repE0EEENS1_48merge_mergepath_partition_config_static_selectorELNS0_4arch9wavefront6targetE0EEEvSK_.num_vgpr, 0
	.set _ZN7rocprim17ROCPRIM_400000_NS6detail17trampoline_kernelINS0_14default_configENS1_38merge_sort_block_merge_config_selectorItNS0_10empty_typeEEEZZNS1_27merge_sort_block_merge_implIS3_N6thrust23THRUST_200600_302600_NS6detail15normal_iteratorINS9_10device_ptrItEEEEPS5_m9comp_mod3ItEEE10hipError_tT0_T1_T2_jT3_P12ihipStream_tbPNSt15iterator_traitsISJ_E10value_typeEPNSP_ISK_E10value_typeEPSL_NS1_7vsmem_tEENKUlT_SJ_SK_SL_E_clIPtSE_SF_SF_EESI_SY_SJ_SK_SL_EUlSY_E_NS1_11comp_targetILNS1_3genE4ELNS1_11target_archE910ELNS1_3gpuE8ELNS1_3repE0EEENS1_48merge_mergepath_partition_config_static_selectorELNS0_4arch9wavefront6targetE0EEEvSK_.num_agpr, 0
	.set _ZN7rocprim17ROCPRIM_400000_NS6detail17trampoline_kernelINS0_14default_configENS1_38merge_sort_block_merge_config_selectorItNS0_10empty_typeEEEZZNS1_27merge_sort_block_merge_implIS3_N6thrust23THRUST_200600_302600_NS6detail15normal_iteratorINS9_10device_ptrItEEEEPS5_m9comp_mod3ItEEE10hipError_tT0_T1_T2_jT3_P12ihipStream_tbPNSt15iterator_traitsISJ_E10value_typeEPNSP_ISK_E10value_typeEPSL_NS1_7vsmem_tEENKUlT_SJ_SK_SL_E_clIPtSE_SF_SF_EESI_SY_SJ_SK_SL_EUlSY_E_NS1_11comp_targetILNS1_3genE4ELNS1_11target_archE910ELNS1_3gpuE8ELNS1_3repE0EEENS1_48merge_mergepath_partition_config_static_selectorELNS0_4arch9wavefront6targetE0EEEvSK_.numbered_sgpr, 0
	.set _ZN7rocprim17ROCPRIM_400000_NS6detail17trampoline_kernelINS0_14default_configENS1_38merge_sort_block_merge_config_selectorItNS0_10empty_typeEEEZZNS1_27merge_sort_block_merge_implIS3_N6thrust23THRUST_200600_302600_NS6detail15normal_iteratorINS9_10device_ptrItEEEEPS5_m9comp_mod3ItEEE10hipError_tT0_T1_T2_jT3_P12ihipStream_tbPNSt15iterator_traitsISJ_E10value_typeEPNSP_ISK_E10value_typeEPSL_NS1_7vsmem_tEENKUlT_SJ_SK_SL_E_clIPtSE_SF_SF_EESI_SY_SJ_SK_SL_EUlSY_E_NS1_11comp_targetILNS1_3genE4ELNS1_11target_archE910ELNS1_3gpuE8ELNS1_3repE0EEENS1_48merge_mergepath_partition_config_static_selectorELNS0_4arch9wavefront6targetE0EEEvSK_.num_named_barrier, 0
	.set _ZN7rocprim17ROCPRIM_400000_NS6detail17trampoline_kernelINS0_14default_configENS1_38merge_sort_block_merge_config_selectorItNS0_10empty_typeEEEZZNS1_27merge_sort_block_merge_implIS3_N6thrust23THRUST_200600_302600_NS6detail15normal_iteratorINS9_10device_ptrItEEEEPS5_m9comp_mod3ItEEE10hipError_tT0_T1_T2_jT3_P12ihipStream_tbPNSt15iterator_traitsISJ_E10value_typeEPNSP_ISK_E10value_typeEPSL_NS1_7vsmem_tEENKUlT_SJ_SK_SL_E_clIPtSE_SF_SF_EESI_SY_SJ_SK_SL_EUlSY_E_NS1_11comp_targetILNS1_3genE4ELNS1_11target_archE910ELNS1_3gpuE8ELNS1_3repE0EEENS1_48merge_mergepath_partition_config_static_selectorELNS0_4arch9wavefront6targetE0EEEvSK_.private_seg_size, 0
	.set _ZN7rocprim17ROCPRIM_400000_NS6detail17trampoline_kernelINS0_14default_configENS1_38merge_sort_block_merge_config_selectorItNS0_10empty_typeEEEZZNS1_27merge_sort_block_merge_implIS3_N6thrust23THRUST_200600_302600_NS6detail15normal_iteratorINS9_10device_ptrItEEEEPS5_m9comp_mod3ItEEE10hipError_tT0_T1_T2_jT3_P12ihipStream_tbPNSt15iterator_traitsISJ_E10value_typeEPNSP_ISK_E10value_typeEPSL_NS1_7vsmem_tEENKUlT_SJ_SK_SL_E_clIPtSE_SF_SF_EESI_SY_SJ_SK_SL_EUlSY_E_NS1_11comp_targetILNS1_3genE4ELNS1_11target_archE910ELNS1_3gpuE8ELNS1_3repE0EEENS1_48merge_mergepath_partition_config_static_selectorELNS0_4arch9wavefront6targetE0EEEvSK_.uses_vcc, 0
	.set _ZN7rocprim17ROCPRIM_400000_NS6detail17trampoline_kernelINS0_14default_configENS1_38merge_sort_block_merge_config_selectorItNS0_10empty_typeEEEZZNS1_27merge_sort_block_merge_implIS3_N6thrust23THRUST_200600_302600_NS6detail15normal_iteratorINS9_10device_ptrItEEEEPS5_m9comp_mod3ItEEE10hipError_tT0_T1_T2_jT3_P12ihipStream_tbPNSt15iterator_traitsISJ_E10value_typeEPNSP_ISK_E10value_typeEPSL_NS1_7vsmem_tEENKUlT_SJ_SK_SL_E_clIPtSE_SF_SF_EESI_SY_SJ_SK_SL_EUlSY_E_NS1_11comp_targetILNS1_3genE4ELNS1_11target_archE910ELNS1_3gpuE8ELNS1_3repE0EEENS1_48merge_mergepath_partition_config_static_selectorELNS0_4arch9wavefront6targetE0EEEvSK_.uses_flat_scratch, 0
	.set _ZN7rocprim17ROCPRIM_400000_NS6detail17trampoline_kernelINS0_14default_configENS1_38merge_sort_block_merge_config_selectorItNS0_10empty_typeEEEZZNS1_27merge_sort_block_merge_implIS3_N6thrust23THRUST_200600_302600_NS6detail15normal_iteratorINS9_10device_ptrItEEEEPS5_m9comp_mod3ItEEE10hipError_tT0_T1_T2_jT3_P12ihipStream_tbPNSt15iterator_traitsISJ_E10value_typeEPNSP_ISK_E10value_typeEPSL_NS1_7vsmem_tEENKUlT_SJ_SK_SL_E_clIPtSE_SF_SF_EESI_SY_SJ_SK_SL_EUlSY_E_NS1_11comp_targetILNS1_3genE4ELNS1_11target_archE910ELNS1_3gpuE8ELNS1_3repE0EEENS1_48merge_mergepath_partition_config_static_selectorELNS0_4arch9wavefront6targetE0EEEvSK_.has_dyn_sized_stack, 0
	.set _ZN7rocprim17ROCPRIM_400000_NS6detail17trampoline_kernelINS0_14default_configENS1_38merge_sort_block_merge_config_selectorItNS0_10empty_typeEEEZZNS1_27merge_sort_block_merge_implIS3_N6thrust23THRUST_200600_302600_NS6detail15normal_iteratorINS9_10device_ptrItEEEEPS5_m9comp_mod3ItEEE10hipError_tT0_T1_T2_jT3_P12ihipStream_tbPNSt15iterator_traitsISJ_E10value_typeEPNSP_ISK_E10value_typeEPSL_NS1_7vsmem_tEENKUlT_SJ_SK_SL_E_clIPtSE_SF_SF_EESI_SY_SJ_SK_SL_EUlSY_E_NS1_11comp_targetILNS1_3genE4ELNS1_11target_archE910ELNS1_3gpuE8ELNS1_3repE0EEENS1_48merge_mergepath_partition_config_static_selectorELNS0_4arch9wavefront6targetE0EEEvSK_.has_recursion, 0
	.set _ZN7rocprim17ROCPRIM_400000_NS6detail17trampoline_kernelINS0_14default_configENS1_38merge_sort_block_merge_config_selectorItNS0_10empty_typeEEEZZNS1_27merge_sort_block_merge_implIS3_N6thrust23THRUST_200600_302600_NS6detail15normal_iteratorINS9_10device_ptrItEEEEPS5_m9comp_mod3ItEEE10hipError_tT0_T1_T2_jT3_P12ihipStream_tbPNSt15iterator_traitsISJ_E10value_typeEPNSP_ISK_E10value_typeEPSL_NS1_7vsmem_tEENKUlT_SJ_SK_SL_E_clIPtSE_SF_SF_EESI_SY_SJ_SK_SL_EUlSY_E_NS1_11comp_targetILNS1_3genE4ELNS1_11target_archE910ELNS1_3gpuE8ELNS1_3repE0EEENS1_48merge_mergepath_partition_config_static_selectorELNS0_4arch9wavefront6targetE0EEEvSK_.has_indirect_call, 0
	.section	.AMDGPU.csdata,"",@progbits
; Kernel info:
; codeLenInByte = 0
; TotalNumSgprs: 0
; NumVgprs: 0
; ScratchSize: 0
; MemoryBound: 0
; FloatMode: 240
; IeeeMode: 1
; LDSByteSize: 0 bytes/workgroup (compile time only)
; SGPRBlocks: 0
; VGPRBlocks: 0
; NumSGPRsForWavesPerEU: 1
; NumVGPRsForWavesPerEU: 1
; Occupancy: 16
; WaveLimiterHint : 0
; COMPUTE_PGM_RSRC2:SCRATCH_EN: 0
; COMPUTE_PGM_RSRC2:USER_SGPR: 6
; COMPUTE_PGM_RSRC2:TRAP_HANDLER: 0
; COMPUTE_PGM_RSRC2:TGID_X_EN: 1
; COMPUTE_PGM_RSRC2:TGID_Y_EN: 0
; COMPUTE_PGM_RSRC2:TGID_Z_EN: 0
; COMPUTE_PGM_RSRC2:TIDIG_COMP_CNT: 0
	.section	.text._ZN7rocprim17ROCPRIM_400000_NS6detail17trampoline_kernelINS0_14default_configENS1_38merge_sort_block_merge_config_selectorItNS0_10empty_typeEEEZZNS1_27merge_sort_block_merge_implIS3_N6thrust23THRUST_200600_302600_NS6detail15normal_iteratorINS9_10device_ptrItEEEEPS5_m9comp_mod3ItEEE10hipError_tT0_T1_T2_jT3_P12ihipStream_tbPNSt15iterator_traitsISJ_E10value_typeEPNSP_ISK_E10value_typeEPSL_NS1_7vsmem_tEENKUlT_SJ_SK_SL_E_clIPtSE_SF_SF_EESI_SY_SJ_SK_SL_EUlSY_E_NS1_11comp_targetILNS1_3genE3ELNS1_11target_archE908ELNS1_3gpuE7ELNS1_3repE0EEENS1_48merge_mergepath_partition_config_static_selectorELNS0_4arch9wavefront6targetE0EEEvSK_,"axG",@progbits,_ZN7rocprim17ROCPRIM_400000_NS6detail17trampoline_kernelINS0_14default_configENS1_38merge_sort_block_merge_config_selectorItNS0_10empty_typeEEEZZNS1_27merge_sort_block_merge_implIS3_N6thrust23THRUST_200600_302600_NS6detail15normal_iteratorINS9_10device_ptrItEEEEPS5_m9comp_mod3ItEEE10hipError_tT0_T1_T2_jT3_P12ihipStream_tbPNSt15iterator_traitsISJ_E10value_typeEPNSP_ISK_E10value_typeEPSL_NS1_7vsmem_tEENKUlT_SJ_SK_SL_E_clIPtSE_SF_SF_EESI_SY_SJ_SK_SL_EUlSY_E_NS1_11comp_targetILNS1_3genE3ELNS1_11target_archE908ELNS1_3gpuE7ELNS1_3repE0EEENS1_48merge_mergepath_partition_config_static_selectorELNS0_4arch9wavefront6targetE0EEEvSK_,comdat
	.protected	_ZN7rocprim17ROCPRIM_400000_NS6detail17trampoline_kernelINS0_14default_configENS1_38merge_sort_block_merge_config_selectorItNS0_10empty_typeEEEZZNS1_27merge_sort_block_merge_implIS3_N6thrust23THRUST_200600_302600_NS6detail15normal_iteratorINS9_10device_ptrItEEEEPS5_m9comp_mod3ItEEE10hipError_tT0_T1_T2_jT3_P12ihipStream_tbPNSt15iterator_traitsISJ_E10value_typeEPNSP_ISK_E10value_typeEPSL_NS1_7vsmem_tEENKUlT_SJ_SK_SL_E_clIPtSE_SF_SF_EESI_SY_SJ_SK_SL_EUlSY_E_NS1_11comp_targetILNS1_3genE3ELNS1_11target_archE908ELNS1_3gpuE7ELNS1_3repE0EEENS1_48merge_mergepath_partition_config_static_selectorELNS0_4arch9wavefront6targetE0EEEvSK_ ; -- Begin function _ZN7rocprim17ROCPRIM_400000_NS6detail17trampoline_kernelINS0_14default_configENS1_38merge_sort_block_merge_config_selectorItNS0_10empty_typeEEEZZNS1_27merge_sort_block_merge_implIS3_N6thrust23THRUST_200600_302600_NS6detail15normal_iteratorINS9_10device_ptrItEEEEPS5_m9comp_mod3ItEEE10hipError_tT0_T1_T2_jT3_P12ihipStream_tbPNSt15iterator_traitsISJ_E10value_typeEPNSP_ISK_E10value_typeEPSL_NS1_7vsmem_tEENKUlT_SJ_SK_SL_E_clIPtSE_SF_SF_EESI_SY_SJ_SK_SL_EUlSY_E_NS1_11comp_targetILNS1_3genE3ELNS1_11target_archE908ELNS1_3gpuE7ELNS1_3repE0EEENS1_48merge_mergepath_partition_config_static_selectorELNS0_4arch9wavefront6targetE0EEEvSK_
	.globl	_ZN7rocprim17ROCPRIM_400000_NS6detail17trampoline_kernelINS0_14default_configENS1_38merge_sort_block_merge_config_selectorItNS0_10empty_typeEEEZZNS1_27merge_sort_block_merge_implIS3_N6thrust23THRUST_200600_302600_NS6detail15normal_iteratorINS9_10device_ptrItEEEEPS5_m9comp_mod3ItEEE10hipError_tT0_T1_T2_jT3_P12ihipStream_tbPNSt15iterator_traitsISJ_E10value_typeEPNSP_ISK_E10value_typeEPSL_NS1_7vsmem_tEENKUlT_SJ_SK_SL_E_clIPtSE_SF_SF_EESI_SY_SJ_SK_SL_EUlSY_E_NS1_11comp_targetILNS1_3genE3ELNS1_11target_archE908ELNS1_3gpuE7ELNS1_3repE0EEENS1_48merge_mergepath_partition_config_static_selectorELNS0_4arch9wavefront6targetE0EEEvSK_
	.p2align	8
	.type	_ZN7rocprim17ROCPRIM_400000_NS6detail17trampoline_kernelINS0_14default_configENS1_38merge_sort_block_merge_config_selectorItNS0_10empty_typeEEEZZNS1_27merge_sort_block_merge_implIS3_N6thrust23THRUST_200600_302600_NS6detail15normal_iteratorINS9_10device_ptrItEEEEPS5_m9comp_mod3ItEEE10hipError_tT0_T1_T2_jT3_P12ihipStream_tbPNSt15iterator_traitsISJ_E10value_typeEPNSP_ISK_E10value_typeEPSL_NS1_7vsmem_tEENKUlT_SJ_SK_SL_E_clIPtSE_SF_SF_EESI_SY_SJ_SK_SL_EUlSY_E_NS1_11comp_targetILNS1_3genE3ELNS1_11target_archE908ELNS1_3gpuE7ELNS1_3repE0EEENS1_48merge_mergepath_partition_config_static_selectorELNS0_4arch9wavefront6targetE0EEEvSK_,@function
_ZN7rocprim17ROCPRIM_400000_NS6detail17trampoline_kernelINS0_14default_configENS1_38merge_sort_block_merge_config_selectorItNS0_10empty_typeEEEZZNS1_27merge_sort_block_merge_implIS3_N6thrust23THRUST_200600_302600_NS6detail15normal_iteratorINS9_10device_ptrItEEEEPS5_m9comp_mod3ItEEE10hipError_tT0_T1_T2_jT3_P12ihipStream_tbPNSt15iterator_traitsISJ_E10value_typeEPNSP_ISK_E10value_typeEPSL_NS1_7vsmem_tEENKUlT_SJ_SK_SL_E_clIPtSE_SF_SF_EESI_SY_SJ_SK_SL_EUlSY_E_NS1_11comp_targetILNS1_3genE3ELNS1_11target_archE908ELNS1_3gpuE7ELNS1_3repE0EEENS1_48merge_mergepath_partition_config_static_selectorELNS0_4arch9wavefront6targetE0EEEvSK_: ; @_ZN7rocprim17ROCPRIM_400000_NS6detail17trampoline_kernelINS0_14default_configENS1_38merge_sort_block_merge_config_selectorItNS0_10empty_typeEEEZZNS1_27merge_sort_block_merge_implIS3_N6thrust23THRUST_200600_302600_NS6detail15normal_iteratorINS9_10device_ptrItEEEEPS5_m9comp_mod3ItEEE10hipError_tT0_T1_T2_jT3_P12ihipStream_tbPNSt15iterator_traitsISJ_E10value_typeEPNSP_ISK_E10value_typeEPSL_NS1_7vsmem_tEENKUlT_SJ_SK_SL_E_clIPtSE_SF_SF_EESI_SY_SJ_SK_SL_EUlSY_E_NS1_11comp_targetILNS1_3genE3ELNS1_11target_archE908ELNS1_3gpuE7ELNS1_3repE0EEENS1_48merge_mergepath_partition_config_static_selectorELNS0_4arch9wavefront6targetE0EEEvSK_
; %bb.0:
	.section	.rodata,"a",@progbits
	.p2align	6, 0x0
	.amdhsa_kernel _ZN7rocprim17ROCPRIM_400000_NS6detail17trampoline_kernelINS0_14default_configENS1_38merge_sort_block_merge_config_selectorItNS0_10empty_typeEEEZZNS1_27merge_sort_block_merge_implIS3_N6thrust23THRUST_200600_302600_NS6detail15normal_iteratorINS9_10device_ptrItEEEEPS5_m9comp_mod3ItEEE10hipError_tT0_T1_T2_jT3_P12ihipStream_tbPNSt15iterator_traitsISJ_E10value_typeEPNSP_ISK_E10value_typeEPSL_NS1_7vsmem_tEENKUlT_SJ_SK_SL_E_clIPtSE_SF_SF_EESI_SY_SJ_SK_SL_EUlSY_E_NS1_11comp_targetILNS1_3genE3ELNS1_11target_archE908ELNS1_3gpuE7ELNS1_3repE0EEENS1_48merge_mergepath_partition_config_static_selectorELNS0_4arch9wavefront6targetE0EEEvSK_
		.amdhsa_group_segment_fixed_size 0
		.amdhsa_private_segment_fixed_size 0
		.amdhsa_kernarg_size 48
		.amdhsa_user_sgpr_count 6
		.amdhsa_user_sgpr_private_segment_buffer 1
		.amdhsa_user_sgpr_dispatch_ptr 0
		.amdhsa_user_sgpr_queue_ptr 0
		.amdhsa_user_sgpr_kernarg_segment_ptr 1
		.amdhsa_user_sgpr_dispatch_id 0
		.amdhsa_user_sgpr_flat_scratch_init 0
		.amdhsa_user_sgpr_private_segment_size 0
		.amdhsa_wavefront_size32 1
		.amdhsa_uses_dynamic_stack 0
		.amdhsa_system_sgpr_private_segment_wavefront_offset 0
		.amdhsa_system_sgpr_workgroup_id_x 1
		.amdhsa_system_sgpr_workgroup_id_y 0
		.amdhsa_system_sgpr_workgroup_id_z 0
		.amdhsa_system_sgpr_workgroup_info 0
		.amdhsa_system_vgpr_workitem_id 0
		.amdhsa_next_free_vgpr 1
		.amdhsa_next_free_sgpr 1
		.amdhsa_reserve_vcc 0
		.amdhsa_reserve_flat_scratch 0
		.amdhsa_float_round_mode_32 0
		.amdhsa_float_round_mode_16_64 0
		.amdhsa_float_denorm_mode_32 3
		.amdhsa_float_denorm_mode_16_64 3
		.amdhsa_dx10_clamp 1
		.amdhsa_ieee_mode 1
		.amdhsa_fp16_overflow 0
		.amdhsa_workgroup_processor_mode 1
		.amdhsa_memory_ordered 1
		.amdhsa_forward_progress 1
		.amdhsa_shared_vgpr_count 0
		.amdhsa_exception_fp_ieee_invalid_op 0
		.amdhsa_exception_fp_denorm_src 0
		.amdhsa_exception_fp_ieee_div_zero 0
		.amdhsa_exception_fp_ieee_overflow 0
		.amdhsa_exception_fp_ieee_underflow 0
		.amdhsa_exception_fp_ieee_inexact 0
		.amdhsa_exception_int_div_zero 0
	.end_amdhsa_kernel
	.section	.text._ZN7rocprim17ROCPRIM_400000_NS6detail17trampoline_kernelINS0_14default_configENS1_38merge_sort_block_merge_config_selectorItNS0_10empty_typeEEEZZNS1_27merge_sort_block_merge_implIS3_N6thrust23THRUST_200600_302600_NS6detail15normal_iteratorINS9_10device_ptrItEEEEPS5_m9comp_mod3ItEEE10hipError_tT0_T1_T2_jT3_P12ihipStream_tbPNSt15iterator_traitsISJ_E10value_typeEPNSP_ISK_E10value_typeEPSL_NS1_7vsmem_tEENKUlT_SJ_SK_SL_E_clIPtSE_SF_SF_EESI_SY_SJ_SK_SL_EUlSY_E_NS1_11comp_targetILNS1_3genE3ELNS1_11target_archE908ELNS1_3gpuE7ELNS1_3repE0EEENS1_48merge_mergepath_partition_config_static_selectorELNS0_4arch9wavefront6targetE0EEEvSK_,"axG",@progbits,_ZN7rocprim17ROCPRIM_400000_NS6detail17trampoline_kernelINS0_14default_configENS1_38merge_sort_block_merge_config_selectorItNS0_10empty_typeEEEZZNS1_27merge_sort_block_merge_implIS3_N6thrust23THRUST_200600_302600_NS6detail15normal_iteratorINS9_10device_ptrItEEEEPS5_m9comp_mod3ItEEE10hipError_tT0_T1_T2_jT3_P12ihipStream_tbPNSt15iterator_traitsISJ_E10value_typeEPNSP_ISK_E10value_typeEPSL_NS1_7vsmem_tEENKUlT_SJ_SK_SL_E_clIPtSE_SF_SF_EESI_SY_SJ_SK_SL_EUlSY_E_NS1_11comp_targetILNS1_3genE3ELNS1_11target_archE908ELNS1_3gpuE7ELNS1_3repE0EEENS1_48merge_mergepath_partition_config_static_selectorELNS0_4arch9wavefront6targetE0EEEvSK_,comdat
.Lfunc_end878:
	.size	_ZN7rocprim17ROCPRIM_400000_NS6detail17trampoline_kernelINS0_14default_configENS1_38merge_sort_block_merge_config_selectorItNS0_10empty_typeEEEZZNS1_27merge_sort_block_merge_implIS3_N6thrust23THRUST_200600_302600_NS6detail15normal_iteratorINS9_10device_ptrItEEEEPS5_m9comp_mod3ItEEE10hipError_tT0_T1_T2_jT3_P12ihipStream_tbPNSt15iterator_traitsISJ_E10value_typeEPNSP_ISK_E10value_typeEPSL_NS1_7vsmem_tEENKUlT_SJ_SK_SL_E_clIPtSE_SF_SF_EESI_SY_SJ_SK_SL_EUlSY_E_NS1_11comp_targetILNS1_3genE3ELNS1_11target_archE908ELNS1_3gpuE7ELNS1_3repE0EEENS1_48merge_mergepath_partition_config_static_selectorELNS0_4arch9wavefront6targetE0EEEvSK_, .Lfunc_end878-_ZN7rocprim17ROCPRIM_400000_NS6detail17trampoline_kernelINS0_14default_configENS1_38merge_sort_block_merge_config_selectorItNS0_10empty_typeEEEZZNS1_27merge_sort_block_merge_implIS3_N6thrust23THRUST_200600_302600_NS6detail15normal_iteratorINS9_10device_ptrItEEEEPS5_m9comp_mod3ItEEE10hipError_tT0_T1_T2_jT3_P12ihipStream_tbPNSt15iterator_traitsISJ_E10value_typeEPNSP_ISK_E10value_typeEPSL_NS1_7vsmem_tEENKUlT_SJ_SK_SL_E_clIPtSE_SF_SF_EESI_SY_SJ_SK_SL_EUlSY_E_NS1_11comp_targetILNS1_3genE3ELNS1_11target_archE908ELNS1_3gpuE7ELNS1_3repE0EEENS1_48merge_mergepath_partition_config_static_selectorELNS0_4arch9wavefront6targetE0EEEvSK_
                                        ; -- End function
	.set _ZN7rocprim17ROCPRIM_400000_NS6detail17trampoline_kernelINS0_14default_configENS1_38merge_sort_block_merge_config_selectorItNS0_10empty_typeEEEZZNS1_27merge_sort_block_merge_implIS3_N6thrust23THRUST_200600_302600_NS6detail15normal_iteratorINS9_10device_ptrItEEEEPS5_m9comp_mod3ItEEE10hipError_tT0_T1_T2_jT3_P12ihipStream_tbPNSt15iterator_traitsISJ_E10value_typeEPNSP_ISK_E10value_typeEPSL_NS1_7vsmem_tEENKUlT_SJ_SK_SL_E_clIPtSE_SF_SF_EESI_SY_SJ_SK_SL_EUlSY_E_NS1_11comp_targetILNS1_3genE3ELNS1_11target_archE908ELNS1_3gpuE7ELNS1_3repE0EEENS1_48merge_mergepath_partition_config_static_selectorELNS0_4arch9wavefront6targetE0EEEvSK_.num_vgpr, 0
	.set _ZN7rocprim17ROCPRIM_400000_NS6detail17trampoline_kernelINS0_14default_configENS1_38merge_sort_block_merge_config_selectorItNS0_10empty_typeEEEZZNS1_27merge_sort_block_merge_implIS3_N6thrust23THRUST_200600_302600_NS6detail15normal_iteratorINS9_10device_ptrItEEEEPS5_m9comp_mod3ItEEE10hipError_tT0_T1_T2_jT3_P12ihipStream_tbPNSt15iterator_traitsISJ_E10value_typeEPNSP_ISK_E10value_typeEPSL_NS1_7vsmem_tEENKUlT_SJ_SK_SL_E_clIPtSE_SF_SF_EESI_SY_SJ_SK_SL_EUlSY_E_NS1_11comp_targetILNS1_3genE3ELNS1_11target_archE908ELNS1_3gpuE7ELNS1_3repE0EEENS1_48merge_mergepath_partition_config_static_selectorELNS0_4arch9wavefront6targetE0EEEvSK_.num_agpr, 0
	.set _ZN7rocprim17ROCPRIM_400000_NS6detail17trampoline_kernelINS0_14default_configENS1_38merge_sort_block_merge_config_selectorItNS0_10empty_typeEEEZZNS1_27merge_sort_block_merge_implIS3_N6thrust23THRUST_200600_302600_NS6detail15normal_iteratorINS9_10device_ptrItEEEEPS5_m9comp_mod3ItEEE10hipError_tT0_T1_T2_jT3_P12ihipStream_tbPNSt15iterator_traitsISJ_E10value_typeEPNSP_ISK_E10value_typeEPSL_NS1_7vsmem_tEENKUlT_SJ_SK_SL_E_clIPtSE_SF_SF_EESI_SY_SJ_SK_SL_EUlSY_E_NS1_11comp_targetILNS1_3genE3ELNS1_11target_archE908ELNS1_3gpuE7ELNS1_3repE0EEENS1_48merge_mergepath_partition_config_static_selectorELNS0_4arch9wavefront6targetE0EEEvSK_.numbered_sgpr, 0
	.set _ZN7rocprim17ROCPRIM_400000_NS6detail17trampoline_kernelINS0_14default_configENS1_38merge_sort_block_merge_config_selectorItNS0_10empty_typeEEEZZNS1_27merge_sort_block_merge_implIS3_N6thrust23THRUST_200600_302600_NS6detail15normal_iteratorINS9_10device_ptrItEEEEPS5_m9comp_mod3ItEEE10hipError_tT0_T1_T2_jT3_P12ihipStream_tbPNSt15iterator_traitsISJ_E10value_typeEPNSP_ISK_E10value_typeEPSL_NS1_7vsmem_tEENKUlT_SJ_SK_SL_E_clIPtSE_SF_SF_EESI_SY_SJ_SK_SL_EUlSY_E_NS1_11comp_targetILNS1_3genE3ELNS1_11target_archE908ELNS1_3gpuE7ELNS1_3repE0EEENS1_48merge_mergepath_partition_config_static_selectorELNS0_4arch9wavefront6targetE0EEEvSK_.num_named_barrier, 0
	.set _ZN7rocprim17ROCPRIM_400000_NS6detail17trampoline_kernelINS0_14default_configENS1_38merge_sort_block_merge_config_selectorItNS0_10empty_typeEEEZZNS1_27merge_sort_block_merge_implIS3_N6thrust23THRUST_200600_302600_NS6detail15normal_iteratorINS9_10device_ptrItEEEEPS5_m9comp_mod3ItEEE10hipError_tT0_T1_T2_jT3_P12ihipStream_tbPNSt15iterator_traitsISJ_E10value_typeEPNSP_ISK_E10value_typeEPSL_NS1_7vsmem_tEENKUlT_SJ_SK_SL_E_clIPtSE_SF_SF_EESI_SY_SJ_SK_SL_EUlSY_E_NS1_11comp_targetILNS1_3genE3ELNS1_11target_archE908ELNS1_3gpuE7ELNS1_3repE0EEENS1_48merge_mergepath_partition_config_static_selectorELNS0_4arch9wavefront6targetE0EEEvSK_.private_seg_size, 0
	.set _ZN7rocprim17ROCPRIM_400000_NS6detail17trampoline_kernelINS0_14default_configENS1_38merge_sort_block_merge_config_selectorItNS0_10empty_typeEEEZZNS1_27merge_sort_block_merge_implIS3_N6thrust23THRUST_200600_302600_NS6detail15normal_iteratorINS9_10device_ptrItEEEEPS5_m9comp_mod3ItEEE10hipError_tT0_T1_T2_jT3_P12ihipStream_tbPNSt15iterator_traitsISJ_E10value_typeEPNSP_ISK_E10value_typeEPSL_NS1_7vsmem_tEENKUlT_SJ_SK_SL_E_clIPtSE_SF_SF_EESI_SY_SJ_SK_SL_EUlSY_E_NS1_11comp_targetILNS1_3genE3ELNS1_11target_archE908ELNS1_3gpuE7ELNS1_3repE0EEENS1_48merge_mergepath_partition_config_static_selectorELNS0_4arch9wavefront6targetE0EEEvSK_.uses_vcc, 0
	.set _ZN7rocprim17ROCPRIM_400000_NS6detail17trampoline_kernelINS0_14default_configENS1_38merge_sort_block_merge_config_selectorItNS0_10empty_typeEEEZZNS1_27merge_sort_block_merge_implIS3_N6thrust23THRUST_200600_302600_NS6detail15normal_iteratorINS9_10device_ptrItEEEEPS5_m9comp_mod3ItEEE10hipError_tT0_T1_T2_jT3_P12ihipStream_tbPNSt15iterator_traitsISJ_E10value_typeEPNSP_ISK_E10value_typeEPSL_NS1_7vsmem_tEENKUlT_SJ_SK_SL_E_clIPtSE_SF_SF_EESI_SY_SJ_SK_SL_EUlSY_E_NS1_11comp_targetILNS1_3genE3ELNS1_11target_archE908ELNS1_3gpuE7ELNS1_3repE0EEENS1_48merge_mergepath_partition_config_static_selectorELNS0_4arch9wavefront6targetE0EEEvSK_.uses_flat_scratch, 0
	.set _ZN7rocprim17ROCPRIM_400000_NS6detail17trampoline_kernelINS0_14default_configENS1_38merge_sort_block_merge_config_selectorItNS0_10empty_typeEEEZZNS1_27merge_sort_block_merge_implIS3_N6thrust23THRUST_200600_302600_NS6detail15normal_iteratorINS9_10device_ptrItEEEEPS5_m9comp_mod3ItEEE10hipError_tT0_T1_T2_jT3_P12ihipStream_tbPNSt15iterator_traitsISJ_E10value_typeEPNSP_ISK_E10value_typeEPSL_NS1_7vsmem_tEENKUlT_SJ_SK_SL_E_clIPtSE_SF_SF_EESI_SY_SJ_SK_SL_EUlSY_E_NS1_11comp_targetILNS1_3genE3ELNS1_11target_archE908ELNS1_3gpuE7ELNS1_3repE0EEENS1_48merge_mergepath_partition_config_static_selectorELNS0_4arch9wavefront6targetE0EEEvSK_.has_dyn_sized_stack, 0
	.set _ZN7rocprim17ROCPRIM_400000_NS6detail17trampoline_kernelINS0_14default_configENS1_38merge_sort_block_merge_config_selectorItNS0_10empty_typeEEEZZNS1_27merge_sort_block_merge_implIS3_N6thrust23THRUST_200600_302600_NS6detail15normal_iteratorINS9_10device_ptrItEEEEPS5_m9comp_mod3ItEEE10hipError_tT0_T1_T2_jT3_P12ihipStream_tbPNSt15iterator_traitsISJ_E10value_typeEPNSP_ISK_E10value_typeEPSL_NS1_7vsmem_tEENKUlT_SJ_SK_SL_E_clIPtSE_SF_SF_EESI_SY_SJ_SK_SL_EUlSY_E_NS1_11comp_targetILNS1_3genE3ELNS1_11target_archE908ELNS1_3gpuE7ELNS1_3repE0EEENS1_48merge_mergepath_partition_config_static_selectorELNS0_4arch9wavefront6targetE0EEEvSK_.has_recursion, 0
	.set _ZN7rocprim17ROCPRIM_400000_NS6detail17trampoline_kernelINS0_14default_configENS1_38merge_sort_block_merge_config_selectorItNS0_10empty_typeEEEZZNS1_27merge_sort_block_merge_implIS3_N6thrust23THRUST_200600_302600_NS6detail15normal_iteratorINS9_10device_ptrItEEEEPS5_m9comp_mod3ItEEE10hipError_tT0_T1_T2_jT3_P12ihipStream_tbPNSt15iterator_traitsISJ_E10value_typeEPNSP_ISK_E10value_typeEPSL_NS1_7vsmem_tEENKUlT_SJ_SK_SL_E_clIPtSE_SF_SF_EESI_SY_SJ_SK_SL_EUlSY_E_NS1_11comp_targetILNS1_3genE3ELNS1_11target_archE908ELNS1_3gpuE7ELNS1_3repE0EEENS1_48merge_mergepath_partition_config_static_selectorELNS0_4arch9wavefront6targetE0EEEvSK_.has_indirect_call, 0
	.section	.AMDGPU.csdata,"",@progbits
; Kernel info:
; codeLenInByte = 0
; TotalNumSgprs: 0
; NumVgprs: 0
; ScratchSize: 0
; MemoryBound: 0
; FloatMode: 240
; IeeeMode: 1
; LDSByteSize: 0 bytes/workgroup (compile time only)
; SGPRBlocks: 0
; VGPRBlocks: 0
; NumSGPRsForWavesPerEU: 1
; NumVGPRsForWavesPerEU: 1
; Occupancy: 16
; WaveLimiterHint : 0
; COMPUTE_PGM_RSRC2:SCRATCH_EN: 0
; COMPUTE_PGM_RSRC2:USER_SGPR: 6
; COMPUTE_PGM_RSRC2:TRAP_HANDLER: 0
; COMPUTE_PGM_RSRC2:TGID_X_EN: 1
; COMPUTE_PGM_RSRC2:TGID_Y_EN: 0
; COMPUTE_PGM_RSRC2:TGID_Z_EN: 0
; COMPUTE_PGM_RSRC2:TIDIG_COMP_CNT: 0
	.section	.text._ZN7rocprim17ROCPRIM_400000_NS6detail17trampoline_kernelINS0_14default_configENS1_38merge_sort_block_merge_config_selectorItNS0_10empty_typeEEEZZNS1_27merge_sort_block_merge_implIS3_N6thrust23THRUST_200600_302600_NS6detail15normal_iteratorINS9_10device_ptrItEEEEPS5_m9comp_mod3ItEEE10hipError_tT0_T1_T2_jT3_P12ihipStream_tbPNSt15iterator_traitsISJ_E10value_typeEPNSP_ISK_E10value_typeEPSL_NS1_7vsmem_tEENKUlT_SJ_SK_SL_E_clIPtSE_SF_SF_EESI_SY_SJ_SK_SL_EUlSY_E_NS1_11comp_targetILNS1_3genE2ELNS1_11target_archE906ELNS1_3gpuE6ELNS1_3repE0EEENS1_48merge_mergepath_partition_config_static_selectorELNS0_4arch9wavefront6targetE0EEEvSK_,"axG",@progbits,_ZN7rocprim17ROCPRIM_400000_NS6detail17trampoline_kernelINS0_14default_configENS1_38merge_sort_block_merge_config_selectorItNS0_10empty_typeEEEZZNS1_27merge_sort_block_merge_implIS3_N6thrust23THRUST_200600_302600_NS6detail15normal_iteratorINS9_10device_ptrItEEEEPS5_m9comp_mod3ItEEE10hipError_tT0_T1_T2_jT3_P12ihipStream_tbPNSt15iterator_traitsISJ_E10value_typeEPNSP_ISK_E10value_typeEPSL_NS1_7vsmem_tEENKUlT_SJ_SK_SL_E_clIPtSE_SF_SF_EESI_SY_SJ_SK_SL_EUlSY_E_NS1_11comp_targetILNS1_3genE2ELNS1_11target_archE906ELNS1_3gpuE6ELNS1_3repE0EEENS1_48merge_mergepath_partition_config_static_selectorELNS0_4arch9wavefront6targetE0EEEvSK_,comdat
	.protected	_ZN7rocprim17ROCPRIM_400000_NS6detail17trampoline_kernelINS0_14default_configENS1_38merge_sort_block_merge_config_selectorItNS0_10empty_typeEEEZZNS1_27merge_sort_block_merge_implIS3_N6thrust23THRUST_200600_302600_NS6detail15normal_iteratorINS9_10device_ptrItEEEEPS5_m9comp_mod3ItEEE10hipError_tT0_T1_T2_jT3_P12ihipStream_tbPNSt15iterator_traitsISJ_E10value_typeEPNSP_ISK_E10value_typeEPSL_NS1_7vsmem_tEENKUlT_SJ_SK_SL_E_clIPtSE_SF_SF_EESI_SY_SJ_SK_SL_EUlSY_E_NS1_11comp_targetILNS1_3genE2ELNS1_11target_archE906ELNS1_3gpuE6ELNS1_3repE0EEENS1_48merge_mergepath_partition_config_static_selectorELNS0_4arch9wavefront6targetE0EEEvSK_ ; -- Begin function _ZN7rocprim17ROCPRIM_400000_NS6detail17trampoline_kernelINS0_14default_configENS1_38merge_sort_block_merge_config_selectorItNS0_10empty_typeEEEZZNS1_27merge_sort_block_merge_implIS3_N6thrust23THRUST_200600_302600_NS6detail15normal_iteratorINS9_10device_ptrItEEEEPS5_m9comp_mod3ItEEE10hipError_tT0_T1_T2_jT3_P12ihipStream_tbPNSt15iterator_traitsISJ_E10value_typeEPNSP_ISK_E10value_typeEPSL_NS1_7vsmem_tEENKUlT_SJ_SK_SL_E_clIPtSE_SF_SF_EESI_SY_SJ_SK_SL_EUlSY_E_NS1_11comp_targetILNS1_3genE2ELNS1_11target_archE906ELNS1_3gpuE6ELNS1_3repE0EEENS1_48merge_mergepath_partition_config_static_selectorELNS0_4arch9wavefront6targetE0EEEvSK_
	.globl	_ZN7rocprim17ROCPRIM_400000_NS6detail17trampoline_kernelINS0_14default_configENS1_38merge_sort_block_merge_config_selectorItNS0_10empty_typeEEEZZNS1_27merge_sort_block_merge_implIS3_N6thrust23THRUST_200600_302600_NS6detail15normal_iteratorINS9_10device_ptrItEEEEPS5_m9comp_mod3ItEEE10hipError_tT0_T1_T2_jT3_P12ihipStream_tbPNSt15iterator_traitsISJ_E10value_typeEPNSP_ISK_E10value_typeEPSL_NS1_7vsmem_tEENKUlT_SJ_SK_SL_E_clIPtSE_SF_SF_EESI_SY_SJ_SK_SL_EUlSY_E_NS1_11comp_targetILNS1_3genE2ELNS1_11target_archE906ELNS1_3gpuE6ELNS1_3repE0EEENS1_48merge_mergepath_partition_config_static_selectorELNS0_4arch9wavefront6targetE0EEEvSK_
	.p2align	8
	.type	_ZN7rocprim17ROCPRIM_400000_NS6detail17trampoline_kernelINS0_14default_configENS1_38merge_sort_block_merge_config_selectorItNS0_10empty_typeEEEZZNS1_27merge_sort_block_merge_implIS3_N6thrust23THRUST_200600_302600_NS6detail15normal_iteratorINS9_10device_ptrItEEEEPS5_m9comp_mod3ItEEE10hipError_tT0_T1_T2_jT3_P12ihipStream_tbPNSt15iterator_traitsISJ_E10value_typeEPNSP_ISK_E10value_typeEPSL_NS1_7vsmem_tEENKUlT_SJ_SK_SL_E_clIPtSE_SF_SF_EESI_SY_SJ_SK_SL_EUlSY_E_NS1_11comp_targetILNS1_3genE2ELNS1_11target_archE906ELNS1_3gpuE6ELNS1_3repE0EEENS1_48merge_mergepath_partition_config_static_selectorELNS0_4arch9wavefront6targetE0EEEvSK_,@function
_ZN7rocprim17ROCPRIM_400000_NS6detail17trampoline_kernelINS0_14default_configENS1_38merge_sort_block_merge_config_selectorItNS0_10empty_typeEEEZZNS1_27merge_sort_block_merge_implIS3_N6thrust23THRUST_200600_302600_NS6detail15normal_iteratorINS9_10device_ptrItEEEEPS5_m9comp_mod3ItEEE10hipError_tT0_T1_T2_jT3_P12ihipStream_tbPNSt15iterator_traitsISJ_E10value_typeEPNSP_ISK_E10value_typeEPSL_NS1_7vsmem_tEENKUlT_SJ_SK_SL_E_clIPtSE_SF_SF_EESI_SY_SJ_SK_SL_EUlSY_E_NS1_11comp_targetILNS1_3genE2ELNS1_11target_archE906ELNS1_3gpuE6ELNS1_3repE0EEENS1_48merge_mergepath_partition_config_static_selectorELNS0_4arch9wavefront6targetE0EEEvSK_: ; @_ZN7rocprim17ROCPRIM_400000_NS6detail17trampoline_kernelINS0_14default_configENS1_38merge_sort_block_merge_config_selectorItNS0_10empty_typeEEEZZNS1_27merge_sort_block_merge_implIS3_N6thrust23THRUST_200600_302600_NS6detail15normal_iteratorINS9_10device_ptrItEEEEPS5_m9comp_mod3ItEEE10hipError_tT0_T1_T2_jT3_P12ihipStream_tbPNSt15iterator_traitsISJ_E10value_typeEPNSP_ISK_E10value_typeEPSL_NS1_7vsmem_tEENKUlT_SJ_SK_SL_E_clIPtSE_SF_SF_EESI_SY_SJ_SK_SL_EUlSY_E_NS1_11comp_targetILNS1_3genE2ELNS1_11target_archE906ELNS1_3gpuE6ELNS1_3repE0EEENS1_48merge_mergepath_partition_config_static_selectorELNS0_4arch9wavefront6targetE0EEEvSK_
; %bb.0:
	.section	.rodata,"a",@progbits
	.p2align	6, 0x0
	.amdhsa_kernel _ZN7rocprim17ROCPRIM_400000_NS6detail17trampoline_kernelINS0_14default_configENS1_38merge_sort_block_merge_config_selectorItNS0_10empty_typeEEEZZNS1_27merge_sort_block_merge_implIS3_N6thrust23THRUST_200600_302600_NS6detail15normal_iteratorINS9_10device_ptrItEEEEPS5_m9comp_mod3ItEEE10hipError_tT0_T1_T2_jT3_P12ihipStream_tbPNSt15iterator_traitsISJ_E10value_typeEPNSP_ISK_E10value_typeEPSL_NS1_7vsmem_tEENKUlT_SJ_SK_SL_E_clIPtSE_SF_SF_EESI_SY_SJ_SK_SL_EUlSY_E_NS1_11comp_targetILNS1_3genE2ELNS1_11target_archE906ELNS1_3gpuE6ELNS1_3repE0EEENS1_48merge_mergepath_partition_config_static_selectorELNS0_4arch9wavefront6targetE0EEEvSK_
		.amdhsa_group_segment_fixed_size 0
		.amdhsa_private_segment_fixed_size 0
		.amdhsa_kernarg_size 48
		.amdhsa_user_sgpr_count 6
		.amdhsa_user_sgpr_private_segment_buffer 1
		.amdhsa_user_sgpr_dispatch_ptr 0
		.amdhsa_user_sgpr_queue_ptr 0
		.amdhsa_user_sgpr_kernarg_segment_ptr 1
		.amdhsa_user_sgpr_dispatch_id 0
		.amdhsa_user_sgpr_flat_scratch_init 0
		.amdhsa_user_sgpr_private_segment_size 0
		.amdhsa_wavefront_size32 1
		.amdhsa_uses_dynamic_stack 0
		.amdhsa_system_sgpr_private_segment_wavefront_offset 0
		.amdhsa_system_sgpr_workgroup_id_x 1
		.amdhsa_system_sgpr_workgroup_id_y 0
		.amdhsa_system_sgpr_workgroup_id_z 0
		.amdhsa_system_sgpr_workgroup_info 0
		.amdhsa_system_vgpr_workitem_id 0
		.amdhsa_next_free_vgpr 1
		.amdhsa_next_free_sgpr 1
		.amdhsa_reserve_vcc 0
		.amdhsa_reserve_flat_scratch 0
		.amdhsa_float_round_mode_32 0
		.amdhsa_float_round_mode_16_64 0
		.amdhsa_float_denorm_mode_32 3
		.amdhsa_float_denorm_mode_16_64 3
		.amdhsa_dx10_clamp 1
		.amdhsa_ieee_mode 1
		.amdhsa_fp16_overflow 0
		.amdhsa_workgroup_processor_mode 1
		.amdhsa_memory_ordered 1
		.amdhsa_forward_progress 1
		.amdhsa_shared_vgpr_count 0
		.amdhsa_exception_fp_ieee_invalid_op 0
		.amdhsa_exception_fp_denorm_src 0
		.amdhsa_exception_fp_ieee_div_zero 0
		.amdhsa_exception_fp_ieee_overflow 0
		.amdhsa_exception_fp_ieee_underflow 0
		.amdhsa_exception_fp_ieee_inexact 0
		.amdhsa_exception_int_div_zero 0
	.end_amdhsa_kernel
	.section	.text._ZN7rocprim17ROCPRIM_400000_NS6detail17trampoline_kernelINS0_14default_configENS1_38merge_sort_block_merge_config_selectorItNS0_10empty_typeEEEZZNS1_27merge_sort_block_merge_implIS3_N6thrust23THRUST_200600_302600_NS6detail15normal_iteratorINS9_10device_ptrItEEEEPS5_m9comp_mod3ItEEE10hipError_tT0_T1_T2_jT3_P12ihipStream_tbPNSt15iterator_traitsISJ_E10value_typeEPNSP_ISK_E10value_typeEPSL_NS1_7vsmem_tEENKUlT_SJ_SK_SL_E_clIPtSE_SF_SF_EESI_SY_SJ_SK_SL_EUlSY_E_NS1_11comp_targetILNS1_3genE2ELNS1_11target_archE906ELNS1_3gpuE6ELNS1_3repE0EEENS1_48merge_mergepath_partition_config_static_selectorELNS0_4arch9wavefront6targetE0EEEvSK_,"axG",@progbits,_ZN7rocprim17ROCPRIM_400000_NS6detail17trampoline_kernelINS0_14default_configENS1_38merge_sort_block_merge_config_selectorItNS0_10empty_typeEEEZZNS1_27merge_sort_block_merge_implIS3_N6thrust23THRUST_200600_302600_NS6detail15normal_iteratorINS9_10device_ptrItEEEEPS5_m9comp_mod3ItEEE10hipError_tT0_T1_T2_jT3_P12ihipStream_tbPNSt15iterator_traitsISJ_E10value_typeEPNSP_ISK_E10value_typeEPSL_NS1_7vsmem_tEENKUlT_SJ_SK_SL_E_clIPtSE_SF_SF_EESI_SY_SJ_SK_SL_EUlSY_E_NS1_11comp_targetILNS1_3genE2ELNS1_11target_archE906ELNS1_3gpuE6ELNS1_3repE0EEENS1_48merge_mergepath_partition_config_static_selectorELNS0_4arch9wavefront6targetE0EEEvSK_,comdat
.Lfunc_end879:
	.size	_ZN7rocprim17ROCPRIM_400000_NS6detail17trampoline_kernelINS0_14default_configENS1_38merge_sort_block_merge_config_selectorItNS0_10empty_typeEEEZZNS1_27merge_sort_block_merge_implIS3_N6thrust23THRUST_200600_302600_NS6detail15normal_iteratorINS9_10device_ptrItEEEEPS5_m9comp_mod3ItEEE10hipError_tT0_T1_T2_jT3_P12ihipStream_tbPNSt15iterator_traitsISJ_E10value_typeEPNSP_ISK_E10value_typeEPSL_NS1_7vsmem_tEENKUlT_SJ_SK_SL_E_clIPtSE_SF_SF_EESI_SY_SJ_SK_SL_EUlSY_E_NS1_11comp_targetILNS1_3genE2ELNS1_11target_archE906ELNS1_3gpuE6ELNS1_3repE0EEENS1_48merge_mergepath_partition_config_static_selectorELNS0_4arch9wavefront6targetE0EEEvSK_, .Lfunc_end879-_ZN7rocprim17ROCPRIM_400000_NS6detail17trampoline_kernelINS0_14default_configENS1_38merge_sort_block_merge_config_selectorItNS0_10empty_typeEEEZZNS1_27merge_sort_block_merge_implIS3_N6thrust23THRUST_200600_302600_NS6detail15normal_iteratorINS9_10device_ptrItEEEEPS5_m9comp_mod3ItEEE10hipError_tT0_T1_T2_jT3_P12ihipStream_tbPNSt15iterator_traitsISJ_E10value_typeEPNSP_ISK_E10value_typeEPSL_NS1_7vsmem_tEENKUlT_SJ_SK_SL_E_clIPtSE_SF_SF_EESI_SY_SJ_SK_SL_EUlSY_E_NS1_11comp_targetILNS1_3genE2ELNS1_11target_archE906ELNS1_3gpuE6ELNS1_3repE0EEENS1_48merge_mergepath_partition_config_static_selectorELNS0_4arch9wavefront6targetE0EEEvSK_
                                        ; -- End function
	.set _ZN7rocprim17ROCPRIM_400000_NS6detail17trampoline_kernelINS0_14default_configENS1_38merge_sort_block_merge_config_selectorItNS0_10empty_typeEEEZZNS1_27merge_sort_block_merge_implIS3_N6thrust23THRUST_200600_302600_NS6detail15normal_iteratorINS9_10device_ptrItEEEEPS5_m9comp_mod3ItEEE10hipError_tT0_T1_T2_jT3_P12ihipStream_tbPNSt15iterator_traitsISJ_E10value_typeEPNSP_ISK_E10value_typeEPSL_NS1_7vsmem_tEENKUlT_SJ_SK_SL_E_clIPtSE_SF_SF_EESI_SY_SJ_SK_SL_EUlSY_E_NS1_11comp_targetILNS1_3genE2ELNS1_11target_archE906ELNS1_3gpuE6ELNS1_3repE0EEENS1_48merge_mergepath_partition_config_static_selectorELNS0_4arch9wavefront6targetE0EEEvSK_.num_vgpr, 0
	.set _ZN7rocprim17ROCPRIM_400000_NS6detail17trampoline_kernelINS0_14default_configENS1_38merge_sort_block_merge_config_selectorItNS0_10empty_typeEEEZZNS1_27merge_sort_block_merge_implIS3_N6thrust23THRUST_200600_302600_NS6detail15normal_iteratorINS9_10device_ptrItEEEEPS5_m9comp_mod3ItEEE10hipError_tT0_T1_T2_jT3_P12ihipStream_tbPNSt15iterator_traitsISJ_E10value_typeEPNSP_ISK_E10value_typeEPSL_NS1_7vsmem_tEENKUlT_SJ_SK_SL_E_clIPtSE_SF_SF_EESI_SY_SJ_SK_SL_EUlSY_E_NS1_11comp_targetILNS1_3genE2ELNS1_11target_archE906ELNS1_3gpuE6ELNS1_3repE0EEENS1_48merge_mergepath_partition_config_static_selectorELNS0_4arch9wavefront6targetE0EEEvSK_.num_agpr, 0
	.set _ZN7rocprim17ROCPRIM_400000_NS6detail17trampoline_kernelINS0_14default_configENS1_38merge_sort_block_merge_config_selectorItNS0_10empty_typeEEEZZNS1_27merge_sort_block_merge_implIS3_N6thrust23THRUST_200600_302600_NS6detail15normal_iteratorINS9_10device_ptrItEEEEPS5_m9comp_mod3ItEEE10hipError_tT0_T1_T2_jT3_P12ihipStream_tbPNSt15iterator_traitsISJ_E10value_typeEPNSP_ISK_E10value_typeEPSL_NS1_7vsmem_tEENKUlT_SJ_SK_SL_E_clIPtSE_SF_SF_EESI_SY_SJ_SK_SL_EUlSY_E_NS1_11comp_targetILNS1_3genE2ELNS1_11target_archE906ELNS1_3gpuE6ELNS1_3repE0EEENS1_48merge_mergepath_partition_config_static_selectorELNS0_4arch9wavefront6targetE0EEEvSK_.numbered_sgpr, 0
	.set _ZN7rocprim17ROCPRIM_400000_NS6detail17trampoline_kernelINS0_14default_configENS1_38merge_sort_block_merge_config_selectorItNS0_10empty_typeEEEZZNS1_27merge_sort_block_merge_implIS3_N6thrust23THRUST_200600_302600_NS6detail15normal_iteratorINS9_10device_ptrItEEEEPS5_m9comp_mod3ItEEE10hipError_tT0_T1_T2_jT3_P12ihipStream_tbPNSt15iterator_traitsISJ_E10value_typeEPNSP_ISK_E10value_typeEPSL_NS1_7vsmem_tEENKUlT_SJ_SK_SL_E_clIPtSE_SF_SF_EESI_SY_SJ_SK_SL_EUlSY_E_NS1_11comp_targetILNS1_3genE2ELNS1_11target_archE906ELNS1_3gpuE6ELNS1_3repE0EEENS1_48merge_mergepath_partition_config_static_selectorELNS0_4arch9wavefront6targetE0EEEvSK_.num_named_barrier, 0
	.set _ZN7rocprim17ROCPRIM_400000_NS6detail17trampoline_kernelINS0_14default_configENS1_38merge_sort_block_merge_config_selectorItNS0_10empty_typeEEEZZNS1_27merge_sort_block_merge_implIS3_N6thrust23THRUST_200600_302600_NS6detail15normal_iteratorINS9_10device_ptrItEEEEPS5_m9comp_mod3ItEEE10hipError_tT0_T1_T2_jT3_P12ihipStream_tbPNSt15iterator_traitsISJ_E10value_typeEPNSP_ISK_E10value_typeEPSL_NS1_7vsmem_tEENKUlT_SJ_SK_SL_E_clIPtSE_SF_SF_EESI_SY_SJ_SK_SL_EUlSY_E_NS1_11comp_targetILNS1_3genE2ELNS1_11target_archE906ELNS1_3gpuE6ELNS1_3repE0EEENS1_48merge_mergepath_partition_config_static_selectorELNS0_4arch9wavefront6targetE0EEEvSK_.private_seg_size, 0
	.set _ZN7rocprim17ROCPRIM_400000_NS6detail17trampoline_kernelINS0_14default_configENS1_38merge_sort_block_merge_config_selectorItNS0_10empty_typeEEEZZNS1_27merge_sort_block_merge_implIS3_N6thrust23THRUST_200600_302600_NS6detail15normal_iteratorINS9_10device_ptrItEEEEPS5_m9comp_mod3ItEEE10hipError_tT0_T1_T2_jT3_P12ihipStream_tbPNSt15iterator_traitsISJ_E10value_typeEPNSP_ISK_E10value_typeEPSL_NS1_7vsmem_tEENKUlT_SJ_SK_SL_E_clIPtSE_SF_SF_EESI_SY_SJ_SK_SL_EUlSY_E_NS1_11comp_targetILNS1_3genE2ELNS1_11target_archE906ELNS1_3gpuE6ELNS1_3repE0EEENS1_48merge_mergepath_partition_config_static_selectorELNS0_4arch9wavefront6targetE0EEEvSK_.uses_vcc, 0
	.set _ZN7rocprim17ROCPRIM_400000_NS6detail17trampoline_kernelINS0_14default_configENS1_38merge_sort_block_merge_config_selectorItNS0_10empty_typeEEEZZNS1_27merge_sort_block_merge_implIS3_N6thrust23THRUST_200600_302600_NS6detail15normal_iteratorINS9_10device_ptrItEEEEPS5_m9comp_mod3ItEEE10hipError_tT0_T1_T2_jT3_P12ihipStream_tbPNSt15iterator_traitsISJ_E10value_typeEPNSP_ISK_E10value_typeEPSL_NS1_7vsmem_tEENKUlT_SJ_SK_SL_E_clIPtSE_SF_SF_EESI_SY_SJ_SK_SL_EUlSY_E_NS1_11comp_targetILNS1_3genE2ELNS1_11target_archE906ELNS1_3gpuE6ELNS1_3repE0EEENS1_48merge_mergepath_partition_config_static_selectorELNS0_4arch9wavefront6targetE0EEEvSK_.uses_flat_scratch, 0
	.set _ZN7rocprim17ROCPRIM_400000_NS6detail17trampoline_kernelINS0_14default_configENS1_38merge_sort_block_merge_config_selectorItNS0_10empty_typeEEEZZNS1_27merge_sort_block_merge_implIS3_N6thrust23THRUST_200600_302600_NS6detail15normal_iteratorINS9_10device_ptrItEEEEPS5_m9comp_mod3ItEEE10hipError_tT0_T1_T2_jT3_P12ihipStream_tbPNSt15iterator_traitsISJ_E10value_typeEPNSP_ISK_E10value_typeEPSL_NS1_7vsmem_tEENKUlT_SJ_SK_SL_E_clIPtSE_SF_SF_EESI_SY_SJ_SK_SL_EUlSY_E_NS1_11comp_targetILNS1_3genE2ELNS1_11target_archE906ELNS1_3gpuE6ELNS1_3repE0EEENS1_48merge_mergepath_partition_config_static_selectorELNS0_4arch9wavefront6targetE0EEEvSK_.has_dyn_sized_stack, 0
	.set _ZN7rocprim17ROCPRIM_400000_NS6detail17trampoline_kernelINS0_14default_configENS1_38merge_sort_block_merge_config_selectorItNS0_10empty_typeEEEZZNS1_27merge_sort_block_merge_implIS3_N6thrust23THRUST_200600_302600_NS6detail15normal_iteratorINS9_10device_ptrItEEEEPS5_m9comp_mod3ItEEE10hipError_tT0_T1_T2_jT3_P12ihipStream_tbPNSt15iterator_traitsISJ_E10value_typeEPNSP_ISK_E10value_typeEPSL_NS1_7vsmem_tEENKUlT_SJ_SK_SL_E_clIPtSE_SF_SF_EESI_SY_SJ_SK_SL_EUlSY_E_NS1_11comp_targetILNS1_3genE2ELNS1_11target_archE906ELNS1_3gpuE6ELNS1_3repE0EEENS1_48merge_mergepath_partition_config_static_selectorELNS0_4arch9wavefront6targetE0EEEvSK_.has_recursion, 0
	.set _ZN7rocprim17ROCPRIM_400000_NS6detail17trampoline_kernelINS0_14default_configENS1_38merge_sort_block_merge_config_selectorItNS0_10empty_typeEEEZZNS1_27merge_sort_block_merge_implIS3_N6thrust23THRUST_200600_302600_NS6detail15normal_iteratorINS9_10device_ptrItEEEEPS5_m9comp_mod3ItEEE10hipError_tT0_T1_T2_jT3_P12ihipStream_tbPNSt15iterator_traitsISJ_E10value_typeEPNSP_ISK_E10value_typeEPSL_NS1_7vsmem_tEENKUlT_SJ_SK_SL_E_clIPtSE_SF_SF_EESI_SY_SJ_SK_SL_EUlSY_E_NS1_11comp_targetILNS1_3genE2ELNS1_11target_archE906ELNS1_3gpuE6ELNS1_3repE0EEENS1_48merge_mergepath_partition_config_static_selectorELNS0_4arch9wavefront6targetE0EEEvSK_.has_indirect_call, 0
	.section	.AMDGPU.csdata,"",@progbits
; Kernel info:
; codeLenInByte = 0
; TotalNumSgprs: 0
; NumVgprs: 0
; ScratchSize: 0
; MemoryBound: 0
; FloatMode: 240
; IeeeMode: 1
; LDSByteSize: 0 bytes/workgroup (compile time only)
; SGPRBlocks: 0
; VGPRBlocks: 0
; NumSGPRsForWavesPerEU: 1
; NumVGPRsForWavesPerEU: 1
; Occupancy: 16
; WaveLimiterHint : 0
; COMPUTE_PGM_RSRC2:SCRATCH_EN: 0
; COMPUTE_PGM_RSRC2:USER_SGPR: 6
; COMPUTE_PGM_RSRC2:TRAP_HANDLER: 0
; COMPUTE_PGM_RSRC2:TGID_X_EN: 1
; COMPUTE_PGM_RSRC2:TGID_Y_EN: 0
; COMPUTE_PGM_RSRC2:TGID_Z_EN: 0
; COMPUTE_PGM_RSRC2:TIDIG_COMP_CNT: 0
	.section	.text._ZN7rocprim17ROCPRIM_400000_NS6detail17trampoline_kernelINS0_14default_configENS1_38merge_sort_block_merge_config_selectorItNS0_10empty_typeEEEZZNS1_27merge_sort_block_merge_implIS3_N6thrust23THRUST_200600_302600_NS6detail15normal_iteratorINS9_10device_ptrItEEEEPS5_m9comp_mod3ItEEE10hipError_tT0_T1_T2_jT3_P12ihipStream_tbPNSt15iterator_traitsISJ_E10value_typeEPNSP_ISK_E10value_typeEPSL_NS1_7vsmem_tEENKUlT_SJ_SK_SL_E_clIPtSE_SF_SF_EESI_SY_SJ_SK_SL_EUlSY_E_NS1_11comp_targetILNS1_3genE9ELNS1_11target_archE1100ELNS1_3gpuE3ELNS1_3repE0EEENS1_48merge_mergepath_partition_config_static_selectorELNS0_4arch9wavefront6targetE0EEEvSK_,"axG",@progbits,_ZN7rocprim17ROCPRIM_400000_NS6detail17trampoline_kernelINS0_14default_configENS1_38merge_sort_block_merge_config_selectorItNS0_10empty_typeEEEZZNS1_27merge_sort_block_merge_implIS3_N6thrust23THRUST_200600_302600_NS6detail15normal_iteratorINS9_10device_ptrItEEEEPS5_m9comp_mod3ItEEE10hipError_tT0_T1_T2_jT3_P12ihipStream_tbPNSt15iterator_traitsISJ_E10value_typeEPNSP_ISK_E10value_typeEPSL_NS1_7vsmem_tEENKUlT_SJ_SK_SL_E_clIPtSE_SF_SF_EESI_SY_SJ_SK_SL_EUlSY_E_NS1_11comp_targetILNS1_3genE9ELNS1_11target_archE1100ELNS1_3gpuE3ELNS1_3repE0EEENS1_48merge_mergepath_partition_config_static_selectorELNS0_4arch9wavefront6targetE0EEEvSK_,comdat
	.protected	_ZN7rocprim17ROCPRIM_400000_NS6detail17trampoline_kernelINS0_14default_configENS1_38merge_sort_block_merge_config_selectorItNS0_10empty_typeEEEZZNS1_27merge_sort_block_merge_implIS3_N6thrust23THRUST_200600_302600_NS6detail15normal_iteratorINS9_10device_ptrItEEEEPS5_m9comp_mod3ItEEE10hipError_tT0_T1_T2_jT3_P12ihipStream_tbPNSt15iterator_traitsISJ_E10value_typeEPNSP_ISK_E10value_typeEPSL_NS1_7vsmem_tEENKUlT_SJ_SK_SL_E_clIPtSE_SF_SF_EESI_SY_SJ_SK_SL_EUlSY_E_NS1_11comp_targetILNS1_3genE9ELNS1_11target_archE1100ELNS1_3gpuE3ELNS1_3repE0EEENS1_48merge_mergepath_partition_config_static_selectorELNS0_4arch9wavefront6targetE0EEEvSK_ ; -- Begin function _ZN7rocprim17ROCPRIM_400000_NS6detail17trampoline_kernelINS0_14default_configENS1_38merge_sort_block_merge_config_selectorItNS0_10empty_typeEEEZZNS1_27merge_sort_block_merge_implIS3_N6thrust23THRUST_200600_302600_NS6detail15normal_iteratorINS9_10device_ptrItEEEEPS5_m9comp_mod3ItEEE10hipError_tT0_T1_T2_jT3_P12ihipStream_tbPNSt15iterator_traitsISJ_E10value_typeEPNSP_ISK_E10value_typeEPSL_NS1_7vsmem_tEENKUlT_SJ_SK_SL_E_clIPtSE_SF_SF_EESI_SY_SJ_SK_SL_EUlSY_E_NS1_11comp_targetILNS1_3genE9ELNS1_11target_archE1100ELNS1_3gpuE3ELNS1_3repE0EEENS1_48merge_mergepath_partition_config_static_selectorELNS0_4arch9wavefront6targetE0EEEvSK_
	.globl	_ZN7rocprim17ROCPRIM_400000_NS6detail17trampoline_kernelINS0_14default_configENS1_38merge_sort_block_merge_config_selectorItNS0_10empty_typeEEEZZNS1_27merge_sort_block_merge_implIS3_N6thrust23THRUST_200600_302600_NS6detail15normal_iteratorINS9_10device_ptrItEEEEPS5_m9comp_mod3ItEEE10hipError_tT0_T1_T2_jT3_P12ihipStream_tbPNSt15iterator_traitsISJ_E10value_typeEPNSP_ISK_E10value_typeEPSL_NS1_7vsmem_tEENKUlT_SJ_SK_SL_E_clIPtSE_SF_SF_EESI_SY_SJ_SK_SL_EUlSY_E_NS1_11comp_targetILNS1_3genE9ELNS1_11target_archE1100ELNS1_3gpuE3ELNS1_3repE0EEENS1_48merge_mergepath_partition_config_static_selectorELNS0_4arch9wavefront6targetE0EEEvSK_
	.p2align	8
	.type	_ZN7rocprim17ROCPRIM_400000_NS6detail17trampoline_kernelINS0_14default_configENS1_38merge_sort_block_merge_config_selectorItNS0_10empty_typeEEEZZNS1_27merge_sort_block_merge_implIS3_N6thrust23THRUST_200600_302600_NS6detail15normal_iteratorINS9_10device_ptrItEEEEPS5_m9comp_mod3ItEEE10hipError_tT0_T1_T2_jT3_P12ihipStream_tbPNSt15iterator_traitsISJ_E10value_typeEPNSP_ISK_E10value_typeEPSL_NS1_7vsmem_tEENKUlT_SJ_SK_SL_E_clIPtSE_SF_SF_EESI_SY_SJ_SK_SL_EUlSY_E_NS1_11comp_targetILNS1_3genE9ELNS1_11target_archE1100ELNS1_3gpuE3ELNS1_3repE0EEENS1_48merge_mergepath_partition_config_static_selectorELNS0_4arch9wavefront6targetE0EEEvSK_,@function
_ZN7rocprim17ROCPRIM_400000_NS6detail17trampoline_kernelINS0_14default_configENS1_38merge_sort_block_merge_config_selectorItNS0_10empty_typeEEEZZNS1_27merge_sort_block_merge_implIS3_N6thrust23THRUST_200600_302600_NS6detail15normal_iteratorINS9_10device_ptrItEEEEPS5_m9comp_mod3ItEEE10hipError_tT0_T1_T2_jT3_P12ihipStream_tbPNSt15iterator_traitsISJ_E10value_typeEPNSP_ISK_E10value_typeEPSL_NS1_7vsmem_tEENKUlT_SJ_SK_SL_E_clIPtSE_SF_SF_EESI_SY_SJ_SK_SL_EUlSY_E_NS1_11comp_targetILNS1_3genE9ELNS1_11target_archE1100ELNS1_3gpuE3ELNS1_3repE0EEENS1_48merge_mergepath_partition_config_static_selectorELNS0_4arch9wavefront6targetE0EEEvSK_: ; @_ZN7rocprim17ROCPRIM_400000_NS6detail17trampoline_kernelINS0_14default_configENS1_38merge_sort_block_merge_config_selectorItNS0_10empty_typeEEEZZNS1_27merge_sort_block_merge_implIS3_N6thrust23THRUST_200600_302600_NS6detail15normal_iteratorINS9_10device_ptrItEEEEPS5_m9comp_mod3ItEEE10hipError_tT0_T1_T2_jT3_P12ihipStream_tbPNSt15iterator_traitsISJ_E10value_typeEPNSP_ISK_E10value_typeEPSL_NS1_7vsmem_tEENKUlT_SJ_SK_SL_E_clIPtSE_SF_SF_EESI_SY_SJ_SK_SL_EUlSY_E_NS1_11comp_targetILNS1_3genE9ELNS1_11target_archE1100ELNS1_3gpuE3ELNS1_3repE0EEENS1_48merge_mergepath_partition_config_static_selectorELNS0_4arch9wavefront6targetE0EEEvSK_
; %bb.0:
	.section	.rodata,"a",@progbits
	.p2align	6, 0x0
	.amdhsa_kernel _ZN7rocprim17ROCPRIM_400000_NS6detail17trampoline_kernelINS0_14default_configENS1_38merge_sort_block_merge_config_selectorItNS0_10empty_typeEEEZZNS1_27merge_sort_block_merge_implIS3_N6thrust23THRUST_200600_302600_NS6detail15normal_iteratorINS9_10device_ptrItEEEEPS5_m9comp_mod3ItEEE10hipError_tT0_T1_T2_jT3_P12ihipStream_tbPNSt15iterator_traitsISJ_E10value_typeEPNSP_ISK_E10value_typeEPSL_NS1_7vsmem_tEENKUlT_SJ_SK_SL_E_clIPtSE_SF_SF_EESI_SY_SJ_SK_SL_EUlSY_E_NS1_11comp_targetILNS1_3genE9ELNS1_11target_archE1100ELNS1_3gpuE3ELNS1_3repE0EEENS1_48merge_mergepath_partition_config_static_selectorELNS0_4arch9wavefront6targetE0EEEvSK_
		.amdhsa_group_segment_fixed_size 0
		.amdhsa_private_segment_fixed_size 0
		.amdhsa_kernarg_size 48
		.amdhsa_user_sgpr_count 6
		.amdhsa_user_sgpr_private_segment_buffer 1
		.amdhsa_user_sgpr_dispatch_ptr 0
		.amdhsa_user_sgpr_queue_ptr 0
		.amdhsa_user_sgpr_kernarg_segment_ptr 1
		.amdhsa_user_sgpr_dispatch_id 0
		.amdhsa_user_sgpr_flat_scratch_init 0
		.amdhsa_user_sgpr_private_segment_size 0
		.amdhsa_wavefront_size32 1
		.amdhsa_uses_dynamic_stack 0
		.amdhsa_system_sgpr_private_segment_wavefront_offset 0
		.amdhsa_system_sgpr_workgroup_id_x 1
		.amdhsa_system_sgpr_workgroup_id_y 0
		.amdhsa_system_sgpr_workgroup_id_z 0
		.amdhsa_system_sgpr_workgroup_info 0
		.amdhsa_system_vgpr_workitem_id 0
		.amdhsa_next_free_vgpr 1
		.amdhsa_next_free_sgpr 1
		.amdhsa_reserve_vcc 0
		.amdhsa_reserve_flat_scratch 0
		.amdhsa_float_round_mode_32 0
		.amdhsa_float_round_mode_16_64 0
		.amdhsa_float_denorm_mode_32 3
		.amdhsa_float_denorm_mode_16_64 3
		.amdhsa_dx10_clamp 1
		.amdhsa_ieee_mode 1
		.amdhsa_fp16_overflow 0
		.amdhsa_workgroup_processor_mode 1
		.amdhsa_memory_ordered 1
		.amdhsa_forward_progress 1
		.amdhsa_shared_vgpr_count 0
		.amdhsa_exception_fp_ieee_invalid_op 0
		.amdhsa_exception_fp_denorm_src 0
		.amdhsa_exception_fp_ieee_div_zero 0
		.amdhsa_exception_fp_ieee_overflow 0
		.amdhsa_exception_fp_ieee_underflow 0
		.amdhsa_exception_fp_ieee_inexact 0
		.amdhsa_exception_int_div_zero 0
	.end_amdhsa_kernel
	.section	.text._ZN7rocprim17ROCPRIM_400000_NS6detail17trampoline_kernelINS0_14default_configENS1_38merge_sort_block_merge_config_selectorItNS0_10empty_typeEEEZZNS1_27merge_sort_block_merge_implIS3_N6thrust23THRUST_200600_302600_NS6detail15normal_iteratorINS9_10device_ptrItEEEEPS5_m9comp_mod3ItEEE10hipError_tT0_T1_T2_jT3_P12ihipStream_tbPNSt15iterator_traitsISJ_E10value_typeEPNSP_ISK_E10value_typeEPSL_NS1_7vsmem_tEENKUlT_SJ_SK_SL_E_clIPtSE_SF_SF_EESI_SY_SJ_SK_SL_EUlSY_E_NS1_11comp_targetILNS1_3genE9ELNS1_11target_archE1100ELNS1_3gpuE3ELNS1_3repE0EEENS1_48merge_mergepath_partition_config_static_selectorELNS0_4arch9wavefront6targetE0EEEvSK_,"axG",@progbits,_ZN7rocprim17ROCPRIM_400000_NS6detail17trampoline_kernelINS0_14default_configENS1_38merge_sort_block_merge_config_selectorItNS0_10empty_typeEEEZZNS1_27merge_sort_block_merge_implIS3_N6thrust23THRUST_200600_302600_NS6detail15normal_iteratorINS9_10device_ptrItEEEEPS5_m9comp_mod3ItEEE10hipError_tT0_T1_T2_jT3_P12ihipStream_tbPNSt15iterator_traitsISJ_E10value_typeEPNSP_ISK_E10value_typeEPSL_NS1_7vsmem_tEENKUlT_SJ_SK_SL_E_clIPtSE_SF_SF_EESI_SY_SJ_SK_SL_EUlSY_E_NS1_11comp_targetILNS1_3genE9ELNS1_11target_archE1100ELNS1_3gpuE3ELNS1_3repE0EEENS1_48merge_mergepath_partition_config_static_selectorELNS0_4arch9wavefront6targetE0EEEvSK_,comdat
.Lfunc_end880:
	.size	_ZN7rocprim17ROCPRIM_400000_NS6detail17trampoline_kernelINS0_14default_configENS1_38merge_sort_block_merge_config_selectorItNS0_10empty_typeEEEZZNS1_27merge_sort_block_merge_implIS3_N6thrust23THRUST_200600_302600_NS6detail15normal_iteratorINS9_10device_ptrItEEEEPS5_m9comp_mod3ItEEE10hipError_tT0_T1_T2_jT3_P12ihipStream_tbPNSt15iterator_traitsISJ_E10value_typeEPNSP_ISK_E10value_typeEPSL_NS1_7vsmem_tEENKUlT_SJ_SK_SL_E_clIPtSE_SF_SF_EESI_SY_SJ_SK_SL_EUlSY_E_NS1_11comp_targetILNS1_3genE9ELNS1_11target_archE1100ELNS1_3gpuE3ELNS1_3repE0EEENS1_48merge_mergepath_partition_config_static_selectorELNS0_4arch9wavefront6targetE0EEEvSK_, .Lfunc_end880-_ZN7rocprim17ROCPRIM_400000_NS6detail17trampoline_kernelINS0_14default_configENS1_38merge_sort_block_merge_config_selectorItNS0_10empty_typeEEEZZNS1_27merge_sort_block_merge_implIS3_N6thrust23THRUST_200600_302600_NS6detail15normal_iteratorINS9_10device_ptrItEEEEPS5_m9comp_mod3ItEEE10hipError_tT0_T1_T2_jT3_P12ihipStream_tbPNSt15iterator_traitsISJ_E10value_typeEPNSP_ISK_E10value_typeEPSL_NS1_7vsmem_tEENKUlT_SJ_SK_SL_E_clIPtSE_SF_SF_EESI_SY_SJ_SK_SL_EUlSY_E_NS1_11comp_targetILNS1_3genE9ELNS1_11target_archE1100ELNS1_3gpuE3ELNS1_3repE0EEENS1_48merge_mergepath_partition_config_static_selectorELNS0_4arch9wavefront6targetE0EEEvSK_
                                        ; -- End function
	.set _ZN7rocprim17ROCPRIM_400000_NS6detail17trampoline_kernelINS0_14default_configENS1_38merge_sort_block_merge_config_selectorItNS0_10empty_typeEEEZZNS1_27merge_sort_block_merge_implIS3_N6thrust23THRUST_200600_302600_NS6detail15normal_iteratorINS9_10device_ptrItEEEEPS5_m9comp_mod3ItEEE10hipError_tT0_T1_T2_jT3_P12ihipStream_tbPNSt15iterator_traitsISJ_E10value_typeEPNSP_ISK_E10value_typeEPSL_NS1_7vsmem_tEENKUlT_SJ_SK_SL_E_clIPtSE_SF_SF_EESI_SY_SJ_SK_SL_EUlSY_E_NS1_11comp_targetILNS1_3genE9ELNS1_11target_archE1100ELNS1_3gpuE3ELNS1_3repE0EEENS1_48merge_mergepath_partition_config_static_selectorELNS0_4arch9wavefront6targetE0EEEvSK_.num_vgpr, 0
	.set _ZN7rocprim17ROCPRIM_400000_NS6detail17trampoline_kernelINS0_14default_configENS1_38merge_sort_block_merge_config_selectorItNS0_10empty_typeEEEZZNS1_27merge_sort_block_merge_implIS3_N6thrust23THRUST_200600_302600_NS6detail15normal_iteratorINS9_10device_ptrItEEEEPS5_m9comp_mod3ItEEE10hipError_tT0_T1_T2_jT3_P12ihipStream_tbPNSt15iterator_traitsISJ_E10value_typeEPNSP_ISK_E10value_typeEPSL_NS1_7vsmem_tEENKUlT_SJ_SK_SL_E_clIPtSE_SF_SF_EESI_SY_SJ_SK_SL_EUlSY_E_NS1_11comp_targetILNS1_3genE9ELNS1_11target_archE1100ELNS1_3gpuE3ELNS1_3repE0EEENS1_48merge_mergepath_partition_config_static_selectorELNS0_4arch9wavefront6targetE0EEEvSK_.num_agpr, 0
	.set _ZN7rocprim17ROCPRIM_400000_NS6detail17trampoline_kernelINS0_14default_configENS1_38merge_sort_block_merge_config_selectorItNS0_10empty_typeEEEZZNS1_27merge_sort_block_merge_implIS3_N6thrust23THRUST_200600_302600_NS6detail15normal_iteratorINS9_10device_ptrItEEEEPS5_m9comp_mod3ItEEE10hipError_tT0_T1_T2_jT3_P12ihipStream_tbPNSt15iterator_traitsISJ_E10value_typeEPNSP_ISK_E10value_typeEPSL_NS1_7vsmem_tEENKUlT_SJ_SK_SL_E_clIPtSE_SF_SF_EESI_SY_SJ_SK_SL_EUlSY_E_NS1_11comp_targetILNS1_3genE9ELNS1_11target_archE1100ELNS1_3gpuE3ELNS1_3repE0EEENS1_48merge_mergepath_partition_config_static_selectorELNS0_4arch9wavefront6targetE0EEEvSK_.numbered_sgpr, 0
	.set _ZN7rocprim17ROCPRIM_400000_NS6detail17trampoline_kernelINS0_14default_configENS1_38merge_sort_block_merge_config_selectorItNS0_10empty_typeEEEZZNS1_27merge_sort_block_merge_implIS3_N6thrust23THRUST_200600_302600_NS6detail15normal_iteratorINS9_10device_ptrItEEEEPS5_m9comp_mod3ItEEE10hipError_tT0_T1_T2_jT3_P12ihipStream_tbPNSt15iterator_traitsISJ_E10value_typeEPNSP_ISK_E10value_typeEPSL_NS1_7vsmem_tEENKUlT_SJ_SK_SL_E_clIPtSE_SF_SF_EESI_SY_SJ_SK_SL_EUlSY_E_NS1_11comp_targetILNS1_3genE9ELNS1_11target_archE1100ELNS1_3gpuE3ELNS1_3repE0EEENS1_48merge_mergepath_partition_config_static_selectorELNS0_4arch9wavefront6targetE0EEEvSK_.num_named_barrier, 0
	.set _ZN7rocprim17ROCPRIM_400000_NS6detail17trampoline_kernelINS0_14default_configENS1_38merge_sort_block_merge_config_selectorItNS0_10empty_typeEEEZZNS1_27merge_sort_block_merge_implIS3_N6thrust23THRUST_200600_302600_NS6detail15normal_iteratorINS9_10device_ptrItEEEEPS5_m9comp_mod3ItEEE10hipError_tT0_T1_T2_jT3_P12ihipStream_tbPNSt15iterator_traitsISJ_E10value_typeEPNSP_ISK_E10value_typeEPSL_NS1_7vsmem_tEENKUlT_SJ_SK_SL_E_clIPtSE_SF_SF_EESI_SY_SJ_SK_SL_EUlSY_E_NS1_11comp_targetILNS1_3genE9ELNS1_11target_archE1100ELNS1_3gpuE3ELNS1_3repE0EEENS1_48merge_mergepath_partition_config_static_selectorELNS0_4arch9wavefront6targetE0EEEvSK_.private_seg_size, 0
	.set _ZN7rocprim17ROCPRIM_400000_NS6detail17trampoline_kernelINS0_14default_configENS1_38merge_sort_block_merge_config_selectorItNS0_10empty_typeEEEZZNS1_27merge_sort_block_merge_implIS3_N6thrust23THRUST_200600_302600_NS6detail15normal_iteratorINS9_10device_ptrItEEEEPS5_m9comp_mod3ItEEE10hipError_tT0_T1_T2_jT3_P12ihipStream_tbPNSt15iterator_traitsISJ_E10value_typeEPNSP_ISK_E10value_typeEPSL_NS1_7vsmem_tEENKUlT_SJ_SK_SL_E_clIPtSE_SF_SF_EESI_SY_SJ_SK_SL_EUlSY_E_NS1_11comp_targetILNS1_3genE9ELNS1_11target_archE1100ELNS1_3gpuE3ELNS1_3repE0EEENS1_48merge_mergepath_partition_config_static_selectorELNS0_4arch9wavefront6targetE0EEEvSK_.uses_vcc, 0
	.set _ZN7rocprim17ROCPRIM_400000_NS6detail17trampoline_kernelINS0_14default_configENS1_38merge_sort_block_merge_config_selectorItNS0_10empty_typeEEEZZNS1_27merge_sort_block_merge_implIS3_N6thrust23THRUST_200600_302600_NS6detail15normal_iteratorINS9_10device_ptrItEEEEPS5_m9comp_mod3ItEEE10hipError_tT0_T1_T2_jT3_P12ihipStream_tbPNSt15iterator_traitsISJ_E10value_typeEPNSP_ISK_E10value_typeEPSL_NS1_7vsmem_tEENKUlT_SJ_SK_SL_E_clIPtSE_SF_SF_EESI_SY_SJ_SK_SL_EUlSY_E_NS1_11comp_targetILNS1_3genE9ELNS1_11target_archE1100ELNS1_3gpuE3ELNS1_3repE0EEENS1_48merge_mergepath_partition_config_static_selectorELNS0_4arch9wavefront6targetE0EEEvSK_.uses_flat_scratch, 0
	.set _ZN7rocprim17ROCPRIM_400000_NS6detail17trampoline_kernelINS0_14default_configENS1_38merge_sort_block_merge_config_selectorItNS0_10empty_typeEEEZZNS1_27merge_sort_block_merge_implIS3_N6thrust23THRUST_200600_302600_NS6detail15normal_iteratorINS9_10device_ptrItEEEEPS5_m9comp_mod3ItEEE10hipError_tT0_T1_T2_jT3_P12ihipStream_tbPNSt15iterator_traitsISJ_E10value_typeEPNSP_ISK_E10value_typeEPSL_NS1_7vsmem_tEENKUlT_SJ_SK_SL_E_clIPtSE_SF_SF_EESI_SY_SJ_SK_SL_EUlSY_E_NS1_11comp_targetILNS1_3genE9ELNS1_11target_archE1100ELNS1_3gpuE3ELNS1_3repE0EEENS1_48merge_mergepath_partition_config_static_selectorELNS0_4arch9wavefront6targetE0EEEvSK_.has_dyn_sized_stack, 0
	.set _ZN7rocprim17ROCPRIM_400000_NS6detail17trampoline_kernelINS0_14default_configENS1_38merge_sort_block_merge_config_selectorItNS0_10empty_typeEEEZZNS1_27merge_sort_block_merge_implIS3_N6thrust23THRUST_200600_302600_NS6detail15normal_iteratorINS9_10device_ptrItEEEEPS5_m9comp_mod3ItEEE10hipError_tT0_T1_T2_jT3_P12ihipStream_tbPNSt15iterator_traitsISJ_E10value_typeEPNSP_ISK_E10value_typeEPSL_NS1_7vsmem_tEENKUlT_SJ_SK_SL_E_clIPtSE_SF_SF_EESI_SY_SJ_SK_SL_EUlSY_E_NS1_11comp_targetILNS1_3genE9ELNS1_11target_archE1100ELNS1_3gpuE3ELNS1_3repE0EEENS1_48merge_mergepath_partition_config_static_selectorELNS0_4arch9wavefront6targetE0EEEvSK_.has_recursion, 0
	.set _ZN7rocprim17ROCPRIM_400000_NS6detail17trampoline_kernelINS0_14default_configENS1_38merge_sort_block_merge_config_selectorItNS0_10empty_typeEEEZZNS1_27merge_sort_block_merge_implIS3_N6thrust23THRUST_200600_302600_NS6detail15normal_iteratorINS9_10device_ptrItEEEEPS5_m9comp_mod3ItEEE10hipError_tT0_T1_T2_jT3_P12ihipStream_tbPNSt15iterator_traitsISJ_E10value_typeEPNSP_ISK_E10value_typeEPSL_NS1_7vsmem_tEENKUlT_SJ_SK_SL_E_clIPtSE_SF_SF_EESI_SY_SJ_SK_SL_EUlSY_E_NS1_11comp_targetILNS1_3genE9ELNS1_11target_archE1100ELNS1_3gpuE3ELNS1_3repE0EEENS1_48merge_mergepath_partition_config_static_selectorELNS0_4arch9wavefront6targetE0EEEvSK_.has_indirect_call, 0
	.section	.AMDGPU.csdata,"",@progbits
; Kernel info:
; codeLenInByte = 0
; TotalNumSgprs: 0
; NumVgprs: 0
; ScratchSize: 0
; MemoryBound: 0
; FloatMode: 240
; IeeeMode: 1
; LDSByteSize: 0 bytes/workgroup (compile time only)
; SGPRBlocks: 0
; VGPRBlocks: 0
; NumSGPRsForWavesPerEU: 1
; NumVGPRsForWavesPerEU: 1
; Occupancy: 16
; WaveLimiterHint : 0
; COMPUTE_PGM_RSRC2:SCRATCH_EN: 0
; COMPUTE_PGM_RSRC2:USER_SGPR: 6
; COMPUTE_PGM_RSRC2:TRAP_HANDLER: 0
; COMPUTE_PGM_RSRC2:TGID_X_EN: 1
; COMPUTE_PGM_RSRC2:TGID_Y_EN: 0
; COMPUTE_PGM_RSRC2:TGID_Z_EN: 0
; COMPUTE_PGM_RSRC2:TIDIG_COMP_CNT: 0
	.section	.text._ZN7rocprim17ROCPRIM_400000_NS6detail17trampoline_kernelINS0_14default_configENS1_38merge_sort_block_merge_config_selectorItNS0_10empty_typeEEEZZNS1_27merge_sort_block_merge_implIS3_N6thrust23THRUST_200600_302600_NS6detail15normal_iteratorINS9_10device_ptrItEEEEPS5_m9comp_mod3ItEEE10hipError_tT0_T1_T2_jT3_P12ihipStream_tbPNSt15iterator_traitsISJ_E10value_typeEPNSP_ISK_E10value_typeEPSL_NS1_7vsmem_tEENKUlT_SJ_SK_SL_E_clIPtSE_SF_SF_EESI_SY_SJ_SK_SL_EUlSY_E_NS1_11comp_targetILNS1_3genE8ELNS1_11target_archE1030ELNS1_3gpuE2ELNS1_3repE0EEENS1_48merge_mergepath_partition_config_static_selectorELNS0_4arch9wavefront6targetE0EEEvSK_,"axG",@progbits,_ZN7rocprim17ROCPRIM_400000_NS6detail17trampoline_kernelINS0_14default_configENS1_38merge_sort_block_merge_config_selectorItNS0_10empty_typeEEEZZNS1_27merge_sort_block_merge_implIS3_N6thrust23THRUST_200600_302600_NS6detail15normal_iteratorINS9_10device_ptrItEEEEPS5_m9comp_mod3ItEEE10hipError_tT0_T1_T2_jT3_P12ihipStream_tbPNSt15iterator_traitsISJ_E10value_typeEPNSP_ISK_E10value_typeEPSL_NS1_7vsmem_tEENKUlT_SJ_SK_SL_E_clIPtSE_SF_SF_EESI_SY_SJ_SK_SL_EUlSY_E_NS1_11comp_targetILNS1_3genE8ELNS1_11target_archE1030ELNS1_3gpuE2ELNS1_3repE0EEENS1_48merge_mergepath_partition_config_static_selectorELNS0_4arch9wavefront6targetE0EEEvSK_,comdat
	.protected	_ZN7rocprim17ROCPRIM_400000_NS6detail17trampoline_kernelINS0_14default_configENS1_38merge_sort_block_merge_config_selectorItNS0_10empty_typeEEEZZNS1_27merge_sort_block_merge_implIS3_N6thrust23THRUST_200600_302600_NS6detail15normal_iteratorINS9_10device_ptrItEEEEPS5_m9comp_mod3ItEEE10hipError_tT0_T1_T2_jT3_P12ihipStream_tbPNSt15iterator_traitsISJ_E10value_typeEPNSP_ISK_E10value_typeEPSL_NS1_7vsmem_tEENKUlT_SJ_SK_SL_E_clIPtSE_SF_SF_EESI_SY_SJ_SK_SL_EUlSY_E_NS1_11comp_targetILNS1_3genE8ELNS1_11target_archE1030ELNS1_3gpuE2ELNS1_3repE0EEENS1_48merge_mergepath_partition_config_static_selectorELNS0_4arch9wavefront6targetE0EEEvSK_ ; -- Begin function _ZN7rocprim17ROCPRIM_400000_NS6detail17trampoline_kernelINS0_14default_configENS1_38merge_sort_block_merge_config_selectorItNS0_10empty_typeEEEZZNS1_27merge_sort_block_merge_implIS3_N6thrust23THRUST_200600_302600_NS6detail15normal_iteratorINS9_10device_ptrItEEEEPS5_m9comp_mod3ItEEE10hipError_tT0_T1_T2_jT3_P12ihipStream_tbPNSt15iterator_traitsISJ_E10value_typeEPNSP_ISK_E10value_typeEPSL_NS1_7vsmem_tEENKUlT_SJ_SK_SL_E_clIPtSE_SF_SF_EESI_SY_SJ_SK_SL_EUlSY_E_NS1_11comp_targetILNS1_3genE8ELNS1_11target_archE1030ELNS1_3gpuE2ELNS1_3repE0EEENS1_48merge_mergepath_partition_config_static_selectorELNS0_4arch9wavefront6targetE0EEEvSK_
	.globl	_ZN7rocprim17ROCPRIM_400000_NS6detail17trampoline_kernelINS0_14default_configENS1_38merge_sort_block_merge_config_selectorItNS0_10empty_typeEEEZZNS1_27merge_sort_block_merge_implIS3_N6thrust23THRUST_200600_302600_NS6detail15normal_iteratorINS9_10device_ptrItEEEEPS5_m9comp_mod3ItEEE10hipError_tT0_T1_T2_jT3_P12ihipStream_tbPNSt15iterator_traitsISJ_E10value_typeEPNSP_ISK_E10value_typeEPSL_NS1_7vsmem_tEENKUlT_SJ_SK_SL_E_clIPtSE_SF_SF_EESI_SY_SJ_SK_SL_EUlSY_E_NS1_11comp_targetILNS1_3genE8ELNS1_11target_archE1030ELNS1_3gpuE2ELNS1_3repE0EEENS1_48merge_mergepath_partition_config_static_selectorELNS0_4arch9wavefront6targetE0EEEvSK_
	.p2align	8
	.type	_ZN7rocprim17ROCPRIM_400000_NS6detail17trampoline_kernelINS0_14default_configENS1_38merge_sort_block_merge_config_selectorItNS0_10empty_typeEEEZZNS1_27merge_sort_block_merge_implIS3_N6thrust23THRUST_200600_302600_NS6detail15normal_iteratorINS9_10device_ptrItEEEEPS5_m9comp_mod3ItEEE10hipError_tT0_T1_T2_jT3_P12ihipStream_tbPNSt15iterator_traitsISJ_E10value_typeEPNSP_ISK_E10value_typeEPSL_NS1_7vsmem_tEENKUlT_SJ_SK_SL_E_clIPtSE_SF_SF_EESI_SY_SJ_SK_SL_EUlSY_E_NS1_11comp_targetILNS1_3genE8ELNS1_11target_archE1030ELNS1_3gpuE2ELNS1_3repE0EEENS1_48merge_mergepath_partition_config_static_selectorELNS0_4arch9wavefront6targetE0EEEvSK_,@function
_ZN7rocprim17ROCPRIM_400000_NS6detail17trampoline_kernelINS0_14default_configENS1_38merge_sort_block_merge_config_selectorItNS0_10empty_typeEEEZZNS1_27merge_sort_block_merge_implIS3_N6thrust23THRUST_200600_302600_NS6detail15normal_iteratorINS9_10device_ptrItEEEEPS5_m9comp_mod3ItEEE10hipError_tT0_T1_T2_jT3_P12ihipStream_tbPNSt15iterator_traitsISJ_E10value_typeEPNSP_ISK_E10value_typeEPSL_NS1_7vsmem_tEENKUlT_SJ_SK_SL_E_clIPtSE_SF_SF_EESI_SY_SJ_SK_SL_EUlSY_E_NS1_11comp_targetILNS1_3genE8ELNS1_11target_archE1030ELNS1_3gpuE2ELNS1_3repE0EEENS1_48merge_mergepath_partition_config_static_selectorELNS0_4arch9wavefront6targetE0EEEvSK_: ; @_ZN7rocprim17ROCPRIM_400000_NS6detail17trampoline_kernelINS0_14default_configENS1_38merge_sort_block_merge_config_selectorItNS0_10empty_typeEEEZZNS1_27merge_sort_block_merge_implIS3_N6thrust23THRUST_200600_302600_NS6detail15normal_iteratorINS9_10device_ptrItEEEEPS5_m9comp_mod3ItEEE10hipError_tT0_T1_T2_jT3_P12ihipStream_tbPNSt15iterator_traitsISJ_E10value_typeEPNSP_ISK_E10value_typeEPSL_NS1_7vsmem_tEENKUlT_SJ_SK_SL_E_clIPtSE_SF_SF_EESI_SY_SJ_SK_SL_EUlSY_E_NS1_11comp_targetILNS1_3genE8ELNS1_11target_archE1030ELNS1_3gpuE2ELNS1_3repE0EEENS1_48merge_mergepath_partition_config_static_selectorELNS0_4arch9wavefront6targetE0EEEvSK_
; %bb.0:
	s_load_dword s0, s[4:5], 0x0
	v_lshl_or_b32 v0, s6, 7, v0
	s_waitcnt lgkmcnt(0)
	v_cmp_gt_u32_e32 vcc_lo, s0, v0
	s_and_saveexec_b32 s0, vcc_lo
	s_cbranch_execz .LBB881_6
; %bb.1:
	s_load_dwordx8 s[8:15], s[4:5], 0x8
	v_mov_b32_e32 v2, 0
	s_load_dwordx2 s[2:3], s[4:5], 0x28
	v_mov_b32_e32 v11, v2
	s_waitcnt lgkmcnt(0)
	s_lshr_b64 s[0:1], s[8:9], 9
	s_and_b32 s0, s0, -2
	s_sub_i32 s1, 0, s0
	v_and_b32_e32 v1, s1, v0
	s_add_i32 s1, s0, -1
	v_and_b32_e32 v10, s1, v0
	s_mov_b32 s1, 0
	v_lshlrev_b64 v[4:5], 10, v[1:2]
	v_add_co_u32 v6, vcc_lo, v4, s8
	v_add_co_ci_u32_e64 v7, null, s9, v5, vcc_lo
	v_cmp_lt_u64_e32 vcc_lo, s[10:11], v[6:7]
	v_cndmask_b32_e64 v8, v6, s10, vcc_lo
	v_cndmask_b32_e64 v9, v7, s11, vcc_lo
	v_add_co_u32 v6, vcc_lo, v8, s8
	v_add_co_ci_u32_e64 v7, null, s9, v9, vcc_lo
	v_cmp_lt_u64_e32 vcc_lo, s[10:11], v[4:5]
	v_cmp_lt_u64_e64 s0, s[10:11], v[6:7]
	v_cndmask_b32_e64 v2, v4, s10, vcc_lo
	v_cndmask_b32_e64 v3, v5, s11, vcc_lo
	v_lshlrev_b64 v[4:5], 10, v[10:11]
	v_cndmask_b32_e64 v12, v6, s10, s0
	v_cndmask_b32_e64 v1, v7, s11, s0
	v_sub_co_u32 v6, vcc_lo, v12, v2
	v_sub_co_ci_u32_e64 v7, null, v1, v3, vcc_lo
	v_cmp_lt_u64_e32 vcc_lo, v[6:7], v[4:5]
	v_cndmask_b32_e32 v11, v5, v7, vcc_lo
	v_cndmask_b32_e32 v10, v4, v6, vcc_lo
	v_sub_co_u32 v4, vcc_lo, v8, v12
	v_sub_co_ci_u32_e64 v1, null, v9, v1, vcc_lo
	v_add_co_u32 v4, vcc_lo, v10, v4
	v_add_co_ci_u32_e64 v5, null, v11, v1, vcc_lo
	v_sub_co_u32 v6, vcc_lo, v8, v2
	v_sub_co_ci_u32_e64 v7, null, v9, v3, vcc_lo
	v_cmp_gt_u64_e32 vcc_lo, v[4:5], v[10:11]
	v_cmp_lt_u64_e64 s0, v[10:11], v[6:7]
	v_cndmask_b32_e64 v5, v5, 0, vcc_lo
	v_cndmask_b32_e64 v4, v4, 0, vcc_lo
	v_cndmask_b32_e64 v7, v7, v11, s0
	v_cndmask_b32_e64 v6, v6, v10, s0
	s_mov_b32 s0, exec_lo
	v_cmpx_lt_u64_e64 v[4:5], v[6:7]
	s_cbranch_execz .LBB881_5
; %bb.2:
	v_lshlrev_b64 v[8:9], 1, v[8:9]
	v_lshlrev_b64 v[12:13], 1, v[2:3]
	;; [unrolled: 1-line block ×3, first 2 shown]
	v_add_co_u32 v14, vcc_lo, s12, v8
	v_add_co_ci_u32_e64 v15, null, s13, v9, vcc_lo
	v_add_co_u32 v1, vcc_lo, s12, v12
	v_add_co_ci_u32_e64 v8, null, s13, v13, vcc_lo
	;; [unrolled: 2-line block ×3, first 2 shown]
	s_inst_prefetch 0x1
	.p2align	6
.LBB881_3:                              ; =>This Inner Loop Header: Depth=1
	v_add_co_u32 v11, vcc_lo, v6, v4
	v_add_co_ci_u32_e64 v12, null, v7, v5, vcc_lo
	v_and_b32_e32 v13, -2, v11
	v_xor_b32_e32 v16, -1, v12
	v_xor_b32_e32 v15, -2, v13
	v_add_co_u32 v13, vcc_lo, v1, v13
	v_add_co_ci_u32_e64 v14, null, v8, v12, vcc_lo
	v_add_co_u32 v15, vcc_lo, v9, v15
	v_add_co_ci_u32_e64 v16, null, v10, v16, vcc_lo
	v_lshrrev_b64 v[11:12], 1, v[11:12]
	s_clause 0x1
	global_load_ushort v13, v[13:14], off
	global_load_ushort v14, v[15:16], off
	v_add_co_u32 v15, vcc_lo, v11, 1
	v_add_co_ci_u32_e64 v16, null, 0, v12, vcc_lo
	s_waitcnt vmcnt(1)
	v_lshlrev_b32_e32 v13, 1, v13
	s_waitcnt vmcnt(0)
	v_lshlrev_b32_e32 v14, 1, v14
	s_clause 0x1
	global_load_ushort v14, v14, s[14:15]
	global_load_ushort v13, v13, s[14:15]
	s_waitcnt vmcnt(0)
	v_cmp_lt_u16_e32 vcc_lo, v14, v13
	v_cndmask_b32_e32 v7, v7, v12, vcc_lo
	v_cndmask_b32_e32 v6, v6, v11, vcc_lo
	;; [unrolled: 1-line block ×4, first 2 shown]
	v_cmp_ge_u64_e32 vcc_lo, v[4:5], v[6:7]
	s_or_b32 s1, vcc_lo, s1
	s_andn2_b32 exec_lo, exec_lo, s1
	s_cbranch_execnz .LBB881_3
; %bb.4:
	s_inst_prefetch 0x2
	s_or_b32 exec_lo, exec_lo, s1
.LBB881_5:
	s_or_b32 exec_lo, exec_lo, s0
	v_mov_b32_e32 v1, 0
	v_add_co_u32 v2, vcc_lo, v4, v2
	v_add_co_ci_u32_e64 v3, null, v5, v3, vcc_lo
	v_lshlrev_b64 v[0:1], 3, v[0:1]
	v_add_co_u32 v0, vcc_lo, s2, v0
	v_add_co_ci_u32_e64 v1, null, s3, v1, vcc_lo
	global_store_dwordx2 v[0:1], v[2:3], off
.LBB881_6:
	s_endpgm
	.section	.rodata,"a",@progbits
	.p2align	6, 0x0
	.amdhsa_kernel _ZN7rocprim17ROCPRIM_400000_NS6detail17trampoline_kernelINS0_14default_configENS1_38merge_sort_block_merge_config_selectorItNS0_10empty_typeEEEZZNS1_27merge_sort_block_merge_implIS3_N6thrust23THRUST_200600_302600_NS6detail15normal_iteratorINS9_10device_ptrItEEEEPS5_m9comp_mod3ItEEE10hipError_tT0_T1_T2_jT3_P12ihipStream_tbPNSt15iterator_traitsISJ_E10value_typeEPNSP_ISK_E10value_typeEPSL_NS1_7vsmem_tEENKUlT_SJ_SK_SL_E_clIPtSE_SF_SF_EESI_SY_SJ_SK_SL_EUlSY_E_NS1_11comp_targetILNS1_3genE8ELNS1_11target_archE1030ELNS1_3gpuE2ELNS1_3repE0EEENS1_48merge_mergepath_partition_config_static_selectorELNS0_4arch9wavefront6targetE0EEEvSK_
		.amdhsa_group_segment_fixed_size 0
		.amdhsa_private_segment_fixed_size 0
		.amdhsa_kernarg_size 48
		.amdhsa_user_sgpr_count 6
		.amdhsa_user_sgpr_private_segment_buffer 1
		.amdhsa_user_sgpr_dispatch_ptr 0
		.amdhsa_user_sgpr_queue_ptr 0
		.amdhsa_user_sgpr_kernarg_segment_ptr 1
		.amdhsa_user_sgpr_dispatch_id 0
		.amdhsa_user_sgpr_flat_scratch_init 0
		.amdhsa_user_sgpr_private_segment_size 0
		.amdhsa_wavefront_size32 1
		.amdhsa_uses_dynamic_stack 0
		.amdhsa_system_sgpr_private_segment_wavefront_offset 0
		.amdhsa_system_sgpr_workgroup_id_x 1
		.amdhsa_system_sgpr_workgroup_id_y 0
		.amdhsa_system_sgpr_workgroup_id_z 0
		.amdhsa_system_sgpr_workgroup_info 0
		.amdhsa_system_vgpr_workitem_id 0
		.amdhsa_next_free_vgpr 17
		.amdhsa_next_free_sgpr 16
		.amdhsa_reserve_vcc 1
		.amdhsa_reserve_flat_scratch 0
		.amdhsa_float_round_mode_32 0
		.amdhsa_float_round_mode_16_64 0
		.amdhsa_float_denorm_mode_32 3
		.amdhsa_float_denorm_mode_16_64 3
		.amdhsa_dx10_clamp 1
		.amdhsa_ieee_mode 1
		.amdhsa_fp16_overflow 0
		.amdhsa_workgroup_processor_mode 1
		.amdhsa_memory_ordered 1
		.amdhsa_forward_progress 1
		.amdhsa_shared_vgpr_count 0
		.amdhsa_exception_fp_ieee_invalid_op 0
		.amdhsa_exception_fp_denorm_src 0
		.amdhsa_exception_fp_ieee_div_zero 0
		.amdhsa_exception_fp_ieee_overflow 0
		.amdhsa_exception_fp_ieee_underflow 0
		.amdhsa_exception_fp_ieee_inexact 0
		.amdhsa_exception_int_div_zero 0
	.end_amdhsa_kernel
	.section	.text._ZN7rocprim17ROCPRIM_400000_NS6detail17trampoline_kernelINS0_14default_configENS1_38merge_sort_block_merge_config_selectorItNS0_10empty_typeEEEZZNS1_27merge_sort_block_merge_implIS3_N6thrust23THRUST_200600_302600_NS6detail15normal_iteratorINS9_10device_ptrItEEEEPS5_m9comp_mod3ItEEE10hipError_tT0_T1_T2_jT3_P12ihipStream_tbPNSt15iterator_traitsISJ_E10value_typeEPNSP_ISK_E10value_typeEPSL_NS1_7vsmem_tEENKUlT_SJ_SK_SL_E_clIPtSE_SF_SF_EESI_SY_SJ_SK_SL_EUlSY_E_NS1_11comp_targetILNS1_3genE8ELNS1_11target_archE1030ELNS1_3gpuE2ELNS1_3repE0EEENS1_48merge_mergepath_partition_config_static_selectorELNS0_4arch9wavefront6targetE0EEEvSK_,"axG",@progbits,_ZN7rocprim17ROCPRIM_400000_NS6detail17trampoline_kernelINS0_14default_configENS1_38merge_sort_block_merge_config_selectorItNS0_10empty_typeEEEZZNS1_27merge_sort_block_merge_implIS3_N6thrust23THRUST_200600_302600_NS6detail15normal_iteratorINS9_10device_ptrItEEEEPS5_m9comp_mod3ItEEE10hipError_tT0_T1_T2_jT3_P12ihipStream_tbPNSt15iterator_traitsISJ_E10value_typeEPNSP_ISK_E10value_typeEPSL_NS1_7vsmem_tEENKUlT_SJ_SK_SL_E_clIPtSE_SF_SF_EESI_SY_SJ_SK_SL_EUlSY_E_NS1_11comp_targetILNS1_3genE8ELNS1_11target_archE1030ELNS1_3gpuE2ELNS1_3repE0EEENS1_48merge_mergepath_partition_config_static_selectorELNS0_4arch9wavefront6targetE0EEEvSK_,comdat
.Lfunc_end881:
	.size	_ZN7rocprim17ROCPRIM_400000_NS6detail17trampoline_kernelINS0_14default_configENS1_38merge_sort_block_merge_config_selectorItNS0_10empty_typeEEEZZNS1_27merge_sort_block_merge_implIS3_N6thrust23THRUST_200600_302600_NS6detail15normal_iteratorINS9_10device_ptrItEEEEPS5_m9comp_mod3ItEEE10hipError_tT0_T1_T2_jT3_P12ihipStream_tbPNSt15iterator_traitsISJ_E10value_typeEPNSP_ISK_E10value_typeEPSL_NS1_7vsmem_tEENKUlT_SJ_SK_SL_E_clIPtSE_SF_SF_EESI_SY_SJ_SK_SL_EUlSY_E_NS1_11comp_targetILNS1_3genE8ELNS1_11target_archE1030ELNS1_3gpuE2ELNS1_3repE0EEENS1_48merge_mergepath_partition_config_static_selectorELNS0_4arch9wavefront6targetE0EEEvSK_, .Lfunc_end881-_ZN7rocprim17ROCPRIM_400000_NS6detail17trampoline_kernelINS0_14default_configENS1_38merge_sort_block_merge_config_selectorItNS0_10empty_typeEEEZZNS1_27merge_sort_block_merge_implIS3_N6thrust23THRUST_200600_302600_NS6detail15normal_iteratorINS9_10device_ptrItEEEEPS5_m9comp_mod3ItEEE10hipError_tT0_T1_T2_jT3_P12ihipStream_tbPNSt15iterator_traitsISJ_E10value_typeEPNSP_ISK_E10value_typeEPSL_NS1_7vsmem_tEENKUlT_SJ_SK_SL_E_clIPtSE_SF_SF_EESI_SY_SJ_SK_SL_EUlSY_E_NS1_11comp_targetILNS1_3genE8ELNS1_11target_archE1030ELNS1_3gpuE2ELNS1_3repE0EEENS1_48merge_mergepath_partition_config_static_selectorELNS0_4arch9wavefront6targetE0EEEvSK_
                                        ; -- End function
	.set _ZN7rocprim17ROCPRIM_400000_NS6detail17trampoline_kernelINS0_14default_configENS1_38merge_sort_block_merge_config_selectorItNS0_10empty_typeEEEZZNS1_27merge_sort_block_merge_implIS3_N6thrust23THRUST_200600_302600_NS6detail15normal_iteratorINS9_10device_ptrItEEEEPS5_m9comp_mod3ItEEE10hipError_tT0_T1_T2_jT3_P12ihipStream_tbPNSt15iterator_traitsISJ_E10value_typeEPNSP_ISK_E10value_typeEPSL_NS1_7vsmem_tEENKUlT_SJ_SK_SL_E_clIPtSE_SF_SF_EESI_SY_SJ_SK_SL_EUlSY_E_NS1_11comp_targetILNS1_3genE8ELNS1_11target_archE1030ELNS1_3gpuE2ELNS1_3repE0EEENS1_48merge_mergepath_partition_config_static_selectorELNS0_4arch9wavefront6targetE0EEEvSK_.num_vgpr, 17
	.set _ZN7rocprim17ROCPRIM_400000_NS6detail17trampoline_kernelINS0_14default_configENS1_38merge_sort_block_merge_config_selectorItNS0_10empty_typeEEEZZNS1_27merge_sort_block_merge_implIS3_N6thrust23THRUST_200600_302600_NS6detail15normal_iteratorINS9_10device_ptrItEEEEPS5_m9comp_mod3ItEEE10hipError_tT0_T1_T2_jT3_P12ihipStream_tbPNSt15iterator_traitsISJ_E10value_typeEPNSP_ISK_E10value_typeEPSL_NS1_7vsmem_tEENKUlT_SJ_SK_SL_E_clIPtSE_SF_SF_EESI_SY_SJ_SK_SL_EUlSY_E_NS1_11comp_targetILNS1_3genE8ELNS1_11target_archE1030ELNS1_3gpuE2ELNS1_3repE0EEENS1_48merge_mergepath_partition_config_static_selectorELNS0_4arch9wavefront6targetE0EEEvSK_.num_agpr, 0
	.set _ZN7rocprim17ROCPRIM_400000_NS6detail17trampoline_kernelINS0_14default_configENS1_38merge_sort_block_merge_config_selectorItNS0_10empty_typeEEEZZNS1_27merge_sort_block_merge_implIS3_N6thrust23THRUST_200600_302600_NS6detail15normal_iteratorINS9_10device_ptrItEEEEPS5_m9comp_mod3ItEEE10hipError_tT0_T1_T2_jT3_P12ihipStream_tbPNSt15iterator_traitsISJ_E10value_typeEPNSP_ISK_E10value_typeEPSL_NS1_7vsmem_tEENKUlT_SJ_SK_SL_E_clIPtSE_SF_SF_EESI_SY_SJ_SK_SL_EUlSY_E_NS1_11comp_targetILNS1_3genE8ELNS1_11target_archE1030ELNS1_3gpuE2ELNS1_3repE0EEENS1_48merge_mergepath_partition_config_static_selectorELNS0_4arch9wavefront6targetE0EEEvSK_.numbered_sgpr, 16
	.set _ZN7rocprim17ROCPRIM_400000_NS6detail17trampoline_kernelINS0_14default_configENS1_38merge_sort_block_merge_config_selectorItNS0_10empty_typeEEEZZNS1_27merge_sort_block_merge_implIS3_N6thrust23THRUST_200600_302600_NS6detail15normal_iteratorINS9_10device_ptrItEEEEPS5_m9comp_mod3ItEEE10hipError_tT0_T1_T2_jT3_P12ihipStream_tbPNSt15iterator_traitsISJ_E10value_typeEPNSP_ISK_E10value_typeEPSL_NS1_7vsmem_tEENKUlT_SJ_SK_SL_E_clIPtSE_SF_SF_EESI_SY_SJ_SK_SL_EUlSY_E_NS1_11comp_targetILNS1_3genE8ELNS1_11target_archE1030ELNS1_3gpuE2ELNS1_3repE0EEENS1_48merge_mergepath_partition_config_static_selectorELNS0_4arch9wavefront6targetE0EEEvSK_.num_named_barrier, 0
	.set _ZN7rocprim17ROCPRIM_400000_NS6detail17trampoline_kernelINS0_14default_configENS1_38merge_sort_block_merge_config_selectorItNS0_10empty_typeEEEZZNS1_27merge_sort_block_merge_implIS3_N6thrust23THRUST_200600_302600_NS6detail15normal_iteratorINS9_10device_ptrItEEEEPS5_m9comp_mod3ItEEE10hipError_tT0_T1_T2_jT3_P12ihipStream_tbPNSt15iterator_traitsISJ_E10value_typeEPNSP_ISK_E10value_typeEPSL_NS1_7vsmem_tEENKUlT_SJ_SK_SL_E_clIPtSE_SF_SF_EESI_SY_SJ_SK_SL_EUlSY_E_NS1_11comp_targetILNS1_3genE8ELNS1_11target_archE1030ELNS1_3gpuE2ELNS1_3repE0EEENS1_48merge_mergepath_partition_config_static_selectorELNS0_4arch9wavefront6targetE0EEEvSK_.private_seg_size, 0
	.set _ZN7rocprim17ROCPRIM_400000_NS6detail17trampoline_kernelINS0_14default_configENS1_38merge_sort_block_merge_config_selectorItNS0_10empty_typeEEEZZNS1_27merge_sort_block_merge_implIS3_N6thrust23THRUST_200600_302600_NS6detail15normal_iteratorINS9_10device_ptrItEEEEPS5_m9comp_mod3ItEEE10hipError_tT0_T1_T2_jT3_P12ihipStream_tbPNSt15iterator_traitsISJ_E10value_typeEPNSP_ISK_E10value_typeEPSL_NS1_7vsmem_tEENKUlT_SJ_SK_SL_E_clIPtSE_SF_SF_EESI_SY_SJ_SK_SL_EUlSY_E_NS1_11comp_targetILNS1_3genE8ELNS1_11target_archE1030ELNS1_3gpuE2ELNS1_3repE0EEENS1_48merge_mergepath_partition_config_static_selectorELNS0_4arch9wavefront6targetE0EEEvSK_.uses_vcc, 1
	.set _ZN7rocprim17ROCPRIM_400000_NS6detail17trampoline_kernelINS0_14default_configENS1_38merge_sort_block_merge_config_selectorItNS0_10empty_typeEEEZZNS1_27merge_sort_block_merge_implIS3_N6thrust23THRUST_200600_302600_NS6detail15normal_iteratorINS9_10device_ptrItEEEEPS5_m9comp_mod3ItEEE10hipError_tT0_T1_T2_jT3_P12ihipStream_tbPNSt15iterator_traitsISJ_E10value_typeEPNSP_ISK_E10value_typeEPSL_NS1_7vsmem_tEENKUlT_SJ_SK_SL_E_clIPtSE_SF_SF_EESI_SY_SJ_SK_SL_EUlSY_E_NS1_11comp_targetILNS1_3genE8ELNS1_11target_archE1030ELNS1_3gpuE2ELNS1_3repE0EEENS1_48merge_mergepath_partition_config_static_selectorELNS0_4arch9wavefront6targetE0EEEvSK_.uses_flat_scratch, 0
	.set _ZN7rocprim17ROCPRIM_400000_NS6detail17trampoline_kernelINS0_14default_configENS1_38merge_sort_block_merge_config_selectorItNS0_10empty_typeEEEZZNS1_27merge_sort_block_merge_implIS3_N6thrust23THRUST_200600_302600_NS6detail15normal_iteratorINS9_10device_ptrItEEEEPS5_m9comp_mod3ItEEE10hipError_tT0_T1_T2_jT3_P12ihipStream_tbPNSt15iterator_traitsISJ_E10value_typeEPNSP_ISK_E10value_typeEPSL_NS1_7vsmem_tEENKUlT_SJ_SK_SL_E_clIPtSE_SF_SF_EESI_SY_SJ_SK_SL_EUlSY_E_NS1_11comp_targetILNS1_3genE8ELNS1_11target_archE1030ELNS1_3gpuE2ELNS1_3repE0EEENS1_48merge_mergepath_partition_config_static_selectorELNS0_4arch9wavefront6targetE0EEEvSK_.has_dyn_sized_stack, 0
	.set _ZN7rocprim17ROCPRIM_400000_NS6detail17trampoline_kernelINS0_14default_configENS1_38merge_sort_block_merge_config_selectorItNS0_10empty_typeEEEZZNS1_27merge_sort_block_merge_implIS3_N6thrust23THRUST_200600_302600_NS6detail15normal_iteratorINS9_10device_ptrItEEEEPS5_m9comp_mod3ItEEE10hipError_tT0_T1_T2_jT3_P12ihipStream_tbPNSt15iterator_traitsISJ_E10value_typeEPNSP_ISK_E10value_typeEPSL_NS1_7vsmem_tEENKUlT_SJ_SK_SL_E_clIPtSE_SF_SF_EESI_SY_SJ_SK_SL_EUlSY_E_NS1_11comp_targetILNS1_3genE8ELNS1_11target_archE1030ELNS1_3gpuE2ELNS1_3repE0EEENS1_48merge_mergepath_partition_config_static_selectorELNS0_4arch9wavefront6targetE0EEEvSK_.has_recursion, 0
	.set _ZN7rocprim17ROCPRIM_400000_NS6detail17trampoline_kernelINS0_14default_configENS1_38merge_sort_block_merge_config_selectorItNS0_10empty_typeEEEZZNS1_27merge_sort_block_merge_implIS3_N6thrust23THRUST_200600_302600_NS6detail15normal_iteratorINS9_10device_ptrItEEEEPS5_m9comp_mod3ItEEE10hipError_tT0_T1_T2_jT3_P12ihipStream_tbPNSt15iterator_traitsISJ_E10value_typeEPNSP_ISK_E10value_typeEPSL_NS1_7vsmem_tEENKUlT_SJ_SK_SL_E_clIPtSE_SF_SF_EESI_SY_SJ_SK_SL_EUlSY_E_NS1_11comp_targetILNS1_3genE8ELNS1_11target_archE1030ELNS1_3gpuE2ELNS1_3repE0EEENS1_48merge_mergepath_partition_config_static_selectorELNS0_4arch9wavefront6targetE0EEEvSK_.has_indirect_call, 0
	.section	.AMDGPU.csdata,"",@progbits
; Kernel info:
; codeLenInByte = 696
; TotalNumSgprs: 18
; NumVgprs: 17
; ScratchSize: 0
; MemoryBound: 0
; FloatMode: 240
; IeeeMode: 1
; LDSByteSize: 0 bytes/workgroup (compile time only)
; SGPRBlocks: 0
; VGPRBlocks: 2
; NumSGPRsForWavesPerEU: 18
; NumVGPRsForWavesPerEU: 17
; Occupancy: 16
; WaveLimiterHint : 1
; COMPUTE_PGM_RSRC2:SCRATCH_EN: 0
; COMPUTE_PGM_RSRC2:USER_SGPR: 6
; COMPUTE_PGM_RSRC2:TRAP_HANDLER: 0
; COMPUTE_PGM_RSRC2:TGID_X_EN: 1
; COMPUTE_PGM_RSRC2:TGID_Y_EN: 0
; COMPUTE_PGM_RSRC2:TGID_Z_EN: 0
; COMPUTE_PGM_RSRC2:TIDIG_COMP_CNT: 0
	.section	.text._ZN7rocprim17ROCPRIM_400000_NS6detail17trampoline_kernelINS0_14default_configENS1_38merge_sort_block_merge_config_selectorItNS0_10empty_typeEEEZZNS1_27merge_sort_block_merge_implIS3_N6thrust23THRUST_200600_302600_NS6detail15normal_iteratorINS9_10device_ptrItEEEEPS5_m9comp_mod3ItEEE10hipError_tT0_T1_T2_jT3_P12ihipStream_tbPNSt15iterator_traitsISJ_E10value_typeEPNSP_ISK_E10value_typeEPSL_NS1_7vsmem_tEENKUlT_SJ_SK_SL_E_clIPtSE_SF_SF_EESI_SY_SJ_SK_SL_EUlSY_E0_NS1_11comp_targetILNS1_3genE0ELNS1_11target_archE4294967295ELNS1_3gpuE0ELNS1_3repE0EEENS1_38merge_mergepath_config_static_selectorELNS0_4arch9wavefront6targetE0EEEvSK_,"axG",@progbits,_ZN7rocprim17ROCPRIM_400000_NS6detail17trampoline_kernelINS0_14default_configENS1_38merge_sort_block_merge_config_selectorItNS0_10empty_typeEEEZZNS1_27merge_sort_block_merge_implIS3_N6thrust23THRUST_200600_302600_NS6detail15normal_iteratorINS9_10device_ptrItEEEEPS5_m9comp_mod3ItEEE10hipError_tT0_T1_T2_jT3_P12ihipStream_tbPNSt15iterator_traitsISJ_E10value_typeEPNSP_ISK_E10value_typeEPSL_NS1_7vsmem_tEENKUlT_SJ_SK_SL_E_clIPtSE_SF_SF_EESI_SY_SJ_SK_SL_EUlSY_E0_NS1_11comp_targetILNS1_3genE0ELNS1_11target_archE4294967295ELNS1_3gpuE0ELNS1_3repE0EEENS1_38merge_mergepath_config_static_selectorELNS0_4arch9wavefront6targetE0EEEvSK_,comdat
	.protected	_ZN7rocprim17ROCPRIM_400000_NS6detail17trampoline_kernelINS0_14default_configENS1_38merge_sort_block_merge_config_selectorItNS0_10empty_typeEEEZZNS1_27merge_sort_block_merge_implIS3_N6thrust23THRUST_200600_302600_NS6detail15normal_iteratorINS9_10device_ptrItEEEEPS5_m9comp_mod3ItEEE10hipError_tT0_T1_T2_jT3_P12ihipStream_tbPNSt15iterator_traitsISJ_E10value_typeEPNSP_ISK_E10value_typeEPSL_NS1_7vsmem_tEENKUlT_SJ_SK_SL_E_clIPtSE_SF_SF_EESI_SY_SJ_SK_SL_EUlSY_E0_NS1_11comp_targetILNS1_3genE0ELNS1_11target_archE4294967295ELNS1_3gpuE0ELNS1_3repE0EEENS1_38merge_mergepath_config_static_selectorELNS0_4arch9wavefront6targetE0EEEvSK_ ; -- Begin function _ZN7rocprim17ROCPRIM_400000_NS6detail17trampoline_kernelINS0_14default_configENS1_38merge_sort_block_merge_config_selectorItNS0_10empty_typeEEEZZNS1_27merge_sort_block_merge_implIS3_N6thrust23THRUST_200600_302600_NS6detail15normal_iteratorINS9_10device_ptrItEEEEPS5_m9comp_mod3ItEEE10hipError_tT0_T1_T2_jT3_P12ihipStream_tbPNSt15iterator_traitsISJ_E10value_typeEPNSP_ISK_E10value_typeEPSL_NS1_7vsmem_tEENKUlT_SJ_SK_SL_E_clIPtSE_SF_SF_EESI_SY_SJ_SK_SL_EUlSY_E0_NS1_11comp_targetILNS1_3genE0ELNS1_11target_archE4294967295ELNS1_3gpuE0ELNS1_3repE0EEENS1_38merge_mergepath_config_static_selectorELNS0_4arch9wavefront6targetE0EEEvSK_
	.globl	_ZN7rocprim17ROCPRIM_400000_NS6detail17trampoline_kernelINS0_14default_configENS1_38merge_sort_block_merge_config_selectorItNS0_10empty_typeEEEZZNS1_27merge_sort_block_merge_implIS3_N6thrust23THRUST_200600_302600_NS6detail15normal_iteratorINS9_10device_ptrItEEEEPS5_m9comp_mod3ItEEE10hipError_tT0_T1_T2_jT3_P12ihipStream_tbPNSt15iterator_traitsISJ_E10value_typeEPNSP_ISK_E10value_typeEPSL_NS1_7vsmem_tEENKUlT_SJ_SK_SL_E_clIPtSE_SF_SF_EESI_SY_SJ_SK_SL_EUlSY_E0_NS1_11comp_targetILNS1_3genE0ELNS1_11target_archE4294967295ELNS1_3gpuE0ELNS1_3repE0EEENS1_38merge_mergepath_config_static_selectorELNS0_4arch9wavefront6targetE0EEEvSK_
	.p2align	8
	.type	_ZN7rocprim17ROCPRIM_400000_NS6detail17trampoline_kernelINS0_14default_configENS1_38merge_sort_block_merge_config_selectorItNS0_10empty_typeEEEZZNS1_27merge_sort_block_merge_implIS3_N6thrust23THRUST_200600_302600_NS6detail15normal_iteratorINS9_10device_ptrItEEEEPS5_m9comp_mod3ItEEE10hipError_tT0_T1_T2_jT3_P12ihipStream_tbPNSt15iterator_traitsISJ_E10value_typeEPNSP_ISK_E10value_typeEPSL_NS1_7vsmem_tEENKUlT_SJ_SK_SL_E_clIPtSE_SF_SF_EESI_SY_SJ_SK_SL_EUlSY_E0_NS1_11comp_targetILNS1_3genE0ELNS1_11target_archE4294967295ELNS1_3gpuE0ELNS1_3repE0EEENS1_38merge_mergepath_config_static_selectorELNS0_4arch9wavefront6targetE0EEEvSK_,@function
_ZN7rocprim17ROCPRIM_400000_NS6detail17trampoline_kernelINS0_14default_configENS1_38merge_sort_block_merge_config_selectorItNS0_10empty_typeEEEZZNS1_27merge_sort_block_merge_implIS3_N6thrust23THRUST_200600_302600_NS6detail15normal_iteratorINS9_10device_ptrItEEEEPS5_m9comp_mod3ItEEE10hipError_tT0_T1_T2_jT3_P12ihipStream_tbPNSt15iterator_traitsISJ_E10value_typeEPNSP_ISK_E10value_typeEPSL_NS1_7vsmem_tEENKUlT_SJ_SK_SL_E_clIPtSE_SF_SF_EESI_SY_SJ_SK_SL_EUlSY_E0_NS1_11comp_targetILNS1_3genE0ELNS1_11target_archE4294967295ELNS1_3gpuE0ELNS1_3repE0EEENS1_38merge_mergepath_config_static_selectorELNS0_4arch9wavefront6targetE0EEEvSK_: ; @_ZN7rocprim17ROCPRIM_400000_NS6detail17trampoline_kernelINS0_14default_configENS1_38merge_sort_block_merge_config_selectorItNS0_10empty_typeEEEZZNS1_27merge_sort_block_merge_implIS3_N6thrust23THRUST_200600_302600_NS6detail15normal_iteratorINS9_10device_ptrItEEEEPS5_m9comp_mod3ItEEE10hipError_tT0_T1_T2_jT3_P12ihipStream_tbPNSt15iterator_traitsISJ_E10value_typeEPNSP_ISK_E10value_typeEPSL_NS1_7vsmem_tEENKUlT_SJ_SK_SL_E_clIPtSE_SF_SF_EESI_SY_SJ_SK_SL_EUlSY_E0_NS1_11comp_targetILNS1_3genE0ELNS1_11target_archE4294967295ELNS1_3gpuE0ELNS1_3repE0EEENS1_38merge_mergepath_config_static_selectorELNS0_4arch9wavefront6targetE0EEEvSK_
; %bb.0:
	.section	.rodata,"a",@progbits
	.p2align	6, 0x0
	.amdhsa_kernel _ZN7rocprim17ROCPRIM_400000_NS6detail17trampoline_kernelINS0_14default_configENS1_38merge_sort_block_merge_config_selectorItNS0_10empty_typeEEEZZNS1_27merge_sort_block_merge_implIS3_N6thrust23THRUST_200600_302600_NS6detail15normal_iteratorINS9_10device_ptrItEEEEPS5_m9comp_mod3ItEEE10hipError_tT0_T1_T2_jT3_P12ihipStream_tbPNSt15iterator_traitsISJ_E10value_typeEPNSP_ISK_E10value_typeEPSL_NS1_7vsmem_tEENKUlT_SJ_SK_SL_E_clIPtSE_SF_SF_EESI_SY_SJ_SK_SL_EUlSY_E0_NS1_11comp_targetILNS1_3genE0ELNS1_11target_archE4294967295ELNS1_3gpuE0ELNS1_3repE0EEENS1_38merge_mergepath_config_static_selectorELNS0_4arch9wavefront6targetE0EEEvSK_
		.amdhsa_group_segment_fixed_size 0
		.amdhsa_private_segment_fixed_size 0
		.amdhsa_kernarg_size 80
		.amdhsa_user_sgpr_count 6
		.amdhsa_user_sgpr_private_segment_buffer 1
		.amdhsa_user_sgpr_dispatch_ptr 0
		.amdhsa_user_sgpr_queue_ptr 0
		.amdhsa_user_sgpr_kernarg_segment_ptr 1
		.amdhsa_user_sgpr_dispatch_id 0
		.amdhsa_user_sgpr_flat_scratch_init 0
		.amdhsa_user_sgpr_private_segment_size 0
		.amdhsa_wavefront_size32 1
		.amdhsa_uses_dynamic_stack 0
		.amdhsa_system_sgpr_private_segment_wavefront_offset 0
		.amdhsa_system_sgpr_workgroup_id_x 1
		.amdhsa_system_sgpr_workgroup_id_y 0
		.amdhsa_system_sgpr_workgroup_id_z 0
		.amdhsa_system_sgpr_workgroup_info 0
		.amdhsa_system_vgpr_workitem_id 0
		.amdhsa_next_free_vgpr 1
		.amdhsa_next_free_sgpr 1
		.amdhsa_reserve_vcc 0
		.amdhsa_reserve_flat_scratch 0
		.amdhsa_float_round_mode_32 0
		.amdhsa_float_round_mode_16_64 0
		.amdhsa_float_denorm_mode_32 3
		.amdhsa_float_denorm_mode_16_64 3
		.amdhsa_dx10_clamp 1
		.amdhsa_ieee_mode 1
		.amdhsa_fp16_overflow 0
		.amdhsa_workgroup_processor_mode 1
		.amdhsa_memory_ordered 1
		.amdhsa_forward_progress 1
		.amdhsa_shared_vgpr_count 0
		.amdhsa_exception_fp_ieee_invalid_op 0
		.amdhsa_exception_fp_denorm_src 0
		.amdhsa_exception_fp_ieee_div_zero 0
		.amdhsa_exception_fp_ieee_overflow 0
		.amdhsa_exception_fp_ieee_underflow 0
		.amdhsa_exception_fp_ieee_inexact 0
		.amdhsa_exception_int_div_zero 0
	.end_amdhsa_kernel
	.section	.text._ZN7rocprim17ROCPRIM_400000_NS6detail17trampoline_kernelINS0_14default_configENS1_38merge_sort_block_merge_config_selectorItNS0_10empty_typeEEEZZNS1_27merge_sort_block_merge_implIS3_N6thrust23THRUST_200600_302600_NS6detail15normal_iteratorINS9_10device_ptrItEEEEPS5_m9comp_mod3ItEEE10hipError_tT0_T1_T2_jT3_P12ihipStream_tbPNSt15iterator_traitsISJ_E10value_typeEPNSP_ISK_E10value_typeEPSL_NS1_7vsmem_tEENKUlT_SJ_SK_SL_E_clIPtSE_SF_SF_EESI_SY_SJ_SK_SL_EUlSY_E0_NS1_11comp_targetILNS1_3genE0ELNS1_11target_archE4294967295ELNS1_3gpuE0ELNS1_3repE0EEENS1_38merge_mergepath_config_static_selectorELNS0_4arch9wavefront6targetE0EEEvSK_,"axG",@progbits,_ZN7rocprim17ROCPRIM_400000_NS6detail17trampoline_kernelINS0_14default_configENS1_38merge_sort_block_merge_config_selectorItNS0_10empty_typeEEEZZNS1_27merge_sort_block_merge_implIS3_N6thrust23THRUST_200600_302600_NS6detail15normal_iteratorINS9_10device_ptrItEEEEPS5_m9comp_mod3ItEEE10hipError_tT0_T1_T2_jT3_P12ihipStream_tbPNSt15iterator_traitsISJ_E10value_typeEPNSP_ISK_E10value_typeEPSL_NS1_7vsmem_tEENKUlT_SJ_SK_SL_E_clIPtSE_SF_SF_EESI_SY_SJ_SK_SL_EUlSY_E0_NS1_11comp_targetILNS1_3genE0ELNS1_11target_archE4294967295ELNS1_3gpuE0ELNS1_3repE0EEENS1_38merge_mergepath_config_static_selectorELNS0_4arch9wavefront6targetE0EEEvSK_,comdat
.Lfunc_end882:
	.size	_ZN7rocprim17ROCPRIM_400000_NS6detail17trampoline_kernelINS0_14default_configENS1_38merge_sort_block_merge_config_selectorItNS0_10empty_typeEEEZZNS1_27merge_sort_block_merge_implIS3_N6thrust23THRUST_200600_302600_NS6detail15normal_iteratorINS9_10device_ptrItEEEEPS5_m9comp_mod3ItEEE10hipError_tT0_T1_T2_jT3_P12ihipStream_tbPNSt15iterator_traitsISJ_E10value_typeEPNSP_ISK_E10value_typeEPSL_NS1_7vsmem_tEENKUlT_SJ_SK_SL_E_clIPtSE_SF_SF_EESI_SY_SJ_SK_SL_EUlSY_E0_NS1_11comp_targetILNS1_3genE0ELNS1_11target_archE4294967295ELNS1_3gpuE0ELNS1_3repE0EEENS1_38merge_mergepath_config_static_selectorELNS0_4arch9wavefront6targetE0EEEvSK_, .Lfunc_end882-_ZN7rocprim17ROCPRIM_400000_NS6detail17trampoline_kernelINS0_14default_configENS1_38merge_sort_block_merge_config_selectorItNS0_10empty_typeEEEZZNS1_27merge_sort_block_merge_implIS3_N6thrust23THRUST_200600_302600_NS6detail15normal_iteratorINS9_10device_ptrItEEEEPS5_m9comp_mod3ItEEE10hipError_tT0_T1_T2_jT3_P12ihipStream_tbPNSt15iterator_traitsISJ_E10value_typeEPNSP_ISK_E10value_typeEPSL_NS1_7vsmem_tEENKUlT_SJ_SK_SL_E_clIPtSE_SF_SF_EESI_SY_SJ_SK_SL_EUlSY_E0_NS1_11comp_targetILNS1_3genE0ELNS1_11target_archE4294967295ELNS1_3gpuE0ELNS1_3repE0EEENS1_38merge_mergepath_config_static_selectorELNS0_4arch9wavefront6targetE0EEEvSK_
                                        ; -- End function
	.set _ZN7rocprim17ROCPRIM_400000_NS6detail17trampoline_kernelINS0_14default_configENS1_38merge_sort_block_merge_config_selectorItNS0_10empty_typeEEEZZNS1_27merge_sort_block_merge_implIS3_N6thrust23THRUST_200600_302600_NS6detail15normal_iteratorINS9_10device_ptrItEEEEPS5_m9comp_mod3ItEEE10hipError_tT0_T1_T2_jT3_P12ihipStream_tbPNSt15iterator_traitsISJ_E10value_typeEPNSP_ISK_E10value_typeEPSL_NS1_7vsmem_tEENKUlT_SJ_SK_SL_E_clIPtSE_SF_SF_EESI_SY_SJ_SK_SL_EUlSY_E0_NS1_11comp_targetILNS1_3genE0ELNS1_11target_archE4294967295ELNS1_3gpuE0ELNS1_3repE0EEENS1_38merge_mergepath_config_static_selectorELNS0_4arch9wavefront6targetE0EEEvSK_.num_vgpr, 0
	.set _ZN7rocprim17ROCPRIM_400000_NS6detail17trampoline_kernelINS0_14default_configENS1_38merge_sort_block_merge_config_selectorItNS0_10empty_typeEEEZZNS1_27merge_sort_block_merge_implIS3_N6thrust23THRUST_200600_302600_NS6detail15normal_iteratorINS9_10device_ptrItEEEEPS5_m9comp_mod3ItEEE10hipError_tT0_T1_T2_jT3_P12ihipStream_tbPNSt15iterator_traitsISJ_E10value_typeEPNSP_ISK_E10value_typeEPSL_NS1_7vsmem_tEENKUlT_SJ_SK_SL_E_clIPtSE_SF_SF_EESI_SY_SJ_SK_SL_EUlSY_E0_NS1_11comp_targetILNS1_3genE0ELNS1_11target_archE4294967295ELNS1_3gpuE0ELNS1_3repE0EEENS1_38merge_mergepath_config_static_selectorELNS0_4arch9wavefront6targetE0EEEvSK_.num_agpr, 0
	.set _ZN7rocprim17ROCPRIM_400000_NS6detail17trampoline_kernelINS0_14default_configENS1_38merge_sort_block_merge_config_selectorItNS0_10empty_typeEEEZZNS1_27merge_sort_block_merge_implIS3_N6thrust23THRUST_200600_302600_NS6detail15normal_iteratorINS9_10device_ptrItEEEEPS5_m9comp_mod3ItEEE10hipError_tT0_T1_T2_jT3_P12ihipStream_tbPNSt15iterator_traitsISJ_E10value_typeEPNSP_ISK_E10value_typeEPSL_NS1_7vsmem_tEENKUlT_SJ_SK_SL_E_clIPtSE_SF_SF_EESI_SY_SJ_SK_SL_EUlSY_E0_NS1_11comp_targetILNS1_3genE0ELNS1_11target_archE4294967295ELNS1_3gpuE0ELNS1_3repE0EEENS1_38merge_mergepath_config_static_selectorELNS0_4arch9wavefront6targetE0EEEvSK_.numbered_sgpr, 0
	.set _ZN7rocprim17ROCPRIM_400000_NS6detail17trampoline_kernelINS0_14default_configENS1_38merge_sort_block_merge_config_selectorItNS0_10empty_typeEEEZZNS1_27merge_sort_block_merge_implIS3_N6thrust23THRUST_200600_302600_NS6detail15normal_iteratorINS9_10device_ptrItEEEEPS5_m9comp_mod3ItEEE10hipError_tT0_T1_T2_jT3_P12ihipStream_tbPNSt15iterator_traitsISJ_E10value_typeEPNSP_ISK_E10value_typeEPSL_NS1_7vsmem_tEENKUlT_SJ_SK_SL_E_clIPtSE_SF_SF_EESI_SY_SJ_SK_SL_EUlSY_E0_NS1_11comp_targetILNS1_3genE0ELNS1_11target_archE4294967295ELNS1_3gpuE0ELNS1_3repE0EEENS1_38merge_mergepath_config_static_selectorELNS0_4arch9wavefront6targetE0EEEvSK_.num_named_barrier, 0
	.set _ZN7rocprim17ROCPRIM_400000_NS6detail17trampoline_kernelINS0_14default_configENS1_38merge_sort_block_merge_config_selectorItNS0_10empty_typeEEEZZNS1_27merge_sort_block_merge_implIS3_N6thrust23THRUST_200600_302600_NS6detail15normal_iteratorINS9_10device_ptrItEEEEPS5_m9comp_mod3ItEEE10hipError_tT0_T1_T2_jT3_P12ihipStream_tbPNSt15iterator_traitsISJ_E10value_typeEPNSP_ISK_E10value_typeEPSL_NS1_7vsmem_tEENKUlT_SJ_SK_SL_E_clIPtSE_SF_SF_EESI_SY_SJ_SK_SL_EUlSY_E0_NS1_11comp_targetILNS1_3genE0ELNS1_11target_archE4294967295ELNS1_3gpuE0ELNS1_3repE0EEENS1_38merge_mergepath_config_static_selectorELNS0_4arch9wavefront6targetE0EEEvSK_.private_seg_size, 0
	.set _ZN7rocprim17ROCPRIM_400000_NS6detail17trampoline_kernelINS0_14default_configENS1_38merge_sort_block_merge_config_selectorItNS0_10empty_typeEEEZZNS1_27merge_sort_block_merge_implIS3_N6thrust23THRUST_200600_302600_NS6detail15normal_iteratorINS9_10device_ptrItEEEEPS5_m9comp_mod3ItEEE10hipError_tT0_T1_T2_jT3_P12ihipStream_tbPNSt15iterator_traitsISJ_E10value_typeEPNSP_ISK_E10value_typeEPSL_NS1_7vsmem_tEENKUlT_SJ_SK_SL_E_clIPtSE_SF_SF_EESI_SY_SJ_SK_SL_EUlSY_E0_NS1_11comp_targetILNS1_3genE0ELNS1_11target_archE4294967295ELNS1_3gpuE0ELNS1_3repE0EEENS1_38merge_mergepath_config_static_selectorELNS0_4arch9wavefront6targetE0EEEvSK_.uses_vcc, 0
	.set _ZN7rocprim17ROCPRIM_400000_NS6detail17trampoline_kernelINS0_14default_configENS1_38merge_sort_block_merge_config_selectorItNS0_10empty_typeEEEZZNS1_27merge_sort_block_merge_implIS3_N6thrust23THRUST_200600_302600_NS6detail15normal_iteratorINS9_10device_ptrItEEEEPS5_m9comp_mod3ItEEE10hipError_tT0_T1_T2_jT3_P12ihipStream_tbPNSt15iterator_traitsISJ_E10value_typeEPNSP_ISK_E10value_typeEPSL_NS1_7vsmem_tEENKUlT_SJ_SK_SL_E_clIPtSE_SF_SF_EESI_SY_SJ_SK_SL_EUlSY_E0_NS1_11comp_targetILNS1_3genE0ELNS1_11target_archE4294967295ELNS1_3gpuE0ELNS1_3repE0EEENS1_38merge_mergepath_config_static_selectorELNS0_4arch9wavefront6targetE0EEEvSK_.uses_flat_scratch, 0
	.set _ZN7rocprim17ROCPRIM_400000_NS6detail17trampoline_kernelINS0_14default_configENS1_38merge_sort_block_merge_config_selectorItNS0_10empty_typeEEEZZNS1_27merge_sort_block_merge_implIS3_N6thrust23THRUST_200600_302600_NS6detail15normal_iteratorINS9_10device_ptrItEEEEPS5_m9comp_mod3ItEEE10hipError_tT0_T1_T2_jT3_P12ihipStream_tbPNSt15iterator_traitsISJ_E10value_typeEPNSP_ISK_E10value_typeEPSL_NS1_7vsmem_tEENKUlT_SJ_SK_SL_E_clIPtSE_SF_SF_EESI_SY_SJ_SK_SL_EUlSY_E0_NS1_11comp_targetILNS1_3genE0ELNS1_11target_archE4294967295ELNS1_3gpuE0ELNS1_3repE0EEENS1_38merge_mergepath_config_static_selectorELNS0_4arch9wavefront6targetE0EEEvSK_.has_dyn_sized_stack, 0
	.set _ZN7rocprim17ROCPRIM_400000_NS6detail17trampoline_kernelINS0_14default_configENS1_38merge_sort_block_merge_config_selectorItNS0_10empty_typeEEEZZNS1_27merge_sort_block_merge_implIS3_N6thrust23THRUST_200600_302600_NS6detail15normal_iteratorINS9_10device_ptrItEEEEPS5_m9comp_mod3ItEEE10hipError_tT0_T1_T2_jT3_P12ihipStream_tbPNSt15iterator_traitsISJ_E10value_typeEPNSP_ISK_E10value_typeEPSL_NS1_7vsmem_tEENKUlT_SJ_SK_SL_E_clIPtSE_SF_SF_EESI_SY_SJ_SK_SL_EUlSY_E0_NS1_11comp_targetILNS1_3genE0ELNS1_11target_archE4294967295ELNS1_3gpuE0ELNS1_3repE0EEENS1_38merge_mergepath_config_static_selectorELNS0_4arch9wavefront6targetE0EEEvSK_.has_recursion, 0
	.set _ZN7rocprim17ROCPRIM_400000_NS6detail17trampoline_kernelINS0_14default_configENS1_38merge_sort_block_merge_config_selectorItNS0_10empty_typeEEEZZNS1_27merge_sort_block_merge_implIS3_N6thrust23THRUST_200600_302600_NS6detail15normal_iteratorINS9_10device_ptrItEEEEPS5_m9comp_mod3ItEEE10hipError_tT0_T1_T2_jT3_P12ihipStream_tbPNSt15iterator_traitsISJ_E10value_typeEPNSP_ISK_E10value_typeEPSL_NS1_7vsmem_tEENKUlT_SJ_SK_SL_E_clIPtSE_SF_SF_EESI_SY_SJ_SK_SL_EUlSY_E0_NS1_11comp_targetILNS1_3genE0ELNS1_11target_archE4294967295ELNS1_3gpuE0ELNS1_3repE0EEENS1_38merge_mergepath_config_static_selectorELNS0_4arch9wavefront6targetE0EEEvSK_.has_indirect_call, 0
	.section	.AMDGPU.csdata,"",@progbits
; Kernel info:
; codeLenInByte = 0
; TotalNumSgprs: 0
; NumVgprs: 0
; ScratchSize: 0
; MemoryBound: 0
; FloatMode: 240
; IeeeMode: 1
; LDSByteSize: 0 bytes/workgroup (compile time only)
; SGPRBlocks: 0
; VGPRBlocks: 0
; NumSGPRsForWavesPerEU: 1
; NumVGPRsForWavesPerEU: 1
; Occupancy: 16
; WaveLimiterHint : 0
; COMPUTE_PGM_RSRC2:SCRATCH_EN: 0
; COMPUTE_PGM_RSRC2:USER_SGPR: 6
; COMPUTE_PGM_RSRC2:TRAP_HANDLER: 0
; COMPUTE_PGM_RSRC2:TGID_X_EN: 1
; COMPUTE_PGM_RSRC2:TGID_Y_EN: 0
; COMPUTE_PGM_RSRC2:TGID_Z_EN: 0
; COMPUTE_PGM_RSRC2:TIDIG_COMP_CNT: 0
	.section	.text._ZN7rocprim17ROCPRIM_400000_NS6detail17trampoline_kernelINS0_14default_configENS1_38merge_sort_block_merge_config_selectorItNS0_10empty_typeEEEZZNS1_27merge_sort_block_merge_implIS3_N6thrust23THRUST_200600_302600_NS6detail15normal_iteratorINS9_10device_ptrItEEEEPS5_m9comp_mod3ItEEE10hipError_tT0_T1_T2_jT3_P12ihipStream_tbPNSt15iterator_traitsISJ_E10value_typeEPNSP_ISK_E10value_typeEPSL_NS1_7vsmem_tEENKUlT_SJ_SK_SL_E_clIPtSE_SF_SF_EESI_SY_SJ_SK_SL_EUlSY_E0_NS1_11comp_targetILNS1_3genE10ELNS1_11target_archE1201ELNS1_3gpuE5ELNS1_3repE0EEENS1_38merge_mergepath_config_static_selectorELNS0_4arch9wavefront6targetE0EEEvSK_,"axG",@progbits,_ZN7rocprim17ROCPRIM_400000_NS6detail17trampoline_kernelINS0_14default_configENS1_38merge_sort_block_merge_config_selectorItNS0_10empty_typeEEEZZNS1_27merge_sort_block_merge_implIS3_N6thrust23THRUST_200600_302600_NS6detail15normal_iteratorINS9_10device_ptrItEEEEPS5_m9comp_mod3ItEEE10hipError_tT0_T1_T2_jT3_P12ihipStream_tbPNSt15iterator_traitsISJ_E10value_typeEPNSP_ISK_E10value_typeEPSL_NS1_7vsmem_tEENKUlT_SJ_SK_SL_E_clIPtSE_SF_SF_EESI_SY_SJ_SK_SL_EUlSY_E0_NS1_11comp_targetILNS1_3genE10ELNS1_11target_archE1201ELNS1_3gpuE5ELNS1_3repE0EEENS1_38merge_mergepath_config_static_selectorELNS0_4arch9wavefront6targetE0EEEvSK_,comdat
	.protected	_ZN7rocprim17ROCPRIM_400000_NS6detail17trampoline_kernelINS0_14default_configENS1_38merge_sort_block_merge_config_selectorItNS0_10empty_typeEEEZZNS1_27merge_sort_block_merge_implIS3_N6thrust23THRUST_200600_302600_NS6detail15normal_iteratorINS9_10device_ptrItEEEEPS5_m9comp_mod3ItEEE10hipError_tT0_T1_T2_jT3_P12ihipStream_tbPNSt15iterator_traitsISJ_E10value_typeEPNSP_ISK_E10value_typeEPSL_NS1_7vsmem_tEENKUlT_SJ_SK_SL_E_clIPtSE_SF_SF_EESI_SY_SJ_SK_SL_EUlSY_E0_NS1_11comp_targetILNS1_3genE10ELNS1_11target_archE1201ELNS1_3gpuE5ELNS1_3repE0EEENS1_38merge_mergepath_config_static_selectorELNS0_4arch9wavefront6targetE0EEEvSK_ ; -- Begin function _ZN7rocprim17ROCPRIM_400000_NS6detail17trampoline_kernelINS0_14default_configENS1_38merge_sort_block_merge_config_selectorItNS0_10empty_typeEEEZZNS1_27merge_sort_block_merge_implIS3_N6thrust23THRUST_200600_302600_NS6detail15normal_iteratorINS9_10device_ptrItEEEEPS5_m9comp_mod3ItEEE10hipError_tT0_T1_T2_jT3_P12ihipStream_tbPNSt15iterator_traitsISJ_E10value_typeEPNSP_ISK_E10value_typeEPSL_NS1_7vsmem_tEENKUlT_SJ_SK_SL_E_clIPtSE_SF_SF_EESI_SY_SJ_SK_SL_EUlSY_E0_NS1_11comp_targetILNS1_3genE10ELNS1_11target_archE1201ELNS1_3gpuE5ELNS1_3repE0EEENS1_38merge_mergepath_config_static_selectorELNS0_4arch9wavefront6targetE0EEEvSK_
	.globl	_ZN7rocprim17ROCPRIM_400000_NS6detail17trampoline_kernelINS0_14default_configENS1_38merge_sort_block_merge_config_selectorItNS0_10empty_typeEEEZZNS1_27merge_sort_block_merge_implIS3_N6thrust23THRUST_200600_302600_NS6detail15normal_iteratorINS9_10device_ptrItEEEEPS5_m9comp_mod3ItEEE10hipError_tT0_T1_T2_jT3_P12ihipStream_tbPNSt15iterator_traitsISJ_E10value_typeEPNSP_ISK_E10value_typeEPSL_NS1_7vsmem_tEENKUlT_SJ_SK_SL_E_clIPtSE_SF_SF_EESI_SY_SJ_SK_SL_EUlSY_E0_NS1_11comp_targetILNS1_3genE10ELNS1_11target_archE1201ELNS1_3gpuE5ELNS1_3repE0EEENS1_38merge_mergepath_config_static_selectorELNS0_4arch9wavefront6targetE0EEEvSK_
	.p2align	8
	.type	_ZN7rocprim17ROCPRIM_400000_NS6detail17trampoline_kernelINS0_14default_configENS1_38merge_sort_block_merge_config_selectorItNS0_10empty_typeEEEZZNS1_27merge_sort_block_merge_implIS3_N6thrust23THRUST_200600_302600_NS6detail15normal_iteratorINS9_10device_ptrItEEEEPS5_m9comp_mod3ItEEE10hipError_tT0_T1_T2_jT3_P12ihipStream_tbPNSt15iterator_traitsISJ_E10value_typeEPNSP_ISK_E10value_typeEPSL_NS1_7vsmem_tEENKUlT_SJ_SK_SL_E_clIPtSE_SF_SF_EESI_SY_SJ_SK_SL_EUlSY_E0_NS1_11comp_targetILNS1_3genE10ELNS1_11target_archE1201ELNS1_3gpuE5ELNS1_3repE0EEENS1_38merge_mergepath_config_static_selectorELNS0_4arch9wavefront6targetE0EEEvSK_,@function
_ZN7rocprim17ROCPRIM_400000_NS6detail17trampoline_kernelINS0_14default_configENS1_38merge_sort_block_merge_config_selectorItNS0_10empty_typeEEEZZNS1_27merge_sort_block_merge_implIS3_N6thrust23THRUST_200600_302600_NS6detail15normal_iteratorINS9_10device_ptrItEEEEPS5_m9comp_mod3ItEEE10hipError_tT0_T1_T2_jT3_P12ihipStream_tbPNSt15iterator_traitsISJ_E10value_typeEPNSP_ISK_E10value_typeEPSL_NS1_7vsmem_tEENKUlT_SJ_SK_SL_E_clIPtSE_SF_SF_EESI_SY_SJ_SK_SL_EUlSY_E0_NS1_11comp_targetILNS1_3genE10ELNS1_11target_archE1201ELNS1_3gpuE5ELNS1_3repE0EEENS1_38merge_mergepath_config_static_selectorELNS0_4arch9wavefront6targetE0EEEvSK_: ; @_ZN7rocprim17ROCPRIM_400000_NS6detail17trampoline_kernelINS0_14default_configENS1_38merge_sort_block_merge_config_selectorItNS0_10empty_typeEEEZZNS1_27merge_sort_block_merge_implIS3_N6thrust23THRUST_200600_302600_NS6detail15normal_iteratorINS9_10device_ptrItEEEEPS5_m9comp_mod3ItEEE10hipError_tT0_T1_T2_jT3_P12ihipStream_tbPNSt15iterator_traitsISJ_E10value_typeEPNSP_ISK_E10value_typeEPSL_NS1_7vsmem_tEENKUlT_SJ_SK_SL_E_clIPtSE_SF_SF_EESI_SY_SJ_SK_SL_EUlSY_E0_NS1_11comp_targetILNS1_3genE10ELNS1_11target_archE1201ELNS1_3gpuE5ELNS1_3repE0EEENS1_38merge_mergepath_config_static_selectorELNS0_4arch9wavefront6targetE0EEEvSK_
; %bb.0:
	.section	.rodata,"a",@progbits
	.p2align	6, 0x0
	.amdhsa_kernel _ZN7rocprim17ROCPRIM_400000_NS6detail17trampoline_kernelINS0_14default_configENS1_38merge_sort_block_merge_config_selectorItNS0_10empty_typeEEEZZNS1_27merge_sort_block_merge_implIS3_N6thrust23THRUST_200600_302600_NS6detail15normal_iteratorINS9_10device_ptrItEEEEPS5_m9comp_mod3ItEEE10hipError_tT0_T1_T2_jT3_P12ihipStream_tbPNSt15iterator_traitsISJ_E10value_typeEPNSP_ISK_E10value_typeEPSL_NS1_7vsmem_tEENKUlT_SJ_SK_SL_E_clIPtSE_SF_SF_EESI_SY_SJ_SK_SL_EUlSY_E0_NS1_11comp_targetILNS1_3genE10ELNS1_11target_archE1201ELNS1_3gpuE5ELNS1_3repE0EEENS1_38merge_mergepath_config_static_selectorELNS0_4arch9wavefront6targetE0EEEvSK_
		.amdhsa_group_segment_fixed_size 0
		.amdhsa_private_segment_fixed_size 0
		.amdhsa_kernarg_size 80
		.amdhsa_user_sgpr_count 6
		.amdhsa_user_sgpr_private_segment_buffer 1
		.amdhsa_user_sgpr_dispatch_ptr 0
		.amdhsa_user_sgpr_queue_ptr 0
		.amdhsa_user_sgpr_kernarg_segment_ptr 1
		.amdhsa_user_sgpr_dispatch_id 0
		.amdhsa_user_sgpr_flat_scratch_init 0
		.amdhsa_user_sgpr_private_segment_size 0
		.amdhsa_wavefront_size32 1
		.amdhsa_uses_dynamic_stack 0
		.amdhsa_system_sgpr_private_segment_wavefront_offset 0
		.amdhsa_system_sgpr_workgroup_id_x 1
		.amdhsa_system_sgpr_workgroup_id_y 0
		.amdhsa_system_sgpr_workgroup_id_z 0
		.amdhsa_system_sgpr_workgroup_info 0
		.amdhsa_system_vgpr_workitem_id 0
		.amdhsa_next_free_vgpr 1
		.amdhsa_next_free_sgpr 1
		.amdhsa_reserve_vcc 0
		.amdhsa_reserve_flat_scratch 0
		.amdhsa_float_round_mode_32 0
		.amdhsa_float_round_mode_16_64 0
		.amdhsa_float_denorm_mode_32 3
		.amdhsa_float_denorm_mode_16_64 3
		.amdhsa_dx10_clamp 1
		.amdhsa_ieee_mode 1
		.amdhsa_fp16_overflow 0
		.amdhsa_workgroup_processor_mode 1
		.amdhsa_memory_ordered 1
		.amdhsa_forward_progress 1
		.amdhsa_shared_vgpr_count 0
		.amdhsa_exception_fp_ieee_invalid_op 0
		.amdhsa_exception_fp_denorm_src 0
		.amdhsa_exception_fp_ieee_div_zero 0
		.amdhsa_exception_fp_ieee_overflow 0
		.amdhsa_exception_fp_ieee_underflow 0
		.amdhsa_exception_fp_ieee_inexact 0
		.amdhsa_exception_int_div_zero 0
	.end_amdhsa_kernel
	.section	.text._ZN7rocprim17ROCPRIM_400000_NS6detail17trampoline_kernelINS0_14default_configENS1_38merge_sort_block_merge_config_selectorItNS0_10empty_typeEEEZZNS1_27merge_sort_block_merge_implIS3_N6thrust23THRUST_200600_302600_NS6detail15normal_iteratorINS9_10device_ptrItEEEEPS5_m9comp_mod3ItEEE10hipError_tT0_T1_T2_jT3_P12ihipStream_tbPNSt15iterator_traitsISJ_E10value_typeEPNSP_ISK_E10value_typeEPSL_NS1_7vsmem_tEENKUlT_SJ_SK_SL_E_clIPtSE_SF_SF_EESI_SY_SJ_SK_SL_EUlSY_E0_NS1_11comp_targetILNS1_3genE10ELNS1_11target_archE1201ELNS1_3gpuE5ELNS1_3repE0EEENS1_38merge_mergepath_config_static_selectorELNS0_4arch9wavefront6targetE0EEEvSK_,"axG",@progbits,_ZN7rocprim17ROCPRIM_400000_NS6detail17trampoline_kernelINS0_14default_configENS1_38merge_sort_block_merge_config_selectorItNS0_10empty_typeEEEZZNS1_27merge_sort_block_merge_implIS3_N6thrust23THRUST_200600_302600_NS6detail15normal_iteratorINS9_10device_ptrItEEEEPS5_m9comp_mod3ItEEE10hipError_tT0_T1_T2_jT3_P12ihipStream_tbPNSt15iterator_traitsISJ_E10value_typeEPNSP_ISK_E10value_typeEPSL_NS1_7vsmem_tEENKUlT_SJ_SK_SL_E_clIPtSE_SF_SF_EESI_SY_SJ_SK_SL_EUlSY_E0_NS1_11comp_targetILNS1_3genE10ELNS1_11target_archE1201ELNS1_3gpuE5ELNS1_3repE0EEENS1_38merge_mergepath_config_static_selectorELNS0_4arch9wavefront6targetE0EEEvSK_,comdat
.Lfunc_end883:
	.size	_ZN7rocprim17ROCPRIM_400000_NS6detail17trampoline_kernelINS0_14default_configENS1_38merge_sort_block_merge_config_selectorItNS0_10empty_typeEEEZZNS1_27merge_sort_block_merge_implIS3_N6thrust23THRUST_200600_302600_NS6detail15normal_iteratorINS9_10device_ptrItEEEEPS5_m9comp_mod3ItEEE10hipError_tT0_T1_T2_jT3_P12ihipStream_tbPNSt15iterator_traitsISJ_E10value_typeEPNSP_ISK_E10value_typeEPSL_NS1_7vsmem_tEENKUlT_SJ_SK_SL_E_clIPtSE_SF_SF_EESI_SY_SJ_SK_SL_EUlSY_E0_NS1_11comp_targetILNS1_3genE10ELNS1_11target_archE1201ELNS1_3gpuE5ELNS1_3repE0EEENS1_38merge_mergepath_config_static_selectorELNS0_4arch9wavefront6targetE0EEEvSK_, .Lfunc_end883-_ZN7rocprim17ROCPRIM_400000_NS6detail17trampoline_kernelINS0_14default_configENS1_38merge_sort_block_merge_config_selectorItNS0_10empty_typeEEEZZNS1_27merge_sort_block_merge_implIS3_N6thrust23THRUST_200600_302600_NS6detail15normal_iteratorINS9_10device_ptrItEEEEPS5_m9comp_mod3ItEEE10hipError_tT0_T1_T2_jT3_P12ihipStream_tbPNSt15iterator_traitsISJ_E10value_typeEPNSP_ISK_E10value_typeEPSL_NS1_7vsmem_tEENKUlT_SJ_SK_SL_E_clIPtSE_SF_SF_EESI_SY_SJ_SK_SL_EUlSY_E0_NS1_11comp_targetILNS1_3genE10ELNS1_11target_archE1201ELNS1_3gpuE5ELNS1_3repE0EEENS1_38merge_mergepath_config_static_selectorELNS0_4arch9wavefront6targetE0EEEvSK_
                                        ; -- End function
	.set _ZN7rocprim17ROCPRIM_400000_NS6detail17trampoline_kernelINS0_14default_configENS1_38merge_sort_block_merge_config_selectorItNS0_10empty_typeEEEZZNS1_27merge_sort_block_merge_implIS3_N6thrust23THRUST_200600_302600_NS6detail15normal_iteratorINS9_10device_ptrItEEEEPS5_m9comp_mod3ItEEE10hipError_tT0_T1_T2_jT3_P12ihipStream_tbPNSt15iterator_traitsISJ_E10value_typeEPNSP_ISK_E10value_typeEPSL_NS1_7vsmem_tEENKUlT_SJ_SK_SL_E_clIPtSE_SF_SF_EESI_SY_SJ_SK_SL_EUlSY_E0_NS1_11comp_targetILNS1_3genE10ELNS1_11target_archE1201ELNS1_3gpuE5ELNS1_3repE0EEENS1_38merge_mergepath_config_static_selectorELNS0_4arch9wavefront6targetE0EEEvSK_.num_vgpr, 0
	.set _ZN7rocprim17ROCPRIM_400000_NS6detail17trampoline_kernelINS0_14default_configENS1_38merge_sort_block_merge_config_selectorItNS0_10empty_typeEEEZZNS1_27merge_sort_block_merge_implIS3_N6thrust23THRUST_200600_302600_NS6detail15normal_iteratorINS9_10device_ptrItEEEEPS5_m9comp_mod3ItEEE10hipError_tT0_T1_T2_jT3_P12ihipStream_tbPNSt15iterator_traitsISJ_E10value_typeEPNSP_ISK_E10value_typeEPSL_NS1_7vsmem_tEENKUlT_SJ_SK_SL_E_clIPtSE_SF_SF_EESI_SY_SJ_SK_SL_EUlSY_E0_NS1_11comp_targetILNS1_3genE10ELNS1_11target_archE1201ELNS1_3gpuE5ELNS1_3repE0EEENS1_38merge_mergepath_config_static_selectorELNS0_4arch9wavefront6targetE0EEEvSK_.num_agpr, 0
	.set _ZN7rocprim17ROCPRIM_400000_NS6detail17trampoline_kernelINS0_14default_configENS1_38merge_sort_block_merge_config_selectorItNS0_10empty_typeEEEZZNS1_27merge_sort_block_merge_implIS3_N6thrust23THRUST_200600_302600_NS6detail15normal_iteratorINS9_10device_ptrItEEEEPS5_m9comp_mod3ItEEE10hipError_tT0_T1_T2_jT3_P12ihipStream_tbPNSt15iterator_traitsISJ_E10value_typeEPNSP_ISK_E10value_typeEPSL_NS1_7vsmem_tEENKUlT_SJ_SK_SL_E_clIPtSE_SF_SF_EESI_SY_SJ_SK_SL_EUlSY_E0_NS1_11comp_targetILNS1_3genE10ELNS1_11target_archE1201ELNS1_3gpuE5ELNS1_3repE0EEENS1_38merge_mergepath_config_static_selectorELNS0_4arch9wavefront6targetE0EEEvSK_.numbered_sgpr, 0
	.set _ZN7rocprim17ROCPRIM_400000_NS6detail17trampoline_kernelINS0_14default_configENS1_38merge_sort_block_merge_config_selectorItNS0_10empty_typeEEEZZNS1_27merge_sort_block_merge_implIS3_N6thrust23THRUST_200600_302600_NS6detail15normal_iteratorINS9_10device_ptrItEEEEPS5_m9comp_mod3ItEEE10hipError_tT0_T1_T2_jT3_P12ihipStream_tbPNSt15iterator_traitsISJ_E10value_typeEPNSP_ISK_E10value_typeEPSL_NS1_7vsmem_tEENKUlT_SJ_SK_SL_E_clIPtSE_SF_SF_EESI_SY_SJ_SK_SL_EUlSY_E0_NS1_11comp_targetILNS1_3genE10ELNS1_11target_archE1201ELNS1_3gpuE5ELNS1_3repE0EEENS1_38merge_mergepath_config_static_selectorELNS0_4arch9wavefront6targetE0EEEvSK_.num_named_barrier, 0
	.set _ZN7rocprim17ROCPRIM_400000_NS6detail17trampoline_kernelINS0_14default_configENS1_38merge_sort_block_merge_config_selectorItNS0_10empty_typeEEEZZNS1_27merge_sort_block_merge_implIS3_N6thrust23THRUST_200600_302600_NS6detail15normal_iteratorINS9_10device_ptrItEEEEPS5_m9comp_mod3ItEEE10hipError_tT0_T1_T2_jT3_P12ihipStream_tbPNSt15iterator_traitsISJ_E10value_typeEPNSP_ISK_E10value_typeEPSL_NS1_7vsmem_tEENKUlT_SJ_SK_SL_E_clIPtSE_SF_SF_EESI_SY_SJ_SK_SL_EUlSY_E0_NS1_11comp_targetILNS1_3genE10ELNS1_11target_archE1201ELNS1_3gpuE5ELNS1_3repE0EEENS1_38merge_mergepath_config_static_selectorELNS0_4arch9wavefront6targetE0EEEvSK_.private_seg_size, 0
	.set _ZN7rocprim17ROCPRIM_400000_NS6detail17trampoline_kernelINS0_14default_configENS1_38merge_sort_block_merge_config_selectorItNS0_10empty_typeEEEZZNS1_27merge_sort_block_merge_implIS3_N6thrust23THRUST_200600_302600_NS6detail15normal_iteratorINS9_10device_ptrItEEEEPS5_m9comp_mod3ItEEE10hipError_tT0_T1_T2_jT3_P12ihipStream_tbPNSt15iterator_traitsISJ_E10value_typeEPNSP_ISK_E10value_typeEPSL_NS1_7vsmem_tEENKUlT_SJ_SK_SL_E_clIPtSE_SF_SF_EESI_SY_SJ_SK_SL_EUlSY_E0_NS1_11comp_targetILNS1_3genE10ELNS1_11target_archE1201ELNS1_3gpuE5ELNS1_3repE0EEENS1_38merge_mergepath_config_static_selectorELNS0_4arch9wavefront6targetE0EEEvSK_.uses_vcc, 0
	.set _ZN7rocprim17ROCPRIM_400000_NS6detail17trampoline_kernelINS0_14default_configENS1_38merge_sort_block_merge_config_selectorItNS0_10empty_typeEEEZZNS1_27merge_sort_block_merge_implIS3_N6thrust23THRUST_200600_302600_NS6detail15normal_iteratorINS9_10device_ptrItEEEEPS5_m9comp_mod3ItEEE10hipError_tT0_T1_T2_jT3_P12ihipStream_tbPNSt15iterator_traitsISJ_E10value_typeEPNSP_ISK_E10value_typeEPSL_NS1_7vsmem_tEENKUlT_SJ_SK_SL_E_clIPtSE_SF_SF_EESI_SY_SJ_SK_SL_EUlSY_E0_NS1_11comp_targetILNS1_3genE10ELNS1_11target_archE1201ELNS1_3gpuE5ELNS1_3repE0EEENS1_38merge_mergepath_config_static_selectorELNS0_4arch9wavefront6targetE0EEEvSK_.uses_flat_scratch, 0
	.set _ZN7rocprim17ROCPRIM_400000_NS6detail17trampoline_kernelINS0_14default_configENS1_38merge_sort_block_merge_config_selectorItNS0_10empty_typeEEEZZNS1_27merge_sort_block_merge_implIS3_N6thrust23THRUST_200600_302600_NS6detail15normal_iteratorINS9_10device_ptrItEEEEPS5_m9comp_mod3ItEEE10hipError_tT0_T1_T2_jT3_P12ihipStream_tbPNSt15iterator_traitsISJ_E10value_typeEPNSP_ISK_E10value_typeEPSL_NS1_7vsmem_tEENKUlT_SJ_SK_SL_E_clIPtSE_SF_SF_EESI_SY_SJ_SK_SL_EUlSY_E0_NS1_11comp_targetILNS1_3genE10ELNS1_11target_archE1201ELNS1_3gpuE5ELNS1_3repE0EEENS1_38merge_mergepath_config_static_selectorELNS0_4arch9wavefront6targetE0EEEvSK_.has_dyn_sized_stack, 0
	.set _ZN7rocprim17ROCPRIM_400000_NS6detail17trampoline_kernelINS0_14default_configENS1_38merge_sort_block_merge_config_selectorItNS0_10empty_typeEEEZZNS1_27merge_sort_block_merge_implIS3_N6thrust23THRUST_200600_302600_NS6detail15normal_iteratorINS9_10device_ptrItEEEEPS5_m9comp_mod3ItEEE10hipError_tT0_T1_T2_jT3_P12ihipStream_tbPNSt15iterator_traitsISJ_E10value_typeEPNSP_ISK_E10value_typeEPSL_NS1_7vsmem_tEENKUlT_SJ_SK_SL_E_clIPtSE_SF_SF_EESI_SY_SJ_SK_SL_EUlSY_E0_NS1_11comp_targetILNS1_3genE10ELNS1_11target_archE1201ELNS1_3gpuE5ELNS1_3repE0EEENS1_38merge_mergepath_config_static_selectorELNS0_4arch9wavefront6targetE0EEEvSK_.has_recursion, 0
	.set _ZN7rocprim17ROCPRIM_400000_NS6detail17trampoline_kernelINS0_14default_configENS1_38merge_sort_block_merge_config_selectorItNS0_10empty_typeEEEZZNS1_27merge_sort_block_merge_implIS3_N6thrust23THRUST_200600_302600_NS6detail15normal_iteratorINS9_10device_ptrItEEEEPS5_m9comp_mod3ItEEE10hipError_tT0_T1_T2_jT3_P12ihipStream_tbPNSt15iterator_traitsISJ_E10value_typeEPNSP_ISK_E10value_typeEPSL_NS1_7vsmem_tEENKUlT_SJ_SK_SL_E_clIPtSE_SF_SF_EESI_SY_SJ_SK_SL_EUlSY_E0_NS1_11comp_targetILNS1_3genE10ELNS1_11target_archE1201ELNS1_3gpuE5ELNS1_3repE0EEENS1_38merge_mergepath_config_static_selectorELNS0_4arch9wavefront6targetE0EEEvSK_.has_indirect_call, 0
	.section	.AMDGPU.csdata,"",@progbits
; Kernel info:
; codeLenInByte = 0
; TotalNumSgprs: 0
; NumVgprs: 0
; ScratchSize: 0
; MemoryBound: 0
; FloatMode: 240
; IeeeMode: 1
; LDSByteSize: 0 bytes/workgroup (compile time only)
; SGPRBlocks: 0
; VGPRBlocks: 0
; NumSGPRsForWavesPerEU: 1
; NumVGPRsForWavesPerEU: 1
; Occupancy: 16
; WaveLimiterHint : 0
; COMPUTE_PGM_RSRC2:SCRATCH_EN: 0
; COMPUTE_PGM_RSRC2:USER_SGPR: 6
; COMPUTE_PGM_RSRC2:TRAP_HANDLER: 0
; COMPUTE_PGM_RSRC2:TGID_X_EN: 1
; COMPUTE_PGM_RSRC2:TGID_Y_EN: 0
; COMPUTE_PGM_RSRC2:TGID_Z_EN: 0
; COMPUTE_PGM_RSRC2:TIDIG_COMP_CNT: 0
	.section	.text._ZN7rocprim17ROCPRIM_400000_NS6detail17trampoline_kernelINS0_14default_configENS1_38merge_sort_block_merge_config_selectorItNS0_10empty_typeEEEZZNS1_27merge_sort_block_merge_implIS3_N6thrust23THRUST_200600_302600_NS6detail15normal_iteratorINS9_10device_ptrItEEEEPS5_m9comp_mod3ItEEE10hipError_tT0_T1_T2_jT3_P12ihipStream_tbPNSt15iterator_traitsISJ_E10value_typeEPNSP_ISK_E10value_typeEPSL_NS1_7vsmem_tEENKUlT_SJ_SK_SL_E_clIPtSE_SF_SF_EESI_SY_SJ_SK_SL_EUlSY_E0_NS1_11comp_targetILNS1_3genE5ELNS1_11target_archE942ELNS1_3gpuE9ELNS1_3repE0EEENS1_38merge_mergepath_config_static_selectorELNS0_4arch9wavefront6targetE0EEEvSK_,"axG",@progbits,_ZN7rocprim17ROCPRIM_400000_NS6detail17trampoline_kernelINS0_14default_configENS1_38merge_sort_block_merge_config_selectorItNS0_10empty_typeEEEZZNS1_27merge_sort_block_merge_implIS3_N6thrust23THRUST_200600_302600_NS6detail15normal_iteratorINS9_10device_ptrItEEEEPS5_m9comp_mod3ItEEE10hipError_tT0_T1_T2_jT3_P12ihipStream_tbPNSt15iterator_traitsISJ_E10value_typeEPNSP_ISK_E10value_typeEPSL_NS1_7vsmem_tEENKUlT_SJ_SK_SL_E_clIPtSE_SF_SF_EESI_SY_SJ_SK_SL_EUlSY_E0_NS1_11comp_targetILNS1_3genE5ELNS1_11target_archE942ELNS1_3gpuE9ELNS1_3repE0EEENS1_38merge_mergepath_config_static_selectorELNS0_4arch9wavefront6targetE0EEEvSK_,comdat
	.protected	_ZN7rocprim17ROCPRIM_400000_NS6detail17trampoline_kernelINS0_14default_configENS1_38merge_sort_block_merge_config_selectorItNS0_10empty_typeEEEZZNS1_27merge_sort_block_merge_implIS3_N6thrust23THRUST_200600_302600_NS6detail15normal_iteratorINS9_10device_ptrItEEEEPS5_m9comp_mod3ItEEE10hipError_tT0_T1_T2_jT3_P12ihipStream_tbPNSt15iterator_traitsISJ_E10value_typeEPNSP_ISK_E10value_typeEPSL_NS1_7vsmem_tEENKUlT_SJ_SK_SL_E_clIPtSE_SF_SF_EESI_SY_SJ_SK_SL_EUlSY_E0_NS1_11comp_targetILNS1_3genE5ELNS1_11target_archE942ELNS1_3gpuE9ELNS1_3repE0EEENS1_38merge_mergepath_config_static_selectorELNS0_4arch9wavefront6targetE0EEEvSK_ ; -- Begin function _ZN7rocprim17ROCPRIM_400000_NS6detail17trampoline_kernelINS0_14default_configENS1_38merge_sort_block_merge_config_selectorItNS0_10empty_typeEEEZZNS1_27merge_sort_block_merge_implIS3_N6thrust23THRUST_200600_302600_NS6detail15normal_iteratorINS9_10device_ptrItEEEEPS5_m9comp_mod3ItEEE10hipError_tT0_T1_T2_jT3_P12ihipStream_tbPNSt15iterator_traitsISJ_E10value_typeEPNSP_ISK_E10value_typeEPSL_NS1_7vsmem_tEENKUlT_SJ_SK_SL_E_clIPtSE_SF_SF_EESI_SY_SJ_SK_SL_EUlSY_E0_NS1_11comp_targetILNS1_3genE5ELNS1_11target_archE942ELNS1_3gpuE9ELNS1_3repE0EEENS1_38merge_mergepath_config_static_selectorELNS0_4arch9wavefront6targetE0EEEvSK_
	.globl	_ZN7rocprim17ROCPRIM_400000_NS6detail17trampoline_kernelINS0_14default_configENS1_38merge_sort_block_merge_config_selectorItNS0_10empty_typeEEEZZNS1_27merge_sort_block_merge_implIS3_N6thrust23THRUST_200600_302600_NS6detail15normal_iteratorINS9_10device_ptrItEEEEPS5_m9comp_mod3ItEEE10hipError_tT0_T1_T2_jT3_P12ihipStream_tbPNSt15iterator_traitsISJ_E10value_typeEPNSP_ISK_E10value_typeEPSL_NS1_7vsmem_tEENKUlT_SJ_SK_SL_E_clIPtSE_SF_SF_EESI_SY_SJ_SK_SL_EUlSY_E0_NS1_11comp_targetILNS1_3genE5ELNS1_11target_archE942ELNS1_3gpuE9ELNS1_3repE0EEENS1_38merge_mergepath_config_static_selectorELNS0_4arch9wavefront6targetE0EEEvSK_
	.p2align	8
	.type	_ZN7rocprim17ROCPRIM_400000_NS6detail17trampoline_kernelINS0_14default_configENS1_38merge_sort_block_merge_config_selectorItNS0_10empty_typeEEEZZNS1_27merge_sort_block_merge_implIS3_N6thrust23THRUST_200600_302600_NS6detail15normal_iteratorINS9_10device_ptrItEEEEPS5_m9comp_mod3ItEEE10hipError_tT0_T1_T2_jT3_P12ihipStream_tbPNSt15iterator_traitsISJ_E10value_typeEPNSP_ISK_E10value_typeEPSL_NS1_7vsmem_tEENKUlT_SJ_SK_SL_E_clIPtSE_SF_SF_EESI_SY_SJ_SK_SL_EUlSY_E0_NS1_11comp_targetILNS1_3genE5ELNS1_11target_archE942ELNS1_3gpuE9ELNS1_3repE0EEENS1_38merge_mergepath_config_static_selectorELNS0_4arch9wavefront6targetE0EEEvSK_,@function
_ZN7rocprim17ROCPRIM_400000_NS6detail17trampoline_kernelINS0_14default_configENS1_38merge_sort_block_merge_config_selectorItNS0_10empty_typeEEEZZNS1_27merge_sort_block_merge_implIS3_N6thrust23THRUST_200600_302600_NS6detail15normal_iteratorINS9_10device_ptrItEEEEPS5_m9comp_mod3ItEEE10hipError_tT0_T1_T2_jT3_P12ihipStream_tbPNSt15iterator_traitsISJ_E10value_typeEPNSP_ISK_E10value_typeEPSL_NS1_7vsmem_tEENKUlT_SJ_SK_SL_E_clIPtSE_SF_SF_EESI_SY_SJ_SK_SL_EUlSY_E0_NS1_11comp_targetILNS1_3genE5ELNS1_11target_archE942ELNS1_3gpuE9ELNS1_3repE0EEENS1_38merge_mergepath_config_static_selectorELNS0_4arch9wavefront6targetE0EEEvSK_: ; @_ZN7rocprim17ROCPRIM_400000_NS6detail17trampoline_kernelINS0_14default_configENS1_38merge_sort_block_merge_config_selectorItNS0_10empty_typeEEEZZNS1_27merge_sort_block_merge_implIS3_N6thrust23THRUST_200600_302600_NS6detail15normal_iteratorINS9_10device_ptrItEEEEPS5_m9comp_mod3ItEEE10hipError_tT0_T1_T2_jT3_P12ihipStream_tbPNSt15iterator_traitsISJ_E10value_typeEPNSP_ISK_E10value_typeEPSL_NS1_7vsmem_tEENKUlT_SJ_SK_SL_E_clIPtSE_SF_SF_EESI_SY_SJ_SK_SL_EUlSY_E0_NS1_11comp_targetILNS1_3genE5ELNS1_11target_archE942ELNS1_3gpuE9ELNS1_3repE0EEENS1_38merge_mergepath_config_static_selectorELNS0_4arch9wavefront6targetE0EEEvSK_
; %bb.0:
	.section	.rodata,"a",@progbits
	.p2align	6, 0x0
	.amdhsa_kernel _ZN7rocprim17ROCPRIM_400000_NS6detail17trampoline_kernelINS0_14default_configENS1_38merge_sort_block_merge_config_selectorItNS0_10empty_typeEEEZZNS1_27merge_sort_block_merge_implIS3_N6thrust23THRUST_200600_302600_NS6detail15normal_iteratorINS9_10device_ptrItEEEEPS5_m9comp_mod3ItEEE10hipError_tT0_T1_T2_jT3_P12ihipStream_tbPNSt15iterator_traitsISJ_E10value_typeEPNSP_ISK_E10value_typeEPSL_NS1_7vsmem_tEENKUlT_SJ_SK_SL_E_clIPtSE_SF_SF_EESI_SY_SJ_SK_SL_EUlSY_E0_NS1_11comp_targetILNS1_3genE5ELNS1_11target_archE942ELNS1_3gpuE9ELNS1_3repE0EEENS1_38merge_mergepath_config_static_selectorELNS0_4arch9wavefront6targetE0EEEvSK_
		.amdhsa_group_segment_fixed_size 0
		.amdhsa_private_segment_fixed_size 0
		.amdhsa_kernarg_size 80
		.amdhsa_user_sgpr_count 6
		.amdhsa_user_sgpr_private_segment_buffer 1
		.amdhsa_user_sgpr_dispatch_ptr 0
		.amdhsa_user_sgpr_queue_ptr 0
		.amdhsa_user_sgpr_kernarg_segment_ptr 1
		.amdhsa_user_sgpr_dispatch_id 0
		.amdhsa_user_sgpr_flat_scratch_init 0
		.amdhsa_user_sgpr_private_segment_size 0
		.amdhsa_wavefront_size32 1
		.amdhsa_uses_dynamic_stack 0
		.amdhsa_system_sgpr_private_segment_wavefront_offset 0
		.amdhsa_system_sgpr_workgroup_id_x 1
		.amdhsa_system_sgpr_workgroup_id_y 0
		.amdhsa_system_sgpr_workgroup_id_z 0
		.amdhsa_system_sgpr_workgroup_info 0
		.amdhsa_system_vgpr_workitem_id 0
		.amdhsa_next_free_vgpr 1
		.amdhsa_next_free_sgpr 1
		.amdhsa_reserve_vcc 0
		.amdhsa_reserve_flat_scratch 0
		.amdhsa_float_round_mode_32 0
		.amdhsa_float_round_mode_16_64 0
		.amdhsa_float_denorm_mode_32 3
		.amdhsa_float_denorm_mode_16_64 3
		.amdhsa_dx10_clamp 1
		.amdhsa_ieee_mode 1
		.amdhsa_fp16_overflow 0
		.amdhsa_workgroup_processor_mode 1
		.amdhsa_memory_ordered 1
		.amdhsa_forward_progress 1
		.amdhsa_shared_vgpr_count 0
		.amdhsa_exception_fp_ieee_invalid_op 0
		.amdhsa_exception_fp_denorm_src 0
		.amdhsa_exception_fp_ieee_div_zero 0
		.amdhsa_exception_fp_ieee_overflow 0
		.amdhsa_exception_fp_ieee_underflow 0
		.amdhsa_exception_fp_ieee_inexact 0
		.amdhsa_exception_int_div_zero 0
	.end_amdhsa_kernel
	.section	.text._ZN7rocprim17ROCPRIM_400000_NS6detail17trampoline_kernelINS0_14default_configENS1_38merge_sort_block_merge_config_selectorItNS0_10empty_typeEEEZZNS1_27merge_sort_block_merge_implIS3_N6thrust23THRUST_200600_302600_NS6detail15normal_iteratorINS9_10device_ptrItEEEEPS5_m9comp_mod3ItEEE10hipError_tT0_T1_T2_jT3_P12ihipStream_tbPNSt15iterator_traitsISJ_E10value_typeEPNSP_ISK_E10value_typeEPSL_NS1_7vsmem_tEENKUlT_SJ_SK_SL_E_clIPtSE_SF_SF_EESI_SY_SJ_SK_SL_EUlSY_E0_NS1_11comp_targetILNS1_3genE5ELNS1_11target_archE942ELNS1_3gpuE9ELNS1_3repE0EEENS1_38merge_mergepath_config_static_selectorELNS0_4arch9wavefront6targetE0EEEvSK_,"axG",@progbits,_ZN7rocprim17ROCPRIM_400000_NS6detail17trampoline_kernelINS0_14default_configENS1_38merge_sort_block_merge_config_selectorItNS0_10empty_typeEEEZZNS1_27merge_sort_block_merge_implIS3_N6thrust23THRUST_200600_302600_NS6detail15normal_iteratorINS9_10device_ptrItEEEEPS5_m9comp_mod3ItEEE10hipError_tT0_T1_T2_jT3_P12ihipStream_tbPNSt15iterator_traitsISJ_E10value_typeEPNSP_ISK_E10value_typeEPSL_NS1_7vsmem_tEENKUlT_SJ_SK_SL_E_clIPtSE_SF_SF_EESI_SY_SJ_SK_SL_EUlSY_E0_NS1_11comp_targetILNS1_3genE5ELNS1_11target_archE942ELNS1_3gpuE9ELNS1_3repE0EEENS1_38merge_mergepath_config_static_selectorELNS0_4arch9wavefront6targetE0EEEvSK_,comdat
.Lfunc_end884:
	.size	_ZN7rocprim17ROCPRIM_400000_NS6detail17trampoline_kernelINS0_14default_configENS1_38merge_sort_block_merge_config_selectorItNS0_10empty_typeEEEZZNS1_27merge_sort_block_merge_implIS3_N6thrust23THRUST_200600_302600_NS6detail15normal_iteratorINS9_10device_ptrItEEEEPS5_m9comp_mod3ItEEE10hipError_tT0_T1_T2_jT3_P12ihipStream_tbPNSt15iterator_traitsISJ_E10value_typeEPNSP_ISK_E10value_typeEPSL_NS1_7vsmem_tEENKUlT_SJ_SK_SL_E_clIPtSE_SF_SF_EESI_SY_SJ_SK_SL_EUlSY_E0_NS1_11comp_targetILNS1_3genE5ELNS1_11target_archE942ELNS1_3gpuE9ELNS1_3repE0EEENS1_38merge_mergepath_config_static_selectorELNS0_4arch9wavefront6targetE0EEEvSK_, .Lfunc_end884-_ZN7rocprim17ROCPRIM_400000_NS6detail17trampoline_kernelINS0_14default_configENS1_38merge_sort_block_merge_config_selectorItNS0_10empty_typeEEEZZNS1_27merge_sort_block_merge_implIS3_N6thrust23THRUST_200600_302600_NS6detail15normal_iteratorINS9_10device_ptrItEEEEPS5_m9comp_mod3ItEEE10hipError_tT0_T1_T2_jT3_P12ihipStream_tbPNSt15iterator_traitsISJ_E10value_typeEPNSP_ISK_E10value_typeEPSL_NS1_7vsmem_tEENKUlT_SJ_SK_SL_E_clIPtSE_SF_SF_EESI_SY_SJ_SK_SL_EUlSY_E0_NS1_11comp_targetILNS1_3genE5ELNS1_11target_archE942ELNS1_3gpuE9ELNS1_3repE0EEENS1_38merge_mergepath_config_static_selectorELNS0_4arch9wavefront6targetE0EEEvSK_
                                        ; -- End function
	.set _ZN7rocprim17ROCPRIM_400000_NS6detail17trampoline_kernelINS0_14default_configENS1_38merge_sort_block_merge_config_selectorItNS0_10empty_typeEEEZZNS1_27merge_sort_block_merge_implIS3_N6thrust23THRUST_200600_302600_NS6detail15normal_iteratorINS9_10device_ptrItEEEEPS5_m9comp_mod3ItEEE10hipError_tT0_T1_T2_jT3_P12ihipStream_tbPNSt15iterator_traitsISJ_E10value_typeEPNSP_ISK_E10value_typeEPSL_NS1_7vsmem_tEENKUlT_SJ_SK_SL_E_clIPtSE_SF_SF_EESI_SY_SJ_SK_SL_EUlSY_E0_NS1_11comp_targetILNS1_3genE5ELNS1_11target_archE942ELNS1_3gpuE9ELNS1_3repE0EEENS1_38merge_mergepath_config_static_selectorELNS0_4arch9wavefront6targetE0EEEvSK_.num_vgpr, 0
	.set _ZN7rocprim17ROCPRIM_400000_NS6detail17trampoline_kernelINS0_14default_configENS1_38merge_sort_block_merge_config_selectorItNS0_10empty_typeEEEZZNS1_27merge_sort_block_merge_implIS3_N6thrust23THRUST_200600_302600_NS6detail15normal_iteratorINS9_10device_ptrItEEEEPS5_m9comp_mod3ItEEE10hipError_tT0_T1_T2_jT3_P12ihipStream_tbPNSt15iterator_traitsISJ_E10value_typeEPNSP_ISK_E10value_typeEPSL_NS1_7vsmem_tEENKUlT_SJ_SK_SL_E_clIPtSE_SF_SF_EESI_SY_SJ_SK_SL_EUlSY_E0_NS1_11comp_targetILNS1_3genE5ELNS1_11target_archE942ELNS1_3gpuE9ELNS1_3repE0EEENS1_38merge_mergepath_config_static_selectorELNS0_4arch9wavefront6targetE0EEEvSK_.num_agpr, 0
	.set _ZN7rocprim17ROCPRIM_400000_NS6detail17trampoline_kernelINS0_14default_configENS1_38merge_sort_block_merge_config_selectorItNS0_10empty_typeEEEZZNS1_27merge_sort_block_merge_implIS3_N6thrust23THRUST_200600_302600_NS6detail15normal_iteratorINS9_10device_ptrItEEEEPS5_m9comp_mod3ItEEE10hipError_tT0_T1_T2_jT3_P12ihipStream_tbPNSt15iterator_traitsISJ_E10value_typeEPNSP_ISK_E10value_typeEPSL_NS1_7vsmem_tEENKUlT_SJ_SK_SL_E_clIPtSE_SF_SF_EESI_SY_SJ_SK_SL_EUlSY_E0_NS1_11comp_targetILNS1_3genE5ELNS1_11target_archE942ELNS1_3gpuE9ELNS1_3repE0EEENS1_38merge_mergepath_config_static_selectorELNS0_4arch9wavefront6targetE0EEEvSK_.numbered_sgpr, 0
	.set _ZN7rocprim17ROCPRIM_400000_NS6detail17trampoline_kernelINS0_14default_configENS1_38merge_sort_block_merge_config_selectorItNS0_10empty_typeEEEZZNS1_27merge_sort_block_merge_implIS3_N6thrust23THRUST_200600_302600_NS6detail15normal_iteratorINS9_10device_ptrItEEEEPS5_m9comp_mod3ItEEE10hipError_tT0_T1_T2_jT3_P12ihipStream_tbPNSt15iterator_traitsISJ_E10value_typeEPNSP_ISK_E10value_typeEPSL_NS1_7vsmem_tEENKUlT_SJ_SK_SL_E_clIPtSE_SF_SF_EESI_SY_SJ_SK_SL_EUlSY_E0_NS1_11comp_targetILNS1_3genE5ELNS1_11target_archE942ELNS1_3gpuE9ELNS1_3repE0EEENS1_38merge_mergepath_config_static_selectorELNS0_4arch9wavefront6targetE0EEEvSK_.num_named_barrier, 0
	.set _ZN7rocprim17ROCPRIM_400000_NS6detail17trampoline_kernelINS0_14default_configENS1_38merge_sort_block_merge_config_selectorItNS0_10empty_typeEEEZZNS1_27merge_sort_block_merge_implIS3_N6thrust23THRUST_200600_302600_NS6detail15normal_iteratorINS9_10device_ptrItEEEEPS5_m9comp_mod3ItEEE10hipError_tT0_T1_T2_jT3_P12ihipStream_tbPNSt15iterator_traitsISJ_E10value_typeEPNSP_ISK_E10value_typeEPSL_NS1_7vsmem_tEENKUlT_SJ_SK_SL_E_clIPtSE_SF_SF_EESI_SY_SJ_SK_SL_EUlSY_E0_NS1_11comp_targetILNS1_3genE5ELNS1_11target_archE942ELNS1_3gpuE9ELNS1_3repE0EEENS1_38merge_mergepath_config_static_selectorELNS0_4arch9wavefront6targetE0EEEvSK_.private_seg_size, 0
	.set _ZN7rocprim17ROCPRIM_400000_NS6detail17trampoline_kernelINS0_14default_configENS1_38merge_sort_block_merge_config_selectorItNS0_10empty_typeEEEZZNS1_27merge_sort_block_merge_implIS3_N6thrust23THRUST_200600_302600_NS6detail15normal_iteratorINS9_10device_ptrItEEEEPS5_m9comp_mod3ItEEE10hipError_tT0_T1_T2_jT3_P12ihipStream_tbPNSt15iterator_traitsISJ_E10value_typeEPNSP_ISK_E10value_typeEPSL_NS1_7vsmem_tEENKUlT_SJ_SK_SL_E_clIPtSE_SF_SF_EESI_SY_SJ_SK_SL_EUlSY_E0_NS1_11comp_targetILNS1_3genE5ELNS1_11target_archE942ELNS1_3gpuE9ELNS1_3repE0EEENS1_38merge_mergepath_config_static_selectorELNS0_4arch9wavefront6targetE0EEEvSK_.uses_vcc, 0
	.set _ZN7rocprim17ROCPRIM_400000_NS6detail17trampoline_kernelINS0_14default_configENS1_38merge_sort_block_merge_config_selectorItNS0_10empty_typeEEEZZNS1_27merge_sort_block_merge_implIS3_N6thrust23THRUST_200600_302600_NS6detail15normal_iteratorINS9_10device_ptrItEEEEPS5_m9comp_mod3ItEEE10hipError_tT0_T1_T2_jT3_P12ihipStream_tbPNSt15iterator_traitsISJ_E10value_typeEPNSP_ISK_E10value_typeEPSL_NS1_7vsmem_tEENKUlT_SJ_SK_SL_E_clIPtSE_SF_SF_EESI_SY_SJ_SK_SL_EUlSY_E0_NS1_11comp_targetILNS1_3genE5ELNS1_11target_archE942ELNS1_3gpuE9ELNS1_3repE0EEENS1_38merge_mergepath_config_static_selectorELNS0_4arch9wavefront6targetE0EEEvSK_.uses_flat_scratch, 0
	.set _ZN7rocprim17ROCPRIM_400000_NS6detail17trampoline_kernelINS0_14default_configENS1_38merge_sort_block_merge_config_selectorItNS0_10empty_typeEEEZZNS1_27merge_sort_block_merge_implIS3_N6thrust23THRUST_200600_302600_NS6detail15normal_iteratorINS9_10device_ptrItEEEEPS5_m9comp_mod3ItEEE10hipError_tT0_T1_T2_jT3_P12ihipStream_tbPNSt15iterator_traitsISJ_E10value_typeEPNSP_ISK_E10value_typeEPSL_NS1_7vsmem_tEENKUlT_SJ_SK_SL_E_clIPtSE_SF_SF_EESI_SY_SJ_SK_SL_EUlSY_E0_NS1_11comp_targetILNS1_3genE5ELNS1_11target_archE942ELNS1_3gpuE9ELNS1_3repE0EEENS1_38merge_mergepath_config_static_selectorELNS0_4arch9wavefront6targetE0EEEvSK_.has_dyn_sized_stack, 0
	.set _ZN7rocprim17ROCPRIM_400000_NS6detail17trampoline_kernelINS0_14default_configENS1_38merge_sort_block_merge_config_selectorItNS0_10empty_typeEEEZZNS1_27merge_sort_block_merge_implIS3_N6thrust23THRUST_200600_302600_NS6detail15normal_iteratorINS9_10device_ptrItEEEEPS5_m9comp_mod3ItEEE10hipError_tT0_T1_T2_jT3_P12ihipStream_tbPNSt15iterator_traitsISJ_E10value_typeEPNSP_ISK_E10value_typeEPSL_NS1_7vsmem_tEENKUlT_SJ_SK_SL_E_clIPtSE_SF_SF_EESI_SY_SJ_SK_SL_EUlSY_E0_NS1_11comp_targetILNS1_3genE5ELNS1_11target_archE942ELNS1_3gpuE9ELNS1_3repE0EEENS1_38merge_mergepath_config_static_selectorELNS0_4arch9wavefront6targetE0EEEvSK_.has_recursion, 0
	.set _ZN7rocprim17ROCPRIM_400000_NS6detail17trampoline_kernelINS0_14default_configENS1_38merge_sort_block_merge_config_selectorItNS0_10empty_typeEEEZZNS1_27merge_sort_block_merge_implIS3_N6thrust23THRUST_200600_302600_NS6detail15normal_iteratorINS9_10device_ptrItEEEEPS5_m9comp_mod3ItEEE10hipError_tT0_T1_T2_jT3_P12ihipStream_tbPNSt15iterator_traitsISJ_E10value_typeEPNSP_ISK_E10value_typeEPSL_NS1_7vsmem_tEENKUlT_SJ_SK_SL_E_clIPtSE_SF_SF_EESI_SY_SJ_SK_SL_EUlSY_E0_NS1_11comp_targetILNS1_3genE5ELNS1_11target_archE942ELNS1_3gpuE9ELNS1_3repE0EEENS1_38merge_mergepath_config_static_selectorELNS0_4arch9wavefront6targetE0EEEvSK_.has_indirect_call, 0
	.section	.AMDGPU.csdata,"",@progbits
; Kernel info:
; codeLenInByte = 0
; TotalNumSgprs: 0
; NumVgprs: 0
; ScratchSize: 0
; MemoryBound: 0
; FloatMode: 240
; IeeeMode: 1
; LDSByteSize: 0 bytes/workgroup (compile time only)
; SGPRBlocks: 0
; VGPRBlocks: 0
; NumSGPRsForWavesPerEU: 1
; NumVGPRsForWavesPerEU: 1
; Occupancy: 16
; WaveLimiterHint : 0
; COMPUTE_PGM_RSRC2:SCRATCH_EN: 0
; COMPUTE_PGM_RSRC2:USER_SGPR: 6
; COMPUTE_PGM_RSRC2:TRAP_HANDLER: 0
; COMPUTE_PGM_RSRC2:TGID_X_EN: 1
; COMPUTE_PGM_RSRC2:TGID_Y_EN: 0
; COMPUTE_PGM_RSRC2:TGID_Z_EN: 0
; COMPUTE_PGM_RSRC2:TIDIG_COMP_CNT: 0
	.section	.text._ZN7rocprim17ROCPRIM_400000_NS6detail17trampoline_kernelINS0_14default_configENS1_38merge_sort_block_merge_config_selectorItNS0_10empty_typeEEEZZNS1_27merge_sort_block_merge_implIS3_N6thrust23THRUST_200600_302600_NS6detail15normal_iteratorINS9_10device_ptrItEEEEPS5_m9comp_mod3ItEEE10hipError_tT0_T1_T2_jT3_P12ihipStream_tbPNSt15iterator_traitsISJ_E10value_typeEPNSP_ISK_E10value_typeEPSL_NS1_7vsmem_tEENKUlT_SJ_SK_SL_E_clIPtSE_SF_SF_EESI_SY_SJ_SK_SL_EUlSY_E0_NS1_11comp_targetILNS1_3genE4ELNS1_11target_archE910ELNS1_3gpuE8ELNS1_3repE0EEENS1_38merge_mergepath_config_static_selectorELNS0_4arch9wavefront6targetE0EEEvSK_,"axG",@progbits,_ZN7rocprim17ROCPRIM_400000_NS6detail17trampoline_kernelINS0_14default_configENS1_38merge_sort_block_merge_config_selectorItNS0_10empty_typeEEEZZNS1_27merge_sort_block_merge_implIS3_N6thrust23THRUST_200600_302600_NS6detail15normal_iteratorINS9_10device_ptrItEEEEPS5_m9comp_mod3ItEEE10hipError_tT0_T1_T2_jT3_P12ihipStream_tbPNSt15iterator_traitsISJ_E10value_typeEPNSP_ISK_E10value_typeEPSL_NS1_7vsmem_tEENKUlT_SJ_SK_SL_E_clIPtSE_SF_SF_EESI_SY_SJ_SK_SL_EUlSY_E0_NS1_11comp_targetILNS1_3genE4ELNS1_11target_archE910ELNS1_3gpuE8ELNS1_3repE0EEENS1_38merge_mergepath_config_static_selectorELNS0_4arch9wavefront6targetE0EEEvSK_,comdat
	.protected	_ZN7rocprim17ROCPRIM_400000_NS6detail17trampoline_kernelINS0_14default_configENS1_38merge_sort_block_merge_config_selectorItNS0_10empty_typeEEEZZNS1_27merge_sort_block_merge_implIS3_N6thrust23THRUST_200600_302600_NS6detail15normal_iteratorINS9_10device_ptrItEEEEPS5_m9comp_mod3ItEEE10hipError_tT0_T1_T2_jT3_P12ihipStream_tbPNSt15iterator_traitsISJ_E10value_typeEPNSP_ISK_E10value_typeEPSL_NS1_7vsmem_tEENKUlT_SJ_SK_SL_E_clIPtSE_SF_SF_EESI_SY_SJ_SK_SL_EUlSY_E0_NS1_11comp_targetILNS1_3genE4ELNS1_11target_archE910ELNS1_3gpuE8ELNS1_3repE0EEENS1_38merge_mergepath_config_static_selectorELNS0_4arch9wavefront6targetE0EEEvSK_ ; -- Begin function _ZN7rocprim17ROCPRIM_400000_NS6detail17trampoline_kernelINS0_14default_configENS1_38merge_sort_block_merge_config_selectorItNS0_10empty_typeEEEZZNS1_27merge_sort_block_merge_implIS3_N6thrust23THRUST_200600_302600_NS6detail15normal_iteratorINS9_10device_ptrItEEEEPS5_m9comp_mod3ItEEE10hipError_tT0_T1_T2_jT3_P12ihipStream_tbPNSt15iterator_traitsISJ_E10value_typeEPNSP_ISK_E10value_typeEPSL_NS1_7vsmem_tEENKUlT_SJ_SK_SL_E_clIPtSE_SF_SF_EESI_SY_SJ_SK_SL_EUlSY_E0_NS1_11comp_targetILNS1_3genE4ELNS1_11target_archE910ELNS1_3gpuE8ELNS1_3repE0EEENS1_38merge_mergepath_config_static_selectorELNS0_4arch9wavefront6targetE0EEEvSK_
	.globl	_ZN7rocprim17ROCPRIM_400000_NS6detail17trampoline_kernelINS0_14default_configENS1_38merge_sort_block_merge_config_selectorItNS0_10empty_typeEEEZZNS1_27merge_sort_block_merge_implIS3_N6thrust23THRUST_200600_302600_NS6detail15normal_iteratorINS9_10device_ptrItEEEEPS5_m9comp_mod3ItEEE10hipError_tT0_T1_T2_jT3_P12ihipStream_tbPNSt15iterator_traitsISJ_E10value_typeEPNSP_ISK_E10value_typeEPSL_NS1_7vsmem_tEENKUlT_SJ_SK_SL_E_clIPtSE_SF_SF_EESI_SY_SJ_SK_SL_EUlSY_E0_NS1_11comp_targetILNS1_3genE4ELNS1_11target_archE910ELNS1_3gpuE8ELNS1_3repE0EEENS1_38merge_mergepath_config_static_selectorELNS0_4arch9wavefront6targetE0EEEvSK_
	.p2align	8
	.type	_ZN7rocprim17ROCPRIM_400000_NS6detail17trampoline_kernelINS0_14default_configENS1_38merge_sort_block_merge_config_selectorItNS0_10empty_typeEEEZZNS1_27merge_sort_block_merge_implIS3_N6thrust23THRUST_200600_302600_NS6detail15normal_iteratorINS9_10device_ptrItEEEEPS5_m9comp_mod3ItEEE10hipError_tT0_T1_T2_jT3_P12ihipStream_tbPNSt15iterator_traitsISJ_E10value_typeEPNSP_ISK_E10value_typeEPSL_NS1_7vsmem_tEENKUlT_SJ_SK_SL_E_clIPtSE_SF_SF_EESI_SY_SJ_SK_SL_EUlSY_E0_NS1_11comp_targetILNS1_3genE4ELNS1_11target_archE910ELNS1_3gpuE8ELNS1_3repE0EEENS1_38merge_mergepath_config_static_selectorELNS0_4arch9wavefront6targetE0EEEvSK_,@function
_ZN7rocprim17ROCPRIM_400000_NS6detail17trampoline_kernelINS0_14default_configENS1_38merge_sort_block_merge_config_selectorItNS0_10empty_typeEEEZZNS1_27merge_sort_block_merge_implIS3_N6thrust23THRUST_200600_302600_NS6detail15normal_iteratorINS9_10device_ptrItEEEEPS5_m9comp_mod3ItEEE10hipError_tT0_T1_T2_jT3_P12ihipStream_tbPNSt15iterator_traitsISJ_E10value_typeEPNSP_ISK_E10value_typeEPSL_NS1_7vsmem_tEENKUlT_SJ_SK_SL_E_clIPtSE_SF_SF_EESI_SY_SJ_SK_SL_EUlSY_E0_NS1_11comp_targetILNS1_3genE4ELNS1_11target_archE910ELNS1_3gpuE8ELNS1_3repE0EEENS1_38merge_mergepath_config_static_selectorELNS0_4arch9wavefront6targetE0EEEvSK_: ; @_ZN7rocprim17ROCPRIM_400000_NS6detail17trampoline_kernelINS0_14default_configENS1_38merge_sort_block_merge_config_selectorItNS0_10empty_typeEEEZZNS1_27merge_sort_block_merge_implIS3_N6thrust23THRUST_200600_302600_NS6detail15normal_iteratorINS9_10device_ptrItEEEEPS5_m9comp_mod3ItEEE10hipError_tT0_T1_T2_jT3_P12ihipStream_tbPNSt15iterator_traitsISJ_E10value_typeEPNSP_ISK_E10value_typeEPSL_NS1_7vsmem_tEENKUlT_SJ_SK_SL_E_clIPtSE_SF_SF_EESI_SY_SJ_SK_SL_EUlSY_E0_NS1_11comp_targetILNS1_3genE4ELNS1_11target_archE910ELNS1_3gpuE8ELNS1_3repE0EEENS1_38merge_mergepath_config_static_selectorELNS0_4arch9wavefront6targetE0EEEvSK_
; %bb.0:
	.section	.rodata,"a",@progbits
	.p2align	6, 0x0
	.amdhsa_kernel _ZN7rocprim17ROCPRIM_400000_NS6detail17trampoline_kernelINS0_14default_configENS1_38merge_sort_block_merge_config_selectorItNS0_10empty_typeEEEZZNS1_27merge_sort_block_merge_implIS3_N6thrust23THRUST_200600_302600_NS6detail15normal_iteratorINS9_10device_ptrItEEEEPS5_m9comp_mod3ItEEE10hipError_tT0_T1_T2_jT3_P12ihipStream_tbPNSt15iterator_traitsISJ_E10value_typeEPNSP_ISK_E10value_typeEPSL_NS1_7vsmem_tEENKUlT_SJ_SK_SL_E_clIPtSE_SF_SF_EESI_SY_SJ_SK_SL_EUlSY_E0_NS1_11comp_targetILNS1_3genE4ELNS1_11target_archE910ELNS1_3gpuE8ELNS1_3repE0EEENS1_38merge_mergepath_config_static_selectorELNS0_4arch9wavefront6targetE0EEEvSK_
		.amdhsa_group_segment_fixed_size 0
		.amdhsa_private_segment_fixed_size 0
		.amdhsa_kernarg_size 80
		.amdhsa_user_sgpr_count 6
		.amdhsa_user_sgpr_private_segment_buffer 1
		.amdhsa_user_sgpr_dispatch_ptr 0
		.amdhsa_user_sgpr_queue_ptr 0
		.amdhsa_user_sgpr_kernarg_segment_ptr 1
		.amdhsa_user_sgpr_dispatch_id 0
		.amdhsa_user_sgpr_flat_scratch_init 0
		.amdhsa_user_sgpr_private_segment_size 0
		.amdhsa_wavefront_size32 1
		.amdhsa_uses_dynamic_stack 0
		.amdhsa_system_sgpr_private_segment_wavefront_offset 0
		.amdhsa_system_sgpr_workgroup_id_x 1
		.amdhsa_system_sgpr_workgroup_id_y 0
		.amdhsa_system_sgpr_workgroup_id_z 0
		.amdhsa_system_sgpr_workgroup_info 0
		.amdhsa_system_vgpr_workitem_id 0
		.amdhsa_next_free_vgpr 1
		.amdhsa_next_free_sgpr 1
		.amdhsa_reserve_vcc 0
		.amdhsa_reserve_flat_scratch 0
		.amdhsa_float_round_mode_32 0
		.amdhsa_float_round_mode_16_64 0
		.amdhsa_float_denorm_mode_32 3
		.amdhsa_float_denorm_mode_16_64 3
		.amdhsa_dx10_clamp 1
		.amdhsa_ieee_mode 1
		.amdhsa_fp16_overflow 0
		.amdhsa_workgroup_processor_mode 1
		.amdhsa_memory_ordered 1
		.amdhsa_forward_progress 1
		.amdhsa_shared_vgpr_count 0
		.amdhsa_exception_fp_ieee_invalid_op 0
		.amdhsa_exception_fp_denorm_src 0
		.amdhsa_exception_fp_ieee_div_zero 0
		.amdhsa_exception_fp_ieee_overflow 0
		.amdhsa_exception_fp_ieee_underflow 0
		.amdhsa_exception_fp_ieee_inexact 0
		.amdhsa_exception_int_div_zero 0
	.end_amdhsa_kernel
	.section	.text._ZN7rocprim17ROCPRIM_400000_NS6detail17trampoline_kernelINS0_14default_configENS1_38merge_sort_block_merge_config_selectorItNS0_10empty_typeEEEZZNS1_27merge_sort_block_merge_implIS3_N6thrust23THRUST_200600_302600_NS6detail15normal_iteratorINS9_10device_ptrItEEEEPS5_m9comp_mod3ItEEE10hipError_tT0_T1_T2_jT3_P12ihipStream_tbPNSt15iterator_traitsISJ_E10value_typeEPNSP_ISK_E10value_typeEPSL_NS1_7vsmem_tEENKUlT_SJ_SK_SL_E_clIPtSE_SF_SF_EESI_SY_SJ_SK_SL_EUlSY_E0_NS1_11comp_targetILNS1_3genE4ELNS1_11target_archE910ELNS1_3gpuE8ELNS1_3repE0EEENS1_38merge_mergepath_config_static_selectorELNS0_4arch9wavefront6targetE0EEEvSK_,"axG",@progbits,_ZN7rocprim17ROCPRIM_400000_NS6detail17trampoline_kernelINS0_14default_configENS1_38merge_sort_block_merge_config_selectorItNS0_10empty_typeEEEZZNS1_27merge_sort_block_merge_implIS3_N6thrust23THRUST_200600_302600_NS6detail15normal_iteratorINS9_10device_ptrItEEEEPS5_m9comp_mod3ItEEE10hipError_tT0_T1_T2_jT3_P12ihipStream_tbPNSt15iterator_traitsISJ_E10value_typeEPNSP_ISK_E10value_typeEPSL_NS1_7vsmem_tEENKUlT_SJ_SK_SL_E_clIPtSE_SF_SF_EESI_SY_SJ_SK_SL_EUlSY_E0_NS1_11comp_targetILNS1_3genE4ELNS1_11target_archE910ELNS1_3gpuE8ELNS1_3repE0EEENS1_38merge_mergepath_config_static_selectorELNS0_4arch9wavefront6targetE0EEEvSK_,comdat
.Lfunc_end885:
	.size	_ZN7rocprim17ROCPRIM_400000_NS6detail17trampoline_kernelINS0_14default_configENS1_38merge_sort_block_merge_config_selectorItNS0_10empty_typeEEEZZNS1_27merge_sort_block_merge_implIS3_N6thrust23THRUST_200600_302600_NS6detail15normal_iteratorINS9_10device_ptrItEEEEPS5_m9comp_mod3ItEEE10hipError_tT0_T1_T2_jT3_P12ihipStream_tbPNSt15iterator_traitsISJ_E10value_typeEPNSP_ISK_E10value_typeEPSL_NS1_7vsmem_tEENKUlT_SJ_SK_SL_E_clIPtSE_SF_SF_EESI_SY_SJ_SK_SL_EUlSY_E0_NS1_11comp_targetILNS1_3genE4ELNS1_11target_archE910ELNS1_3gpuE8ELNS1_3repE0EEENS1_38merge_mergepath_config_static_selectorELNS0_4arch9wavefront6targetE0EEEvSK_, .Lfunc_end885-_ZN7rocprim17ROCPRIM_400000_NS6detail17trampoline_kernelINS0_14default_configENS1_38merge_sort_block_merge_config_selectorItNS0_10empty_typeEEEZZNS1_27merge_sort_block_merge_implIS3_N6thrust23THRUST_200600_302600_NS6detail15normal_iteratorINS9_10device_ptrItEEEEPS5_m9comp_mod3ItEEE10hipError_tT0_T1_T2_jT3_P12ihipStream_tbPNSt15iterator_traitsISJ_E10value_typeEPNSP_ISK_E10value_typeEPSL_NS1_7vsmem_tEENKUlT_SJ_SK_SL_E_clIPtSE_SF_SF_EESI_SY_SJ_SK_SL_EUlSY_E0_NS1_11comp_targetILNS1_3genE4ELNS1_11target_archE910ELNS1_3gpuE8ELNS1_3repE0EEENS1_38merge_mergepath_config_static_selectorELNS0_4arch9wavefront6targetE0EEEvSK_
                                        ; -- End function
	.set _ZN7rocprim17ROCPRIM_400000_NS6detail17trampoline_kernelINS0_14default_configENS1_38merge_sort_block_merge_config_selectorItNS0_10empty_typeEEEZZNS1_27merge_sort_block_merge_implIS3_N6thrust23THRUST_200600_302600_NS6detail15normal_iteratorINS9_10device_ptrItEEEEPS5_m9comp_mod3ItEEE10hipError_tT0_T1_T2_jT3_P12ihipStream_tbPNSt15iterator_traitsISJ_E10value_typeEPNSP_ISK_E10value_typeEPSL_NS1_7vsmem_tEENKUlT_SJ_SK_SL_E_clIPtSE_SF_SF_EESI_SY_SJ_SK_SL_EUlSY_E0_NS1_11comp_targetILNS1_3genE4ELNS1_11target_archE910ELNS1_3gpuE8ELNS1_3repE0EEENS1_38merge_mergepath_config_static_selectorELNS0_4arch9wavefront6targetE0EEEvSK_.num_vgpr, 0
	.set _ZN7rocprim17ROCPRIM_400000_NS6detail17trampoline_kernelINS0_14default_configENS1_38merge_sort_block_merge_config_selectorItNS0_10empty_typeEEEZZNS1_27merge_sort_block_merge_implIS3_N6thrust23THRUST_200600_302600_NS6detail15normal_iteratorINS9_10device_ptrItEEEEPS5_m9comp_mod3ItEEE10hipError_tT0_T1_T2_jT3_P12ihipStream_tbPNSt15iterator_traitsISJ_E10value_typeEPNSP_ISK_E10value_typeEPSL_NS1_7vsmem_tEENKUlT_SJ_SK_SL_E_clIPtSE_SF_SF_EESI_SY_SJ_SK_SL_EUlSY_E0_NS1_11comp_targetILNS1_3genE4ELNS1_11target_archE910ELNS1_3gpuE8ELNS1_3repE0EEENS1_38merge_mergepath_config_static_selectorELNS0_4arch9wavefront6targetE0EEEvSK_.num_agpr, 0
	.set _ZN7rocprim17ROCPRIM_400000_NS6detail17trampoline_kernelINS0_14default_configENS1_38merge_sort_block_merge_config_selectorItNS0_10empty_typeEEEZZNS1_27merge_sort_block_merge_implIS3_N6thrust23THRUST_200600_302600_NS6detail15normal_iteratorINS9_10device_ptrItEEEEPS5_m9comp_mod3ItEEE10hipError_tT0_T1_T2_jT3_P12ihipStream_tbPNSt15iterator_traitsISJ_E10value_typeEPNSP_ISK_E10value_typeEPSL_NS1_7vsmem_tEENKUlT_SJ_SK_SL_E_clIPtSE_SF_SF_EESI_SY_SJ_SK_SL_EUlSY_E0_NS1_11comp_targetILNS1_3genE4ELNS1_11target_archE910ELNS1_3gpuE8ELNS1_3repE0EEENS1_38merge_mergepath_config_static_selectorELNS0_4arch9wavefront6targetE0EEEvSK_.numbered_sgpr, 0
	.set _ZN7rocprim17ROCPRIM_400000_NS6detail17trampoline_kernelINS0_14default_configENS1_38merge_sort_block_merge_config_selectorItNS0_10empty_typeEEEZZNS1_27merge_sort_block_merge_implIS3_N6thrust23THRUST_200600_302600_NS6detail15normal_iteratorINS9_10device_ptrItEEEEPS5_m9comp_mod3ItEEE10hipError_tT0_T1_T2_jT3_P12ihipStream_tbPNSt15iterator_traitsISJ_E10value_typeEPNSP_ISK_E10value_typeEPSL_NS1_7vsmem_tEENKUlT_SJ_SK_SL_E_clIPtSE_SF_SF_EESI_SY_SJ_SK_SL_EUlSY_E0_NS1_11comp_targetILNS1_3genE4ELNS1_11target_archE910ELNS1_3gpuE8ELNS1_3repE0EEENS1_38merge_mergepath_config_static_selectorELNS0_4arch9wavefront6targetE0EEEvSK_.num_named_barrier, 0
	.set _ZN7rocprim17ROCPRIM_400000_NS6detail17trampoline_kernelINS0_14default_configENS1_38merge_sort_block_merge_config_selectorItNS0_10empty_typeEEEZZNS1_27merge_sort_block_merge_implIS3_N6thrust23THRUST_200600_302600_NS6detail15normal_iteratorINS9_10device_ptrItEEEEPS5_m9comp_mod3ItEEE10hipError_tT0_T1_T2_jT3_P12ihipStream_tbPNSt15iterator_traitsISJ_E10value_typeEPNSP_ISK_E10value_typeEPSL_NS1_7vsmem_tEENKUlT_SJ_SK_SL_E_clIPtSE_SF_SF_EESI_SY_SJ_SK_SL_EUlSY_E0_NS1_11comp_targetILNS1_3genE4ELNS1_11target_archE910ELNS1_3gpuE8ELNS1_3repE0EEENS1_38merge_mergepath_config_static_selectorELNS0_4arch9wavefront6targetE0EEEvSK_.private_seg_size, 0
	.set _ZN7rocprim17ROCPRIM_400000_NS6detail17trampoline_kernelINS0_14default_configENS1_38merge_sort_block_merge_config_selectorItNS0_10empty_typeEEEZZNS1_27merge_sort_block_merge_implIS3_N6thrust23THRUST_200600_302600_NS6detail15normal_iteratorINS9_10device_ptrItEEEEPS5_m9comp_mod3ItEEE10hipError_tT0_T1_T2_jT3_P12ihipStream_tbPNSt15iterator_traitsISJ_E10value_typeEPNSP_ISK_E10value_typeEPSL_NS1_7vsmem_tEENKUlT_SJ_SK_SL_E_clIPtSE_SF_SF_EESI_SY_SJ_SK_SL_EUlSY_E0_NS1_11comp_targetILNS1_3genE4ELNS1_11target_archE910ELNS1_3gpuE8ELNS1_3repE0EEENS1_38merge_mergepath_config_static_selectorELNS0_4arch9wavefront6targetE0EEEvSK_.uses_vcc, 0
	.set _ZN7rocprim17ROCPRIM_400000_NS6detail17trampoline_kernelINS0_14default_configENS1_38merge_sort_block_merge_config_selectorItNS0_10empty_typeEEEZZNS1_27merge_sort_block_merge_implIS3_N6thrust23THRUST_200600_302600_NS6detail15normal_iteratorINS9_10device_ptrItEEEEPS5_m9comp_mod3ItEEE10hipError_tT0_T1_T2_jT3_P12ihipStream_tbPNSt15iterator_traitsISJ_E10value_typeEPNSP_ISK_E10value_typeEPSL_NS1_7vsmem_tEENKUlT_SJ_SK_SL_E_clIPtSE_SF_SF_EESI_SY_SJ_SK_SL_EUlSY_E0_NS1_11comp_targetILNS1_3genE4ELNS1_11target_archE910ELNS1_3gpuE8ELNS1_3repE0EEENS1_38merge_mergepath_config_static_selectorELNS0_4arch9wavefront6targetE0EEEvSK_.uses_flat_scratch, 0
	.set _ZN7rocprim17ROCPRIM_400000_NS6detail17trampoline_kernelINS0_14default_configENS1_38merge_sort_block_merge_config_selectorItNS0_10empty_typeEEEZZNS1_27merge_sort_block_merge_implIS3_N6thrust23THRUST_200600_302600_NS6detail15normal_iteratorINS9_10device_ptrItEEEEPS5_m9comp_mod3ItEEE10hipError_tT0_T1_T2_jT3_P12ihipStream_tbPNSt15iterator_traitsISJ_E10value_typeEPNSP_ISK_E10value_typeEPSL_NS1_7vsmem_tEENKUlT_SJ_SK_SL_E_clIPtSE_SF_SF_EESI_SY_SJ_SK_SL_EUlSY_E0_NS1_11comp_targetILNS1_3genE4ELNS1_11target_archE910ELNS1_3gpuE8ELNS1_3repE0EEENS1_38merge_mergepath_config_static_selectorELNS0_4arch9wavefront6targetE0EEEvSK_.has_dyn_sized_stack, 0
	.set _ZN7rocprim17ROCPRIM_400000_NS6detail17trampoline_kernelINS0_14default_configENS1_38merge_sort_block_merge_config_selectorItNS0_10empty_typeEEEZZNS1_27merge_sort_block_merge_implIS3_N6thrust23THRUST_200600_302600_NS6detail15normal_iteratorINS9_10device_ptrItEEEEPS5_m9comp_mod3ItEEE10hipError_tT0_T1_T2_jT3_P12ihipStream_tbPNSt15iterator_traitsISJ_E10value_typeEPNSP_ISK_E10value_typeEPSL_NS1_7vsmem_tEENKUlT_SJ_SK_SL_E_clIPtSE_SF_SF_EESI_SY_SJ_SK_SL_EUlSY_E0_NS1_11comp_targetILNS1_3genE4ELNS1_11target_archE910ELNS1_3gpuE8ELNS1_3repE0EEENS1_38merge_mergepath_config_static_selectorELNS0_4arch9wavefront6targetE0EEEvSK_.has_recursion, 0
	.set _ZN7rocprim17ROCPRIM_400000_NS6detail17trampoline_kernelINS0_14default_configENS1_38merge_sort_block_merge_config_selectorItNS0_10empty_typeEEEZZNS1_27merge_sort_block_merge_implIS3_N6thrust23THRUST_200600_302600_NS6detail15normal_iteratorINS9_10device_ptrItEEEEPS5_m9comp_mod3ItEEE10hipError_tT0_T1_T2_jT3_P12ihipStream_tbPNSt15iterator_traitsISJ_E10value_typeEPNSP_ISK_E10value_typeEPSL_NS1_7vsmem_tEENKUlT_SJ_SK_SL_E_clIPtSE_SF_SF_EESI_SY_SJ_SK_SL_EUlSY_E0_NS1_11comp_targetILNS1_3genE4ELNS1_11target_archE910ELNS1_3gpuE8ELNS1_3repE0EEENS1_38merge_mergepath_config_static_selectorELNS0_4arch9wavefront6targetE0EEEvSK_.has_indirect_call, 0
	.section	.AMDGPU.csdata,"",@progbits
; Kernel info:
; codeLenInByte = 0
; TotalNumSgprs: 0
; NumVgprs: 0
; ScratchSize: 0
; MemoryBound: 0
; FloatMode: 240
; IeeeMode: 1
; LDSByteSize: 0 bytes/workgroup (compile time only)
; SGPRBlocks: 0
; VGPRBlocks: 0
; NumSGPRsForWavesPerEU: 1
; NumVGPRsForWavesPerEU: 1
; Occupancy: 16
; WaveLimiterHint : 0
; COMPUTE_PGM_RSRC2:SCRATCH_EN: 0
; COMPUTE_PGM_RSRC2:USER_SGPR: 6
; COMPUTE_PGM_RSRC2:TRAP_HANDLER: 0
; COMPUTE_PGM_RSRC2:TGID_X_EN: 1
; COMPUTE_PGM_RSRC2:TGID_Y_EN: 0
; COMPUTE_PGM_RSRC2:TGID_Z_EN: 0
; COMPUTE_PGM_RSRC2:TIDIG_COMP_CNT: 0
	.section	.text._ZN7rocprim17ROCPRIM_400000_NS6detail17trampoline_kernelINS0_14default_configENS1_38merge_sort_block_merge_config_selectorItNS0_10empty_typeEEEZZNS1_27merge_sort_block_merge_implIS3_N6thrust23THRUST_200600_302600_NS6detail15normal_iteratorINS9_10device_ptrItEEEEPS5_m9comp_mod3ItEEE10hipError_tT0_T1_T2_jT3_P12ihipStream_tbPNSt15iterator_traitsISJ_E10value_typeEPNSP_ISK_E10value_typeEPSL_NS1_7vsmem_tEENKUlT_SJ_SK_SL_E_clIPtSE_SF_SF_EESI_SY_SJ_SK_SL_EUlSY_E0_NS1_11comp_targetILNS1_3genE3ELNS1_11target_archE908ELNS1_3gpuE7ELNS1_3repE0EEENS1_38merge_mergepath_config_static_selectorELNS0_4arch9wavefront6targetE0EEEvSK_,"axG",@progbits,_ZN7rocprim17ROCPRIM_400000_NS6detail17trampoline_kernelINS0_14default_configENS1_38merge_sort_block_merge_config_selectorItNS0_10empty_typeEEEZZNS1_27merge_sort_block_merge_implIS3_N6thrust23THRUST_200600_302600_NS6detail15normal_iteratorINS9_10device_ptrItEEEEPS5_m9comp_mod3ItEEE10hipError_tT0_T1_T2_jT3_P12ihipStream_tbPNSt15iterator_traitsISJ_E10value_typeEPNSP_ISK_E10value_typeEPSL_NS1_7vsmem_tEENKUlT_SJ_SK_SL_E_clIPtSE_SF_SF_EESI_SY_SJ_SK_SL_EUlSY_E0_NS1_11comp_targetILNS1_3genE3ELNS1_11target_archE908ELNS1_3gpuE7ELNS1_3repE0EEENS1_38merge_mergepath_config_static_selectorELNS0_4arch9wavefront6targetE0EEEvSK_,comdat
	.protected	_ZN7rocprim17ROCPRIM_400000_NS6detail17trampoline_kernelINS0_14default_configENS1_38merge_sort_block_merge_config_selectorItNS0_10empty_typeEEEZZNS1_27merge_sort_block_merge_implIS3_N6thrust23THRUST_200600_302600_NS6detail15normal_iteratorINS9_10device_ptrItEEEEPS5_m9comp_mod3ItEEE10hipError_tT0_T1_T2_jT3_P12ihipStream_tbPNSt15iterator_traitsISJ_E10value_typeEPNSP_ISK_E10value_typeEPSL_NS1_7vsmem_tEENKUlT_SJ_SK_SL_E_clIPtSE_SF_SF_EESI_SY_SJ_SK_SL_EUlSY_E0_NS1_11comp_targetILNS1_3genE3ELNS1_11target_archE908ELNS1_3gpuE7ELNS1_3repE0EEENS1_38merge_mergepath_config_static_selectorELNS0_4arch9wavefront6targetE0EEEvSK_ ; -- Begin function _ZN7rocprim17ROCPRIM_400000_NS6detail17trampoline_kernelINS0_14default_configENS1_38merge_sort_block_merge_config_selectorItNS0_10empty_typeEEEZZNS1_27merge_sort_block_merge_implIS3_N6thrust23THRUST_200600_302600_NS6detail15normal_iteratorINS9_10device_ptrItEEEEPS5_m9comp_mod3ItEEE10hipError_tT0_T1_T2_jT3_P12ihipStream_tbPNSt15iterator_traitsISJ_E10value_typeEPNSP_ISK_E10value_typeEPSL_NS1_7vsmem_tEENKUlT_SJ_SK_SL_E_clIPtSE_SF_SF_EESI_SY_SJ_SK_SL_EUlSY_E0_NS1_11comp_targetILNS1_3genE3ELNS1_11target_archE908ELNS1_3gpuE7ELNS1_3repE0EEENS1_38merge_mergepath_config_static_selectorELNS0_4arch9wavefront6targetE0EEEvSK_
	.globl	_ZN7rocprim17ROCPRIM_400000_NS6detail17trampoline_kernelINS0_14default_configENS1_38merge_sort_block_merge_config_selectorItNS0_10empty_typeEEEZZNS1_27merge_sort_block_merge_implIS3_N6thrust23THRUST_200600_302600_NS6detail15normal_iteratorINS9_10device_ptrItEEEEPS5_m9comp_mod3ItEEE10hipError_tT0_T1_T2_jT3_P12ihipStream_tbPNSt15iterator_traitsISJ_E10value_typeEPNSP_ISK_E10value_typeEPSL_NS1_7vsmem_tEENKUlT_SJ_SK_SL_E_clIPtSE_SF_SF_EESI_SY_SJ_SK_SL_EUlSY_E0_NS1_11comp_targetILNS1_3genE3ELNS1_11target_archE908ELNS1_3gpuE7ELNS1_3repE0EEENS1_38merge_mergepath_config_static_selectorELNS0_4arch9wavefront6targetE0EEEvSK_
	.p2align	8
	.type	_ZN7rocprim17ROCPRIM_400000_NS6detail17trampoline_kernelINS0_14default_configENS1_38merge_sort_block_merge_config_selectorItNS0_10empty_typeEEEZZNS1_27merge_sort_block_merge_implIS3_N6thrust23THRUST_200600_302600_NS6detail15normal_iteratorINS9_10device_ptrItEEEEPS5_m9comp_mod3ItEEE10hipError_tT0_T1_T2_jT3_P12ihipStream_tbPNSt15iterator_traitsISJ_E10value_typeEPNSP_ISK_E10value_typeEPSL_NS1_7vsmem_tEENKUlT_SJ_SK_SL_E_clIPtSE_SF_SF_EESI_SY_SJ_SK_SL_EUlSY_E0_NS1_11comp_targetILNS1_3genE3ELNS1_11target_archE908ELNS1_3gpuE7ELNS1_3repE0EEENS1_38merge_mergepath_config_static_selectorELNS0_4arch9wavefront6targetE0EEEvSK_,@function
_ZN7rocprim17ROCPRIM_400000_NS6detail17trampoline_kernelINS0_14default_configENS1_38merge_sort_block_merge_config_selectorItNS0_10empty_typeEEEZZNS1_27merge_sort_block_merge_implIS3_N6thrust23THRUST_200600_302600_NS6detail15normal_iteratorINS9_10device_ptrItEEEEPS5_m9comp_mod3ItEEE10hipError_tT0_T1_T2_jT3_P12ihipStream_tbPNSt15iterator_traitsISJ_E10value_typeEPNSP_ISK_E10value_typeEPSL_NS1_7vsmem_tEENKUlT_SJ_SK_SL_E_clIPtSE_SF_SF_EESI_SY_SJ_SK_SL_EUlSY_E0_NS1_11comp_targetILNS1_3genE3ELNS1_11target_archE908ELNS1_3gpuE7ELNS1_3repE0EEENS1_38merge_mergepath_config_static_selectorELNS0_4arch9wavefront6targetE0EEEvSK_: ; @_ZN7rocprim17ROCPRIM_400000_NS6detail17trampoline_kernelINS0_14default_configENS1_38merge_sort_block_merge_config_selectorItNS0_10empty_typeEEEZZNS1_27merge_sort_block_merge_implIS3_N6thrust23THRUST_200600_302600_NS6detail15normal_iteratorINS9_10device_ptrItEEEEPS5_m9comp_mod3ItEEE10hipError_tT0_T1_T2_jT3_P12ihipStream_tbPNSt15iterator_traitsISJ_E10value_typeEPNSP_ISK_E10value_typeEPSL_NS1_7vsmem_tEENKUlT_SJ_SK_SL_E_clIPtSE_SF_SF_EESI_SY_SJ_SK_SL_EUlSY_E0_NS1_11comp_targetILNS1_3genE3ELNS1_11target_archE908ELNS1_3gpuE7ELNS1_3repE0EEENS1_38merge_mergepath_config_static_selectorELNS0_4arch9wavefront6targetE0EEEvSK_
; %bb.0:
	.section	.rodata,"a",@progbits
	.p2align	6, 0x0
	.amdhsa_kernel _ZN7rocprim17ROCPRIM_400000_NS6detail17trampoline_kernelINS0_14default_configENS1_38merge_sort_block_merge_config_selectorItNS0_10empty_typeEEEZZNS1_27merge_sort_block_merge_implIS3_N6thrust23THRUST_200600_302600_NS6detail15normal_iteratorINS9_10device_ptrItEEEEPS5_m9comp_mod3ItEEE10hipError_tT0_T1_T2_jT3_P12ihipStream_tbPNSt15iterator_traitsISJ_E10value_typeEPNSP_ISK_E10value_typeEPSL_NS1_7vsmem_tEENKUlT_SJ_SK_SL_E_clIPtSE_SF_SF_EESI_SY_SJ_SK_SL_EUlSY_E0_NS1_11comp_targetILNS1_3genE3ELNS1_11target_archE908ELNS1_3gpuE7ELNS1_3repE0EEENS1_38merge_mergepath_config_static_selectorELNS0_4arch9wavefront6targetE0EEEvSK_
		.amdhsa_group_segment_fixed_size 0
		.amdhsa_private_segment_fixed_size 0
		.amdhsa_kernarg_size 80
		.amdhsa_user_sgpr_count 6
		.amdhsa_user_sgpr_private_segment_buffer 1
		.amdhsa_user_sgpr_dispatch_ptr 0
		.amdhsa_user_sgpr_queue_ptr 0
		.amdhsa_user_sgpr_kernarg_segment_ptr 1
		.amdhsa_user_sgpr_dispatch_id 0
		.amdhsa_user_sgpr_flat_scratch_init 0
		.amdhsa_user_sgpr_private_segment_size 0
		.amdhsa_wavefront_size32 1
		.amdhsa_uses_dynamic_stack 0
		.amdhsa_system_sgpr_private_segment_wavefront_offset 0
		.amdhsa_system_sgpr_workgroup_id_x 1
		.amdhsa_system_sgpr_workgroup_id_y 0
		.amdhsa_system_sgpr_workgroup_id_z 0
		.amdhsa_system_sgpr_workgroup_info 0
		.amdhsa_system_vgpr_workitem_id 0
		.amdhsa_next_free_vgpr 1
		.amdhsa_next_free_sgpr 1
		.amdhsa_reserve_vcc 0
		.amdhsa_reserve_flat_scratch 0
		.amdhsa_float_round_mode_32 0
		.amdhsa_float_round_mode_16_64 0
		.amdhsa_float_denorm_mode_32 3
		.amdhsa_float_denorm_mode_16_64 3
		.amdhsa_dx10_clamp 1
		.amdhsa_ieee_mode 1
		.amdhsa_fp16_overflow 0
		.amdhsa_workgroup_processor_mode 1
		.amdhsa_memory_ordered 1
		.amdhsa_forward_progress 1
		.amdhsa_shared_vgpr_count 0
		.amdhsa_exception_fp_ieee_invalid_op 0
		.amdhsa_exception_fp_denorm_src 0
		.amdhsa_exception_fp_ieee_div_zero 0
		.amdhsa_exception_fp_ieee_overflow 0
		.amdhsa_exception_fp_ieee_underflow 0
		.amdhsa_exception_fp_ieee_inexact 0
		.amdhsa_exception_int_div_zero 0
	.end_amdhsa_kernel
	.section	.text._ZN7rocprim17ROCPRIM_400000_NS6detail17trampoline_kernelINS0_14default_configENS1_38merge_sort_block_merge_config_selectorItNS0_10empty_typeEEEZZNS1_27merge_sort_block_merge_implIS3_N6thrust23THRUST_200600_302600_NS6detail15normal_iteratorINS9_10device_ptrItEEEEPS5_m9comp_mod3ItEEE10hipError_tT0_T1_T2_jT3_P12ihipStream_tbPNSt15iterator_traitsISJ_E10value_typeEPNSP_ISK_E10value_typeEPSL_NS1_7vsmem_tEENKUlT_SJ_SK_SL_E_clIPtSE_SF_SF_EESI_SY_SJ_SK_SL_EUlSY_E0_NS1_11comp_targetILNS1_3genE3ELNS1_11target_archE908ELNS1_3gpuE7ELNS1_3repE0EEENS1_38merge_mergepath_config_static_selectorELNS0_4arch9wavefront6targetE0EEEvSK_,"axG",@progbits,_ZN7rocprim17ROCPRIM_400000_NS6detail17trampoline_kernelINS0_14default_configENS1_38merge_sort_block_merge_config_selectorItNS0_10empty_typeEEEZZNS1_27merge_sort_block_merge_implIS3_N6thrust23THRUST_200600_302600_NS6detail15normal_iteratorINS9_10device_ptrItEEEEPS5_m9comp_mod3ItEEE10hipError_tT0_T1_T2_jT3_P12ihipStream_tbPNSt15iterator_traitsISJ_E10value_typeEPNSP_ISK_E10value_typeEPSL_NS1_7vsmem_tEENKUlT_SJ_SK_SL_E_clIPtSE_SF_SF_EESI_SY_SJ_SK_SL_EUlSY_E0_NS1_11comp_targetILNS1_3genE3ELNS1_11target_archE908ELNS1_3gpuE7ELNS1_3repE0EEENS1_38merge_mergepath_config_static_selectorELNS0_4arch9wavefront6targetE0EEEvSK_,comdat
.Lfunc_end886:
	.size	_ZN7rocprim17ROCPRIM_400000_NS6detail17trampoline_kernelINS0_14default_configENS1_38merge_sort_block_merge_config_selectorItNS0_10empty_typeEEEZZNS1_27merge_sort_block_merge_implIS3_N6thrust23THRUST_200600_302600_NS6detail15normal_iteratorINS9_10device_ptrItEEEEPS5_m9comp_mod3ItEEE10hipError_tT0_T1_T2_jT3_P12ihipStream_tbPNSt15iterator_traitsISJ_E10value_typeEPNSP_ISK_E10value_typeEPSL_NS1_7vsmem_tEENKUlT_SJ_SK_SL_E_clIPtSE_SF_SF_EESI_SY_SJ_SK_SL_EUlSY_E0_NS1_11comp_targetILNS1_3genE3ELNS1_11target_archE908ELNS1_3gpuE7ELNS1_3repE0EEENS1_38merge_mergepath_config_static_selectorELNS0_4arch9wavefront6targetE0EEEvSK_, .Lfunc_end886-_ZN7rocprim17ROCPRIM_400000_NS6detail17trampoline_kernelINS0_14default_configENS1_38merge_sort_block_merge_config_selectorItNS0_10empty_typeEEEZZNS1_27merge_sort_block_merge_implIS3_N6thrust23THRUST_200600_302600_NS6detail15normal_iteratorINS9_10device_ptrItEEEEPS5_m9comp_mod3ItEEE10hipError_tT0_T1_T2_jT3_P12ihipStream_tbPNSt15iterator_traitsISJ_E10value_typeEPNSP_ISK_E10value_typeEPSL_NS1_7vsmem_tEENKUlT_SJ_SK_SL_E_clIPtSE_SF_SF_EESI_SY_SJ_SK_SL_EUlSY_E0_NS1_11comp_targetILNS1_3genE3ELNS1_11target_archE908ELNS1_3gpuE7ELNS1_3repE0EEENS1_38merge_mergepath_config_static_selectorELNS0_4arch9wavefront6targetE0EEEvSK_
                                        ; -- End function
	.set _ZN7rocprim17ROCPRIM_400000_NS6detail17trampoline_kernelINS0_14default_configENS1_38merge_sort_block_merge_config_selectorItNS0_10empty_typeEEEZZNS1_27merge_sort_block_merge_implIS3_N6thrust23THRUST_200600_302600_NS6detail15normal_iteratorINS9_10device_ptrItEEEEPS5_m9comp_mod3ItEEE10hipError_tT0_T1_T2_jT3_P12ihipStream_tbPNSt15iterator_traitsISJ_E10value_typeEPNSP_ISK_E10value_typeEPSL_NS1_7vsmem_tEENKUlT_SJ_SK_SL_E_clIPtSE_SF_SF_EESI_SY_SJ_SK_SL_EUlSY_E0_NS1_11comp_targetILNS1_3genE3ELNS1_11target_archE908ELNS1_3gpuE7ELNS1_3repE0EEENS1_38merge_mergepath_config_static_selectorELNS0_4arch9wavefront6targetE0EEEvSK_.num_vgpr, 0
	.set _ZN7rocprim17ROCPRIM_400000_NS6detail17trampoline_kernelINS0_14default_configENS1_38merge_sort_block_merge_config_selectorItNS0_10empty_typeEEEZZNS1_27merge_sort_block_merge_implIS3_N6thrust23THRUST_200600_302600_NS6detail15normal_iteratorINS9_10device_ptrItEEEEPS5_m9comp_mod3ItEEE10hipError_tT0_T1_T2_jT3_P12ihipStream_tbPNSt15iterator_traitsISJ_E10value_typeEPNSP_ISK_E10value_typeEPSL_NS1_7vsmem_tEENKUlT_SJ_SK_SL_E_clIPtSE_SF_SF_EESI_SY_SJ_SK_SL_EUlSY_E0_NS1_11comp_targetILNS1_3genE3ELNS1_11target_archE908ELNS1_3gpuE7ELNS1_3repE0EEENS1_38merge_mergepath_config_static_selectorELNS0_4arch9wavefront6targetE0EEEvSK_.num_agpr, 0
	.set _ZN7rocprim17ROCPRIM_400000_NS6detail17trampoline_kernelINS0_14default_configENS1_38merge_sort_block_merge_config_selectorItNS0_10empty_typeEEEZZNS1_27merge_sort_block_merge_implIS3_N6thrust23THRUST_200600_302600_NS6detail15normal_iteratorINS9_10device_ptrItEEEEPS5_m9comp_mod3ItEEE10hipError_tT0_T1_T2_jT3_P12ihipStream_tbPNSt15iterator_traitsISJ_E10value_typeEPNSP_ISK_E10value_typeEPSL_NS1_7vsmem_tEENKUlT_SJ_SK_SL_E_clIPtSE_SF_SF_EESI_SY_SJ_SK_SL_EUlSY_E0_NS1_11comp_targetILNS1_3genE3ELNS1_11target_archE908ELNS1_3gpuE7ELNS1_3repE0EEENS1_38merge_mergepath_config_static_selectorELNS0_4arch9wavefront6targetE0EEEvSK_.numbered_sgpr, 0
	.set _ZN7rocprim17ROCPRIM_400000_NS6detail17trampoline_kernelINS0_14default_configENS1_38merge_sort_block_merge_config_selectorItNS0_10empty_typeEEEZZNS1_27merge_sort_block_merge_implIS3_N6thrust23THRUST_200600_302600_NS6detail15normal_iteratorINS9_10device_ptrItEEEEPS5_m9comp_mod3ItEEE10hipError_tT0_T1_T2_jT3_P12ihipStream_tbPNSt15iterator_traitsISJ_E10value_typeEPNSP_ISK_E10value_typeEPSL_NS1_7vsmem_tEENKUlT_SJ_SK_SL_E_clIPtSE_SF_SF_EESI_SY_SJ_SK_SL_EUlSY_E0_NS1_11comp_targetILNS1_3genE3ELNS1_11target_archE908ELNS1_3gpuE7ELNS1_3repE0EEENS1_38merge_mergepath_config_static_selectorELNS0_4arch9wavefront6targetE0EEEvSK_.num_named_barrier, 0
	.set _ZN7rocprim17ROCPRIM_400000_NS6detail17trampoline_kernelINS0_14default_configENS1_38merge_sort_block_merge_config_selectorItNS0_10empty_typeEEEZZNS1_27merge_sort_block_merge_implIS3_N6thrust23THRUST_200600_302600_NS6detail15normal_iteratorINS9_10device_ptrItEEEEPS5_m9comp_mod3ItEEE10hipError_tT0_T1_T2_jT3_P12ihipStream_tbPNSt15iterator_traitsISJ_E10value_typeEPNSP_ISK_E10value_typeEPSL_NS1_7vsmem_tEENKUlT_SJ_SK_SL_E_clIPtSE_SF_SF_EESI_SY_SJ_SK_SL_EUlSY_E0_NS1_11comp_targetILNS1_3genE3ELNS1_11target_archE908ELNS1_3gpuE7ELNS1_3repE0EEENS1_38merge_mergepath_config_static_selectorELNS0_4arch9wavefront6targetE0EEEvSK_.private_seg_size, 0
	.set _ZN7rocprim17ROCPRIM_400000_NS6detail17trampoline_kernelINS0_14default_configENS1_38merge_sort_block_merge_config_selectorItNS0_10empty_typeEEEZZNS1_27merge_sort_block_merge_implIS3_N6thrust23THRUST_200600_302600_NS6detail15normal_iteratorINS9_10device_ptrItEEEEPS5_m9comp_mod3ItEEE10hipError_tT0_T1_T2_jT3_P12ihipStream_tbPNSt15iterator_traitsISJ_E10value_typeEPNSP_ISK_E10value_typeEPSL_NS1_7vsmem_tEENKUlT_SJ_SK_SL_E_clIPtSE_SF_SF_EESI_SY_SJ_SK_SL_EUlSY_E0_NS1_11comp_targetILNS1_3genE3ELNS1_11target_archE908ELNS1_3gpuE7ELNS1_3repE0EEENS1_38merge_mergepath_config_static_selectorELNS0_4arch9wavefront6targetE0EEEvSK_.uses_vcc, 0
	.set _ZN7rocprim17ROCPRIM_400000_NS6detail17trampoline_kernelINS0_14default_configENS1_38merge_sort_block_merge_config_selectorItNS0_10empty_typeEEEZZNS1_27merge_sort_block_merge_implIS3_N6thrust23THRUST_200600_302600_NS6detail15normal_iteratorINS9_10device_ptrItEEEEPS5_m9comp_mod3ItEEE10hipError_tT0_T1_T2_jT3_P12ihipStream_tbPNSt15iterator_traitsISJ_E10value_typeEPNSP_ISK_E10value_typeEPSL_NS1_7vsmem_tEENKUlT_SJ_SK_SL_E_clIPtSE_SF_SF_EESI_SY_SJ_SK_SL_EUlSY_E0_NS1_11comp_targetILNS1_3genE3ELNS1_11target_archE908ELNS1_3gpuE7ELNS1_3repE0EEENS1_38merge_mergepath_config_static_selectorELNS0_4arch9wavefront6targetE0EEEvSK_.uses_flat_scratch, 0
	.set _ZN7rocprim17ROCPRIM_400000_NS6detail17trampoline_kernelINS0_14default_configENS1_38merge_sort_block_merge_config_selectorItNS0_10empty_typeEEEZZNS1_27merge_sort_block_merge_implIS3_N6thrust23THRUST_200600_302600_NS6detail15normal_iteratorINS9_10device_ptrItEEEEPS5_m9comp_mod3ItEEE10hipError_tT0_T1_T2_jT3_P12ihipStream_tbPNSt15iterator_traitsISJ_E10value_typeEPNSP_ISK_E10value_typeEPSL_NS1_7vsmem_tEENKUlT_SJ_SK_SL_E_clIPtSE_SF_SF_EESI_SY_SJ_SK_SL_EUlSY_E0_NS1_11comp_targetILNS1_3genE3ELNS1_11target_archE908ELNS1_3gpuE7ELNS1_3repE0EEENS1_38merge_mergepath_config_static_selectorELNS0_4arch9wavefront6targetE0EEEvSK_.has_dyn_sized_stack, 0
	.set _ZN7rocprim17ROCPRIM_400000_NS6detail17trampoline_kernelINS0_14default_configENS1_38merge_sort_block_merge_config_selectorItNS0_10empty_typeEEEZZNS1_27merge_sort_block_merge_implIS3_N6thrust23THRUST_200600_302600_NS6detail15normal_iteratorINS9_10device_ptrItEEEEPS5_m9comp_mod3ItEEE10hipError_tT0_T1_T2_jT3_P12ihipStream_tbPNSt15iterator_traitsISJ_E10value_typeEPNSP_ISK_E10value_typeEPSL_NS1_7vsmem_tEENKUlT_SJ_SK_SL_E_clIPtSE_SF_SF_EESI_SY_SJ_SK_SL_EUlSY_E0_NS1_11comp_targetILNS1_3genE3ELNS1_11target_archE908ELNS1_3gpuE7ELNS1_3repE0EEENS1_38merge_mergepath_config_static_selectorELNS0_4arch9wavefront6targetE0EEEvSK_.has_recursion, 0
	.set _ZN7rocprim17ROCPRIM_400000_NS6detail17trampoline_kernelINS0_14default_configENS1_38merge_sort_block_merge_config_selectorItNS0_10empty_typeEEEZZNS1_27merge_sort_block_merge_implIS3_N6thrust23THRUST_200600_302600_NS6detail15normal_iteratorINS9_10device_ptrItEEEEPS5_m9comp_mod3ItEEE10hipError_tT0_T1_T2_jT3_P12ihipStream_tbPNSt15iterator_traitsISJ_E10value_typeEPNSP_ISK_E10value_typeEPSL_NS1_7vsmem_tEENKUlT_SJ_SK_SL_E_clIPtSE_SF_SF_EESI_SY_SJ_SK_SL_EUlSY_E0_NS1_11comp_targetILNS1_3genE3ELNS1_11target_archE908ELNS1_3gpuE7ELNS1_3repE0EEENS1_38merge_mergepath_config_static_selectorELNS0_4arch9wavefront6targetE0EEEvSK_.has_indirect_call, 0
	.section	.AMDGPU.csdata,"",@progbits
; Kernel info:
; codeLenInByte = 0
; TotalNumSgprs: 0
; NumVgprs: 0
; ScratchSize: 0
; MemoryBound: 0
; FloatMode: 240
; IeeeMode: 1
; LDSByteSize: 0 bytes/workgroup (compile time only)
; SGPRBlocks: 0
; VGPRBlocks: 0
; NumSGPRsForWavesPerEU: 1
; NumVGPRsForWavesPerEU: 1
; Occupancy: 16
; WaveLimiterHint : 0
; COMPUTE_PGM_RSRC2:SCRATCH_EN: 0
; COMPUTE_PGM_RSRC2:USER_SGPR: 6
; COMPUTE_PGM_RSRC2:TRAP_HANDLER: 0
; COMPUTE_PGM_RSRC2:TGID_X_EN: 1
; COMPUTE_PGM_RSRC2:TGID_Y_EN: 0
; COMPUTE_PGM_RSRC2:TGID_Z_EN: 0
; COMPUTE_PGM_RSRC2:TIDIG_COMP_CNT: 0
	.section	.text._ZN7rocprim17ROCPRIM_400000_NS6detail17trampoline_kernelINS0_14default_configENS1_38merge_sort_block_merge_config_selectorItNS0_10empty_typeEEEZZNS1_27merge_sort_block_merge_implIS3_N6thrust23THRUST_200600_302600_NS6detail15normal_iteratorINS9_10device_ptrItEEEEPS5_m9comp_mod3ItEEE10hipError_tT0_T1_T2_jT3_P12ihipStream_tbPNSt15iterator_traitsISJ_E10value_typeEPNSP_ISK_E10value_typeEPSL_NS1_7vsmem_tEENKUlT_SJ_SK_SL_E_clIPtSE_SF_SF_EESI_SY_SJ_SK_SL_EUlSY_E0_NS1_11comp_targetILNS1_3genE2ELNS1_11target_archE906ELNS1_3gpuE6ELNS1_3repE0EEENS1_38merge_mergepath_config_static_selectorELNS0_4arch9wavefront6targetE0EEEvSK_,"axG",@progbits,_ZN7rocprim17ROCPRIM_400000_NS6detail17trampoline_kernelINS0_14default_configENS1_38merge_sort_block_merge_config_selectorItNS0_10empty_typeEEEZZNS1_27merge_sort_block_merge_implIS3_N6thrust23THRUST_200600_302600_NS6detail15normal_iteratorINS9_10device_ptrItEEEEPS5_m9comp_mod3ItEEE10hipError_tT0_T1_T2_jT3_P12ihipStream_tbPNSt15iterator_traitsISJ_E10value_typeEPNSP_ISK_E10value_typeEPSL_NS1_7vsmem_tEENKUlT_SJ_SK_SL_E_clIPtSE_SF_SF_EESI_SY_SJ_SK_SL_EUlSY_E0_NS1_11comp_targetILNS1_3genE2ELNS1_11target_archE906ELNS1_3gpuE6ELNS1_3repE0EEENS1_38merge_mergepath_config_static_selectorELNS0_4arch9wavefront6targetE0EEEvSK_,comdat
	.protected	_ZN7rocprim17ROCPRIM_400000_NS6detail17trampoline_kernelINS0_14default_configENS1_38merge_sort_block_merge_config_selectorItNS0_10empty_typeEEEZZNS1_27merge_sort_block_merge_implIS3_N6thrust23THRUST_200600_302600_NS6detail15normal_iteratorINS9_10device_ptrItEEEEPS5_m9comp_mod3ItEEE10hipError_tT0_T1_T2_jT3_P12ihipStream_tbPNSt15iterator_traitsISJ_E10value_typeEPNSP_ISK_E10value_typeEPSL_NS1_7vsmem_tEENKUlT_SJ_SK_SL_E_clIPtSE_SF_SF_EESI_SY_SJ_SK_SL_EUlSY_E0_NS1_11comp_targetILNS1_3genE2ELNS1_11target_archE906ELNS1_3gpuE6ELNS1_3repE0EEENS1_38merge_mergepath_config_static_selectorELNS0_4arch9wavefront6targetE0EEEvSK_ ; -- Begin function _ZN7rocprim17ROCPRIM_400000_NS6detail17trampoline_kernelINS0_14default_configENS1_38merge_sort_block_merge_config_selectorItNS0_10empty_typeEEEZZNS1_27merge_sort_block_merge_implIS3_N6thrust23THRUST_200600_302600_NS6detail15normal_iteratorINS9_10device_ptrItEEEEPS5_m9comp_mod3ItEEE10hipError_tT0_T1_T2_jT3_P12ihipStream_tbPNSt15iterator_traitsISJ_E10value_typeEPNSP_ISK_E10value_typeEPSL_NS1_7vsmem_tEENKUlT_SJ_SK_SL_E_clIPtSE_SF_SF_EESI_SY_SJ_SK_SL_EUlSY_E0_NS1_11comp_targetILNS1_3genE2ELNS1_11target_archE906ELNS1_3gpuE6ELNS1_3repE0EEENS1_38merge_mergepath_config_static_selectorELNS0_4arch9wavefront6targetE0EEEvSK_
	.globl	_ZN7rocprim17ROCPRIM_400000_NS6detail17trampoline_kernelINS0_14default_configENS1_38merge_sort_block_merge_config_selectorItNS0_10empty_typeEEEZZNS1_27merge_sort_block_merge_implIS3_N6thrust23THRUST_200600_302600_NS6detail15normal_iteratorINS9_10device_ptrItEEEEPS5_m9comp_mod3ItEEE10hipError_tT0_T1_T2_jT3_P12ihipStream_tbPNSt15iterator_traitsISJ_E10value_typeEPNSP_ISK_E10value_typeEPSL_NS1_7vsmem_tEENKUlT_SJ_SK_SL_E_clIPtSE_SF_SF_EESI_SY_SJ_SK_SL_EUlSY_E0_NS1_11comp_targetILNS1_3genE2ELNS1_11target_archE906ELNS1_3gpuE6ELNS1_3repE0EEENS1_38merge_mergepath_config_static_selectorELNS0_4arch9wavefront6targetE0EEEvSK_
	.p2align	8
	.type	_ZN7rocprim17ROCPRIM_400000_NS6detail17trampoline_kernelINS0_14default_configENS1_38merge_sort_block_merge_config_selectorItNS0_10empty_typeEEEZZNS1_27merge_sort_block_merge_implIS3_N6thrust23THRUST_200600_302600_NS6detail15normal_iteratorINS9_10device_ptrItEEEEPS5_m9comp_mod3ItEEE10hipError_tT0_T1_T2_jT3_P12ihipStream_tbPNSt15iterator_traitsISJ_E10value_typeEPNSP_ISK_E10value_typeEPSL_NS1_7vsmem_tEENKUlT_SJ_SK_SL_E_clIPtSE_SF_SF_EESI_SY_SJ_SK_SL_EUlSY_E0_NS1_11comp_targetILNS1_3genE2ELNS1_11target_archE906ELNS1_3gpuE6ELNS1_3repE0EEENS1_38merge_mergepath_config_static_selectorELNS0_4arch9wavefront6targetE0EEEvSK_,@function
_ZN7rocprim17ROCPRIM_400000_NS6detail17trampoline_kernelINS0_14default_configENS1_38merge_sort_block_merge_config_selectorItNS0_10empty_typeEEEZZNS1_27merge_sort_block_merge_implIS3_N6thrust23THRUST_200600_302600_NS6detail15normal_iteratorINS9_10device_ptrItEEEEPS5_m9comp_mod3ItEEE10hipError_tT0_T1_T2_jT3_P12ihipStream_tbPNSt15iterator_traitsISJ_E10value_typeEPNSP_ISK_E10value_typeEPSL_NS1_7vsmem_tEENKUlT_SJ_SK_SL_E_clIPtSE_SF_SF_EESI_SY_SJ_SK_SL_EUlSY_E0_NS1_11comp_targetILNS1_3genE2ELNS1_11target_archE906ELNS1_3gpuE6ELNS1_3repE0EEENS1_38merge_mergepath_config_static_selectorELNS0_4arch9wavefront6targetE0EEEvSK_: ; @_ZN7rocprim17ROCPRIM_400000_NS6detail17trampoline_kernelINS0_14default_configENS1_38merge_sort_block_merge_config_selectorItNS0_10empty_typeEEEZZNS1_27merge_sort_block_merge_implIS3_N6thrust23THRUST_200600_302600_NS6detail15normal_iteratorINS9_10device_ptrItEEEEPS5_m9comp_mod3ItEEE10hipError_tT0_T1_T2_jT3_P12ihipStream_tbPNSt15iterator_traitsISJ_E10value_typeEPNSP_ISK_E10value_typeEPSL_NS1_7vsmem_tEENKUlT_SJ_SK_SL_E_clIPtSE_SF_SF_EESI_SY_SJ_SK_SL_EUlSY_E0_NS1_11comp_targetILNS1_3genE2ELNS1_11target_archE906ELNS1_3gpuE6ELNS1_3repE0EEENS1_38merge_mergepath_config_static_selectorELNS0_4arch9wavefront6targetE0EEEvSK_
; %bb.0:
	.section	.rodata,"a",@progbits
	.p2align	6, 0x0
	.amdhsa_kernel _ZN7rocprim17ROCPRIM_400000_NS6detail17trampoline_kernelINS0_14default_configENS1_38merge_sort_block_merge_config_selectorItNS0_10empty_typeEEEZZNS1_27merge_sort_block_merge_implIS3_N6thrust23THRUST_200600_302600_NS6detail15normal_iteratorINS9_10device_ptrItEEEEPS5_m9comp_mod3ItEEE10hipError_tT0_T1_T2_jT3_P12ihipStream_tbPNSt15iterator_traitsISJ_E10value_typeEPNSP_ISK_E10value_typeEPSL_NS1_7vsmem_tEENKUlT_SJ_SK_SL_E_clIPtSE_SF_SF_EESI_SY_SJ_SK_SL_EUlSY_E0_NS1_11comp_targetILNS1_3genE2ELNS1_11target_archE906ELNS1_3gpuE6ELNS1_3repE0EEENS1_38merge_mergepath_config_static_selectorELNS0_4arch9wavefront6targetE0EEEvSK_
		.amdhsa_group_segment_fixed_size 0
		.amdhsa_private_segment_fixed_size 0
		.amdhsa_kernarg_size 80
		.amdhsa_user_sgpr_count 6
		.amdhsa_user_sgpr_private_segment_buffer 1
		.amdhsa_user_sgpr_dispatch_ptr 0
		.amdhsa_user_sgpr_queue_ptr 0
		.amdhsa_user_sgpr_kernarg_segment_ptr 1
		.amdhsa_user_sgpr_dispatch_id 0
		.amdhsa_user_sgpr_flat_scratch_init 0
		.amdhsa_user_sgpr_private_segment_size 0
		.amdhsa_wavefront_size32 1
		.amdhsa_uses_dynamic_stack 0
		.amdhsa_system_sgpr_private_segment_wavefront_offset 0
		.amdhsa_system_sgpr_workgroup_id_x 1
		.amdhsa_system_sgpr_workgroup_id_y 0
		.amdhsa_system_sgpr_workgroup_id_z 0
		.amdhsa_system_sgpr_workgroup_info 0
		.amdhsa_system_vgpr_workitem_id 0
		.amdhsa_next_free_vgpr 1
		.amdhsa_next_free_sgpr 1
		.amdhsa_reserve_vcc 0
		.amdhsa_reserve_flat_scratch 0
		.amdhsa_float_round_mode_32 0
		.amdhsa_float_round_mode_16_64 0
		.amdhsa_float_denorm_mode_32 3
		.amdhsa_float_denorm_mode_16_64 3
		.amdhsa_dx10_clamp 1
		.amdhsa_ieee_mode 1
		.amdhsa_fp16_overflow 0
		.amdhsa_workgroup_processor_mode 1
		.amdhsa_memory_ordered 1
		.amdhsa_forward_progress 1
		.amdhsa_shared_vgpr_count 0
		.amdhsa_exception_fp_ieee_invalid_op 0
		.amdhsa_exception_fp_denorm_src 0
		.amdhsa_exception_fp_ieee_div_zero 0
		.amdhsa_exception_fp_ieee_overflow 0
		.amdhsa_exception_fp_ieee_underflow 0
		.amdhsa_exception_fp_ieee_inexact 0
		.amdhsa_exception_int_div_zero 0
	.end_amdhsa_kernel
	.section	.text._ZN7rocprim17ROCPRIM_400000_NS6detail17trampoline_kernelINS0_14default_configENS1_38merge_sort_block_merge_config_selectorItNS0_10empty_typeEEEZZNS1_27merge_sort_block_merge_implIS3_N6thrust23THRUST_200600_302600_NS6detail15normal_iteratorINS9_10device_ptrItEEEEPS5_m9comp_mod3ItEEE10hipError_tT0_T1_T2_jT3_P12ihipStream_tbPNSt15iterator_traitsISJ_E10value_typeEPNSP_ISK_E10value_typeEPSL_NS1_7vsmem_tEENKUlT_SJ_SK_SL_E_clIPtSE_SF_SF_EESI_SY_SJ_SK_SL_EUlSY_E0_NS1_11comp_targetILNS1_3genE2ELNS1_11target_archE906ELNS1_3gpuE6ELNS1_3repE0EEENS1_38merge_mergepath_config_static_selectorELNS0_4arch9wavefront6targetE0EEEvSK_,"axG",@progbits,_ZN7rocprim17ROCPRIM_400000_NS6detail17trampoline_kernelINS0_14default_configENS1_38merge_sort_block_merge_config_selectorItNS0_10empty_typeEEEZZNS1_27merge_sort_block_merge_implIS3_N6thrust23THRUST_200600_302600_NS6detail15normal_iteratorINS9_10device_ptrItEEEEPS5_m9comp_mod3ItEEE10hipError_tT0_T1_T2_jT3_P12ihipStream_tbPNSt15iterator_traitsISJ_E10value_typeEPNSP_ISK_E10value_typeEPSL_NS1_7vsmem_tEENKUlT_SJ_SK_SL_E_clIPtSE_SF_SF_EESI_SY_SJ_SK_SL_EUlSY_E0_NS1_11comp_targetILNS1_3genE2ELNS1_11target_archE906ELNS1_3gpuE6ELNS1_3repE0EEENS1_38merge_mergepath_config_static_selectorELNS0_4arch9wavefront6targetE0EEEvSK_,comdat
.Lfunc_end887:
	.size	_ZN7rocprim17ROCPRIM_400000_NS6detail17trampoline_kernelINS0_14default_configENS1_38merge_sort_block_merge_config_selectorItNS0_10empty_typeEEEZZNS1_27merge_sort_block_merge_implIS3_N6thrust23THRUST_200600_302600_NS6detail15normal_iteratorINS9_10device_ptrItEEEEPS5_m9comp_mod3ItEEE10hipError_tT0_T1_T2_jT3_P12ihipStream_tbPNSt15iterator_traitsISJ_E10value_typeEPNSP_ISK_E10value_typeEPSL_NS1_7vsmem_tEENKUlT_SJ_SK_SL_E_clIPtSE_SF_SF_EESI_SY_SJ_SK_SL_EUlSY_E0_NS1_11comp_targetILNS1_3genE2ELNS1_11target_archE906ELNS1_3gpuE6ELNS1_3repE0EEENS1_38merge_mergepath_config_static_selectorELNS0_4arch9wavefront6targetE0EEEvSK_, .Lfunc_end887-_ZN7rocprim17ROCPRIM_400000_NS6detail17trampoline_kernelINS0_14default_configENS1_38merge_sort_block_merge_config_selectorItNS0_10empty_typeEEEZZNS1_27merge_sort_block_merge_implIS3_N6thrust23THRUST_200600_302600_NS6detail15normal_iteratorINS9_10device_ptrItEEEEPS5_m9comp_mod3ItEEE10hipError_tT0_T1_T2_jT3_P12ihipStream_tbPNSt15iterator_traitsISJ_E10value_typeEPNSP_ISK_E10value_typeEPSL_NS1_7vsmem_tEENKUlT_SJ_SK_SL_E_clIPtSE_SF_SF_EESI_SY_SJ_SK_SL_EUlSY_E0_NS1_11comp_targetILNS1_3genE2ELNS1_11target_archE906ELNS1_3gpuE6ELNS1_3repE0EEENS1_38merge_mergepath_config_static_selectorELNS0_4arch9wavefront6targetE0EEEvSK_
                                        ; -- End function
	.set _ZN7rocprim17ROCPRIM_400000_NS6detail17trampoline_kernelINS0_14default_configENS1_38merge_sort_block_merge_config_selectorItNS0_10empty_typeEEEZZNS1_27merge_sort_block_merge_implIS3_N6thrust23THRUST_200600_302600_NS6detail15normal_iteratorINS9_10device_ptrItEEEEPS5_m9comp_mod3ItEEE10hipError_tT0_T1_T2_jT3_P12ihipStream_tbPNSt15iterator_traitsISJ_E10value_typeEPNSP_ISK_E10value_typeEPSL_NS1_7vsmem_tEENKUlT_SJ_SK_SL_E_clIPtSE_SF_SF_EESI_SY_SJ_SK_SL_EUlSY_E0_NS1_11comp_targetILNS1_3genE2ELNS1_11target_archE906ELNS1_3gpuE6ELNS1_3repE0EEENS1_38merge_mergepath_config_static_selectorELNS0_4arch9wavefront6targetE0EEEvSK_.num_vgpr, 0
	.set _ZN7rocprim17ROCPRIM_400000_NS6detail17trampoline_kernelINS0_14default_configENS1_38merge_sort_block_merge_config_selectorItNS0_10empty_typeEEEZZNS1_27merge_sort_block_merge_implIS3_N6thrust23THRUST_200600_302600_NS6detail15normal_iteratorINS9_10device_ptrItEEEEPS5_m9comp_mod3ItEEE10hipError_tT0_T1_T2_jT3_P12ihipStream_tbPNSt15iterator_traitsISJ_E10value_typeEPNSP_ISK_E10value_typeEPSL_NS1_7vsmem_tEENKUlT_SJ_SK_SL_E_clIPtSE_SF_SF_EESI_SY_SJ_SK_SL_EUlSY_E0_NS1_11comp_targetILNS1_3genE2ELNS1_11target_archE906ELNS1_3gpuE6ELNS1_3repE0EEENS1_38merge_mergepath_config_static_selectorELNS0_4arch9wavefront6targetE0EEEvSK_.num_agpr, 0
	.set _ZN7rocprim17ROCPRIM_400000_NS6detail17trampoline_kernelINS0_14default_configENS1_38merge_sort_block_merge_config_selectorItNS0_10empty_typeEEEZZNS1_27merge_sort_block_merge_implIS3_N6thrust23THRUST_200600_302600_NS6detail15normal_iteratorINS9_10device_ptrItEEEEPS5_m9comp_mod3ItEEE10hipError_tT0_T1_T2_jT3_P12ihipStream_tbPNSt15iterator_traitsISJ_E10value_typeEPNSP_ISK_E10value_typeEPSL_NS1_7vsmem_tEENKUlT_SJ_SK_SL_E_clIPtSE_SF_SF_EESI_SY_SJ_SK_SL_EUlSY_E0_NS1_11comp_targetILNS1_3genE2ELNS1_11target_archE906ELNS1_3gpuE6ELNS1_3repE0EEENS1_38merge_mergepath_config_static_selectorELNS0_4arch9wavefront6targetE0EEEvSK_.numbered_sgpr, 0
	.set _ZN7rocprim17ROCPRIM_400000_NS6detail17trampoline_kernelINS0_14default_configENS1_38merge_sort_block_merge_config_selectorItNS0_10empty_typeEEEZZNS1_27merge_sort_block_merge_implIS3_N6thrust23THRUST_200600_302600_NS6detail15normal_iteratorINS9_10device_ptrItEEEEPS5_m9comp_mod3ItEEE10hipError_tT0_T1_T2_jT3_P12ihipStream_tbPNSt15iterator_traitsISJ_E10value_typeEPNSP_ISK_E10value_typeEPSL_NS1_7vsmem_tEENKUlT_SJ_SK_SL_E_clIPtSE_SF_SF_EESI_SY_SJ_SK_SL_EUlSY_E0_NS1_11comp_targetILNS1_3genE2ELNS1_11target_archE906ELNS1_3gpuE6ELNS1_3repE0EEENS1_38merge_mergepath_config_static_selectorELNS0_4arch9wavefront6targetE0EEEvSK_.num_named_barrier, 0
	.set _ZN7rocprim17ROCPRIM_400000_NS6detail17trampoline_kernelINS0_14default_configENS1_38merge_sort_block_merge_config_selectorItNS0_10empty_typeEEEZZNS1_27merge_sort_block_merge_implIS3_N6thrust23THRUST_200600_302600_NS6detail15normal_iteratorINS9_10device_ptrItEEEEPS5_m9comp_mod3ItEEE10hipError_tT0_T1_T2_jT3_P12ihipStream_tbPNSt15iterator_traitsISJ_E10value_typeEPNSP_ISK_E10value_typeEPSL_NS1_7vsmem_tEENKUlT_SJ_SK_SL_E_clIPtSE_SF_SF_EESI_SY_SJ_SK_SL_EUlSY_E0_NS1_11comp_targetILNS1_3genE2ELNS1_11target_archE906ELNS1_3gpuE6ELNS1_3repE0EEENS1_38merge_mergepath_config_static_selectorELNS0_4arch9wavefront6targetE0EEEvSK_.private_seg_size, 0
	.set _ZN7rocprim17ROCPRIM_400000_NS6detail17trampoline_kernelINS0_14default_configENS1_38merge_sort_block_merge_config_selectorItNS0_10empty_typeEEEZZNS1_27merge_sort_block_merge_implIS3_N6thrust23THRUST_200600_302600_NS6detail15normal_iteratorINS9_10device_ptrItEEEEPS5_m9comp_mod3ItEEE10hipError_tT0_T1_T2_jT3_P12ihipStream_tbPNSt15iterator_traitsISJ_E10value_typeEPNSP_ISK_E10value_typeEPSL_NS1_7vsmem_tEENKUlT_SJ_SK_SL_E_clIPtSE_SF_SF_EESI_SY_SJ_SK_SL_EUlSY_E0_NS1_11comp_targetILNS1_3genE2ELNS1_11target_archE906ELNS1_3gpuE6ELNS1_3repE0EEENS1_38merge_mergepath_config_static_selectorELNS0_4arch9wavefront6targetE0EEEvSK_.uses_vcc, 0
	.set _ZN7rocprim17ROCPRIM_400000_NS6detail17trampoline_kernelINS0_14default_configENS1_38merge_sort_block_merge_config_selectorItNS0_10empty_typeEEEZZNS1_27merge_sort_block_merge_implIS3_N6thrust23THRUST_200600_302600_NS6detail15normal_iteratorINS9_10device_ptrItEEEEPS5_m9comp_mod3ItEEE10hipError_tT0_T1_T2_jT3_P12ihipStream_tbPNSt15iterator_traitsISJ_E10value_typeEPNSP_ISK_E10value_typeEPSL_NS1_7vsmem_tEENKUlT_SJ_SK_SL_E_clIPtSE_SF_SF_EESI_SY_SJ_SK_SL_EUlSY_E0_NS1_11comp_targetILNS1_3genE2ELNS1_11target_archE906ELNS1_3gpuE6ELNS1_3repE0EEENS1_38merge_mergepath_config_static_selectorELNS0_4arch9wavefront6targetE0EEEvSK_.uses_flat_scratch, 0
	.set _ZN7rocprim17ROCPRIM_400000_NS6detail17trampoline_kernelINS0_14default_configENS1_38merge_sort_block_merge_config_selectorItNS0_10empty_typeEEEZZNS1_27merge_sort_block_merge_implIS3_N6thrust23THRUST_200600_302600_NS6detail15normal_iteratorINS9_10device_ptrItEEEEPS5_m9comp_mod3ItEEE10hipError_tT0_T1_T2_jT3_P12ihipStream_tbPNSt15iterator_traitsISJ_E10value_typeEPNSP_ISK_E10value_typeEPSL_NS1_7vsmem_tEENKUlT_SJ_SK_SL_E_clIPtSE_SF_SF_EESI_SY_SJ_SK_SL_EUlSY_E0_NS1_11comp_targetILNS1_3genE2ELNS1_11target_archE906ELNS1_3gpuE6ELNS1_3repE0EEENS1_38merge_mergepath_config_static_selectorELNS0_4arch9wavefront6targetE0EEEvSK_.has_dyn_sized_stack, 0
	.set _ZN7rocprim17ROCPRIM_400000_NS6detail17trampoline_kernelINS0_14default_configENS1_38merge_sort_block_merge_config_selectorItNS0_10empty_typeEEEZZNS1_27merge_sort_block_merge_implIS3_N6thrust23THRUST_200600_302600_NS6detail15normal_iteratorINS9_10device_ptrItEEEEPS5_m9comp_mod3ItEEE10hipError_tT0_T1_T2_jT3_P12ihipStream_tbPNSt15iterator_traitsISJ_E10value_typeEPNSP_ISK_E10value_typeEPSL_NS1_7vsmem_tEENKUlT_SJ_SK_SL_E_clIPtSE_SF_SF_EESI_SY_SJ_SK_SL_EUlSY_E0_NS1_11comp_targetILNS1_3genE2ELNS1_11target_archE906ELNS1_3gpuE6ELNS1_3repE0EEENS1_38merge_mergepath_config_static_selectorELNS0_4arch9wavefront6targetE0EEEvSK_.has_recursion, 0
	.set _ZN7rocprim17ROCPRIM_400000_NS6detail17trampoline_kernelINS0_14default_configENS1_38merge_sort_block_merge_config_selectorItNS0_10empty_typeEEEZZNS1_27merge_sort_block_merge_implIS3_N6thrust23THRUST_200600_302600_NS6detail15normal_iteratorINS9_10device_ptrItEEEEPS5_m9comp_mod3ItEEE10hipError_tT0_T1_T2_jT3_P12ihipStream_tbPNSt15iterator_traitsISJ_E10value_typeEPNSP_ISK_E10value_typeEPSL_NS1_7vsmem_tEENKUlT_SJ_SK_SL_E_clIPtSE_SF_SF_EESI_SY_SJ_SK_SL_EUlSY_E0_NS1_11comp_targetILNS1_3genE2ELNS1_11target_archE906ELNS1_3gpuE6ELNS1_3repE0EEENS1_38merge_mergepath_config_static_selectorELNS0_4arch9wavefront6targetE0EEEvSK_.has_indirect_call, 0
	.section	.AMDGPU.csdata,"",@progbits
; Kernel info:
; codeLenInByte = 0
; TotalNumSgprs: 0
; NumVgprs: 0
; ScratchSize: 0
; MemoryBound: 0
; FloatMode: 240
; IeeeMode: 1
; LDSByteSize: 0 bytes/workgroup (compile time only)
; SGPRBlocks: 0
; VGPRBlocks: 0
; NumSGPRsForWavesPerEU: 1
; NumVGPRsForWavesPerEU: 1
; Occupancy: 16
; WaveLimiterHint : 0
; COMPUTE_PGM_RSRC2:SCRATCH_EN: 0
; COMPUTE_PGM_RSRC2:USER_SGPR: 6
; COMPUTE_PGM_RSRC2:TRAP_HANDLER: 0
; COMPUTE_PGM_RSRC2:TGID_X_EN: 1
; COMPUTE_PGM_RSRC2:TGID_Y_EN: 0
; COMPUTE_PGM_RSRC2:TGID_Z_EN: 0
; COMPUTE_PGM_RSRC2:TIDIG_COMP_CNT: 0
	.section	.text._ZN7rocprim17ROCPRIM_400000_NS6detail17trampoline_kernelINS0_14default_configENS1_38merge_sort_block_merge_config_selectorItNS0_10empty_typeEEEZZNS1_27merge_sort_block_merge_implIS3_N6thrust23THRUST_200600_302600_NS6detail15normal_iteratorINS9_10device_ptrItEEEEPS5_m9comp_mod3ItEEE10hipError_tT0_T1_T2_jT3_P12ihipStream_tbPNSt15iterator_traitsISJ_E10value_typeEPNSP_ISK_E10value_typeEPSL_NS1_7vsmem_tEENKUlT_SJ_SK_SL_E_clIPtSE_SF_SF_EESI_SY_SJ_SK_SL_EUlSY_E0_NS1_11comp_targetILNS1_3genE9ELNS1_11target_archE1100ELNS1_3gpuE3ELNS1_3repE0EEENS1_38merge_mergepath_config_static_selectorELNS0_4arch9wavefront6targetE0EEEvSK_,"axG",@progbits,_ZN7rocprim17ROCPRIM_400000_NS6detail17trampoline_kernelINS0_14default_configENS1_38merge_sort_block_merge_config_selectorItNS0_10empty_typeEEEZZNS1_27merge_sort_block_merge_implIS3_N6thrust23THRUST_200600_302600_NS6detail15normal_iteratorINS9_10device_ptrItEEEEPS5_m9comp_mod3ItEEE10hipError_tT0_T1_T2_jT3_P12ihipStream_tbPNSt15iterator_traitsISJ_E10value_typeEPNSP_ISK_E10value_typeEPSL_NS1_7vsmem_tEENKUlT_SJ_SK_SL_E_clIPtSE_SF_SF_EESI_SY_SJ_SK_SL_EUlSY_E0_NS1_11comp_targetILNS1_3genE9ELNS1_11target_archE1100ELNS1_3gpuE3ELNS1_3repE0EEENS1_38merge_mergepath_config_static_selectorELNS0_4arch9wavefront6targetE0EEEvSK_,comdat
	.protected	_ZN7rocprim17ROCPRIM_400000_NS6detail17trampoline_kernelINS0_14default_configENS1_38merge_sort_block_merge_config_selectorItNS0_10empty_typeEEEZZNS1_27merge_sort_block_merge_implIS3_N6thrust23THRUST_200600_302600_NS6detail15normal_iteratorINS9_10device_ptrItEEEEPS5_m9comp_mod3ItEEE10hipError_tT0_T1_T2_jT3_P12ihipStream_tbPNSt15iterator_traitsISJ_E10value_typeEPNSP_ISK_E10value_typeEPSL_NS1_7vsmem_tEENKUlT_SJ_SK_SL_E_clIPtSE_SF_SF_EESI_SY_SJ_SK_SL_EUlSY_E0_NS1_11comp_targetILNS1_3genE9ELNS1_11target_archE1100ELNS1_3gpuE3ELNS1_3repE0EEENS1_38merge_mergepath_config_static_selectorELNS0_4arch9wavefront6targetE0EEEvSK_ ; -- Begin function _ZN7rocprim17ROCPRIM_400000_NS6detail17trampoline_kernelINS0_14default_configENS1_38merge_sort_block_merge_config_selectorItNS0_10empty_typeEEEZZNS1_27merge_sort_block_merge_implIS3_N6thrust23THRUST_200600_302600_NS6detail15normal_iteratorINS9_10device_ptrItEEEEPS5_m9comp_mod3ItEEE10hipError_tT0_T1_T2_jT3_P12ihipStream_tbPNSt15iterator_traitsISJ_E10value_typeEPNSP_ISK_E10value_typeEPSL_NS1_7vsmem_tEENKUlT_SJ_SK_SL_E_clIPtSE_SF_SF_EESI_SY_SJ_SK_SL_EUlSY_E0_NS1_11comp_targetILNS1_3genE9ELNS1_11target_archE1100ELNS1_3gpuE3ELNS1_3repE0EEENS1_38merge_mergepath_config_static_selectorELNS0_4arch9wavefront6targetE0EEEvSK_
	.globl	_ZN7rocprim17ROCPRIM_400000_NS6detail17trampoline_kernelINS0_14default_configENS1_38merge_sort_block_merge_config_selectorItNS0_10empty_typeEEEZZNS1_27merge_sort_block_merge_implIS3_N6thrust23THRUST_200600_302600_NS6detail15normal_iteratorINS9_10device_ptrItEEEEPS5_m9comp_mod3ItEEE10hipError_tT0_T1_T2_jT3_P12ihipStream_tbPNSt15iterator_traitsISJ_E10value_typeEPNSP_ISK_E10value_typeEPSL_NS1_7vsmem_tEENKUlT_SJ_SK_SL_E_clIPtSE_SF_SF_EESI_SY_SJ_SK_SL_EUlSY_E0_NS1_11comp_targetILNS1_3genE9ELNS1_11target_archE1100ELNS1_3gpuE3ELNS1_3repE0EEENS1_38merge_mergepath_config_static_selectorELNS0_4arch9wavefront6targetE0EEEvSK_
	.p2align	8
	.type	_ZN7rocprim17ROCPRIM_400000_NS6detail17trampoline_kernelINS0_14default_configENS1_38merge_sort_block_merge_config_selectorItNS0_10empty_typeEEEZZNS1_27merge_sort_block_merge_implIS3_N6thrust23THRUST_200600_302600_NS6detail15normal_iteratorINS9_10device_ptrItEEEEPS5_m9comp_mod3ItEEE10hipError_tT0_T1_T2_jT3_P12ihipStream_tbPNSt15iterator_traitsISJ_E10value_typeEPNSP_ISK_E10value_typeEPSL_NS1_7vsmem_tEENKUlT_SJ_SK_SL_E_clIPtSE_SF_SF_EESI_SY_SJ_SK_SL_EUlSY_E0_NS1_11comp_targetILNS1_3genE9ELNS1_11target_archE1100ELNS1_3gpuE3ELNS1_3repE0EEENS1_38merge_mergepath_config_static_selectorELNS0_4arch9wavefront6targetE0EEEvSK_,@function
_ZN7rocprim17ROCPRIM_400000_NS6detail17trampoline_kernelINS0_14default_configENS1_38merge_sort_block_merge_config_selectorItNS0_10empty_typeEEEZZNS1_27merge_sort_block_merge_implIS3_N6thrust23THRUST_200600_302600_NS6detail15normal_iteratorINS9_10device_ptrItEEEEPS5_m9comp_mod3ItEEE10hipError_tT0_T1_T2_jT3_P12ihipStream_tbPNSt15iterator_traitsISJ_E10value_typeEPNSP_ISK_E10value_typeEPSL_NS1_7vsmem_tEENKUlT_SJ_SK_SL_E_clIPtSE_SF_SF_EESI_SY_SJ_SK_SL_EUlSY_E0_NS1_11comp_targetILNS1_3genE9ELNS1_11target_archE1100ELNS1_3gpuE3ELNS1_3repE0EEENS1_38merge_mergepath_config_static_selectorELNS0_4arch9wavefront6targetE0EEEvSK_: ; @_ZN7rocprim17ROCPRIM_400000_NS6detail17trampoline_kernelINS0_14default_configENS1_38merge_sort_block_merge_config_selectorItNS0_10empty_typeEEEZZNS1_27merge_sort_block_merge_implIS3_N6thrust23THRUST_200600_302600_NS6detail15normal_iteratorINS9_10device_ptrItEEEEPS5_m9comp_mod3ItEEE10hipError_tT0_T1_T2_jT3_P12ihipStream_tbPNSt15iterator_traitsISJ_E10value_typeEPNSP_ISK_E10value_typeEPSL_NS1_7vsmem_tEENKUlT_SJ_SK_SL_E_clIPtSE_SF_SF_EESI_SY_SJ_SK_SL_EUlSY_E0_NS1_11comp_targetILNS1_3genE9ELNS1_11target_archE1100ELNS1_3gpuE3ELNS1_3repE0EEENS1_38merge_mergepath_config_static_selectorELNS0_4arch9wavefront6targetE0EEEvSK_
; %bb.0:
	.section	.rodata,"a",@progbits
	.p2align	6, 0x0
	.amdhsa_kernel _ZN7rocprim17ROCPRIM_400000_NS6detail17trampoline_kernelINS0_14default_configENS1_38merge_sort_block_merge_config_selectorItNS0_10empty_typeEEEZZNS1_27merge_sort_block_merge_implIS3_N6thrust23THRUST_200600_302600_NS6detail15normal_iteratorINS9_10device_ptrItEEEEPS5_m9comp_mod3ItEEE10hipError_tT0_T1_T2_jT3_P12ihipStream_tbPNSt15iterator_traitsISJ_E10value_typeEPNSP_ISK_E10value_typeEPSL_NS1_7vsmem_tEENKUlT_SJ_SK_SL_E_clIPtSE_SF_SF_EESI_SY_SJ_SK_SL_EUlSY_E0_NS1_11comp_targetILNS1_3genE9ELNS1_11target_archE1100ELNS1_3gpuE3ELNS1_3repE0EEENS1_38merge_mergepath_config_static_selectorELNS0_4arch9wavefront6targetE0EEEvSK_
		.amdhsa_group_segment_fixed_size 0
		.amdhsa_private_segment_fixed_size 0
		.amdhsa_kernarg_size 80
		.amdhsa_user_sgpr_count 6
		.amdhsa_user_sgpr_private_segment_buffer 1
		.amdhsa_user_sgpr_dispatch_ptr 0
		.amdhsa_user_sgpr_queue_ptr 0
		.amdhsa_user_sgpr_kernarg_segment_ptr 1
		.amdhsa_user_sgpr_dispatch_id 0
		.amdhsa_user_sgpr_flat_scratch_init 0
		.amdhsa_user_sgpr_private_segment_size 0
		.amdhsa_wavefront_size32 1
		.amdhsa_uses_dynamic_stack 0
		.amdhsa_system_sgpr_private_segment_wavefront_offset 0
		.amdhsa_system_sgpr_workgroup_id_x 1
		.amdhsa_system_sgpr_workgroup_id_y 0
		.amdhsa_system_sgpr_workgroup_id_z 0
		.amdhsa_system_sgpr_workgroup_info 0
		.amdhsa_system_vgpr_workitem_id 0
		.amdhsa_next_free_vgpr 1
		.amdhsa_next_free_sgpr 1
		.amdhsa_reserve_vcc 0
		.amdhsa_reserve_flat_scratch 0
		.amdhsa_float_round_mode_32 0
		.amdhsa_float_round_mode_16_64 0
		.amdhsa_float_denorm_mode_32 3
		.amdhsa_float_denorm_mode_16_64 3
		.amdhsa_dx10_clamp 1
		.amdhsa_ieee_mode 1
		.amdhsa_fp16_overflow 0
		.amdhsa_workgroup_processor_mode 1
		.amdhsa_memory_ordered 1
		.amdhsa_forward_progress 1
		.amdhsa_shared_vgpr_count 0
		.amdhsa_exception_fp_ieee_invalid_op 0
		.amdhsa_exception_fp_denorm_src 0
		.amdhsa_exception_fp_ieee_div_zero 0
		.amdhsa_exception_fp_ieee_overflow 0
		.amdhsa_exception_fp_ieee_underflow 0
		.amdhsa_exception_fp_ieee_inexact 0
		.amdhsa_exception_int_div_zero 0
	.end_amdhsa_kernel
	.section	.text._ZN7rocprim17ROCPRIM_400000_NS6detail17trampoline_kernelINS0_14default_configENS1_38merge_sort_block_merge_config_selectorItNS0_10empty_typeEEEZZNS1_27merge_sort_block_merge_implIS3_N6thrust23THRUST_200600_302600_NS6detail15normal_iteratorINS9_10device_ptrItEEEEPS5_m9comp_mod3ItEEE10hipError_tT0_T1_T2_jT3_P12ihipStream_tbPNSt15iterator_traitsISJ_E10value_typeEPNSP_ISK_E10value_typeEPSL_NS1_7vsmem_tEENKUlT_SJ_SK_SL_E_clIPtSE_SF_SF_EESI_SY_SJ_SK_SL_EUlSY_E0_NS1_11comp_targetILNS1_3genE9ELNS1_11target_archE1100ELNS1_3gpuE3ELNS1_3repE0EEENS1_38merge_mergepath_config_static_selectorELNS0_4arch9wavefront6targetE0EEEvSK_,"axG",@progbits,_ZN7rocprim17ROCPRIM_400000_NS6detail17trampoline_kernelINS0_14default_configENS1_38merge_sort_block_merge_config_selectorItNS0_10empty_typeEEEZZNS1_27merge_sort_block_merge_implIS3_N6thrust23THRUST_200600_302600_NS6detail15normal_iteratorINS9_10device_ptrItEEEEPS5_m9comp_mod3ItEEE10hipError_tT0_T1_T2_jT3_P12ihipStream_tbPNSt15iterator_traitsISJ_E10value_typeEPNSP_ISK_E10value_typeEPSL_NS1_7vsmem_tEENKUlT_SJ_SK_SL_E_clIPtSE_SF_SF_EESI_SY_SJ_SK_SL_EUlSY_E0_NS1_11comp_targetILNS1_3genE9ELNS1_11target_archE1100ELNS1_3gpuE3ELNS1_3repE0EEENS1_38merge_mergepath_config_static_selectorELNS0_4arch9wavefront6targetE0EEEvSK_,comdat
.Lfunc_end888:
	.size	_ZN7rocprim17ROCPRIM_400000_NS6detail17trampoline_kernelINS0_14default_configENS1_38merge_sort_block_merge_config_selectorItNS0_10empty_typeEEEZZNS1_27merge_sort_block_merge_implIS3_N6thrust23THRUST_200600_302600_NS6detail15normal_iteratorINS9_10device_ptrItEEEEPS5_m9comp_mod3ItEEE10hipError_tT0_T1_T2_jT3_P12ihipStream_tbPNSt15iterator_traitsISJ_E10value_typeEPNSP_ISK_E10value_typeEPSL_NS1_7vsmem_tEENKUlT_SJ_SK_SL_E_clIPtSE_SF_SF_EESI_SY_SJ_SK_SL_EUlSY_E0_NS1_11comp_targetILNS1_3genE9ELNS1_11target_archE1100ELNS1_3gpuE3ELNS1_3repE0EEENS1_38merge_mergepath_config_static_selectorELNS0_4arch9wavefront6targetE0EEEvSK_, .Lfunc_end888-_ZN7rocprim17ROCPRIM_400000_NS6detail17trampoline_kernelINS0_14default_configENS1_38merge_sort_block_merge_config_selectorItNS0_10empty_typeEEEZZNS1_27merge_sort_block_merge_implIS3_N6thrust23THRUST_200600_302600_NS6detail15normal_iteratorINS9_10device_ptrItEEEEPS5_m9comp_mod3ItEEE10hipError_tT0_T1_T2_jT3_P12ihipStream_tbPNSt15iterator_traitsISJ_E10value_typeEPNSP_ISK_E10value_typeEPSL_NS1_7vsmem_tEENKUlT_SJ_SK_SL_E_clIPtSE_SF_SF_EESI_SY_SJ_SK_SL_EUlSY_E0_NS1_11comp_targetILNS1_3genE9ELNS1_11target_archE1100ELNS1_3gpuE3ELNS1_3repE0EEENS1_38merge_mergepath_config_static_selectorELNS0_4arch9wavefront6targetE0EEEvSK_
                                        ; -- End function
	.set _ZN7rocprim17ROCPRIM_400000_NS6detail17trampoline_kernelINS0_14default_configENS1_38merge_sort_block_merge_config_selectorItNS0_10empty_typeEEEZZNS1_27merge_sort_block_merge_implIS3_N6thrust23THRUST_200600_302600_NS6detail15normal_iteratorINS9_10device_ptrItEEEEPS5_m9comp_mod3ItEEE10hipError_tT0_T1_T2_jT3_P12ihipStream_tbPNSt15iterator_traitsISJ_E10value_typeEPNSP_ISK_E10value_typeEPSL_NS1_7vsmem_tEENKUlT_SJ_SK_SL_E_clIPtSE_SF_SF_EESI_SY_SJ_SK_SL_EUlSY_E0_NS1_11comp_targetILNS1_3genE9ELNS1_11target_archE1100ELNS1_3gpuE3ELNS1_3repE0EEENS1_38merge_mergepath_config_static_selectorELNS0_4arch9wavefront6targetE0EEEvSK_.num_vgpr, 0
	.set _ZN7rocprim17ROCPRIM_400000_NS6detail17trampoline_kernelINS0_14default_configENS1_38merge_sort_block_merge_config_selectorItNS0_10empty_typeEEEZZNS1_27merge_sort_block_merge_implIS3_N6thrust23THRUST_200600_302600_NS6detail15normal_iteratorINS9_10device_ptrItEEEEPS5_m9comp_mod3ItEEE10hipError_tT0_T1_T2_jT3_P12ihipStream_tbPNSt15iterator_traitsISJ_E10value_typeEPNSP_ISK_E10value_typeEPSL_NS1_7vsmem_tEENKUlT_SJ_SK_SL_E_clIPtSE_SF_SF_EESI_SY_SJ_SK_SL_EUlSY_E0_NS1_11comp_targetILNS1_3genE9ELNS1_11target_archE1100ELNS1_3gpuE3ELNS1_3repE0EEENS1_38merge_mergepath_config_static_selectorELNS0_4arch9wavefront6targetE0EEEvSK_.num_agpr, 0
	.set _ZN7rocprim17ROCPRIM_400000_NS6detail17trampoline_kernelINS0_14default_configENS1_38merge_sort_block_merge_config_selectorItNS0_10empty_typeEEEZZNS1_27merge_sort_block_merge_implIS3_N6thrust23THRUST_200600_302600_NS6detail15normal_iteratorINS9_10device_ptrItEEEEPS5_m9comp_mod3ItEEE10hipError_tT0_T1_T2_jT3_P12ihipStream_tbPNSt15iterator_traitsISJ_E10value_typeEPNSP_ISK_E10value_typeEPSL_NS1_7vsmem_tEENKUlT_SJ_SK_SL_E_clIPtSE_SF_SF_EESI_SY_SJ_SK_SL_EUlSY_E0_NS1_11comp_targetILNS1_3genE9ELNS1_11target_archE1100ELNS1_3gpuE3ELNS1_3repE0EEENS1_38merge_mergepath_config_static_selectorELNS0_4arch9wavefront6targetE0EEEvSK_.numbered_sgpr, 0
	.set _ZN7rocprim17ROCPRIM_400000_NS6detail17trampoline_kernelINS0_14default_configENS1_38merge_sort_block_merge_config_selectorItNS0_10empty_typeEEEZZNS1_27merge_sort_block_merge_implIS3_N6thrust23THRUST_200600_302600_NS6detail15normal_iteratorINS9_10device_ptrItEEEEPS5_m9comp_mod3ItEEE10hipError_tT0_T1_T2_jT3_P12ihipStream_tbPNSt15iterator_traitsISJ_E10value_typeEPNSP_ISK_E10value_typeEPSL_NS1_7vsmem_tEENKUlT_SJ_SK_SL_E_clIPtSE_SF_SF_EESI_SY_SJ_SK_SL_EUlSY_E0_NS1_11comp_targetILNS1_3genE9ELNS1_11target_archE1100ELNS1_3gpuE3ELNS1_3repE0EEENS1_38merge_mergepath_config_static_selectorELNS0_4arch9wavefront6targetE0EEEvSK_.num_named_barrier, 0
	.set _ZN7rocprim17ROCPRIM_400000_NS6detail17trampoline_kernelINS0_14default_configENS1_38merge_sort_block_merge_config_selectorItNS0_10empty_typeEEEZZNS1_27merge_sort_block_merge_implIS3_N6thrust23THRUST_200600_302600_NS6detail15normal_iteratorINS9_10device_ptrItEEEEPS5_m9comp_mod3ItEEE10hipError_tT0_T1_T2_jT3_P12ihipStream_tbPNSt15iterator_traitsISJ_E10value_typeEPNSP_ISK_E10value_typeEPSL_NS1_7vsmem_tEENKUlT_SJ_SK_SL_E_clIPtSE_SF_SF_EESI_SY_SJ_SK_SL_EUlSY_E0_NS1_11comp_targetILNS1_3genE9ELNS1_11target_archE1100ELNS1_3gpuE3ELNS1_3repE0EEENS1_38merge_mergepath_config_static_selectorELNS0_4arch9wavefront6targetE0EEEvSK_.private_seg_size, 0
	.set _ZN7rocprim17ROCPRIM_400000_NS6detail17trampoline_kernelINS0_14default_configENS1_38merge_sort_block_merge_config_selectorItNS0_10empty_typeEEEZZNS1_27merge_sort_block_merge_implIS3_N6thrust23THRUST_200600_302600_NS6detail15normal_iteratorINS9_10device_ptrItEEEEPS5_m9comp_mod3ItEEE10hipError_tT0_T1_T2_jT3_P12ihipStream_tbPNSt15iterator_traitsISJ_E10value_typeEPNSP_ISK_E10value_typeEPSL_NS1_7vsmem_tEENKUlT_SJ_SK_SL_E_clIPtSE_SF_SF_EESI_SY_SJ_SK_SL_EUlSY_E0_NS1_11comp_targetILNS1_3genE9ELNS1_11target_archE1100ELNS1_3gpuE3ELNS1_3repE0EEENS1_38merge_mergepath_config_static_selectorELNS0_4arch9wavefront6targetE0EEEvSK_.uses_vcc, 0
	.set _ZN7rocprim17ROCPRIM_400000_NS6detail17trampoline_kernelINS0_14default_configENS1_38merge_sort_block_merge_config_selectorItNS0_10empty_typeEEEZZNS1_27merge_sort_block_merge_implIS3_N6thrust23THRUST_200600_302600_NS6detail15normal_iteratorINS9_10device_ptrItEEEEPS5_m9comp_mod3ItEEE10hipError_tT0_T1_T2_jT3_P12ihipStream_tbPNSt15iterator_traitsISJ_E10value_typeEPNSP_ISK_E10value_typeEPSL_NS1_7vsmem_tEENKUlT_SJ_SK_SL_E_clIPtSE_SF_SF_EESI_SY_SJ_SK_SL_EUlSY_E0_NS1_11comp_targetILNS1_3genE9ELNS1_11target_archE1100ELNS1_3gpuE3ELNS1_3repE0EEENS1_38merge_mergepath_config_static_selectorELNS0_4arch9wavefront6targetE0EEEvSK_.uses_flat_scratch, 0
	.set _ZN7rocprim17ROCPRIM_400000_NS6detail17trampoline_kernelINS0_14default_configENS1_38merge_sort_block_merge_config_selectorItNS0_10empty_typeEEEZZNS1_27merge_sort_block_merge_implIS3_N6thrust23THRUST_200600_302600_NS6detail15normal_iteratorINS9_10device_ptrItEEEEPS5_m9comp_mod3ItEEE10hipError_tT0_T1_T2_jT3_P12ihipStream_tbPNSt15iterator_traitsISJ_E10value_typeEPNSP_ISK_E10value_typeEPSL_NS1_7vsmem_tEENKUlT_SJ_SK_SL_E_clIPtSE_SF_SF_EESI_SY_SJ_SK_SL_EUlSY_E0_NS1_11comp_targetILNS1_3genE9ELNS1_11target_archE1100ELNS1_3gpuE3ELNS1_3repE0EEENS1_38merge_mergepath_config_static_selectorELNS0_4arch9wavefront6targetE0EEEvSK_.has_dyn_sized_stack, 0
	.set _ZN7rocprim17ROCPRIM_400000_NS6detail17trampoline_kernelINS0_14default_configENS1_38merge_sort_block_merge_config_selectorItNS0_10empty_typeEEEZZNS1_27merge_sort_block_merge_implIS3_N6thrust23THRUST_200600_302600_NS6detail15normal_iteratorINS9_10device_ptrItEEEEPS5_m9comp_mod3ItEEE10hipError_tT0_T1_T2_jT3_P12ihipStream_tbPNSt15iterator_traitsISJ_E10value_typeEPNSP_ISK_E10value_typeEPSL_NS1_7vsmem_tEENKUlT_SJ_SK_SL_E_clIPtSE_SF_SF_EESI_SY_SJ_SK_SL_EUlSY_E0_NS1_11comp_targetILNS1_3genE9ELNS1_11target_archE1100ELNS1_3gpuE3ELNS1_3repE0EEENS1_38merge_mergepath_config_static_selectorELNS0_4arch9wavefront6targetE0EEEvSK_.has_recursion, 0
	.set _ZN7rocprim17ROCPRIM_400000_NS6detail17trampoline_kernelINS0_14default_configENS1_38merge_sort_block_merge_config_selectorItNS0_10empty_typeEEEZZNS1_27merge_sort_block_merge_implIS3_N6thrust23THRUST_200600_302600_NS6detail15normal_iteratorINS9_10device_ptrItEEEEPS5_m9comp_mod3ItEEE10hipError_tT0_T1_T2_jT3_P12ihipStream_tbPNSt15iterator_traitsISJ_E10value_typeEPNSP_ISK_E10value_typeEPSL_NS1_7vsmem_tEENKUlT_SJ_SK_SL_E_clIPtSE_SF_SF_EESI_SY_SJ_SK_SL_EUlSY_E0_NS1_11comp_targetILNS1_3genE9ELNS1_11target_archE1100ELNS1_3gpuE3ELNS1_3repE0EEENS1_38merge_mergepath_config_static_selectorELNS0_4arch9wavefront6targetE0EEEvSK_.has_indirect_call, 0
	.section	.AMDGPU.csdata,"",@progbits
; Kernel info:
; codeLenInByte = 0
; TotalNumSgprs: 0
; NumVgprs: 0
; ScratchSize: 0
; MemoryBound: 0
; FloatMode: 240
; IeeeMode: 1
; LDSByteSize: 0 bytes/workgroup (compile time only)
; SGPRBlocks: 0
; VGPRBlocks: 0
; NumSGPRsForWavesPerEU: 1
; NumVGPRsForWavesPerEU: 1
; Occupancy: 16
; WaveLimiterHint : 0
; COMPUTE_PGM_RSRC2:SCRATCH_EN: 0
; COMPUTE_PGM_RSRC2:USER_SGPR: 6
; COMPUTE_PGM_RSRC2:TRAP_HANDLER: 0
; COMPUTE_PGM_RSRC2:TGID_X_EN: 1
; COMPUTE_PGM_RSRC2:TGID_Y_EN: 0
; COMPUTE_PGM_RSRC2:TGID_Z_EN: 0
; COMPUTE_PGM_RSRC2:TIDIG_COMP_CNT: 0
	.section	.text._ZN7rocprim17ROCPRIM_400000_NS6detail17trampoline_kernelINS0_14default_configENS1_38merge_sort_block_merge_config_selectorItNS0_10empty_typeEEEZZNS1_27merge_sort_block_merge_implIS3_N6thrust23THRUST_200600_302600_NS6detail15normal_iteratorINS9_10device_ptrItEEEEPS5_m9comp_mod3ItEEE10hipError_tT0_T1_T2_jT3_P12ihipStream_tbPNSt15iterator_traitsISJ_E10value_typeEPNSP_ISK_E10value_typeEPSL_NS1_7vsmem_tEENKUlT_SJ_SK_SL_E_clIPtSE_SF_SF_EESI_SY_SJ_SK_SL_EUlSY_E0_NS1_11comp_targetILNS1_3genE8ELNS1_11target_archE1030ELNS1_3gpuE2ELNS1_3repE0EEENS1_38merge_mergepath_config_static_selectorELNS0_4arch9wavefront6targetE0EEEvSK_,"axG",@progbits,_ZN7rocprim17ROCPRIM_400000_NS6detail17trampoline_kernelINS0_14default_configENS1_38merge_sort_block_merge_config_selectorItNS0_10empty_typeEEEZZNS1_27merge_sort_block_merge_implIS3_N6thrust23THRUST_200600_302600_NS6detail15normal_iteratorINS9_10device_ptrItEEEEPS5_m9comp_mod3ItEEE10hipError_tT0_T1_T2_jT3_P12ihipStream_tbPNSt15iterator_traitsISJ_E10value_typeEPNSP_ISK_E10value_typeEPSL_NS1_7vsmem_tEENKUlT_SJ_SK_SL_E_clIPtSE_SF_SF_EESI_SY_SJ_SK_SL_EUlSY_E0_NS1_11comp_targetILNS1_3genE8ELNS1_11target_archE1030ELNS1_3gpuE2ELNS1_3repE0EEENS1_38merge_mergepath_config_static_selectorELNS0_4arch9wavefront6targetE0EEEvSK_,comdat
	.protected	_ZN7rocprim17ROCPRIM_400000_NS6detail17trampoline_kernelINS0_14default_configENS1_38merge_sort_block_merge_config_selectorItNS0_10empty_typeEEEZZNS1_27merge_sort_block_merge_implIS3_N6thrust23THRUST_200600_302600_NS6detail15normal_iteratorINS9_10device_ptrItEEEEPS5_m9comp_mod3ItEEE10hipError_tT0_T1_T2_jT3_P12ihipStream_tbPNSt15iterator_traitsISJ_E10value_typeEPNSP_ISK_E10value_typeEPSL_NS1_7vsmem_tEENKUlT_SJ_SK_SL_E_clIPtSE_SF_SF_EESI_SY_SJ_SK_SL_EUlSY_E0_NS1_11comp_targetILNS1_3genE8ELNS1_11target_archE1030ELNS1_3gpuE2ELNS1_3repE0EEENS1_38merge_mergepath_config_static_selectorELNS0_4arch9wavefront6targetE0EEEvSK_ ; -- Begin function _ZN7rocprim17ROCPRIM_400000_NS6detail17trampoline_kernelINS0_14default_configENS1_38merge_sort_block_merge_config_selectorItNS0_10empty_typeEEEZZNS1_27merge_sort_block_merge_implIS3_N6thrust23THRUST_200600_302600_NS6detail15normal_iteratorINS9_10device_ptrItEEEEPS5_m9comp_mod3ItEEE10hipError_tT0_T1_T2_jT3_P12ihipStream_tbPNSt15iterator_traitsISJ_E10value_typeEPNSP_ISK_E10value_typeEPSL_NS1_7vsmem_tEENKUlT_SJ_SK_SL_E_clIPtSE_SF_SF_EESI_SY_SJ_SK_SL_EUlSY_E0_NS1_11comp_targetILNS1_3genE8ELNS1_11target_archE1030ELNS1_3gpuE2ELNS1_3repE0EEENS1_38merge_mergepath_config_static_selectorELNS0_4arch9wavefront6targetE0EEEvSK_
	.globl	_ZN7rocprim17ROCPRIM_400000_NS6detail17trampoline_kernelINS0_14default_configENS1_38merge_sort_block_merge_config_selectorItNS0_10empty_typeEEEZZNS1_27merge_sort_block_merge_implIS3_N6thrust23THRUST_200600_302600_NS6detail15normal_iteratorINS9_10device_ptrItEEEEPS5_m9comp_mod3ItEEE10hipError_tT0_T1_T2_jT3_P12ihipStream_tbPNSt15iterator_traitsISJ_E10value_typeEPNSP_ISK_E10value_typeEPSL_NS1_7vsmem_tEENKUlT_SJ_SK_SL_E_clIPtSE_SF_SF_EESI_SY_SJ_SK_SL_EUlSY_E0_NS1_11comp_targetILNS1_3genE8ELNS1_11target_archE1030ELNS1_3gpuE2ELNS1_3repE0EEENS1_38merge_mergepath_config_static_selectorELNS0_4arch9wavefront6targetE0EEEvSK_
	.p2align	8
	.type	_ZN7rocprim17ROCPRIM_400000_NS6detail17trampoline_kernelINS0_14default_configENS1_38merge_sort_block_merge_config_selectorItNS0_10empty_typeEEEZZNS1_27merge_sort_block_merge_implIS3_N6thrust23THRUST_200600_302600_NS6detail15normal_iteratorINS9_10device_ptrItEEEEPS5_m9comp_mod3ItEEE10hipError_tT0_T1_T2_jT3_P12ihipStream_tbPNSt15iterator_traitsISJ_E10value_typeEPNSP_ISK_E10value_typeEPSL_NS1_7vsmem_tEENKUlT_SJ_SK_SL_E_clIPtSE_SF_SF_EESI_SY_SJ_SK_SL_EUlSY_E0_NS1_11comp_targetILNS1_3genE8ELNS1_11target_archE1030ELNS1_3gpuE2ELNS1_3repE0EEENS1_38merge_mergepath_config_static_selectorELNS0_4arch9wavefront6targetE0EEEvSK_,@function
_ZN7rocprim17ROCPRIM_400000_NS6detail17trampoline_kernelINS0_14default_configENS1_38merge_sort_block_merge_config_selectorItNS0_10empty_typeEEEZZNS1_27merge_sort_block_merge_implIS3_N6thrust23THRUST_200600_302600_NS6detail15normal_iteratorINS9_10device_ptrItEEEEPS5_m9comp_mod3ItEEE10hipError_tT0_T1_T2_jT3_P12ihipStream_tbPNSt15iterator_traitsISJ_E10value_typeEPNSP_ISK_E10value_typeEPSL_NS1_7vsmem_tEENKUlT_SJ_SK_SL_E_clIPtSE_SF_SF_EESI_SY_SJ_SK_SL_EUlSY_E0_NS1_11comp_targetILNS1_3genE8ELNS1_11target_archE1030ELNS1_3gpuE2ELNS1_3repE0EEENS1_38merge_mergepath_config_static_selectorELNS0_4arch9wavefront6targetE0EEEvSK_: ; @_ZN7rocprim17ROCPRIM_400000_NS6detail17trampoline_kernelINS0_14default_configENS1_38merge_sort_block_merge_config_selectorItNS0_10empty_typeEEEZZNS1_27merge_sort_block_merge_implIS3_N6thrust23THRUST_200600_302600_NS6detail15normal_iteratorINS9_10device_ptrItEEEEPS5_m9comp_mod3ItEEE10hipError_tT0_T1_T2_jT3_P12ihipStream_tbPNSt15iterator_traitsISJ_E10value_typeEPNSP_ISK_E10value_typeEPSL_NS1_7vsmem_tEENKUlT_SJ_SK_SL_E_clIPtSE_SF_SF_EESI_SY_SJ_SK_SL_EUlSY_E0_NS1_11comp_targetILNS1_3genE8ELNS1_11target_archE1030ELNS1_3gpuE2ELNS1_3repE0EEENS1_38merge_mergepath_config_static_selectorELNS0_4arch9wavefront6targetE0EEEvSK_
; %bb.0:
	s_clause 0x1
	s_load_dwordx2 s[22:23], s[4:5], 0x50
	s_load_dword s0, s[4:5], 0x38
	s_add_u32 s20, s4, 0x50
	s_addc_u32 s21, s5, 0
	s_waitcnt lgkmcnt(0)
	s_mul_i32 s1, s23, s8
	s_add_i32 s1, s1, s7
	s_mul_i32 s1, s1, s22
	s_add_i32 s18, s1, s6
	s_cmp_ge_u32 s18, s0
	s_cbranch_scc1 .LBB889_75
; %bb.1:
	s_clause 0x1
	s_load_dwordx2 s[0:1], s[4:5], 0x48
	s_load_dwordx4 s[8:11], s[4:5], 0x28
	s_mov_b32 s19, 0
	s_lshl_b64 s[2:3], s[18:19], 3
	s_waitcnt lgkmcnt(0)
	s_add_u32 s0, s0, s2
	s_addc_u32 s1, s1, s3
	s_lshr_b64 s[12:13], s[10:11], 9
	s_load_dwordx4 s[0:3], s[0:1], 0x0
	s_and_b32 s7, s12, -2
	s_mov_b32 s13, s19
	s_sub_i32 s7, 0, s7
	s_lshl_b64 s[16:17], s[18:19], 10
	s_and_b32 s12, s18, s7
	s_lshl_b64 s[24:25], s[12:13], 10
	s_sub_u32 s23, s16, s24
	s_subb_u32 s26, s17, s25
	s_lshl_b64 s[28:29], s[12:13], 11
	s_load_dwordx4 s[12:15], s[4:5], 0x8
	s_add_u32 s27, s28, s10
	s_addc_u32 s28, s29, s11
	s_add_u32 s23, s27, s23
	s_addc_u32 s26, s28, s26
	s_waitcnt lgkmcnt(0)
	s_sub_u32 s29, s23, s2
	s_subb_u32 s3, s26, s3
	s_add_u32 s30, s29, 0x400
	s_addc_u32 s31, s3, 0
	v_cmp_lt_u64_e64 s3, s[8:9], s[30:31]
	s_and_b32 s3, s3, exec_lo
	s_cselect_b32 s3, s8, s30
	s_or_b32 s7, s18, s7
	s_cmp_lg_u32 s7, -1
	s_mov_b32 s7, -1
	s_cbranch_scc1 .LBB889_3
; %bb.2:
	s_sub_u32 s24, s27, s24
	s_subb_u32 s25, s28, s25
	v_cmp_lt_u64_e64 s2, s[8:9], s[24:25]
	s_and_b32 s2, s2, exec_lo
	s_cselect_b32 s2, s8, s24
	s_add_u32 s10, s24, s10
	s_addc_u32 s11, s25, s11
	v_cmp_lt_u64_e64 s3, s[8:9], s[10:11]
	s_and_b32 s3, s3, exec_lo
	s_cselect_b32 s3, s8, s10
.LBB889_3:
	s_lshr_b64 s[28:29], s[8:9], 10
	v_mov_b32_e32 v10, 0
	s_cmp_lg_u64 s[28:29], s[18:19]
	v_lshlrev_b32_e32 v11, 1, v0
	s_cselect_b32 s10, -1, 0
	s_sub_u32 s24, s23, s0
	s_subb_u32 s25, s26, s1
	global_load_dword v1, v10, s[20:21] offset:14
	v_cmp_lt_u64_e64 s11, s[8:9], s[24:25]
	s_and_b32 s11, s11, exec_lo
	s_cselect_b32 s26, s8, s24
	s_cselect_b32 s27, s9, s25
	s_sub_i32 s9, s2, s0
	s_lshl_b64 s[0:1], s[0:1], 1
	s_sub_i32 s11, s3, s26
	s_add_u32 s23, s12, s0
	s_addc_u32 s24, s13, s1
	s_lshl_b64 s[0:1], s[26:27], 1
	s_add_u32 s12, s12, s0
	s_addc_u32 s13, s13, s1
	s_cmp_lt_u32 s6, s22
	s_cselect_b32 s0, 12, 18
	s_add_u32 s0, s20, s0
	s_addc_u32 s1, s21, 0
	s_cmp_eq_u64 s[28:29], s[18:19]
	global_load_ushort v2, v10, s[0:1]
	s_waitcnt vmcnt(1)
	v_lshrrev_b32_e32 v3, 16, v1
	v_and_b32_e32 v1, 0xffff, v1
	v_mul_lo_u32 v1, v1, v3
	s_waitcnt vmcnt(0)
	v_mul_lo_u32 v12, v1, v2
	v_add_nc_u32_e32 v7, v12, v0
	v_add_nc_u32_e32 v5, v7, v12
	s_cbranch_scc1 .LBB889_5
; %bb.4:
	v_mov_b32_e32 v8, v10
	v_mov_b32_e32 v6, v10
	v_add_co_u32 v19, s0, s23, v11
	v_add_co_ci_u32_e64 v21, null, s24, 0, s0
	v_lshlrev_b64 v[1:2], 1, v[7:8]
	v_sub_co_u32 v9, vcc_lo, v0, s9
	v_mov_b32_e32 v20, v10
	v_lshlrev_b64 v[3:4], 1, v[9:10]
	v_add_co_u32 v8, s0, s23, v1
	v_add_co_ci_u32_e64 v23, null, s24, v2, s0
	v_lshlrev_b64 v[1:2], 1, v[5:6]
	v_sub_co_u32 v9, s0, v7, s9
	v_add_co_u32 v31, s7, s12, v3
	v_add_co_ci_u32_e64 v22, null, s13, v4, s7
	v_add_co_u32 v6, s1, s23, v1
	v_lshlrev_b64 v[13:14], 1, v[9:10]
	v_add_co_ci_u32_e64 v24, null, s24, v2, s1
	v_sub_co_u32 v9, s1, v5, s9
	v_cndmask_b32_e32 v22, v22, v21, vcc_lo
	v_cndmask_b32_e32 v21, v31, v19, vcc_lo
	v_lshlrev_b64 v[1:2], 1, v[9:10]
	v_add_nc_u32_e32 v9, v5, v12
	v_lshlrev_b64 v[15:16], 1, v[9:10]
	v_add_co_u32 v32, s7, s12, v1
	v_add_co_u32 v25, s2, s23, v15
	v_add_co_ci_u32_e64 v26, null, s24, v16, s2
	v_sub_co_u32 v15, s2, v9, s9
	v_add_nc_u32_e32 v9, v9, v12
	v_lshlrev_b64 v[16:17], 1, v[9:10]
	v_add_co_u32 v27, s3, s23, v16
	v_add_co_ci_u32_e64 v28, null, s24, v17, s3
	v_sub_co_u32 v16, s3, v9, s9
	v_add_nc_u32_e32 v9, v9, v12
	v_lshlrev_b64 v[17:18], 1, v[9:10]
	v_add_co_u32 v29, s6, s23, v17
	v_add_co_ci_u32_e64 v30, null, s24, v18, s6
	v_sub_co_u32 v18, s6, v9, s9
	v_add_nc_u32_e32 v9, v9, v12
	v_mov_b32_e32 v17, v10
	v_lshlrev_b64 v[3:4], 1, v[9:10]
	v_lshlrev_b64 v[16:17], 1, v[16:17]
	v_add_co_u32 v31, vcc_lo, s23, v3
	v_add_co_ci_u32_e64 v4, null, s24, v4, vcc_lo
	v_sub_co_u32 v19, vcc_lo, v9, s9
	v_add_co_ci_u32_e64 v3, null, s13, v2, s7
	v_add_co_u32 v16, s7, s12, v16
	v_lshlrev_b64 v[1:2], 1, v[19:20]
	v_add_co_ci_u32_e64 v17, null, s13, v17, s7
	v_cndmask_b32_e64 v3, v3, v24, s1
	v_cndmask_b32_e64 v16, v16, v27, s3
	v_add_nc_u32_e32 v9, v9, v12
	v_add_co_u32 v1, s7, s12, v1
	v_add_co_ci_u32_e64 v19, null, s13, v2, s7
	v_cndmask_b32_e64 v2, v32, v6, s1
	v_cndmask_b32_e64 v17, v17, v28, s3
	s_add_i32 s1, s9, s11
	v_cndmask_b32_e32 v20, v19, v4, vcc_lo
	v_cndmask_b32_e32 v19, v1, v31, vcc_lo
	global_load_ushort v1, v[21:22], off
	global_load_ushort v2, v[2:3], off
	;; [unrolled: 1-line block ×4, first 2 shown]
	v_add_co_u32 v6, vcc_lo, s12, v13
	v_add_co_ci_u32_e64 v17, null, s13, v14, vcc_lo
	v_lshlrev_b64 v[13:14], 1, v[9:10]
	v_mov_b32_e32 v19, v10
	v_mov_b32_e32 v16, v10
	v_cndmask_b32_e64 v20, v6, v8, s0
	v_cndmask_b32_e64 v21, v17, v23, s0
	v_add_co_u32 v6, vcc_lo, s23, v13
	v_lshlrev_b64 v[17:18], 1, v[18:19]
	v_add_co_ci_u32_e64 v19, null, s24, v14, vcc_lo
	v_sub_co_u32 v9, vcc_lo, v9, s9
	v_lshlrev_b64 v[15:16], 1, v[15:16]
	v_lshlrev_b64 v[8:9], 1, v[9:10]
	v_add_co_u32 v13, s0, s12, v15
	v_add_co_ci_u32_e64 v14, null, s13, v16, s0
	v_add_co_u32 v10, s0, s12, v17
	v_add_co_ci_u32_e64 v15, null, s13, v18, s0
	;; [unrolled: 2-line block ×3, first 2 shown]
	v_cndmask_b32_e64 v9, v14, v26, s2
	v_cndmask_b32_e64 v8, v13, v25, s2
	;; [unrolled: 1-line block ×4, first 2 shown]
	v_cndmask_b32_e32 v16, v16, v19, vcc_lo
	v_cndmask_b32_e32 v15, v17, v6, vcc_lo
	global_load_short_d16_hi v1, v[20:21], off
	global_load_short_d16_hi v2, v[8:9], off
	;; [unrolled: 1-line block ×4, first 2 shown]
	s_load_dwordx2 s[2:3], s[4:5], 0x40
	s_cbranch_execz .LBB889_6
	s_branch .LBB889_21
.LBB889_5:
                                        ; implicit-def: $vgpr1_vgpr2_vgpr3_vgpr4
                                        ; implicit-def: $sgpr1
	s_load_dwordx2 s[2:3], s[4:5], 0x40
	s_andn2_b32 vcc_lo, exec_lo, s7
	s_cbranch_vccnz .LBB889_21
.LBB889_6:
	s_waitcnt vmcnt(3)
	v_mov_b32_e32 v1, 0
	s_add_i32 s1, s9, s11
	s_mov_b32 s4, exec_lo
	s_waitcnt vmcnt(2)
	v_mov_b32_e32 v2, v1
	s_waitcnt vmcnt(1)
	v_mov_b32_e32 v3, v1
	;; [unrolled: 2-line block ×3, first 2 shown]
	v_cmpx_gt_u32_e64 s1, v0
	s_cbranch_execnz .LBB889_76
; %bb.7:
	s_or_b32 exec_lo, exec_lo, s4
	s_mov_b32 s4, exec_lo
	v_cmpx_gt_u32_e64 s1, v7
	s_cbranch_execnz .LBB889_77
.LBB889_8:
	s_or_b32 exec_lo, exec_lo, s4
	s_mov_b32 s4, exec_lo
	v_cmpx_gt_u32_e64 s1, v5
	s_cbranch_execz .LBB889_10
.LBB889_9:
	v_mov_b32_e32 v6, 0
	v_lshlrev_b64 v[7:8], 1, v[5:6]
	v_mov_b32_e32 v9, v6
	v_add_co_u32 v10, vcc_lo, s23, v7
	v_add_co_ci_u32_e64 v13, null, s24, v8, vcc_lo
	v_sub_co_u32 v8, vcc_lo, v5, s9
	v_lshlrev_b64 v[6:7], 1, v[8:9]
	v_add_co_u32 v6, s0, s12, v6
	v_add_co_ci_u32_e64 v7, null, s13, v7, s0
	v_cndmask_b32_e32 v6, v6, v10, vcc_lo
	v_cndmask_b32_e32 v7, v7, v13, vcc_lo
	global_load_short_d16 v2, v[6:7], off
.LBB889_10:
	s_or_b32 exec_lo, exec_lo, s4
	v_add_nc_u32_e32 v5, v5, v12
	s_mov_b32 s4, exec_lo
	v_cmpx_gt_u32_e64 s1, v5
	s_cbranch_execz .LBB889_12
; %bb.11:
	v_mov_b32_e32 v6, 0
	v_lshlrev_b64 v[7:8], 1, v[5:6]
	v_mov_b32_e32 v9, v6
	v_add_co_u32 v10, vcc_lo, s23, v7
	v_add_co_ci_u32_e64 v13, null, s24, v8, vcc_lo
	v_sub_co_u32 v8, vcc_lo, v5, s9
	v_lshlrev_b64 v[6:7], 1, v[8:9]
	v_add_co_u32 v6, s0, s12, v6
	v_add_co_ci_u32_e64 v7, null, s13, v7, s0
	v_cndmask_b32_e32 v6, v6, v10, vcc_lo
	v_cndmask_b32_e32 v7, v7, v13, vcc_lo
	global_load_short_d16_hi v2, v[6:7], off
.LBB889_12:
	s_or_b32 exec_lo, exec_lo, s4
	v_add_nc_u32_e32 v5, v5, v12
	s_mov_b32 s4, exec_lo
	v_cmpx_gt_u32_e64 s1, v5
	s_cbranch_execz .LBB889_14
; %bb.13:
	v_mov_b32_e32 v6, 0
	v_lshlrev_b64 v[7:8], 1, v[5:6]
	v_mov_b32_e32 v9, v6
	v_add_co_u32 v10, vcc_lo, s23, v7
	v_add_co_ci_u32_e64 v13, null, s24, v8, vcc_lo
	v_sub_co_u32 v8, vcc_lo, v5, s9
	v_lshlrev_b64 v[6:7], 1, v[8:9]
	v_add_co_u32 v6, s0, s12, v6
	v_add_co_ci_u32_e64 v7, null, s13, v7, s0
	v_cndmask_b32_e32 v6, v6, v10, vcc_lo
	v_cndmask_b32_e32 v7, v7, v13, vcc_lo
	global_load_short_d16 v3, v[6:7], off
.LBB889_14:
	s_or_b32 exec_lo, exec_lo, s4
	v_add_nc_u32_e32 v5, v5, v12
	s_mov_b32 s4, exec_lo
	v_cmpx_gt_u32_e64 s1, v5
	s_cbranch_execz .LBB889_16
; %bb.15:
	v_mov_b32_e32 v6, 0
	v_lshlrev_b64 v[7:8], 1, v[5:6]
	v_mov_b32_e32 v9, v6
	v_add_co_u32 v10, vcc_lo, s23, v7
	v_add_co_ci_u32_e64 v13, null, s24, v8, vcc_lo
	v_sub_co_u32 v8, vcc_lo, v5, s9
	v_lshlrev_b64 v[6:7], 1, v[8:9]
	v_add_co_u32 v6, s0, s12, v6
	v_add_co_ci_u32_e64 v7, null, s13, v7, s0
	v_cndmask_b32_e32 v6, v6, v10, vcc_lo
	v_cndmask_b32_e32 v7, v7, v13, vcc_lo
	global_load_short_d16_hi v3, v[6:7], off
.LBB889_16:
	s_or_b32 exec_lo, exec_lo, s4
	v_add_nc_u32_e32 v5, v5, v12
	s_mov_b32 s4, exec_lo
	v_cmpx_gt_u32_e64 s1, v5
	s_cbranch_execz .LBB889_18
; %bb.17:
	v_mov_b32_e32 v6, 0
	v_lshlrev_b64 v[7:8], 1, v[5:6]
	v_mov_b32_e32 v9, v6
	v_add_co_u32 v10, vcc_lo, s23, v7
	v_add_co_ci_u32_e64 v13, null, s24, v8, vcc_lo
	v_sub_co_u32 v8, vcc_lo, v5, s9
	v_lshlrev_b64 v[6:7], 1, v[8:9]
	v_add_co_u32 v6, s0, s12, v6
	v_add_co_ci_u32_e64 v7, null, s13, v7, s0
	v_cndmask_b32_e32 v6, v6, v10, vcc_lo
	v_cndmask_b32_e32 v7, v7, v13, vcc_lo
	global_load_short_d16 v4, v[6:7], off
.LBB889_18:
	s_or_b32 exec_lo, exec_lo, s4
	v_add_nc_u32_e32 v5, v5, v12
	s_mov_b32 s4, exec_lo
	v_cmpx_gt_u32_e64 s1, v5
	s_cbranch_execz .LBB889_20
; %bb.19:
	v_mov_b32_e32 v6, 0
	v_lshlrev_b64 v[7:8], 1, v[5:6]
	v_add_co_u32 v7, vcc_lo, s23, v7
	v_add_co_ci_u32_e64 v8, null, s24, v8, vcc_lo
	v_sub_co_u32 v5, vcc_lo, v5, s9
	v_lshlrev_b64 v[5:6], 1, v[5:6]
	v_add_co_u32 v5, s0, s12, v5
	v_add_co_ci_u32_e64 v6, null, s13, v6, s0
	v_cndmask_b32_e32 v5, v5, v7, vcc_lo
	v_cndmask_b32_e32 v6, v6, v8, vcc_lo
	global_load_short_d16_hi v4, v[5:6], off
.LBB889_20:
	s_or_b32 exec_lo, exec_lo, s4
.LBB889_21:
	v_lshlrev_b32_e32 v5, 3, v0
	s_waitcnt vmcnt(0)
	v_lshrrev_b32_e32 v7, 16, v1
	v_lshrrev_b32_e32 v9, 16, v2
	;; [unrolled: 1-line block ×4, first 2 shown]
	v_min_u32_e32 v8, s1, v5
	s_mov_b32 s0, exec_lo
	ds_write_b16 v11, v1
	ds_write_b16 v11, v2 offset:512
	ds_write_b16 v11, v7 offset:256
	;; [unrolled: 1-line block ×3, first 2 shown]
	v_sub_nc_u32_e64 v6, v8, s11 clamp
	v_min_u32_e32 v10, s9, v8
	ds_write_b16 v11, v3 offset:1024
	ds_write_b16 v11, v14 offset:1280
	;; [unrolled: 1-line block ×4, first 2 shown]
	s_waitcnt lgkmcnt(0)
	s_barrier
	buffer_gl0_inv
	v_cmpx_lt_u32_e64 v6, v10
	s_cbranch_execz .LBB889_25
; %bb.22:
	v_lshlrev_b32_e32 v12, 1, v8
	s_mov_b32 s4, 0
	v_lshl_add_u32 v12, s9, 1, v12
	.p2align	6
.LBB889_23:                             ; =>This Inner Loop Header: Depth=1
	v_add_nc_u32_e32 v15, v10, v6
	v_lshrrev_b32_e32 v16, 1, v15
	v_and_b32_e32 v15, -2, v15
	v_not_b32_e32 v17, v16
	v_add_nc_u32_e32 v18, 1, v16
	v_lshl_add_u32 v17, v17, 1, v12
	ds_read_u16 v15, v15
	ds_read_u16 v17, v17
	s_waitcnt lgkmcnt(1)
	v_lshlrev_b32_e32 v15, 1, v15
	s_waitcnt lgkmcnt(0)
	v_lshlrev_b32_e32 v17, 1, v17
	s_clause 0x1
	global_load_ushort v17, v17, s[2:3]
	global_load_ushort v15, v15, s[2:3]
	s_waitcnt vmcnt(0)
	v_cmp_lt_u16_e32 vcc_lo, v17, v15
	v_cndmask_b32_e32 v10, v10, v16, vcc_lo
	v_cndmask_b32_e32 v6, v18, v6, vcc_lo
	v_cmp_ge_u32_e32 vcc_lo, v6, v10
	s_or_b32 s4, vcc_lo, s4
	s_andn2_b32 exec_lo, exec_lo, s4
	s_cbranch_execnz .LBB889_23
; %bb.24:
	s_or_b32 exec_lo, exec_lo, s4
.LBB889_25:
	s_or_b32 exec_lo, exec_lo, s0
	v_sub_nc_u32_e32 v8, v8, v6
	v_cmp_ge_u32_e32 vcc_lo, s9, v6
	v_add_nc_u32_e32 v8, s9, v8
	v_cmp_ge_u32_e64 s0, s1, v8
	s_or_b32 s0, vcc_lo, s0
	s_and_saveexec_b32 s4, s0
	s_cbranch_execz .LBB889_61
; %bb.26:
	s_mov_b32 s5, exec_lo
	v_cmp_le_u32_e32 vcc_lo, s9, v6
                                        ; implicit-def: $vgpr1
	v_cmpx_gt_u32_e64 s9, v6
; %bb.27:
	v_lshlrev_b32_e32 v1, 1, v6
	ds_read_u16 v1, v1
; %bb.28:
	s_or_b32 exec_lo, exec_lo, s5
	v_cmp_le_u32_e64 s5, s1, v8
	s_mov_b32 s6, exec_lo
                                        ; implicit-def: $vgpr4
	v_cmpx_gt_u32_e64 s1, v8
; %bb.29:
	v_lshlrev_b32_e32 v2, 1, v8
	ds_read_u16 v4, v2
; %bb.30:
	s_or_b32 exec_lo, exec_lo, s6
	s_nor_b32 s6, vcc_lo, s5
	s_and_saveexec_b32 s0, s6
	s_cbranch_execz .LBB889_32
; %bb.31:
	v_mov_b32_e32 v2, 1
	s_andn2_b32 s5, s5, exec_lo
	s_waitcnt lgkmcnt(0)
	v_lshlrev_b32_sdwa v3, v2, v4 dst_sel:DWORD dst_unused:UNUSED_PAD src0_sel:DWORD src1_sel:WORD_0
	v_lshlrev_b32_sdwa v2, v2, v1 dst_sel:DWORD dst_unused:UNUSED_PAD src0_sel:DWORD src1_sel:WORD_0
	s_clause 0x1
	global_load_ushort v3, v3, s[2:3]
	global_load_ushort v2, v2, s[2:3]
	s_waitcnt vmcnt(0)
	v_cmp_ge_u16_e32 vcc_lo, v3, v2
	s_and_b32 s6, vcc_lo, exec_lo
	s_or_b32 s5, s5, s6
.LBB889_32:
	s_or_b32 exec_lo, exec_lo, s0
	v_mov_b32_e32 v2, s9
	v_cndmask_b32_e64 v3, v8, v6, s5
	s_mov_b32 s6, -1
	s_mov_b32 s0, -1
	s_mov_b32 s7, exec_lo
	v_cndmask_b32_e64 v2, s1, v2, s5
	v_add_nc_u32_e32 v3, 1, v3
	v_add_nc_u32_e32 v2, -1, v2
	v_min_u32_e32 v2, v3, v2
	v_lshlrev_b32_e32 v2, 1, v2
	ds_read_u16 v7, v2
	v_cndmask_b32_e64 v2, v3, v8, s5
	v_cndmask_b32_e64 v3, v6, v3, s5
	s_waitcnt lgkmcnt(0)
	v_cndmask_b32_e64 v6, v7, v4, s5
	v_cndmask_b32_e64 v7, v1, v7, s5
	v_cmpx_gt_u32_e64 s1, v2
	s_cbranch_execz .LBB889_36
; %bb.33:
	s_mov_b32 s11, 0
	s_mov_b32 s0, exec_lo
	v_cmpx_gt_u32_e64 s9, v3
	s_cbranch_execz .LBB889_35
; %bb.34:
	v_mov_b32_e32 v8, 1
	v_lshlrev_b32_sdwa v9, v8, v6 dst_sel:DWORD dst_unused:UNUSED_PAD src0_sel:DWORD src1_sel:WORD_0
	v_lshlrev_b32_sdwa v8, v8, v7 dst_sel:DWORD dst_unused:UNUSED_PAD src0_sel:DWORD src1_sel:WORD_0
	s_clause 0x1
	global_load_ushort v9, v9, s[2:3]
	global_load_ushort v8, v8, s[2:3]
	s_waitcnt vmcnt(0)
	v_cmp_ge_u16_e32 vcc_lo, v9, v8
	s_and_b32 s11, vcc_lo, exec_lo
.LBB889_35:
	s_or_b32 exec_lo, exec_lo, s0
	s_orn2_b32 s0, s11, exec_lo
.LBB889_36:
	s_or_b32 exec_lo, exec_lo, s7
	v_mov_b32_e32 v8, s9
	v_cndmask_b32_e64 v9, v2, v3, s0
	s_mov_b32 s7, exec_lo
	v_cndmask_b32_e64 v8, s1, v8, s0
	v_add_nc_u32_e32 v10, 1, v9
	v_add_nc_u32_e32 v8, -1, v8
	v_cndmask_b32_e64 v9, v10, v2, s0
	v_cndmask_b32_e64 v3, v3, v10, s0
	v_min_u32_e32 v8, v10, v8
	v_lshlrev_b32_e32 v8, 1, v8
	ds_read_u16 v8, v8
	s_waitcnt lgkmcnt(0)
	v_cndmask_b32_e64 v2, v8, v6, s0
	v_cndmask_b32_e64 v8, v7, v8, s0
	v_cmpx_gt_u32_e64 s1, v9
	s_cbranch_execz .LBB889_40
; %bb.37:
	s_mov_b32 s11, 0
	s_mov_b32 s6, exec_lo
	v_cmpx_gt_u32_e64 s9, v3
	s_cbranch_execz .LBB889_39
; %bb.38:
	v_mov_b32_e32 v10, 1
	v_lshlrev_b32_sdwa v12, v10, v2 dst_sel:DWORD dst_unused:UNUSED_PAD src0_sel:DWORD src1_sel:WORD_0
	v_lshlrev_b32_sdwa v10, v10, v8 dst_sel:DWORD dst_unused:UNUSED_PAD src0_sel:DWORD src1_sel:WORD_0
	s_clause 0x1
	global_load_ushort v12, v12, s[2:3]
	global_load_ushort v10, v10, s[2:3]
	s_waitcnt vmcnt(0)
	v_cmp_ge_u16_e32 vcc_lo, v12, v10
	s_and_b32 s11, vcc_lo, exec_lo
.LBB889_39:
	s_or_b32 exec_lo, exec_lo, s6
	s_orn2_b32 s6, s11, exec_lo
.LBB889_40:
	s_or_b32 exec_lo, exec_lo, s7
	v_mov_b32_e32 v10, s9
	v_cndmask_b32_e64 v12, v9, v3, s6
	s_mov_b32 s11, -1
	s_mov_b32 s7, -1
	s_mov_b32 s12, exec_lo
	v_cndmask_b32_e64 v10, s1, v10, s6
	v_add_nc_u32_e32 v13, 1, v12
	v_add_nc_u32_e32 v10, -1, v10
	v_cndmask_b32_e64 v12, v13, v9, s6
	v_cndmask_b32_e64 v3, v3, v13, s6
	v_min_u32_e32 v10, v13, v10
	v_lshlrev_b32_e32 v10, 1, v10
	ds_read_u16 v10, v10
	s_waitcnt lgkmcnt(0)
	v_cndmask_b32_e64 v9, v10, v2, s6
	v_cndmask_b32_e64 v10, v8, v10, s6
	v_cmpx_gt_u32_e64 s1, v12
	s_cbranch_execz .LBB889_44
; %bb.41:
	s_mov_b32 s13, 0
	s_mov_b32 s7, exec_lo
	v_cmpx_gt_u32_e64 s9, v3
	s_cbranch_execz .LBB889_43
; %bb.42:
	v_mov_b32_e32 v13, 1
	v_lshlrev_b32_sdwa v14, v13, v9 dst_sel:DWORD dst_unused:UNUSED_PAD src0_sel:DWORD src1_sel:WORD_0
	v_lshlrev_b32_sdwa v13, v13, v10 dst_sel:DWORD dst_unused:UNUSED_PAD src0_sel:DWORD src1_sel:WORD_0
	s_clause 0x1
	global_load_ushort v14, v14, s[2:3]
	global_load_ushort v13, v13, s[2:3]
	s_waitcnt vmcnt(0)
	v_cmp_ge_u16_e32 vcc_lo, v14, v13
	s_and_b32 s13, vcc_lo, exec_lo
.LBB889_43:
	s_or_b32 exec_lo, exec_lo, s7
	s_orn2_b32 s7, s13, exec_lo
.LBB889_44:
	s_or_b32 exec_lo, exec_lo, s12
	v_mov_b32_e32 v13, s9
	v_cndmask_b32_e64 v14, v12, v3, s7
	s_mov_b32 s12, exec_lo
	v_cndmask_b32_e64 v13, s1, v13, s7
	v_add_nc_u32_e32 v14, 1, v14
	v_add_nc_u32_e32 v13, -1, v13
	v_min_u32_e32 v13, v14, v13
	v_lshlrev_b32_e32 v13, 1, v13
	ds_read_u16 v15, v13
	v_cndmask_b32_e64 v13, v14, v12, s7
	v_cndmask_b32_e64 v14, v3, v14, s7
	s_waitcnt lgkmcnt(0)
	v_cndmask_b32_e64 v3, v15, v9, s7
	v_cndmask_b32_e64 v12, v10, v15, s7
	v_cmpx_gt_u32_e64 s1, v13
	s_cbranch_execz .LBB889_48
; %bb.45:
	s_mov_b32 s13, 0
	s_mov_b32 s11, exec_lo
	v_cmpx_gt_u32_e64 s9, v14
	s_cbranch_execz .LBB889_47
; %bb.46:
	v_mov_b32_e32 v15, 1
	v_lshlrev_b32_sdwa v16, v15, v3 dst_sel:DWORD dst_unused:UNUSED_PAD src0_sel:DWORD src1_sel:WORD_0
	v_lshlrev_b32_sdwa v15, v15, v12 dst_sel:DWORD dst_unused:UNUSED_PAD src0_sel:DWORD src1_sel:WORD_0
	s_clause 0x1
	global_load_ushort v16, v16, s[2:3]
	global_load_ushort v15, v15, s[2:3]
	s_waitcnt vmcnt(0)
	v_cmp_ge_u16_e32 vcc_lo, v16, v15
	s_and_b32 s13, vcc_lo, exec_lo
.LBB889_47:
	s_or_b32 exec_lo, exec_lo, s11
	s_orn2_b32 s11, s13, exec_lo
.LBB889_48:
	s_or_b32 exec_lo, exec_lo, s12
	v_mov_b32_e32 v15, s9
	v_cndmask_b32_e64 v16, v13, v14, s11
	s_mov_b32 s12, -1
	s_mov_b32 s13, -1
	s_mov_b32 s18, exec_lo
	v_cndmask_b32_e64 v15, s1, v15, s11
	v_add_nc_u32_e32 v16, 1, v16
	v_add_nc_u32_e32 v15, -1, v15
	v_cndmask_b32_e64 v13, v16, v13, s11
	v_min_u32_e32 v15, v16, v15
	v_cndmask_b32_e64 v16, v14, v16, s11
	v_lshlrev_b32_e32 v15, 1, v15
	ds_read_u16 v15, v15
	s_waitcnt lgkmcnt(0)
	v_cndmask_b32_e64 v14, v15, v3, s11
	v_cndmask_b32_e64 v15, v12, v15, s11
	v_cmpx_gt_u32_e64 s1, v13
	s_cbranch_execz .LBB889_52
; %bb.49:
	s_mov_b32 s19, 0
	s_mov_b32 s13, exec_lo
	v_cmpx_gt_u32_e64 s9, v16
	s_cbranch_execz .LBB889_51
; %bb.50:
	v_mov_b32_e32 v17, 1
	v_lshlrev_b32_sdwa v18, v17, v14 dst_sel:DWORD dst_unused:UNUSED_PAD src0_sel:DWORD src1_sel:WORD_0
	v_lshlrev_b32_sdwa v17, v17, v15 dst_sel:DWORD dst_unused:UNUSED_PAD src0_sel:DWORD src1_sel:WORD_0
	s_clause 0x1
	global_load_ushort v18, v18, s[2:3]
	global_load_ushort v17, v17, s[2:3]
	s_waitcnt vmcnt(0)
	v_cmp_ge_u16_e32 vcc_lo, v18, v17
	s_and_b32 s19, vcc_lo, exec_lo
.LBB889_51:
	s_or_b32 exec_lo, exec_lo, s13
	s_orn2_b32 s13, s19, exec_lo
.LBB889_52:
	s_or_b32 exec_lo, exec_lo, s18
	v_mov_b32_e32 v17, s9
	v_cndmask_b32_e64 v18, v13, v16, s13
	s_mov_b32 s18, exec_lo
	v_cndmask_b32_e64 v17, s1, v17, s13
	v_add_nc_u32_e32 v18, 1, v18
	v_add_nc_u32_e32 v17, -1, v17
	v_cndmask_b32_e64 v13, v18, v13, s13
	v_min_u32_e32 v17, v18, v17
	v_cndmask_b32_e64 v18, v16, v18, s13
	v_lshlrev_b32_e32 v17, 1, v17
	ds_read_u16 v17, v17
	s_waitcnt lgkmcnt(0)
	v_cndmask_b32_e64 v16, v17, v14, s13
	v_cndmask_b32_e64 v17, v15, v17, s13
	v_cmpx_gt_u32_e64 s1, v13
	s_cbranch_execz .LBB889_56
; %bb.53:
	s_mov_b32 s19, 0
	s_mov_b32 s12, exec_lo
	v_cmpx_gt_u32_e64 s9, v18
	s_cbranch_execz .LBB889_55
; %bb.54:
	v_mov_b32_e32 v19, 1
	v_lshlrev_b32_sdwa v20, v19, v16 dst_sel:DWORD dst_unused:UNUSED_PAD src0_sel:DWORD src1_sel:WORD_0
	v_lshlrev_b32_sdwa v19, v19, v17 dst_sel:DWORD dst_unused:UNUSED_PAD src0_sel:DWORD src1_sel:WORD_0
	s_clause 0x1
	global_load_ushort v20, v20, s[2:3]
	global_load_ushort v19, v19, s[2:3]
	s_waitcnt vmcnt(0)
	v_cmp_ge_u16_e32 vcc_lo, v20, v19
	s_and_b32 s19, vcc_lo, exec_lo
.LBB889_55:
	s_or_b32 exec_lo, exec_lo, s12
	s_orn2_b32 s12, s19, exec_lo
.LBB889_56:
	s_or_b32 exec_lo, exec_lo, s18
	v_mov_b32_e32 v19, s9
	v_cndmask_b32_e64 v20, v13, v18, s12
	v_cndmask_b32_e64 v21, s1, v19, s12
	v_add_nc_u32_e32 v19, 1, v20
	v_add_nc_u32_e32 v20, -1, v21
	v_cndmask_b32_e64 v21, v19, v13, s12
	v_min_u32_e32 v20, v19, v20
	v_cmp_gt_u32_e32 vcc_lo, s1, v21
	v_lshlrev_b32_e32 v20, 1, v20
	ds_read_u16 v20, v20
	s_waitcnt lgkmcnt(0)
	v_cndmask_b32_e64 v13, v17, v20, s12
	s_and_saveexec_b32 s1, vcc_lo
	s_cbranch_execz .LBB889_60
; %bb.57:
	v_cndmask_b32_e64 v19, v18, v19, s12
	v_cndmask_b32_e64 v18, v20, v16, s12
	v_cmp_gt_u32_e32 vcc_lo, s9, v19
	s_and_saveexec_b32 s9, vcc_lo
	s_cbranch_execz .LBB889_59
; %bb.58:
	v_mov_b32_e32 v19, 1
	v_lshlrev_b32_sdwa v20, v19, v18 dst_sel:DWORD dst_unused:UNUSED_PAD src0_sel:DWORD src1_sel:WORD_0
	v_lshlrev_b32_sdwa v19, v19, v13 dst_sel:DWORD dst_unused:UNUSED_PAD src0_sel:DWORD src1_sel:WORD_0
	s_clause 0x1
	global_load_ushort v20, v20, s[2:3]
	global_load_ushort v19, v19, s[2:3]
	s_waitcnt vmcnt(0)
	v_cmp_lt_u16_e32 vcc_lo, v20, v19
	v_cndmask_b32_e32 v18, v13, v18, vcc_lo
.LBB889_59:
	s_or_b32 exec_lo, exec_lo, s9
	v_mov_b32_e32 v13, v18
.LBB889_60:
	s_or_b32 exec_lo, exec_lo, s1
	v_cndmask_b32_e64 v14, v14, v15, s13
	v_cndmask_b32_e64 v3, v3, v12, s11
	;; [unrolled: 1-line block ×7, first 2 shown]
.LBB889_61:
	s_or_b32 exec_lo, exec_lo, s4
	v_lshrrev_b32_e32 v6, 1, v0
	v_or_b32_e32 v8, 0x80, v0
	v_perm_b32 v2, v9, v2, 0x5040100
	v_perm_b32 v1, v7, v1, 0x5040100
	v_lshrrev_b32_e32 v7, 4, v0
	v_and_b32_e32 v6, 60, v6
	v_lshrrev_b32_e32 v9, 4, v8
	v_perm_b32 v4, v13, v4, 0x5040100
	v_perm_b32 v3, v14, v3, 0x5040100
	v_and_b32_e32 v7, 4, v7
	v_lshl_add_u32 v5, v5, 1, v6
	v_or_b32_e32 v6, 0x100, v0
	v_and_b32_e32 v9, 12, v9
	s_barrier
	buffer_gl0_inv
	v_lshrrev_b32_e32 v10, 4, v6
	v_add_nc_u32_e32 v12, v9, v11
	v_or_b32_e32 v9, 0x180, v0
	s_barrier
	buffer_gl0_inv
	v_and_b32_e32 v13, 20, v10
	ds_write2_b32 v5, v1, v2 offset1:1
	ds_write2_b32 v5, v3, v4 offset0:2 offset1:3
	v_add_nc_u32_e32 v10, v7, v11
	v_or_b32_e32 v7, 0x200, v0
	v_or_b32_e32 v5, 0x280, v0
	;; [unrolled: 1-line block ×4, first 2 shown]
	v_lshrrev_b32_e32 v1, 4, v9
	v_lshrrev_b32_e32 v2, 4, v7
	;; [unrolled: 1-line block ×5, first 2 shown]
	v_and_b32_e32 v1, 28, v1
	s_lshl_b64 s[0:1], s[16:17], 1
	v_and_b32_e32 v2, 36, v2
	v_and_b32_e32 v17, 44, v14
	;; [unrolled: 1-line block ×4, first 2 shown]
	s_add_u32 s0, s14, s0
	s_addc_u32 s1, s15, s1
	v_add_nc_u32_e32 v14, v1, v11
	v_add_co_u32 v1, s0, s0, v11
	v_add_nc_u32_e32 v13, v13, v11
	v_add_nc_u32_e32 v15, v2, v11
	;; [unrolled: 1-line block ×5, first 2 shown]
	v_add_co_ci_u32_e64 v2, null, s1, 0, s0
	s_and_b32 vcc_lo, exec_lo, s10
	s_waitcnt lgkmcnt(0)
	s_cbranch_vccz .LBB889_63
; %bb.62:
	s_barrier
	buffer_gl0_inv
	ds_read_u16 v19, v17 offset:1536
	s_mov_b32 s0, -1
	s_waitcnt lgkmcnt(0)
	v_mov_b32_e32 v11, v19
	ds_read_u16 v20, v10
	ds_read_u16 v21, v12 offset:256
	ds_read_u16 v22, v13 offset:512
	;; [unrolled: 1-line block ×5, first 2 shown]
	ds_read_u16_d16_hi v11, v18 offset:1792
	s_waitcnt lgkmcnt(6)
	global_store_short v[1:2], v20, off
	s_waitcnt lgkmcnt(5)
	global_store_short v[1:2], v21, off offset:256
	s_waitcnt lgkmcnt(4)
	global_store_short v[1:2], v22, off offset:512
	;; [unrolled: 2-line block ×5, first 2 shown]
	global_store_short v[1:2], v19, off offset:1536
	s_cbranch_execz .LBB889_64
	s_branch .LBB889_73
.LBB889_63:
	s_mov_b32 s0, 0
                                        ; implicit-def: $vgpr11
.LBB889_64:
	s_barrier
	s_waitcnt lgkmcnt(0)
	s_waitcnt_vscnt null, 0x0
	buffer_gl0_inv
	ds_read_u16 v21, v10
	ds_read_u16 v20, v12 offset:256
	ds_read_u16 v19, v13 offset:512
	;; [unrolled: 1-line block ×7, first 2 shown]
	s_sub_i32 s0, s8, s16
	s_mov_b32 s1, exec_lo
	v_cmpx_gt_u32_e64 s0, v0
	s_cbranch_execnz .LBB889_78
; %bb.65:
	s_or_b32 exec_lo, exec_lo, s1
	s_mov_b32 s1, exec_lo
	v_cmpx_gt_u32_e64 s0, v8
	s_cbranch_execnz .LBB889_79
.LBB889_66:
	s_or_b32 exec_lo, exec_lo, s1
	s_mov_b32 s1, exec_lo
	v_cmpx_gt_u32_e64 s0, v6
	s_cbranch_execnz .LBB889_80
.LBB889_67:
	s_or_b32 exec_lo, exec_lo, s1
	s_mov_b32 s1, exec_lo
	v_cmpx_gt_u32_e64 s0, v9
	s_cbranch_execnz .LBB889_81
.LBB889_68:
	s_or_b32 exec_lo, exec_lo, s1
	s_mov_b32 s1, exec_lo
	v_cmpx_gt_u32_e64 s0, v7
	s_cbranch_execnz .LBB889_82
.LBB889_69:
	s_or_b32 exec_lo, exec_lo, s1
	s_mov_b32 s1, exec_lo
	v_cmpx_gt_u32_e64 s0, v5
	s_cbranch_execnz .LBB889_83
.LBB889_70:
	s_or_b32 exec_lo, exec_lo, s1
	s_mov_b32 s1, exec_lo
	v_cmpx_gt_u32_e64 s0, v4
	s_cbranch_execz .LBB889_72
.LBB889_71:
	s_waitcnt lgkmcnt(1)
	global_store_short v[1:2], v10, off offset:1536
.LBB889_72:
	s_or_b32 exec_lo, exec_lo, s1
	v_cmp_gt_u32_e64 s0, s0, v3
	s_waitcnt lgkmcnt(0)
	v_perm_b32 v11, v11, v10, 0x5040100
.LBB889_73:
	s_and_saveexec_b32 s1, s0
	s_cbranch_execz .LBB889_75
; %bb.74:
	s_waitcnt lgkmcnt(0)
	global_store_short_d16_hi v[1:2], v11, off offset:1792
.LBB889_75:
	s_endpgm
.LBB889_76:
	v_sub_co_u32 v2, vcc_lo, v0, s9
	v_mov_b32_e32 v3, v1
	v_add_co_u32 v4, s0, s23, v11
	v_add_co_ci_u32_e64 v6, null, s24, 0, s0
	v_lshlrev_b64 v[2:3], 1, v[2:3]
	v_mov_b32_e32 v13, v1
	v_mov_b32_e32 v14, v1
	;; [unrolled: 1-line block ×4, first 2 shown]
	v_add_co_u32 v2, s0, s12, v2
	v_add_co_ci_u32_e64 v3, null, s13, v3, s0
	v_cndmask_b32_e32 v2, v2, v4, vcc_lo
	v_cndmask_b32_e32 v3, v3, v6, vcc_lo
	global_load_short_d16 v13, v[2:3], off
	s_waitcnt vmcnt(0)
	v_mov_b32_e32 v1, v13
	v_mov_b32_e32 v2, v14
	;; [unrolled: 1-line block ×4, first 2 shown]
	s_or_b32 exec_lo, exec_lo, s4
	s_mov_b32 s4, exec_lo
	v_cmpx_gt_u32_e64 s1, v7
	s_cbranch_execz .LBB889_8
.LBB889_77:
	v_mov_b32_e32 v8, 0
	v_lshlrev_b64 v[9:10], 1, v[7:8]
	v_add_co_u32 v9, vcc_lo, s23, v9
	v_add_co_ci_u32_e64 v10, null, s24, v10, vcc_lo
	v_sub_co_u32 v7, vcc_lo, v7, s9
	v_lshlrev_b64 v[6:7], 1, v[7:8]
	v_add_co_u32 v6, s0, s12, v6
	v_add_co_ci_u32_e64 v7, null, s13, v7, s0
	v_cndmask_b32_e32 v6, v6, v9, vcc_lo
	v_cndmask_b32_e32 v7, v7, v10, vcc_lo
	global_load_short_d16_hi v1, v[6:7], off
	s_or_b32 exec_lo, exec_lo, s4
	s_mov_b32 s4, exec_lo
	v_cmpx_gt_u32_e64 s1, v5
	s_cbranch_execnz .LBB889_9
	s_branch .LBB889_10
.LBB889_78:
	s_waitcnt lgkmcnt(7)
	global_store_short v[1:2], v21, off
	s_or_b32 exec_lo, exec_lo, s1
	s_mov_b32 s1, exec_lo
	v_cmpx_gt_u32_e64 s0, v8
	s_cbranch_execz .LBB889_66
.LBB889_79:
	s_waitcnt lgkmcnt(6)
	global_store_short v[1:2], v20, off offset:256
	s_or_b32 exec_lo, exec_lo, s1
	s_mov_b32 s1, exec_lo
	v_cmpx_gt_u32_e64 s0, v6
	s_cbranch_execz .LBB889_67
.LBB889_80:
	s_waitcnt lgkmcnt(5)
	global_store_short v[1:2], v19, off offset:512
	s_or_b32 exec_lo, exec_lo, s1
	s_mov_b32 s1, exec_lo
	v_cmpx_gt_u32_e64 s0, v9
	s_cbranch_execz .LBB889_68
.LBB889_81:
	s_waitcnt lgkmcnt(4)
	global_store_short v[1:2], v14, off offset:768
	s_or_b32 exec_lo, exec_lo, s1
	s_mov_b32 s1, exec_lo
	v_cmpx_gt_u32_e64 s0, v7
	s_cbranch_execz .LBB889_69
.LBB889_82:
	s_waitcnt lgkmcnt(3)
	global_store_short v[1:2], v13, off offset:1024
	s_or_b32 exec_lo, exec_lo, s1
	s_mov_b32 s1, exec_lo
	v_cmpx_gt_u32_e64 s0, v5
	s_cbranch_execz .LBB889_70
.LBB889_83:
	s_waitcnt lgkmcnt(2)
	global_store_short v[1:2], v12, off offset:1280
	s_or_b32 exec_lo, exec_lo, s1
	s_mov_b32 s1, exec_lo
	v_cmpx_gt_u32_e64 s0, v4
	s_cbranch_execnz .LBB889_71
	s_branch .LBB889_72
	.section	.rodata,"a",@progbits
	.p2align	6, 0x0
	.amdhsa_kernel _ZN7rocprim17ROCPRIM_400000_NS6detail17trampoline_kernelINS0_14default_configENS1_38merge_sort_block_merge_config_selectorItNS0_10empty_typeEEEZZNS1_27merge_sort_block_merge_implIS3_N6thrust23THRUST_200600_302600_NS6detail15normal_iteratorINS9_10device_ptrItEEEEPS5_m9comp_mod3ItEEE10hipError_tT0_T1_T2_jT3_P12ihipStream_tbPNSt15iterator_traitsISJ_E10value_typeEPNSP_ISK_E10value_typeEPSL_NS1_7vsmem_tEENKUlT_SJ_SK_SL_E_clIPtSE_SF_SF_EESI_SY_SJ_SK_SL_EUlSY_E0_NS1_11comp_targetILNS1_3genE8ELNS1_11target_archE1030ELNS1_3gpuE2ELNS1_3repE0EEENS1_38merge_mergepath_config_static_selectorELNS0_4arch9wavefront6targetE0EEEvSK_
		.amdhsa_group_segment_fixed_size 2112
		.amdhsa_private_segment_fixed_size 0
		.amdhsa_kernarg_size 336
		.amdhsa_user_sgpr_count 6
		.amdhsa_user_sgpr_private_segment_buffer 1
		.amdhsa_user_sgpr_dispatch_ptr 0
		.amdhsa_user_sgpr_queue_ptr 0
		.amdhsa_user_sgpr_kernarg_segment_ptr 1
		.amdhsa_user_sgpr_dispatch_id 0
		.amdhsa_user_sgpr_flat_scratch_init 0
		.amdhsa_user_sgpr_private_segment_size 0
		.amdhsa_wavefront_size32 1
		.amdhsa_uses_dynamic_stack 0
		.amdhsa_system_sgpr_private_segment_wavefront_offset 0
		.amdhsa_system_sgpr_workgroup_id_x 1
		.amdhsa_system_sgpr_workgroup_id_y 1
		.amdhsa_system_sgpr_workgroup_id_z 1
		.amdhsa_system_sgpr_workgroup_info 0
		.amdhsa_system_vgpr_workitem_id 0
		.amdhsa_next_free_vgpr 33
		.amdhsa_next_free_sgpr 32
		.amdhsa_reserve_vcc 1
		.amdhsa_reserve_flat_scratch 0
		.amdhsa_float_round_mode_32 0
		.amdhsa_float_round_mode_16_64 0
		.amdhsa_float_denorm_mode_32 3
		.amdhsa_float_denorm_mode_16_64 3
		.amdhsa_dx10_clamp 1
		.amdhsa_ieee_mode 1
		.amdhsa_fp16_overflow 0
		.amdhsa_workgroup_processor_mode 1
		.amdhsa_memory_ordered 1
		.amdhsa_forward_progress 1
		.amdhsa_shared_vgpr_count 0
		.amdhsa_exception_fp_ieee_invalid_op 0
		.amdhsa_exception_fp_denorm_src 0
		.amdhsa_exception_fp_ieee_div_zero 0
		.amdhsa_exception_fp_ieee_overflow 0
		.amdhsa_exception_fp_ieee_underflow 0
		.amdhsa_exception_fp_ieee_inexact 0
		.amdhsa_exception_int_div_zero 0
	.end_amdhsa_kernel
	.section	.text._ZN7rocprim17ROCPRIM_400000_NS6detail17trampoline_kernelINS0_14default_configENS1_38merge_sort_block_merge_config_selectorItNS0_10empty_typeEEEZZNS1_27merge_sort_block_merge_implIS3_N6thrust23THRUST_200600_302600_NS6detail15normal_iteratorINS9_10device_ptrItEEEEPS5_m9comp_mod3ItEEE10hipError_tT0_T1_T2_jT3_P12ihipStream_tbPNSt15iterator_traitsISJ_E10value_typeEPNSP_ISK_E10value_typeEPSL_NS1_7vsmem_tEENKUlT_SJ_SK_SL_E_clIPtSE_SF_SF_EESI_SY_SJ_SK_SL_EUlSY_E0_NS1_11comp_targetILNS1_3genE8ELNS1_11target_archE1030ELNS1_3gpuE2ELNS1_3repE0EEENS1_38merge_mergepath_config_static_selectorELNS0_4arch9wavefront6targetE0EEEvSK_,"axG",@progbits,_ZN7rocprim17ROCPRIM_400000_NS6detail17trampoline_kernelINS0_14default_configENS1_38merge_sort_block_merge_config_selectorItNS0_10empty_typeEEEZZNS1_27merge_sort_block_merge_implIS3_N6thrust23THRUST_200600_302600_NS6detail15normal_iteratorINS9_10device_ptrItEEEEPS5_m9comp_mod3ItEEE10hipError_tT0_T1_T2_jT3_P12ihipStream_tbPNSt15iterator_traitsISJ_E10value_typeEPNSP_ISK_E10value_typeEPSL_NS1_7vsmem_tEENKUlT_SJ_SK_SL_E_clIPtSE_SF_SF_EESI_SY_SJ_SK_SL_EUlSY_E0_NS1_11comp_targetILNS1_3genE8ELNS1_11target_archE1030ELNS1_3gpuE2ELNS1_3repE0EEENS1_38merge_mergepath_config_static_selectorELNS0_4arch9wavefront6targetE0EEEvSK_,comdat
.Lfunc_end889:
	.size	_ZN7rocprim17ROCPRIM_400000_NS6detail17trampoline_kernelINS0_14default_configENS1_38merge_sort_block_merge_config_selectorItNS0_10empty_typeEEEZZNS1_27merge_sort_block_merge_implIS3_N6thrust23THRUST_200600_302600_NS6detail15normal_iteratorINS9_10device_ptrItEEEEPS5_m9comp_mod3ItEEE10hipError_tT0_T1_T2_jT3_P12ihipStream_tbPNSt15iterator_traitsISJ_E10value_typeEPNSP_ISK_E10value_typeEPSL_NS1_7vsmem_tEENKUlT_SJ_SK_SL_E_clIPtSE_SF_SF_EESI_SY_SJ_SK_SL_EUlSY_E0_NS1_11comp_targetILNS1_3genE8ELNS1_11target_archE1030ELNS1_3gpuE2ELNS1_3repE0EEENS1_38merge_mergepath_config_static_selectorELNS0_4arch9wavefront6targetE0EEEvSK_, .Lfunc_end889-_ZN7rocprim17ROCPRIM_400000_NS6detail17trampoline_kernelINS0_14default_configENS1_38merge_sort_block_merge_config_selectorItNS0_10empty_typeEEEZZNS1_27merge_sort_block_merge_implIS3_N6thrust23THRUST_200600_302600_NS6detail15normal_iteratorINS9_10device_ptrItEEEEPS5_m9comp_mod3ItEEE10hipError_tT0_T1_T2_jT3_P12ihipStream_tbPNSt15iterator_traitsISJ_E10value_typeEPNSP_ISK_E10value_typeEPSL_NS1_7vsmem_tEENKUlT_SJ_SK_SL_E_clIPtSE_SF_SF_EESI_SY_SJ_SK_SL_EUlSY_E0_NS1_11comp_targetILNS1_3genE8ELNS1_11target_archE1030ELNS1_3gpuE2ELNS1_3repE0EEENS1_38merge_mergepath_config_static_selectorELNS0_4arch9wavefront6targetE0EEEvSK_
                                        ; -- End function
	.set _ZN7rocprim17ROCPRIM_400000_NS6detail17trampoline_kernelINS0_14default_configENS1_38merge_sort_block_merge_config_selectorItNS0_10empty_typeEEEZZNS1_27merge_sort_block_merge_implIS3_N6thrust23THRUST_200600_302600_NS6detail15normal_iteratorINS9_10device_ptrItEEEEPS5_m9comp_mod3ItEEE10hipError_tT0_T1_T2_jT3_P12ihipStream_tbPNSt15iterator_traitsISJ_E10value_typeEPNSP_ISK_E10value_typeEPSL_NS1_7vsmem_tEENKUlT_SJ_SK_SL_E_clIPtSE_SF_SF_EESI_SY_SJ_SK_SL_EUlSY_E0_NS1_11comp_targetILNS1_3genE8ELNS1_11target_archE1030ELNS1_3gpuE2ELNS1_3repE0EEENS1_38merge_mergepath_config_static_selectorELNS0_4arch9wavefront6targetE0EEEvSK_.num_vgpr, 33
	.set _ZN7rocprim17ROCPRIM_400000_NS6detail17trampoline_kernelINS0_14default_configENS1_38merge_sort_block_merge_config_selectorItNS0_10empty_typeEEEZZNS1_27merge_sort_block_merge_implIS3_N6thrust23THRUST_200600_302600_NS6detail15normal_iteratorINS9_10device_ptrItEEEEPS5_m9comp_mod3ItEEE10hipError_tT0_T1_T2_jT3_P12ihipStream_tbPNSt15iterator_traitsISJ_E10value_typeEPNSP_ISK_E10value_typeEPSL_NS1_7vsmem_tEENKUlT_SJ_SK_SL_E_clIPtSE_SF_SF_EESI_SY_SJ_SK_SL_EUlSY_E0_NS1_11comp_targetILNS1_3genE8ELNS1_11target_archE1030ELNS1_3gpuE2ELNS1_3repE0EEENS1_38merge_mergepath_config_static_selectorELNS0_4arch9wavefront6targetE0EEEvSK_.num_agpr, 0
	.set _ZN7rocprim17ROCPRIM_400000_NS6detail17trampoline_kernelINS0_14default_configENS1_38merge_sort_block_merge_config_selectorItNS0_10empty_typeEEEZZNS1_27merge_sort_block_merge_implIS3_N6thrust23THRUST_200600_302600_NS6detail15normal_iteratorINS9_10device_ptrItEEEEPS5_m9comp_mod3ItEEE10hipError_tT0_T1_T2_jT3_P12ihipStream_tbPNSt15iterator_traitsISJ_E10value_typeEPNSP_ISK_E10value_typeEPSL_NS1_7vsmem_tEENKUlT_SJ_SK_SL_E_clIPtSE_SF_SF_EESI_SY_SJ_SK_SL_EUlSY_E0_NS1_11comp_targetILNS1_3genE8ELNS1_11target_archE1030ELNS1_3gpuE2ELNS1_3repE0EEENS1_38merge_mergepath_config_static_selectorELNS0_4arch9wavefront6targetE0EEEvSK_.numbered_sgpr, 32
	.set _ZN7rocprim17ROCPRIM_400000_NS6detail17trampoline_kernelINS0_14default_configENS1_38merge_sort_block_merge_config_selectorItNS0_10empty_typeEEEZZNS1_27merge_sort_block_merge_implIS3_N6thrust23THRUST_200600_302600_NS6detail15normal_iteratorINS9_10device_ptrItEEEEPS5_m9comp_mod3ItEEE10hipError_tT0_T1_T2_jT3_P12ihipStream_tbPNSt15iterator_traitsISJ_E10value_typeEPNSP_ISK_E10value_typeEPSL_NS1_7vsmem_tEENKUlT_SJ_SK_SL_E_clIPtSE_SF_SF_EESI_SY_SJ_SK_SL_EUlSY_E0_NS1_11comp_targetILNS1_3genE8ELNS1_11target_archE1030ELNS1_3gpuE2ELNS1_3repE0EEENS1_38merge_mergepath_config_static_selectorELNS0_4arch9wavefront6targetE0EEEvSK_.num_named_barrier, 0
	.set _ZN7rocprim17ROCPRIM_400000_NS6detail17trampoline_kernelINS0_14default_configENS1_38merge_sort_block_merge_config_selectorItNS0_10empty_typeEEEZZNS1_27merge_sort_block_merge_implIS3_N6thrust23THRUST_200600_302600_NS6detail15normal_iteratorINS9_10device_ptrItEEEEPS5_m9comp_mod3ItEEE10hipError_tT0_T1_T2_jT3_P12ihipStream_tbPNSt15iterator_traitsISJ_E10value_typeEPNSP_ISK_E10value_typeEPSL_NS1_7vsmem_tEENKUlT_SJ_SK_SL_E_clIPtSE_SF_SF_EESI_SY_SJ_SK_SL_EUlSY_E0_NS1_11comp_targetILNS1_3genE8ELNS1_11target_archE1030ELNS1_3gpuE2ELNS1_3repE0EEENS1_38merge_mergepath_config_static_selectorELNS0_4arch9wavefront6targetE0EEEvSK_.private_seg_size, 0
	.set _ZN7rocprim17ROCPRIM_400000_NS6detail17trampoline_kernelINS0_14default_configENS1_38merge_sort_block_merge_config_selectorItNS0_10empty_typeEEEZZNS1_27merge_sort_block_merge_implIS3_N6thrust23THRUST_200600_302600_NS6detail15normal_iteratorINS9_10device_ptrItEEEEPS5_m9comp_mod3ItEEE10hipError_tT0_T1_T2_jT3_P12ihipStream_tbPNSt15iterator_traitsISJ_E10value_typeEPNSP_ISK_E10value_typeEPSL_NS1_7vsmem_tEENKUlT_SJ_SK_SL_E_clIPtSE_SF_SF_EESI_SY_SJ_SK_SL_EUlSY_E0_NS1_11comp_targetILNS1_3genE8ELNS1_11target_archE1030ELNS1_3gpuE2ELNS1_3repE0EEENS1_38merge_mergepath_config_static_selectorELNS0_4arch9wavefront6targetE0EEEvSK_.uses_vcc, 1
	.set _ZN7rocprim17ROCPRIM_400000_NS6detail17trampoline_kernelINS0_14default_configENS1_38merge_sort_block_merge_config_selectorItNS0_10empty_typeEEEZZNS1_27merge_sort_block_merge_implIS3_N6thrust23THRUST_200600_302600_NS6detail15normal_iteratorINS9_10device_ptrItEEEEPS5_m9comp_mod3ItEEE10hipError_tT0_T1_T2_jT3_P12ihipStream_tbPNSt15iterator_traitsISJ_E10value_typeEPNSP_ISK_E10value_typeEPSL_NS1_7vsmem_tEENKUlT_SJ_SK_SL_E_clIPtSE_SF_SF_EESI_SY_SJ_SK_SL_EUlSY_E0_NS1_11comp_targetILNS1_3genE8ELNS1_11target_archE1030ELNS1_3gpuE2ELNS1_3repE0EEENS1_38merge_mergepath_config_static_selectorELNS0_4arch9wavefront6targetE0EEEvSK_.uses_flat_scratch, 0
	.set _ZN7rocprim17ROCPRIM_400000_NS6detail17trampoline_kernelINS0_14default_configENS1_38merge_sort_block_merge_config_selectorItNS0_10empty_typeEEEZZNS1_27merge_sort_block_merge_implIS3_N6thrust23THRUST_200600_302600_NS6detail15normal_iteratorINS9_10device_ptrItEEEEPS5_m9comp_mod3ItEEE10hipError_tT0_T1_T2_jT3_P12ihipStream_tbPNSt15iterator_traitsISJ_E10value_typeEPNSP_ISK_E10value_typeEPSL_NS1_7vsmem_tEENKUlT_SJ_SK_SL_E_clIPtSE_SF_SF_EESI_SY_SJ_SK_SL_EUlSY_E0_NS1_11comp_targetILNS1_3genE8ELNS1_11target_archE1030ELNS1_3gpuE2ELNS1_3repE0EEENS1_38merge_mergepath_config_static_selectorELNS0_4arch9wavefront6targetE0EEEvSK_.has_dyn_sized_stack, 0
	.set _ZN7rocprim17ROCPRIM_400000_NS6detail17trampoline_kernelINS0_14default_configENS1_38merge_sort_block_merge_config_selectorItNS0_10empty_typeEEEZZNS1_27merge_sort_block_merge_implIS3_N6thrust23THRUST_200600_302600_NS6detail15normal_iteratorINS9_10device_ptrItEEEEPS5_m9comp_mod3ItEEE10hipError_tT0_T1_T2_jT3_P12ihipStream_tbPNSt15iterator_traitsISJ_E10value_typeEPNSP_ISK_E10value_typeEPSL_NS1_7vsmem_tEENKUlT_SJ_SK_SL_E_clIPtSE_SF_SF_EESI_SY_SJ_SK_SL_EUlSY_E0_NS1_11comp_targetILNS1_3genE8ELNS1_11target_archE1030ELNS1_3gpuE2ELNS1_3repE0EEENS1_38merge_mergepath_config_static_selectorELNS0_4arch9wavefront6targetE0EEEvSK_.has_recursion, 0
	.set _ZN7rocprim17ROCPRIM_400000_NS6detail17trampoline_kernelINS0_14default_configENS1_38merge_sort_block_merge_config_selectorItNS0_10empty_typeEEEZZNS1_27merge_sort_block_merge_implIS3_N6thrust23THRUST_200600_302600_NS6detail15normal_iteratorINS9_10device_ptrItEEEEPS5_m9comp_mod3ItEEE10hipError_tT0_T1_T2_jT3_P12ihipStream_tbPNSt15iterator_traitsISJ_E10value_typeEPNSP_ISK_E10value_typeEPSL_NS1_7vsmem_tEENKUlT_SJ_SK_SL_E_clIPtSE_SF_SF_EESI_SY_SJ_SK_SL_EUlSY_E0_NS1_11comp_targetILNS1_3genE8ELNS1_11target_archE1030ELNS1_3gpuE2ELNS1_3repE0EEENS1_38merge_mergepath_config_static_selectorELNS0_4arch9wavefront6targetE0EEEvSK_.has_indirect_call, 0
	.section	.AMDGPU.csdata,"",@progbits
; Kernel info:
; codeLenInByte = 4800
; TotalNumSgprs: 34
; NumVgprs: 33
; ScratchSize: 0
; MemoryBound: 0
; FloatMode: 240
; IeeeMode: 1
; LDSByteSize: 2112 bytes/workgroup (compile time only)
; SGPRBlocks: 0
; VGPRBlocks: 4
; NumSGPRsForWavesPerEU: 34
; NumVGPRsForWavesPerEU: 33
; Occupancy: 16
; WaveLimiterHint : 1
; COMPUTE_PGM_RSRC2:SCRATCH_EN: 0
; COMPUTE_PGM_RSRC2:USER_SGPR: 6
; COMPUTE_PGM_RSRC2:TRAP_HANDLER: 0
; COMPUTE_PGM_RSRC2:TGID_X_EN: 1
; COMPUTE_PGM_RSRC2:TGID_Y_EN: 1
; COMPUTE_PGM_RSRC2:TGID_Z_EN: 1
; COMPUTE_PGM_RSRC2:TIDIG_COMP_CNT: 0
	.section	.text._ZN7rocprim17ROCPRIM_400000_NS6detail17trampoline_kernelINS0_14default_configENS1_38merge_sort_block_merge_config_selectorItNS0_10empty_typeEEEZZNS1_27merge_sort_block_merge_implIS3_N6thrust23THRUST_200600_302600_NS6detail15normal_iteratorINS9_10device_ptrItEEEEPS5_m9comp_mod3ItEEE10hipError_tT0_T1_T2_jT3_P12ihipStream_tbPNSt15iterator_traitsISJ_E10value_typeEPNSP_ISK_E10value_typeEPSL_NS1_7vsmem_tEENKUlT_SJ_SK_SL_E_clIPtSE_SF_SF_EESI_SY_SJ_SK_SL_EUlSY_E1_NS1_11comp_targetILNS1_3genE0ELNS1_11target_archE4294967295ELNS1_3gpuE0ELNS1_3repE0EEENS1_36merge_oddeven_config_static_selectorELNS0_4arch9wavefront6targetE0EEEvSK_,"axG",@progbits,_ZN7rocprim17ROCPRIM_400000_NS6detail17trampoline_kernelINS0_14default_configENS1_38merge_sort_block_merge_config_selectorItNS0_10empty_typeEEEZZNS1_27merge_sort_block_merge_implIS3_N6thrust23THRUST_200600_302600_NS6detail15normal_iteratorINS9_10device_ptrItEEEEPS5_m9comp_mod3ItEEE10hipError_tT0_T1_T2_jT3_P12ihipStream_tbPNSt15iterator_traitsISJ_E10value_typeEPNSP_ISK_E10value_typeEPSL_NS1_7vsmem_tEENKUlT_SJ_SK_SL_E_clIPtSE_SF_SF_EESI_SY_SJ_SK_SL_EUlSY_E1_NS1_11comp_targetILNS1_3genE0ELNS1_11target_archE4294967295ELNS1_3gpuE0ELNS1_3repE0EEENS1_36merge_oddeven_config_static_selectorELNS0_4arch9wavefront6targetE0EEEvSK_,comdat
	.protected	_ZN7rocprim17ROCPRIM_400000_NS6detail17trampoline_kernelINS0_14default_configENS1_38merge_sort_block_merge_config_selectorItNS0_10empty_typeEEEZZNS1_27merge_sort_block_merge_implIS3_N6thrust23THRUST_200600_302600_NS6detail15normal_iteratorINS9_10device_ptrItEEEEPS5_m9comp_mod3ItEEE10hipError_tT0_T1_T2_jT3_P12ihipStream_tbPNSt15iterator_traitsISJ_E10value_typeEPNSP_ISK_E10value_typeEPSL_NS1_7vsmem_tEENKUlT_SJ_SK_SL_E_clIPtSE_SF_SF_EESI_SY_SJ_SK_SL_EUlSY_E1_NS1_11comp_targetILNS1_3genE0ELNS1_11target_archE4294967295ELNS1_3gpuE0ELNS1_3repE0EEENS1_36merge_oddeven_config_static_selectorELNS0_4arch9wavefront6targetE0EEEvSK_ ; -- Begin function _ZN7rocprim17ROCPRIM_400000_NS6detail17trampoline_kernelINS0_14default_configENS1_38merge_sort_block_merge_config_selectorItNS0_10empty_typeEEEZZNS1_27merge_sort_block_merge_implIS3_N6thrust23THRUST_200600_302600_NS6detail15normal_iteratorINS9_10device_ptrItEEEEPS5_m9comp_mod3ItEEE10hipError_tT0_T1_T2_jT3_P12ihipStream_tbPNSt15iterator_traitsISJ_E10value_typeEPNSP_ISK_E10value_typeEPSL_NS1_7vsmem_tEENKUlT_SJ_SK_SL_E_clIPtSE_SF_SF_EESI_SY_SJ_SK_SL_EUlSY_E1_NS1_11comp_targetILNS1_3genE0ELNS1_11target_archE4294967295ELNS1_3gpuE0ELNS1_3repE0EEENS1_36merge_oddeven_config_static_selectorELNS0_4arch9wavefront6targetE0EEEvSK_
	.globl	_ZN7rocprim17ROCPRIM_400000_NS6detail17trampoline_kernelINS0_14default_configENS1_38merge_sort_block_merge_config_selectorItNS0_10empty_typeEEEZZNS1_27merge_sort_block_merge_implIS3_N6thrust23THRUST_200600_302600_NS6detail15normal_iteratorINS9_10device_ptrItEEEEPS5_m9comp_mod3ItEEE10hipError_tT0_T1_T2_jT3_P12ihipStream_tbPNSt15iterator_traitsISJ_E10value_typeEPNSP_ISK_E10value_typeEPSL_NS1_7vsmem_tEENKUlT_SJ_SK_SL_E_clIPtSE_SF_SF_EESI_SY_SJ_SK_SL_EUlSY_E1_NS1_11comp_targetILNS1_3genE0ELNS1_11target_archE4294967295ELNS1_3gpuE0ELNS1_3repE0EEENS1_36merge_oddeven_config_static_selectorELNS0_4arch9wavefront6targetE0EEEvSK_
	.p2align	8
	.type	_ZN7rocprim17ROCPRIM_400000_NS6detail17trampoline_kernelINS0_14default_configENS1_38merge_sort_block_merge_config_selectorItNS0_10empty_typeEEEZZNS1_27merge_sort_block_merge_implIS3_N6thrust23THRUST_200600_302600_NS6detail15normal_iteratorINS9_10device_ptrItEEEEPS5_m9comp_mod3ItEEE10hipError_tT0_T1_T2_jT3_P12ihipStream_tbPNSt15iterator_traitsISJ_E10value_typeEPNSP_ISK_E10value_typeEPSL_NS1_7vsmem_tEENKUlT_SJ_SK_SL_E_clIPtSE_SF_SF_EESI_SY_SJ_SK_SL_EUlSY_E1_NS1_11comp_targetILNS1_3genE0ELNS1_11target_archE4294967295ELNS1_3gpuE0ELNS1_3repE0EEENS1_36merge_oddeven_config_static_selectorELNS0_4arch9wavefront6targetE0EEEvSK_,@function
_ZN7rocprim17ROCPRIM_400000_NS6detail17trampoline_kernelINS0_14default_configENS1_38merge_sort_block_merge_config_selectorItNS0_10empty_typeEEEZZNS1_27merge_sort_block_merge_implIS3_N6thrust23THRUST_200600_302600_NS6detail15normal_iteratorINS9_10device_ptrItEEEEPS5_m9comp_mod3ItEEE10hipError_tT0_T1_T2_jT3_P12ihipStream_tbPNSt15iterator_traitsISJ_E10value_typeEPNSP_ISK_E10value_typeEPSL_NS1_7vsmem_tEENKUlT_SJ_SK_SL_E_clIPtSE_SF_SF_EESI_SY_SJ_SK_SL_EUlSY_E1_NS1_11comp_targetILNS1_3genE0ELNS1_11target_archE4294967295ELNS1_3gpuE0ELNS1_3repE0EEENS1_36merge_oddeven_config_static_selectorELNS0_4arch9wavefront6targetE0EEEvSK_: ; @_ZN7rocprim17ROCPRIM_400000_NS6detail17trampoline_kernelINS0_14default_configENS1_38merge_sort_block_merge_config_selectorItNS0_10empty_typeEEEZZNS1_27merge_sort_block_merge_implIS3_N6thrust23THRUST_200600_302600_NS6detail15normal_iteratorINS9_10device_ptrItEEEEPS5_m9comp_mod3ItEEE10hipError_tT0_T1_T2_jT3_P12ihipStream_tbPNSt15iterator_traitsISJ_E10value_typeEPNSP_ISK_E10value_typeEPSL_NS1_7vsmem_tEENKUlT_SJ_SK_SL_E_clIPtSE_SF_SF_EESI_SY_SJ_SK_SL_EUlSY_E1_NS1_11comp_targetILNS1_3genE0ELNS1_11target_archE4294967295ELNS1_3gpuE0ELNS1_3repE0EEENS1_36merge_oddeven_config_static_selectorELNS0_4arch9wavefront6targetE0EEEvSK_
; %bb.0:
	.section	.rodata,"a",@progbits
	.p2align	6, 0x0
	.amdhsa_kernel _ZN7rocprim17ROCPRIM_400000_NS6detail17trampoline_kernelINS0_14default_configENS1_38merge_sort_block_merge_config_selectorItNS0_10empty_typeEEEZZNS1_27merge_sort_block_merge_implIS3_N6thrust23THRUST_200600_302600_NS6detail15normal_iteratorINS9_10device_ptrItEEEEPS5_m9comp_mod3ItEEE10hipError_tT0_T1_T2_jT3_P12ihipStream_tbPNSt15iterator_traitsISJ_E10value_typeEPNSP_ISK_E10value_typeEPSL_NS1_7vsmem_tEENKUlT_SJ_SK_SL_E_clIPtSE_SF_SF_EESI_SY_SJ_SK_SL_EUlSY_E1_NS1_11comp_targetILNS1_3genE0ELNS1_11target_archE4294967295ELNS1_3gpuE0ELNS1_3repE0EEENS1_36merge_oddeven_config_static_selectorELNS0_4arch9wavefront6targetE0EEEvSK_
		.amdhsa_group_segment_fixed_size 0
		.amdhsa_private_segment_fixed_size 0
		.amdhsa_kernarg_size 56
		.amdhsa_user_sgpr_count 6
		.amdhsa_user_sgpr_private_segment_buffer 1
		.amdhsa_user_sgpr_dispatch_ptr 0
		.amdhsa_user_sgpr_queue_ptr 0
		.amdhsa_user_sgpr_kernarg_segment_ptr 1
		.amdhsa_user_sgpr_dispatch_id 0
		.amdhsa_user_sgpr_flat_scratch_init 0
		.amdhsa_user_sgpr_private_segment_size 0
		.amdhsa_wavefront_size32 1
		.amdhsa_uses_dynamic_stack 0
		.amdhsa_system_sgpr_private_segment_wavefront_offset 0
		.amdhsa_system_sgpr_workgroup_id_x 1
		.amdhsa_system_sgpr_workgroup_id_y 0
		.amdhsa_system_sgpr_workgroup_id_z 0
		.amdhsa_system_sgpr_workgroup_info 0
		.amdhsa_system_vgpr_workitem_id 0
		.amdhsa_next_free_vgpr 1
		.amdhsa_next_free_sgpr 1
		.amdhsa_reserve_vcc 0
		.amdhsa_reserve_flat_scratch 0
		.amdhsa_float_round_mode_32 0
		.amdhsa_float_round_mode_16_64 0
		.amdhsa_float_denorm_mode_32 3
		.amdhsa_float_denorm_mode_16_64 3
		.amdhsa_dx10_clamp 1
		.amdhsa_ieee_mode 1
		.amdhsa_fp16_overflow 0
		.amdhsa_workgroup_processor_mode 1
		.amdhsa_memory_ordered 1
		.amdhsa_forward_progress 1
		.amdhsa_shared_vgpr_count 0
		.amdhsa_exception_fp_ieee_invalid_op 0
		.amdhsa_exception_fp_denorm_src 0
		.amdhsa_exception_fp_ieee_div_zero 0
		.amdhsa_exception_fp_ieee_overflow 0
		.amdhsa_exception_fp_ieee_underflow 0
		.amdhsa_exception_fp_ieee_inexact 0
		.amdhsa_exception_int_div_zero 0
	.end_amdhsa_kernel
	.section	.text._ZN7rocprim17ROCPRIM_400000_NS6detail17trampoline_kernelINS0_14default_configENS1_38merge_sort_block_merge_config_selectorItNS0_10empty_typeEEEZZNS1_27merge_sort_block_merge_implIS3_N6thrust23THRUST_200600_302600_NS6detail15normal_iteratorINS9_10device_ptrItEEEEPS5_m9comp_mod3ItEEE10hipError_tT0_T1_T2_jT3_P12ihipStream_tbPNSt15iterator_traitsISJ_E10value_typeEPNSP_ISK_E10value_typeEPSL_NS1_7vsmem_tEENKUlT_SJ_SK_SL_E_clIPtSE_SF_SF_EESI_SY_SJ_SK_SL_EUlSY_E1_NS1_11comp_targetILNS1_3genE0ELNS1_11target_archE4294967295ELNS1_3gpuE0ELNS1_3repE0EEENS1_36merge_oddeven_config_static_selectorELNS0_4arch9wavefront6targetE0EEEvSK_,"axG",@progbits,_ZN7rocprim17ROCPRIM_400000_NS6detail17trampoline_kernelINS0_14default_configENS1_38merge_sort_block_merge_config_selectorItNS0_10empty_typeEEEZZNS1_27merge_sort_block_merge_implIS3_N6thrust23THRUST_200600_302600_NS6detail15normal_iteratorINS9_10device_ptrItEEEEPS5_m9comp_mod3ItEEE10hipError_tT0_T1_T2_jT3_P12ihipStream_tbPNSt15iterator_traitsISJ_E10value_typeEPNSP_ISK_E10value_typeEPSL_NS1_7vsmem_tEENKUlT_SJ_SK_SL_E_clIPtSE_SF_SF_EESI_SY_SJ_SK_SL_EUlSY_E1_NS1_11comp_targetILNS1_3genE0ELNS1_11target_archE4294967295ELNS1_3gpuE0ELNS1_3repE0EEENS1_36merge_oddeven_config_static_selectorELNS0_4arch9wavefront6targetE0EEEvSK_,comdat
.Lfunc_end890:
	.size	_ZN7rocprim17ROCPRIM_400000_NS6detail17trampoline_kernelINS0_14default_configENS1_38merge_sort_block_merge_config_selectorItNS0_10empty_typeEEEZZNS1_27merge_sort_block_merge_implIS3_N6thrust23THRUST_200600_302600_NS6detail15normal_iteratorINS9_10device_ptrItEEEEPS5_m9comp_mod3ItEEE10hipError_tT0_T1_T2_jT3_P12ihipStream_tbPNSt15iterator_traitsISJ_E10value_typeEPNSP_ISK_E10value_typeEPSL_NS1_7vsmem_tEENKUlT_SJ_SK_SL_E_clIPtSE_SF_SF_EESI_SY_SJ_SK_SL_EUlSY_E1_NS1_11comp_targetILNS1_3genE0ELNS1_11target_archE4294967295ELNS1_3gpuE0ELNS1_3repE0EEENS1_36merge_oddeven_config_static_selectorELNS0_4arch9wavefront6targetE0EEEvSK_, .Lfunc_end890-_ZN7rocprim17ROCPRIM_400000_NS6detail17trampoline_kernelINS0_14default_configENS1_38merge_sort_block_merge_config_selectorItNS0_10empty_typeEEEZZNS1_27merge_sort_block_merge_implIS3_N6thrust23THRUST_200600_302600_NS6detail15normal_iteratorINS9_10device_ptrItEEEEPS5_m9comp_mod3ItEEE10hipError_tT0_T1_T2_jT3_P12ihipStream_tbPNSt15iterator_traitsISJ_E10value_typeEPNSP_ISK_E10value_typeEPSL_NS1_7vsmem_tEENKUlT_SJ_SK_SL_E_clIPtSE_SF_SF_EESI_SY_SJ_SK_SL_EUlSY_E1_NS1_11comp_targetILNS1_3genE0ELNS1_11target_archE4294967295ELNS1_3gpuE0ELNS1_3repE0EEENS1_36merge_oddeven_config_static_selectorELNS0_4arch9wavefront6targetE0EEEvSK_
                                        ; -- End function
	.set _ZN7rocprim17ROCPRIM_400000_NS6detail17trampoline_kernelINS0_14default_configENS1_38merge_sort_block_merge_config_selectorItNS0_10empty_typeEEEZZNS1_27merge_sort_block_merge_implIS3_N6thrust23THRUST_200600_302600_NS6detail15normal_iteratorINS9_10device_ptrItEEEEPS5_m9comp_mod3ItEEE10hipError_tT0_T1_T2_jT3_P12ihipStream_tbPNSt15iterator_traitsISJ_E10value_typeEPNSP_ISK_E10value_typeEPSL_NS1_7vsmem_tEENKUlT_SJ_SK_SL_E_clIPtSE_SF_SF_EESI_SY_SJ_SK_SL_EUlSY_E1_NS1_11comp_targetILNS1_3genE0ELNS1_11target_archE4294967295ELNS1_3gpuE0ELNS1_3repE0EEENS1_36merge_oddeven_config_static_selectorELNS0_4arch9wavefront6targetE0EEEvSK_.num_vgpr, 0
	.set _ZN7rocprim17ROCPRIM_400000_NS6detail17trampoline_kernelINS0_14default_configENS1_38merge_sort_block_merge_config_selectorItNS0_10empty_typeEEEZZNS1_27merge_sort_block_merge_implIS3_N6thrust23THRUST_200600_302600_NS6detail15normal_iteratorINS9_10device_ptrItEEEEPS5_m9comp_mod3ItEEE10hipError_tT0_T1_T2_jT3_P12ihipStream_tbPNSt15iterator_traitsISJ_E10value_typeEPNSP_ISK_E10value_typeEPSL_NS1_7vsmem_tEENKUlT_SJ_SK_SL_E_clIPtSE_SF_SF_EESI_SY_SJ_SK_SL_EUlSY_E1_NS1_11comp_targetILNS1_3genE0ELNS1_11target_archE4294967295ELNS1_3gpuE0ELNS1_3repE0EEENS1_36merge_oddeven_config_static_selectorELNS0_4arch9wavefront6targetE0EEEvSK_.num_agpr, 0
	.set _ZN7rocprim17ROCPRIM_400000_NS6detail17trampoline_kernelINS0_14default_configENS1_38merge_sort_block_merge_config_selectorItNS0_10empty_typeEEEZZNS1_27merge_sort_block_merge_implIS3_N6thrust23THRUST_200600_302600_NS6detail15normal_iteratorINS9_10device_ptrItEEEEPS5_m9comp_mod3ItEEE10hipError_tT0_T1_T2_jT3_P12ihipStream_tbPNSt15iterator_traitsISJ_E10value_typeEPNSP_ISK_E10value_typeEPSL_NS1_7vsmem_tEENKUlT_SJ_SK_SL_E_clIPtSE_SF_SF_EESI_SY_SJ_SK_SL_EUlSY_E1_NS1_11comp_targetILNS1_3genE0ELNS1_11target_archE4294967295ELNS1_3gpuE0ELNS1_3repE0EEENS1_36merge_oddeven_config_static_selectorELNS0_4arch9wavefront6targetE0EEEvSK_.numbered_sgpr, 0
	.set _ZN7rocprim17ROCPRIM_400000_NS6detail17trampoline_kernelINS0_14default_configENS1_38merge_sort_block_merge_config_selectorItNS0_10empty_typeEEEZZNS1_27merge_sort_block_merge_implIS3_N6thrust23THRUST_200600_302600_NS6detail15normal_iteratorINS9_10device_ptrItEEEEPS5_m9comp_mod3ItEEE10hipError_tT0_T1_T2_jT3_P12ihipStream_tbPNSt15iterator_traitsISJ_E10value_typeEPNSP_ISK_E10value_typeEPSL_NS1_7vsmem_tEENKUlT_SJ_SK_SL_E_clIPtSE_SF_SF_EESI_SY_SJ_SK_SL_EUlSY_E1_NS1_11comp_targetILNS1_3genE0ELNS1_11target_archE4294967295ELNS1_3gpuE0ELNS1_3repE0EEENS1_36merge_oddeven_config_static_selectorELNS0_4arch9wavefront6targetE0EEEvSK_.num_named_barrier, 0
	.set _ZN7rocprim17ROCPRIM_400000_NS6detail17trampoline_kernelINS0_14default_configENS1_38merge_sort_block_merge_config_selectorItNS0_10empty_typeEEEZZNS1_27merge_sort_block_merge_implIS3_N6thrust23THRUST_200600_302600_NS6detail15normal_iteratorINS9_10device_ptrItEEEEPS5_m9comp_mod3ItEEE10hipError_tT0_T1_T2_jT3_P12ihipStream_tbPNSt15iterator_traitsISJ_E10value_typeEPNSP_ISK_E10value_typeEPSL_NS1_7vsmem_tEENKUlT_SJ_SK_SL_E_clIPtSE_SF_SF_EESI_SY_SJ_SK_SL_EUlSY_E1_NS1_11comp_targetILNS1_3genE0ELNS1_11target_archE4294967295ELNS1_3gpuE0ELNS1_3repE0EEENS1_36merge_oddeven_config_static_selectorELNS0_4arch9wavefront6targetE0EEEvSK_.private_seg_size, 0
	.set _ZN7rocprim17ROCPRIM_400000_NS6detail17trampoline_kernelINS0_14default_configENS1_38merge_sort_block_merge_config_selectorItNS0_10empty_typeEEEZZNS1_27merge_sort_block_merge_implIS3_N6thrust23THRUST_200600_302600_NS6detail15normal_iteratorINS9_10device_ptrItEEEEPS5_m9comp_mod3ItEEE10hipError_tT0_T1_T2_jT3_P12ihipStream_tbPNSt15iterator_traitsISJ_E10value_typeEPNSP_ISK_E10value_typeEPSL_NS1_7vsmem_tEENKUlT_SJ_SK_SL_E_clIPtSE_SF_SF_EESI_SY_SJ_SK_SL_EUlSY_E1_NS1_11comp_targetILNS1_3genE0ELNS1_11target_archE4294967295ELNS1_3gpuE0ELNS1_3repE0EEENS1_36merge_oddeven_config_static_selectorELNS0_4arch9wavefront6targetE0EEEvSK_.uses_vcc, 0
	.set _ZN7rocprim17ROCPRIM_400000_NS6detail17trampoline_kernelINS0_14default_configENS1_38merge_sort_block_merge_config_selectorItNS0_10empty_typeEEEZZNS1_27merge_sort_block_merge_implIS3_N6thrust23THRUST_200600_302600_NS6detail15normal_iteratorINS9_10device_ptrItEEEEPS5_m9comp_mod3ItEEE10hipError_tT0_T1_T2_jT3_P12ihipStream_tbPNSt15iterator_traitsISJ_E10value_typeEPNSP_ISK_E10value_typeEPSL_NS1_7vsmem_tEENKUlT_SJ_SK_SL_E_clIPtSE_SF_SF_EESI_SY_SJ_SK_SL_EUlSY_E1_NS1_11comp_targetILNS1_3genE0ELNS1_11target_archE4294967295ELNS1_3gpuE0ELNS1_3repE0EEENS1_36merge_oddeven_config_static_selectorELNS0_4arch9wavefront6targetE0EEEvSK_.uses_flat_scratch, 0
	.set _ZN7rocprim17ROCPRIM_400000_NS6detail17trampoline_kernelINS0_14default_configENS1_38merge_sort_block_merge_config_selectorItNS0_10empty_typeEEEZZNS1_27merge_sort_block_merge_implIS3_N6thrust23THRUST_200600_302600_NS6detail15normal_iteratorINS9_10device_ptrItEEEEPS5_m9comp_mod3ItEEE10hipError_tT0_T1_T2_jT3_P12ihipStream_tbPNSt15iterator_traitsISJ_E10value_typeEPNSP_ISK_E10value_typeEPSL_NS1_7vsmem_tEENKUlT_SJ_SK_SL_E_clIPtSE_SF_SF_EESI_SY_SJ_SK_SL_EUlSY_E1_NS1_11comp_targetILNS1_3genE0ELNS1_11target_archE4294967295ELNS1_3gpuE0ELNS1_3repE0EEENS1_36merge_oddeven_config_static_selectorELNS0_4arch9wavefront6targetE0EEEvSK_.has_dyn_sized_stack, 0
	.set _ZN7rocprim17ROCPRIM_400000_NS6detail17trampoline_kernelINS0_14default_configENS1_38merge_sort_block_merge_config_selectorItNS0_10empty_typeEEEZZNS1_27merge_sort_block_merge_implIS3_N6thrust23THRUST_200600_302600_NS6detail15normal_iteratorINS9_10device_ptrItEEEEPS5_m9comp_mod3ItEEE10hipError_tT0_T1_T2_jT3_P12ihipStream_tbPNSt15iterator_traitsISJ_E10value_typeEPNSP_ISK_E10value_typeEPSL_NS1_7vsmem_tEENKUlT_SJ_SK_SL_E_clIPtSE_SF_SF_EESI_SY_SJ_SK_SL_EUlSY_E1_NS1_11comp_targetILNS1_3genE0ELNS1_11target_archE4294967295ELNS1_3gpuE0ELNS1_3repE0EEENS1_36merge_oddeven_config_static_selectorELNS0_4arch9wavefront6targetE0EEEvSK_.has_recursion, 0
	.set _ZN7rocprim17ROCPRIM_400000_NS6detail17trampoline_kernelINS0_14default_configENS1_38merge_sort_block_merge_config_selectorItNS0_10empty_typeEEEZZNS1_27merge_sort_block_merge_implIS3_N6thrust23THRUST_200600_302600_NS6detail15normal_iteratorINS9_10device_ptrItEEEEPS5_m9comp_mod3ItEEE10hipError_tT0_T1_T2_jT3_P12ihipStream_tbPNSt15iterator_traitsISJ_E10value_typeEPNSP_ISK_E10value_typeEPSL_NS1_7vsmem_tEENKUlT_SJ_SK_SL_E_clIPtSE_SF_SF_EESI_SY_SJ_SK_SL_EUlSY_E1_NS1_11comp_targetILNS1_3genE0ELNS1_11target_archE4294967295ELNS1_3gpuE0ELNS1_3repE0EEENS1_36merge_oddeven_config_static_selectorELNS0_4arch9wavefront6targetE0EEEvSK_.has_indirect_call, 0
	.section	.AMDGPU.csdata,"",@progbits
; Kernel info:
; codeLenInByte = 0
; TotalNumSgprs: 0
; NumVgprs: 0
; ScratchSize: 0
; MemoryBound: 0
; FloatMode: 240
; IeeeMode: 1
; LDSByteSize: 0 bytes/workgroup (compile time only)
; SGPRBlocks: 0
; VGPRBlocks: 0
; NumSGPRsForWavesPerEU: 1
; NumVGPRsForWavesPerEU: 1
; Occupancy: 16
; WaveLimiterHint : 0
; COMPUTE_PGM_RSRC2:SCRATCH_EN: 0
; COMPUTE_PGM_RSRC2:USER_SGPR: 6
; COMPUTE_PGM_RSRC2:TRAP_HANDLER: 0
; COMPUTE_PGM_RSRC2:TGID_X_EN: 1
; COMPUTE_PGM_RSRC2:TGID_Y_EN: 0
; COMPUTE_PGM_RSRC2:TGID_Z_EN: 0
; COMPUTE_PGM_RSRC2:TIDIG_COMP_CNT: 0
	.section	.text._ZN7rocprim17ROCPRIM_400000_NS6detail17trampoline_kernelINS0_14default_configENS1_38merge_sort_block_merge_config_selectorItNS0_10empty_typeEEEZZNS1_27merge_sort_block_merge_implIS3_N6thrust23THRUST_200600_302600_NS6detail15normal_iteratorINS9_10device_ptrItEEEEPS5_m9comp_mod3ItEEE10hipError_tT0_T1_T2_jT3_P12ihipStream_tbPNSt15iterator_traitsISJ_E10value_typeEPNSP_ISK_E10value_typeEPSL_NS1_7vsmem_tEENKUlT_SJ_SK_SL_E_clIPtSE_SF_SF_EESI_SY_SJ_SK_SL_EUlSY_E1_NS1_11comp_targetILNS1_3genE10ELNS1_11target_archE1201ELNS1_3gpuE5ELNS1_3repE0EEENS1_36merge_oddeven_config_static_selectorELNS0_4arch9wavefront6targetE0EEEvSK_,"axG",@progbits,_ZN7rocprim17ROCPRIM_400000_NS6detail17trampoline_kernelINS0_14default_configENS1_38merge_sort_block_merge_config_selectorItNS0_10empty_typeEEEZZNS1_27merge_sort_block_merge_implIS3_N6thrust23THRUST_200600_302600_NS6detail15normal_iteratorINS9_10device_ptrItEEEEPS5_m9comp_mod3ItEEE10hipError_tT0_T1_T2_jT3_P12ihipStream_tbPNSt15iterator_traitsISJ_E10value_typeEPNSP_ISK_E10value_typeEPSL_NS1_7vsmem_tEENKUlT_SJ_SK_SL_E_clIPtSE_SF_SF_EESI_SY_SJ_SK_SL_EUlSY_E1_NS1_11comp_targetILNS1_3genE10ELNS1_11target_archE1201ELNS1_3gpuE5ELNS1_3repE0EEENS1_36merge_oddeven_config_static_selectorELNS0_4arch9wavefront6targetE0EEEvSK_,comdat
	.protected	_ZN7rocprim17ROCPRIM_400000_NS6detail17trampoline_kernelINS0_14default_configENS1_38merge_sort_block_merge_config_selectorItNS0_10empty_typeEEEZZNS1_27merge_sort_block_merge_implIS3_N6thrust23THRUST_200600_302600_NS6detail15normal_iteratorINS9_10device_ptrItEEEEPS5_m9comp_mod3ItEEE10hipError_tT0_T1_T2_jT3_P12ihipStream_tbPNSt15iterator_traitsISJ_E10value_typeEPNSP_ISK_E10value_typeEPSL_NS1_7vsmem_tEENKUlT_SJ_SK_SL_E_clIPtSE_SF_SF_EESI_SY_SJ_SK_SL_EUlSY_E1_NS1_11comp_targetILNS1_3genE10ELNS1_11target_archE1201ELNS1_3gpuE5ELNS1_3repE0EEENS1_36merge_oddeven_config_static_selectorELNS0_4arch9wavefront6targetE0EEEvSK_ ; -- Begin function _ZN7rocprim17ROCPRIM_400000_NS6detail17trampoline_kernelINS0_14default_configENS1_38merge_sort_block_merge_config_selectorItNS0_10empty_typeEEEZZNS1_27merge_sort_block_merge_implIS3_N6thrust23THRUST_200600_302600_NS6detail15normal_iteratorINS9_10device_ptrItEEEEPS5_m9comp_mod3ItEEE10hipError_tT0_T1_T2_jT3_P12ihipStream_tbPNSt15iterator_traitsISJ_E10value_typeEPNSP_ISK_E10value_typeEPSL_NS1_7vsmem_tEENKUlT_SJ_SK_SL_E_clIPtSE_SF_SF_EESI_SY_SJ_SK_SL_EUlSY_E1_NS1_11comp_targetILNS1_3genE10ELNS1_11target_archE1201ELNS1_3gpuE5ELNS1_3repE0EEENS1_36merge_oddeven_config_static_selectorELNS0_4arch9wavefront6targetE0EEEvSK_
	.globl	_ZN7rocprim17ROCPRIM_400000_NS6detail17trampoline_kernelINS0_14default_configENS1_38merge_sort_block_merge_config_selectorItNS0_10empty_typeEEEZZNS1_27merge_sort_block_merge_implIS3_N6thrust23THRUST_200600_302600_NS6detail15normal_iteratorINS9_10device_ptrItEEEEPS5_m9comp_mod3ItEEE10hipError_tT0_T1_T2_jT3_P12ihipStream_tbPNSt15iterator_traitsISJ_E10value_typeEPNSP_ISK_E10value_typeEPSL_NS1_7vsmem_tEENKUlT_SJ_SK_SL_E_clIPtSE_SF_SF_EESI_SY_SJ_SK_SL_EUlSY_E1_NS1_11comp_targetILNS1_3genE10ELNS1_11target_archE1201ELNS1_3gpuE5ELNS1_3repE0EEENS1_36merge_oddeven_config_static_selectorELNS0_4arch9wavefront6targetE0EEEvSK_
	.p2align	8
	.type	_ZN7rocprim17ROCPRIM_400000_NS6detail17trampoline_kernelINS0_14default_configENS1_38merge_sort_block_merge_config_selectorItNS0_10empty_typeEEEZZNS1_27merge_sort_block_merge_implIS3_N6thrust23THRUST_200600_302600_NS6detail15normal_iteratorINS9_10device_ptrItEEEEPS5_m9comp_mod3ItEEE10hipError_tT0_T1_T2_jT3_P12ihipStream_tbPNSt15iterator_traitsISJ_E10value_typeEPNSP_ISK_E10value_typeEPSL_NS1_7vsmem_tEENKUlT_SJ_SK_SL_E_clIPtSE_SF_SF_EESI_SY_SJ_SK_SL_EUlSY_E1_NS1_11comp_targetILNS1_3genE10ELNS1_11target_archE1201ELNS1_3gpuE5ELNS1_3repE0EEENS1_36merge_oddeven_config_static_selectorELNS0_4arch9wavefront6targetE0EEEvSK_,@function
_ZN7rocprim17ROCPRIM_400000_NS6detail17trampoline_kernelINS0_14default_configENS1_38merge_sort_block_merge_config_selectorItNS0_10empty_typeEEEZZNS1_27merge_sort_block_merge_implIS3_N6thrust23THRUST_200600_302600_NS6detail15normal_iteratorINS9_10device_ptrItEEEEPS5_m9comp_mod3ItEEE10hipError_tT0_T1_T2_jT3_P12ihipStream_tbPNSt15iterator_traitsISJ_E10value_typeEPNSP_ISK_E10value_typeEPSL_NS1_7vsmem_tEENKUlT_SJ_SK_SL_E_clIPtSE_SF_SF_EESI_SY_SJ_SK_SL_EUlSY_E1_NS1_11comp_targetILNS1_3genE10ELNS1_11target_archE1201ELNS1_3gpuE5ELNS1_3repE0EEENS1_36merge_oddeven_config_static_selectorELNS0_4arch9wavefront6targetE0EEEvSK_: ; @_ZN7rocprim17ROCPRIM_400000_NS6detail17trampoline_kernelINS0_14default_configENS1_38merge_sort_block_merge_config_selectorItNS0_10empty_typeEEEZZNS1_27merge_sort_block_merge_implIS3_N6thrust23THRUST_200600_302600_NS6detail15normal_iteratorINS9_10device_ptrItEEEEPS5_m9comp_mod3ItEEE10hipError_tT0_T1_T2_jT3_P12ihipStream_tbPNSt15iterator_traitsISJ_E10value_typeEPNSP_ISK_E10value_typeEPSL_NS1_7vsmem_tEENKUlT_SJ_SK_SL_E_clIPtSE_SF_SF_EESI_SY_SJ_SK_SL_EUlSY_E1_NS1_11comp_targetILNS1_3genE10ELNS1_11target_archE1201ELNS1_3gpuE5ELNS1_3repE0EEENS1_36merge_oddeven_config_static_selectorELNS0_4arch9wavefront6targetE0EEEvSK_
; %bb.0:
	.section	.rodata,"a",@progbits
	.p2align	6, 0x0
	.amdhsa_kernel _ZN7rocprim17ROCPRIM_400000_NS6detail17trampoline_kernelINS0_14default_configENS1_38merge_sort_block_merge_config_selectorItNS0_10empty_typeEEEZZNS1_27merge_sort_block_merge_implIS3_N6thrust23THRUST_200600_302600_NS6detail15normal_iteratorINS9_10device_ptrItEEEEPS5_m9comp_mod3ItEEE10hipError_tT0_T1_T2_jT3_P12ihipStream_tbPNSt15iterator_traitsISJ_E10value_typeEPNSP_ISK_E10value_typeEPSL_NS1_7vsmem_tEENKUlT_SJ_SK_SL_E_clIPtSE_SF_SF_EESI_SY_SJ_SK_SL_EUlSY_E1_NS1_11comp_targetILNS1_3genE10ELNS1_11target_archE1201ELNS1_3gpuE5ELNS1_3repE0EEENS1_36merge_oddeven_config_static_selectorELNS0_4arch9wavefront6targetE0EEEvSK_
		.amdhsa_group_segment_fixed_size 0
		.amdhsa_private_segment_fixed_size 0
		.amdhsa_kernarg_size 56
		.amdhsa_user_sgpr_count 6
		.amdhsa_user_sgpr_private_segment_buffer 1
		.amdhsa_user_sgpr_dispatch_ptr 0
		.amdhsa_user_sgpr_queue_ptr 0
		.amdhsa_user_sgpr_kernarg_segment_ptr 1
		.amdhsa_user_sgpr_dispatch_id 0
		.amdhsa_user_sgpr_flat_scratch_init 0
		.amdhsa_user_sgpr_private_segment_size 0
		.amdhsa_wavefront_size32 1
		.amdhsa_uses_dynamic_stack 0
		.amdhsa_system_sgpr_private_segment_wavefront_offset 0
		.amdhsa_system_sgpr_workgroup_id_x 1
		.amdhsa_system_sgpr_workgroup_id_y 0
		.amdhsa_system_sgpr_workgroup_id_z 0
		.amdhsa_system_sgpr_workgroup_info 0
		.amdhsa_system_vgpr_workitem_id 0
		.amdhsa_next_free_vgpr 1
		.amdhsa_next_free_sgpr 1
		.amdhsa_reserve_vcc 0
		.amdhsa_reserve_flat_scratch 0
		.amdhsa_float_round_mode_32 0
		.amdhsa_float_round_mode_16_64 0
		.amdhsa_float_denorm_mode_32 3
		.amdhsa_float_denorm_mode_16_64 3
		.amdhsa_dx10_clamp 1
		.amdhsa_ieee_mode 1
		.amdhsa_fp16_overflow 0
		.amdhsa_workgroup_processor_mode 1
		.amdhsa_memory_ordered 1
		.amdhsa_forward_progress 1
		.amdhsa_shared_vgpr_count 0
		.amdhsa_exception_fp_ieee_invalid_op 0
		.amdhsa_exception_fp_denorm_src 0
		.amdhsa_exception_fp_ieee_div_zero 0
		.amdhsa_exception_fp_ieee_overflow 0
		.amdhsa_exception_fp_ieee_underflow 0
		.amdhsa_exception_fp_ieee_inexact 0
		.amdhsa_exception_int_div_zero 0
	.end_amdhsa_kernel
	.section	.text._ZN7rocprim17ROCPRIM_400000_NS6detail17trampoline_kernelINS0_14default_configENS1_38merge_sort_block_merge_config_selectorItNS0_10empty_typeEEEZZNS1_27merge_sort_block_merge_implIS3_N6thrust23THRUST_200600_302600_NS6detail15normal_iteratorINS9_10device_ptrItEEEEPS5_m9comp_mod3ItEEE10hipError_tT0_T1_T2_jT3_P12ihipStream_tbPNSt15iterator_traitsISJ_E10value_typeEPNSP_ISK_E10value_typeEPSL_NS1_7vsmem_tEENKUlT_SJ_SK_SL_E_clIPtSE_SF_SF_EESI_SY_SJ_SK_SL_EUlSY_E1_NS1_11comp_targetILNS1_3genE10ELNS1_11target_archE1201ELNS1_3gpuE5ELNS1_3repE0EEENS1_36merge_oddeven_config_static_selectorELNS0_4arch9wavefront6targetE0EEEvSK_,"axG",@progbits,_ZN7rocprim17ROCPRIM_400000_NS6detail17trampoline_kernelINS0_14default_configENS1_38merge_sort_block_merge_config_selectorItNS0_10empty_typeEEEZZNS1_27merge_sort_block_merge_implIS3_N6thrust23THRUST_200600_302600_NS6detail15normal_iteratorINS9_10device_ptrItEEEEPS5_m9comp_mod3ItEEE10hipError_tT0_T1_T2_jT3_P12ihipStream_tbPNSt15iterator_traitsISJ_E10value_typeEPNSP_ISK_E10value_typeEPSL_NS1_7vsmem_tEENKUlT_SJ_SK_SL_E_clIPtSE_SF_SF_EESI_SY_SJ_SK_SL_EUlSY_E1_NS1_11comp_targetILNS1_3genE10ELNS1_11target_archE1201ELNS1_3gpuE5ELNS1_3repE0EEENS1_36merge_oddeven_config_static_selectorELNS0_4arch9wavefront6targetE0EEEvSK_,comdat
.Lfunc_end891:
	.size	_ZN7rocprim17ROCPRIM_400000_NS6detail17trampoline_kernelINS0_14default_configENS1_38merge_sort_block_merge_config_selectorItNS0_10empty_typeEEEZZNS1_27merge_sort_block_merge_implIS3_N6thrust23THRUST_200600_302600_NS6detail15normal_iteratorINS9_10device_ptrItEEEEPS5_m9comp_mod3ItEEE10hipError_tT0_T1_T2_jT3_P12ihipStream_tbPNSt15iterator_traitsISJ_E10value_typeEPNSP_ISK_E10value_typeEPSL_NS1_7vsmem_tEENKUlT_SJ_SK_SL_E_clIPtSE_SF_SF_EESI_SY_SJ_SK_SL_EUlSY_E1_NS1_11comp_targetILNS1_3genE10ELNS1_11target_archE1201ELNS1_3gpuE5ELNS1_3repE0EEENS1_36merge_oddeven_config_static_selectorELNS0_4arch9wavefront6targetE0EEEvSK_, .Lfunc_end891-_ZN7rocprim17ROCPRIM_400000_NS6detail17trampoline_kernelINS0_14default_configENS1_38merge_sort_block_merge_config_selectorItNS0_10empty_typeEEEZZNS1_27merge_sort_block_merge_implIS3_N6thrust23THRUST_200600_302600_NS6detail15normal_iteratorINS9_10device_ptrItEEEEPS5_m9comp_mod3ItEEE10hipError_tT0_T1_T2_jT3_P12ihipStream_tbPNSt15iterator_traitsISJ_E10value_typeEPNSP_ISK_E10value_typeEPSL_NS1_7vsmem_tEENKUlT_SJ_SK_SL_E_clIPtSE_SF_SF_EESI_SY_SJ_SK_SL_EUlSY_E1_NS1_11comp_targetILNS1_3genE10ELNS1_11target_archE1201ELNS1_3gpuE5ELNS1_3repE0EEENS1_36merge_oddeven_config_static_selectorELNS0_4arch9wavefront6targetE0EEEvSK_
                                        ; -- End function
	.set _ZN7rocprim17ROCPRIM_400000_NS6detail17trampoline_kernelINS0_14default_configENS1_38merge_sort_block_merge_config_selectorItNS0_10empty_typeEEEZZNS1_27merge_sort_block_merge_implIS3_N6thrust23THRUST_200600_302600_NS6detail15normal_iteratorINS9_10device_ptrItEEEEPS5_m9comp_mod3ItEEE10hipError_tT0_T1_T2_jT3_P12ihipStream_tbPNSt15iterator_traitsISJ_E10value_typeEPNSP_ISK_E10value_typeEPSL_NS1_7vsmem_tEENKUlT_SJ_SK_SL_E_clIPtSE_SF_SF_EESI_SY_SJ_SK_SL_EUlSY_E1_NS1_11comp_targetILNS1_3genE10ELNS1_11target_archE1201ELNS1_3gpuE5ELNS1_3repE0EEENS1_36merge_oddeven_config_static_selectorELNS0_4arch9wavefront6targetE0EEEvSK_.num_vgpr, 0
	.set _ZN7rocprim17ROCPRIM_400000_NS6detail17trampoline_kernelINS0_14default_configENS1_38merge_sort_block_merge_config_selectorItNS0_10empty_typeEEEZZNS1_27merge_sort_block_merge_implIS3_N6thrust23THRUST_200600_302600_NS6detail15normal_iteratorINS9_10device_ptrItEEEEPS5_m9comp_mod3ItEEE10hipError_tT0_T1_T2_jT3_P12ihipStream_tbPNSt15iterator_traitsISJ_E10value_typeEPNSP_ISK_E10value_typeEPSL_NS1_7vsmem_tEENKUlT_SJ_SK_SL_E_clIPtSE_SF_SF_EESI_SY_SJ_SK_SL_EUlSY_E1_NS1_11comp_targetILNS1_3genE10ELNS1_11target_archE1201ELNS1_3gpuE5ELNS1_3repE0EEENS1_36merge_oddeven_config_static_selectorELNS0_4arch9wavefront6targetE0EEEvSK_.num_agpr, 0
	.set _ZN7rocprim17ROCPRIM_400000_NS6detail17trampoline_kernelINS0_14default_configENS1_38merge_sort_block_merge_config_selectorItNS0_10empty_typeEEEZZNS1_27merge_sort_block_merge_implIS3_N6thrust23THRUST_200600_302600_NS6detail15normal_iteratorINS9_10device_ptrItEEEEPS5_m9comp_mod3ItEEE10hipError_tT0_T1_T2_jT3_P12ihipStream_tbPNSt15iterator_traitsISJ_E10value_typeEPNSP_ISK_E10value_typeEPSL_NS1_7vsmem_tEENKUlT_SJ_SK_SL_E_clIPtSE_SF_SF_EESI_SY_SJ_SK_SL_EUlSY_E1_NS1_11comp_targetILNS1_3genE10ELNS1_11target_archE1201ELNS1_3gpuE5ELNS1_3repE0EEENS1_36merge_oddeven_config_static_selectorELNS0_4arch9wavefront6targetE0EEEvSK_.numbered_sgpr, 0
	.set _ZN7rocprim17ROCPRIM_400000_NS6detail17trampoline_kernelINS0_14default_configENS1_38merge_sort_block_merge_config_selectorItNS0_10empty_typeEEEZZNS1_27merge_sort_block_merge_implIS3_N6thrust23THRUST_200600_302600_NS6detail15normal_iteratorINS9_10device_ptrItEEEEPS5_m9comp_mod3ItEEE10hipError_tT0_T1_T2_jT3_P12ihipStream_tbPNSt15iterator_traitsISJ_E10value_typeEPNSP_ISK_E10value_typeEPSL_NS1_7vsmem_tEENKUlT_SJ_SK_SL_E_clIPtSE_SF_SF_EESI_SY_SJ_SK_SL_EUlSY_E1_NS1_11comp_targetILNS1_3genE10ELNS1_11target_archE1201ELNS1_3gpuE5ELNS1_3repE0EEENS1_36merge_oddeven_config_static_selectorELNS0_4arch9wavefront6targetE0EEEvSK_.num_named_barrier, 0
	.set _ZN7rocprim17ROCPRIM_400000_NS6detail17trampoline_kernelINS0_14default_configENS1_38merge_sort_block_merge_config_selectorItNS0_10empty_typeEEEZZNS1_27merge_sort_block_merge_implIS3_N6thrust23THRUST_200600_302600_NS6detail15normal_iteratorINS9_10device_ptrItEEEEPS5_m9comp_mod3ItEEE10hipError_tT0_T1_T2_jT3_P12ihipStream_tbPNSt15iterator_traitsISJ_E10value_typeEPNSP_ISK_E10value_typeEPSL_NS1_7vsmem_tEENKUlT_SJ_SK_SL_E_clIPtSE_SF_SF_EESI_SY_SJ_SK_SL_EUlSY_E1_NS1_11comp_targetILNS1_3genE10ELNS1_11target_archE1201ELNS1_3gpuE5ELNS1_3repE0EEENS1_36merge_oddeven_config_static_selectorELNS0_4arch9wavefront6targetE0EEEvSK_.private_seg_size, 0
	.set _ZN7rocprim17ROCPRIM_400000_NS6detail17trampoline_kernelINS0_14default_configENS1_38merge_sort_block_merge_config_selectorItNS0_10empty_typeEEEZZNS1_27merge_sort_block_merge_implIS3_N6thrust23THRUST_200600_302600_NS6detail15normal_iteratorINS9_10device_ptrItEEEEPS5_m9comp_mod3ItEEE10hipError_tT0_T1_T2_jT3_P12ihipStream_tbPNSt15iterator_traitsISJ_E10value_typeEPNSP_ISK_E10value_typeEPSL_NS1_7vsmem_tEENKUlT_SJ_SK_SL_E_clIPtSE_SF_SF_EESI_SY_SJ_SK_SL_EUlSY_E1_NS1_11comp_targetILNS1_3genE10ELNS1_11target_archE1201ELNS1_3gpuE5ELNS1_3repE0EEENS1_36merge_oddeven_config_static_selectorELNS0_4arch9wavefront6targetE0EEEvSK_.uses_vcc, 0
	.set _ZN7rocprim17ROCPRIM_400000_NS6detail17trampoline_kernelINS0_14default_configENS1_38merge_sort_block_merge_config_selectorItNS0_10empty_typeEEEZZNS1_27merge_sort_block_merge_implIS3_N6thrust23THRUST_200600_302600_NS6detail15normal_iteratorINS9_10device_ptrItEEEEPS5_m9comp_mod3ItEEE10hipError_tT0_T1_T2_jT3_P12ihipStream_tbPNSt15iterator_traitsISJ_E10value_typeEPNSP_ISK_E10value_typeEPSL_NS1_7vsmem_tEENKUlT_SJ_SK_SL_E_clIPtSE_SF_SF_EESI_SY_SJ_SK_SL_EUlSY_E1_NS1_11comp_targetILNS1_3genE10ELNS1_11target_archE1201ELNS1_3gpuE5ELNS1_3repE0EEENS1_36merge_oddeven_config_static_selectorELNS0_4arch9wavefront6targetE0EEEvSK_.uses_flat_scratch, 0
	.set _ZN7rocprim17ROCPRIM_400000_NS6detail17trampoline_kernelINS0_14default_configENS1_38merge_sort_block_merge_config_selectorItNS0_10empty_typeEEEZZNS1_27merge_sort_block_merge_implIS3_N6thrust23THRUST_200600_302600_NS6detail15normal_iteratorINS9_10device_ptrItEEEEPS5_m9comp_mod3ItEEE10hipError_tT0_T1_T2_jT3_P12ihipStream_tbPNSt15iterator_traitsISJ_E10value_typeEPNSP_ISK_E10value_typeEPSL_NS1_7vsmem_tEENKUlT_SJ_SK_SL_E_clIPtSE_SF_SF_EESI_SY_SJ_SK_SL_EUlSY_E1_NS1_11comp_targetILNS1_3genE10ELNS1_11target_archE1201ELNS1_3gpuE5ELNS1_3repE0EEENS1_36merge_oddeven_config_static_selectorELNS0_4arch9wavefront6targetE0EEEvSK_.has_dyn_sized_stack, 0
	.set _ZN7rocprim17ROCPRIM_400000_NS6detail17trampoline_kernelINS0_14default_configENS1_38merge_sort_block_merge_config_selectorItNS0_10empty_typeEEEZZNS1_27merge_sort_block_merge_implIS3_N6thrust23THRUST_200600_302600_NS6detail15normal_iteratorINS9_10device_ptrItEEEEPS5_m9comp_mod3ItEEE10hipError_tT0_T1_T2_jT3_P12ihipStream_tbPNSt15iterator_traitsISJ_E10value_typeEPNSP_ISK_E10value_typeEPSL_NS1_7vsmem_tEENKUlT_SJ_SK_SL_E_clIPtSE_SF_SF_EESI_SY_SJ_SK_SL_EUlSY_E1_NS1_11comp_targetILNS1_3genE10ELNS1_11target_archE1201ELNS1_3gpuE5ELNS1_3repE0EEENS1_36merge_oddeven_config_static_selectorELNS0_4arch9wavefront6targetE0EEEvSK_.has_recursion, 0
	.set _ZN7rocprim17ROCPRIM_400000_NS6detail17trampoline_kernelINS0_14default_configENS1_38merge_sort_block_merge_config_selectorItNS0_10empty_typeEEEZZNS1_27merge_sort_block_merge_implIS3_N6thrust23THRUST_200600_302600_NS6detail15normal_iteratorINS9_10device_ptrItEEEEPS5_m9comp_mod3ItEEE10hipError_tT0_T1_T2_jT3_P12ihipStream_tbPNSt15iterator_traitsISJ_E10value_typeEPNSP_ISK_E10value_typeEPSL_NS1_7vsmem_tEENKUlT_SJ_SK_SL_E_clIPtSE_SF_SF_EESI_SY_SJ_SK_SL_EUlSY_E1_NS1_11comp_targetILNS1_3genE10ELNS1_11target_archE1201ELNS1_3gpuE5ELNS1_3repE0EEENS1_36merge_oddeven_config_static_selectorELNS0_4arch9wavefront6targetE0EEEvSK_.has_indirect_call, 0
	.section	.AMDGPU.csdata,"",@progbits
; Kernel info:
; codeLenInByte = 0
; TotalNumSgprs: 0
; NumVgprs: 0
; ScratchSize: 0
; MemoryBound: 0
; FloatMode: 240
; IeeeMode: 1
; LDSByteSize: 0 bytes/workgroup (compile time only)
; SGPRBlocks: 0
; VGPRBlocks: 0
; NumSGPRsForWavesPerEU: 1
; NumVGPRsForWavesPerEU: 1
; Occupancy: 16
; WaveLimiterHint : 0
; COMPUTE_PGM_RSRC2:SCRATCH_EN: 0
; COMPUTE_PGM_RSRC2:USER_SGPR: 6
; COMPUTE_PGM_RSRC2:TRAP_HANDLER: 0
; COMPUTE_PGM_RSRC2:TGID_X_EN: 1
; COMPUTE_PGM_RSRC2:TGID_Y_EN: 0
; COMPUTE_PGM_RSRC2:TGID_Z_EN: 0
; COMPUTE_PGM_RSRC2:TIDIG_COMP_CNT: 0
	.section	.text._ZN7rocprim17ROCPRIM_400000_NS6detail17trampoline_kernelINS0_14default_configENS1_38merge_sort_block_merge_config_selectorItNS0_10empty_typeEEEZZNS1_27merge_sort_block_merge_implIS3_N6thrust23THRUST_200600_302600_NS6detail15normal_iteratorINS9_10device_ptrItEEEEPS5_m9comp_mod3ItEEE10hipError_tT0_T1_T2_jT3_P12ihipStream_tbPNSt15iterator_traitsISJ_E10value_typeEPNSP_ISK_E10value_typeEPSL_NS1_7vsmem_tEENKUlT_SJ_SK_SL_E_clIPtSE_SF_SF_EESI_SY_SJ_SK_SL_EUlSY_E1_NS1_11comp_targetILNS1_3genE5ELNS1_11target_archE942ELNS1_3gpuE9ELNS1_3repE0EEENS1_36merge_oddeven_config_static_selectorELNS0_4arch9wavefront6targetE0EEEvSK_,"axG",@progbits,_ZN7rocprim17ROCPRIM_400000_NS6detail17trampoline_kernelINS0_14default_configENS1_38merge_sort_block_merge_config_selectorItNS0_10empty_typeEEEZZNS1_27merge_sort_block_merge_implIS3_N6thrust23THRUST_200600_302600_NS6detail15normal_iteratorINS9_10device_ptrItEEEEPS5_m9comp_mod3ItEEE10hipError_tT0_T1_T2_jT3_P12ihipStream_tbPNSt15iterator_traitsISJ_E10value_typeEPNSP_ISK_E10value_typeEPSL_NS1_7vsmem_tEENKUlT_SJ_SK_SL_E_clIPtSE_SF_SF_EESI_SY_SJ_SK_SL_EUlSY_E1_NS1_11comp_targetILNS1_3genE5ELNS1_11target_archE942ELNS1_3gpuE9ELNS1_3repE0EEENS1_36merge_oddeven_config_static_selectorELNS0_4arch9wavefront6targetE0EEEvSK_,comdat
	.protected	_ZN7rocprim17ROCPRIM_400000_NS6detail17trampoline_kernelINS0_14default_configENS1_38merge_sort_block_merge_config_selectorItNS0_10empty_typeEEEZZNS1_27merge_sort_block_merge_implIS3_N6thrust23THRUST_200600_302600_NS6detail15normal_iteratorINS9_10device_ptrItEEEEPS5_m9comp_mod3ItEEE10hipError_tT0_T1_T2_jT3_P12ihipStream_tbPNSt15iterator_traitsISJ_E10value_typeEPNSP_ISK_E10value_typeEPSL_NS1_7vsmem_tEENKUlT_SJ_SK_SL_E_clIPtSE_SF_SF_EESI_SY_SJ_SK_SL_EUlSY_E1_NS1_11comp_targetILNS1_3genE5ELNS1_11target_archE942ELNS1_3gpuE9ELNS1_3repE0EEENS1_36merge_oddeven_config_static_selectorELNS0_4arch9wavefront6targetE0EEEvSK_ ; -- Begin function _ZN7rocprim17ROCPRIM_400000_NS6detail17trampoline_kernelINS0_14default_configENS1_38merge_sort_block_merge_config_selectorItNS0_10empty_typeEEEZZNS1_27merge_sort_block_merge_implIS3_N6thrust23THRUST_200600_302600_NS6detail15normal_iteratorINS9_10device_ptrItEEEEPS5_m9comp_mod3ItEEE10hipError_tT0_T1_T2_jT3_P12ihipStream_tbPNSt15iterator_traitsISJ_E10value_typeEPNSP_ISK_E10value_typeEPSL_NS1_7vsmem_tEENKUlT_SJ_SK_SL_E_clIPtSE_SF_SF_EESI_SY_SJ_SK_SL_EUlSY_E1_NS1_11comp_targetILNS1_3genE5ELNS1_11target_archE942ELNS1_3gpuE9ELNS1_3repE0EEENS1_36merge_oddeven_config_static_selectorELNS0_4arch9wavefront6targetE0EEEvSK_
	.globl	_ZN7rocprim17ROCPRIM_400000_NS6detail17trampoline_kernelINS0_14default_configENS1_38merge_sort_block_merge_config_selectorItNS0_10empty_typeEEEZZNS1_27merge_sort_block_merge_implIS3_N6thrust23THRUST_200600_302600_NS6detail15normal_iteratorINS9_10device_ptrItEEEEPS5_m9comp_mod3ItEEE10hipError_tT0_T1_T2_jT3_P12ihipStream_tbPNSt15iterator_traitsISJ_E10value_typeEPNSP_ISK_E10value_typeEPSL_NS1_7vsmem_tEENKUlT_SJ_SK_SL_E_clIPtSE_SF_SF_EESI_SY_SJ_SK_SL_EUlSY_E1_NS1_11comp_targetILNS1_3genE5ELNS1_11target_archE942ELNS1_3gpuE9ELNS1_3repE0EEENS1_36merge_oddeven_config_static_selectorELNS0_4arch9wavefront6targetE0EEEvSK_
	.p2align	8
	.type	_ZN7rocprim17ROCPRIM_400000_NS6detail17trampoline_kernelINS0_14default_configENS1_38merge_sort_block_merge_config_selectorItNS0_10empty_typeEEEZZNS1_27merge_sort_block_merge_implIS3_N6thrust23THRUST_200600_302600_NS6detail15normal_iteratorINS9_10device_ptrItEEEEPS5_m9comp_mod3ItEEE10hipError_tT0_T1_T2_jT3_P12ihipStream_tbPNSt15iterator_traitsISJ_E10value_typeEPNSP_ISK_E10value_typeEPSL_NS1_7vsmem_tEENKUlT_SJ_SK_SL_E_clIPtSE_SF_SF_EESI_SY_SJ_SK_SL_EUlSY_E1_NS1_11comp_targetILNS1_3genE5ELNS1_11target_archE942ELNS1_3gpuE9ELNS1_3repE0EEENS1_36merge_oddeven_config_static_selectorELNS0_4arch9wavefront6targetE0EEEvSK_,@function
_ZN7rocprim17ROCPRIM_400000_NS6detail17trampoline_kernelINS0_14default_configENS1_38merge_sort_block_merge_config_selectorItNS0_10empty_typeEEEZZNS1_27merge_sort_block_merge_implIS3_N6thrust23THRUST_200600_302600_NS6detail15normal_iteratorINS9_10device_ptrItEEEEPS5_m9comp_mod3ItEEE10hipError_tT0_T1_T2_jT3_P12ihipStream_tbPNSt15iterator_traitsISJ_E10value_typeEPNSP_ISK_E10value_typeEPSL_NS1_7vsmem_tEENKUlT_SJ_SK_SL_E_clIPtSE_SF_SF_EESI_SY_SJ_SK_SL_EUlSY_E1_NS1_11comp_targetILNS1_3genE5ELNS1_11target_archE942ELNS1_3gpuE9ELNS1_3repE0EEENS1_36merge_oddeven_config_static_selectorELNS0_4arch9wavefront6targetE0EEEvSK_: ; @_ZN7rocprim17ROCPRIM_400000_NS6detail17trampoline_kernelINS0_14default_configENS1_38merge_sort_block_merge_config_selectorItNS0_10empty_typeEEEZZNS1_27merge_sort_block_merge_implIS3_N6thrust23THRUST_200600_302600_NS6detail15normal_iteratorINS9_10device_ptrItEEEEPS5_m9comp_mod3ItEEE10hipError_tT0_T1_T2_jT3_P12ihipStream_tbPNSt15iterator_traitsISJ_E10value_typeEPNSP_ISK_E10value_typeEPSL_NS1_7vsmem_tEENKUlT_SJ_SK_SL_E_clIPtSE_SF_SF_EESI_SY_SJ_SK_SL_EUlSY_E1_NS1_11comp_targetILNS1_3genE5ELNS1_11target_archE942ELNS1_3gpuE9ELNS1_3repE0EEENS1_36merge_oddeven_config_static_selectorELNS0_4arch9wavefront6targetE0EEEvSK_
; %bb.0:
	.section	.rodata,"a",@progbits
	.p2align	6, 0x0
	.amdhsa_kernel _ZN7rocprim17ROCPRIM_400000_NS6detail17trampoline_kernelINS0_14default_configENS1_38merge_sort_block_merge_config_selectorItNS0_10empty_typeEEEZZNS1_27merge_sort_block_merge_implIS3_N6thrust23THRUST_200600_302600_NS6detail15normal_iteratorINS9_10device_ptrItEEEEPS5_m9comp_mod3ItEEE10hipError_tT0_T1_T2_jT3_P12ihipStream_tbPNSt15iterator_traitsISJ_E10value_typeEPNSP_ISK_E10value_typeEPSL_NS1_7vsmem_tEENKUlT_SJ_SK_SL_E_clIPtSE_SF_SF_EESI_SY_SJ_SK_SL_EUlSY_E1_NS1_11comp_targetILNS1_3genE5ELNS1_11target_archE942ELNS1_3gpuE9ELNS1_3repE0EEENS1_36merge_oddeven_config_static_selectorELNS0_4arch9wavefront6targetE0EEEvSK_
		.amdhsa_group_segment_fixed_size 0
		.amdhsa_private_segment_fixed_size 0
		.amdhsa_kernarg_size 56
		.amdhsa_user_sgpr_count 6
		.amdhsa_user_sgpr_private_segment_buffer 1
		.amdhsa_user_sgpr_dispatch_ptr 0
		.amdhsa_user_sgpr_queue_ptr 0
		.amdhsa_user_sgpr_kernarg_segment_ptr 1
		.amdhsa_user_sgpr_dispatch_id 0
		.amdhsa_user_sgpr_flat_scratch_init 0
		.amdhsa_user_sgpr_private_segment_size 0
		.amdhsa_wavefront_size32 1
		.amdhsa_uses_dynamic_stack 0
		.amdhsa_system_sgpr_private_segment_wavefront_offset 0
		.amdhsa_system_sgpr_workgroup_id_x 1
		.amdhsa_system_sgpr_workgroup_id_y 0
		.amdhsa_system_sgpr_workgroup_id_z 0
		.amdhsa_system_sgpr_workgroup_info 0
		.amdhsa_system_vgpr_workitem_id 0
		.amdhsa_next_free_vgpr 1
		.amdhsa_next_free_sgpr 1
		.amdhsa_reserve_vcc 0
		.amdhsa_reserve_flat_scratch 0
		.amdhsa_float_round_mode_32 0
		.amdhsa_float_round_mode_16_64 0
		.amdhsa_float_denorm_mode_32 3
		.amdhsa_float_denorm_mode_16_64 3
		.amdhsa_dx10_clamp 1
		.amdhsa_ieee_mode 1
		.amdhsa_fp16_overflow 0
		.amdhsa_workgroup_processor_mode 1
		.amdhsa_memory_ordered 1
		.amdhsa_forward_progress 1
		.amdhsa_shared_vgpr_count 0
		.amdhsa_exception_fp_ieee_invalid_op 0
		.amdhsa_exception_fp_denorm_src 0
		.amdhsa_exception_fp_ieee_div_zero 0
		.amdhsa_exception_fp_ieee_overflow 0
		.amdhsa_exception_fp_ieee_underflow 0
		.amdhsa_exception_fp_ieee_inexact 0
		.amdhsa_exception_int_div_zero 0
	.end_amdhsa_kernel
	.section	.text._ZN7rocprim17ROCPRIM_400000_NS6detail17trampoline_kernelINS0_14default_configENS1_38merge_sort_block_merge_config_selectorItNS0_10empty_typeEEEZZNS1_27merge_sort_block_merge_implIS3_N6thrust23THRUST_200600_302600_NS6detail15normal_iteratorINS9_10device_ptrItEEEEPS5_m9comp_mod3ItEEE10hipError_tT0_T1_T2_jT3_P12ihipStream_tbPNSt15iterator_traitsISJ_E10value_typeEPNSP_ISK_E10value_typeEPSL_NS1_7vsmem_tEENKUlT_SJ_SK_SL_E_clIPtSE_SF_SF_EESI_SY_SJ_SK_SL_EUlSY_E1_NS1_11comp_targetILNS1_3genE5ELNS1_11target_archE942ELNS1_3gpuE9ELNS1_3repE0EEENS1_36merge_oddeven_config_static_selectorELNS0_4arch9wavefront6targetE0EEEvSK_,"axG",@progbits,_ZN7rocprim17ROCPRIM_400000_NS6detail17trampoline_kernelINS0_14default_configENS1_38merge_sort_block_merge_config_selectorItNS0_10empty_typeEEEZZNS1_27merge_sort_block_merge_implIS3_N6thrust23THRUST_200600_302600_NS6detail15normal_iteratorINS9_10device_ptrItEEEEPS5_m9comp_mod3ItEEE10hipError_tT0_T1_T2_jT3_P12ihipStream_tbPNSt15iterator_traitsISJ_E10value_typeEPNSP_ISK_E10value_typeEPSL_NS1_7vsmem_tEENKUlT_SJ_SK_SL_E_clIPtSE_SF_SF_EESI_SY_SJ_SK_SL_EUlSY_E1_NS1_11comp_targetILNS1_3genE5ELNS1_11target_archE942ELNS1_3gpuE9ELNS1_3repE0EEENS1_36merge_oddeven_config_static_selectorELNS0_4arch9wavefront6targetE0EEEvSK_,comdat
.Lfunc_end892:
	.size	_ZN7rocprim17ROCPRIM_400000_NS6detail17trampoline_kernelINS0_14default_configENS1_38merge_sort_block_merge_config_selectorItNS0_10empty_typeEEEZZNS1_27merge_sort_block_merge_implIS3_N6thrust23THRUST_200600_302600_NS6detail15normal_iteratorINS9_10device_ptrItEEEEPS5_m9comp_mod3ItEEE10hipError_tT0_T1_T2_jT3_P12ihipStream_tbPNSt15iterator_traitsISJ_E10value_typeEPNSP_ISK_E10value_typeEPSL_NS1_7vsmem_tEENKUlT_SJ_SK_SL_E_clIPtSE_SF_SF_EESI_SY_SJ_SK_SL_EUlSY_E1_NS1_11comp_targetILNS1_3genE5ELNS1_11target_archE942ELNS1_3gpuE9ELNS1_3repE0EEENS1_36merge_oddeven_config_static_selectorELNS0_4arch9wavefront6targetE0EEEvSK_, .Lfunc_end892-_ZN7rocprim17ROCPRIM_400000_NS6detail17trampoline_kernelINS0_14default_configENS1_38merge_sort_block_merge_config_selectorItNS0_10empty_typeEEEZZNS1_27merge_sort_block_merge_implIS3_N6thrust23THRUST_200600_302600_NS6detail15normal_iteratorINS9_10device_ptrItEEEEPS5_m9comp_mod3ItEEE10hipError_tT0_T1_T2_jT3_P12ihipStream_tbPNSt15iterator_traitsISJ_E10value_typeEPNSP_ISK_E10value_typeEPSL_NS1_7vsmem_tEENKUlT_SJ_SK_SL_E_clIPtSE_SF_SF_EESI_SY_SJ_SK_SL_EUlSY_E1_NS1_11comp_targetILNS1_3genE5ELNS1_11target_archE942ELNS1_3gpuE9ELNS1_3repE0EEENS1_36merge_oddeven_config_static_selectorELNS0_4arch9wavefront6targetE0EEEvSK_
                                        ; -- End function
	.set _ZN7rocprim17ROCPRIM_400000_NS6detail17trampoline_kernelINS0_14default_configENS1_38merge_sort_block_merge_config_selectorItNS0_10empty_typeEEEZZNS1_27merge_sort_block_merge_implIS3_N6thrust23THRUST_200600_302600_NS6detail15normal_iteratorINS9_10device_ptrItEEEEPS5_m9comp_mod3ItEEE10hipError_tT0_T1_T2_jT3_P12ihipStream_tbPNSt15iterator_traitsISJ_E10value_typeEPNSP_ISK_E10value_typeEPSL_NS1_7vsmem_tEENKUlT_SJ_SK_SL_E_clIPtSE_SF_SF_EESI_SY_SJ_SK_SL_EUlSY_E1_NS1_11comp_targetILNS1_3genE5ELNS1_11target_archE942ELNS1_3gpuE9ELNS1_3repE0EEENS1_36merge_oddeven_config_static_selectorELNS0_4arch9wavefront6targetE0EEEvSK_.num_vgpr, 0
	.set _ZN7rocprim17ROCPRIM_400000_NS6detail17trampoline_kernelINS0_14default_configENS1_38merge_sort_block_merge_config_selectorItNS0_10empty_typeEEEZZNS1_27merge_sort_block_merge_implIS3_N6thrust23THRUST_200600_302600_NS6detail15normal_iteratorINS9_10device_ptrItEEEEPS5_m9comp_mod3ItEEE10hipError_tT0_T1_T2_jT3_P12ihipStream_tbPNSt15iterator_traitsISJ_E10value_typeEPNSP_ISK_E10value_typeEPSL_NS1_7vsmem_tEENKUlT_SJ_SK_SL_E_clIPtSE_SF_SF_EESI_SY_SJ_SK_SL_EUlSY_E1_NS1_11comp_targetILNS1_3genE5ELNS1_11target_archE942ELNS1_3gpuE9ELNS1_3repE0EEENS1_36merge_oddeven_config_static_selectorELNS0_4arch9wavefront6targetE0EEEvSK_.num_agpr, 0
	.set _ZN7rocprim17ROCPRIM_400000_NS6detail17trampoline_kernelINS0_14default_configENS1_38merge_sort_block_merge_config_selectorItNS0_10empty_typeEEEZZNS1_27merge_sort_block_merge_implIS3_N6thrust23THRUST_200600_302600_NS6detail15normal_iteratorINS9_10device_ptrItEEEEPS5_m9comp_mod3ItEEE10hipError_tT0_T1_T2_jT3_P12ihipStream_tbPNSt15iterator_traitsISJ_E10value_typeEPNSP_ISK_E10value_typeEPSL_NS1_7vsmem_tEENKUlT_SJ_SK_SL_E_clIPtSE_SF_SF_EESI_SY_SJ_SK_SL_EUlSY_E1_NS1_11comp_targetILNS1_3genE5ELNS1_11target_archE942ELNS1_3gpuE9ELNS1_3repE0EEENS1_36merge_oddeven_config_static_selectorELNS0_4arch9wavefront6targetE0EEEvSK_.numbered_sgpr, 0
	.set _ZN7rocprim17ROCPRIM_400000_NS6detail17trampoline_kernelINS0_14default_configENS1_38merge_sort_block_merge_config_selectorItNS0_10empty_typeEEEZZNS1_27merge_sort_block_merge_implIS3_N6thrust23THRUST_200600_302600_NS6detail15normal_iteratorINS9_10device_ptrItEEEEPS5_m9comp_mod3ItEEE10hipError_tT0_T1_T2_jT3_P12ihipStream_tbPNSt15iterator_traitsISJ_E10value_typeEPNSP_ISK_E10value_typeEPSL_NS1_7vsmem_tEENKUlT_SJ_SK_SL_E_clIPtSE_SF_SF_EESI_SY_SJ_SK_SL_EUlSY_E1_NS1_11comp_targetILNS1_3genE5ELNS1_11target_archE942ELNS1_3gpuE9ELNS1_3repE0EEENS1_36merge_oddeven_config_static_selectorELNS0_4arch9wavefront6targetE0EEEvSK_.num_named_barrier, 0
	.set _ZN7rocprim17ROCPRIM_400000_NS6detail17trampoline_kernelINS0_14default_configENS1_38merge_sort_block_merge_config_selectorItNS0_10empty_typeEEEZZNS1_27merge_sort_block_merge_implIS3_N6thrust23THRUST_200600_302600_NS6detail15normal_iteratorINS9_10device_ptrItEEEEPS5_m9comp_mod3ItEEE10hipError_tT0_T1_T2_jT3_P12ihipStream_tbPNSt15iterator_traitsISJ_E10value_typeEPNSP_ISK_E10value_typeEPSL_NS1_7vsmem_tEENKUlT_SJ_SK_SL_E_clIPtSE_SF_SF_EESI_SY_SJ_SK_SL_EUlSY_E1_NS1_11comp_targetILNS1_3genE5ELNS1_11target_archE942ELNS1_3gpuE9ELNS1_3repE0EEENS1_36merge_oddeven_config_static_selectorELNS0_4arch9wavefront6targetE0EEEvSK_.private_seg_size, 0
	.set _ZN7rocprim17ROCPRIM_400000_NS6detail17trampoline_kernelINS0_14default_configENS1_38merge_sort_block_merge_config_selectorItNS0_10empty_typeEEEZZNS1_27merge_sort_block_merge_implIS3_N6thrust23THRUST_200600_302600_NS6detail15normal_iteratorINS9_10device_ptrItEEEEPS5_m9comp_mod3ItEEE10hipError_tT0_T1_T2_jT3_P12ihipStream_tbPNSt15iterator_traitsISJ_E10value_typeEPNSP_ISK_E10value_typeEPSL_NS1_7vsmem_tEENKUlT_SJ_SK_SL_E_clIPtSE_SF_SF_EESI_SY_SJ_SK_SL_EUlSY_E1_NS1_11comp_targetILNS1_3genE5ELNS1_11target_archE942ELNS1_3gpuE9ELNS1_3repE0EEENS1_36merge_oddeven_config_static_selectorELNS0_4arch9wavefront6targetE0EEEvSK_.uses_vcc, 0
	.set _ZN7rocprim17ROCPRIM_400000_NS6detail17trampoline_kernelINS0_14default_configENS1_38merge_sort_block_merge_config_selectorItNS0_10empty_typeEEEZZNS1_27merge_sort_block_merge_implIS3_N6thrust23THRUST_200600_302600_NS6detail15normal_iteratorINS9_10device_ptrItEEEEPS5_m9comp_mod3ItEEE10hipError_tT0_T1_T2_jT3_P12ihipStream_tbPNSt15iterator_traitsISJ_E10value_typeEPNSP_ISK_E10value_typeEPSL_NS1_7vsmem_tEENKUlT_SJ_SK_SL_E_clIPtSE_SF_SF_EESI_SY_SJ_SK_SL_EUlSY_E1_NS1_11comp_targetILNS1_3genE5ELNS1_11target_archE942ELNS1_3gpuE9ELNS1_3repE0EEENS1_36merge_oddeven_config_static_selectorELNS0_4arch9wavefront6targetE0EEEvSK_.uses_flat_scratch, 0
	.set _ZN7rocprim17ROCPRIM_400000_NS6detail17trampoline_kernelINS0_14default_configENS1_38merge_sort_block_merge_config_selectorItNS0_10empty_typeEEEZZNS1_27merge_sort_block_merge_implIS3_N6thrust23THRUST_200600_302600_NS6detail15normal_iteratorINS9_10device_ptrItEEEEPS5_m9comp_mod3ItEEE10hipError_tT0_T1_T2_jT3_P12ihipStream_tbPNSt15iterator_traitsISJ_E10value_typeEPNSP_ISK_E10value_typeEPSL_NS1_7vsmem_tEENKUlT_SJ_SK_SL_E_clIPtSE_SF_SF_EESI_SY_SJ_SK_SL_EUlSY_E1_NS1_11comp_targetILNS1_3genE5ELNS1_11target_archE942ELNS1_3gpuE9ELNS1_3repE0EEENS1_36merge_oddeven_config_static_selectorELNS0_4arch9wavefront6targetE0EEEvSK_.has_dyn_sized_stack, 0
	.set _ZN7rocprim17ROCPRIM_400000_NS6detail17trampoline_kernelINS0_14default_configENS1_38merge_sort_block_merge_config_selectorItNS0_10empty_typeEEEZZNS1_27merge_sort_block_merge_implIS3_N6thrust23THRUST_200600_302600_NS6detail15normal_iteratorINS9_10device_ptrItEEEEPS5_m9comp_mod3ItEEE10hipError_tT0_T1_T2_jT3_P12ihipStream_tbPNSt15iterator_traitsISJ_E10value_typeEPNSP_ISK_E10value_typeEPSL_NS1_7vsmem_tEENKUlT_SJ_SK_SL_E_clIPtSE_SF_SF_EESI_SY_SJ_SK_SL_EUlSY_E1_NS1_11comp_targetILNS1_3genE5ELNS1_11target_archE942ELNS1_3gpuE9ELNS1_3repE0EEENS1_36merge_oddeven_config_static_selectorELNS0_4arch9wavefront6targetE0EEEvSK_.has_recursion, 0
	.set _ZN7rocprim17ROCPRIM_400000_NS6detail17trampoline_kernelINS0_14default_configENS1_38merge_sort_block_merge_config_selectorItNS0_10empty_typeEEEZZNS1_27merge_sort_block_merge_implIS3_N6thrust23THRUST_200600_302600_NS6detail15normal_iteratorINS9_10device_ptrItEEEEPS5_m9comp_mod3ItEEE10hipError_tT0_T1_T2_jT3_P12ihipStream_tbPNSt15iterator_traitsISJ_E10value_typeEPNSP_ISK_E10value_typeEPSL_NS1_7vsmem_tEENKUlT_SJ_SK_SL_E_clIPtSE_SF_SF_EESI_SY_SJ_SK_SL_EUlSY_E1_NS1_11comp_targetILNS1_3genE5ELNS1_11target_archE942ELNS1_3gpuE9ELNS1_3repE0EEENS1_36merge_oddeven_config_static_selectorELNS0_4arch9wavefront6targetE0EEEvSK_.has_indirect_call, 0
	.section	.AMDGPU.csdata,"",@progbits
; Kernel info:
; codeLenInByte = 0
; TotalNumSgprs: 0
; NumVgprs: 0
; ScratchSize: 0
; MemoryBound: 0
; FloatMode: 240
; IeeeMode: 1
; LDSByteSize: 0 bytes/workgroup (compile time only)
; SGPRBlocks: 0
; VGPRBlocks: 0
; NumSGPRsForWavesPerEU: 1
; NumVGPRsForWavesPerEU: 1
; Occupancy: 16
; WaveLimiterHint : 0
; COMPUTE_PGM_RSRC2:SCRATCH_EN: 0
; COMPUTE_PGM_RSRC2:USER_SGPR: 6
; COMPUTE_PGM_RSRC2:TRAP_HANDLER: 0
; COMPUTE_PGM_RSRC2:TGID_X_EN: 1
; COMPUTE_PGM_RSRC2:TGID_Y_EN: 0
; COMPUTE_PGM_RSRC2:TGID_Z_EN: 0
; COMPUTE_PGM_RSRC2:TIDIG_COMP_CNT: 0
	.section	.text._ZN7rocprim17ROCPRIM_400000_NS6detail17trampoline_kernelINS0_14default_configENS1_38merge_sort_block_merge_config_selectorItNS0_10empty_typeEEEZZNS1_27merge_sort_block_merge_implIS3_N6thrust23THRUST_200600_302600_NS6detail15normal_iteratorINS9_10device_ptrItEEEEPS5_m9comp_mod3ItEEE10hipError_tT0_T1_T2_jT3_P12ihipStream_tbPNSt15iterator_traitsISJ_E10value_typeEPNSP_ISK_E10value_typeEPSL_NS1_7vsmem_tEENKUlT_SJ_SK_SL_E_clIPtSE_SF_SF_EESI_SY_SJ_SK_SL_EUlSY_E1_NS1_11comp_targetILNS1_3genE4ELNS1_11target_archE910ELNS1_3gpuE8ELNS1_3repE0EEENS1_36merge_oddeven_config_static_selectorELNS0_4arch9wavefront6targetE0EEEvSK_,"axG",@progbits,_ZN7rocprim17ROCPRIM_400000_NS6detail17trampoline_kernelINS0_14default_configENS1_38merge_sort_block_merge_config_selectorItNS0_10empty_typeEEEZZNS1_27merge_sort_block_merge_implIS3_N6thrust23THRUST_200600_302600_NS6detail15normal_iteratorINS9_10device_ptrItEEEEPS5_m9comp_mod3ItEEE10hipError_tT0_T1_T2_jT3_P12ihipStream_tbPNSt15iterator_traitsISJ_E10value_typeEPNSP_ISK_E10value_typeEPSL_NS1_7vsmem_tEENKUlT_SJ_SK_SL_E_clIPtSE_SF_SF_EESI_SY_SJ_SK_SL_EUlSY_E1_NS1_11comp_targetILNS1_3genE4ELNS1_11target_archE910ELNS1_3gpuE8ELNS1_3repE0EEENS1_36merge_oddeven_config_static_selectorELNS0_4arch9wavefront6targetE0EEEvSK_,comdat
	.protected	_ZN7rocprim17ROCPRIM_400000_NS6detail17trampoline_kernelINS0_14default_configENS1_38merge_sort_block_merge_config_selectorItNS0_10empty_typeEEEZZNS1_27merge_sort_block_merge_implIS3_N6thrust23THRUST_200600_302600_NS6detail15normal_iteratorINS9_10device_ptrItEEEEPS5_m9comp_mod3ItEEE10hipError_tT0_T1_T2_jT3_P12ihipStream_tbPNSt15iterator_traitsISJ_E10value_typeEPNSP_ISK_E10value_typeEPSL_NS1_7vsmem_tEENKUlT_SJ_SK_SL_E_clIPtSE_SF_SF_EESI_SY_SJ_SK_SL_EUlSY_E1_NS1_11comp_targetILNS1_3genE4ELNS1_11target_archE910ELNS1_3gpuE8ELNS1_3repE0EEENS1_36merge_oddeven_config_static_selectorELNS0_4arch9wavefront6targetE0EEEvSK_ ; -- Begin function _ZN7rocprim17ROCPRIM_400000_NS6detail17trampoline_kernelINS0_14default_configENS1_38merge_sort_block_merge_config_selectorItNS0_10empty_typeEEEZZNS1_27merge_sort_block_merge_implIS3_N6thrust23THRUST_200600_302600_NS6detail15normal_iteratorINS9_10device_ptrItEEEEPS5_m9comp_mod3ItEEE10hipError_tT0_T1_T2_jT3_P12ihipStream_tbPNSt15iterator_traitsISJ_E10value_typeEPNSP_ISK_E10value_typeEPSL_NS1_7vsmem_tEENKUlT_SJ_SK_SL_E_clIPtSE_SF_SF_EESI_SY_SJ_SK_SL_EUlSY_E1_NS1_11comp_targetILNS1_3genE4ELNS1_11target_archE910ELNS1_3gpuE8ELNS1_3repE0EEENS1_36merge_oddeven_config_static_selectorELNS0_4arch9wavefront6targetE0EEEvSK_
	.globl	_ZN7rocprim17ROCPRIM_400000_NS6detail17trampoline_kernelINS0_14default_configENS1_38merge_sort_block_merge_config_selectorItNS0_10empty_typeEEEZZNS1_27merge_sort_block_merge_implIS3_N6thrust23THRUST_200600_302600_NS6detail15normal_iteratorINS9_10device_ptrItEEEEPS5_m9comp_mod3ItEEE10hipError_tT0_T1_T2_jT3_P12ihipStream_tbPNSt15iterator_traitsISJ_E10value_typeEPNSP_ISK_E10value_typeEPSL_NS1_7vsmem_tEENKUlT_SJ_SK_SL_E_clIPtSE_SF_SF_EESI_SY_SJ_SK_SL_EUlSY_E1_NS1_11comp_targetILNS1_3genE4ELNS1_11target_archE910ELNS1_3gpuE8ELNS1_3repE0EEENS1_36merge_oddeven_config_static_selectorELNS0_4arch9wavefront6targetE0EEEvSK_
	.p2align	8
	.type	_ZN7rocprim17ROCPRIM_400000_NS6detail17trampoline_kernelINS0_14default_configENS1_38merge_sort_block_merge_config_selectorItNS0_10empty_typeEEEZZNS1_27merge_sort_block_merge_implIS3_N6thrust23THRUST_200600_302600_NS6detail15normal_iteratorINS9_10device_ptrItEEEEPS5_m9comp_mod3ItEEE10hipError_tT0_T1_T2_jT3_P12ihipStream_tbPNSt15iterator_traitsISJ_E10value_typeEPNSP_ISK_E10value_typeEPSL_NS1_7vsmem_tEENKUlT_SJ_SK_SL_E_clIPtSE_SF_SF_EESI_SY_SJ_SK_SL_EUlSY_E1_NS1_11comp_targetILNS1_3genE4ELNS1_11target_archE910ELNS1_3gpuE8ELNS1_3repE0EEENS1_36merge_oddeven_config_static_selectorELNS0_4arch9wavefront6targetE0EEEvSK_,@function
_ZN7rocprim17ROCPRIM_400000_NS6detail17trampoline_kernelINS0_14default_configENS1_38merge_sort_block_merge_config_selectorItNS0_10empty_typeEEEZZNS1_27merge_sort_block_merge_implIS3_N6thrust23THRUST_200600_302600_NS6detail15normal_iteratorINS9_10device_ptrItEEEEPS5_m9comp_mod3ItEEE10hipError_tT0_T1_T2_jT3_P12ihipStream_tbPNSt15iterator_traitsISJ_E10value_typeEPNSP_ISK_E10value_typeEPSL_NS1_7vsmem_tEENKUlT_SJ_SK_SL_E_clIPtSE_SF_SF_EESI_SY_SJ_SK_SL_EUlSY_E1_NS1_11comp_targetILNS1_3genE4ELNS1_11target_archE910ELNS1_3gpuE8ELNS1_3repE0EEENS1_36merge_oddeven_config_static_selectorELNS0_4arch9wavefront6targetE0EEEvSK_: ; @_ZN7rocprim17ROCPRIM_400000_NS6detail17trampoline_kernelINS0_14default_configENS1_38merge_sort_block_merge_config_selectorItNS0_10empty_typeEEEZZNS1_27merge_sort_block_merge_implIS3_N6thrust23THRUST_200600_302600_NS6detail15normal_iteratorINS9_10device_ptrItEEEEPS5_m9comp_mod3ItEEE10hipError_tT0_T1_T2_jT3_P12ihipStream_tbPNSt15iterator_traitsISJ_E10value_typeEPNSP_ISK_E10value_typeEPSL_NS1_7vsmem_tEENKUlT_SJ_SK_SL_E_clIPtSE_SF_SF_EESI_SY_SJ_SK_SL_EUlSY_E1_NS1_11comp_targetILNS1_3genE4ELNS1_11target_archE910ELNS1_3gpuE8ELNS1_3repE0EEENS1_36merge_oddeven_config_static_selectorELNS0_4arch9wavefront6targetE0EEEvSK_
; %bb.0:
	.section	.rodata,"a",@progbits
	.p2align	6, 0x0
	.amdhsa_kernel _ZN7rocprim17ROCPRIM_400000_NS6detail17trampoline_kernelINS0_14default_configENS1_38merge_sort_block_merge_config_selectorItNS0_10empty_typeEEEZZNS1_27merge_sort_block_merge_implIS3_N6thrust23THRUST_200600_302600_NS6detail15normal_iteratorINS9_10device_ptrItEEEEPS5_m9comp_mod3ItEEE10hipError_tT0_T1_T2_jT3_P12ihipStream_tbPNSt15iterator_traitsISJ_E10value_typeEPNSP_ISK_E10value_typeEPSL_NS1_7vsmem_tEENKUlT_SJ_SK_SL_E_clIPtSE_SF_SF_EESI_SY_SJ_SK_SL_EUlSY_E1_NS1_11comp_targetILNS1_3genE4ELNS1_11target_archE910ELNS1_3gpuE8ELNS1_3repE0EEENS1_36merge_oddeven_config_static_selectorELNS0_4arch9wavefront6targetE0EEEvSK_
		.amdhsa_group_segment_fixed_size 0
		.amdhsa_private_segment_fixed_size 0
		.amdhsa_kernarg_size 56
		.amdhsa_user_sgpr_count 6
		.amdhsa_user_sgpr_private_segment_buffer 1
		.amdhsa_user_sgpr_dispatch_ptr 0
		.amdhsa_user_sgpr_queue_ptr 0
		.amdhsa_user_sgpr_kernarg_segment_ptr 1
		.amdhsa_user_sgpr_dispatch_id 0
		.amdhsa_user_sgpr_flat_scratch_init 0
		.amdhsa_user_sgpr_private_segment_size 0
		.amdhsa_wavefront_size32 1
		.amdhsa_uses_dynamic_stack 0
		.amdhsa_system_sgpr_private_segment_wavefront_offset 0
		.amdhsa_system_sgpr_workgroup_id_x 1
		.amdhsa_system_sgpr_workgroup_id_y 0
		.amdhsa_system_sgpr_workgroup_id_z 0
		.amdhsa_system_sgpr_workgroup_info 0
		.amdhsa_system_vgpr_workitem_id 0
		.amdhsa_next_free_vgpr 1
		.amdhsa_next_free_sgpr 1
		.amdhsa_reserve_vcc 0
		.amdhsa_reserve_flat_scratch 0
		.amdhsa_float_round_mode_32 0
		.amdhsa_float_round_mode_16_64 0
		.amdhsa_float_denorm_mode_32 3
		.amdhsa_float_denorm_mode_16_64 3
		.amdhsa_dx10_clamp 1
		.amdhsa_ieee_mode 1
		.amdhsa_fp16_overflow 0
		.amdhsa_workgroup_processor_mode 1
		.amdhsa_memory_ordered 1
		.amdhsa_forward_progress 1
		.amdhsa_shared_vgpr_count 0
		.amdhsa_exception_fp_ieee_invalid_op 0
		.amdhsa_exception_fp_denorm_src 0
		.amdhsa_exception_fp_ieee_div_zero 0
		.amdhsa_exception_fp_ieee_overflow 0
		.amdhsa_exception_fp_ieee_underflow 0
		.amdhsa_exception_fp_ieee_inexact 0
		.amdhsa_exception_int_div_zero 0
	.end_amdhsa_kernel
	.section	.text._ZN7rocprim17ROCPRIM_400000_NS6detail17trampoline_kernelINS0_14default_configENS1_38merge_sort_block_merge_config_selectorItNS0_10empty_typeEEEZZNS1_27merge_sort_block_merge_implIS3_N6thrust23THRUST_200600_302600_NS6detail15normal_iteratorINS9_10device_ptrItEEEEPS5_m9comp_mod3ItEEE10hipError_tT0_T1_T2_jT3_P12ihipStream_tbPNSt15iterator_traitsISJ_E10value_typeEPNSP_ISK_E10value_typeEPSL_NS1_7vsmem_tEENKUlT_SJ_SK_SL_E_clIPtSE_SF_SF_EESI_SY_SJ_SK_SL_EUlSY_E1_NS1_11comp_targetILNS1_3genE4ELNS1_11target_archE910ELNS1_3gpuE8ELNS1_3repE0EEENS1_36merge_oddeven_config_static_selectorELNS0_4arch9wavefront6targetE0EEEvSK_,"axG",@progbits,_ZN7rocprim17ROCPRIM_400000_NS6detail17trampoline_kernelINS0_14default_configENS1_38merge_sort_block_merge_config_selectorItNS0_10empty_typeEEEZZNS1_27merge_sort_block_merge_implIS3_N6thrust23THRUST_200600_302600_NS6detail15normal_iteratorINS9_10device_ptrItEEEEPS5_m9comp_mod3ItEEE10hipError_tT0_T1_T2_jT3_P12ihipStream_tbPNSt15iterator_traitsISJ_E10value_typeEPNSP_ISK_E10value_typeEPSL_NS1_7vsmem_tEENKUlT_SJ_SK_SL_E_clIPtSE_SF_SF_EESI_SY_SJ_SK_SL_EUlSY_E1_NS1_11comp_targetILNS1_3genE4ELNS1_11target_archE910ELNS1_3gpuE8ELNS1_3repE0EEENS1_36merge_oddeven_config_static_selectorELNS0_4arch9wavefront6targetE0EEEvSK_,comdat
.Lfunc_end893:
	.size	_ZN7rocprim17ROCPRIM_400000_NS6detail17trampoline_kernelINS0_14default_configENS1_38merge_sort_block_merge_config_selectorItNS0_10empty_typeEEEZZNS1_27merge_sort_block_merge_implIS3_N6thrust23THRUST_200600_302600_NS6detail15normal_iteratorINS9_10device_ptrItEEEEPS5_m9comp_mod3ItEEE10hipError_tT0_T1_T2_jT3_P12ihipStream_tbPNSt15iterator_traitsISJ_E10value_typeEPNSP_ISK_E10value_typeEPSL_NS1_7vsmem_tEENKUlT_SJ_SK_SL_E_clIPtSE_SF_SF_EESI_SY_SJ_SK_SL_EUlSY_E1_NS1_11comp_targetILNS1_3genE4ELNS1_11target_archE910ELNS1_3gpuE8ELNS1_3repE0EEENS1_36merge_oddeven_config_static_selectorELNS0_4arch9wavefront6targetE0EEEvSK_, .Lfunc_end893-_ZN7rocprim17ROCPRIM_400000_NS6detail17trampoline_kernelINS0_14default_configENS1_38merge_sort_block_merge_config_selectorItNS0_10empty_typeEEEZZNS1_27merge_sort_block_merge_implIS3_N6thrust23THRUST_200600_302600_NS6detail15normal_iteratorINS9_10device_ptrItEEEEPS5_m9comp_mod3ItEEE10hipError_tT0_T1_T2_jT3_P12ihipStream_tbPNSt15iterator_traitsISJ_E10value_typeEPNSP_ISK_E10value_typeEPSL_NS1_7vsmem_tEENKUlT_SJ_SK_SL_E_clIPtSE_SF_SF_EESI_SY_SJ_SK_SL_EUlSY_E1_NS1_11comp_targetILNS1_3genE4ELNS1_11target_archE910ELNS1_3gpuE8ELNS1_3repE0EEENS1_36merge_oddeven_config_static_selectorELNS0_4arch9wavefront6targetE0EEEvSK_
                                        ; -- End function
	.set _ZN7rocprim17ROCPRIM_400000_NS6detail17trampoline_kernelINS0_14default_configENS1_38merge_sort_block_merge_config_selectorItNS0_10empty_typeEEEZZNS1_27merge_sort_block_merge_implIS3_N6thrust23THRUST_200600_302600_NS6detail15normal_iteratorINS9_10device_ptrItEEEEPS5_m9comp_mod3ItEEE10hipError_tT0_T1_T2_jT3_P12ihipStream_tbPNSt15iterator_traitsISJ_E10value_typeEPNSP_ISK_E10value_typeEPSL_NS1_7vsmem_tEENKUlT_SJ_SK_SL_E_clIPtSE_SF_SF_EESI_SY_SJ_SK_SL_EUlSY_E1_NS1_11comp_targetILNS1_3genE4ELNS1_11target_archE910ELNS1_3gpuE8ELNS1_3repE0EEENS1_36merge_oddeven_config_static_selectorELNS0_4arch9wavefront6targetE0EEEvSK_.num_vgpr, 0
	.set _ZN7rocprim17ROCPRIM_400000_NS6detail17trampoline_kernelINS0_14default_configENS1_38merge_sort_block_merge_config_selectorItNS0_10empty_typeEEEZZNS1_27merge_sort_block_merge_implIS3_N6thrust23THRUST_200600_302600_NS6detail15normal_iteratorINS9_10device_ptrItEEEEPS5_m9comp_mod3ItEEE10hipError_tT0_T1_T2_jT3_P12ihipStream_tbPNSt15iterator_traitsISJ_E10value_typeEPNSP_ISK_E10value_typeEPSL_NS1_7vsmem_tEENKUlT_SJ_SK_SL_E_clIPtSE_SF_SF_EESI_SY_SJ_SK_SL_EUlSY_E1_NS1_11comp_targetILNS1_3genE4ELNS1_11target_archE910ELNS1_3gpuE8ELNS1_3repE0EEENS1_36merge_oddeven_config_static_selectorELNS0_4arch9wavefront6targetE0EEEvSK_.num_agpr, 0
	.set _ZN7rocprim17ROCPRIM_400000_NS6detail17trampoline_kernelINS0_14default_configENS1_38merge_sort_block_merge_config_selectorItNS0_10empty_typeEEEZZNS1_27merge_sort_block_merge_implIS3_N6thrust23THRUST_200600_302600_NS6detail15normal_iteratorINS9_10device_ptrItEEEEPS5_m9comp_mod3ItEEE10hipError_tT0_T1_T2_jT3_P12ihipStream_tbPNSt15iterator_traitsISJ_E10value_typeEPNSP_ISK_E10value_typeEPSL_NS1_7vsmem_tEENKUlT_SJ_SK_SL_E_clIPtSE_SF_SF_EESI_SY_SJ_SK_SL_EUlSY_E1_NS1_11comp_targetILNS1_3genE4ELNS1_11target_archE910ELNS1_3gpuE8ELNS1_3repE0EEENS1_36merge_oddeven_config_static_selectorELNS0_4arch9wavefront6targetE0EEEvSK_.numbered_sgpr, 0
	.set _ZN7rocprim17ROCPRIM_400000_NS6detail17trampoline_kernelINS0_14default_configENS1_38merge_sort_block_merge_config_selectorItNS0_10empty_typeEEEZZNS1_27merge_sort_block_merge_implIS3_N6thrust23THRUST_200600_302600_NS6detail15normal_iteratorINS9_10device_ptrItEEEEPS5_m9comp_mod3ItEEE10hipError_tT0_T1_T2_jT3_P12ihipStream_tbPNSt15iterator_traitsISJ_E10value_typeEPNSP_ISK_E10value_typeEPSL_NS1_7vsmem_tEENKUlT_SJ_SK_SL_E_clIPtSE_SF_SF_EESI_SY_SJ_SK_SL_EUlSY_E1_NS1_11comp_targetILNS1_3genE4ELNS1_11target_archE910ELNS1_3gpuE8ELNS1_3repE0EEENS1_36merge_oddeven_config_static_selectorELNS0_4arch9wavefront6targetE0EEEvSK_.num_named_barrier, 0
	.set _ZN7rocprim17ROCPRIM_400000_NS6detail17trampoline_kernelINS0_14default_configENS1_38merge_sort_block_merge_config_selectorItNS0_10empty_typeEEEZZNS1_27merge_sort_block_merge_implIS3_N6thrust23THRUST_200600_302600_NS6detail15normal_iteratorINS9_10device_ptrItEEEEPS5_m9comp_mod3ItEEE10hipError_tT0_T1_T2_jT3_P12ihipStream_tbPNSt15iterator_traitsISJ_E10value_typeEPNSP_ISK_E10value_typeEPSL_NS1_7vsmem_tEENKUlT_SJ_SK_SL_E_clIPtSE_SF_SF_EESI_SY_SJ_SK_SL_EUlSY_E1_NS1_11comp_targetILNS1_3genE4ELNS1_11target_archE910ELNS1_3gpuE8ELNS1_3repE0EEENS1_36merge_oddeven_config_static_selectorELNS0_4arch9wavefront6targetE0EEEvSK_.private_seg_size, 0
	.set _ZN7rocprim17ROCPRIM_400000_NS6detail17trampoline_kernelINS0_14default_configENS1_38merge_sort_block_merge_config_selectorItNS0_10empty_typeEEEZZNS1_27merge_sort_block_merge_implIS3_N6thrust23THRUST_200600_302600_NS6detail15normal_iteratorINS9_10device_ptrItEEEEPS5_m9comp_mod3ItEEE10hipError_tT0_T1_T2_jT3_P12ihipStream_tbPNSt15iterator_traitsISJ_E10value_typeEPNSP_ISK_E10value_typeEPSL_NS1_7vsmem_tEENKUlT_SJ_SK_SL_E_clIPtSE_SF_SF_EESI_SY_SJ_SK_SL_EUlSY_E1_NS1_11comp_targetILNS1_3genE4ELNS1_11target_archE910ELNS1_3gpuE8ELNS1_3repE0EEENS1_36merge_oddeven_config_static_selectorELNS0_4arch9wavefront6targetE0EEEvSK_.uses_vcc, 0
	.set _ZN7rocprim17ROCPRIM_400000_NS6detail17trampoline_kernelINS0_14default_configENS1_38merge_sort_block_merge_config_selectorItNS0_10empty_typeEEEZZNS1_27merge_sort_block_merge_implIS3_N6thrust23THRUST_200600_302600_NS6detail15normal_iteratorINS9_10device_ptrItEEEEPS5_m9comp_mod3ItEEE10hipError_tT0_T1_T2_jT3_P12ihipStream_tbPNSt15iterator_traitsISJ_E10value_typeEPNSP_ISK_E10value_typeEPSL_NS1_7vsmem_tEENKUlT_SJ_SK_SL_E_clIPtSE_SF_SF_EESI_SY_SJ_SK_SL_EUlSY_E1_NS1_11comp_targetILNS1_3genE4ELNS1_11target_archE910ELNS1_3gpuE8ELNS1_3repE0EEENS1_36merge_oddeven_config_static_selectorELNS0_4arch9wavefront6targetE0EEEvSK_.uses_flat_scratch, 0
	.set _ZN7rocprim17ROCPRIM_400000_NS6detail17trampoline_kernelINS0_14default_configENS1_38merge_sort_block_merge_config_selectorItNS0_10empty_typeEEEZZNS1_27merge_sort_block_merge_implIS3_N6thrust23THRUST_200600_302600_NS6detail15normal_iteratorINS9_10device_ptrItEEEEPS5_m9comp_mod3ItEEE10hipError_tT0_T1_T2_jT3_P12ihipStream_tbPNSt15iterator_traitsISJ_E10value_typeEPNSP_ISK_E10value_typeEPSL_NS1_7vsmem_tEENKUlT_SJ_SK_SL_E_clIPtSE_SF_SF_EESI_SY_SJ_SK_SL_EUlSY_E1_NS1_11comp_targetILNS1_3genE4ELNS1_11target_archE910ELNS1_3gpuE8ELNS1_3repE0EEENS1_36merge_oddeven_config_static_selectorELNS0_4arch9wavefront6targetE0EEEvSK_.has_dyn_sized_stack, 0
	.set _ZN7rocprim17ROCPRIM_400000_NS6detail17trampoline_kernelINS0_14default_configENS1_38merge_sort_block_merge_config_selectorItNS0_10empty_typeEEEZZNS1_27merge_sort_block_merge_implIS3_N6thrust23THRUST_200600_302600_NS6detail15normal_iteratorINS9_10device_ptrItEEEEPS5_m9comp_mod3ItEEE10hipError_tT0_T1_T2_jT3_P12ihipStream_tbPNSt15iterator_traitsISJ_E10value_typeEPNSP_ISK_E10value_typeEPSL_NS1_7vsmem_tEENKUlT_SJ_SK_SL_E_clIPtSE_SF_SF_EESI_SY_SJ_SK_SL_EUlSY_E1_NS1_11comp_targetILNS1_3genE4ELNS1_11target_archE910ELNS1_3gpuE8ELNS1_3repE0EEENS1_36merge_oddeven_config_static_selectorELNS0_4arch9wavefront6targetE0EEEvSK_.has_recursion, 0
	.set _ZN7rocprim17ROCPRIM_400000_NS6detail17trampoline_kernelINS0_14default_configENS1_38merge_sort_block_merge_config_selectorItNS0_10empty_typeEEEZZNS1_27merge_sort_block_merge_implIS3_N6thrust23THRUST_200600_302600_NS6detail15normal_iteratorINS9_10device_ptrItEEEEPS5_m9comp_mod3ItEEE10hipError_tT0_T1_T2_jT3_P12ihipStream_tbPNSt15iterator_traitsISJ_E10value_typeEPNSP_ISK_E10value_typeEPSL_NS1_7vsmem_tEENKUlT_SJ_SK_SL_E_clIPtSE_SF_SF_EESI_SY_SJ_SK_SL_EUlSY_E1_NS1_11comp_targetILNS1_3genE4ELNS1_11target_archE910ELNS1_3gpuE8ELNS1_3repE0EEENS1_36merge_oddeven_config_static_selectorELNS0_4arch9wavefront6targetE0EEEvSK_.has_indirect_call, 0
	.section	.AMDGPU.csdata,"",@progbits
; Kernel info:
; codeLenInByte = 0
; TotalNumSgprs: 0
; NumVgprs: 0
; ScratchSize: 0
; MemoryBound: 0
; FloatMode: 240
; IeeeMode: 1
; LDSByteSize: 0 bytes/workgroup (compile time only)
; SGPRBlocks: 0
; VGPRBlocks: 0
; NumSGPRsForWavesPerEU: 1
; NumVGPRsForWavesPerEU: 1
; Occupancy: 16
; WaveLimiterHint : 0
; COMPUTE_PGM_RSRC2:SCRATCH_EN: 0
; COMPUTE_PGM_RSRC2:USER_SGPR: 6
; COMPUTE_PGM_RSRC2:TRAP_HANDLER: 0
; COMPUTE_PGM_RSRC2:TGID_X_EN: 1
; COMPUTE_PGM_RSRC2:TGID_Y_EN: 0
; COMPUTE_PGM_RSRC2:TGID_Z_EN: 0
; COMPUTE_PGM_RSRC2:TIDIG_COMP_CNT: 0
	.section	.text._ZN7rocprim17ROCPRIM_400000_NS6detail17trampoline_kernelINS0_14default_configENS1_38merge_sort_block_merge_config_selectorItNS0_10empty_typeEEEZZNS1_27merge_sort_block_merge_implIS3_N6thrust23THRUST_200600_302600_NS6detail15normal_iteratorINS9_10device_ptrItEEEEPS5_m9comp_mod3ItEEE10hipError_tT0_T1_T2_jT3_P12ihipStream_tbPNSt15iterator_traitsISJ_E10value_typeEPNSP_ISK_E10value_typeEPSL_NS1_7vsmem_tEENKUlT_SJ_SK_SL_E_clIPtSE_SF_SF_EESI_SY_SJ_SK_SL_EUlSY_E1_NS1_11comp_targetILNS1_3genE3ELNS1_11target_archE908ELNS1_3gpuE7ELNS1_3repE0EEENS1_36merge_oddeven_config_static_selectorELNS0_4arch9wavefront6targetE0EEEvSK_,"axG",@progbits,_ZN7rocprim17ROCPRIM_400000_NS6detail17trampoline_kernelINS0_14default_configENS1_38merge_sort_block_merge_config_selectorItNS0_10empty_typeEEEZZNS1_27merge_sort_block_merge_implIS3_N6thrust23THRUST_200600_302600_NS6detail15normal_iteratorINS9_10device_ptrItEEEEPS5_m9comp_mod3ItEEE10hipError_tT0_T1_T2_jT3_P12ihipStream_tbPNSt15iterator_traitsISJ_E10value_typeEPNSP_ISK_E10value_typeEPSL_NS1_7vsmem_tEENKUlT_SJ_SK_SL_E_clIPtSE_SF_SF_EESI_SY_SJ_SK_SL_EUlSY_E1_NS1_11comp_targetILNS1_3genE3ELNS1_11target_archE908ELNS1_3gpuE7ELNS1_3repE0EEENS1_36merge_oddeven_config_static_selectorELNS0_4arch9wavefront6targetE0EEEvSK_,comdat
	.protected	_ZN7rocprim17ROCPRIM_400000_NS6detail17trampoline_kernelINS0_14default_configENS1_38merge_sort_block_merge_config_selectorItNS0_10empty_typeEEEZZNS1_27merge_sort_block_merge_implIS3_N6thrust23THRUST_200600_302600_NS6detail15normal_iteratorINS9_10device_ptrItEEEEPS5_m9comp_mod3ItEEE10hipError_tT0_T1_T2_jT3_P12ihipStream_tbPNSt15iterator_traitsISJ_E10value_typeEPNSP_ISK_E10value_typeEPSL_NS1_7vsmem_tEENKUlT_SJ_SK_SL_E_clIPtSE_SF_SF_EESI_SY_SJ_SK_SL_EUlSY_E1_NS1_11comp_targetILNS1_3genE3ELNS1_11target_archE908ELNS1_3gpuE7ELNS1_3repE0EEENS1_36merge_oddeven_config_static_selectorELNS0_4arch9wavefront6targetE0EEEvSK_ ; -- Begin function _ZN7rocprim17ROCPRIM_400000_NS6detail17trampoline_kernelINS0_14default_configENS1_38merge_sort_block_merge_config_selectorItNS0_10empty_typeEEEZZNS1_27merge_sort_block_merge_implIS3_N6thrust23THRUST_200600_302600_NS6detail15normal_iteratorINS9_10device_ptrItEEEEPS5_m9comp_mod3ItEEE10hipError_tT0_T1_T2_jT3_P12ihipStream_tbPNSt15iterator_traitsISJ_E10value_typeEPNSP_ISK_E10value_typeEPSL_NS1_7vsmem_tEENKUlT_SJ_SK_SL_E_clIPtSE_SF_SF_EESI_SY_SJ_SK_SL_EUlSY_E1_NS1_11comp_targetILNS1_3genE3ELNS1_11target_archE908ELNS1_3gpuE7ELNS1_3repE0EEENS1_36merge_oddeven_config_static_selectorELNS0_4arch9wavefront6targetE0EEEvSK_
	.globl	_ZN7rocprim17ROCPRIM_400000_NS6detail17trampoline_kernelINS0_14default_configENS1_38merge_sort_block_merge_config_selectorItNS0_10empty_typeEEEZZNS1_27merge_sort_block_merge_implIS3_N6thrust23THRUST_200600_302600_NS6detail15normal_iteratorINS9_10device_ptrItEEEEPS5_m9comp_mod3ItEEE10hipError_tT0_T1_T2_jT3_P12ihipStream_tbPNSt15iterator_traitsISJ_E10value_typeEPNSP_ISK_E10value_typeEPSL_NS1_7vsmem_tEENKUlT_SJ_SK_SL_E_clIPtSE_SF_SF_EESI_SY_SJ_SK_SL_EUlSY_E1_NS1_11comp_targetILNS1_3genE3ELNS1_11target_archE908ELNS1_3gpuE7ELNS1_3repE0EEENS1_36merge_oddeven_config_static_selectorELNS0_4arch9wavefront6targetE0EEEvSK_
	.p2align	8
	.type	_ZN7rocprim17ROCPRIM_400000_NS6detail17trampoline_kernelINS0_14default_configENS1_38merge_sort_block_merge_config_selectorItNS0_10empty_typeEEEZZNS1_27merge_sort_block_merge_implIS3_N6thrust23THRUST_200600_302600_NS6detail15normal_iteratorINS9_10device_ptrItEEEEPS5_m9comp_mod3ItEEE10hipError_tT0_T1_T2_jT3_P12ihipStream_tbPNSt15iterator_traitsISJ_E10value_typeEPNSP_ISK_E10value_typeEPSL_NS1_7vsmem_tEENKUlT_SJ_SK_SL_E_clIPtSE_SF_SF_EESI_SY_SJ_SK_SL_EUlSY_E1_NS1_11comp_targetILNS1_3genE3ELNS1_11target_archE908ELNS1_3gpuE7ELNS1_3repE0EEENS1_36merge_oddeven_config_static_selectorELNS0_4arch9wavefront6targetE0EEEvSK_,@function
_ZN7rocprim17ROCPRIM_400000_NS6detail17trampoline_kernelINS0_14default_configENS1_38merge_sort_block_merge_config_selectorItNS0_10empty_typeEEEZZNS1_27merge_sort_block_merge_implIS3_N6thrust23THRUST_200600_302600_NS6detail15normal_iteratorINS9_10device_ptrItEEEEPS5_m9comp_mod3ItEEE10hipError_tT0_T1_T2_jT3_P12ihipStream_tbPNSt15iterator_traitsISJ_E10value_typeEPNSP_ISK_E10value_typeEPSL_NS1_7vsmem_tEENKUlT_SJ_SK_SL_E_clIPtSE_SF_SF_EESI_SY_SJ_SK_SL_EUlSY_E1_NS1_11comp_targetILNS1_3genE3ELNS1_11target_archE908ELNS1_3gpuE7ELNS1_3repE0EEENS1_36merge_oddeven_config_static_selectorELNS0_4arch9wavefront6targetE0EEEvSK_: ; @_ZN7rocprim17ROCPRIM_400000_NS6detail17trampoline_kernelINS0_14default_configENS1_38merge_sort_block_merge_config_selectorItNS0_10empty_typeEEEZZNS1_27merge_sort_block_merge_implIS3_N6thrust23THRUST_200600_302600_NS6detail15normal_iteratorINS9_10device_ptrItEEEEPS5_m9comp_mod3ItEEE10hipError_tT0_T1_T2_jT3_P12ihipStream_tbPNSt15iterator_traitsISJ_E10value_typeEPNSP_ISK_E10value_typeEPSL_NS1_7vsmem_tEENKUlT_SJ_SK_SL_E_clIPtSE_SF_SF_EESI_SY_SJ_SK_SL_EUlSY_E1_NS1_11comp_targetILNS1_3genE3ELNS1_11target_archE908ELNS1_3gpuE7ELNS1_3repE0EEENS1_36merge_oddeven_config_static_selectorELNS0_4arch9wavefront6targetE0EEEvSK_
; %bb.0:
	.section	.rodata,"a",@progbits
	.p2align	6, 0x0
	.amdhsa_kernel _ZN7rocprim17ROCPRIM_400000_NS6detail17trampoline_kernelINS0_14default_configENS1_38merge_sort_block_merge_config_selectorItNS0_10empty_typeEEEZZNS1_27merge_sort_block_merge_implIS3_N6thrust23THRUST_200600_302600_NS6detail15normal_iteratorINS9_10device_ptrItEEEEPS5_m9comp_mod3ItEEE10hipError_tT0_T1_T2_jT3_P12ihipStream_tbPNSt15iterator_traitsISJ_E10value_typeEPNSP_ISK_E10value_typeEPSL_NS1_7vsmem_tEENKUlT_SJ_SK_SL_E_clIPtSE_SF_SF_EESI_SY_SJ_SK_SL_EUlSY_E1_NS1_11comp_targetILNS1_3genE3ELNS1_11target_archE908ELNS1_3gpuE7ELNS1_3repE0EEENS1_36merge_oddeven_config_static_selectorELNS0_4arch9wavefront6targetE0EEEvSK_
		.amdhsa_group_segment_fixed_size 0
		.amdhsa_private_segment_fixed_size 0
		.amdhsa_kernarg_size 56
		.amdhsa_user_sgpr_count 6
		.amdhsa_user_sgpr_private_segment_buffer 1
		.amdhsa_user_sgpr_dispatch_ptr 0
		.amdhsa_user_sgpr_queue_ptr 0
		.amdhsa_user_sgpr_kernarg_segment_ptr 1
		.amdhsa_user_sgpr_dispatch_id 0
		.amdhsa_user_sgpr_flat_scratch_init 0
		.amdhsa_user_sgpr_private_segment_size 0
		.amdhsa_wavefront_size32 1
		.amdhsa_uses_dynamic_stack 0
		.amdhsa_system_sgpr_private_segment_wavefront_offset 0
		.amdhsa_system_sgpr_workgroup_id_x 1
		.amdhsa_system_sgpr_workgroup_id_y 0
		.amdhsa_system_sgpr_workgroup_id_z 0
		.amdhsa_system_sgpr_workgroup_info 0
		.amdhsa_system_vgpr_workitem_id 0
		.amdhsa_next_free_vgpr 1
		.amdhsa_next_free_sgpr 1
		.amdhsa_reserve_vcc 0
		.amdhsa_reserve_flat_scratch 0
		.amdhsa_float_round_mode_32 0
		.amdhsa_float_round_mode_16_64 0
		.amdhsa_float_denorm_mode_32 3
		.amdhsa_float_denorm_mode_16_64 3
		.amdhsa_dx10_clamp 1
		.amdhsa_ieee_mode 1
		.amdhsa_fp16_overflow 0
		.amdhsa_workgroup_processor_mode 1
		.amdhsa_memory_ordered 1
		.amdhsa_forward_progress 1
		.amdhsa_shared_vgpr_count 0
		.amdhsa_exception_fp_ieee_invalid_op 0
		.amdhsa_exception_fp_denorm_src 0
		.amdhsa_exception_fp_ieee_div_zero 0
		.amdhsa_exception_fp_ieee_overflow 0
		.amdhsa_exception_fp_ieee_underflow 0
		.amdhsa_exception_fp_ieee_inexact 0
		.amdhsa_exception_int_div_zero 0
	.end_amdhsa_kernel
	.section	.text._ZN7rocprim17ROCPRIM_400000_NS6detail17trampoline_kernelINS0_14default_configENS1_38merge_sort_block_merge_config_selectorItNS0_10empty_typeEEEZZNS1_27merge_sort_block_merge_implIS3_N6thrust23THRUST_200600_302600_NS6detail15normal_iteratorINS9_10device_ptrItEEEEPS5_m9comp_mod3ItEEE10hipError_tT0_T1_T2_jT3_P12ihipStream_tbPNSt15iterator_traitsISJ_E10value_typeEPNSP_ISK_E10value_typeEPSL_NS1_7vsmem_tEENKUlT_SJ_SK_SL_E_clIPtSE_SF_SF_EESI_SY_SJ_SK_SL_EUlSY_E1_NS1_11comp_targetILNS1_3genE3ELNS1_11target_archE908ELNS1_3gpuE7ELNS1_3repE0EEENS1_36merge_oddeven_config_static_selectorELNS0_4arch9wavefront6targetE0EEEvSK_,"axG",@progbits,_ZN7rocprim17ROCPRIM_400000_NS6detail17trampoline_kernelINS0_14default_configENS1_38merge_sort_block_merge_config_selectorItNS0_10empty_typeEEEZZNS1_27merge_sort_block_merge_implIS3_N6thrust23THRUST_200600_302600_NS6detail15normal_iteratorINS9_10device_ptrItEEEEPS5_m9comp_mod3ItEEE10hipError_tT0_T1_T2_jT3_P12ihipStream_tbPNSt15iterator_traitsISJ_E10value_typeEPNSP_ISK_E10value_typeEPSL_NS1_7vsmem_tEENKUlT_SJ_SK_SL_E_clIPtSE_SF_SF_EESI_SY_SJ_SK_SL_EUlSY_E1_NS1_11comp_targetILNS1_3genE3ELNS1_11target_archE908ELNS1_3gpuE7ELNS1_3repE0EEENS1_36merge_oddeven_config_static_selectorELNS0_4arch9wavefront6targetE0EEEvSK_,comdat
.Lfunc_end894:
	.size	_ZN7rocprim17ROCPRIM_400000_NS6detail17trampoline_kernelINS0_14default_configENS1_38merge_sort_block_merge_config_selectorItNS0_10empty_typeEEEZZNS1_27merge_sort_block_merge_implIS3_N6thrust23THRUST_200600_302600_NS6detail15normal_iteratorINS9_10device_ptrItEEEEPS5_m9comp_mod3ItEEE10hipError_tT0_T1_T2_jT3_P12ihipStream_tbPNSt15iterator_traitsISJ_E10value_typeEPNSP_ISK_E10value_typeEPSL_NS1_7vsmem_tEENKUlT_SJ_SK_SL_E_clIPtSE_SF_SF_EESI_SY_SJ_SK_SL_EUlSY_E1_NS1_11comp_targetILNS1_3genE3ELNS1_11target_archE908ELNS1_3gpuE7ELNS1_3repE0EEENS1_36merge_oddeven_config_static_selectorELNS0_4arch9wavefront6targetE0EEEvSK_, .Lfunc_end894-_ZN7rocprim17ROCPRIM_400000_NS6detail17trampoline_kernelINS0_14default_configENS1_38merge_sort_block_merge_config_selectorItNS0_10empty_typeEEEZZNS1_27merge_sort_block_merge_implIS3_N6thrust23THRUST_200600_302600_NS6detail15normal_iteratorINS9_10device_ptrItEEEEPS5_m9comp_mod3ItEEE10hipError_tT0_T1_T2_jT3_P12ihipStream_tbPNSt15iterator_traitsISJ_E10value_typeEPNSP_ISK_E10value_typeEPSL_NS1_7vsmem_tEENKUlT_SJ_SK_SL_E_clIPtSE_SF_SF_EESI_SY_SJ_SK_SL_EUlSY_E1_NS1_11comp_targetILNS1_3genE3ELNS1_11target_archE908ELNS1_3gpuE7ELNS1_3repE0EEENS1_36merge_oddeven_config_static_selectorELNS0_4arch9wavefront6targetE0EEEvSK_
                                        ; -- End function
	.set _ZN7rocprim17ROCPRIM_400000_NS6detail17trampoline_kernelINS0_14default_configENS1_38merge_sort_block_merge_config_selectorItNS0_10empty_typeEEEZZNS1_27merge_sort_block_merge_implIS3_N6thrust23THRUST_200600_302600_NS6detail15normal_iteratorINS9_10device_ptrItEEEEPS5_m9comp_mod3ItEEE10hipError_tT0_T1_T2_jT3_P12ihipStream_tbPNSt15iterator_traitsISJ_E10value_typeEPNSP_ISK_E10value_typeEPSL_NS1_7vsmem_tEENKUlT_SJ_SK_SL_E_clIPtSE_SF_SF_EESI_SY_SJ_SK_SL_EUlSY_E1_NS1_11comp_targetILNS1_3genE3ELNS1_11target_archE908ELNS1_3gpuE7ELNS1_3repE0EEENS1_36merge_oddeven_config_static_selectorELNS0_4arch9wavefront6targetE0EEEvSK_.num_vgpr, 0
	.set _ZN7rocprim17ROCPRIM_400000_NS6detail17trampoline_kernelINS0_14default_configENS1_38merge_sort_block_merge_config_selectorItNS0_10empty_typeEEEZZNS1_27merge_sort_block_merge_implIS3_N6thrust23THRUST_200600_302600_NS6detail15normal_iteratorINS9_10device_ptrItEEEEPS5_m9comp_mod3ItEEE10hipError_tT0_T1_T2_jT3_P12ihipStream_tbPNSt15iterator_traitsISJ_E10value_typeEPNSP_ISK_E10value_typeEPSL_NS1_7vsmem_tEENKUlT_SJ_SK_SL_E_clIPtSE_SF_SF_EESI_SY_SJ_SK_SL_EUlSY_E1_NS1_11comp_targetILNS1_3genE3ELNS1_11target_archE908ELNS1_3gpuE7ELNS1_3repE0EEENS1_36merge_oddeven_config_static_selectorELNS0_4arch9wavefront6targetE0EEEvSK_.num_agpr, 0
	.set _ZN7rocprim17ROCPRIM_400000_NS6detail17trampoline_kernelINS0_14default_configENS1_38merge_sort_block_merge_config_selectorItNS0_10empty_typeEEEZZNS1_27merge_sort_block_merge_implIS3_N6thrust23THRUST_200600_302600_NS6detail15normal_iteratorINS9_10device_ptrItEEEEPS5_m9comp_mod3ItEEE10hipError_tT0_T1_T2_jT3_P12ihipStream_tbPNSt15iterator_traitsISJ_E10value_typeEPNSP_ISK_E10value_typeEPSL_NS1_7vsmem_tEENKUlT_SJ_SK_SL_E_clIPtSE_SF_SF_EESI_SY_SJ_SK_SL_EUlSY_E1_NS1_11comp_targetILNS1_3genE3ELNS1_11target_archE908ELNS1_3gpuE7ELNS1_3repE0EEENS1_36merge_oddeven_config_static_selectorELNS0_4arch9wavefront6targetE0EEEvSK_.numbered_sgpr, 0
	.set _ZN7rocprim17ROCPRIM_400000_NS6detail17trampoline_kernelINS0_14default_configENS1_38merge_sort_block_merge_config_selectorItNS0_10empty_typeEEEZZNS1_27merge_sort_block_merge_implIS3_N6thrust23THRUST_200600_302600_NS6detail15normal_iteratorINS9_10device_ptrItEEEEPS5_m9comp_mod3ItEEE10hipError_tT0_T1_T2_jT3_P12ihipStream_tbPNSt15iterator_traitsISJ_E10value_typeEPNSP_ISK_E10value_typeEPSL_NS1_7vsmem_tEENKUlT_SJ_SK_SL_E_clIPtSE_SF_SF_EESI_SY_SJ_SK_SL_EUlSY_E1_NS1_11comp_targetILNS1_3genE3ELNS1_11target_archE908ELNS1_3gpuE7ELNS1_3repE0EEENS1_36merge_oddeven_config_static_selectorELNS0_4arch9wavefront6targetE0EEEvSK_.num_named_barrier, 0
	.set _ZN7rocprim17ROCPRIM_400000_NS6detail17trampoline_kernelINS0_14default_configENS1_38merge_sort_block_merge_config_selectorItNS0_10empty_typeEEEZZNS1_27merge_sort_block_merge_implIS3_N6thrust23THRUST_200600_302600_NS6detail15normal_iteratorINS9_10device_ptrItEEEEPS5_m9comp_mod3ItEEE10hipError_tT0_T1_T2_jT3_P12ihipStream_tbPNSt15iterator_traitsISJ_E10value_typeEPNSP_ISK_E10value_typeEPSL_NS1_7vsmem_tEENKUlT_SJ_SK_SL_E_clIPtSE_SF_SF_EESI_SY_SJ_SK_SL_EUlSY_E1_NS1_11comp_targetILNS1_3genE3ELNS1_11target_archE908ELNS1_3gpuE7ELNS1_3repE0EEENS1_36merge_oddeven_config_static_selectorELNS0_4arch9wavefront6targetE0EEEvSK_.private_seg_size, 0
	.set _ZN7rocprim17ROCPRIM_400000_NS6detail17trampoline_kernelINS0_14default_configENS1_38merge_sort_block_merge_config_selectorItNS0_10empty_typeEEEZZNS1_27merge_sort_block_merge_implIS3_N6thrust23THRUST_200600_302600_NS6detail15normal_iteratorINS9_10device_ptrItEEEEPS5_m9comp_mod3ItEEE10hipError_tT0_T1_T2_jT3_P12ihipStream_tbPNSt15iterator_traitsISJ_E10value_typeEPNSP_ISK_E10value_typeEPSL_NS1_7vsmem_tEENKUlT_SJ_SK_SL_E_clIPtSE_SF_SF_EESI_SY_SJ_SK_SL_EUlSY_E1_NS1_11comp_targetILNS1_3genE3ELNS1_11target_archE908ELNS1_3gpuE7ELNS1_3repE0EEENS1_36merge_oddeven_config_static_selectorELNS0_4arch9wavefront6targetE0EEEvSK_.uses_vcc, 0
	.set _ZN7rocprim17ROCPRIM_400000_NS6detail17trampoline_kernelINS0_14default_configENS1_38merge_sort_block_merge_config_selectorItNS0_10empty_typeEEEZZNS1_27merge_sort_block_merge_implIS3_N6thrust23THRUST_200600_302600_NS6detail15normal_iteratorINS9_10device_ptrItEEEEPS5_m9comp_mod3ItEEE10hipError_tT0_T1_T2_jT3_P12ihipStream_tbPNSt15iterator_traitsISJ_E10value_typeEPNSP_ISK_E10value_typeEPSL_NS1_7vsmem_tEENKUlT_SJ_SK_SL_E_clIPtSE_SF_SF_EESI_SY_SJ_SK_SL_EUlSY_E1_NS1_11comp_targetILNS1_3genE3ELNS1_11target_archE908ELNS1_3gpuE7ELNS1_3repE0EEENS1_36merge_oddeven_config_static_selectorELNS0_4arch9wavefront6targetE0EEEvSK_.uses_flat_scratch, 0
	.set _ZN7rocprim17ROCPRIM_400000_NS6detail17trampoline_kernelINS0_14default_configENS1_38merge_sort_block_merge_config_selectorItNS0_10empty_typeEEEZZNS1_27merge_sort_block_merge_implIS3_N6thrust23THRUST_200600_302600_NS6detail15normal_iteratorINS9_10device_ptrItEEEEPS5_m9comp_mod3ItEEE10hipError_tT0_T1_T2_jT3_P12ihipStream_tbPNSt15iterator_traitsISJ_E10value_typeEPNSP_ISK_E10value_typeEPSL_NS1_7vsmem_tEENKUlT_SJ_SK_SL_E_clIPtSE_SF_SF_EESI_SY_SJ_SK_SL_EUlSY_E1_NS1_11comp_targetILNS1_3genE3ELNS1_11target_archE908ELNS1_3gpuE7ELNS1_3repE0EEENS1_36merge_oddeven_config_static_selectorELNS0_4arch9wavefront6targetE0EEEvSK_.has_dyn_sized_stack, 0
	.set _ZN7rocprim17ROCPRIM_400000_NS6detail17trampoline_kernelINS0_14default_configENS1_38merge_sort_block_merge_config_selectorItNS0_10empty_typeEEEZZNS1_27merge_sort_block_merge_implIS3_N6thrust23THRUST_200600_302600_NS6detail15normal_iteratorINS9_10device_ptrItEEEEPS5_m9comp_mod3ItEEE10hipError_tT0_T1_T2_jT3_P12ihipStream_tbPNSt15iterator_traitsISJ_E10value_typeEPNSP_ISK_E10value_typeEPSL_NS1_7vsmem_tEENKUlT_SJ_SK_SL_E_clIPtSE_SF_SF_EESI_SY_SJ_SK_SL_EUlSY_E1_NS1_11comp_targetILNS1_3genE3ELNS1_11target_archE908ELNS1_3gpuE7ELNS1_3repE0EEENS1_36merge_oddeven_config_static_selectorELNS0_4arch9wavefront6targetE0EEEvSK_.has_recursion, 0
	.set _ZN7rocprim17ROCPRIM_400000_NS6detail17trampoline_kernelINS0_14default_configENS1_38merge_sort_block_merge_config_selectorItNS0_10empty_typeEEEZZNS1_27merge_sort_block_merge_implIS3_N6thrust23THRUST_200600_302600_NS6detail15normal_iteratorINS9_10device_ptrItEEEEPS5_m9comp_mod3ItEEE10hipError_tT0_T1_T2_jT3_P12ihipStream_tbPNSt15iterator_traitsISJ_E10value_typeEPNSP_ISK_E10value_typeEPSL_NS1_7vsmem_tEENKUlT_SJ_SK_SL_E_clIPtSE_SF_SF_EESI_SY_SJ_SK_SL_EUlSY_E1_NS1_11comp_targetILNS1_3genE3ELNS1_11target_archE908ELNS1_3gpuE7ELNS1_3repE0EEENS1_36merge_oddeven_config_static_selectorELNS0_4arch9wavefront6targetE0EEEvSK_.has_indirect_call, 0
	.section	.AMDGPU.csdata,"",@progbits
; Kernel info:
; codeLenInByte = 0
; TotalNumSgprs: 0
; NumVgprs: 0
; ScratchSize: 0
; MemoryBound: 0
; FloatMode: 240
; IeeeMode: 1
; LDSByteSize: 0 bytes/workgroup (compile time only)
; SGPRBlocks: 0
; VGPRBlocks: 0
; NumSGPRsForWavesPerEU: 1
; NumVGPRsForWavesPerEU: 1
; Occupancy: 16
; WaveLimiterHint : 0
; COMPUTE_PGM_RSRC2:SCRATCH_EN: 0
; COMPUTE_PGM_RSRC2:USER_SGPR: 6
; COMPUTE_PGM_RSRC2:TRAP_HANDLER: 0
; COMPUTE_PGM_RSRC2:TGID_X_EN: 1
; COMPUTE_PGM_RSRC2:TGID_Y_EN: 0
; COMPUTE_PGM_RSRC2:TGID_Z_EN: 0
; COMPUTE_PGM_RSRC2:TIDIG_COMP_CNT: 0
	.section	.text._ZN7rocprim17ROCPRIM_400000_NS6detail17trampoline_kernelINS0_14default_configENS1_38merge_sort_block_merge_config_selectorItNS0_10empty_typeEEEZZNS1_27merge_sort_block_merge_implIS3_N6thrust23THRUST_200600_302600_NS6detail15normal_iteratorINS9_10device_ptrItEEEEPS5_m9comp_mod3ItEEE10hipError_tT0_T1_T2_jT3_P12ihipStream_tbPNSt15iterator_traitsISJ_E10value_typeEPNSP_ISK_E10value_typeEPSL_NS1_7vsmem_tEENKUlT_SJ_SK_SL_E_clIPtSE_SF_SF_EESI_SY_SJ_SK_SL_EUlSY_E1_NS1_11comp_targetILNS1_3genE2ELNS1_11target_archE906ELNS1_3gpuE6ELNS1_3repE0EEENS1_36merge_oddeven_config_static_selectorELNS0_4arch9wavefront6targetE0EEEvSK_,"axG",@progbits,_ZN7rocprim17ROCPRIM_400000_NS6detail17trampoline_kernelINS0_14default_configENS1_38merge_sort_block_merge_config_selectorItNS0_10empty_typeEEEZZNS1_27merge_sort_block_merge_implIS3_N6thrust23THRUST_200600_302600_NS6detail15normal_iteratorINS9_10device_ptrItEEEEPS5_m9comp_mod3ItEEE10hipError_tT0_T1_T2_jT3_P12ihipStream_tbPNSt15iterator_traitsISJ_E10value_typeEPNSP_ISK_E10value_typeEPSL_NS1_7vsmem_tEENKUlT_SJ_SK_SL_E_clIPtSE_SF_SF_EESI_SY_SJ_SK_SL_EUlSY_E1_NS1_11comp_targetILNS1_3genE2ELNS1_11target_archE906ELNS1_3gpuE6ELNS1_3repE0EEENS1_36merge_oddeven_config_static_selectorELNS0_4arch9wavefront6targetE0EEEvSK_,comdat
	.protected	_ZN7rocprim17ROCPRIM_400000_NS6detail17trampoline_kernelINS0_14default_configENS1_38merge_sort_block_merge_config_selectorItNS0_10empty_typeEEEZZNS1_27merge_sort_block_merge_implIS3_N6thrust23THRUST_200600_302600_NS6detail15normal_iteratorINS9_10device_ptrItEEEEPS5_m9comp_mod3ItEEE10hipError_tT0_T1_T2_jT3_P12ihipStream_tbPNSt15iterator_traitsISJ_E10value_typeEPNSP_ISK_E10value_typeEPSL_NS1_7vsmem_tEENKUlT_SJ_SK_SL_E_clIPtSE_SF_SF_EESI_SY_SJ_SK_SL_EUlSY_E1_NS1_11comp_targetILNS1_3genE2ELNS1_11target_archE906ELNS1_3gpuE6ELNS1_3repE0EEENS1_36merge_oddeven_config_static_selectorELNS0_4arch9wavefront6targetE0EEEvSK_ ; -- Begin function _ZN7rocprim17ROCPRIM_400000_NS6detail17trampoline_kernelINS0_14default_configENS1_38merge_sort_block_merge_config_selectorItNS0_10empty_typeEEEZZNS1_27merge_sort_block_merge_implIS3_N6thrust23THRUST_200600_302600_NS6detail15normal_iteratorINS9_10device_ptrItEEEEPS5_m9comp_mod3ItEEE10hipError_tT0_T1_T2_jT3_P12ihipStream_tbPNSt15iterator_traitsISJ_E10value_typeEPNSP_ISK_E10value_typeEPSL_NS1_7vsmem_tEENKUlT_SJ_SK_SL_E_clIPtSE_SF_SF_EESI_SY_SJ_SK_SL_EUlSY_E1_NS1_11comp_targetILNS1_3genE2ELNS1_11target_archE906ELNS1_3gpuE6ELNS1_3repE0EEENS1_36merge_oddeven_config_static_selectorELNS0_4arch9wavefront6targetE0EEEvSK_
	.globl	_ZN7rocprim17ROCPRIM_400000_NS6detail17trampoline_kernelINS0_14default_configENS1_38merge_sort_block_merge_config_selectorItNS0_10empty_typeEEEZZNS1_27merge_sort_block_merge_implIS3_N6thrust23THRUST_200600_302600_NS6detail15normal_iteratorINS9_10device_ptrItEEEEPS5_m9comp_mod3ItEEE10hipError_tT0_T1_T2_jT3_P12ihipStream_tbPNSt15iterator_traitsISJ_E10value_typeEPNSP_ISK_E10value_typeEPSL_NS1_7vsmem_tEENKUlT_SJ_SK_SL_E_clIPtSE_SF_SF_EESI_SY_SJ_SK_SL_EUlSY_E1_NS1_11comp_targetILNS1_3genE2ELNS1_11target_archE906ELNS1_3gpuE6ELNS1_3repE0EEENS1_36merge_oddeven_config_static_selectorELNS0_4arch9wavefront6targetE0EEEvSK_
	.p2align	8
	.type	_ZN7rocprim17ROCPRIM_400000_NS6detail17trampoline_kernelINS0_14default_configENS1_38merge_sort_block_merge_config_selectorItNS0_10empty_typeEEEZZNS1_27merge_sort_block_merge_implIS3_N6thrust23THRUST_200600_302600_NS6detail15normal_iteratorINS9_10device_ptrItEEEEPS5_m9comp_mod3ItEEE10hipError_tT0_T1_T2_jT3_P12ihipStream_tbPNSt15iterator_traitsISJ_E10value_typeEPNSP_ISK_E10value_typeEPSL_NS1_7vsmem_tEENKUlT_SJ_SK_SL_E_clIPtSE_SF_SF_EESI_SY_SJ_SK_SL_EUlSY_E1_NS1_11comp_targetILNS1_3genE2ELNS1_11target_archE906ELNS1_3gpuE6ELNS1_3repE0EEENS1_36merge_oddeven_config_static_selectorELNS0_4arch9wavefront6targetE0EEEvSK_,@function
_ZN7rocprim17ROCPRIM_400000_NS6detail17trampoline_kernelINS0_14default_configENS1_38merge_sort_block_merge_config_selectorItNS0_10empty_typeEEEZZNS1_27merge_sort_block_merge_implIS3_N6thrust23THRUST_200600_302600_NS6detail15normal_iteratorINS9_10device_ptrItEEEEPS5_m9comp_mod3ItEEE10hipError_tT0_T1_T2_jT3_P12ihipStream_tbPNSt15iterator_traitsISJ_E10value_typeEPNSP_ISK_E10value_typeEPSL_NS1_7vsmem_tEENKUlT_SJ_SK_SL_E_clIPtSE_SF_SF_EESI_SY_SJ_SK_SL_EUlSY_E1_NS1_11comp_targetILNS1_3genE2ELNS1_11target_archE906ELNS1_3gpuE6ELNS1_3repE0EEENS1_36merge_oddeven_config_static_selectorELNS0_4arch9wavefront6targetE0EEEvSK_: ; @_ZN7rocprim17ROCPRIM_400000_NS6detail17trampoline_kernelINS0_14default_configENS1_38merge_sort_block_merge_config_selectorItNS0_10empty_typeEEEZZNS1_27merge_sort_block_merge_implIS3_N6thrust23THRUST_200600_302600_NS6detail15normal_iteratorINS9_10device_ptrItEEEEPS5_m9comp_mod3ItEEE10hipError_tT0_T1_T2_jT3_P12ihipStream_tbPNSt15iterator_traitsISJ_E10value_typeEPNSP_ISK_E10value_typeEPSL_NS1_7vsmem_tEENKUlT_SJ_SK_SL_E_clIPtSE_SF_SF_EESI_SY_SJ_SK_SL_EUlSY_E1_NS1_11comp_targetILNS1_3genE2ELNS1_11target_archE906ELNS1_3gpuE6ELNS1_3repE0EEENS1_36merge_oddeven_config_static_selectorELNS0_4arch9wavefront6targetE0EEEvSK_
; %bb.0:
	.section	.rodata,"a",@progbits
	.p2align	6, 0x0
	.amdhsa_kernel _ZN7rocprim17ROCPRIM_400000_NS6detail17trampoline_kernelINS0_14default_configENS1_38merge_sort_block_merge_config_selectorItNS0_10empty_typeEEEZZNS1_27merge_sort_block_merge_implIS3_N6thrust23THRUST_200600_302600_NS6detail15normal_iteratorINS9_10device_ptrItEEEEPS5_m9comp_mod3ItEEE10hipError_tT0_T1_T2_jT3_P12ihipStream_tbPNSt15iterator_traitsISJ_E10value_typeEPNSP_ISK_E10value_typeEPSL_NS1_7vsmem_tEENKUlT_SJ_SK_SL_E_clIPtSE_SF_SF_EESI_SY_SJ_SK_SL_EUlSY_E1_NS1_11comp_targetILNS1_3genE2ELNS1_11target_archE906ELNS1_3gpuE6ELNS1_3repE0EEENS1_36merge_oddeven_config_static_selectorELNS0_4arch9wavefront6targetE0EEEvSK_
		.amdhsa_group_segment_fixed_size 0
		.amdhsa_private_segment_fixed_size 0
		.amdhsa_kernarg_size 56
		.amdhsa_user_sgpr_count 6
		.amdhsa_user_sgpr_private_segment_buffer 1
		.amdhsa_user_sgpr_dispatch_ptr 0
		.amdhsa_user_sgpr_queue_ptr 0
		.amdhsa_user_sgpr_kernarg_segment_ptr 1
		.amdhsa_user_sgpr_dispatch_id 0
		.amdhsa_user_sgpr_flat_scratch_init 0
		.amdhsa_user_sgpr_private_segment_size 0
		.amdhsa_wavefront_size32 1
		.amdhsa_uses_dynamic_stack 0
		.amdhsa_system_sgpr_private_segment_wavefront_offset 0
		.amdhsa_system_sgpr_workgroup_id_x 1
		.amdhsa_system_sgpr_workgroup_id_y 0
		.amdhsa_system_sgpr_workgroup_id_z 0
		.amdhsa_system_sgpr_workgroup_info 0
		.amdhsa_system_vgpr_workitem_id 0
		.amdhsa_next_free_vgpr 1
		.amdhsa_next_free_sgpr 1
		.amdhsa_reserve_vcc 0
		.amdhsa_reserve_flat_scratch 0
		.amdhsa_float_round_mode_32 0
		.amdhsa_float_round_mode_16_64 0
		.amdhsa_float_denorm_mode_32 3
		.amdhsa_float_denorm_mode_16_64 3
		.amdhsa_dx10_clamp 1
		.amdhsa_ieee_mode 1
		.amdhsa_fp16_overflow 0
		.amdhsa_workgroup_processor_mode 1
		.amdhsa_memory_ordered 1
		.amdhsa_forward_progress 1
		.amdhsa_shared_vgpr_count 0
		.amdhsa_exception_fp_ieee_invalid_op 0
		.amdhsa_exception_fp_denorm_src 0
		.amdhsa_exception_fp_ieee_div_zero 0
		.amdhsa_exception_fp_ieee_overflow 0
		.amdhsa_exception_fp_ieee_underflow 0
		.amdhsa_exception_fp_ieee_inexact 0
		.amdhsa_exception_int_div_zero 0
	.end_amdhsa_kernel
	.section	.text._ZN7rocprim17ROCPRIM_400000_NS6detail17trampoline_kernelINS0_14default_configENS1_38merge_sort_block_merge_config_selectorItNS0_10empty_typeEEEZZNS1_27merge_sort_block_merge_implIS3_N6thrust23THRUST_200600_302600_NS6detail15normal_iteratorINS9_10device_ptrItEEEEPS5_m9comp_mod3ItEEE10hipError_tT0_T1_T2_jT3_P12ihipStream_tbPNSt15iterator_traitsISJ_E10value_typeEPNSP_ISK_E10value_typeEPSL_NS1_7vsmem_tEENKUlT_SJ_SK_SL_E_clIPtSE_SF_SF_EESI_SY_SJ_SK_SL_EUlSY_E1_NS1_11comp_targetILNS1_3genE2ELNS1_11target_archE906ELNS1_3gpuE6ELNS1_3repE0EEENS1_36merge_oddeven_config_static_selectorELNS0_4arch9wavefront6targetE0EEEvSK_,"axG",@progbits,_ZN7rocprim17ROCPRIM_400000_NS6detail17trampoline_kernelINS0_14default_configENS1_38merge_sort_block_merge_config_selectorItNS0_10empty_typeEEEZZNS1_27merge_sort_block_merge_implIS3_N6thrust23THRUST_200600_302600_NS6detail15normal_iteratorINS9_10device_ptrItEEEEPS5_m9comp_mod3ItEEE10hipError_tT0_T1_T2_jT3_P12ihipStream_tbPNSt15iterator_traitsISJ_E10value_typeEPNSP_ISK_E10value_typeEPSL_NS1_7vsmem_tEENKUlT_SJ_SK_SL_E_clIPtSE_SF_SF_EESI_SY_SJ_SK_SL_EUlSY_E1_NS1_11comp_targetILNS1_3genE2ELNS1_11target_archE906ELNS1_3gpuE6ELNS1_3repE0EEENS1_36merge_oddeven_config_static_selectorELNS0_4arch9wavefront6targetE0EEEvSK_,comdat
.Lfunc_end895:
	.size	_ZN7rocprim17ROCPRIM_400000_NS6detail17trampoline_kernelINS0_14default_configENS1_38merge_sort_block_merge_config_selectorItNS0_10empty_typeEEEZZNS1_27merge_sort_block_merge_implIS3_N6thrust23THRUST_200600_302600_NS6detail15normal_iteratorINS9_10device_ptrItEEEEPS5_m9comp_mod3ItEEE10hipError_tT0_T1_T2_jT3_P12ihipStream_tbPNSt15iterator_traitsISJ_E10value_typeEPNSP_ISK_E10value_typeEPSL_NS1_7vsmem_tEENKUlT_SJ_SK_SL_E_clIPtSE_SF_SF_EESI_SY_SJ_SK_SL_EUlSY_E1_NS1_11comp_targetILNS1_3genE2ELNS1_11target_archE906ELNS1_3gpuE6ELNS1_3repE0EEENS1_36merge_oddeven_config_static_selectorELNS0_4arch9wavefront6targetE0EEEvSK_, .Lfunc_end895-_ZN7rocprim17ROCPRIM_400000_NS6detail17trampoline_kernelINS0_14default_configENS1_38merge_sort_block_merge_config_selectorItNS0_10empty_typeEEEZZNS1_27merge_sort_block_merge_implIS3_N6thrust23THRUST_200600_302600_NS6detail15normal_iteratorINS9_10device_ptrItEEEEPS5_m9comp_mod3ItEEE10hipError_tT0_T1_T2_jT3_P12ihipStream_tbPNSt15iterator_traitsISJ_E10value_typeEPNSP_ISK_E10value_typeEPSL_NS1_7vsmem_tEENKUlT_SJ_SK_SL_E_clIPtSE_SF_SF_EESI_SY_SJ_SK_SL_EUlSY_E1_NS1_11comp_targetILNS1_3genE2ELNS1_11target_archE906ELNS1_3gpuE6ELNS1_3repE0EEENS1_36merge_oddeven_config_static_selectorELNS0_4arch9wavefront6targetE0EEEvSK_
                                        ; -- End function
	.set _ZN7rocprim17ROCPRIM_400000_NS6detail17trampoline_kernelINS0_14default_configENS1_38merge_sort_block_merge_config_selectorItNS0_10empty_typeEEEZZNS1_27merge_sort_block_merge_implIS3_N6thrust23THRUST_200600_302600_NS6detail15normal_iteratorINS9_10device_ptrItEEEEPS5_m9comp_mod3ItEEE10hipError_tT0_T1_T2_jT3_P12ihipStream_tbPNSt15iterator_traitsISJ_E10value_typeEPNSP_ISK_E10value_typeEPSL_NS1_7vsmem_tEENKUlT_SJ_SK_SL_E_clIPtSE_SF_SF_EESI_SY_SJ_SK_SL_EUlSY_E1_NS1_11comp_targetILNS1_3genE2ELNS1_11target_archE906ELNS1_3gpuE6ELNS1_3repE0EEENS1_36merge_oddeven_config_static_selectorELNS0_4arch9wavefront6targetE0EEEvSK_.num_vgpr, 0
	.set _ZN7rocprim17ROCPRIM_400000_NS6detail17trampoline_kernelINS0_14default_configENS1_38merge_sort_block_merge_config_selectorItNS0_10empty_typeEEEZZNS1_27merge_sort_block_merge_implIS3_N6thrust23THRUST_200600_302600_NS6detail15normal_iteratorINS9_10device_ptrItEEEEPS5_m9comp_mod3ItEEE10hipError_tT0_T1_T2_jT3_P12ihipStream_tbPNSt15iterator_traitsISJ_E10value_typeEPNSP_ISK_E10value_typeEPSL_NS1_7vsmem_tEENKUlT_SJ_SK_SL_E_clIPtSE_SF_SF_EESI_SY_SJ_SK_SL_EUlSY_E1_NS1_11comp_targetILNS1_3genE2ELNS1_11target_archE906ELNS1_3gpuE6ELNS1_3repE0EEENS1_36merge_oddeven_config_static_selectorELNS0_4arch9wavefront6targetE0EEEvSK_.num_agpr, 0
	.set _ZN7rocprim17ROCPRIM_400000_NS6detail17trampoline_kernelINS0_14default_configENS1_38merge_sort_block_merge_config_selectorItNS0_10empty_typeEEEZZNS1_27merge_sort_block_merge_implIS3_N6thrust23THRUST_200600_302600_NS6detail15normal_iteratorINS9_10device_ptrItEEEEPS5_m9comp_mod3ItEEE10hipError_tT0_T1_T2_jT3_P12ihipStream_tbPNSt15iterator_traitsISJ_E10value_typeEPNSP_ISK_E10value_typeEPSL_NS1_7vsmem_tEENKUlT_SJ_SK_SL_E_clIPtSE_SF_SF_EESI_SY_SJ_SK_SL_EUlSY_E1_NS1_11comp_targetILNS1_3genE2ELNS1_11target_archE906ELNS1_3gpuE6ELNS1_3repE0EEENS1_36merge_oddeven_config_static_selectorELNS0_4arch9wavefront6targetE0EEEvSK_.numbered_sgpr, 0
	.set _ZN7rocprim17ROCPRIM_400000_NS6detail17trampoline_kernelINS0_14default_configENS1_38merge_sort_block_merge_config_selectorItNS0_10empty_typeEEEZZNS1_27merge_sort_block_merge_implIS3_N6thrust23THRUST_200600_302600_NS6detail15normal_iteratorINS9_10device_ptrItEEEEPS5_m9comp_mod3ItEEE10hipError_tT0_T1_T2_jT3_P12ihipStream_tbPNSt15iterator_traitsISJ_E10value_typeEPNSP_ISK_E10value_typeEPSL_NS1_7vsmem_tEENKUlT_SJ_SK_SL_E_clIPtSE_SF_SF_EESI_SY_SJ_SK_SL_EUlSY_E1_NS1_11comp_targetILNS1_3genE2ELNS1_11target_archE906ELNS1_3gpuE6ELNS1_3repE0EEENS1_36merge_oddeven_config_static_selectorELNS0_4arch9wavefront6targetE0EEEvSK_.num_named_barrier, 0
	.set _ZN7rocprim17ROCPRIM_400000_NS6detail17trampoline_kernelINS0_14default_configENS1_38merge_sort_block_merge_config_selectorItNS0_10empty_typeEEEZZNS1_27merge_sort_block_merge_implIS3_N6thrust23THRUST_200600_302600_NS6detail15normal_iteratorINS9_10device_ptrItEEEEPS5_m9comp_mod3ItEEE10hipError_tT0_T1_T2_jT3_P12ihipStream_tbPNSt15iterator_traitsISJ_E10value_typeEPNSP_ISK_E10value_typeEPSL_NS1_7vsmem_tEENKUlT_SJ_SK_SL_E_clIPtSE_SF_SF_EESI_SY_SJ_SK_SL_EUlSY_E1_NS1_11comp_targetILNS1_3genE2ELNS1_11target_archE906ELNS1_3gpuE6ELNS1_3repE0EEENS1_36merge_oddeven_config_static_selectorELNS0_4arch9wavefront6targetE0EEEvSK_.private_seg_size, 0
	.set _ZN7rocprim17ROCPRIM_400000_NS6detail17trampoline_kernelINS0_14default_configENS1_38merge_sort_block_merge_config_selectorItNS0_10empty_typeEEEZZNS1_27merge_sort_block_merge_implIS3_N6thrust23THRUST_200600_302600_NS6detail15normal_iteratorINS9_10device_ptrItEEEEPS5_m9comp_mod3ItEEE10hipError_tT0_T1_T2_jT3_P12ihipStream_tbPNSt15iterator_traitsISJ_E10value_typeEPNSP_ISK_E10value_typeEPSL_NS1_7vsmem_tEENKUlT_SJ_SK_SL_E_clIPtSE_SF_SF_EESI_SY_SJ_SK_SL_EUlSY_E1_NS1_11comp_targetILNS1_3genE2ELNS1_11target_archE906ELNS1_3gpuE6ELNS1_3repE0EEENS1_36merge_oddeven_config_static_selectorELNS0_4arch9wavefront6targetE0EEEvSK_.uses_vcc, 0
	.set _ZN7rocprim17ROCPRIM_400000_NS6detail17trampoline_kernelINS0_14default_configENS1_38merge_sort_block_merge_config_selectorItNS0_10empty_typeEEEZZNS1_27merge_sort_block_merge_implIS3_N6thrust23THRUST_200600_302600_NS6detail15normal_iteratorINS9_10device_ptrItEEEEPS5_m9comp_mod3ItEEE10hipError_tT0_T1_T2_jT3_P12ihipStream_tbPNSt15iterator_traitsISJ_E10value_typeEPNSP_ISK_E10value_typeEPSL_NS1_7vsmem_tEENKUlT_SJ_SK_SL_E_clIPtSE_SF_SF_EESI_SY_SJ_SK_SL_EUlSY_E1_NS1_11comp_targetILNS1_3genE2ELNS1_11target_archE906ELNS1_3gpuE6ELNS1_3repE0EEENS1_36merge_oddeven_config_static_selectorELNS0_4arch9wavefront6targetE0EEEvSK_.uses_flat_scratch, 0
	.set _ZN7rocprim17ROCPRIM_400000_NS6detail17trampoline_kernelINS0_14default_configENS1_38merge_sort_block_merge_config_selectorItNS0_10empty_typeEEEZZNS1_27merge_sort_block_merge_implIS3_N6thrust23THRUST_200600_302600_NS6detail15normal_iteratorINS9_10device_ptrItEEEEPS5_m9comp_mod3ItEEE10hipError_tT0_T1_T2_jT3_P12ihipStream_tbPNSt15iterator_traitsISJ_E10value_typeEPNSP_ISK_E10value_typeEPSL_NS1_7vsmem_tEENKUlT_SJ_SK_SL_E_clIPtSE_SF_SF_EESI_SY_SJ_SK_SL_EUlSY_E1_NS1_11comp_targetILNS1_3genE2ELNS1_11target_archE906ELNS1_3gpuE6ELNS1_3repE0EEENS1_36merge_oddeven_config_static_selectorELNS0_4arch9wavefront6targetE0EEEvSK_.has_dyn_sized_stack, 0
	.set _ZN7rocprim17ROCPRIM_400000_NS6detail17trampoline_kernelINS0_14default_configENS1_38merge_sort_block_merge_config_selectorItNS0_10empty_typeEEEZZNS1_27merge_sort_block_merge_implIS3_N6thrust23THRUST_200600_302600_NS6detail15normal_iteratorINS9_10device_ptrItEEEEPS5_m9comp_mod3ItEEE10hipError_tT0_T1_T2_jT3_P12ihipStream_tbPNSt15iterator_traitsISJ_E10value_typeEPNSP_ISK_E10value_typeEPSL_NS1_7vsmem_tEENKUlT_SJ_SK_SL_E_clIPtSE_SF_SF_EESI_SY_SJ_SK_SL_EUlSY_E1_NS1_11comp_targetILNS1_3genE2ELNS1_11target_archE906ELNS1_3gpuE6ELNS1_3repE0EEENS1_36merge_oddeven_config_static_selectorELNS0_4arch9wavefront6targetE0EEEvSK_.has_recursion, 0
	.set _ZN7rocprim17ROCPRIM_400000_NS6detail17trampoline_kernelINS0_14default_configENS1_38merge_sort_block_merge_config_selectorItNS0_10empty_typeEEEZZNS1_27merge_sort_block_merge_implIS3_N6thrust23THRUST_200600_302600_NS6detail15normal_iteratorINS9_10device_ptrItEEEEPS5_m9comp_mod3ItEEE10hipError_tT0_T1_T2_jT3_P12ihipStream_tbPNSt15iterator_traitsISJ_E10value_typeEPNSP_ISK_E10value_typeEPSL_NS1_7vsmem_tEENKUlT_SJ_SK_SL_E_clIPtSE_SF_SF_EESI_SY_SJ_SK_SL_EUlSY_E1_NS1_11comp_targetILNS1_3genE2ELNS1_11target_archE906ELNS1_3gpuE6ELNS1_3repE0EEENS1_36merge_oddeven_config_static_selectorELNS0_4arch9wavefront6targetE0EEEvSK_.has_indirect_call, 0
	.section	.AMDGPU.csdata,"",@progbits
; Kernel info:
; codeLenInByte = 0
; TotalNumSgprs: 0
; NumVgprs: 0
; ScratchSize: 0
; MemoryBound: 0
; FloatMode: 240
; IeeeMode: 1
; LDSByteSize: 0 bytes/workgroup (compile time only)
; SGPRBlocks: 0
; VGPRBlocks: 0
; NumSGPRsForWavesPerEU: 1
; NumVGPRsForWavesPerEU: 1
; Occupancy: 16
; WaveLimiterHint : 0
; COMPUTE_PGM_RSRC2:SCRATCH_EN: 0
; COMPUTE_PGM_RSRC2:USER_SGPR: 6
; COMPUTE_PGM_RSRC2:TRAP_HANDLER: 0
; COMPUTE_PGM_RSRC2:TGID_X_EN: 1
; COMPUTE_PGM_RSRC2:TGID_Y_EN: 0
; COMPUTE_PGM_RSRC2:TGID_Z_EN: 0
; COMPUTE_PGM_RSRC2:TIDIG_COMP_CNT: 0
	.section	.text._ZN7rocprim17ROCPRIM_400000_NS6detail17trampoline_kernelINS0_14default_configENS1_38merge_sort_block_merge_config_selectorItNS0_10empty_typeEEEZZNS1_27merge_sort_block_merge_implIS3_N6thrust23THRUST_200600_302600_NS6detail15normal_iteratorINS9_10device_ptrItEEEEPS5_m9comp_mod3ItEEE10hipError_tT0_T1_T2_jT3_P12ihipStream_tbPNSt15iterator_traitsISJ_E10value_typeEPNSP_ISK_E10value_typeEPSL_NS1_7vsmem_tEENKUlT_SJ_SK_SL_E_clIPtSE_SF_SF_EESI_SY_SJ_SK_SL_EUlSY_E1_NS1_11comp_targetILNS1_3genE9ELNS1_11target_archE1100ELNS1_3gpuE3ELNS1_3repE0EEENS1_36merge_oddeven_config_static_selectorELNS0_4arch9wavefront6targetE0EEEvSK_,"axG",@progbits,_ZN7rocprim17ROCPRIM_400000_NS6detail17trampoline_kernelINS0_14default_configENS1_38merge_sort_block_merge_config_selectorItNS0_10empty_typeEEEZZNS1_27merge_sort_block_merge_implIS3_N6thrust23THRUST_200600_302600_NS6detail15normal_iteratorINS9_10device_ptrItEEEEPS5_m9comp_mod3ItEEE10hipError_tT0_T1_T2_jT3_P12ihipStream_tbPNSt15iterator_traitsISJ_E10value_typeEPNSP_ISK_E10value_typeEPSL_NS1_7vsmem_tEENKUlT_SJ_SK_SL_E_clIPtSE_SF_SF_EESI_SY_SJ_SK_SL_EUlSY_E1_NS1_11comp_targetILNS1_3genE9ELNS1_11target_archE1100ELNS1_3gpuE3ELNS1_3repE0EEENS1_36merge_oddeven_config_static_selectorELNS0_4arch9wavefront6targetE0EEEvSK_,comdat
	.protected	_ZN7rocprim17ROCPRIM_400000_NS6detail17trampoline_kernelINS0_14default_configENS1_38merge_sort_block_merge_config_selectorItNS0_10empty_typeEEEZZNS1_27merge_sort_block_merge_implIS3_N6thrust23THRUST_200600_302600_NS6detail15normal_iteratorINS9_10device_ptrItEEEEPS5_m9comp_mod3ItEEE10hipError_tT0_T1_T2_jT3_P12ihipStream_tbPNSt15iterator_traitsISJ_E10value_typeEPNSP_ISK_E10value_typeEPSL_NS1_7vsmem_tEENKUlT_SJ_SK_SL_E_clIPtSE_SF_SF_EESI_SY_SJ_SK_SL_EUlSY_E1_NS1_11comp_targetILNS1_3genE9ELNS1_11target_archE1100ELNS1_3gpuE3ELNS1_3repE0EEENS1_36merge_oddeven_config_static_selectorELNS0_4arch9wavefront6targetE0EEEvSK_ ; -- Begin function _ZN7rocprim17ROCPRIM_400000_NS6detail17trampoline_kernelINS0_14default_configENS1_38merge_sort_block_merge_config_selectorItNS0_10empty_typeEEEZZNS1_27merge_sort_block_merge_implIS3_N6thrust23THRUST_200600_302600_NS6detail15normal_iteratorINS9_10device_ptrItEEEEPS5_m9comp_mod3ItEEE10hipError_tT0_T1_T2_jT3_P12ihipStream_tbPNSt15iterator_traitsISJ_E10value_typeEPNSP_ISK_E10value_typeEPSL_NS1_7vsmem_tEENKUlT_SJ_SK_SL_E_clIPtSE_SF_SF_EESI_SY_SJ_SK_SL_EUlSY_E1_NS1_11comp_targetILNS1_3genE9ELNS1_11target_archE1100ELNS1_3gpuE3ELNS1_3repE0EEENS1_36merge_oddeven_config_static_selectorELNS0_4arch9wavefront6targetE0EEEvSK_
	.globl	_ZN7rocprim17ROCPRIM_400000_NS6detail17trampoline_kernelINS0_14default_configENS1_38merge_sort_block_merge_config_selectorItNS0_10empty_typeEEEZZNS1_27merge_sort_block_merge_implIS3_N6thrust23THRUST_200600_302600_NS6detail15normal_iteratorINS9_10device_ptrItEEEEPS5_m9comp_mod3ItEEE10hipError_tT0_T1_T2_jT3_P12ihipStream_tbPNSt15iterator_traitsISJ_E10value_typeEPNSP_ISK_E10value_typeEPSL_NS1_7vsmem_tEENKUlT_SJ_SK_SL_E_clIPtSE_SF_SF_EESI_SY_SJ_SK_SL_EUlSY_E1_NS1_11comp_targetILNS1_3genE9ELNS1_11target_archE1100ELNS1_3gpuE3ELNS1_3repE0EEENS1_36merge_oddeven_config_static_selectorELNS0_4arch9wavefront6targetE0EEEvSK_
	.p2align	8
	.type	_ZN7rocprim17ROCPRIM_400000_NS6detail17trampoline_kernelINS0_14default_configENS1_38merge_sort_block_merge_config_selectorItNS0_10empty_typeEEEZZNS1_27merge_sort_block_merge_implIS3_N6thrust23THRUST_200600_302600_NS6detail15normal_iteratorINS9_10device_ptrItEEEEPS5_m9comp_mod3ItEEE10hipError_tT0_T1_T2_jT3_P12ihipStream_tbPNSt15iterator_traitsISJ_E10value_typeEPNSP_ISK_E10value_typeEPSL_NS1_7vsmem_tEENKUlT_SJ_SK_SL_E_clIPtSE_SF_SF_EESI_SY_SJ_SK_SL_EUlSY_E1_NS1_11comp_targetILNS1_3genE9ELNS1_11target_archE1100ELNS1_3gpuE3ELNS1_3repE0EEENS1_36merge_oddeven_config_static_selectorELNS0_4arch9wavefront6targetE0EEEvSK_,@function
_ZN7rocprim17ROCPRIM_400000_NS6detail17trampoline_kernelINS0_14default_configENS1_38merge_sort_block_merge_config_selectorItNS0_10empty_typeEEEZZNS1_27merge_sort_block_merge_implIS3_N6thrust23THRUST_200600_302600_NS6detail15normal_iteratorINS9_10device_ptrItEEEEPS5_m9comp_mod3ItEEE10hipError_tT0_T1_T2_jT3_P12ihipStream_tbPNSt15iterator_traitsISJ_E10value_typeEPNSP_ISK_E10value_typeEPSL_NS1_7vsmem_tEENKUlT_SJ_SK_SL_E_clIPtSE_SF_SF_EESI_SY_SJ_SK_SL_EUlSY_E1_NS1_11comp_targetILNS1_3genE9ELNS1_11target_archE1100ELNS1_3gpuE3ELNS1_3repE0EEENS1_36merge_oddeven_config_static_selectorELNS0_4arch9wavefront6targetE0EEEvSK_: ; @_ZN7rocprim17ROCPRIM_400000_NS6detail17trampoline_kernelINS0_14default_configENS1_38merge_sort_block_merge_config_selectorItNS0_10empty_typeEEEZZNS1_27merge_sort_block_merge_implIS3_N6thrust23THRUST_200600_302600_NS6detail15normal_iteratorINS9_10device_ptrItEEEEPS5_m9comp_mod3ItEEE10hipError_tT0_T1_T2_jT3_P12ihipStream_tbPNSt15iterator_traitsISJ_E10value_typeEPNSP_ISK_E10value_typeEPSL_NS1_7vsmem_tEENKUlT_SJ_SK_SL_E_clIPtSE_SF_SF_EESI_SY_SJ_SK_SL_EUlSY_E1_NS1_11comp_targetILNS1_3genE9ELNS1_11target_archE1100ELNS1_3gpuE3ELNS1_3repE0EEENS1_36merge_oddeven_config_static_selectorELNS0_4arch9wavefront6targetE0EEEvSK_
; %bb.0:
	.section	.rodata,"a",@progbits
	.p2align	6, 0x0
	.amdhsa_kernel _ZN7rocprim17ROCPRIM_400000_NS6detail17trampoline_kernelINS0_14default_configENS1_38merge_sort_block_merge_config_selectorItNS0_10empty_typeEEEZZNS1_27merge_sort_block_merge_implIS3_N6thrust23THRUST_200600_302600_NS6detail15normal_iteratorINS9_10device_ptrItEEEEPS5_m9comp_mod3ItEEE10hipError_tT0_T1_T2_jT3_P12ihipStream_tbPNSt15iterator_traitsISJ_E10value_typeEPNSP_ISK_E10value_typeEPSL_NS1_7vsmem_tEENKUlT_SJ_SK_SL_E_clIPtSE_SF_SF_EESI_SY_SJ_SK_SL_EUlSY_E1_NS1_11comp_targetILNS1_3genE9ELNS1_11target_archE1100ELNS1_3gpuE3ELNS1_3repE0EEENS1_36merge_oddeven_config_static_selectorELNS0_4arch9wavefront6targetE0EEEvSK_
		.amdhsa_group_segment_fixed_size 0
		.amdhsa_private_segment_fixed_size 0
		.amdhsa_kernarg_size 56
		.amdhsa_user_sgpr_count 6
		.amdhsa_user_sgpr_private_segment_buffer 1
		.amdhsa_user_sgpr_dispatch_ptr 0
		.amdhsa_user_sgpr_queue_ptr 0
		.amdhsa_user_sgpr_kernarg_segment_ptr 1
		.amdhsa_user_sgpr_dispatch_id 0
		.amdhsa_user_sgpr_flat_scratch_init 0
		.amdhsa_user_sgpr_private_segment_size 0
		.amdhsa_wavefront_size32 1
		.amdhsa_uses_dynamic_stack 0
		.amdhsa_system_sgpr_private_segment_wavefront_offset 0
		.amdhsa_system_sgpr_workgroup_id_x 1
		.amdhsa_system_sgpr_workgroup_id_y 0
		.amdhsa_system_sgpr_workgroup_id_z 0
		.amdhsa_system_sgpr_workgroup_info 0
		.amdhsa_system_vgpr_workitem_id 0
		.amdhsa_next_free_vgpr 1
		.amdhsa_next_free_sgpr 1
		.amdhsa_reserve_vcc 0
		.amdhsa_reserve_flat_scratch 0
		.amdhsa_float_round_mode_32 0
		.amdhsa_float_round_mode_16_64 0
		.amdhsa_float_denorm_mode_32 3
		.amdhsa_float_denorm_mode_16_64 3
		.amdhsa_dx10_clamp 1
		.amdhsa_ieee_mode 1
		.amdhsa_fp16_overflow 0
		.amdhsa_workgroup_processor_mode 1
		.amdhsa_memory_ordered 1
		.amdhsa_forward_progress 1
		.amdhsa_shared_vgpr_count 0
		.amdhsa_exception_fp_ieee_invalid_op 0
		.amdhsa_exception_fp_denorm_src 0
		.amdhsa_exception_fp_ieee_div_zero 0
		.amdhsa_exception_fp_ieee_overflow 0
		.amdhsa_exception_fp_ieee_underflow 0
		.amdhsa_exception_fp_ieee_inexact 0
		.amdhsa_exception_int_div_zero 0
	.end_amdhsa_kernel
	.section	.text._ZN7rocprim17ROCPRIM_400000_NS6detail17trampoline_kernelINS0_14default_configENS1_38merge_sort_block_merge_config_selectorItNS0_10empty_typeEEEZZNS1_27merge_sort_block_merge_implIS3_N6thrust23THRUST_200600_302600_NS6detail15normal_iteratorINS9_10device_ptrItEEEEPS5_m9comp_mod3ItEEE10hipError_tT0_T1_T2_jT3_P12ihipStream_tbPNSt15iterator_traitsISJ_E10value_typeEPNSP_ISK_E10value_typeEPSL_NS1_7vsmem_tEENKUlT_SJ_SK_SL_E_clIPtSE_SF_SF_EESI_SY_SJ_SK_SL_EUlSY_E1_NS1_11comp_targetILNS1_3genE9ELNS1_11target_archE1100ELNS1_3gpuE3ELNS1_3repE0EEENS1_36merge_oddeven_config_static_selectorELNS0_4arch9wavefront6targetE0EEEvSK_,"axG",@progbits,_ZN7rocprim17ROCPRIM_400000_NS6detail17trampoline_kernelINS0_14default_configENS1_38merge_sort_block_merge_config_selectorItNS0_10empty_typeEEEZZNS1_27merge_sort_block_merge_implIS3_N6thrust23THRUST_200600_302600_NS6detail15normal_iteratorINS9_10device_ptrItEEEEPS5_m9comp_mod3ItEEE10hipError_tT0_T1_T2_jT3_P12ihipStream_tbPNSt15iterator_traitsISJ_E10value_typeEPNSP_ISK_E10value_typeEPSL_NS1_7vsmem_tEENKUlT_SJ_SK_SL_E_clIPtSE_SF_SF_EESI_SY_SJ_SK_SL_EUlSY_E1_NS1_11comp_targetILNS1_3genE9ELNS1_11target_archE1100ELNS1_3gpuE3ELNS1_3repE0EEENS1_36merge_oddeven_config_static_selectorELNS0_4arch9wavefront6targetE0EEEvSK_,comdat
.Lfunc_end896:
	.size	_ZN7rocprim17ROCPRIM_400000_NS6detail17trampoline_kernelINS0_14default_configENS1_38merge_sort_block_merge_config_selectorItNS0_10empty_typeEEEZZNS1_27merge_sort_block_merge_implIS3_N6thrust23THRUST_200600_302600_NS6detail15normal_iteratorINS9_10device_ptrItEEEEPS5_m9comp_mod3ItEEE10hipError_tT0_T1_T2_jT3_P12ihipStream_tbPNSt15iterator_traitsISJ_E10value_typeEPNSP_ISK_E10value_typeEPSL_NS1_7vsmem_tEENKUlT_SJ_SK_SL_E_clIPtSE_SF_SF_EESI_SY_SJ_SK_SL_EUlSY_E1_NS1_11comp_targetILNS1_3genE9ELNS1_11target_archE1100ELNS1_3gpuE3ELNS1_3repE0EEENS1_36merge_oddeven_config_static_selectorELNS0_4arch9wavefront6targetE0EEEvSK_, .Lfunc_end896-_ZN7rocprim17ROCPRIM_400000_NS6detail17trampoline_kernelINS0_14default_configENS1_38merge_sort_block_merge_config_selectorItNS0_10empty_typeEEEZZNS1_27merge_sort_block_merge_implIS3_N6thrust23THRUST_200600_302600_NS6detail15normal_iteratorINS9_10device_ptrItEEEEPS5_m9comp_mod3ItEEE10hipError_tT0_T1_T2_jT3_P12ihipStream_tbPNSt15iterator_traitsISJ_E10value_typeEPNSP_ISK_E10value_typeEPSL_NS1_7vsmem_tEENKUlT_SJ_SK_SL_E_clIPtSE_SF_SF_EESI_SY_SJ_SK_SL_EUlSY_E1_NS1_11comp_targetILNS1_3genE9ELNS1_11target_archE1100ELNS1_3gpuE3ELNS1_3repE0EEENS1_36merge_oddeven_config_static_selectorELNS0_4arch9wavefront6targetE0EEEvSK_
                                        ; -- End function
	.set _ZN7rocprim17ROCPRIM_400000_NS6detail17trampoline_kernelINS0_14default_configENS1_38merge_sort_block_merge_config_selectorItNS0_10empty_typeEEEZZNS1_27merge_sort_block_merge_implIS3_N6thrust23THRUST_200600_302600_NS6detail15normal_iteratorINS9_10device_ptrItEEEEPS5_m9comp_mod3ItEEE10hipError_tT0_T1_T2_jT3_P12ihipStream_tbPNSt15iterator_traitsISJ_E10value_typeEPNSP_ISK_E10value_typeEPSL_NS1_7vsmem_tEENKUlT_SJ_SK_SL_E_clIPtSE_SF_SF_EESI_SY_SJ_SK_SL_EUlSY_E1_NS1_11comp_targetILNS1_3genE9ELNS1_11target_archE1100ELNS1_3gpuE3ELNS1_3repE0EEENS1_36merge_oddeven_config_static_selectorELNS0_4arch9wavefront6targetE0EEEvSK_.num_vgpr, 0
	.set _ZN7rocprim17ROCPRIM_400000_NS6detail17trampoline_kernelINS0_14default_configENS1_38merge_sort_block_merge_config_selectorItNS0_10empty_typeEEEZZNS1_27merge_sort_block_merge_implIS3_N6thrust23THRUST_200600_302600_NS6detail15normal_iteratorINS9_10device_ptrItEEEEPS5_m9comp_mod3ItEEE10hipError_tT0_T1_T2_jT3_P12ihipStream_tbPNSt15iterator_traitsISJ_E10value_typeEPNSP_ISK_E10value_typeEPSL_NS1_7vsmem_tEENKUlT_SJ_SK_SL_E_clIPtSE_SF_SF_EESI_SY_SJ_SK_SL_EUlSY_E1_NS1_11comp_targetILNS1_3genE9ELNS1_11target_archE1100ELNS1_3gpuE3ELNS1_3repE0EEENS1_36merge_oddeven_config_static_selectorELNS0_4arch9wavefront6targetE0EEEvSK_.num_agpr, 0
	.set _ZN7rocprim17ROCPRIM_400000_NS6detail17trampoline_kernelINS0_14default_configENS1_38merge_sort_block_merge_config_selectorItNS0_10empty_typeEEEZZNS1_27merge_sort_block_merge_implIS3_N6thrust23THRUST_200600_302600_NS6detail15normal_iteratorINS9_10device_ptrItEEEEPS5_m9comp_mod3ItEEE10hipError_tT0_T1_T2_jT3_P12ihipStream_tbPNSt15iterator_traitsISJ_E10value_typeEPNSP_ISK_E10value_typeEPSL_NS1_7vsmem_tEENKUlT_SJ_SK_SL_E_clIPtSE_SF_SF_EESI_SY_SJ_SK_SL_EUlSY_E1_NS1_11comp_targetILNS1_3genE9ELNS1_11target_archE1100ELNS1_3gpuE3ELNS1_3repE0EEENS1_36merge_oddeven_config_static_selectorELNS0_4arch9wavefront6targetE0EEEvSK_.numbered_sgpr, 0
	.set _ZN7rocprim17ROCPRIM_400000_NS6detail17trampoline_kernelINS0_14default_configENS1_38merge_sort_block_merge_config_selectorItNS0_10empty_typeEEEZZNS1_27merge_sort_block_merge_implIS3_N6thrust23THRUST_200600_302600_NS6detail15normal_iteratorINS9_10device_ptrItEEEEPS5_m9comp_mod3ItEEE10hipError_tT0_T1_T2_jT3_P12ihipStream_tbPNSt15iterator_traitsISJ_E10value_typeEPNSP_ISK_E10value_typeEPSL_NS1_7vsmem_tEENKUlT_SJ_SK_SL_E_clIPtSE_SF_SF_EESI_SY_SJ_SK_SL_EUlSY_E1_NS1_11comp_targetILNS1_3genE9ELNS1_11target_archE1100ELNS1_3gpuE3ELNS1_3repE0EEENS1_36merge_oddeven_config_static_selectorELNS0_4arch9wavefront6targetE0EEEvSK_.num_named_barrier, 0
	.set _ZN7rocprim17ROCPRIM_400000_NS6detail17trampoline_kernelINS0_14default_configENS1_38merge_sort_block_merge_config_selectorItNS0_10empty_typeEEEZZNS1_27merge_sort_block_merge_implIS3_N6thrust23THRUST_200600_302600_NS6detail15normal_iteratorINS9_10device_ptrItEEEEPS5_m9comp_mod3ItEEE10hipError_tT0_T1_T2_jT3_P12ihipStream_tbPNSt15iterator_traitsISJ_E10value_typeEPNSP_ISK_E10value_typeEPSL_NS1_7vsmem_tEENKUlT_SJ_SK_SL_E_clIPtSE_SF_SF_EESI_SY_SJ_SK_SL_EUlSY_E1_NS1_11comp_targetILNS1_3genE9ELNS1_11target_archE1100ELNS1_3gpuE3ELNS1_3repE0EEENS1_36merge_oddeven_config_static_selectorELNS0_4arch9wavefront6targetE0EEEvSK_.private_seg_size, 0
	.set _ZN7rocprim17ROCPRIM_400000_NS6detail17trampoline_kernelINS0_14default_configENS1_38merge_sort_block_merge_config_selectorItNS0_10empty_typeEEEZZNS1_27merge_sort_block_merge_implIS3_N6thrust23THRUST_200600_302600_NS6detail15normal_iteratorINS9_10device_ptrItEEEEPS5_m9comp_mod3ItEEE10hipError_tT0_T1_T2_jT3_P12ihipStream_tbPNSt15iterator_traitsISJ_E10value_typeEPNSP_ISK_E10value_typeEPSL_NS1_7vsmem_tEENKUlT_SJ_SK_SL_E_clIPtSE_SF_SF_EESI_SY_SJ_SK_SL_EUlSY_E1_NS1_11comp_targetILNS1_3genE9ELNS1_11target_archE1100ELNS1_3gpuE3ELNS1_3repE0EEENS1_36merge_oddeven_config_static_selectorELNS0_4arch9wavefront6targetE0EEEvSK_.uses_vcc, 0
	.set _ZN7rocprim17ROCPRIM_400000_NS6detail17trampoline_kernelINS0_14default_configENS1_38merge_sort_block_merge_config_selectorItNS0_10empty_typeEEEZZNS1_27merge_sort_block_merge_implIS3_N6thrust23THRUST_200600_302600_NS6detail15normal_iteratorINS9_10device_ptrItEEEEPS5_m9comp_mod3ItEEE10hipError_tT0_T1_T2_jT3_P12ihipStream_tbPNSt15iterator_traitsISJ_E10value_typeEPNSP_ISK_E10value_typeEPSL_NS1_7vsmem_tEENKUlT_SJ_SK_SL_E_clIPtSE_SF_SF_EESI_SY_SJ_SK_SL_EUlSY_E1_NS1_11comp_targetILNS1_3genE9ELNS1_11target_archE1100ELNS1_3gpuE3ELNS1_3repE0EEENS1_36merge_oddeven_config_static_selectorELNS0_4arch9wavefront6targetE0EEEvSK_.uses_flat_scratch, 0
	.set _ZN7rocprim17ROCPRIM_400000_NS6detail17trampoline_kernelINS0_14default_configENS1_38merge_sort_block_merge_config_selectorItNS0_10empty_typeEEEZZNS1_27merge_sort_block_merge_implIS3_N6thrust23THRUST_200600_302600_NS6detail15normal_iteratorINS9_10device_ptrItEEEEPS5_m9comp_mod3ItEEE10hipError_tT0_T1_T2_jT3_P12ihipStream_tbPNSt15iterator_traitsISJ_E10value_typeEPNSP_ISK_E10value_typeEPSL_NS1_7vsmem_tEENKUlT_SJ_SK_SL_E_clIPtSE_SF_SF_EESI_SY_SJ_SK_SL_EUlSY_E1_NS1_11comp_targetILNS1_3genE9ELNS1_11target_archE1100ELNS1_3gpuE3ELNS1_3repE0EEENS1_36merge_oddeven_config_static_selectorELNS0_4arch9wavefront6targetE0EEEvSK_.has_dyn_sized_stack, 0
	.set _ZN7rocprim17ROCPRIM_400000_NS6detail17trampoline_kernelINS0_14default_configENS1_38merge_sort_block_merge_config_selectorItNS0_10empty_typeEEEZZNS1_27merge_sort_block_merge_implIS3_N6thrust23THRUST_200600_302600_NS6detail15normal_iteratorINS9_10device_ptrItEEEEPS5_m9comp_mod3ItEEE10hipError_tT0_T1_T2_jT3_P12ihipStream_tbPNSt15iterator_traitsISJ_E10value_typeEPNSP_ISK_E10value_typeEPSL_NS1_7vsmem_tEENKUlT_SJ_SK_SL_E_clIPtSE_SF_SF_EESI_SY_SJ_SK_SL_EUlSY_E1_NS1_11comp_targetILNS1_3genE9ELNS1_11target_archE1100ELNS1_3gpuE3ELNS1_3repE0EEENS1_36merge_oddeven_config_static_selectorELNS0_4arch9wavefront6targetE0EEEvSK_.has_recursion, 0
	.set _ZN7rocprim17ROCPRIM_400000_NS6detail17trampoline_kernelINS0_14default_configENS1_38merge_sort_block_merge_config_selectorItNS0_10empty_typeEEEZZNS1_27merge_sort_block_merge_implIS3_N6thrust23THRUST_200600_302600_NS6detail15normal_iteratorINS9_10device_ptrItEEEEPS5_m9comp_mod3ItEEE10hipError_tT0_T1_T2_jT3_P12ihipStream_tbPNSt15iterator_traitsISJ_E10value_typeEPNSP_ISK_E10value_typeEPSL_NS1_7vsmem_tEENKUlT_SJ_SK_SL_E_clIPtSE_SF_SF_EESI_SY_SJ_SK_SL_EUlSY_E1_NS1_11comp_targetILNS1_3genE9ELNS1_11target_archE1100ELNS1_3gpuE3ELNS1_3repE0EEENS1_36merge_oddeven_config_static_selectorELNS0_4arch9wavefront6targetE0EEEvSK_.has_indirect_call, 0
	.section	.AMDGPU.csdata,"",@progbits
; Kernel info:
; codeLenInByte = 0
; TotalNumSgprs: 0
; NumVgprs: 0
; ScratchSize: 0
; MemoryBound: 0
; FloatMode: 240
; IeeeMode: 1
; LDSByteSize: 0 bytes/workgroup (compile time only)
; SGPRBlocks: 0
; VGPRBlocks: 0
; NumSGPRsForWavesPerEU: 1
; NumVGPRsForWavesPerEU: 1
; Occupancy: 16
; WaveLimiterHint : 0
; COMPUTE_PGM_RSRC2:SCRATCH_EN: 0
; COMPUTE_PGM_RSRC2:USER_SGPR: 6
; COMPUTE_PGM_RSRC2:TRAP_HANDLER: 0
; COMPUTE_PGM_RSRC2:TGID_X_EN: 1
; COMPUTE_PGM_RSRC2:TGID_Y_EN: 0
; COMPUTE_PGM_RSRC2:TGID_Z_EN: 0
; COMPUTE_PGM_RSRC2:TIDIG_COMP_CNT: 0
	.section	.text._ZN7rocprim17ROCPRIM_400000_NS6detail17trampoline_kernelINS0_14default_configENS1_38merge_sort_block_merge_config_selectorItNS0_10empty_typeEEEZZNS1_27merge_sort_block_merge_implIS3_N6thrust23THRUST_200600_302600_NS6detail15normal_iteratorINS9_10device_ptrItEEEEPS5_m9comp_mod3ItEEE10hipError_tT0_T1_T2_jT3_P12ihipStream_tbPNSt15iterator_traitsISJ_E10value_typeEPNSP_ISK_E10value_typeEPSL_NS1_7vsmem_tEENKUlT_SJ_SK_SL_E_clIPtSE_SF_SF_EESI_SY_SJ_SK_SL_EUlSY_E1_NS1_11comp_targetILNS1_3genE8ELNS1_11target_archE1030ELNS1_3gpuE2ELNS1_3repE0EEENS1_36merge_oddeven_config_static_selectorELNS0_4arch9wavefront6targetE0EEEvSK_,"axG",@progbits,_ZN7rocprim17ROCPRIM_400000_NS6detail17trampoline_kernelINS0_14default_configENS1_38merge_sort_block_merge_config_selectorItNS0_10empty_typeEEEZZNS1_27merge_sort_block_merge_implIS3_N6thrust23THRUST_200600_302600_NS6detail15normal_iteratorINS9_10device_ptrItEEEEPS5_m9comp_mod3ItEEE10hipError_tT0_T1_T2_jT3_P12ihipStream_tbPNSt15iterator_traitsISJ_E10value_typeEPNSP_ISK_E10value_typeEPSL_NS1_7vsmem_tEENKUlT_SJ_SK_SL_E_clIPtSE_SF_SF_EESI_SY_SJ_SK_SL_EUlSY_E1_NS1_11comp_targetILNS1_3genE8ELNS1_11target_archE1030ELNS1_3gpuE2ELNS1_3repE0EEENS1_36merge_oddeven_config_static_selectorELNS0_4arch9wavefront6targetE0EEEvSK_,comdat
	.protected	_ZN7rocprim17ROCPRIM_400000_NS6detail17trampoline_kernelINS0_14default_configENS1_38merge_sort_block_merge_config_selectorItNS0_10empty_typeEEEZZNS1_27merge_sort_block_merge_implIS3_N6thrust23THRUST_200600_302600_NS6detail15normal_iteratorINS9_10device_ptrItEEEEPS5_m9comp_mod3ItEEE10hipError_tT0_T1_T2_jT3_P12ihipStream_tbPNSt15iterator_traitsISJ_E10value_typeEPNSP_ISK_E10value_typeEPSL_NS1_7vsmem_tEENKUlT_SJ_SK_SL_E_clIPtSE_SF_SF_EESI_SY_SJ_SK_SL_EUlSY_E1_NS1_11comp_targetILNS1_3genE8ELNS1_11target_archE1030ELNS1_3gpuE2ELNS1_3repE0EEENS1_36merge_oddeven_config_static_selectorELNS0_4arch9wavefront6targetE0EEEvSK_ ; -- Begin function _ZN7rocprim17ROCPRIM_400000_NS6detail17trampoline_kernelINS0_14default_configENS1_38merge_sort_block_merge_config_selectorItNS0_10empty_typeEEEZZNS1_27merge_sort_block_merge_implIS3_N6thrust23THRUST_200600_302600_NS6detail15normal_iteratorINS9_10device_ptrItEEEEPS5_m9comp_mod3ItEEE10hipError_tT0_T1_T2_jT3_P12ihipStream_tbPNSt15iterator_traitsISJ_E10value_typeEPNSP_ISK_E10value_typeEPSL_NS1_7vsmem_tEENKUlT_SJ_SK_SL_E_clIPtSE_SF_SF_EESI_SY_SJ_SK_SL_EUlSY_E1_NS1_11comp_targetILNS1_3genE8ELNS1_11target_archE1030ELNS1_3gpuE2ELNS1_3repE0EEENS1_36merge_oddeven_config_static_selectorELNS0_4arch9wavefront6targetE0EEEvSK_
	.globl	_ZN7rocprim17ROCPRIM_400000_NS6detail17trampoline_kernelINS0_14default_configENS1_38merge_sort_block_merge_config_selectorItNS0_10empty_typeEEEZZNS1_27merge_sort_block_merge_implIS3_N6thrust23THRUST_200600_302600_NS6detail15normal_iteratorINS9_10device_ptrItEEEEPS5_m9comp_mod3ItEEE10hipError_tT0_T1_T2_jT3_P12ihipStream_tbPNSt15iterator_traitsISJ_E10value_typeEPNSP_ISK_E10value_typeEPSL_NS1_7vsmem_tEENKUlT_SJ_SK_SL_E_clIPtSE_SF_SF_EESI_SY_SJ_SK_SL_EUlSY_E1_NS1_11comp_targetILNS1_3genE8ELNS1_11target_archE1030ELNS1_3gpuE2ELNS1_3repE0EEENS1_36merge_oddeven_config_static_selectorELNS0_4arch9wavefront6targetE0EEEvSK_
	.p2align	8
	.type	_ZN7rocprim17ROCPRIM_400000_NS6detail17trampoline_kernelINS0_14default_configENS1_38merge_sort_block_merge_config_selectorItNS0_10empty_typeEEEZZNS1_27merge_sort_block_merge_implIS3_N6thrust23THRUST_200600_302600_NS6detail15normal_iteratorINS9_10device_ptrItEEEEPS5_m9comp_mod3ItEEE10hipError_tT0_T1_T2_jT3_P12ihipStream_tbPNSt15iterator_traitsISJ_E10value_typeEPNSP_ISK_E10value_typeEPSL_NS1_7vsmem_tEENKUlT_SJ_SK_SL_E_clIPtSE_SF_SF_EESI_SY_SJ_SK_SL_EUlSY_E1_NS1_11comp_targetILNS1_3genE8ELNS1_11target_archE1030ELNS1_3gpuE2ELNS1_3repE0EEENS1_36merge_oddeven_config_static_selectorELNS0_4arch9wavefront6targetE0EEEvSK_,@function
_ZN7rocprim17ROCPRIM_400000_NS6detail17trampoline_kernelINS0_14default_configENS1_38merge_sort_block_merge_config_selectorItNS0_10empty_typeEEEZZNS1_27merge_sort_block_merge_implIS3_N6thrust23THRUST_200600_302600_NS6detail15normal_iteratorINS9_10device_ptrItEEEEPS5_m9comp_mod3ItEEE10hipError_tT0_T1_T2_jT3_P12ihipStream_tbPNSt15iterator_traitsISJ_E10value_typeEPNSP_ISK_E10value_typeEPSL_NS1_7vsmem_tEENKUlT_SJ_SK_SL_E_clIPtSE_SF_SF_EESI_SY_SJ_SK_SL_EUlSY_E1_NS1_11comp_targetILNS1_3genE8ELNS1_11target_archE1030ELNS1_3gpuE2ELNS1_3repE0EEENS1_36merge_oddeven_config_static_selectorELNS0_4arch9wavefront6targetE0EEEvSK_: ; @_ZN7rocprim17ROCPRIM_400000_NS6detail17trampoline_kernelINS0_14default_configENS1_38merge_sort_block_merge_config_selectorItNS0_10empty_typeEEEZZNS1_27merge_sort_block_merge_implIS3_N6thrust23THRUST_200600_302600_NS6detail15normal_iteratorINS9_10device_ptrItEEEEPS5_m9comp_mod3ItEEE10hipError_tT0_T1_T2_jT3_P12ihipStream_tbPNSt15iterator_traitsISJ_E10value_typeEPNSP_ISK_E10value_typeEPSL_NS1_7vsmem_tEENKUlT_SJ_SK_SL_E_clIPtSE_SF_SF_EESI_SY_SJ_SK_SL_EUlSY_E1_NS1_11comp_targetILNS1_3genE8ELNS1_11target_archE1030ELNS1_3gpuE2ELNS1_3repE0EEENS1_36merge_oddeven_config_static_selectorELNS0_4arch9wavefront6targetE0EEEvSK_
; %bb.0:
	s_load_dword s7, s[4:5], 0x20
	s_waitcnt lgkmcnt(0)
	s_lshr_b32 s0, s7, 8
	s_cmp_lg_u32 s6, s0
	s_cselect_b32 s14, -1, 0
	s_cmp_eq_u32 s6, s0
	s_cselect_b32 s12, -1, 0
	s_lshl_b32 s2, s6, 8
	s_sub_i32 s0, s7, s2
	v_cmp_gt_u32_e64 s0, s0, v0
	s_or_b32 s1, s14, s0
	s_and_saveexec_b32 s3, s1
	s_cbranch_execz .LBB897_28
; %bb.1:
	s_clause 0x1
	s_load_dwordx4 s[8:11], s[4:5], 0x0
	s_load_dword s13, s[4:5], 0x28
	s_mov_b32 s3, 0
	v_lshlrev_b32_e32 v1, 1, v0
	s_lshl_b64 s[16:17], s[2:3], 1
	v_add_nc_u32_e32 v2, s2, v0
	s_waitcnt lgkmcnt(0)
	s_add_u32 s16, s8, s16
	s_addc_u32 s17, s9, s17
	s_lshr_b32 s1, s13, 8
	global_load_ushort v4, v1, s[16:17]
	s_sub_i32 s15, 0, s1
	s_and_b32 s6, s6, s15
	s_and_b32 s16, s6, s1
	s_cmp_lg_u32 s16, 0
	s_cselect_b32 s1, -1, 0
	s_lshl_b32 s15, s6, 8
	s_sub_i32 s6, 0, s13
	s_cmp_eq_u32 s16, 0
	s_cselect_b32 s6, s13, s6
	s_add_i32 s6, s6, s15
	s_cmp_lt_u32 s6, s7
	s_cbranch_scc1 .LBB897_3
; %bb.2:
	v_cmp_gt_u32_e32 vcc_lo, s7, v2
	s_or_b32 s3, vcc_lo, s14
	s_and_b32 s3, s3, exec_lo
	s_cbranch_execz .LBB897_4
	s_branch .LBB897_26
.LBB897_3:
.LBB897_4:
	s_load_dwordx2 s[4:5], s[4:5], 0x30
	v_mov_b32_e32 v0, 1
	s_min_u32 s2, s6, s7
	s_and_b32 vcc_lo, exec_lo, s12
	s_add_i32 s14, s15, s2
	s_add_i32 s13, s2, s13
	v_subrev_nc_u32_e32 v1, s14, v2
	s_waitcnt vmcnt(0)
	v_lshlrev_b32_sdwa v0, v0, v4 dst_sel:DWORD dst_unused:UNUSED_PAD src0_sel:DWORD src1_sel:WORD_0
	s_min_u32 s14, s15, s2
	s_min_u32 s7, s13, s7
	v_add_nc_u32_e32 v3, s14, v1
	s_waitcnt lgkmcnt(0)
	v_add_co_u32 v0, s14, s4, v0
	v_add_co_ci_u32_e64 v1, null, s5, 0, s14
	s_cbranch_vccz .LBB897_13
; %bb.5:
                                        ; implicit-def: $vgpr2
	s_and_saveexec_b32 s12, s0
	s_cbranch_execz .LBB897_16
; %bb.6:
	v_mov_b32_e32 v2, s2
	s_cmp_ge_u32 s6, s7
	s_cbranch_scc1 .LBB897_15
; %bb.7:
	v_mov_b32_e32 v5, s7
	v_mov_b32_e32 v2, s2
	;; [unrolled: 1-line block ×3, first 2 shown]
	s_mov_b32 s0, 0
	s_inst_prefetch 0x1
	s_branch .LBB897_9
	.p2align	6
.LBB897_8:                              ;   in Loop: Header=BB897_9 Depth=1
	v_lshrrev_b32_e32 v7, 1, v7
	v_add_nc_u32_e32 v8, 1, v7
	v_cndmask_b32_e64 v5, v7, v5, s13
	v_cndmask_b32_e64 v2, v2, v8, s13
	v_cmp_ge_u32_e32 vcc_lo, v2, v5
	s_or_b32 s0, vcc_lo, s0
	s_andn2_b32 exec_lo, exec_lo, s0
	s_cbranch_execz .LBB897_14
.LBB897_9:                              ; =>This Inner Loop Header: Depth=1
	v_add_nc_u32_e32 v7, v2, v5
	s_andn2_b32 vcc_lo, exec_lo, s1
	s_mov_b32 s14, -1
                                        ; implicit-def: $sgpr13
	v_and_b32_e32 v8, -2, v7
	global_load_ushort v8, v8, s[8:9]
	s_waitcnt vmcnt(0)
	v_lshlrev_b32_sdwa v8, v6, v8 dst_sel:DWORD dst_unused:UNUSED_PAD src0_sel:DWORD src1_sel:WORD_0
	s_cbranch_vccnz .LBB897_11
; %bb.10:                               ;   in Loop: Header=BB897_9 Depth=1
	s_clause 0x1
	global_load_ushort v9, v[0:1], off
	global_load_ushort v10, v8, s[4:5]
	s_mov_b32 s14, 0
	s_waitcnt vmcnt(0)
	v_cmp_ge_u16_e64 s13, v9, v10
.LBB897_11:                             ;   in Loop: Header=BB897_9 Depth=1
	s_andn2_b32 vcc_lo, exec_lo, s14
	s_cbranch_vccnz .LBB897_8
; %bb.12:                               ;   in Loop: Header=BB897_9 Depth=1
	s_clause 0x1
	global_load_ushort v8, v8, s[4:5]
	global_load_ushort v9, v[0:1], off
	s_andn2_b32 s13, s13, exec_lo
	s_waitcnt vmcnt(0)
	v_cmp_lt_u16_e32 vcc_lo, v8, v9
	s_and_b32 s14, vcc_lo, exec_lo
	s_or_b32 s13, s13, s14
	s_branch .LBB897_8
.LBB897_13:
                                        ; implicit-def: $vgpr2
	s_cbranch_execnz .LBB897_17
	s_branch .LBB897_26
.LBB897_14:
	s_inst_prefetch 0x2
	s_or_b32 exec_lo, exec_lo, s0
.LBB897_15:
	v_add_nc_u32_e32 v2, v2, v3
	s_or_b32 s3, s3, exec_lo
.LBB897_16:
	s_or_b32 exec_lo, exec_lo, s12
	s_branch .LBB897_26
.LBB897_17:
	v_mov_b32_e32 v2, s2
	s_cmp_ge_u32 s6, s7
	s_cbranch_scc1 .LBB897_25
; %bb.18:
	v_mov_b32_e32 v5, s7
	v_mov_b32_e32 v2, s2
	;; [unrolled: 1-line block ×3, first 2 shown]
	s_mov_b32 s0, 0
	s_inst_prefetch 0x1
	s_branch .LBB897_20
	.p2align	6
.LBB897_19:                             ;   in Loop: Header=BB897_20 Depth=1
	v_lshrrev_b32_e32 v7, 1, v7
	v_add_nc_u32_e32 v8, 1, v7
	v_cndmask_b32_e64 v5, v7, v5, s2
	v_cndmask_b32_e64 v2, v2, v8, s2
	v_cmp_ge_u32_e32 vcc_lo, v2, v5
	s_or_b32 s0, vcc_lo, s0
	s_andn2_b32 exec_lo, exec_lo, s0
	s_cbranch_execz .LBB897_24
.LBB897_20:                             ; =>This Inner Loop Header: Depth=1
	v_add_nc_u32_e32 v7, v2, v5
	s_andn2_b32 vcc_lo, exec_lo, s1
	s_mov_b32 s3, -1
                                        ; implicit-def: $sgpr2
	v_and_b32_e32 v8, -2, v7
	global_load_ushort v8, v8, s[8:9]
	s_waitcnt vmcnt(0)
	v_lshlrev_b32_sdwa v8, v6, v8 dst_sel:DWORD dst_unused:UNUSED_PAD src0_sel:DWORD src1_sel:WORD_0
	s_cbranch_vccnz .LBB897_22
; %bb.21:                               ;   in Loop: Header=BB897_20 Depth=1
	s_clause 0x1
	global_load_ushort v9, v[0:1], off
	global_load_ushort v10, v8, s[4:5]
	s_mov_b32 s3, 0
	s_waitcnt vmcnt(0)
	v_cmp_ge_u16_e64 s2, v9, v10
.LBB897_22:                             ;   in Loop: Header=BB897_20 Depth=1
	s_andn2_b32 vcc_lo, exec_lo, s3
	s_cbranch_vccnz .LBB897_19
; %bb.23:                               ;   in Loop: Header=BB897_20 Depth=1
	s_clause 0x1
	global_load_ushort v8, v8, s[4:5]
	global_load_ushort v9, v[0:1], off
	s_andn2_b32 s2, s2, exec_lo
	s_waitcnt vmcnt(0)
	v_cmp_lt_u16_e32 vcc_lo, v8, v9
	s_and_b32 s3, vcc_lo, exec_lo
	s_or_b32 s2, s2, s3
	s_branch .LBB897_19
.LBB897_24:
	s_inst_prefetch 0x2
	s_or_b32 exec_lo, exec_lo, s0
.LBB897_25:
	v_add_nc_u32_e32 v2, v2, v3
	s_mov_b32 s3, -1
.LBB897_26:
	s_and_b32 exec_lo, exec_lo, s3
	s_cbranch_execz .LBB897_28
; %bb.27:
	v_mov_b32_e32 v3, 0
	v_lshlrev_b64 v[0:1], 1, v[2:3]
	v_add_co_u32 v0, vcc_lo, s10, v0
	v_add_co_ci_u32_e64 v1, null, s11, v1, vcc_lo
	s_waitcnt vmcnt(0)
	global_store_short v[0:1], v4, off
.LBB897_28:
	s_endpgm
	.section	.rodata,"a",@progbits
	.p2align	6, 0x0
	.amdhsa_kernel _ZN7rocprim17ROCPRIM_400000_NS6detail17trampoline_kernelINS0_14default_configENS1_38merge_sort_block_merge_config_selectorItNS0_10empty_typeEEEZZNS1_27merge_sort_block_merge_implIS3_N6thrust23THRUST_200600_302600_NS6detail15normal_iteratorINS9_10device_ptrItEEEEPS5_m9comp_mod3ItEEE10hipError_tT0_T1_T2_jT3_P12ihipStream_tbPNSt15iterator_traitsISJ_E10value_typeEPNSP_ISK_E10value_typeEPSL_NS1_7vsmem_tEENKUlT_SJ_SK_SL_E_clIPtSE_SF_SF_EESI_SY_SJ_SK_SL_EUlSY_E1_NS1_11comp_targetILNS1_3genE8ELNS1_11target_archE1030ELNS1_3gpuE2ELNS1_3repE0EEENS1_36merge_oddeven_config_static_selectorELNS0_4arch9wavefront6targetE0EEEvSK_
		.amdhsa_group_segment_fixed_size 0
		.amdhsa_private_segment_fixed_size 0
		.amdhsa_kernarg_size 56
		.amdhsa_user_sgpr_count 6
		.amdhsa_user_sgpr_private_segment_buffer 1
		.amdhsa_user_sgpr_dispatch_ptr 0
		.amdhsa_user_sgpr_queue_ptr 0
		.amdhsa_user_sgpr_kernarg_segment_ptr 1
		.amdhsa_user_sgpr_dispatch_id 0
		.amdhsa_user_sgpr_flat_scratch_init 0
		.amdhsa_user_sgpr_private_segment_size 0
		.amdhsa_wavefront_size32 1
		.amdhsa_uses_dynamic_stack 0
		.amdhsa_system_sgpr_private_segment_wavefront_offset 0
		.amdhsa_system_sgpr_workgroup_id_x 1
		.amdhsa_system_sgpr_workgroup_id_y 0
		.amdhsa_system_sgpr_workgroup_id_z 0
		.amdhsa_system_sgpr_workgroup_info 0
		.amdhsa_system_vgpr_workitem_id 0
		.amdhsa_next_free_vgpr 11
		.amdhsa_next_free_sgpr 18
		.amdhsa_reserve_vcc 1
		.amdhsa_reserve_flat_scratch 0
		.amdhsa_float_round_mode_32 0
		.amdhsa_float_round_mode_16_64 0
		.amdhsa_float_denorm_mode_32 3
		.amdhsa_float_denorm_mode_16_64 3
		.amdhsa_dx10_clamp 1
		.amdhsa_ieee_mode 1
		.amdhsa_fp16_overflow 0
		.amdhsa_workgroup_processor_mode 1
		.amdhsa_memory_ordered 1
		.amdhsa_forward_progress 1
		.amdhsa_shared_vgpr_count 0
		.amdhsa_exception_fp_ieee_invalid_op 0
		.amdhsa_exception_fp_denorm_src 0
		.amdhsa_exception_fp_ieee_div_zero 0
		.amdhsa_exception_fp_ieee_overflow 0
		.amdhsa_exception_fp_ieee_underflow 0
		.amdhsa_exception_fp_ieee_inexact 0
		.amdhsa_exception_int_div_zero 0
	.end_amdhsa_kernel
	.section	.text._ZN7rocprim17ROCPRIM_400000_NS6detail17trampoline_kernelINS0_14default_configENS1_38merge_sort_block_merge_config_selectorItNS0_10empty_typeEEEZZNS1_27merge_sort_block_merge_implIS3_N6thrust23THRUST_200600_302600_NS6detail15normal_iteratorINS9_10device_ptrItEEEEPS5_m9comp_mod3ItEEE10hipError_tT0_T1_T2_jT3_P12ihipStream_tbPNSt15iterator_traitsISJ_E10value_typeEPNSP_ISK_E10value_typeEPSL_NS1_7vsmem_tEENKUlT_SJ_SK_SL_E_clIPtSE_SF_SF_EESI_SY_SJ_SK_SL_EUlSY_E1_NS1_11comp_targetILNS1_3genE8ELNS1_11target_archE1030ELNS1_3gpuE2ELNS1_3repE0EEENS1_36merge_oddeven_config_static_selectorELNS0_4arch9wavefront6targetE0EEEvSK_,"axG",@progbits,_ZN7rocprim17ROCPRIM_400000_NS6detail17trampoline_kernelINS0_14default_configENS1_38merge_sort_block_merge_config_selectorItNS0_10empty_typeEEEZZNS1_27merge_sort_block_merge_implIS3_N6thrust23THRUST_200600_302600_NS6detail15normal_iteratorINS9_10device_ptrItEEEEPS5_m9comp_mod3ItEEE10hipError_tT0_T1_T2_jT3_P12ihipStream_tbPNSt15iterator_traitsISJ_E10value_typeEPNSP_ISK_E10value_typeEPSL_NS1_7vsmem_tEENKUlT_SJ_SK_SL_E_clIPtSE_SF_SF_EESI_SY_SJ_SK_SL_EUlSY_E1_NS1_11comp_targetILNS1_3genE8ELNS1_11target_archE1030ELNS1_3gpuE2ELNS1_3repE0EEENS1_36merge_oddeven_config_static_selectorELNS0_4arch9wavefront6targetE0EEEvSK_,comdat
.Lfunc_end897:
	.size	_ZN7rocprim17ROCPRIM_400000_NS6detail17trampoline_kernelINS0_14default_configENS1_38merge_sort_block_merge_config_selectorItNS0_10empty_typeEEEZZNS1_27merge_sort_block_merge_implIS3_N6thrust23THRUST_200600_302600_NS6detail15normal_iteratorINS9_10device_ptrItEEEEPS5_m9comp_mod3ItEEE10hipError_tT0_T1_T2_jT3_P12ihipStream_tbPNSt15iterator_traitsISJ_E10value_typeEPNSP_ISK_E10value_typeEPSL_NS1_7vsmem_tEENKUlT_SJ_SK_SL_E_clIPtSE_SF_SF_EESI_SY_SJ_SK_SL_EUlSY_E1_NS1_11comp_targetILNS1_3genE8ELNS1_11target_archE1030ELNS1_3gpuE2ELNS1_3repE0EEENS1_36merge_oddeven_config_static_selectorELNS0_4arch9wavefront6targetE0EEEvSK_, .Lfunc_end897-_ZN7rocprim17ROCPRIM_400000_NS6detail17trampoline_kernelINS0_14default_configENS1_38merge_sort_block_merge_config_selectorItNS0_10empty_typeEEEZZNS1_27merge_sort_block_merge_implIS3_N6thrust23THRUST_200600_302600_NS6detail15normal_iteratorINS9_10device_ptrItEEEEPS5_m9comp_mod3ItEEE10hipError_tT0_T1_T2_jT3_P12ihipStream_tbPNSt15iterator_traitsISJ_E10value_typeEPNSP_ISK_E10value_typeEPSL_NS1_7vsmem_tEENKUlT_SJ_SK_SL_E_clIPtSE_SF_SF_EESI_SY_SJ_SK_SL_EUlSY_E1_NS1_11comp_targetILNS1_3genE8ELNS1_11target_archE1030ELNS1_3gpuE2ELNS1_3repE0EEENS1_36merge_oddeven_config_static_selectorELNS0_4arch9wavefront6targetE0EEEvSK_
                                        ; -- End function
	.set _ZN7rocprim17ROCPRIM_400000_NS6detail17trampoline_kernelINS0_14default_configENS1_38merge_sort_block_merge_config_selectorItNS0_10empty_typeEEEZZNS1_27merge_sort_block_merge_implIS3_N6thrust23THRUST_200600_302600_NS6detail15normal_iteratorINS9_10device_ptrItEEEEPS5_m9comp_mod3ItEEE10hipError_tT0_T1_T2_jT3_P12ihipStream_tbPNSt15iterator_traitsISJ_E10value_typeEPNSP_ISK_E10value_typeEPSL_NS1_7vsmem_tEENKUlT_SJ_SK_SL_E_clIPtSE_SF_SF_EESI_SY_SJ_SK_SL_EUlSY_E1_NS1_11comp_targetILNS1_3genE8ELNS1_11target_archE1030ELNS1_3gpuE2ELNS1_3repE0EEENS1_36merge_oddeven_config_static_selectorELNS0_4arch9wavefront6targetE0EEEvSK_.num_vgpr, 11
	.set _ZN7rocprim17ROCPRIM_400000_NS6detail17trampoline_kernelINS0_14default_configENS1_38merge_sort_block_merge_config_selectorItNS0_10empty_typeEEEZZNS1_27merge_sort_block_merge_implIS3_N6thrust23THRUST_200600_302600_NS6detail15normal_iteratorINS9_10device_ptrItEEEEPS5_m9comp_mod3ItEEE10hipError_tT0_T1_T2_jT3_P12ihipStream_tbPNSt15iterator_traitsISJ_E10value_typeEPNSP_ISK_E10value_typeEPSL_NS1_7vsmem_tEENKUlT_SJ_SK_SL_E_clIPtSE_SF_SF_EESI_SY_SJ_SK_SL_EUlSY_E1_NS1_11comp_targetILNS1_3genE8ELNS1_11target_archE1030ELNS1_3gpuE2ELNS1_3repE0EEENS1_36merge_oddeven_config_static_selectorELNS0_4arch9wavefront6targetE0EEEvSK_.num_agpr, 0
	.set _ZN7rocprim17ROCPRIM_400000_NS6detail17trampoline_kernelINS0_14default_configENS1_38merge_sort_block_merge_config_selectorItNS0_10empty_typeEEEZZNS1_27merge_sort_block_merge_implIS3_N6thrust23THRUST_200600_302600_NS6detail15normal_iteratorINS9_10device_ptrItEEEEPS5_m9comp_mod3ItEEE10hipError_tT0_T1_T2_jT3_P12ihipStream_tbPNSt15iterator_traitsISJ_E10value_typeEPNSP_ISK_E10value_typeEPSL_NS1_7vsmem_tEENKUlT_SJ_SK_SL_E_clIPtSE_SF_SF_EESI_SY_SJ_SK_SL_EUlSY_E1_NS1_11comp_targetILNS1_3genE8ELNS1_11target_archE1030ELNS1_3gpuE2ELNS1_3repE0EEENS1_36merge_oddeven_config_static_selectorELNS0_4arch9wavefront6targetE0EEEvSK_.numbered_sgpr, 18
	.set _ZN7rocprim17ROCPRIM_400000_NS6detail17trampoline_kernelINS0_14default_configENS1_38merge_sort_block_merge_config_selectorItNS0_10empty_typeEEEZZNS1_27merge_sort_block_merge_implIS3_N6thrust23THRUST_200600_302600_NS6detail15normal_iteratorINS9_10device_ptrItEEEEPS5_m9comp_mod3ItEEE10hipError_tT0_T1_T2_jT3_P12ihipStream_tbPNSt15iterator_traitsISJ_E10value_typeEPNSP_ISK_E10value_typeEPSL_NS1_7vsmem_tEENKUlT_SJ_SK_SL_E_clIPtSE_SF_SF_EESI_SY_SJ_SK_SL_EUlSY_E1_NS1_11comp_targetILNS1_3genE8ELNS1_11target_archE1030ELNS1_3gpuE2ELNS1_3repE0EEENS1_36merge_oddeven_config_static_selectorELNS0_4arch9wavefront6targetE0EEEvSK_.num_named_barrier, 0
	.set _ZN7rocprim17ROCPRIM_400000_NS6detail17trampoline_kernelINS0_14default_configENS1_38merge_sort_block_merge_config_selectorItNS0_10empty_typeEEEZZNS1_27merge_sort_block_merge_implIS3_N6thrust23THRUST_200600_302600_NS6detail15normal_iteratorINS9_10device_ptrItEEEEPS5_m9comp_mod3ItEEE10hipError_tT0_T1_T2_jT3_P12ihipStream_tbPNSt15iterator_traitsISJ_E10value_typeEPNSP_ISK_E10value_typeEPSL_NS1_7vsmem_tEENKUlT_SJ_SK_SL_E_clIPtSE_SF_SF_EESI_SY_SJ_SK_SL_EUlSY_E1_NS1_11comp_targetILNS1_3genE8ELNS1_11target_archE1030ELNS1_3gpuE2ELNS1_3repE0EEENS1_36merge_oddeven_config_static_selectorELNS0_4arch9wavefront6targetE0EEEvSK_.private_seg_size, 0
	.set _ZN7rocprim17ROCPRIM_400000_NS6detail17trampoline_kernelINS0_14default_configENS1_38merge_sort_block_merge_config_selectorItNS0_10empty_typeEEEZZNS1_27merge_sort_block_merge_implIS3_N6thrust23THRUST_200600_302600_NS6detail15normal_iteratorINS9_10device_ptrItEEEEPS5_m9comp_mod3ItEEE10hipError_tT0_T1_T2_jT3_P12ihipStream_tbPNSt15iterator_traitsISJ_E10value_typeEPNSP_ISK_E10value_typeEPSL_NS1_7vsmem_tEENKUlT_SJ_SK_SL_E_clIPtSE_SF_SF_EESI_SY_SJ_SK_SL_EUlSY_E1_NS1_11comp_targetILNS1_3genE8ELNS1_11target_archE1030ELNS1_3gpuE2ELNS1_3repE0EEENS1_36merge_oddeven_config_static_selectorELNS0_4arch9wavefront6targetE0EEEvSK_.uses_vcc, 1
	.set _ZN7rocprim17ROCPRIM_400000_NS6detail17trampoline_kernelINS0_14default_configENS1_38merge_sort_block_merge_config_selectorItNS0_10empty_typeEEEZZNS1_27merge_sort_block_merge_implIS3_N6thrust23THRUST_200600_302600_NS6detail15normal_iteratorINS9_10device_ptrItEEEEPS5_m9comp_mod3ItEEE10hipError_tT0_T1_T2_jT3_P12ihipStream_tbPNSt15iterator_traitsISJ_E10value_typeEPNSP_ISK_E10value_typeEPSL_NS1_7vsmem_tEENKUlT_SJ_SK_SL_E_clIPtSE_SF_SF_EESI_SY_SJ_SK_SL_EUlSY_E1_NS1_11comp_targetILNS1_3genE8ELNS1_11target_archE1030ELNS1_3gpuE2ELNS1_3repE0EEENS1_36merge_oddeven_config_static_selectorELNS0_4arch9wavefront6targetE0EEEvSK_.uses_flat_scratch, 0
	.set _ZN7rocprim17ROCPRIM_400000_NS6detail17trampoline_kernelINS0_14default_configENS1_38merge_sort_block_merge_config_selectorItNS0_10empty_typeEEEZZNS1_27merge_sort_block_merge_implIS3_N6thrust23THRUST_200600_302600_NS6detail15normal_iteratorINS9_10device_ptrItEEEEPS5_m9comp_mod3ItEEE10hipError_tT0_T1_T2_jT3_P12ihipStream_tbPNSt15iterator_traitsISJ_E10value_typeEPNSP_ISK_E10value_typeEPSL_NS1_7vsmem_tEENKUlT_SJ_SK_SL_E_clIPtSE_SF_SF_EESI_SY_SJ_SK_SL_EUlSY_E1_NS1_11comp_targetILNS1_3genE8ELNS1_11target_archE1030ELNS1_3gpuE2ELNS1_3repE0EEENS1_36merge_oddeven_config_static_selectorELNS0_4arch9wavefront6targetE0EEEvSK_.has_dyn_sized_stack, 0
	.set _ZN7rocprim17ROCPRIM_400000_NS6detail17trampoline_kernelINS0_14default_configENS1_38merge_sort_block_merge_config_selectorItNS0_10empty_typeEEEZZNS1_27merge_sort_block_merge_implIS3_N6thrust23THRUST_200600_302600_NS6detail15normal_iteratorINS9_10device_ptrItEEEEPS5_m9comp_mod3ItEEE10hipError_tT0_T1_T2_jT3_P12ihipStream_tbPNSt15iterator_traitsISJ_E10value_typeEPNSP_ISK_E10value_typeEPSL_NS1_7vsmem_tEENKUlT_SJ_SK_SL_E_clIPtSE_SF_SF_EESI_SY_SJ_SK_SL_EUlSY_E1_NS1_11comp_targetILNS1_3genE8ELNS1_11target_archE1030ELNS1_3gpuE2ELNS1_3repE0EEENS1_36merge_oddeven_config_static_selectorELNS0_4arch9wavefront6targetE0EEEvSK_.has_recursion, 0
	.set _ZN7rocprim17ROCPRIM_400000_NS6detail17trampoline_kernelINS0_14default_configENS1_38merge_sort_block_merge_config_selectorItNS0_10empty_typeEEEZZNS1_27merge_sort_block_merge_implIS3_N6thrust23THRUST_200600_302600_NS6detail15normal_iteratorINS9_10device_ptrItEEEEPS5_m9comp_mod3ItEEE10hipError_tT0_T1_T2_jT3_P12ihipStream_tbPNSt15iterator_traitsISJ_E10value_typeEPNSP_ISK_E10value_typeEPSL_NS1_7vsmem_tEENKUlT_SJ_SK_SL_E_clIPtSE_SF_SF_EESI_SY_SJ_SK_SL_EUlSY_E1_NS1_11comp_targetILNS1_3genE8ELNS1_11target_archE1030ELNS1_3gpuE2ELNS1_3repE0EEENS1_36merge_oddeven_config_static_selectorELNS0_4arch9wavefront6targetE0EEEvSK_.has_indirect_call, 0
	.section	.AMDGPU.csdata,"",@progbits
; Kernel info:
; codeLenInByte = 812
; TotalNumSgprs: 20
; NumVgprs: 11
; ScratchSize: 0
; MemoryBound: 0
; FloatMode: 240
; IeeeMode: 1
; LDSByteSize: 0 bytes/workgroup (compile time only)
; SGPRBlocks: 0
; VGPRBlocks: 1
; NumSGPRsForWavesPerEU: 20
; NumVGPRsForWavesPerEU: 11
; Occupancy: 16
; WaveLimiterHint : 1
; COMPUTE_PGM_RSRC2:SCRATCH_EN: 0
; COMPUTE_PGM_RSRC2:USER_SGPR: 6
; COMPUTE_PGM_RSRC2:TRAP_HANDLER: 0
; COMPUTE_PGM_RSRC2:TGID_X_EN: 1
; COMPUTE_PGM_RSRC2:TGID_Y_EN: 0
; COMPUTE_PGM_RSRC2:TGID_Z_EN: 0
; COMPUTE_PGM_RSRC2:TIDIG_COMP_CNT: 0
	.section	.text._ZN7rocprim17ROCPRIM_400000_NS6detail17trampoline_kernelINS0_14default_configENS1_38merge_sort_block_merge_config_selectorItNS0_10empty_typeEEEZZNS1_27merge_sort_block_merge_implIS3_N6thrust23THRUST_200600_302600_NS6detail15normal_iteratorINS9_10device_ptrItEEEEPS5_m9comp_mod3ItEEE10hipError_tT0_T1_T2_jT3_P12ihipStream_tbPNSt15iterator_traitsISJ_E10value_typeEPNSP_ISK_E10value_typeEPSL_NS1_7vsmem_tEENKUlT_SJ_SK_SL_E_clISE_PtSF_SF_EESI_SY_SJ_SK_SL_EUlSY_E_NS1_11comp_targetILNS1_3genE0ELNS1_11target_archE4294967295ELNS1_3gpuE0ELNS1_3repE0EEENS1_48merge_mergepath_partition_config_static_selectorELNS0_4arch9wavefront6targetE0EEEvSK_,"axG",@progbits,_ZN7rocprim17ROCPRIM_400000_NS6detail17trampoline_kernelINS0_14default_configENS1_38merge_sort_block_merge_config_selectorItNS0_10empty_typeEEEZZNS1_27merge_sort_block_merge_implIS3_N6thrust23THRUST_200600_302600_NS6detail15normal_iteratorINS9_10device_ptrItEEEEPS5_m9comp_mod3ItEEE10hipError_tT0_T1_T2_jT3_P12ihipStream_tbPNSt15iterator_traitsISJ_E10value_typeEPNSP_ISK_E10value_typeEPSL_NS1_7vsmem_tEENKUlT_SJ_SK_SL_E_clISE_PtSF_SF_EESI_SY_SJ_SK_SL_EUlSY_E_NS1_11comp_targetILNS1_3genE0ELNS1_11target_archE4294967295ELNS1_3gpuE0ELNS1_3repE0EEENS1_48merge_mergepath_partition_config_static_selectorELNS0_4arch9wavefront6targetE0EEEvSK_,comdat
	.protected	_ZN7rocprim17ROCPRIM_400000_NS6detail17trampoline_kernelINS0_14default_configENS1_38merge_sort_block_merge_config_selectorItNS0_10empty_typeEEEZZNS1_27merge_sort_block_merge_implIS3_N6thrust23THRUST_200600_302600_NS6detail15normal_iteratorINS9_10device_ptrItEEEEPS5_m9comp_mod3ItEEE10hipError_tT0_T1_T2_jT3_P12ihipStream_tbPNSt15iterator_traitsISJ_E10value_typeEPNSP_ISK_E10value_typeEPSL_NS1_7vsmem_tEENKUlT_SJ_SK_SL_E_clISE_PtSF_SF_EESI_SY_SJ_SK_SL_EUlSY_E_NS1_11comp_targetILNS1_3genE0ELNS1_11target_archE4294967295ELNS1_3gpuE0ELNS1_3repE0EEENS1_48merge_mergepath_partition_config_static_selectorELNS0_4arch9wavefront6targetE0EEEvSK_ ; -- Begin function _ZN7rocprim17ROCPRIM_400000_NS6detail17trampoline_kernelINS0_14default_configENS1_38merge_sort_block_merge_config_selectorItNS0_10empty_typeEEEZZNS1_27merge_sort_block_merge_implIS3_N6thrust23THRUST_200600_302600_NS6detail15normal_iteratorINS9_10device_ptrItEEEEPS5_m9comp_mod3ItEEE10hipError_tT0_T1_T2_jT3_P12ihipStream_tbPNSt15iterator_traitsISJ_E10value_typeEPNSP_ISK_E10value_typeEPSL_NS1_7vsmem_tEENKUlT_SJ_SK_SL_E_clISE_PtSF_SF_EESI_SY_SJ_SK_SL_EUlSY_E_NS1_11comp_targetILNS1_3genE0ELNS1_11target_archE4294967295ELNS1_3gpuE0ELNS1_3repE0EEENS1_48merge_mergepath_partition_config_static_selectorELNS0_4arch9wavefront6targetE0EEEvSK_
	.globl	_ZN7rocprim17ROCPRIM_400000_NS6detail17trampoline_kernelINS0_14default_configENS1_38merge_sort_block_merge_config_selectorItNS0_10empty_typeEEEZZNS1_27merge_sort_block_merge_implIS3_N6thrust23THRUST_200600_302600_NS6detail15normal_iteratorINS9_10device_ptrItEEEEPS5_m9comp_mod3ItEEE10hipError_tT0_T1_T2_jT3_P12ihipStream_tbPNSt15iterator_traitsISJ_E10value_typeEPNSP_ISK_E10value_typeEPSL_NS1_7vsmem_tEENKUlT_SJ_SK_SL_E_clISE_PtSF_SF_EESI_SY_SJ_SK_SL_EUlSY_E_NS1_11comp_targetILNS1_3genE0ELNS1_11target_archE4294967295ELNS1_3gpuE0ELNS1_3repE0EEENS1_48merge_mergepath_partition_config_static_selectorELNS0_4arch9wavefront6targetE0EEEvSK_
	.p2align	8
	.type	_ZN7rocprim17ROCPRIM_400000_NS6detail17trampoline_kernelINS0_14default_configENS1_38merge_sort_block_merge_config_selectorItNS0_10empty_typeEEEZZNS1_27merge_sort_block_merge_implIS3_N6thrust23THRUST_200600_302600_NS6detail15normal_iteratorINS9_10device_ptrItEEEEPS5_m9comp_mod3ItEEE10hipError_tT0_T1_T2_jT3_P12ihipStream_tbPNSt15iterator_traitsISJ_E10value_typeEPNSP_ISK_E10value_typeEPSL_NS1_7vsmem_tEENKUlT_SJ_SK_SL_E_clISE_PtSF_SF_EESI_SY_SJ_SK_SL_EUlSY_E_NS1_11comp_targetILNS1_3genE0ELNS1_11target_archE4294967295ELNS1_3gpuE0ELNS1_3repE0EEENS1_48merge_mergepath_partition_config_static_selectorELNS0_4arch9wavefront6targetE0EEEvSK_,@function
_ZN7rocprim17ROCPRIM_400000_NS6detail17trampoline_kernelINS0_14default_configENS1_38merge_sort_block_merge_config_selectorItNS0_10empty_typeEEEZZNS1_27merge_sort_block_merge_implIS3_N6thrust23THRUST_200600_302600_NS6detail15normal_iteratorINS9_10device_ptrItEEEEPS5_m9comp_mod3ItEEE10hipError_tT0_T1_T2_jT3_P12ihipStream_tbPNSt15iterator_traitsISJ_E10value_typeEPNSP_ISK_E10value_typeEPSL_NS1_7vsmem_tEENKUlT_SJ_SK_SL_E_clISE_PtSF_SF_EESI_SY_SJ_SK_SL_EUlSY_E_NS1_11comp_targetILNS1_3genE0ELNS1_11target_archE4294967295ELNS1_3gpuE0ELNS1_3repE0EEENS1_48merge_mergepath_partition_config_static_selectorELNS0_4arch9wavefront6targetE0EEEvSK_: ; @_ZN7rocprim17ROCPRIM_400000_NS6detail17trampoline_kernelINS0_14default_configENS1_38merge_sort_block_merge_config_selectorItNS0_10empty_typeEEEZZNS1_27merge_sort_block_merge_implIS3_N6thrust23THRUST_200600_302600_NS6detail15normal_iteratorINS9_10device_ptrItEEEEPS5_m9comp_mod3ItEEE10hipError_tT0_T1_T2_jT3_P12ihipStream_tbPNSt15iterator_traitsISJ_E10value_typeEPNSP_ISK_E10value_typeEPSL_NS1_7vsmem_tEENKUlT_SJ_SK_SL_E_clISE_PtSF_SF_EESI_SY_SJ_SK_SL_EUlSY_E_NS1_11comp_targetILNS1_3genE0ELNS1_11target_archE4294967295ELNS1_3gpuE0ELNS1_3repE0EEENS1_48merge_mergepath_partition_config_static_selectorELNS0_4arch9wavefront6targetE0EEEvSK_
; %bb.0:
	.section	.rodata,"a",@progbits
	.p2align	6, 0x0
	.amdhsa_kernel _ZN7rocprim17ROCPRIM_400000_NS6detail17trampoline_kernelINS0_14default_configENS1_38merge_sort_block_merge_config_selectorItNS0_10empty_typeEEEZZNS1_27merge_sort_block_merge_implIS3_N6thrust23THRUST_200600_302600_NS6detail15normal_iteratorINS9_10device_ptrItEEEEPS5_m9comp_mod3ItEEE10hipError_tT0_T1_T2_jT3_P12ihipStream_tbPNSt15iterator_traitsISJ_E10value_typeEPNSP_ISK_E10value_typeEPSL_NS1_7vsmem_tEENKUlT_SJ_SK_SL_E_clISE_PtSF_SF_EESI_SY_SJ_SK_SL_EUlSY_E_NS1_11comp_targetILNS1_3genE0ELNS1_11target_archE4294967295ELNS1_3gpuE0ELNS1_3repE0EEENS1_48merge_mergepath_partition_config_static_selectorELNS0_4arch9wavefront6targetE0EEEvSK_
		.amdhsa_group_segment_fixed_size 0
		.amdhsa_private_segment_fixed_size 0
		.amdhsa_kernarg_size 48
		.amdhsa_user_sgpr_count 6
		.amdhsa_user_sgpr_private_segment_buffer 1
		.amdhsa_user_sgpr_dispatch_ptr 0
		.amdhsa_user_sgpr_queue_ptr 0
		.amdhsa_user_sgpr_kernarg_segment_ptr 1
		.amdhsa_user_sgpr_dispatch_id 0
		.amdhsa_user_sgpr_flat_scratch_init 0
		.amdhsa_user_sgpr_private_segment_size 0
		.amdhsa_wavefront_size32 1
		.amdhsa_uses_dynamic_stack 0
		.amdhsa_system_sgpr_private_segment_wavefront_offset 0
		.amdhsa_system_sgpr_workgroup_id_x 1
		.amdhsa_system_sgpr_workgroup_id_y 0
		.amdhsa_system_sgpr_workgroup_id_z 0
		.amdhsa_system_sgpr_workgroup_info 0
		.amdhsa_system_vgpr_workitem_id 0
		.amdhsa_next_free_vgpr 1
		.amdhsa_next_free_sgpr 1
		.amdhsa_reserve_vcc 0
		.amdhsa_reserve_flat_scratch 0
		.amdhsa_float_round_mode_32 0
		.amdhsa_float_round_mode_16_64 0
		.amdhsa_float_denorm_mode_32 3
		.amdhsa_float_denorm_mode_16_64 3
		.amdhsa_dx10_clamp 1
		.amdhsa_ieee_mode 1
		.amdhsa_fp16_overflow 0
		.amdhsa_workgroup_processor_mode 1
		.amdhsa_memory_ordered 1
		.amdhsa_forward_progress 1
		.amdhsa_shared_vgpr_count 0
		.amdhsa_exception_fp_ieee_invalid_op 0
		.amdhsa_exception_fp_denorm_src 0
		.amdhsa_exception_fp_ieee_div_zero 0
		.amdhsa_exception_fp_ieee_overflow 0
		.amdhsa_exception_fp_ieee_underflow 0
		.amdhsa_exception_fp_ieee_inexact 0
		.amdhsa_exception_int_div_zero 0
	.end_amdhsa_kernel
	.section	.text._ZN7rocprim17ROCPRIM_400000_NS6detail17trampoline_kernelINS0_14default_configENS1_38merge_sort_block_merge_config_selectorItNS0_10empty_typeEEEZZNS1_27merge_sort_block_merge_implIS3_N6thrust23THRUST_200600_302600_NS6detail15normal_iteratorINS9_10device_ptrItEEEEPS5_m9comp_mod3ItEEE10hipError_tT0_T1_T2_jT3_P12ihipStream_tbPNSt15iterator_traitsISJ_E10value_typeEPNSP_ISK_E10value_typeEPSL_NS1_7vsmem_tEENKUlT_SJ_SK_SL_E_clISE_PtSF_SF_EESI_SY_SJ_SK_SL_EUlSY_E_NS1_11comp_targetILNS1_3genE0ELNS1_11target_archE4294967295ELNS1_3gpuE0ELNS1_3repE0EEENS1_48merge_mergepath_partition_config_static_selectorELNS0_4arch9wavefront6targetE0EEEvSK_,"axG",@progbits,_ZN7rocprim17ROCPRIM_400000_NS6detail17trampoline_kernelINS0_14default_configENS1_38merge_sort_block_merge_config_selectorItNS0_10empty_typeEEEZZNS1_27merge_sort_block_merge_implIS3_N6thrust23THRUST_200600_302600_NS6detail15normal_iteratorINS9_10device_ptrItEEEEPS5_m9comp_mod3ItEEE10hipError_tT0_T1_T2_jT3_P12ihipStream_tbPNSt15iterator_traitsISJ_E10value_typeEPNSP_ISK_E10value_typeEPSL_NS1_7vsmem_tEENKUlT_SJ_SK_SL_E_clISE_PtSF_SF_EESI_SY_SJ_SK_SL_EUlSY_E_NS1_11comp_targetILNS1_3genE0ELNS1_11target_archE4294967295ELNS1_3gpuE0ELNS1_3repE0EEENS1_48merge_mergepath_partition_config_static_selectorELNS0_4arch9wavefront6targetE0EEEvSK_,comdat
.Lfunc_end898:
	.size	_ZN7rocprim17ROCPRIM_400000_NS6detail17trampoline_kernelINS0_14default_configENS1_38merge_sort_block_merge_config_selectorItNS0_10empty_typeEEEZZNS1_27merge_sort_block_merge_implIS3_N6thrust23THRUST_200600_302600_NS6detail15normal_iteratorINS9_10device_ptrItEEEEPS5_m9comp_mod3ItEEE10hipError_tT0_T1_T2_jT3_P12ihipStream_tbPNSt15iterator_traitsISJ_E10value_typeEPNSP_ISK_E10value_typeEPSL_NS1_7vsmem_tEENKUlT_SJ_SK_SL_E_clISE_PtSF_SF_EESI_SY_SJ_SK_SL_EUlSY_E_NS1_11comp_targetILNS1_3genE0ELNS1_11target_archE4294967295ELNS1_3gpuE0ELNS1_3repE0EEENS1_48merge_mergepath_partition_config_static_selectorELNS0_4arch9wavefront6targetE0EEEvSK_, .Lfunc_end898-_ZN7rocprim17ROCPRIM_400000_NS6detail17trampoline_kernelINS0_14default_configENS1_38merge_sort_block_merge_config_selectorItNS0_10empty_typeEEEZZNS1_27merge_sort_block_merge_implIS3_N6thrust23THRUST_200600_302600_NS6detail15normal_iteratorINS9_10device_ptrItEEEEPS5_m9comp_mod3ItEEE10hipError_tT0_T1_T2_jT3_P12ihipStream_tbPNSt15iterator_traitsISJ_E10value_typeEPNSP_ISK_E10value_typeEPSL_NS1_7vsmem_tEENKUlT_SJ_SK_SL_E_clISE_PtSF_SF_EESI_SY_SJ_SK_SL_EUlSY_E_NS1_11comp_targetILNS1_3genE0ELNS1_11target_archE4294967295ELNS1_3gpuE0ELNS1_3repE0EEENS1_48merge_mergepath_partition_config_static_selectorELNS0_4arch9wavefront6targetE0EEEvSK_
                                        ; -- End function
	.set _ZN7rocprim17ROCPRIM_400000_NS6detail17trampoline_kernelINS0_14default_configENS1_38merge_sort_block_merge_config_selectorItNS0_10empty_typeEEEZZNS1_27merge_sort_block_merge_implIS3_N6thrust23THRUST_200600_302600_NS6detail15normal_iteratorINS9_10device_ptrItEEEEPS5_m9comp_mod3ItEEE10hipError_tT0_T1_T2_jT3_P12ihipStream_tbPNSt15iterator_traitsISJ_E10value_typeEPNSP_ISK_E10value_typeEPSL_NS1_7vsmem_tEENKUlT_SJ_SK_SL_E_clISE_PtSF_SF_EESI_SY_SJ_SK_SL_EUlSY_E_NS1_11comp_targetILNS1_3genE0ELNS1_11target_archE4294967295ELNS1_3gpuE0ELNS1_3repE0EEENS1_48merge_mergepath_partition_config_static_selectorELNS0_4arch9wavefront6targetE0EEEvSK_.num_vgpr, 0
	.set _ZN7rocprim17ROCPRIM_400000_NS6detail17trampoline_kernelINS0_14default_configENS1_38merge_sort_block_merge_config_selectorItNS0_10empty_typeEEEZZNS1_27merge_sort_block_merge_implIS3_N6thrust23THRUST_200600_302600_NS6detail15normal_iteratorINS9_10device_ptrItEEEEPS5_m9comp_mod3ItEEE10hipError_tT0_T1_T2_jT3_P12ihipStream_tbPNSt15iterator_traitsISJ_E10value_typeEPNSP_ISK_E10value_typeEPSL_NS1_7vsmem_tEENKUlT_SJ_SK_SL_E_clISE_PtSF_SF_EESI_SY_SJ_SK_SL_EUlSY_E_NS1_11comp_targetILNS1_3genE0ELNS1_11target_archE4294967295ELNS1_3gpuE0ELNS1_3repE0EEENS1_48merge_mergepath_partition_config_static_selectorELNS0_4arch9wavefront6targetE0EEEvSK_.num_agpr, 0
	.set _ZN7rocprim17ROCPRIM_400000_NS6detail17trampoline_kernelINS0_14default_configENS1_38merge_sort_block_merge_config_selectorItNS0_10empty_typeEEEZZNS1_27merge_sort_block_merge_implIS3_N6thrust23THRUST_200600_302600_NS6detail15normal_iteratorINS9_10device_ptrItEEEEPS5_m9comp_mod3ItEEE10hipError_tT0_T1_T2_jT3_P12ihipStream_tbPNSt15iterator_traitsISJ_E10value_typeEPNSP_ISK_E10value_typeEPSL_NS1_7vsmem_tEENKUlT_SJ_SK_SL_E_clISE_PtSF_SF_EESI_SY_SJ_SK_SL_EUlSY_E_NS1_11comp_targetILNS1_3genE0ELNS1_11target_archE4294967295ELNS1_3gpuE0ELNS1_3repE0EEENS1_48merge_mergepath_partition_config_static_selectorELNS0_4arch9wavefront6targetE0EEEvSK_.numbered_sgpr, 0
	.set _ZN7rocprim17ROCPRIM_400000_NS6detail17trampoline_kernelINS0_14default_configENS1_38merge_sort_block_merge_config_selectorItNS0_10empty_typeEEEZZNS1_27merge_sort_block_merge_implIS3_N6thrust23THRUST_200600_302600_NS6detail15normal_iteratorINS9_10device_ptrItEEEEPS5_m9comp_mod3ItEEE10hipError_tT0_T1_T2_jT3_P12ihipStream_tbPNSt15iterator_traitsISJ_E10value_typeEPNSP_ISK_E10value_typeEPSL_NS1_7vsmem_tEENKUlT_SJ_SK_SL_E_clISE_PtSF_SF_EESI_SY_SJ_SK_SL_EUlSY_E_NS1_11comp_targetILNS1_3genE0ELNS1_11target_archE4294967295ELNS1_3gpuE0ELNS1_3repE0EEENS1_48merge_mergepath_partition_config_static_selectorELNS0_4arch9wavefront6targetE0EEEvSK_.num_named_barrier, 0
	.set _ZN7rocprim17ROCPRIM_400000_NS6detail17trampoline_kernelINS0_14default_configENS1_38merge_sort_block_merge_config_selectorItNS0_10empty_typeEEEZZNS1_27merge_sort_block_merge_implIS3_N6thrust23THRUST_200600_302600_NS6detail15normal_iteratorINS9_10device_ptrItEEEEPS5_m9comp_mod3ItEEE10hipError_tT0_T1_T2_jT3_P12ihipStream_tbPNSt15iterator_traitsISJ_E10value_typeEPNSP_ISK_E10value_typeEPSL_NS1_7vsmem_tEENKUlT_SJ_SK_SL_E_clISE_PtSF_SF_EESI_SY_SJ_SK_SL_EUlSY_E_NS1_11comp_targetILNS1_3genE0ELNS1_11target_archE4294967295ELNS1_3gpuE0ELNS1_3repE0EEENS1_48merge_mergepath_partition_config_static_selectorELNS0_4arch9wavefront6targetE0EEEvSK_.private_seg_size, 0
	.set _ZN7rocprim17ROCPRIM_400000_NS6detail17trampoline_kernelINS0_14default_configENS1_38merge_sort_block_merge_config_selectorItNS0_10empty_typeEEEZZNS1_27merge_sort_block_merge_implIS3_N6thrust23THRUST_200600_302600_NS6detail15normal_iteratorINS9_10device_ptrItEEEEPS5_m9comp_mod3ItEEE10hipError_tT0_T1_T2_jT3_P12ihipStream_tbPNSt15iterator_traitsISJ_E10value_typeEPNSP_ISK_E10value_typeEPSL_NS1_7vsmem_tEENKUlT_SJ_SK_SL_E_clISE_PtSF_SF_EESI_SY_SJ_SK_SL_EUlSY_E_NS1_11comp_targetILNS1_3genE0ELNS1_11target_archE4294967295ELNS1_3gpuE0ELNS1_3repE0EEENS1_48merge_mergepath_partition_config_static_selectorELNS0_4arch9wavefront6targetE0EEEvSK_.uses_vcc, 0
	.set _ZN7rocprim17ROCPRIM_400000_NS6detail17trampoline_kernelINS0_14default_configENS1_38merge_sort_block_merge_config_selectorItNS0_10empty_typeEEEZZNS1_27merge_sort_block_merge_implIS3_N6thrust23THRUST_200600_302600_NS6detail15normal_iteratorINS9_10device_ptrItEEEEPS5_m9comp_mod3ItEEE10hipError_tT0_T1_T2_jT3_P12ihipStream_tbPNSt15iterator_traitsISJ_E10value_typeEPNSP_ISK_E10value_typeEPSL_NS1_7vsmem_tEENKUlT_SJ_SK_SL_E_clISE_PtSF_SF_EESI_SY_SJ_SK_SL_EUlSY_E_NS1_11comp_targetILNS1_3genE0ELNS1_11target_archE4294967295ELNS1_3gpuE0ELNS1_3repE0EEENS1_48merge_mergepath_partition_config_static_selectorELNS0_4arch9wavefront6targetE0EEEvSK_.uses_flat_scratch, 0
	.set _ZN7rocprim17ROCPRIM_400000_NS6detail17trampoline_kernelINS0_14default_configENS1_38merge_sort_block_merge_config_selectorItNS0_10empty_typeEEEZZNS1_27merge_sort_block_merge_implIS3_N6thrust23THRUST_200600_302600_NS6detail15normal_iteratorINS9_10device_ptrItEEEEPS5_m9comp_mod3ItEEE10hipError_tT0_T1_T2_jT3_P12ihipStream_tbPNSt15iterator_traitsISJ_E10value_typeEPNSP_ISK_E10value_typeEPSL_NS1_7vsmem_tEENKUlT_SJ_SK_SL_E_clISE_PtSF_SF_EESI_SY_SJ_SK_SL_EUlSY_E_NS1_11comp_targetILNS1_3genE0ELNS1_11target_archE4294967295ELNS1_3gpuE0ELNS1_3repE0EEENS1_48merge_mergepath_partition_config_static_selectorELNS0_4arch9wavefront6targetE0EEEvSK_.has_dyn_sized_stack, 0
	.set _ZN7rocprim17ROCPRIM_400000_NS6detail17trampoline_kernelINS0_14default_configENS1_38merge_sort_block_merge_config_selectorItNS0_10empty_typeEEEZZNS1_27merge_sort_block_merge_implIS3_N6thrust23THRUST_200600_302600_NS6detail15normal_iteratorINS9_10device_ptrItEEEEPS5_m9comp_mod3ItEEE10hipError_tT0_T1_T2_jT3_P12ihipStream_tbPNSt15iterator_traitsISJ_E10value_typeEPNSP_ISK_E10value_typeEPSL_NS1_7vsmem_tEENKUlT_SJ_SK_SL_E_clISE_PtSF_SF_EESI_SY_SJ_SK_SL_EUlSY_E_NS1_11comp_targetILNS1_3genE0ELNS1_11target_archE4294967295ELNS1_3gpuE0ELNS1_3repE0EEENS1_48merge_mergepath_partition_config_static_selectorELNS0_4arch9wavefront6targetE0EEEvSK_.has_recursion, 0
	.set _ZN7rocprim17ROCPRIM_400000_NS6detail17trampoline_kernelINS0_14default_configENS1_38merge_sort_block_merge_config_selectorItNS0_10empty_typeEEEZZNS1_27merge_sort_block_merge_implIS3_N6thrust23THRUST_200600_302600_NS6detail15normal_iteratorINS9_10device_ptrItEEEEPS5_m9comp_mod3ItEEE10hipError_tT0_T1_T2_jT3_P12ihipStream_tbPNSt15iterator_traitsISJ_E10value_typeEPNSP_ISK_E10value_typeEPSL_NS1_7vsmem_tEENKUlT_SJ_SK_SL_E_clISE_PtSF_SF_EESI_SY_SJ_SK_SL_EUlSY_E_NS1_11comp_targetILNS1_3genE0ELNS1_11target_archE4294967295ELNS1_3gpuE0ELNS1_3repE0EEENS1_48merge_mergepath_partition_config_static_selectorELNS0_4arch9wavefront6targetE0EEEvSK_.has_indirect_call, 0
	.section	.AMDGPU.csdata,"",@progbits
; Kernel info:
; codeLenInByte = 0
; TotalNumSgprs: 0
; NumVgprs: 0
; ScratchSize: 0
; MemoryBound: 0
; FloatMode: 240
; IeeeMode: 1
; LDSByteSize: 0 bytes/workgroup (compile time only)
; SGPRBlocks: 0
; VGPRBlocks: 0
; NumSGPRsForWavesPerEU: 1
; NumVGPRsForWavesPerEU: 1
; Occupancy: 16
; WaveLimiterHint : 0
; COMPUTE_PGM_RSRC2:SCRATCH_EN: 0
; COMPUTE_PGM_RSRC2:USER_SGPR: 6
; COMPUTE_PGM_RSRC2:TRAP_HANDLER: 0
; COMPUTE_PGM_RSRC2:TGID_X_EN: 1
; COMPUTE_PGM_RSRC2:TGID_Y_EN: 0
; COMPUTE_PGM_RSRC2:TGID_Z_EN: 0
; COMPUTE_PGM_RSRC2:TIDIG_COMP_CNT: 0
	.section	.text._ZN7rocprim17ROCPRIM_400000_NS6detail17trampoline_kernelINS0_14default_configENS1_38merge_sort_block_merge_config_selectorItNS0_10empty_typeEEEZZNS1_27merge_sort_block_merge_implIS3_N6thrust23THRUST_200600_302600_NS6detail15normal_iteratorINS9_10device_ptrItEEEEPS5_m9comp_mod3ItEEE10hipError_tT0_T1_T2_jT3_P12ihipStream_tbPNSt15iterator_traitsISJ_E10value_typeEPNSP_ISK_E10value_typeEPSL_NS1_7vsmem_tEENKUlT_SJ_SK_SL_E_clISE_PtSF_SF_EESI_SY_SJ_SK_SL_EUlSY_E_NS1_11comp_targetILNS1_3genE10ELNS1_11target_archE1201ELNS1_3gpuE5ELNS1_3repE0EEENS1_48merge_mergepath_partition_config_static_selectorELNS0_4arch9wavefront6targetE0EEEvSK_,"axG",@progbits,_ZN7rocprim17ROCPRIM_400000_NS6detail17trampoline_kernelINS0_14default_configENS1_38merge_sort_block_merge_config_selectorItNS0_10empty_typeEEEZZNS1_27merge_sort_block_merge_implIS3_N6thrust23THRUST_200600_302600_NS6detail15normal_iteratorINS9_10device_ptrItEEEEPS5_m9comp_mod3ItEEE10hipError_tT0_T1_T2_jT3_P12ihipStream_tbPNSt15iterator_traitsISJ_E10value_typeEPNSP_ISK_E10value_typeEPSL_NS1_7vsmem_tEENKUlT_SJ_SK_SL_E_clISE_PtSF_SF_EESI_SY_SJ_SK_SL_EUlSY_E_NS1_11comp_targetILNS1_3genE10ELNS1_11target_archE1201ELNS1_3gpuE5ELNS1_3repE0EEENS1_48merge_mergepath_partition_config_static_selectorELNS0_4arch9wavefront6targetE0EEEvSK_,comdat
	.protected	_ZN7rocprim17ROCPRIM_400000_NS6detail17trampoline_kernelINS0_14default_configENS1_38merge_sort_block_merge_config_selectorItNS0_10empty_typeEEEZZNS1_27merge_sort_block_merge_implIS3_N6thrust23THRUST_200600_302600_NS6detail15normal_iteratorINS9_10device_ptrItEEEEPS5_m9comp_mod3ItEEE10hipError_tT0_T1_T2_jT3_P12ihipStream_tbPNSt15iterator_traitsISJ_E10value_typeEPNSP_ISK_E10value_typeEPSL_NS1_7vsmem_tEENKUlT_SJ_SK_SL_E_clISE_PtSF_SF_EESI_SY_SJ_SK_SL_EUlSY_E_NS1_11comp_targetILNS1_3genE10ELNS1_11target_archE1201ELNS1_3gpuE5ELNS1_3repE0EEENS1_48merge_mergepath_partition_config_static_selectorELNS0_4arch9wavefront6targetE0EEEvSK_ ; -- Begin function _ZN7rocprim17ROCPRIM_400000_NS6detail17trampoline_kernelINS0_14default_configENS1_38merge_sort_block_merge_config_selectorItNS0_10empty_typeEEEZZNS1_27merge_sort_block_merge_implIS3_N6thrust23THRUST_200600_302600_NS6detail15normal_iteratorINS9_10device_ptrItEEEEPS5_m9comp_mod3ItEEE10hipError_tT0_T1_T2_jT3_P12ihipStream_tbPNSt15iterator_traitsISJ_E10value_typeEPNSP_ISK_E10value_typeEPSL_NS1_7vsmem_tEENKUlT_SJ_SK_SL_E_clISE_PtSF_SF_EESI_SY_SJ_SK_SL_EUlSY_E_NS1_11comp_targetILNS1_3genE10ELNS1_11target_archE1201ELNS1_3gpuE5ELNS1_3repE0EEENS1_48merge_mergepath_partition_config_static_selectorELNS0_4arch9wavefront6targetE0EEEvSK_
	.globl	_ZN7rocprim17ROCPRIM_400000_NS6detail17trampoline_kernelINS0_14default_configENS1_38merge_sort_block_merge_config_selectorItNS0_10empty_typeEEEZZNS1_27merge_sort_block_merge_implIS3_N6thrust23THRUST_200600_302600_NS6detail15normal_iteratorINS9_10device_ptrItEEEEPS5_m9comp_mod3ItEEE10hipError_tT0_T1_T2_jT3_P12ihipStream_tbPNSt15iterator_traitsISJ_E10value_typeEPNSP_ISK_E10value_typeEPSL_NS1_7vsmem_tEENKUlT_SJ_SK_SL_E_clISE_PtSF_SF_EESI_SY_SJ_SK_SL_EUlSY_E_NS1_11comp_targetILNS1_3genE10ELNS1_11target_archE1201ELNS1_3gpuE5ELNS1_3repE0EEENS1_48merge_mergepath_partition_config_static_selectorELNS0_4arch9wavefront6targetE0EEEvSK_
	.p2align	8
	.type	_ZN7rocprim17ROCPRIM_400000_NS6detail17trampoline_kernelINS0_14default_configENS1_38merge_sort_block_merge_config_selectorItNS0_10empty_typeEEEZZNS1_27merge_sort_block_merge_implIS3_N6thrust23THRUST_200600_302600_NS6detail15normal_iteratorINS9_10device_ptrItEEEEPS5_m9comp_mod3ItEEE10hipError_tT0_T1_T2_jT3_P12ihipStream_tbPNSt15iterator_traitsISJ_E10value_typeEPNSP_ISK_E10value_typeEPSL_NS1_7vsmem_tEENKUlT_SJ_SK_SL_E_clISE_PtSF_SF_EESI_SY_SJ_SK_SL_EUlSY_E_NS1_11comp_targetILNS1_3genE10ELNS1_11target_archE1201ELNS1_3gpuE5ELNS1_3repE0EEENS1_48merge_mergepath_partition_config_static_selectorELNS0_4arch9wavefront6targetE0EEEvSK_,@function
_ZN7rocprim17ROCPRIM_400000_NS6detail17trampoline_kernelINS0_14default_configENS1_38merge_sort_block_merge_config_selectorItNS0_10empty_typeEEEZZNS1_27merge_sort_block_merge_implIS3_N6thrust23THRUST_200600_302600_NS6detail15normal_iteratorINS9_10device_ptrItEEEEPS5_m9comp_mod3ItEEE10hipError_tT0_T1_T2_jT3_P12ihipStream_tbPNSt15iterator_traitsISJ_E10value_typeEPNSP_ISK_E10value_typeEPSL_NS1_7vsmem_tEENKUlT_SJ_SK_SL_E_clISE_PtSF_SF_EESI_SY_SJ_SK_SL_EUlSY_E_NS1_11comp_targetILNS1_3genE10ELNS1_11target_archE1201ELNS1_3gpuE5ELNS1_3repE0EEENS1_48merge_mergepath_partition_config_static_selectorELNS0_4arch9wavefront6targetE0EEEvSK_: ; @_ZN7rocprim17ROCPRIM_400000_NS6detail17trampoline_kernelINS0_14default_configENS1_38merge_sort_block_merge_config_selectorItNS0_10empty_typeEEEZZNS1_27merge_sort_block_merge_implIS3_N6thrust23THRUST_200600_302600_NS6detail15normal_iteratorINS9_10device_ptrItEEEEPS5_m9comp_mod3ItEEE10hipError_tT0_T1_T2_jT3_P12ihipStream_tbPNSt15iterator_traitsISJ_E10value_typeEPNSP_ISK_E10value_typeEPSL_NS1_7vsmem_tEENKUlT_SJ_SK_SL_E_clISE_PtSF_SF_EESI_SY_SJ_SK_SL_EUlSY_E_NS1_11comp_targetILNS1_3genE10ELNS1_11target_archE1201ELNS1_3gpuE5ELNS1_3repE0EEENS1_48merge_mergepath_partition_config_static_selectorELNS0_4arch9wavefront6targetE0EEEvSK_
; %bb.0:
	.section	.rodata,"a",@progbits
	.p2align	6, 0x0
	.amdhsa_kernel _ZN7rocprim17ROCPRIM_400000_NS6detail17trampoline_kernelINS0_14default_configENS1_38merge_sort_block_merge_config_selectorItNS0_10empty_typeEEEZZNS1_27merge_sort_block_merge_implIS3_N6thrust23THRUST_200600_302600_NS6detail15normal_iteratorINS9_10device_ptrItEEEEPS5_m9comp_mod3ItEEE10hipError_tT0_T1_T2_jT3_P12ihipStream_tbPNSt15iterator_traitsISJ_E10value_typeEPNSP_ISK_E10value_typeEPSL_NS1_7vsmem_tEENKUlT_SJ_SK_SL_E_clISE_PtSF_SF_EESI_SY_SJ_SK_SL_EUlSY_E_NS1_11comp_targetILNS1_3genE10ELNS1_11target_archE1201ELNS1_3gpuE5ELNS1_3repE0EEENS1_48merge_mergepath_partition_config_static_selectorELNS0_4arch9wavefront6targetE0EEEvSK_
		.amdhsa_group_segment_fixed_size 0
		.amdhsa_private_segment_fixed_size 0
		.amdhsa_kernarg_size 48
		.amdhsa_user_sgpr_count 6
		.amdhsa_user_sgpr_private_segment_buffer 1
		.amdhsa_user_sgpr_dispatch_ptr 0
		.amdhsa_user_sgpr_queue_ptr 0
		.amdhsa_user_sgpr_kernarg_segment_ptr 1
		.amdhsa_user_sgpr_dispatch_id 0
		.amdhsa_user_sgpr_flat_scratch_init 0
		.amdhsa_user_sgpr_private_segment_size 0
		.amdhsa_wavefront_size32 1
		.amdhsa_uses_dynamic_stack 0
		.amdhsa_system_sgpr_private_segment_wavefront_offset 0
		.amdhsa_system_sgpr_workgroup_id_x 1
		.amdhsa_system_sgpr_workgroup_id_y 0
		.amdhsa_system_sgpr_workgroup_id_z 0
		.amdhsa_system_sgpr_workgroup_info 0
		.amdhsa_system_vgpr_workitem_id 0
		.amdhsa_next_free_vgpr 1
		.amdhsa_next_free_sgpr 1
		.amdhsa_reserve_vcc 0
		.amdhsa_reserve_flat_scratch 0
		.amdhsa_float_round_mode_32 0
		.amdhsa_float_round_mode_16_64 0
		.amdhsa_float_denorm_mode_32 3
		.amdhsa_float_denorm_mode_16_64 3
		.amdhsa_dx10_clamp 1
		.amdhsa_ieee_mode 1
		.amdhsa_fp16_overflow 0
		.amdhsa_workgroup_processor_mode 1
		.amdhsa_memory_ordered 1
		.amdhsa_forward_progress 1
		.amdhsa_shared_vgpr_count 0
		.amdhsa_exception_fp_ieee_invalid_op 0
		.amdhsa_exception_fp_denorm_src 0
		.amdhsa_exception_fp_ieee_div_zero 0
		.amdhsa_exception_fp_ieee_overflow 0
		.amdhsa_exception_fp_ieee_underflow 0
		.amdhsa_exception_fp_ieee_inexact 0
		.amdhsa_exception_int_div_zero 0
	.end_amdhsa_kernel
	.section	.text._ZN7rocprim17ROCPRIM_400000_NS6detail17trampoline_kernelINS0_14default_configENS1_38merge_sort_block_merge_config_selectorItNS0_10empty_typeEEEZZNS1_27merge_sort_block_merge_implIS3_N6thrust23THRUST_200600_302600_NS6detail15normal_iteratorINS9_10device_ptrItEEEEPS5_m9comp_mod3ItEEE10hipError_tT0_T1_T2_jT3_P12ihipStream_tbPNSt15iterator_traitsISJ_E10value_typeEPNSP_ISK_E10value_typeEPSL_NS1_7vsmem_tEENKUlT_SJ_SK_SL_E_clISE_PtSF_SF_EESI_SY_SJ_SK_SL_EUlSY_E_NS1_11comp_targetILNS1_3genE10ELNS1_11target_archE1201ELNS1_3gpuE5ELNS1_3repE0EEENS1_48merge_mergepath_partition_config_static_selectorELNS0_4arch9wavefront6targetE0EEEvSK_,"axG",@progbits,_ZN7rocprim17ROCPRIM_400000_NS6detail17trampoline_kernelINS0_14default_configENS1_38merge_sort_block_merge_config_selectorItNS0_10empty_typeEEEZZNS1_27merge_sort_block_merge_implIS3_N6thrust23THRUST_200600_302600_NS6detail15normal_iteratorINS9_10device_ptrItEEEEPS5_m9comp_mod3ItEEE10hipError_tT0_T1_T2_jT3_P12ihipStream_tbPNSt15iterator_traitsISJ_E10value_typeEPNSP_ISK_E10value_typeEPSL_NS1_7vsmem_tEENKUlT_SJ_SK_SL_E_clISE_PtSF_SF_EESI_SY_SJ_SK_SL_EUlSY_E_NS1_11comp_targetILNS1_3genE10ELNS1_11target_archE1201ELNS1_3gpuE5ELNS1_3repE0EEENS1_48merge_mergepath_partition_config_static_selectorELNS0_4arch9wavefront6targetE0EEEvSK_,comdat
.Lfunc_end899:
	.size	_ZN7rocprim17ROCPRIM_400000_NS6detail17trampoline_kernelINS0_14default_configENS1_38merge_sort_block_merge_config_selectorItNS0_10empty_typeEEEZZNS1_27merge_sort_block_merge_implIS3_N6thrust23THRUST_200600_302600_NS6detail15normal_iteratorINS9_10device_ptrItEEEEPS5_m9comp_mod3ItEEE10hipError_tT0_T1_T2_jT3_P12ihipStream_tbPNSt15iterator_traitsISJ_E10value_typeEPNSP_ISK_E10value_typeEPSL_NS1_7vsmem_tEENKUlT_SJ_SK_SL_E_clISE_PtSF_SF_EESI_SY_SJ_SK_SL_EUlSY_E_NS1_11comp_targetILNS1_3genE10ELNS1_11target_archE1201ELNS1_3gpuE5ELNS1_3repE0EEENS1_48merge_mergepath_partition_config_static_selectorELNS0_4arch9wavefront6targetE0EEEvSK_, .Lfunc_end899-_ZN7rocprim17ROCPRIM_400000_NS6detail17trampoline_kernelINS0_14default_configENS1_38merge_sort_block_merge_config_selectorItNS0_10empty_typeEEEZZNS1_27merge_sort_block_merge_implIS3_N6thrust23THRUST_200600_302600_NS6detail15normal_iteratorINS9_10device_ptrItEEEEPS5_m9comp_mod3ItEEE10hipError_tT0_T1_T2_jT3_P12ihipStream_tbPNSt15iterator_traitsISJ_E10value_typeEPNSP_ISK_E10value_typeEPSL_NS1_7vsmem_tEENKUlT_SJ_SK_SL_E_clISE_PtSF_SF_EESI_SY_SJ_SK_SL_EUlSY_E_NS1_11comp_targetILNS1_3genE10ELNS1_11target_archE1201ELNS1_3gpuE5ELNS1_3repE0EEENS1_48merge_mergepath_partition_config_static_selectorELNS0_4arch9wavefront6targetE0EEEvSK_
                                        ; -- End function
	.set _ZN7rocprim17ROCPRIM_400000_NS6detail17trampoline_kernelINS0_14default_configENS1_38merge_sort_block_merge_config_selectorItNS0_10empty_typeEEEZZNS1_27merge_sort_block_merge_implIS3_N6thrust23THRUST_200600_302600_NS6detail15normal_iteratorINS9_10device_ptrItEEEEPS5_m9comp_mod3ItEEE10hipError_tT0_T1_T2_jT3_P12ihipStream_tbPNSt15iterator_traitsISJ_E10value_typeEPNSP_ISK_E10value_typeEPSL_NS1_7vsmem_tEENKUlT_SJ_SK_SL_E_clISE_PtSF_SF_EESI_SY_SJ_SK_SL_EUlSY_E_NS1_11comp_targetILNS1_3genE10ELNS1_11target_archE1201ELNS1_3gpuE5ELNS1_3repE0EEENS1_48merge_mergepath_partition_config_static_selectorELNS0_4arch9wavefront6targetE0EEEvSK_.num_vgpr, 0
	.set _ZN7rocprim17ROCPRIM_400000_NS6detail17trampoline_kernelINS0_14default_configENS1_38merge_sort_block_merge_config_selectorItNS0_10empty_typeEEEZZNS1_27merge_sort_block_merge_implIS3_N6thrust23THRUST_200600_302600_NS6detail15normal_iteratorINS9_10device_ptrItEEEEPS5_m9comp_mod3ItEEE10hipError_tT0_T1_T2_jT3_P12ihipStream_tbPNSt15iterator_traitsISJ_E10value_typeEPNSP_ISK_E10value_typeEPSL_NS1_7vsmem_tEENKUlT_SJ_SK_SL_E_clISE_PtSF_SF_EESI_SY_SJ_SK_SL_EUlSY_E_NS1_11comp_targetILNS1_3genE10ELNS1_11target_archE1201ELNS1_3gpuE5ELNS1_3repE0EEENS1_48merge_mergepath_partition_config_static_selectorELNS0_4arch9wavefront6targetE0EEEvSK_.num_agpr, 0
	.set _ZN7rocprim17ROCPRIM_400000_NS6detail17trampoline_kernelINS0_14default_configENS1_38merge_sort_block_merge_config_selectorItNS0_10empty_typeEEEZZNS1_27merge_sort_block_merge_implIS3_N6thrust23THRUST_200600_302600_NS6detail15normal_iteratorINS9_10device_ptrItEEEEPS5_m9comp_mod3ItEEE10hipError_tT0_T1_T2_jT3_P12ihipStream_tbPNSt15iterator_traitsISJ_E10value_typeEPNSP_ISK_E10value_typeEPSL_NS1_7vsmem_tEENKUlT_SJ_SK_SL_E_clISE_PtSF_SF_EESI_SY_SJ_SK_SL_EUlSY_E_NS1_11comp_targetILNS1_3genE10ELNS1_11target_archE1201ELNS1_3gpuE5ELNS1_3repE0EEENS1_48merge_mergepath_partition_config_static_selectorELNS0_4arch9wavefront6targetE0EEEvSK_.numbered_sgpr, 0
	.set _ZN7rocprim17ROCPRIM_400000_NS6detail17trampoline_kernelINS0_14default_configENS1_38merge_sort_block_merge_config_selectorItNS0_10empty_typeEEEZZNS1_27merge_sort_block_merge_implIS3_N6thrust23THRUST_200600_302600_NS6detail15normal_iteratorINS9_10device_ptrItEEEEPS5_m9comp_mod3ItEEE10hipError_tT0_T1_T2_jT3_P12ihipStream_tbPNSt15iterator_traitsISJ_E10value_typeEPNSP_ISK_E10value_typeEPSL_NS1_7vsmem_tEENKUlT_SJ_SK_SL_E_clISE_PtSF_SF_EESI_SY_SJ_SK_SL_EUlSY_E_NS1_11comp_targetILNS1_3genE10ELNS1_11target_archE1201ELNS1_3gpuE5ELNS1_3repE0EEENS1_48merge_mergepath_partition_config_static_selectorELNS0_4arch9wavefront6targetE0EEEvSK_.num_named_barrier, 0
	.set _ZN7rocprim17ROCPRIM_400000_NS6detail17trampoline_kernelINS0_14default_configENS1_38merge_sort_block_merge_config_selectorItNS0_10empty_typeEEEZZNS1_27merge_sort_block_merge_implIS3_N6thrust23THRUST_200600_302600_NS6detail15normal_iteratorINS9_10device_ptrItEEEEPS5_m9comp_mod3ItEEE10hipError_tT0_T1_T2_jT3_P12ihipStream_tbPNSt15iterator_traitsISJ_E10value_typeEPNSP_ISK_E10value_typeEPSL_NS1_7vsmem_tEENKUlT_SJ_SK_SL_E_clISE_PtSF_SF_EESI_SY_SJ_SK_SL_EUlSY_E_NS1_11comp_targetILNS1_3genE10ELNS1_11target_archE1201ELNS1_3gpuE5ELNS1_3repE0EEENS1_48merge_mergepath_partition_config_static_selectorELNS0_4arch9wavefront6targetE0EEEvSK_.private_seg_size, 0
	.set _ZN7rocprim17ROCPRIM_400000_NS6detail17trampoline_kernelINS0_14default_configENS1_38merge_sort_block_merge_config_selectorItNS0_10empty_typeEEEZZNS1_27merge_sort_block_merge_implIS3_N6thrust23THRUST_200600_302600_NS6detail15normal_iteratorINS9_10device_ptrItEEEEPS5_m9comp_mod3ItEEE10hipError_tT0_T1_T2_jT3_P12ihipStream_tbPNSt15iterator_traitsISJ_E10value_typeEPNSP_ISK_E10value_typeEPSL_NS1_7vsmem_tEENKUlT_SJ_SK_SL_E_clISE_PtSF_SF_EESI_SY_SJ_SK_SL_EUlSY_E_NS1_11comp_targetILNS1_3genE10ELNS1_11target_archE1201ELNS1_3gpuE5ELNS1_3repE0EEENS1_48merge_mergepath_partition_config_static_selectorELNS0_4arch9wavefront6targetE0EEEvSK_.uses_vcc, 0
	.set _ZN7rocprim17ROCPRIM_400000_NS6detail17trampoline_kernelINS0_14default_configENS1_38merge_sort_block_merge_config_selectorItNS0_10empty_typeEEEZZNS1_27merge_sort_block_merge_implIS3_N6thrust23THRUST_200600_302600_NS6detail15normal_iteratorINS9_10device_ptrItEEEEPS5_m9comp_mod3ItEEE10hipError_tT0_T1_T2_jT3_P12ihipStream_tbPNSt15iterator_traitsISJ_E10value_typeEPNSP_ISK_E10value_typeEPSL_NS1_7vsmem_tEENKUlT_SJ_SK_SL_E_clISE_PtSF_SF_EESI_SY_SJ_SK_SL_EUlSY_E_NS1_11comp_targetILNS1_3genE10ELNS1_11target_archE1201ELNS1_3gpuE5ELNS1_3repE0EEENS1_48merge_mergepath_partition_config_static_selectorELNS0_4arch9wavefront6targetE0EEEvSK_.uses_flat_scratch, 0
	.set _ZN7rocprim17ROCPRIM_400000_NS6detail17trampoline_kernelINS0_14default_configENS1_38merge_sort_block_merge_config_selectorItNS0_10empty_typeEEEZZNS1_27merge_sort_block_merge_implIS3_N6thrust23THRUST_200600_302600_NS6detail15normal_iteratorINS9_10device_ptrItEEEEPS5_m9comp_mod3ItEEE10hipError_tT0_T1_T2_jT3_P12ihipStream_tbPNSt15iterator_traitsISJ_E10value_typeEPNSP_ISK_E10value_typeEPSL_NS1_7vsmem_tEENKUlT_SJ_SK_SL_E_clISE_PtSF_SF_EESI_SY_SJ_SK_SL_EUlSY_E_NS1_11comp_targetILNS1_3genE10ELNS1_11target_archE1201ELNS1_3gpuE5ELNS1_3repE0EEENS1_48merge_mergepath_partition_config_static_selectorELNS0_4arch9wavefront6targetE0EEEvSK_.has_dyn_sized_stack, 0
	.set _ZN7rocprim17ROCPRIM_400000_NS6detail17trampoline_kernelINS0_14default_configENS1_38merge_sort_block_merge_config_selectorItNS0_10empty_typeEEEZZNS1_27merge_sort_block_merge_implIS3_N6thrust23THRUST_200600_302600_NS6detail15normal_iteratorINS9_10device_ptrItEEEEPS5_m9comp_mod3ItEEE10hipError_tT0_T1_T2_jT3_P12ihipStream_tbPNSt15iterator_traitsISJ_E10value_typeEPNSP_ISK_E10value_typeEPSL_NS1_7vsmem_tEENKUlT_SJ_SK_SL_E_clISE_PtSF_SF_EESI_SY_SJ_SK_SL_EUlSY_E_NS1_11comp_targetILNS1_3genE10ELNS1_11target_archE1201ELNS1_3gpuE5ELNS1_3repE0EEENS1_48merge_mergepath_partition_config_static_selectorELNS0_4arch9wavefront6targetE0EEEvSK_.has_recursion, 0
	.set _ZN7rocprim17ROCPRIM_400000_NS6detail17trampoline_kernelINS0_14default_configENS1_38merge_sort_block_merge_config_selectorItNS0_10empty_typeEEEZZNS1_27merge_sort_block_merge_implIS3_N6thrust23THRUST_200600_302600_NS6detail15normal_iteratorINS9_10device_ptrItEEEEPS5_m9comp_mod3ItEEE10hipError_tT0_T1_T2_jT3_P12ihipStream_tbPNSt15iterator_traitsISJ_E10value_typeEPNSP_ISK_E10value_typeEPSL_NS1_7vsmem_tEENKUlT_SJ_SK_SL_E_clISE_PtSF_SF_EESI_SY_SJ_SK_SL_EUlSY_E_NS1_11comp_targetILNS1_3genE10ELNS1_11target_archE1201ELNS1_3gpuE5ELNS1_3repE0EEENS1_48merge_mergepath_partition_config_static_selectorELNS0_4arch9wavefront6targetE0EEEvSK_.has_indirect_call, 0
	.section	.AMDGPU.csdata,"",@progbits
; Kernel info:
; codeLenInByte = 0
; TotalNumSgprs: 0
; NumVgprs: 0
; ScratchSize: 0
; MemoryBound: 0
; FloatMode: 240
; IeeeMode: 1
; LDSByteSize: 0 bytes/workgroup (compile time only)
; SGPRBlocks: 0
; VGPRBlocks: 0
; NumSGPRsForWavesPerEU: 1
; NumVGPRsForWavesPerEU: 1
; Occupancy: 16
; WaveLimiterHint : 0
; COMPUTE_PGM_RSRC2:SCRATCH_EN: 0
; COMPUTE_PGM_RSRC2:USER_SGPR: 6
; COMPUTE_PGM_RSRC2:TRAP_HANDLER: 0
; COMPUTE_PGM_RSRC2:TGID_X_EN: 1
; COMPUTE_PGM_RSRC2:TGID_Y_EN: 0
; COMPUTE_PGM_RSRC2:TGID_Z_EN: 0
; COMPUTE_PGM_RSRC2:TIDIG_COMP_CNT: 0
	.section	.text._ZN7rocprim17ROCPRIM_400000_NS6detail17trampoline_kernelINS0_14default_configENS1_38merge_sort_block_merge_config_selectorItNS0_10empty_typeEEEZZNS1_27merge_sort_block_merge_implIS3_N6thrust23THRUST_200600_302600_NS6detail15normal_iteratorINS9_10device_ptrItEEEEPS5_m9comp_mod3ItEEE10hipError_tT0_T1_T2_jT3_P12ihipStream_tbPNSt15iterator_traitsISJ_E10value_typeEPNSP_ISK_E10value_typeEPSL_NS1_7vsmem_tEENKUlT_SJ_SK_SL_E_clISE_PtSF_SF_EESI_SY_SJ_SK_SL_EUlSY_E_NS1_11comp_targetILNS1_3genE5ELNS1_11target_archE942ELNS1_3gpuE9ELNS1_3repE0EEENS1_48merge_mergepath_partition_config_static_selectorELNS0_4arch9wavefront6targetE0EEEvSK_,"axG",@progbits,_ZN7rocprim17ROCPRIM_400000_NS6detail17trampoline_kernelINS0_14default_configENS1_38merge_sort_block_merge_config_selectorItNS0_10empty_typeEEEZZNS1_27merge_sort_block_merge_implIS3_N6thrust23THRUST_200600_302600_NS6detail15normal_iteratorINS9_10device_ptrItEEEEPS5_m9comp_mod3ItEEE10hipError_tT0_T1_T2_jT3_P12ihipStream_tbPNSt15iterator_traitsISJ_E10value_typeEPNSP_ISK_E10value_typeEPSL_NS1_7vsmem_tEENKUlT_SJ_SK_SL_E_clISE_PtSF_SF_EESI_SY_SJ_SK_SL_EUlSY_E_NS1_11comp_targetILNS1_3genE5ELNS1_11target_archE942ELNS1_3gpuE9ELNS1_3repE0EEENS1_48merge_mergepath_partition_config_static_selectorELNS0_4arch9wavefront6targetE0EEEvSK_,comdat
	.protected	_ZN7rocprim17ROCPRIM_400000_NS6detail17trampoline_kernelINS0_14default_configENS1_38merge_sort_block_merge_config_selectorItNS0_10empty_typeEEEZZNS1_27merge_sort_block_merge_implIS3_N6thrust23THRUST_200600_302600_NS6detail15normal_iteratorINS9_10device_ptrItEEEEPS5_m9comp_mod3ItEEE10hipError_tT0_T1_T2_jT3_P12ihipStream_tbPNSt15iterator_traitsISJ_E10value_typeEPNSP_ISK_E10value_typeEPSL_NS1_7vsmem_tEENKUlT_SJ_SK_SL_E_clISE_PtSF_SF_EESI_SY_SJ_SK_SL_EUlSY_E_NS1_11comp_targetILNS1_3genE5ELNS1_11target_archE942ELNS1_3gpuE9ELNS1_3repE0EEENS1_48merge_mergepath_partition_config_static_selectorELNS0_4arch9wavefront6targetE0EEEvSK_ ; -- Begin function _ZN7rocprim17ROCPRIM_400000_NS6detail17trampoline_kernelINS0_14default_configENS1_38merge_sort_block_merge_config_selectorItNS0_10empty_typeEEEZZNS1_27merge_sort_block_merge_implIS3_N6thrust23THRUST_200600_302600_NS6detail15normal_iteratorINS9_10device_ptrItEEEEPS5_m9comp_mod3ItEEE10hipError_tT0_T1_T2_jT3_P12ihipStream_tbPNSt15iterator_traitsISJ_E10value_typeEPNSP_ISK_E10value_typeEPSL_NS1_7vsmem_tEENKUlT_SJ_SK_SL_E_clISE_PtSF_SF_EESI_SY_SJ_SK_SL_EUlSY_E_NS1_11comp_targetILNS1_3genE5ELNS1_11target_archE942ELNS1_3gpuE9ELNS1_3repE0EEENS1_48merge_mergepath_partition_config_static_selectorELNS0_4arch9wavefront6targetE0EEEvSK_
	.globl	_ZN7rocprim17ROCPRIM_400000_NS6detail17trampoline_kernelINS0_14default_configENS1_38merge_sort_block_merge_config_selectorItNS0_10empty_typeEEEZZNS1_27merge_sort_block_merge_implIS3_N6thrust23THRUST_200600_302600_NS6detail15normal_iteratorINS9_10device_ptrItEEEEPS5_m9comp_mod3ItEEE10hipError_tT0_T1_T2_jT3_P12ihipStream_tbPNSt15iterator_traitsISJ_E10value_typeEPNSP_ISK_E10value_typeEPSL_NS1_7vsmem_tEENKUlT_SJ_SK_SL_E_clISE_PtSF_SF_EESI_SY_SJ_SK_SL_EUlSY_E_NS1_11comp_targetILNS1_3genE5ELNS1_11target_archE942ELNS1_3gpuE9ELNS1_3repE0EEENS1_48merge_mergepath_partition_config_static_selectorELNS0_4arch9wavefront6targetE0EEEvSK_
	.p2align	8
	.type	_ZN7rocprim17ROCPRIM_400000_NS6detail17trampoline_kernelINS0_14default_configENS1_38merge_sort_block_merge_config_selectorItNS0_10empty_typeEEEZZNS1_27merge_sort_block_merge_implIS3_N6thrust23THRUST_200600_302600_NS6detail15normal_iteratorINS9_10device_ptrItEEEEPS5_m9comp_mod3ItEEE10hipError_tT0_T1_T2_jT3_P12ihipStream_tbPNSt15iterator_traitsISJ_E10value_typeEPNSP_ISK_E10value_typeEPSL_NS1_7vsmem_tEENKUlT_SJ_SK_SL_E_clISE_PtSF_SF_EESI_SY_SJ_SK_SL_EUlSY_E_NS1_11comp_targetILNS1_3genE5ELNS1_11target_archE942ELNS1_3gpuE9ELNS1_3repE0EEENS1_48merge_mergepath_partition_config_static_selectorELNS0_4arch9wavefront6targetE0EEEvSK_,@function
_ZN7rocprim17ROCPRIM_400000_NS6detail17trampoline_kernelINS0_14default_configENS1_38merge_sort_block_merge_config_selectorItNS0_10empty_typeEEEZZNS1_27merge_sort_block_merge_implIS3_N6thrust23THRUST_200600_302600_NS6detail15normal_iteratorINS9_10device_ptrItEEEEPS5_m9comp_mod3ItEEE10hipError_tT0_T1_T2_jT3_P12ihipStream_tbPNSt15iterator_traitsISJ_E10value_typeEPNSP_ISK_E10value_typeEPSL_NS1_7vsmem_tEENKUlT_SJ_SK_SL_E_clISE_PtSF_SF_EESI_SY_SJ_SK_SL_EUlSY_E_NS1_11comp_targetILNS1_3genE5ELNS1_11target_archE942ELNS1_3gpuE9ELNS1_3repE0EEENS1_48merge_mergepath_partition_config_static_selectorELNS0_4arch9wavefront6targetE0EEEvSK_: ; @_ZN7rocprim17ROCPRIM_400000_NS6detail17trampoline_kernelINS0_14default_configENS1_38merge_sort_block_merge_config_selectorItNS0_10empty_typeEEEZZNS1_27merge_sort_block_merge_implIS3_N6thrust23THRUST_200600_302600_NS6detail15normal_iteratorINS9_10device_ptrItEEEEPS5_m9comp_mod3ItEEE10hipError_tT0_T1_T2_jT3_P12ihipStream_tbPNSt15iterator_traitsISJ_E10value_typeEPNSP_ISK_E10value_typeEPSL_NS1_7vsmem_tEENKUlT_SJ_SK_SL_E_clISE_PtSF_SF_EESI_SY_SJ_SK_SL_EUlSY_E_NS1_11comp_targetILNS1_3genE5ELNS1_11target_archE942ELNS1_3gpuE9ELNS1_3repE0EEENS1_48merge_mergepath_partition_config_static_selectorELNS0_4arch9wavefront6targetE0EEEvSK_
; %bb.0:
	.section	.rodata,"a",@progbits
	.p2align	6, 0x0
	.amdhsa_kernel _ZN7rocprim17ROCPRIM_400000_NS6detail17trampoline_kernelINS0_14default_configENS1_38merge_sort_block_merge_config_selectorItNS0_10empty_typeEEEZZNS1_27merge_sort_block_merge_implIS3_N6thrust23THRUST_200600_302600_NS6detail15normal_iteratorINS9_10device_ptrItEEEEPS5_m9comp_mod3ItEEE10hipError_tT0_T1_T2_jT3_P12ihipStream_tbPNSt15iterator_traitsISJ_E10value_typeEPNSP_ISK_E10value_typeEPSL_NS1_7vsmem_tEENKUlT_SJ_SK_SL_E_clISE_PtSF_SF_EESI_SY_SJ_SK_SL_EUlSY_E_NS1_11comp_targetILNS1_3genE5ELNS1_11target_archE942ELNS1_3gpuE9ELNS1_3repE0EEENS1_48merge_mergepath_partition_config_static_selectorELNS0_4arch9wavefront6targetE0EEEvSK_
		.amdhsa_group_segment_fixed_size 0
		.amdhsa_private_segment_fixed_size 0
		.amdhsa_kernarg_size 48
		.amdhsa_user_sgpr_count 6
		.amdhsa_user_sgpr_private_segment_buffer 1
		.amdhsa_user_sgpr_dispatch_ptr 0
		.amdhsa_user_sgpr_queue_ptr 0
		.amdhsa_user_sgpr_kernarg_segment_ptr 1
		.amdhsa_user_sgpr_dispatch_id 0
		.amdhsa_user_sgpr_flat_scratch_init 0
		.amdhsa_user_sgpr_private_segment_size 0
		.amdhsa_wavefront_size32 1
		.amdhsa_uses_dynamic_stack 0
		.amdhsa_system_sgpr_private_segment_wavefront_offset 0
		.amdhsa_system_sgpr_workgroup_id_x 1
		.amdhsa_system_sgpr_workgroup_id_y 0
		.amdhsa_system_sgpr_workgroup_id_z 0
		.amdhsa_system_sgpr_workgroup_info 0
		.amdhsa_system_vgpr_workitem_id 0
		.amdhsa_next_free_vgpr 1
		.amdhsa_next_free_sgpr 1
		.amdhsa_reserve_vcc 0
		.amdhsa_reserve_flat_scratch 0
		.amdhsa_float_round_mode_32 0
		.amdhsa_float_round_mode_16_64 0
		.amdhsa_float_denorm_mode_32 3
		.amdhsa_float_denorm_mode_16_64 3
		.amdhsa_dx10_clamp 1
		.amdhsa_ieee_mode 1
		.amdhsa_fp16_overflow 0
		.amdhsa_workgroup_processor_mode 1
		.amdhsa_memory_ordered 1
		.amdhsa_forward_progress 1
		.amdhsa_shared_vgpr_count 0
		.amdhsa_exception_fp_ieee_invalid_op 0
		.amdhsa_exception_fp_denorm_src 0
		.amdhsa_exception_fp_ieee_div_zero 0
		.amdhsa_exception_fp_ieee_overflow 0
		.amdhsa_exception_fp_ieee_underflow 0
		.amdhsa_exception_fp_ieee_inexact 0
		.amdhsa_exception_int_div_zero 0
	.end_amdhsa_kernel
	.section	.text._ZN7rocprim17ROCPRIM_400000_NS6detail17trampoline_kernelINS0_14default_configENS1_38merge_sort_block_merge_config_selectorItNS0_10empty_typeEEEZZNS1_27merge_sort_block_merge_implIS3_N6thrust23THRUST_200600_302600_NS6detail15normal_iteratorINS9_10device_ptrItEEEEPS5_m9comp_mod3ItEEE10hipError_tT0_T1_T2_jT3_P12ihipStream_tbPNSt15iterator_traitsISJ_E10value_typeEPNSP_ISK_E10value_typeEPSL_NS1_7vsmem_tEENKUlT_SJ_SK_SL_E_clISE_PtSF_SF_EESI_SY_SJ_SK_SL_EUlSY_E_NS1_11comp_targetILNS1_3genE5ELNS1_11target_archE942ELNS1_3gpuE9ELNS1_3repE0EEENS1_48merge_mergepath_partition_config_static_selectorELNS0_4arch9wavefront6targetE0EEEvSK_,"axG",@progbits,_ZN7rocprim17ROCPRIM_400000_NS6detail17trampoline_kernelINS0_14default_configENS1_38merge_sort_block_merge_config_selectorItNS0_10empty_typeEEEZZNS1_27merge_sort_block_merge_implIS3_N6thrust23THRUST_200600_302600_NS6detail15normal_iteratorINS9_10device_ptrItEEEEPS5_m9comp_mod3ItEEE10hipError_tT0_T1_T2_jT3_P12ihipStream_tbPNSt15iterator_traitsISJ_E10value_typeEPNSP_ISK_E10value_typeEPSL_NS1_7vsmem_tEENKUlT_SJ_SK_SL_E_clISE_PtSF_SF_EESI_SY_SJ_SK_SL_EUlSY_E_NS1_11comp_targetILNS1_3genE5ELNS1_11target_archE942ELNS1_3gpuE9ELNS1_3repE0EEENS1_48merge_mergepath_partition_config_static_selectorELNS0_4arch9wavefront6targetE0EEEvSK_,comdat
.Lfunc_end900:
	.size	_ZN7rocprim17ROCPRIM_400000_NS6detail17trampoline_kernelINS0_14default_configENS1_38merge_sort_block_merge_config_selectorItNS0_10empty_typeEEEZZNS1_27merge_sort_block_merge_implIS3_N6thrust23THRUST_200600_302600_NS6detail15normal_iteratorINS9_10device_ptrItEEEEPS5_m9comp_mod3ItEEE10hipError_tT0_T1_T2_jT3_P12ihipStream_tbPNSt15iterator_traitsISJ_E10value_typeEPNSP_ISK_E10value_typeEPSL_NS1_7vsmem_tEENKUlT_SJ_SK_SL_E_clISE_PtSF_SF_EESI_SY_SJ_SK_SL_EUlSY_E_NS1_11comp_targetILNS1_3genE5ELNS1_11target_archE942ELNS1_3gpuE9ELNS1_3repE0EEENS1_48merge_mergepath_partition_config_static_selectorELNS0_4arch9wavefront6targetE0EEEvSK_, .Lfunc_end900-_ZN7rocprim17ROCPRIM_400000_NS6detail17trampoline_kernelINS0_14default_configENS1_38merge_sort_block_merge_config_selectorItNS0_10empty_typeEEEZZNS1_27merge_sort_block_merge_implIS3_N6thrust23THRUST_200600_302600_NS6detail15normal_iteratorINS9_10device_ptrItEEEEPS5_m9comp_mod3ItEEE10hipError_tT0_T1_T2_jT3_P12ihipStream_tbPNSt15iterator_traitsISJ_E10value_typeEPNSP_ISK_E10value_typeEPSL_NS1_7vsmem_tEENKUlT_SJ_SK_SL_E_clISE_PtSF_SF_EESI_SY_SJ_SK_SL_EUlSY_E_NS1_11comp_targetILNS1_3genE5ELNS1_11target_archE942ELNS1_3gpuE9ELNS1_3repE0EEENS1_48merge_mergepath_partition_config_static_selectorELNS0_4arch9wavefront6targetE0EEEvSK_
                                        ; -- End function
	.set _ZN7rocprim17ROCPRIM_400000_NS6detail17trampoline_kernelINS0_14default_configENS1_38merge_sort_block_merge_config_selectorItNS0_10empty_typeEEEZZNS1_27merge_sort_block_merge_implIS3_N6thrust23THRUST_200600_302600_NS6detail15normal_iteratorINS9_10device_ptrItEEEEPS5_m9comp_mod3ItEEE10hipError_tT0_T1_T2_jT3_P12ihipStream_tbPNSt15iterator_traitsISJ_E10value_typeEPNSP_ISK_E10value_typeEPSL_NS1_7vsmem_tEENKUlT_SJ_SK_SL_E_clISE_PtSF_SF_EESI_SY_SJ_SK_SL_EUlSY_E_NS1_11comp_targetILNS1_3genE5ELNS1_11target_archE942ELNS1_3gpuE9ELNS1_3repE0EEENS1_48merge_mergepath_partition_config_static_selectorELNS0_4arch9wavefront6targetE0EEEvSK_.num_vgpr, 0
	.set _ZN7rocprim17ROCPRIM_400000_NS6detail17trampoline_kernelINS0_14default_configENS1_38merge_sort_block_merge_config_selectorItNS0_10empty_typeEEEZZNS1_27merge_sort_block_merge_implIS3_N6thrust23THRUST_200600_302600_NS6detail15normal_iteratorINS9_10device_ptrItEEEEPS5_m9comp_mod3ItEEE10hipError_tT0_T1_T2_jT3_P12ihipStream_tbPNSt15iterator_traitsISJ_E10value_typeEPNSP_ISK_E10value_typeEPSL_NS1_7vsmem_tEENKUlT_SJ_SK_SL_E_clISE_PtSF_SF_EESI_SY_SJ_SK_SL_EUlSY_E_NS1_11comp_targetILNS1_3genE5ELNS1_11target_archE942ELNS1_3gpuE9ELNS1_3repE0EEENS1_48merge_mergepath_partition_config_static_selectorELNS0_4arch9wavefront6targetE0EEEvSK_.num_agpr, 0
	.set _ZN7rocprim17ROCPRIM_400000_NS6detail17trampoline_kernelINS0_14default_configENS1_38merge_sort_block_merge_config_selectorItNS0_10empty_typeEEEZZNS1_27merge_sort_block_merge_implIS3_N6thrust23THRUST_200600_302600_NS6detail15normal_iteratorINS9_10device_ptrItEEEEPS5_m9comp_mod3ItEEE10hipError_tT0_T1_T2_jT3_P12ihipStream_tbPNSt15iterator_traitsISJ_E10value_typeEPNSP_ISK_E10value_typeEPSL_NS1_7vsmem_tEENKUlT_SJ_SK_SL_E_clISE_PtSF_SF_EESI_SY_SJ_SK_SL_EUlSY_E_NS1_11comp_targetILNS1_3genE5ELNS1_11target_archE942ELNS1_3gpuE9ELNS1_3repE0EEENS1_48merge_mergepath_partition_config_static_selectorELNS0_4arch9wavefront6targetE0EEEvSK_.numbered_sgpr, 0
	.set _ZN7rocprim17ROCPRIM_400000_NS6detail17trampoline_kernelINS0_14default_configENS1_38merge_sort_block_merge_config_selectorItNS0_10empty_typeEEEZZNS1_27merge_sort_block_merge_implIS3_N6thrust23THRUST_200600_302600_NS6detail15normal_iteratorINS9_10device_ptrItEEEEPS5_m9comp_mod3ItEEE10hipError_tT0_T1_T2_jT3_P12ihipStream_tbPNSt15iterator_traitsISJ_E10value_typeEPNSP_ISK_E10value_typeEPSL_NS1_7vsmem_tEENKUlT_SJ_SK_SL_E_clISE_PtSF_SF_EESI_SY_SJ_SK_SL_EUlSY_E_NS1_11comp_targetILNS1_3genE5ELNS1_11target_archE942ELNS1_3gpuE9ELNS1_3repE0EEENS1_48merge_mergepath_partition_config_static_selectorELNS0_4arch9wavefront6targetE0EEEvSK_.num_named_barrier, 0
	.set _ZN7rocprim17ROCPRIM_400000_NS6detail17trampoline_kernelINS0_14default_configENS1_38merge_sort_block_merge_config_selectorItNS0_10empty_typeEEEZZNS1_27merge_sort_block_merge_implIS3_N6thrust23THRUST_200600_302600_NS6detail15normal_iteratorINS9_10device_ptrItEEEEPS5_m9comp_mod3ItEEE10hipError_tT0_T1_T2_jT3_P12ihipStream_tbPNSt15iterator_traitsISJ_E10value_typeEPNSP_ISK_E10value_typeEPSL_NS1_7vsmem_tEENKUlT_SJ_SK_SL_E_clISE_PtSF_SF_EESI_SY_SJ_SK_SL_EUlSY_E_NS1_11comp_targetILNS1_3genE5ELNS1_11target_archE942ELNS1_3gpuE9ELNS1_3repE0EEENS1_48merge_mergepath_partition_config_static_selectorELNS0_4arch9wavefront6targetE0EEEvSK_.private_seg_size, 0
	.set _ZN7rocprim17ROCPRIM_400000_NS6detail17trampoline_kernelINS0_14default_configENS1_38merge_sort_block_merge_config_selectorItNS0_10empty_typeEEEZZNS1_27merge_sort_block_merge_implIS3_N6thrust23THRUST_200600_302600_NS6detail15normal_iteratorINS9_10device_ptrItEEEEPS5_m9comp_mod3ItEEE10hipError_tT0_T1_T2_jT3_P12ihipStream_tbPNSt15iterator_traitsISJ_E10value_typeEPNSP_ISK_E10value_typeEPSL_NS1_7vsmem_tEENKUlT_SJ_SK_SL_E_clISE_PtSF_SF_EESI_SY_SJ_SK_SL_EUlSY_E_NS1_11comp_targetILNS1_3genE5ELNS1_11target_archE942ELNS1_3gpuE9ELNS1_3repE0EEENS1_48merge_mergepath_partition_config_static_selectorELNS0_4arch9wavefront6targetE0EEEvSK_.uses_vcc, 0
	.set _ZN7rocprim17ROCPRIM_400000_NS6detail17trampoline_kernelINS0_14default_configENS1_38merge_sort_block_merge_config_selectorItNS0_10empty_typeEEEZZNS1_27merge_sort_block_merge_implIS3_N6thrust23THRUST_200600_302600_NS6detail15normal_iteratorINS9_10device_ptrItEEEEPS5_m9comp_mod3ItEEE10hipError_tT0_T1_T2_jT3_P12ihipStream_tbPNSt15iterator_traitsISJ_E10value_typeEPNSP_ISK_E10value_typeEPSL_NS1_7vsmem_tEENKUlT_SJ_SK_SL_E_clISE_PtSF_SF_EESI_SY_SJ_SK_SL_EUlSY_E_NS1_11comp_targetILNS1_3genE5ELNS1_11target_archE942ELNS1_3gpuE9ELNS1_3repE0EEENS1_48merge_mergepath_partition_config_static_selectorELNS0_4arch9wavefront6targetE0EEEvSK_.uses_flat_scratch, 0
	.set _ZN7rocprim17ROCPRIM_400000_NS6detail17trampoline_kernelINS0_14default_configENS1_38merge_sort_block_merge_config_selectorItNS0_10empty_typeEEEZZNS1_27merge_sort_block_merge_implIS3_N6thrust23THRUST_200600_302600_NS6detail15normal_iteratorINS9_10device_ptrItEEEEPS5_m9comp_mod3ItEEE10hipError_tT0_T1_T2_jT3_P12ihipStream_tbPNSt15iterator_traitsISJ_E10value_typeEPNSP_ISK_E10value_typeEPSL_NS1_7vsmem_tEENKUlT_SJ_SK_SL_E_clISE_PtSF_SF_EESI_SY_SJ_SK_SL_EUlSY_E_NS1_11comp_targetILNS1_3genE5ELNS1_11target_archE942ELNS1_3gpuE9ELNS1_3repE0EEENS1_48merge_mergepath_partition_config_static_selectorELNS0_4arch9wavefront6targetE0EEEvSK_.has_dyn_sized_stack, 0
	.set _ZN7rocprim17ROCPRIM_400000_NS6detail17trampoline_kernelINS0_14default_configENS1_38merge_sort_block_merge_config_selectorItNS0_10empty_typeEEEZZNS1_27merge_sort_block_merge_implIS3_N6thrust23THRUST_200600_302600_NS6detail15normal_iteratorINS9_10device_ptrItEEEEPS5_m9comp_mod3ItEEE10hipError_tT0_T1_T2_jT3_P12ihipStream_tbPNSt15iterator_traitsISJ_E10value_typeEPNSP_ISK_E10value_typeEPSL_NS1_7vsmem_tEENKUlT_SJ_SK_SL_E_clISE_PtSF_SF_EESI_SY_SJ_SK_SL_EUlSY_E_NS1_11comp_targetILNS1_3genE5ELNS1_11target_archE942ELNS1_3gpuE9ELNS1_3repE0EEENS1_48merge_mergepath_partition_config_static_selectorELNS0_4arch9wavefront6targetE0EEEvSK_.has_recursion, 0
	.set _ZN7rocprim17ROCPRIM_400000_NS6detail17trampoline_kernelINS0_14default_configENS1_38merge_sort_block_merge_config_selectorItNS0_10empty_typeEEEZZNS1_27merge_sort_block_merge_implIS3_N6thrust23THRUST_200600_302600_NS6detail15normal_iteratorINS9_10device_ptrItEEEEPS5_m9comp_mod3ItEEE10hipError_tT0_T1_T2_jT3_P12ihipStream_tbPNSt15iterator_traitsISJ_E10value_typeEPNSP_ISK_E10value_typeEPSL_NS1_7vsmem_tEENKUlT_SJ_SK_SL_E_clISE_PtSF_SF_EESI_SY_SJ_SK_SL_EUlSY_E_NS1_11comp_targetILNS1_3genE5ELNS1_11target_archE942ELNS1_3gpuE9ELNS1_3repE0EEENS1_48merge_mergepath_partition_config_static_selectorELNS0_4arch9wavefront6targetE0EEEvSK_.has_indirect_call, 0
	.section	.AMDGPU.csdata,"",@progbits
; Kernel info:
; codeLenInByte = 0
; TotalNumSgprs: 0
; NumVgprs: 0
; ScratchSize: 0
; MemoryBound: 0
; FloatMode: 240
; IeeeMode: 1
; LDSByteSize: 0 bytes/workgroup (compile time only)
; SGPRBlocks: 0
; VGPRBlocks: 0
; NumSGPRsForWavesPerEU: 1
; NumVGPRsForWavesPerEU: 1
; Occupancy: 16
; WaveLimiterHint : 0
; COMPUTE_PGM_RSRC2:SCRATCH_EN: 0
; COMPUTE_PGM_RSRC2:USER_SGPR: 6
; COMPUTE_PGM_RSRC2:TRAP_HANDLER: 0
; COMPUTE_PGM_RSRC2:TGID_X_EN: 1
; COMPUTE_PGM_RSRC2:TGID_Y_EN: 0
; COMPUTE_PGM_RSRC2:TGID_Z_EN: 0
; COMPUTE_PGM_RSRC2:TIDIG_COMP_CNT: 0
	.section	.text._ZN7rocprim17ROCPRIM_400000_NS6detail17trampoline_kernelINS0_14default_configENS1_38merge_sort_block_merge_config_selectorItNS0_10empty_typeEEEZZNS1_27merge_sort_block_merge_implIS3_N6thrust23THRUST_200600_302600_NS6detail15normal_iteratorINS9_10device_ptrItEEEEPS5_m9comp_mod3ItEEE10hipError_tT0_T1_T2_jT3_P12ihipStream_tbPNSt15iterator_traitsISJ_E10value_typeEPNSP_ISK_E10value_typeEPSL_NS1_7vsmem_tEENKUlT_SJ_SK_SL_E_clISE_PtSF_SF_EESI_SY_SJ_SK_SL_EUlSY_E_NS1_11comp_targetILNS1_3genE4ELNS1_11target_archE910ELNS1_3gpuE8ELNS1_3repE0EEENS1_48merge_mergepath_partition_config_static_selectorELNS0_4arch9wavefront6targetE0EEEvSK_,"axG",@progbits,_ZN7rocprim17ROCPRIM_400000_NS6detail17trampoline_kernelINS0_14default_configENS1_38merge_sort_block_merge_config_selectorItNS0_10empty_typeEEEZZNS1_27merge_sort_block_merge_implIS3_N6thrust23THRUST_200600_302600_NS6detail15normal_iteratorINS9_10device_ptrItEEEEPS5_m9comp_mod3ItEEE10hipError_tT0_T1_T2_jT3_P12ihipStream_tbPNSt15iterator_traitsISJ_E10value_typeEPNSP_ISK_E10value_typeEPSL_NS1_7vsmem_tEENKUlT_SJ_SK_SL_E_clISE_PtSF_SF_EESI_SY_SJ_SK_SL_EUlSY_E_NS1_11comp_targetILNS1_3genE4ELNS1_11target_archE910ELNS1_3gpuE8ELNS1_3repE0EEENS1_48merge_mergepath_partition_config_static_selectorELNS0_4arch9wavefront6targetE0EEEvSK_,comdat
	.protected	_ZN7rocprim17ROCPRIM_400000_NS6detail17trampoline_kernelINS0_14default_configENS1_38merge_sort_block_merge_config_selectorItNS0_10empty_typeEEEZZNS1_27merge_sort_block_merge_implIS3_N6thrust23THRUST_200600_302600_NS6detail15normal_iteratorINS9_10device_ptrItEEEEPS5_m9comp_mod3ItEEE10hipError_tT0_T1_T2_jT3_P12ihipStream_tbPNSt15iterator_traitsISJ_E10value_typeEPNSP_ISK_E10value_typeEPSL_NS1_7vsmem_tEENKUlT_SJ_SK_SL_E_clISE_PtSF_SF_EESI_SY_SJ_SK_SL_EUlSY_E_NS1_11comp_targetILNS1_3genE4ELNS1_11target_archE910ELNS1_3gpuE8ELNS1_3repE0EEENS1_48merge_mergepath_partition_config_static_selectorELNS0_4arch9wavefront6targetE0EEEvSK_ ; -- Begin function _ZN7rocprim17ROCPRIM_400000_NS6detail17trampoline_kernelINS0_14default_configENS1_38merge_sort_block_merge_config_selectorItNS0_10empty_typeEEEZZNS1_27merge_sort_block_merge_implIS3_N6thrust23THRUST_200600_302600_NS6detail15normal_iteratorINS9_10device_ptrItEEEEPS5_m9comp_mod3ItEEE10hipError_tT0_T1_T2_jT3_P12ihipStream_tbPNSt15iterator_traitsISJ_E10value_typeEPNSP_ISK_E10value_typeEPSL_NS1_7vsmem_tEENKUlT_SJ_SK_SL_E_clISE_PtSF_SF_EESI_SY_SJ_SK_SL_EUlSY_E_NS1_11comp_targetILNS1_3genE4ELNS1_11target_archE910ELNS1_3gpuE8ELNS1_3repE0EEENS1_48merge_mergepath_partition_config_static_selectorELNS0_4arch9wavefront6targetE0EEEvSK_
	.globl	_ZN7rocprim17ROCPRIM_400000_NS6detail17trampoline_kernelINS0_14default_configENS1_38merge_sort_block_merge_config_selectorItNS0_10empty_typeEEEZZNS1_27merge_sort_block_merge_implIS3_N6thrust23THRUST_200600_302600_NS6detail15normal_iteratorINS9_10device_ptrItEEEEPS5_m9comp_mod3ItEEE10hipError_tT0_T1_T2_jT3_P12ihipStream_tbPNSt15iterator_traitsISJ_E10value_typeEPNSP_ISK_E10value_typeEPSL_NS1_7vsmem_tEENKUlT_SJ_SK_SL_E_clISE_PtSF_SF_EESI_SY_SJ_SK_SL_EUlSY_E_NS1_11comp_targetILNS1_3genE4ELNS1_11target_archE910ELNS1_3gpuE8ELNS1_3repE0EEENS1_48merge_mergepath_partition_config_static_selectorELNS0_4arch9wavefront6targetE0EEEvSK_
	.p2align	8
	.type	_ZN7rocprim17ROCPRIM_400000_NS6detail17trampoline_kernelINS0_14default_configENS1_38merge_sort_block_merge_config_selectorItNS0_10empty_typeEEEZZNS1_27merge_sort_block_merge_implIS3_N6thrust23THRUST_200600_302600_NS6detail15normal_iteratorINS9_10device_ptrItEEEEPS5_m9comp_mod3ItEEE10hipError_tT0_T1_T2_jT3_P12ihipStream_tbPNSt15iterator_traitsISJ_E10value_typeEPNSP_ISK_E10value_typeEPSL_NS1_7vsmem_tEENKUlT_SJ_SK_SL_E_clISE_PtSF_SF_EESI_SY_SJ_SK_SL_EUlSY_E_NS1_11comp_targetILNS1_3genE4ELNS1_11target_archE910ELNS1_3gpuE8ELNS1_3repE0EEENS1_48merge_mergepath_partition_config_static_selectorELNS0_4arch9wavefront6targetE0EEEvSK_,@function
_ZN7rocprim17ROCPRIM_400000_NS6detail17trampoline_kernelINS0_14default_configENS1_38merge_sort_block_merge_config_selectorItNS0_10empty_typeEEEZZNS1_27merge_sort_block_merge_implIS3_N6thrust23THRUST_200600_302600_NS6detail15normal_iteratorINS9_10device_ptrItEEEEPS5_m9comp_mod3ItEEE10hipError_tT0_T1_T2_jT3_P12ihipStream_tbPNSt15iterator_traitsISJ_E10value_typeEPNSP_ISK_E10value_typeEPSL_NS1_7vsmem_tEENKUlT_SJ_SK_SL_E_clISE_PtSF_SF_EESI_SY_SJ_SK_SL_EUlSY_E_NS1_11comp_targetILNS1_3genE4ELNS1_11target_archE910ELNS1_3gpuE8ELNS1_3repE0EEENS1_48merge_mergepath_partition_config_static_selectorELNS0_4arch9wavefront6targetE0EEEvSK_: ; @_ZN7rocprim17ROCPRIM_400000_NS6detail17trampoline_kernelINS0_14default_configENS1_38merge_sort_block_merge_config_selectorItNS0_10empty_typeEEEZZNS1_27merge_sort_block_merge_implIS3_N6thrust23THRUST_200600_302600_NS6detail15normal_iteratorINS9_10device_ptrItEEEEPS5_m9comp_mod3ItEEE10hipError_tT0_T1_T2_jT3_P12ihipStream_tbPNSt15iterator_traitsISJ_E10value_typeEPNSP_ISK_E10value_typeEPSL_NS1_7vsmem_tEENKUlT_SJ_SK_SL_E_clISE_PtSF_SF_EESI_SY_SJ_SK_SL_EUlSY_E_NS1_11comp_targetILNS1_3genE4ELNS1_11target_archE910ELNS1_3gpuE8ELNS1_3repE0EEENS1_48merge_mergepath_partition_config_static_selectorELNS0_4arch9wavefront6targetE0EEEvSK_
; %bb.0:
	.section	.rodata,"a",@progbits
	.p2align	6, 0x0
	.amdhsa_kernel _ZN7rocprim17ROCPRIM_400000_NS6detail17trampoline_kernelINS0_14default_configENS1_38merge_sort_block_merge_config_selectorItNS0_10empty_typeEEEZZNS1_27merge_sort_block_merge_implIS3_N6thrust23THRUST_200600_302600_NS6detail15normal_iteratorINS9_10device_ptrItEEEEPS5_m9comp_mod3ItEEE10hipError_tT0_T1_T2_jT3_P12ihipStream_tbPNSt15iterator_traitsISJ_E10value_typeEPNSP_ISK_E10value_typeEPSL_NS1_7vsmem_tEENKUlT_SJ_SK_SL_E_clISE_PtSF_SF_EESI_SY_SJ_SK_SL_EUlSY_E_NS1_11comp_targetILNS1_3genE4ELNS1_11target_archE910ELNS1_3gpuE8ELNS1_3repE0EEENS1_48merge_mergepath_partition_config_static_selectorELNS0_4arch9wavefront6targetE0EEEvSK_
		.amdhsa_group_segment_fixed_size 0
		.amdhsa_private_segment_fixed_size 0
		.amdhsa_kernarg_size 48
		.amdhsa_user_sgpr_count 6
		.amdhsa_user_sgpr_private_segment_buffer 1
		.amdhsa_user_sgpr_dispatch_ptr 0
		.amdhsa_user_sgpr_queue_ptr 0
		.amdhsa_user_sgpr_kernarg_segment_ptr 1
		.amdhsa_user_sgpr_dispatch_id 0
		.amdhsa_user_sgpr_flat_scratch_init 0
		.amdhsa_user_sgpr_private_segment_size 0
		.amdhsa_wavefront_size32 1
		.amdhsa_uses_dynamic_stack 0
		.amdhsa_system_sgpr_private_segment_wavefront_offset 0
		.amdhsa_system_sgpr_workgroup_id_x 1
		.amdhsa_system_sgpr_workgroup_id_y 0
		.amdhsa_system_sgpr_workgroup_id_z 0
		.amdhsa_system_sgpr_workgroup_info 0
		.amdhsa_system_vgpr_workitem_id 0
		.amdhsa_next_free_vgpr 1
		.amdhsa_next_free_sgpr 1
		.amdhsa_reserve_vcc 0
		.amdhsa_reserve_flat_scratch 0
		.amdhsa_float_round_mode_32 0
		.amdhsa_float_round_mode_16_64 0
		.amdhsa_float_denorm_mode_32 3
		.amdhsa_float_denorm_mode_16_64 3
		.amdhsa_dx10_clamp 1
		.amdhsa_ieee_mode 1
		.amdhsa_fp16_overflow 0
		.amdhsa_workgroup_processor_mode 1
		.amdhsa_memory_ordered 1
		.amdhsa_forward_progress 1
		.amdhsa_shared_vgpr_count 0
		.amdhsa_exception_fp_ieee_invalid_op 0
		.amdhsa_exception_fp_denorm_src 0
		.amdhsa_exception_fp_ieee_div_zero 0
		.amdhsa_exception_fp_ieee_overflow 0
		.amdhsa_exception_fp_ieee_underflow 0
		.amdhsa_exception_fp_ieee_inexact 0
		.amdhsa_exception_int_div_zero 0
	.end_amdhsa_kernel
	.section	.text._ZN7rocprim17ROCPRIM_400000_NS6detail17trampoline_kernelINS0_14default_configENS1_38merge_sort_block_merge_config_selectorItNS0_10empty_typeEEEZZNS1_27merge_sort_block_merge_implIS3_N6thrust23THRUST_200600_302600_NS6detail15normal_iteratorINS9_10device_ptrItEEEEPS5_m9comp_mod3ItEEE10hipError_tT0_T1_T2_jT3_P12ihipStream_tbPNSt15iterator_traitsISJ_E10value_typeEPNSP_ISK_E10value_typeEPSL_NS1_7vsmem_tEENKUlT_SJ_SK_SL_E_clISE_PtSF_SF_EESI_SY_SJ_SK_SL_EUlSY_E_NS1_11comp_targetILNS1_3genE4ELNS1_11target_archE910ELNS1_3gpuE8ELNS1_3repE0EEENS1_48merge_mergepath_partition_config_static_selectorELNS0_4arch9wavefront6targetE0EEEvSK_,"axG",@progbits,_ZN7rocprim17ROCPRIM_400000_NS6detail17trampoline_kernelINS0_14default_configENS1_38merge_sort_block_merge_config_selectorItNS0_10empty_typeEEEZZNS1_27merge_sort_block_merge_implIS3_N6thrust23THRUST_200600_302600_NS6detail15normal_iteratorINS9_10device_ptrItEEEEPS5_m9comp_mod3ItEEE10hipError_tT0_T1_T2_jT3_P12ihipStream_tbPNSt15iterator_traitsISJ_E10value_typeEPNSP_ISK_E10value_typeEPSL_NS1_7vsmem_tEENKUlT_SJ_SK_SL_E_clISE_PtSF_SF_EESI_SY_SJ_SK_SL_EUlSY_E_NS1_11comp_targetILNS1_3genE4ELNS1_11target_archE910ELNS1_3gpuE8ELNS1_3repE0EEENS1_48merge_mergepath_partition_config_static_selectorELNS0_4arch9wavefront6targetE0EEEvSK_,comdat
.Lfunc_end901:
	.size	_ZN7rocprim17ROCPRIM_400000_NS6detail17trampoline_kernelINS0_14default_configENS1_38merge_sort_block_merge_config_selectorItNS0_10empty_typeEEEZZNS1_27merge_sort_block_merge_implIS3_N6thrust23THRUST_200600_302600_NS6detail15normal_iteratorINS9_10device_ptrItEEEEPS5_m9comp_mod3ItEEE10hipError_tT0_T1_T2_jT3_P12ihipStream_tbPNSt15iterator_traitsISJ_E10value_typeEPNSP_ISK_E10value_typeEPSL_NS1_7vsmem_tEENKUlT_SJ_SK_SL_E_clISE_PtSF_SF_EESI_SY_SJ_SK_SL_EUlSY_E_NS1_11comp_targetILNS1_3genE4ELNS1_11target_archE910ELNS1_3gpuE8ELNS1_3repE0EEENS1_48merge_mergepath_partition_config_static_selectorELNS0_4arch9wavefront6targetE0EEEvSK_, .Lfunc_end901-_ZN7rocprim17ROCPRIM_400000_NS6detail17trampoline_kernelINS0_14default_configENS1_38merge_sort_block_merge_config_selectorItNS0_10empty_typeEEEZZNS1_27merge_sort_block_merge_implIS3_N6thrust23THRUST_200600_302600_NS6detail15normal_iteratorINS9_10device_ptrItEEEEPS5_m9comp_mod3ItEEE10hipError_tT0_T1_T2_jT3_P12ihipStream_tbPNSt15iterator_traitsISJ_E10value_typeEPNSP_ISK_E10value_typeEPSL_NS1_7vsmem_tEENKUlT_SJ_SK_SL_E_clISE_PtSF_SF_EESI_SY_SJ_SK_SL_EUlSY_E_NS1_11comp_targetILNS1_3genE4ELNS1_11target_archE910ELNS1_3gpuE8ELNS1_3repE0EEENS1_48merge_mergepath_partition_config_static_selectorELNS0_4arch9wavefront6targetE0EEEvSK_
                                        ; -- End function
	.set _ZN7rocprim17ROCPRIM_400000_NS6detail17trampoline_kernelINS0_14default_configENS1_38merge_sort_block_merge_config_selectorItNS0_10empty_typeEEEZZNS1_27merge_sort_block_merge_implIS3_N6thrust23THRUST_200600_302600_NS6detail15normal_iteratorINS9_10device_ptrItEEEEPS5_m9comp_mod3ItEEE10hipError_tT0_T1_T2_jT3_P12ihipStream_tbPNSt15iterator_traitsISJ_E10value_typeEPNSP_ISK_E10value_typeEPSL_NS1_7vsmem_tEENKUlT_SJ_SK_SL_E_clISE_PtSF_SF_EESI_SY_SJ_SK_SL_EUlSY_E_NS1_11comp_targetILNS1_3genE4ELNS1_11target_archE910ELNS1_3gpuE8ELNS1_3repE0EEENS1_48merge_mergepath_partition_config_static_selectorELNS0_4arch9wavefront6targetE0EEEvSK_.num_vgpr, 0
	.set _ZN7rocprim17ROCPRIM_400000_NS6detail17trampoline_kernelINS0_14default_configENS1_38merge_sort_block_merge_config_selectorItNS0_10empty_typeEEEZZNS1_27merge_sort_block_merge_implIS3_N6thrust23THRUST_200600_302600_NS6detail15normal_iteratorINS9_10device_ptrItEEEEPS5_m9comp_mod3ItEEE10hipError_tT0_T1_T2_jT3_P12ihipStream_tbPNSt15iterator_traitsISJ_E10value_typeEPNSP_ISK_E10value_typeEPSL_NS1_7vsmem_tEENKUlT_SJ_SK_SL_E_clISE_PtSF_SF_EESI_SY_SJ_SK_SL_EUlSY_E_NS1_11comp_targetILNS1_3genE4ELNS1_11target_archE910ELNS1_3gpuE8ELNS1_3repE0EEENS1_48merge_mergepath_partition_config_static_selectorELNS0_4arch9wavefront6targetE0EEEvSK_.num_agpr, 0
	.set _ZN7rocprim17ROCPRIM_400000_NS6detail17trampoline_kernelINS0_14default_configENS1_38merge_sort_block_merge_config_selectorItNS0_10empty_typeEEEZZNS1_27merge_sort_block_merge_implIS3_N6thrust23THRUST_200600_302600_NS6detail15normal_iteratorINS9_10device_ptrItEEEEPS5_m9comp_mod3ItEEE10hipError_tT0_T1_T2_jT3_P12ihipStream_tbPNSt15iterator_traitsISJ_E10value_typeEPNSP_ISK_E10value_typeEPSL_NS1_7vsmem_tEENKUlT_SJ_SK_SL_E_clISE_PtSF_SF_EESI_SY_SJ_SK_SL_EUlSY_E_NS1_11comp_targetILNS1_3genE4ELNS1_11target_archE910ELNS1_3gpuE8ELNS1_3repE0EEENS1_48merge_mergepath_partition_config_static_selectorELNS0_4arch9wavefront6targetE0EEEvSK_.numbered_sgpr, 0
	.set _ZN7rocprim17ROCPRIM_400000_NS6detail17trampoline_kernelINS0_14default_configENS1_38merge_sort_block_merge_config_selectorItNS0_10empty_typeEEEZZNS1_27merge_sort_block_merge_implIS3_N6thrust23THRUST_200600_302600_NS6detail15normal_iteratorINS9_10device_ptrItEEEEPS5_m9comp_mod3ItEEE10hipError_tT0_T1_T2_jT3_P12ihipStream_tbPNSt15iterator_traitsISJ_E10value_typeEPNSP_ISK_E10value_typeEPSL_NS1_7vsmem_tEENKUlT_SJ_SK_SL_E_clISE_PtSF_SF_EESI_SY_SJ_SK_SL_EUlSY_E_NS1_11comp_targetILNS1_3genE4ELNS1_11target_archE910ELNS1_3gpuE8ELNS1_3repE0EEENS1_48merge_mergepath_partition_config_static_selectorELNS0_4arch9wavefront6targetE0EEEvSK_.num_named_barrier, 0
	.set _ZN7rocprim17ROCPRIM_400000_NS6detail17trampoline_kernelINS0_14default_configENS1_38merge_sort_block_merge_config_selectorItNS0_10empty_typeEEEZZNS1_27merge_sort_block_merge_implIS3_N6thrust23THRUST_200600_302600_NS6detail15normal_iteratorINS9_10device_ptrItEEEEPS5_m9comp_mod3ItEEE10hipError_tT0_T1_T2_jT3_P12ihipStream_tbPNSt15iterator_traitsISJ_E10value_typeEPNSP_ISK_E10value_typeEPSL_NS1_7vsmem_tEENKUlT_SJ_SK_SL_E_clISE_PtSF_SF_EESI_SY_SJ_SK_SL_EUlSY_E_NS1_11comp_targetILNS1_3genE4ELNS1_11target_archE910ELNS1_3gpuE8ELNS1_3repE0EEENS1_48merge_mergepath_partition_config_static_selectorELNS0_4arch9wavefront6targetE0EEEvSK_.private_seg_size, 0
	.set _ZN7rocprim17ROCPRIM_400000_NS6detail17trampoline_kernelINS0_14default_configENS1_38merge_sort_block_merge_config_selectorItNS0_10empty_typeEEEZZNS1_27merge_sort_block_merge_implIS3_N6thrust23THRUST_200600_302600_NS6detail15normal_iteratorINS9_10device_ptrItEEEEPS5_m9comp_mod3ItEEE10hipError_tT0_T1_T2_jT3_P12ihipStream_tbPNSt15iterator_traitsISJ_E10value_typeEPNSP_ISK_E10value_typeEPSL_NS1_7vsmem_tEENKUlT_SJ_SK_SL_E_clISE_PtSF_SF_EESI_SY_SJ_SK_SL_EUlSY_E_NS1_11comp_targetILNS1_3genE4ELNS1_11target_archE910ELNS1_3gpuE8ELNS1_3repE0EEENS1_48merge_mergepath_partition_config_static_selectorELNS0_4arch9wavefront6targetE0EEEvSK_.uses_vcc, 0
	.set _ZN7rocprim17ROCPRIM_400000_NS6detail17trampoline_kernelINS0_14default_configENS1_38merge_sort_block_merge_config_selectorItNS0_10empty_typeEEEZZNS1_27merge_sort_block_merge_implIS3_N6thrust23THRUST_200600_302600_NS6detail15normal_iteratorINS9_10device_ptrItEEEEPS5_m9comp_mod3ItEEE10hipError_tT0_T1_T2_jT3_P12ihipStream_tbPNSt15iterator_traitsISJ_E10value_typeEPNSP_ISK_E10value_typeEPSL_NS1_7vsmem_tEENKUlT_SJ_SK_SL_E_clISE_PtSF_SF_EESI_SY_SJ_SK_SL_EUlSY_E_NS1_11comp_targetILNS1_3genE4ELNS1_11target_archE910ELNS1_3gpuE8ELNS1_3repE0EEENS1_48merge_mergepath_partition_config_static_selectorELNS0_4arch9wavefront6targetE0EEEvSK_.uses_flat_scratch, 0
	.set _ZN7rocprim17ROCPRIM_400000_NS6detail17trampoline_kernelINS0_14default_configENS1_38merge_sort_block_merge_config_selectorItNS0_10empty_typeEEEZZNS1_27merge_sort_block_merge_implIS3_N6thrust23THRUST_200600_302600_NS6detail15normal_iteratorINS9_10device_ptrItEEEEPS5_m9comp_mod3ItEEE10hipError_tT0_T1_T2_jT3_P12ihipStream_tbPNSt15iterator_traitsISJ_E10value_typeEPNSP_ISK_E10value_typeEPSL_NS1_7vsmem_tEENKUlT_SJ_SK_SL_E_clISE_PtSF_SF_EESI_SY_SJ_SK_SL_EUlSY_E_NS1_11comp_targetILNS1_3genE4ELNS1_11target_archE910ELNS1_3gpuE8ELNS1_3repE0EEENS1_48merge_mergepath_partition_config_static_selectorELNS0_4arch9wavefront6targetE0EEEvSK_.has_dyn_sized_stack, 0
	.set _ZN7rocprim17ROCPRIM_400000_NS6detail17trampoline_kernelINS0_14default_configENS1_38merge_sort_block_merge_config_selectorItNS0_10empty_typeEEEZZNS1_27merge_sort_block_merge_implIS3_N6thrust23THRUST_200600_302600_NS6detail15normal_iteratorINS9_10device_ptrItEEEEPS5_m9comp_mod3ItEEE10hipError_tT0_T1_T2_jT3_P12ihipStream_tbPNSt15iterator_traitsISJ_E10value_typeEPNSP_ISK_E10value_typeEPSL_NS1_7vsmem_tEENKUlT_SJ_SK_SL_E_clISE_PtSF_SF_EESI_SY_SJ_SK_SL_EUlSY_E_NS1_11comp_targetILNS1_3genE4ELNS1_11target_archE910ELNS1_3gpuE8ELNS1_3repE0EEENS1_48merge_mergepath_partition_config_static_selectorELNS0_4arch9wavefront6targetE0EEEvSK_.has_recursion, 0
	.set _ZN7rocprim17ROCPRIM_400000_NS6detail17trampoline_kernelINS0_14default_configENS1_38merge_sort_block_merge_config_selectorItNS0_10empty_typeEEEZZNS1_27merge_sort_block_merge_implIS3_N6thrust23THRUST_200600_302600_NS6detail15normal_iteratorINS9_10device_ptrItEEEEPS5_m9comp_mod3ItEEE10hipError_tT0_T1_T2_jT3_P12ihipStream_tbPNSt15iterator_traitsISJ_E10value_typeEPNSP_ISK_E10value_typeEPSL_NS1_7vsmem_tEENKUlT_SJ_SK_SL_E_clISE_PtSF_SF_EESI_SY_SJ_SK_SL_EUlSY_E_NS1_11comp_targetILNS1_3genE4ELNS1_11target_archE910ELNS1_3gpuE8ELNS1_3repE0EEENS1_48merge_mergepath_partition_config_static_selectorELNS0_4arch9wavefront6targetE0EEEvSK_.has_indirect_call, 0
	.section	.AMDGPU.csdata,"",@progbits
; Kernel info:
; codeLenInByte = 0
; TotalNumSgprs: 0
; NumVgprs: 0
; ScratchSize: 0
; MemoryBound: 0
; FloatMode: 240
; IeeeMode: 1
; LDSByteSize: 0 bytes/workgroup (compile time only)
; SGPRBlocks: 0
; VGPRBlocks: 0
; NumSGPRsForWavesPerEU: 1
; NumVGPRsForWavesPerEU: 1
; Occupancy: 16
; WaveLimiterHint : 0
; COMPUTE_PGM_RSRC2:SCRATCH_EN: 0
; COMPUTE_PGM_RSRC2:USER_SGPR: 6
; COMPUTE_PGM_RSRC2:TRAP_HANDLER: 0
; COMPUTE_PGM_RSRC2:TGID_X_EN: 1
; COMPUTE_PGM_RSRC2:TGID_Y_EN: 0
; COMPUTE_PGM_RSRC2:TGID_Z_EN: 0
; COMPUTE_PGM_RSRC2:TIDIG_COMP_CNT: 0
	.section	.text._ZN7rocprim17ROCPRIM_400000_NS6detail17trampoline_kernelINS0_14default_configENS1_38merge_sort_block_merge_config_selectorItNS0_10empty_typeEEEZZNS1_27merge_sort_block_merge_implIS3_N6thrust23THRUST_200600_302600_NS6detail15normal_iteratorINS9_10device_ptrItEEEEPS5_m9comp_mod3ItEEE10hipError_tT0_T1_T2_jT3_P12ihipStream_tbPNSt15iterator_traitsISJ_E10value_typeEPNSP_ISK_E10value_typeEPSL_NS1_7vsmem_tEENKUlT_SJ_SK_SL_E_clISE_PtSF_SF_EESI_SY_SJ_SK_SL_EUlSY_E_NS1_11comp_targetILNS1_3genE3ELNS1_11target_archE908ELNS1_3gpuE7ELNS1_3repE0EEENS1_48merge_mergepath_partition_config_static_selectorELNS0_4arch9wavefront6targetE0EEEvSK_,"axG",@progbits,_ZN7rocprim17ROCPRIM_400000_NS6detail17trampoline_kernelINS0_14default_configENS1_38merge_sort_block_merge_config_selectorItNS0_10empty_typeEEEZZNS1_27merge_sort_block_merge_implIS3_N6thrust23THRUST_200600_302600_NS6detail15normal_iteratorINS9_10device_ptrItEEEEPS5_m9comp_mod3ItEEE10hipError_tT0_T1_T2_jT3_P12ihipStream_tbPNSt15iterator_traitsISJ_E10value_typeEPNSP_ISK_E10value_typeEPSL_NS1_7vsmem_tEENKUlT_SJ_SK_SL_E_clISE_PtSF_SF_EESI_SY_SJ_SK_SL_EUlSY_E_NS1_11comp_targetILNS1_3genE3ELNS1_11target_archE908ELNS1_3gpuE7ELNS1_3repE0EEENS1_48merge_mergepath_partition_config_static_selectorELNS0_4arch9wavefront6targetE0EEEvSK_,comdat
	.protected	_ZN7rocprim17ROCPRIM_400000_NS6detail17trampoline_kernelINS0_14default_configENS1_38merge_sort_block_merge_config_selectorItNS0_10empty_typeEEEZZNS1_27merge_sort_block_merge_implIS3_N6thrust23THRUST_200600_302600_NS6detail15normal_iteratorINS9_10device_ptrItEEEEPS5_m9comp_mod3ItEEE10hipError_tT0_T1_T2_jT3_P12ihipStream_tbPNSt15iterator_traitsISJ_E10value_typeEPNSP_ISK_E10value_typeEPSL_NS1_7vsmem_tEENKUlT_SJ_SK_SL_E_clISE_PtSF_SF_EESI_SY_SJ_SK_SL_EUlSY_E_NS1_11comp_targetILNS1_3genE3ELNS1_11target_archE908ELNS1_3gpuE7ELNS1_3repE0EEENS1_48merge_mergepath_partition_config_static_selectorELNS0_4arch9wavefront6targetE0EEEvSK_ ; -- Begin function _ZN7rocprim17ROCPRIM_400000_NS6detail17trampoline_kernelINS0_14default_configENS1_38merge_sort_block_merge_config_selectorItNS0_10empty_typeEEEZZNS1_27merge_sort_block_merge_implIS3_N6thrust23THRUST_200600_302600_NS6detail15normal_iteratorINS9_10device_ptrItEEEEPS5_m9comp_mod3ItEEE10hipError_tT0_T1_T2_jT3_P12ihipStream_tbPNSt15iterator_traitsISJ_E10value_typeEPNSP_ISK_E10value_typeEPSL_NS1_7vsmem_tEENKUlT_SJ_SK_SL_E_clISE_PtSF_SF_EESI_SY_SJ_SK_SL_EUlSY_E_NS1_11comp_targetILNS1_3genE3ELNS1_11target_archE908ELNS1_3gpuE7ELNS1_3repE0EEENS1_48merge_mergepath_partition_config_static_selectorELNS0_4arch9wavefront6targetE0EEEvSK_
	.globl	_ZN7rocprim17ROCPRIM_400000_NS6detail17trampoline_kernelINS0_14default_configENS1_38merge_sort_block_merge_config_selectorItNS0_10empty_typeEEEZZNS1_27merge_sort_block_merge_implIS3_N6thrust23THRUST_200600_302600_NS6detail15normal_iteratorINS9_10device_ptrItEEEEPS5_m9comp_mod3ItEEE10hipError_tT0_T1_T2_jT3_P12ihipStream_tbPNSt15iterator_traitsISJ_E10value_typeEPNSP_ISK_E10value_typeEPSL_NS1_7vsmem_tEENKUlT_SJ_SK_SL_E_clISE_PtSF_SF_EESI_SY_SJ_SK_SL_EUlSY_E_NS1_11comp_targetILNS1_3genE3ELNS1_11target_archE908ELNS1_3gpuE7ELNS1_3repE0EEENS1_48merge_mergepath_partition_config_static_selectorELNS0_4arch9wavefront6targetE0EEEvSK_
	.p2align	8
	.type	_ZN7rocprim17ROCPRIM_400000_NS6detail17trampoline_kernelINS0_14default_configENS1_38merge_sort_block_merge_config_selectorItNS0_10empty_typeEEEZZNS1_27merge_sort_block_merge_implIS3_N6thrust23THRUST_200600_302600_NS6detail15normal_iteratorINS9_10device_ptrItEEEEPS5_m9comp_mod3ItEEE10hipError_tT0_T1_T2_jT3_P12ihipStream_tbPNSt15iterator_traitsISJ_E10value_typeEPNSP_ISK_E10value_typeEPSL_NS1_7vsmem_tEENKUlT_SJ_SK_SL_E_clISE_PtSF_SF_EESI_SY_SJ_SK_SL_EUlSY_E_NS1_11comp_targetILNS1_3genE3ELNS1_11target_archE908ELNS1_3gpuE7ELNS1_3repE0EEENS1_48merge_mergepath_partition_config_static_selectorELNS0_4arch9wavefront6targetE0EEEvSK_,@function
_ZN7rocprim17ROCPRIM_400000_NS6detail17trampoline_kernelINS0_14default_configENS1_38merge_sort_block_merge_config_selectorItNS0_10empty_typeEEEZZNS1_27merge_sort_block_merge_implIS3_N6thrust23THRUST_200600_302600_NS6detail15normal_iteratorINS9_10device_ptrItEEEEPS5_m9comp_mod3ItEEE10hipError_tT0_T1_T2_jT3_P12ihipStream_tbPNSt15iterator_traitsISJ_E10value_typeEPNSP_ISK_E10value_typeEPSL_NS1_7vsmem_tEENKUlT_SJ_SK_SL_E_clISE_PtSF_SF_EESI_SY_SJ_SK_SL_EUlSY_E_NS1_11comp_targetILNS1_3genE3ELNS1_11target_archE908ELNS1_3gpuE7ELNS1_3repE0EEENS1_48merge_mergepath_partition_config_static_selectorELNS0_4arch9wavefront6targetE0EEEvSK_: ; @_ZN7rocprim17ROCPRIM_400000_NS6detail17trampoline_kernelINS0_14default_configENS1_38merge_sort_block_merge_config_selectorItNS0_10empty_typeEEEZZNS1_27merge_sort_block_merge_implIS3_N6thrust23THRUST_200600_302600_NS6detail15normal_iteratorINS9_10device_ptrItEEEEPS5_m9comp_mod3ItEEE10hipError_tT0_T1_T2_jT3_P12ihipStream_tbPNSt15iterator_traitsISJ_E10value_typeEPNSP_ISK_E10value_typeEPSL_NS1_7vsmem_tEENKUlT_SJ_SK_SL_E_clISE_PtSF_SF_EESI_SY_SJ_SK_SL_EUlSY_E_NS1_11comp_targetILNS1_3genE3ELNS1_11target_archE908ELNS1_3gpuE7ELNS1_3repE0EEENS1_48merge_mergepath_partition_config_static_selectorELNS0_4arch9wavefront6targetE0EEEvSK_
; %bb.0:
	.section	.rodata,"a",@progbits
	.p2align	6, 0x0
	.amdhsa_kernel _ZN7rocprim17ROCPRIM_400000_NS6detail17trampoline_kernelINS0_14default_configENS1_38merge_sort_block_merge_config_selectorItNS0_10empty_typeEEEZZNS1_27merge_sort_block_merge_implIS3_N6thrust23THRUST_200600_302600_NS6detail15normal_iteratorINS9_10device_ptrItEEEEPS5_m9comp_mod3ItEEE10hipError_tT0_T1_T2_jT3_P12ihipStream_tbPNSt15iterator_traitsISJ_E10value_typeEPNSP_ISK_E10value_typeEPSL_NS1_7vsmem_tEENKUlT_SJ_SK_SL_E_clISE_PtSF_SF_EESI_SY_SJ_SK_SL_EUlSY_E_NS1_11comp_targetILNS1_3genE3ELNS1_11target_archE908ELNS1_3gpuE7ELNS1_3repE0EEENS1_48merge_mergepath_partition_config_static_selectorELNS0_4arch9wavefront6targetE0EEEvSK_
		.amdhsa_group_segment_fixed_size 0
		.amdhsa_private_segment_fixed_size 0
		.amdhsa_kernarg_size 48
		.amdhsa_user_sgpr_count 6
		.amdhsa_user_sgpr_private_segment_buffer 1
		.amdhsa_user_sgpr_dispatch_ptr 0
		.amdhsa_user_sgpr_queue_ptr 0
		.amdhsa_user_sgpr_kernarg_segment_ptr 1
		.amdhsa_user_sgpr_dispatch_id 0
		.amdhsa_user_sgpr_flat_scratch_init 0
		.amdhsa_user_sgpr_private_segment_size 0
		.amdhsa_wavefront_size32 1
		.amdhsa_uses_dynamic_stack 0
		.amdhsa_system_sgpr_private_segment_wavefront_offset 0
		.amdhsa_system_sgpr_workgroup_id_x 1
		.amdhsa_system_sgpr_workgroup_id_y 0
		.amdhsa_system_sgpr_workgroup_id_z 0
		.amdhsa_system_sgpr_workgroup_info 0
		.amdhsa_system_vgpr_workitem_id 0
		.amdhsa_next_free_vgpr 1
		.amdhsa_next_free_sgpr 1
		.amdhsa_reserve_vcc 0
		.amdhsa_reserve_flat_scratch 0
		.amdhsa_float_round_mode_32 0
		.amdhsa_float_round_mode_16_64 0
		.amdhsa_float_denorm_mode_32 3
		.amdhsa_float_denorm_mode_16_64 3
		.amdhsa_dx10_clamp 1
		.amdhsa_ieee_mode 1
		.amdhsa_fp16_overflow 0
		.amdhsa_workgroup_processor_mode 1
		.amdhsa_memory_ordered 1
		.amdhsa_forward_progress 1
		.amdhsa_shared_vgpr_count 0
		.amdhsa_exception_fp_ieee_invalid_op 0
		.amdhsa_exception_fp_denorm_src 0
		.amdhsa_exception_fp_ieee_div_zero 0
		.amdhsa_exception_fp_ieee_overflow 0
		.amdhsa_exception_fp_ieee_underflow 0
		.amdhsa_exception_fp_ieee_inexact 0
		.amdhsa_exception_int_div_zero 0
	.end_amdhsa_kernel
	.section	.text._ZN7rocprim17ROCPRIM_400000_NS6detail17trampoline_kernelINS0_14default_configENS1_38merge_sort_block_merge_config_selectorItNS0_10empty_typeEEEZZNS1_27merge_sort_block_merge_implIS3_N6thrust23THRUST_200600_302600_NS6detail15normal_iteratorINS9_10device_ptrItEEEEPS5_m9comp_mod3ItEEE10hipError_tT0_T1_T2_jT3_P12ihipStream_tbPNSt15iterator_traitsISJ_E10value_typeEPNSP_ISK_E10value_typeEPSL_NS1_7vsmem_tEENKUlT_SJ_SK_SL_E_clISE_PtSF_SF_EESI_SY_SJ_SK_SL_EUlSY_E_NS1_11comp_targetILNS1_3genE3ELNS1_11target_archE908ELNS1_3gpuE7ELNS1_3repE0EEENS1_48merge_mergepath_partition_config_static_selectorELNS0_4arch9wavefront6targetE0EEEvSK_,"axG",@progbits,_ZN7rocprim17ROCPRIM_400000_NS6detail17trampoline_kernelINS0_14default_configENS1_38merge_sort_block_merge_config_selectorItNS0_10empty_typeEEEZZNS1_27merge_sort_block_merge_implIS3_N6thrust23THRUST_200600_302600_NS6detail15normal_iteratorINS9_10device_ptrItEEEEPS5_m9comp_mod3ItEEE10hipError_tT0_T1_T2_jT3_P12ihipStream_tbPNSt15iterator_traitsISJ_E10value_typeEPNSP_ISK_E10value_typeEPSL_NS1_7vsmem_tEENKUlT_SJ_SK_SL_E_clISE_PtSF_SF_EESI_SY_SJ_SK_SL_EUlSY_E_NS1_11comp_targetILNS1_3genE3ELNS1_11target_archE908ELNS1_3gpuE7ELNS1_3repE0EEENS1_48merge_mergepath_partition_config_static_selectorELNS0_4arch9wavefront6targetE0EEEvSK_,comdat
.Lfunc_end902:
	.size	_ZN7rocprim17ROCPRIM_400000_NS6detail17trampoline_kernelINS0_14default_configENS1_38merge_sort_block_merge_config_selectorItNS0_10empty_typeEEEZZNS1_27merge_sort_block_merge_implIS3_N6thrust23THRUST_200600_302600_NS6detail15normal_iteratorINS9_10device_ptrItEEEEPS5_m9comp_mod3ItEEE10hipError_tT0_T1_T2_jT3_P12ihipStream_tbPNSt15iterator_traitsISJ_E10value_typeEPNSP_ISK_E10value_typeEPSL_NS1_7vsmem_tEENKUlT_SJ_SK_SL_E_clISE_PtSF_SF_EESI_SY_SJ_SK_SL_EUlSY_E_NS1_11comp_targetILNS1_3genE3ELNS1_11target_archE908ELNS1_3gpuE7ELNS1_3repE0EEENS1_48merge_mergepath_partition_config_static_selectorELNS0_4arch9wavefront6targetE0EEEvSK_, .Lfunc_end902-_ZN7rocprim17ROCPRIM_400000_NS6detail17trampoline_kernelINS0_14default_configENS1_38merge_sort_block_merge_config_selectorItNS0_10empty_typeEEEZZNS1_27merge_sort_block_merge_implIS3_N6thrust23THRUST_200600_302600_NS6detail15normal_iteratorINS9_10device_ptrItEEEEPS5_m9comp_mod3ItEEE10hipError_tT0_T1_T2_jT3_P12ihipStream_tbPNSt15iterator_traitsISJ_E10value_typeEPNSP_ISK_E10value_typeEPSL_NS1_7vsmem_tEENKUlT_SJ_SK_SL_E_clISE_PtSF_SF_EESI_SY_SJ_SK_SL_EUlSY_E_NS1_11comp_targetILNS1_3genE3ELNS1_11target_archE908ELNS1_3gpuE7ELNS1_3repE0EEENS1_48merge_mergepath_partition_config_static_selectorELNS0_4arch9wavefront6targetE0EEEvSK_
                                        ; -- End function
	.set _ZN7rocprim17ROCPRIM_400000_NS6detail17trampoline_kernelINS0_14default_configENS1_38merge_sort_block_merge_config_selectorItNS0_10empty_typeEEEZZNS1_27merge_sort_block_merge_implIS3_N6thrust23THRUST_200600_302600_NS6detail15normal_iteratorINS9_10device_ptrItEEEEPS5_m9comp_mod3ItEEE10hipError_tT0_T1_T2_jT3_P12ihipStream_tbPNSt15iterator_traitsISJ_E10value_typeEPNSP_ISK_E10value_typeEPSL_NS1_7vsmem_tEENKUlT_SJ_SK_SL_E_clISE_PtSF_SF_EESI_SY_SJ_SK_SL_EUlSY_E_NS1_11comp_targetILNS1_3genE3ELNS1_11target_archE908ELNS1_3gpuE7ELNS1_3repE0EEENS1_48merge_mergepath_partition_config_static_selectorELNS0_4arch9wavefront6targetE0EEEvSK_.num_vgpr, 0
	.set _ZN7rocprim17ROCPRIM_400000_NS6detail17trampoline_kernelINS0_14default_configENS1_38merge_sort_block_merge_config_selectorItNS0_10empty_typeEEEZZNS1_27merge_sort_block_merge_implIS3_N6thrust23THRUST_200600_302600_NS6detail15normal_iteratorINS9_10device_ptrItEEEEPS5_m9comp_mod3ItEEE10hipError_tT0_T1_T2_jT3_P12ihipStream_tbPNSt15iterator_traitsISJ_E10value_typeEPNSP_ISK_E10value_typeEPSL_NS1_7vsmem_tEENKUlT_SJ_SK_SL_E_clISE_PtSF_SF_EESI_SY_SJ_SK_SL_EUlSY_E_NS1_11comp_targetILNS1_3genE3ELNS1_11target_archE908ELNS1_3gpuE7ELNS1_3repE0EEENS1_48merge_mergepath_partition_config_static_selectorELNS0_4arch9wavefront6targetE0EEEvSK_.num_agpr, 0
	.set _ZN7rocprim17ROCPRIM_400000_NS6detail17trampoline_kernelINS0_14default_configENS1_38merge_sort_block_merge_config_selectorItNS0_10empty_typeEEEZZNS1_27merge_sort_block_merge_implIS3_N6thrust23THRUST_200600_302600_NS6detail15normal_iteratorINS9_10device_ptrItEEEEPS5_m9comp_mod3ItEEE10hipError_tT0_T1_T2_jT3_P12ihipStream_tbPNSt15iterator_traitsISJ_E10value_typeEPNSP_ISK_E10value_typeEPSL_NS1_7vsmem_tEENKUlT_SJ_SK_SL_E_clISE_PtSF_SF_EESI_SY_SJ_SK_SL_EUlSY_E_NS1_11comp_targetILNS1_3genE3ELNS1_11target_archE908ELNS1_3gpuE7ELNS1_3repE0EEENS1_48merge_mergepath_partition_config_static_selectorELNS0_4arch9wavefront6targetE0EEEvSK_.numbered_sgpr, 0
	.set _ZN7rocprim17ROCPRIM_400000_NS6detail17trampoline_kernelINS0_14default_configENS1_38merge_sort_block_merge_config_selectorItNS0_10empty_typeEEEZZNS1_27merge_sort_block_merge_implIS3_N6thrust23THRUST_200600_302600_NS6detail15normal_iteratorINS9_10device_ptrItEEEEPS5_m9comp_mod3ItEEE10hipError_tT0_T1_T2_jT3_P12ihipStream_tbPNSt15iterator_traitsISJ_E10value_typeEPNSP_ISK_E10value_typeEPSL_NS1_7vsmem_tEENKUlT_SJ_SK_SL_E_clISE_PtSF_SF_EESI_SY_SJ_SK_SL_EUlSY_E_NS1_11comp_targetILNS1_3genE3ELNS1_11target_archE908ELNS1_3gpuE7ELNS1_3repE0EEENS1_48merge_mergepath_partition_config_static_selectorELNS0_4arch9wavefront6targetE0EEEvSK_.num_named_barrier, 0
	.set _ZN7rocprim17ROCPRIM_400000_NS6detail17trampoline_kernelINS0_14default_configENS1_38merge_sort_block_merge_config_selectorItNS0_10empty_typeEEEZZNS1_27merge_sort_block_merge_implIS3_N6thrust23THRUST_200600_302600_NS6detail15normal_iteratorINS9_10device_ptrItEEEEPS5_m9comp_mod3ItEEE10hipError_tT0_T1_T2_jT3_P12ihipStream_tbPNSt15iterator_traitsISJ_E10value_typeEPNSP_ISK_E10value_typeEPSL_NS1_7vsmem_tEENKUlT_SJ_SK_SL_E_clISE_PtSF_SF_EESI_SY_SJ_SK_SL_EUlSY_E_NS1_11comp_targetILNS1_3genE3ELNS1_11target_archE908ELNS1_3gpuE7ELNS1_3repE0EEENS1_48merge_mergepath_partition_config_static_selectorELNS0_4arch9wavefront6targetE0EEEvSK_.private_seg_size, 0
	.set _ZN7rocprim17ROCPRIM_400000_NS6detail17trampoline_kernelINS0_14default_configENS1_38merge_sort_block_merge_config_selectorItNS0_10empty_typeEEEZZNS1_27merge_sort_block_merge_implIS3_N6thrust23THRUST_200600_302600_NS6detail15normal_iteratorINS9_10device_ptrItEEEEPS5_m9comp_mod3ItEEE10hipError_tT0_T1_T2_jT3_P12ihipStream_tbPNSt15iterator_traitsISJ_E10value_typeEPNSP_ISK_E10value_typeEPSL_NS1_7vsmem_tEENKUlT_SJ_SK_SL_E_clISE_PtSF_SF_EESI_SY_SJ_SK_SL_EUlSY_E_NS1_11comp_targetILNS1_3genE3ELNS1_11target_archE908ELNS1_3gpuE7ELNS1_3repE0EEENS1_48merge_mergepath_partition_config_static_selectorELNS0_4arch9wavefront6targetE0EEEvSK_.uses_vcc, 0
	.set _ZN7rocprim17ROCPRIM_400000_NS6detail17trampoline_kernelINS0_14default_configENS1_38merge_sort_block_merge_config_selectorItNS0_10empty_typeEEEZZNS1_27merge_sort_block_merge_implIS3_N6thrust23THRUST_200600_302600_NS6detail15normal_iteratorINS9_10device_ptrItEEEEPS5_m9comp_mod3ItEEE10hipError_tT0_T1_T2_jT3_P12ihipStream_tbPNSt15iterator_traitsISJ_E10value_typeEPNSP_ISK_E10value_typeEPSL_NS1_7vsmem_tEENKUlT_SJ_SK_SL_E_clISE_PtSF_SF_EESI_SY_SJ_SK_SL_EUlSY_E_NS1_11comp_targetILNS1_3genE3ELNS1_11target_archE908ELNS1_3gpuE7ELNS1_3repE0EEENS1_48merge_mergepath_partition_config_static_selectorELNS0_4arch9wavefront6targetE0EEEvSK_.uses_flat_scratch, 0
	.set _ZN7rocprim17ROCPRIM_400000_NS6detail17trampoline_kernelINS0_14default_configENS1_38merge_sort_block_merge_config_selectorItNS0_10empty_typeEEEZZNS1_27merge_sort_block_merge_implIS3_N6thrust23THRUST_200600_302600_NS6detail15normal_iteratorINS9_10device_ptrItEEEEPS5_m9comp_mod3ItEEE10hipError_tT0_T1_T2_jT3_P12ihipStream_tbPNSt15iterator_traitsISJ_E10value_typeEPNSP_ISK_E10value_typeEPSL_NS1_7vsmem_tEENKUlT_SJ_SK_SL_E_clISE_PtSF_SF_EESI_SY_SJ_SK_SL_EUlSY_E_NS1_11comp_targetILNS1_3genE3ELNS1_11target_archE908ELNS1_3gpuE7ELNS1_3repE0EEENS1_48merge_mergepath_partition_config_static_selectorELNS0_4arch9wavefront6targetE0EEEvSK_.has_dyn_sized_stack, 0
	.set _ZN7rocprim17ROCPRIM_400000_NS6detail17trampoline_kernelINS0_14default_configENS1_38merge_sort_block_merge_config_selectorItNS0_10empty_typeEEEZZNS1_27merge_sort_block_merge_implIS3_N6thrust23THRUST_200600_302600_NS6detail15normal_iteratorINS9_10device_ptrItEEEEPS5_m9comp_mod3ItEEE10hipError_tT0_T1_T2_jT3_P12ihipStream_tbPNSt15iterator_traitsISJ_E10value_typeEPNSP_ISK_E10value_typeEPSL_NS1_7vsmem_tEENKUlT_SJ_SK_SL_E_clISE_PtSF_SF_EESI_SY_SJ_SK_SL_EUlSY_E_NS1_11comp_targetILNS1_3genE3ELNS1_11target_archE908ELNS1_3gpuE7ELNS1_3repE0EEENS1_48merge_mergepath_partition_config_static_selectorELNS0_4arch9wavefront6targetE0EEEvSK_.has_recursion, 0
	.set _ZN7rocprim17ROCPRIM_400000_NS6detail17trampoline_kernelINS0_14default_configENS1_38merge_sort_block_merge_config_selectorItNS0_10empty_typeEEEZZNS1_27merge_sort_block_merge_implIS3_N6thrust23THRUST_200600_302600_NS6detail15normal_iteratorINS9_10device_ptrItEEEEPS5_m9comp_mod3ItEEE10hipError_tT0_T1_T2_jT3_P12ihipStream_tbPNSt15iterator_traitsISJ_E10value_typeEPNSP_ISK_E10value_typeEPSL_NS1_7vsmem_tEENKUlT_SJ_SK_SL_E_clISE_PtSF_SF_EESI_SY_SJ_SK_SL_EUlSY_E_NS1_11comp_targetILNS1_3genE3ELNS1_11target_archE908ELNS1_3gpuE7ELNS1_3repE0EEENS1_48merge_mergepath_partition_config_static_selectorELNS0_4arch9wavefront6targetE0EEEvSK_.has_indirect_call, 0
	.section	.AMDGPU.csdata,"",@progbits
; Kernel info:
; codeLenInByte = 0
; TotalNumSgprs: 0
; NumVgprs: 0
; ScratchSize: 0
; MemoryBound: 0
; FloatMode: 240
; IeeeMode: 1
; LDSByteSize: 0 bytes/workgroup (compile time only)
; SGPRBlocks: 0
; VGPRBlocks: 0
; NumSGPRsForWavesPerEU: 1
; NumVGPRsForWavesPerEU: 1
; Occupancy: 16
; WaveLimiterHint : 0
; COMPUTE_PGM_RSRC2:SCRATCH_EN: 0
; COMPUTE_PGM_RSRC2:USER_SGPR: 6
; COMPUTE_PGM_RSRC2:TRAP_HANDLER: 0
; COMPUTE_PGM_RSRC2:TGID_X_EN: 1
; COMPUTE_PGM_RSRC2:TGID_Y_EN: 0
; COMPUTE_PGM_RSRC2:TGID_Z_EN: 0
; COMPUTE_PGM_RSRC2:TIDIG_COMP_CNT: 0
	.section	.text._ZN7rocprim17ROCPRIM_400000_NS6detail17trampoline_kernelINS0_14default_configENS1_38merge_sort_block_merge_config_selectorItNS0_10empty_typeEEEZZNS1_27merge_sort_block_merge_implIS3_N6thrust23THRUST_200600_302600_NS6detail15normal_iteratorINS9_10device_ptrItEEEEPS5_m9comp_mod3ItEEE10hipError_tT0_T1_T2_jT3_P12ihipStream_tbPNSt15iterator_traitsISJ_E10value_typeEPNSP_ISK_E10value_typeEPSL_NS1_7vsmem_tEENKUlT_SJ_SK_SL_E_clISE_PtSF_SF_EESI_SY_SJ_SK_SL_EUlSY_E_NS1_11comp_targetILNS1_3genE2ELNS1_11target_archE906ELNS1_3gpuE6ELNS1_3repE0EEENS1_48merge_mergepath_partition_config_static_selectorELNS0_4arch9wavefront6targetE0EEEvSK_,"axG",@progbits,_ZN7rocprim17ROCPRIM_400000_NS6detail17trampoline_kernelINS0_14default_configENS1_38merge_sort_block_merge_config_selectorItNS0_10empty_typeEEEZZNS1_27merge_sort_block_merge_implIS3_N6thrust23THRUST_200600_302600_NS6detail15normal_iteratorINS9_10device_ptrItEEEEPS5_m9comp_mod3ItEEE10hipError_tT0_T1_T2_jT3_P12ihipStream_tbPNSt15iterator_traitsISJ_E10value_typeEPNSP_ISK_E10value_typeEPSL_NS1_7vsmem_tEENKUlT_SJ_SK_SL_E_clISE_PtSF_SF_EESI_SY_SJ_SK_SL_EUlSY_E_NS1_11comp_targetILNS1_3genE2ELNS1_11target_archE906ELNS1_3gpuE6ELNS1_3repE0EEENS1_48merge_mergepath_partition_config_static_selectorELNS0_4arch9wavefront6targetE0EEEvSK_,comdat
	.protected	_ZN7rocprim17ROCPRIM_400000_NS6detail17trampoline_kernelINS0_14default_configENS1_38merge_sort_block_merge_config_selectorItNS0_10empty_typeEEEZZNS1_27merge_sort_block_merge_implIS3_N6thrust23THRUST_200600_302600_NS6detail15normal_iteratorINS9_10device_ptrItEEEEPS5_m9comp_mod3ItEEE10hipError_tT0_T1_T2_jT3_P12ihipStream_tbPNSt15iterator_traitsISJ_E10value_typeEPNSP_ISK_E10value_typeEPSL_NS1_7vsmem_tEENKUlT_SJ_SK_SL_E_clISE_PtSF_SF_EESI_SY_SJ_SK_SL_EUlSY_E_NS1_11comp_targetILNS1_3genE2ELNS1_11target_archE906ELNS1_3gpuE6ELNS1_3repE0EEENS1_48merge_mergepath_partition_config_static_selectorELNS0_4arch9wavefront6targetE0EEEvSK_ ; -- Begin function _ZN7rocprim17ROCPRIM_400000_NS6detail17trampoline_kernelINS0_14default_configENS1_38merge_sort_block_merge_config_selectorItNS0_10empty_typeEEEZZNS1_27merge_sort_block_merge_implIS3_N6thrust23THRUST_200600_302600_NS6detail15normal_iteratorINS9_10device_ptrItEEEEPS5_m9comp_mod3ItEEE10hipError_tT0_T1_T2_jT3_P12ihipStream_tbPNSt15iterator_traitsISJ_E10value_typeEPNSP_ISK_E10value_typeEPSL_NS1_7vsmem_tEENKUlT_SJ_SK_SL_E_clISE_PtSF_SF_EESI_SY_SJ_SK_SL_EUlSY_E_NS1_11comp_targetILNS1_3genE2ELNS1_11target_archE906ELNS1_3gpuE6ELNS1_3repE0EEENS1_48merge_mergepath_partition_config_static_selectorELNS0_4arch9wavefront6targetE0EEEvSK_
	.globl	_ZN7rocprim17ROCPRIM_400000_NS6detail17trampoline_kernelINS0_14default_configENS1_38merge_sort_block_merge_config_selectorItNS0_10empty_typeEEEZZNS1_27merge_sort_block_merge_implIS3_N6thrust23THRUST_200600_302600_NS6detail15normal_iteratorINS9_10device_ptrItEEEEPS5_m9comp_mod3ItEEE10hipError_tT0_T1_T2_jT3_P12ihipStream_tbPNSt15iterator_traitsISJ_E10value_typeEPNSP_ISK_E10value_typeEPSL_NS1_7vsmem_tEENKUlT_SJ_SK_SL_E_clISE_PtSF_SF_EESI_SY_SJ_SK_SL_EUlSY_E_NS1_11comp_targetILNS1_3genE2ELNS1_11target_archE906ELNS1_3gpuE6ELNS1_3repE0EEENS1_48merge_mergepath_partition_config_static_selectorELNS0_4arch9wavefront6targetE0EEEvSK_
	.p2align	8
	.type	_ZN7rocprim17ROCPRIM_400000_NS6detail17trampoline_kernelINS0_14default_configENS1_38merge_sort_block_merge_config_selectorItNS0_10empty_typeEEEZZNS1_27merge_sort_block_merge_implIS3_N6thrust23THRUST_200600_302600_NS6detail15normal_iteratorINS9_10device_ptrItEEEEPS5_m9comp_mod3ItEEE10hipError_tT0_T1_T2_jT3_P12ihipStream_tbPNSt15iterator_traitsISJ_E10value_typeEPNSP_ISK_E10value_typeEPSL_NS1_7vsmem_tEENKUlT_SJ_SK_SL_E_clISE_PtSF_SF_EESI_SY_SJ_SK_SL_EUlSY_E_NS1_11comp_targetILNS1_3genE2ELNS1_11target_archE906ELNS1_3gpuE6ELNS1_3repE0EEENS1_48merge_mergepath_partition_config_static_selectorELNS0_4arch9wavefront6targetE0EEEvSK_,@function
_ZN7rocprim17ROCPRIM_400000_NS6detail17trampoline_kernelINS0_14default_configENS1_38merge_sort_block_merge_config_selectorItNS0_10empty_typeEEEZZNS1_27merge_sort_block_merge_implIS3_N6thrust23THRUST_200600_302600_NS6detail15normal_iteratorINS9_10device_ptrItEEEEPS5_m9comp_mod3ItEEE10hipError_tT0_T1_T2_jT3_P12ihipStream_tbPNSt15iterator_traitsISJ_E10value_typeEPNSP_ISK_E10value_typeEPSL_NS1_7vsmem_tEENKUlT_SJ_SK_SL_E_clISE_PtSF_SF_EESI_SY_SJ_SK_SL_EUlSY_E_NS1_11comp_targetILNS1_3genE2ELNS1_11target_archE906ELNS1_3gpuE6ELNS1_3repE0EEENS1_48merge_mergepath_partition_config_static_selectorELNS0_4arch9wavefront6targetE0EEEvSK_: ; @_ZN7rocprim17ROCPRIM_400000_NS6detail17trampoline_kernelINS0_14default_configENS1_38merge_sort_block_merge_config_selectorItNS0_10empty_typeEEEZZNS1_27merge_sort_block_merge_implIS3_N6thrust23THRUST_200600_302600_NS6detail15normal_iteratorINS9_10device_ptrItEEEEPS5_m9comp_mod3ItEEE10hipError_tT0_T1_T2_jT3_P12ihipStream_tbPNSt15iterator_traitsISJ_E10value_typeEPNSP_ISK_E10value_typeEPSL_NS1_7vsmem_tEENKUlT_SJ_SK_SL_E_clISE_PtSF_SF_EESI_SY_SJ_SK_SL_EUlSY_E_NS1_11comp_targetILNS1_3genE2ELNS1_11target_archE906ELNS1_3gpuE6ELNS1_3repE0EEENS1_48merge_mergepath_partition_config_static_selectorELNS0_4arch9wavefront6targetE0EEEvSK_
; %bb.0:
	.section	.rodata,"a",@progbits
	.p2align	6, 0x0
	.amdhsa_kernel _ZN7rocprim17ROCPRIM_400000_NS6detail17trampoline_kernelINS0_14default_configENS1_38merge_sort_block_merge_config_selectorItNS0_10empty_typeEEEZZNS1_27merge_sort_block_merge_implIS3_N6thrust23THRUST_200600_302600_NS6detail15normal_iteratorINS9_10device_ptrItEEEEPS5_m9comp_mod3ItEEE10hipError_tT0_T1_T2_jT3_P12ihipStream_tbPNSt15iterator_traitsISJ_E10value_typeEPNSP_ISK_E10value_typeEPSL_NS1_7vsmem_tEENKUlT_SJ_SK_SL_E_clISE_PtSF_SF_EESI_SY_SJ_SK_SL_EUlSY_E_NS1_11comp_targetILNS1_3genE2ELNS1_11target_archE906ELNS1_3gpuE6ELNS1_3repE0EEENS1_48merge_mergepath_partition_config_static_selectorELNS0_4arch9wavefront6targetE0EEEvSK_
		.amdhsa_group_segment_fixed_size 0
		.amdhsa_private_segment_fixed_size 0
		.amdhsa_kernarg_size 48
		.amdhsa_user_sgpr_count 6
		.amdhsa_user_sgpr_private_segment_buffer 1
		.amdhsa_user_sgpr_dispatch_ptr 0
		.amdhsa_user_sgpr_queue_ptr 0
		.amdhsa_user_sgpr_kernarg_segment_ptr 1
		.amdhsa_user_sgpr_dispatch_id 0
		.amdhsa_user_sgpr_flat_scratch_init 0
		.amdhsa_user_sgpr_private_segment_size 0
		.amdhsa_wavefront_size32 1
		.amdhsa_uses_dynamic_stack 0
		.amdhsa_system_sgpr_private_segment_wavefront_offset 0
		.amdhsa_system_sgpr_workgroup_id_x 1
		.amdhsa_system_sgpr_workgroup_id_y 0
		.amdhsa_system_sgpr_workgroup_id_z 0
		.amdhsa_system_sgpr_workgroup_info 0
		.amdhsa_system_vgpr_workitem_id 0
		.amdhsa_next_free_vgpr 1
		.amdhsa_next_free_sgpr 1
		.amdhsa_reserve_vcc 0
		.amdhsa_reserve_flat_scratch 0
		.amdhsa_float_round_mode_32 0
		.amdhsa_float_round_mode_16_64 0
		.amdhsa_float_denorm_mode_32 3
		.amdhsa_float_denorm_mode_16_64 3
		.amdhsa_dx10_clamp 1
		.amdhsa_ieee_mode 1
		.amdhsa_fp16_overflow 0
		.amdhsa_workgroup_processor_mode 1
		.amdhsa_memory_ordered 1
		.amdhsa_forward_progress 1
		.amdhsa_shared_vgpr_count 0
		.amdhsa_exception_fp_ieee_invalid_op 0
		.amdhsa_exception_fp_denorm_src 0
		.amdhsa_exception_fp_ieee_div_zero 0
		.amdhsa_exception_fp_ieee_overflow 0
		.amdhsa_exception_fp_ieee_underflow 0
		.amdhsa_exception_fp_ieee_inexact 0
		.amdhsa_exception_int_div_zero 0
	.end_amdhsa_kernel
	.section	.text._ZN7rocprim17ROCPRIM_400000_NS6detail17trampoline_kernelINS0_14default_configENS1_38merge_sort_block_merge_config_selectorItNS0_10empty_typeEEEZZNS1_27merge_sort_block_merge_implIS3_N6thrust23THRUST_200600_302600_NS6detail15normal_iteratorINS9_10device_ptrItEEEEPS5_m9comp_mod3ItEEE10hipError_tT0_T1_T2_jT3_P12ihipStream_tbPNSt15iterator_traitsISJ_E10value_typeEPNSP_ISK_E10value_typeEPSL_NS1_7vsmem_tEENKUlT_SJ_SK_SL_E_clISE_PtSF_SF_EESI_SY_SJ_SK_SL_EUlSY_E_NS1_11comp_targetILNS1_3genE2ELNS1_11target_archE906ELNS1_3gpuE6ELNS1_3repE0EEENS1_48merge_mergepath_partition_config_static_selectorELNS0_4arch9wavefront6targetE0EEEvSK_,"axG",@progbits,_ZN7rocprim17ROCPRIM_400000_NS6detail17trampoline_kernelINS0_14default_configENS1_38merge_sort_block_merge_config_selectorItNS0_10empty_typeEEEZZNS1_27merge_sort_block_merge_implIS3_N6thrust23THRUST_200600_302600_NS6detail15normal_iteratorINS9_10device_ptrItEEEEPS5_m9comp_mod3ItEEE10hipError_tT0_T1_T2_jT3_P12ihipStream_tbPNSt15iterator_traitsISJ_E10value_typeEPNSP_ISK_E10value_typeEPSL_NS1_7vsmem_tEENKUlT_SJ_SK_SL_E_clISE_PtSF_SF_EESI_SY_SJ_SK_SL_EUlSY_E_NS1_11comp_targetILNS1_3genE2ELNS1_11target_archE906ELNS1_3gpuE6ELNS1_3repE0EEENS1_48merge_mergepath_partition_config_static_selectorELNS0_4arch9wavefront6targetE0EEEvSK_,comdat
.Lfunc_end903:
	.size	_ZN7rocprim17ROCPRIM_400000_NS6detail17trampoline_kernelINS0_14default_configENS1_38merge_sort_block_merge_config_selectorItNS0_10empty_typeEEEZZNS1_27merge_sort_block_merge_implIS3_N6thrust23THRUST_200600_302600_NS6detail15normal_iteratorINS9_10device_ptrItEEEEPS5_m9comp_mod3ItEEE10hipError_tT0_T1_T2_jT3_P12ihipStream_tbPNSt15iterator_traitsISJ_E10value_typeEPNSP_ISK_E10value_typeEPSL_NS1_7vsmem_tEENKUlT_SJ_SK_SL_E_clISE_PtSF_SF_EESI_SY_SJ_SK_SL_EUlSY_E_NS1_11comp_targetILNS1_3genE2ELNS1_11target_archE906ELNS1_3gpuE6ELNS1_3repE0EEENS1_48merge_mergepath_partition_config_static_selectorELNS0_4arch9wavefront6targetE0EEEvSK_, .Lfunc_end903-_ZN7rocprim17ROCPRIM_400000_NS6detail17trampoline_kernelINS0_14default_configENS1_38merge_sort_block_merge_config_selectorItNS0_10empty_typeEEEZZNS1_27merge_sort_block_merge_implIS3_N6thrust23THRUST_200600_302600_NS6detail15normal_iteratorINS9_10device_ptrItEEEEPS5_m9comp_mod3ItEEE10hipError_tT0_T1_T2_jT3_P12ihipStream_tbPNSt15iterator_traitsISJ_E10value_typeEPNSP_ISK_E10value_typeEPSL_NS1_7vsmem_tEENKUlT_SJ_SK_SL_E_clISE_PtSF_SF_EESI_SY_SJ_SK_SL_EUlSY_E_NS1_11comp_targetILNS1_3genE2ELNS1_11target_archE906ELNS1_3gpuE6ELNS1_3repE0EEENS1_48merge_mergepath_partition_config_static_selectorELNS0_4arch9wavefront6targetE0EEEvSK_
                                        ; -- End function
	.set _ZN7rocprim17ROCPRIM_400000_NS6detail17trampoline_kernelINS0_14default_configENS1_38merge_sort_block_merge_config_selectorItNS0_10empty_typeEEEZZNS1_27merge_sort_block_merge_implIS3_N6thrust23THRUST_200600_302600_NS6detail15normal_iteratorINS9_10device_ptrItEEEEPS5_m9comp_mod3ItEEE10hipError_tT0_T1_T2_jT3_P12ihipStream_tbPNSt15iterator_traitsISJ_E10value_typeEPNSP_ISK_E10value_typeEPSL_NS1_7vsmem_tEENKUlT_SJ_SK_SL_E_clISE_PtSF_SF_EESI_SY_SJ_SK_SL_EUlSY_E_NS1_11comp_targetILNS1_3genE2ELNS1_11target_archE906ELNS1_3gpuE6ELNS1_3repE0EEENS1_48merge_mergepath_partition_config_static_selectorELNS0_4arch9wavefront6targetE0EEEvSK_.num_vgpr, 0
	.set _ZN7rocprim17ROCPRIM_400000_NS6detail17trampoline_kernelINS0_14default_configENS1_38merge_sort_block_merge_config_selectorItNS0_10empty_typeEEEZZNS1_27merge_sort_block_merge_implIS3_N6thrust23THRUST_200600_302600_NS6detail15normal_iteratorINS9_10device_ptrItEEEEPS5_m9comp_mod3ItEEE10hipError_tT0_T1_T2_jT3_P12ihipStream_tbPNSt15iterator_traitsISJ_E10value_typeEPNSP_ISK_E10value_typeEPSL_NS1_7vsmem_tEENKUlT_SJ_SK_SL_E_clISE_PtSF_SF_EESI_SY_SJ_SK_SL_EUlSY_E_NS1_11comp_targetILNS1_3genE2ELNS1_11target_archE906ELNS1_3gpuE6ELNS1_3repE0EEENS1_48merge_mergepath_partition_config_static_selectorELNS0_4arch9wavefront6targetE0EEEvSK_.num_agpr, 0
	.set _ZN7rocprim17ROCPRIM_400000_NS6detail17trampoline_kernelINS0_14default_configENS1_38merge_sort_block_merge_config_selectorItNS0_10empty_typeEEEZZNS1_27merge_sort_block_merge_implIS3_N6thrust23THRUST_200600_302600_NS6detail15normal_iteratorINS9_10device_ptrItEEEEPS5_m9comp_mod3ItEEE10hipError_tT0_T1_T2_jT3_P12ihipStream_tbPNSt15iterator_traitsISJ_E10value_typeEPNSP_ISK_E10value_typeEPSL_NS1_7vsmem_tEENKUlT_SJ_SK_SL_E_clISE_PtSF_SF_EESI_SY_SJ_SK_SL_EUlSY_E_NS1_11comp_targetILNS1_3genE2ELNS1_11target_archE906ELNS1_3gpuE6ELNS1_3repE0EEENS1_48merge_mergepath_partition_config_static_selectorELNS0_4arch9wavefront6targetE0EEEvSK_.numbered_sgpr, 0
	.set _ZN7rocprim17ROCPRIM_400000_NS6detail17trampoline_kernelINS0_14default_configENS1_38merge_sort_block_merge_config_selectorItNS0_10empty_typeEEEZZNS1_27merge_sort_block_merge_implIS3_N6thrust23THRUST_200600_302600_NS6detail15normal_iteratorINS9_10device_ptrItEEEEPS5_m9comp_mod3ItEEE10hipError_tT0_T1_T2_jT3_P12ihipStream_tbPNSt15iterator_traitsISJ_E10value_typeEPNSP_ISK_E10value_typeEPSL_NS1_7vsmem_tEENKUlT_SJ_SK_SL_E_clISE_PtSF_SF_EESI_SY_SJ_SK_SL_EUlSY_E_NS1_11comp_targetILNS1_3genE2ELNS1_11target_archE906ELNS1_3gpuE6ELNS1_3repE0EEENS1_48merge_mergepath_partition_config_static_selectorELNS0_4arch9wavefront6targetE0EEEvSK_.num_named_barrier, 0
	.set _ZN7rocprim17ROCPRIM_400000_NS6detail17trampoline_kernelINS0_14default_configENS1_38merge_sort_block_merge_config_selectorItNS0_10empty_typeEEEZZNS1_27merge_sort_block_merge_implIS3_N6thrust23THRUST_200600_302600_NS6detail15normal_iteratorINS9_10device_ptrItEEEEPS5_m9comp_mod3ItEEE10hipError_tT0_T1_T2_jT3_P12ihipStream_tbPNSt15iterator_traitsISJ_E10value_typeEPNSP_ISK_E10value_typeEPSL_NS1_7vsmem_tEENKUlT_SJ_SK_SL_E_clISE_PtSF_SF_EESI_SY_SJ_SK_SL_EUlSY_E_NS1_11comp_targetILNS1_3genE2ELNS1_11target_archE906ELNS1_3gpuE6ELNS1_3repE0EEENS1_48merge_mergepath_partition_config_static_selectorELNS0_4arch9wavefront6targetE0EEEvSK_.private_seg_size, 0
	.set _ZN7rocprim17ROCPRIM_400000_NS6detail17trampoline_kernelINS0_14default_configENS1_38merge_sort_block_merge_config_selectorItNS0_10empty_typeEEEZZNS1_27merge_sort_block_merge_implIS3_N6thrust23THRUST_200600_302600_NS6detail15normal_iteratorINS9_10device_ptrItEEEEPS5_m9comp_mod3ItEEE10hipError_tT0_T1_T2_jT3_P12ihipStream_tbPNSt15iterator_traitsISJ_E10value_typeEPNSP_ISK_E10value_typeEPSL_NS1_7vsmem_tEENKUlT_SJ_SK_SL_E_clISE_PtSF_SF_EESI_SY_SJ_SK_SL_EUlSY_E_NS1_11comp_targetILNS1_3genE2ELNS1_11target_archE906ELNS1_3gpuE6ELNS1_3repE0EEENS1_48merge_mergepath_partition_config_static_selectorELNS0_4arch9wavefront6targetE0EEEvSK_.uses_vcc, 0
	.set _ZN7rocprim17ROCPRIM_400000_NS6detail17trampoline_kernelINS0_14default_configENS1_38merge_sort_block_merge_config_selectorItNS0_10empty_typeEEEZZNS1_27merge_sort_block_merge_implIS3_N6thrust23THRUST_200600_302600_NS6detail15normal_iteratorINS9_10device_ptrItEEEEPS5_m9comp_mod3ItEEE10hipError_tT0_T1_T2_jT3_P12ihipStream_tbPNSt15iterator_traitsISJ_E10value_typeEPNSP_ISK_E10value_typeEPSL_NS1_7vsmem_tEENKUlT_SJ_SK_SL_E_clISE_PtSF_SF_EESI_SY_SJ_SK_SL_EUlSY_E_NS1_11comp_targetILNS1_3genE2ELNS1_11target_archE906ELNS1_3gpuE6ELNS1_3repE0EEENS1_48merge_mergepath_partition_config_static_selectorELNS0_4arch9wavefront6targetE0EEEvSK_.uses_flat_scratch, 0
	.set _ZN7rocprim17ROCPRIM_400000_NS6detail17trampoline_kernelINS0_14default_configENS1_38merge_sort_block_merge_config_selectorItNS0_10empty_typeEEEZZNS1_27merge_sort_block_merge_implIS3_N6thrust23THRUST_200600_302600_NS6detail15normal_iteratorINS9_10device_ptrItEEEEPS5_m9comp_mod3ItEEE10hipError_tT0_T1_T2_jT3_P12ihipStream_tbPNSt15iterator_traitsISJ_E10value_typeEPNSP_ISK_E10value_typeEPSL_NS1_7vsmem_tEENKUlT_SJ_SK_SL_E_clISE_PtSF_SF_EESI_SY_SJ_SK_SL_EUlSY_E_NS1_11comp_targetILNS1_3genE2ELNS1_11target_archE906ELNS1_3gpuE6ELNS1_3repE0EEENS1_48merge_mergepath_partition_config_static_selectorELNS0_4arch9wavefront6targetE0EEEvSK_.has_dyn_sized_stack, 0
	.set _ZN7rocprim17ROCPRIM_400000_NS6detail17trampoline_kernelINS0_14default_configENS1_38merge_sort_block_merge_config_selectorItNS0_10empty_typeEEEZZNS1_27merge_sort_block_merge_implIS3_N6thrust23THRUST_200600_302600_NS6detail15normal_iteratorINS9_10device_ptrItEEEEPS5_m9comp_mod3ItEEE10hipError_tT0_T1_T2_jT3_P12ihipStream_tbPNSt15iterator_traitsISJ_E10value_typeEPNSP_ISK_E10value_typeEPSL_NS1_7vsmem_tEENKUlT_SJ_SK_SL_E_clISE_PtSF_SF_EESI_SY_SJ_SK_SL_EUlSY_E_NS1_11comp_targetILNS1_3genE2ELNS1_11target_archE906ELNS1_3gpuE6ELNS1_3repE0EEENS1_48merge_mergepath_partition_config_static_selectorELNS0_4arch9wavefront6targetE0EEEvSK_.has_recursion, 0
	.set _ZN7rocprim17ROCPRIM_400000_NS6detail17trampoline_kernelINS0_14default_configENS1_38merge_sort_block_merge_config_selectorItNS0_10empty_typeEEEZZNS1_27merge_sort_block_merge_implIS3_N6thrust23THRUST_200600_302600_NS6detail15normal_iteratorINS9_10device_ptrItEEEEPS5_m9comp_mod3ItEEE10hipError_tT0_T1_T2_jT3_P12ihipStream_tbPNSt15iterator_traitsISJ_E10value_typeEPNSP_ISK_E10value_typeEPSL_NS1_7vsmem_tEENKUlT_SJ_SK_SL_E_clISE_PtSF_SF_EESI_SY_SJ_SK_SL_EUlSY_E_NS1_11comp_targetILNS1_3genE2ELNS1_11target_archE906ELNS1_3gpuE6ELNS1_3repE0EEENS1_48merge_mergepath_partition_config_static_selectorELNS0_4arch9wavefront6targetE0EEEvSK_.has_indirect_call, 0
	.section	.AMDGPU.csdata,"",@progbits
; Kernel info:
; codeLenInByte = 0
; TotalNumSgprs: 0
; NumVgprs: 0
; ScratchSize: 0
; MemoryBound: 0
; FloatMode: 240
; IeeeMode: 1
; LDSByteSize: 0 bytes/workgroup (compile time only)
; SGPRBlocks: 0
; VGPRBlocks: 0
; NumSGPRsForWavesPerEU: 1
; NumVGPRsForWavesPerEU: 1
; Occupancy: 16
; WaveLimiterHint : 0
; COMPUTE_PGM_RSRC2:SCRATCH_EN: 0
; COMPUTE_PGM_RSRC2:USER_SGPR: 6
; COMPUTE_PGM_RSRC2:TRAP_HANDLER: 0
; COMPUTE_PGM_RSRC2:TGID_X_EN: 1
; COMPUTE_PGM_RSRC2:TGID_Y_EN: 0
; COMPUTE_PGM_RSRC2:TGID_Z_EN: 0
; COMPUTE_PGM_RSRC2:TIDIG_COMP_CNT: 0
	.section	.text._ZN7rocprim17ROCPRIM_400000_NS6detail17trampoline_kernelINS0_14default_configENS1_38merge_sort_block_merge_config_selectorItNS0_10empty_typeEEEZZNS1_27merge_sort_block_merge_implIS3_N6thrust23THRUST_200600_302600_NS6detail15normal_iteratorINS9_10device_ptrItEEEEPS5_m9comp_mod3ItEEE10hipError_tT0_T1_T2_jT3_P12ihipStream_tbPNSt15iterator_traitsISJ_E10value_typeEPNSP_ISK_E10value_typeEPSL_NS1_7vsmem_tEENKUlT_SJ_SK_SL_E_clISE_PtSF_SF_EESI_SY_SJ_SK_SL_EUlSY_E_NS1_11comp_targetILNS1_3genE9ELNS1_11target_archE1100ELNS1_3gpuE3ELNS1_3repE0EEENS1_48merge_mergepath_partition_config_static_selectorELNS0_4arch9wavefront6targetE0EEEvSK_,"axG",@progbits,_ZN7rocprim17ROCPRIM_400000_NS6detail17trampoline_kernelINS0_14default_configENS1_38merge_sort_block_merge_config_selectorItNS0_10empty_typeEEEZZNS1_27merge_sort_block_merge_implIS3_N6thrust23THRUST_200600_302600_NS6detail15normal_iteratorINS9_10device_ptrItEEEEPS5_m9comp_mod3ItEEE10hipError_tT0_T1_T2_jT3_P12ihipStream_tbPNSt15iterator_traitsISJ_E10value_typeEPNSP_ISK_E10value_typeEPSL_NS1_7vsmem_tEENKUlT_SJ_SK_SL_E_clISE_PtSF_SF_EESI_SY_SJ_SK_SL_EUlSY_E_NS1_11comp_targetILNS1_3genE9ELNS1_11target_archE1100ELNS1_3gpuE3ELNS1_3repE0EEENS1_48merge_mergepath_partition_config_static_selectorELNS0_4arch9wavefront6targetE0EEEvSK_,comdat
	.protected	_ZN7rocprim17ROCPRIM_400000_NS6detail17trampoline_kernelINS0_14default_configENS1_38merge_sort_block_merge_config_selectorItNS0_10empty_typeEEEZZNS1_27merge_sort_block_merge_implIS3_N6thrust23THRUST_200600_302600_NS6detail15normal_iteratorINS9_10device_ptrItEEEEPS5_m9comp_mod3ItEEE10hipError_tT0_T1_T2_jT3_P12ihipStream_tbPNSt15iterator_traitsISJ_E10value_typeEPNSP_ISK_E10value_typeEPSL_NS1_7vsmem_tEENKUlT_SJ_SK_SL_E_clISE_PtSF_SF_EESI_SY_SJ_SK_SL_EUlSY_E_NS1_11comp_targetILNS1_3genE9ELNS1_11target_archE1100ELNS1_3gpuE3ELNS1_3repE0EEENS1_48merge_mergepath_partition_config_static_selectorELNS0_4arch9wavefront6targetE0EEEvSK_ ; -- Begin function _ZN7rocprim17ROCPRIM_400000_NS6detail17trampoline_kernelINS0_14default_configENS1_38merge_sort_block_merge_config_selectorItNS0_10empty_typeEEEZZNS1_27merge_sort_block_merge_implIS3_N6thrust23THRUST_200600_302600_NS6detail15normal_iteratorINS9_10device_ptrItEEEEPS5_m9comp_mod3ItEEE10hipError_tT0_T1_T2_jT3_P12ihipStream_tbPNSt15iterator_traitsISJ_E10value_typeEPNSP_ISK_E10value_typeEPSL_NS1_7vsmem_tEENKUlT_SJ_SK_SL_E_clISE_PtSF_SF_EESI_SY_SJ_SK_SL_EUlSY_E_NS1_11comp_targetILNS1_3genE9ELNS1_11target_archE1100ELNS1_3gpuE3ELNS1_3repE0EEENS1_48merge_mergepath_partition_config_static_selectorELNS0_4arch9wavefront6targetE0EEEvSK_
	.globl	_ZN7rocprim17ROCPRIM_400000_NS6detail17trampoline_kernelINS0_14default_configENS1_38merge_sort_block_merge_config_selectorItNS0_10empty_typeEEEZZNS1_27merge_sort_block_merge_implIS3_N6thrust23THRUST_200600_302600_NS6detail15normal_iteratorINS9_10device_ptrItEEEEPS5_m9comp_mod3ItEEE10hipError_tT0_T1_T2_jT3_P12ihipStream_tbPNSt15iterator_traitsISJ_E10value_typeEPNSP_ISK_E10value_typeEPSL_NS1_7vsmem_tEENKUlT_SJ_SK_SL_E_clISE_PtSF_SF_EESI_SY_SJ_SK_SL_EUlSY_E_NS1_11comp_targetILNS1_3genE9ELNS1_11target_archE1100ELNS1_3gpuE3ELNS1_3repE0EEENS1_48merge_mergepath_partition_config_static_selectorELNS0_4arch9wavefront6targetE0EEEvSK_
	.p2align	8
	.type	_ZN7rocprim17ROCPRIM_400000_NS6detail17trampoline_kernelINS0_14default_configENS1_38merge_sort_block_merge_config_selectorItNS0_10empty_typeEEEZZNS1_27merge_sort_block_merge_implIS3_N6thrust23THRUST_200600_302600_NS6detail15normal_iteratorINS9_10device_ptrItEEEEPS5_m9comp_mod3ItEEE10hipError_tT0_T1_T2_jT3_P12ihipStream_tbPNSt15iterator_traitsISJ_E10value_typeEPNSP_ISK_E10value_typeEPSL_NS1_7vsmem_tEENKUlT_SJ_SK_SL_E_clISE_PtSF_SF_EESI_SY_SJ_SK_SL_EUlSY_E_NS1_11comp_targetILNS1_3genE9ELNS1_11target_archE1100ELNS1_3gpuE3ELNS1_3repE0EEENS1_48merge_mergepath_partition_config_static_selectorELNS0_4arch9wavefront6targetE0EEEvSK_,@function
_ZN7rocprim17ROCPRIM_400000_NS6detail17trampoline_kernelINS0_14default_configENS1_38merge_sort_block_merge_config_selectorItNS0_10empty_typeEEEZZNS1_27merge_sort_block_merge_implIS3_N6thrust23THRUST_200600_302600_NS6detail15normal_iteratorINS9_10device_ptrItEEEEPS5_m9comp_mod3ItEEE10hipError_tT0_T1_T2_jT3_P12ihipStream_tbPNSt15iterator_traitsISJ_E10value_typeEPNSP_ISK_E10value_typeEPSL_NS1_7vsmem_tEENKUlT_SJ_SK_SL_E_clISE_PtSF_SF_EESI_SY_SJ_SK_SL_EUlSY_E_NS1_11comp_targetILNS1_3genE9ELNS1_11target_archE1100ELNS1_3gpuE3ELNS1_3repE0EEENS1_48merge_mergepath_partition_config_static_selectorELNS0_4arch9wavefront6targetE0EEEvSK_: ; @_ZN7rocprim17ROCPRIM_400000_NS6detail17trampoline_kernelINS0_14default_configENS1_38merge_sort_block_merge_config_selectorItNS0_10empty_typeEEEZZNS1_27merge_sort_block_merge_implIS3_N6thrust23THRUST_200600_302600_NS6detail15normal_iteratorINS9_10device_ptrItEEEEPS5_m9comp_mod3ItEEE10hipError_tT0_T1_T2_jT3_P12ihipStream_tbPNSt15iterator_traitsISJ_E10value_typeEPNSP_ISK_E10value_typeEPSL_NS1_7vsmem_tEENKUlT_SJ_SK_SL_E_clISE_PtSF_SF_EESI_SY_SJ_SK_SL_EUlSY_E_NS1_11comp_targetILNS1_3genE9ELNS1_11target_archE1100ELNS1_3gpuE3ELNS1_3repE0EEENS1_48merge_mergepath_partition_config_static_selectorELNS0_4arch9wavefront6targetE0EEEvSK_
; %bb.0:
	.section	.rodata,"a",@progbits
	.p2align	6, 0x0
	.amdhsa_kernel _ZN7rocprim17ROCPRIM_400000_NS6detail17trampoline_kernelINS0_14default_configENS1_38merge_sort_block_merge_config_selectorItNS0_10empty_typeEEEZZNS1_27merge_sort_block_merge_implIS3_N6thrust23THRUST_200600_302600_NS6detail15normal_iteratorINS9_10device_ptrItEEEEPS5_m9comp_mod3ItEEE10hipError_tT0_T1_T2_jT3_P12ihipStream_tbPNSt15iterator_traitsISJ_E10value_typeEPNSP_ISK_E10value_typeEPSL_NS1_7vsmem_tEENKUlT_SJ_SK_SL_E_clISE_PtSF_SF_EESI_SY_SJ_SK_SL_EUlSY_E_NS1_11comp_targetILNS1_3genE9ELNS1_11target_archE1100ELNS1_3gpuE3ELNS1_3repE0EEENS1_48merge_mergepath_partition_config_static_selectorELNS0_4arch9wavefront6targetE0EEEvSK_
		.amdhsa_group_segment_fixed_size 0
		.amdhsa_private_segment_fixed_size 0
		.amdhsa_kernarg_size 48
		.amdhsa_user_sgpr_count 6
		.amdhsa_user_sgpr_private_segment_buffer 1
		.amdhsa_user_sgpr_dispatch_ptr 0
		.amdhsa_user_sgpr_queue_ptr 0
		.amdhsa_user_sgpr_kernarg_segment_ptr 1
		.amdhsa_user_sgpr_dispatch_id 0
		.amdhsa_user_sgpr_flat_scratch_init 0
		.amdhsa_user_sgpr_private_segment_size 0
		.amdhsa_wavefront_size32 1
		.amdhsa_uses_dynamic_stack 0
		.amdhsa_system_sgpr_private_segment_wavefront_offset 0
		.amdhsa_system_sgpr_workgroup_id_x 1
		.amdhsa_system_sgpr_workgroup_id_y 0
		.amdhsa_system_sgpr_workgroup_id_z 0
		.amdhsa_system_sgpr_workgroup_info 0
		.amdhsa_system_vgpr_workitem_id 0
		.amdhsa_next_free_vgpr 1
		.amdhsa_next_free_sgpr 1
		.amdhsa_reserve_vcc 0
		.amdhsa_reserve_flat_scratch 0
		.amdhsa_float_round_mode_32 0
		.amdhsa_float_round_mode_16_64 0
		.amdhsa_float_denorm_mode_32 3
		.amdhsa_float_denorm_mode_16_64 3
		.amdhsa_dx10_clamp 1
		.amdhsa_ieee_mode 1
		.amdhsa_fp16_overflow 0
		.amdhsa_workgroup_processor_mode 1
		.amdhsa_memory_ordered 1
		.amdhsa_forward_progress 1
		.amdhsa_shared_vgpr_count 0
		.amdhsa_exception_fp_ieee_invalid_op 0
		.amdhsa_exception_fp_denorm_src 0
		.amdhsa_exception_fp_ieee_div_zero 0
		.amdhsa_exception_fp_ieee_overflow 0
		.amdhsa_exception_fp_ieee_underflow 0
		.amdhsa_exception_fp_ieee_inexact 0
		.amdhsa_exception_int_div_zero 0
	.end_amdhsa_kernel
	.section	.text._ZN7rocprim17ROCPRIM_400000_NS6detail17trampoline_kernelINS0_14default_configENS1_38merge_sort_block_merge_config_selectorItNS0_10empty_typeEEEZZNS1_27merge_sort_block_merge_implIS3_N6thrust23THRUST_200600_302600_NS6detail15normal_iteratorINS9_10device_ptrItEEEEPS5_m9comp_mod3ItEEE10hipError_tT0_T1_T2_jT3_P12ihipStream_tbPNSt15iterator_traitsISJ_E10value_typeEPNSP_ISK_E10value_typeEPSL_NS1_7vsmem_tEENKUlT_SJ_SK_SL_E_clISE_PtSF_SF_EESI_SY_SJ_SK_SL_EUlSY_E_NS1_11comp_targetILNS1_3genE9ELNS1_11target_archE1100ELNS1_3gpuE3ELNS1_3repE0EEENS1_48merge_mergepath_partition_config_static_selectorELNS0_4arch9wavefront6targetE0EEEvSK_,"axG",@progbits,_ZN7rocprim17ROCPRIM_400000_NS6detail17trampoline_kernelINS0_14default_configENS1_38merge_sort_block_merge_config_selectorItNS0_10empty_typeEEEZZNS1_27merge_sort_block_merge_implIS3_N6thrust23THRUST_200600_302600_NS6detail15normal_iteratorINS9_10device_ptrItEEEEPS5_m9comp_mod3ItEEE10hipError_tT0_T1_T2_jT3_P12ihipStream_tbPNSt15iterator_traitsISJ_E10value_typeEPNSP_ISK_E10value_typeEPSL_NS1_7vsmem_tEENKUlT_SJ_SK_SL_E_clISE_PtSF_SF_EESI_SY_SJ_SK_SL_EUlSY_E_NS1_11comp_targetILNS1_3genE9ELNS1_11target_archE1100ELNS1_3gpuE3ELNS1_3repE0EEENS1_48merge_mergepath_partition_config_static_selectorELNS0_4arch9wavefront6targetE0EEEvSK_,comdat
.Lfunc_end904:
	.size	_ZN7rocprim17ROCPRIM_400000_NS6detail17trampoline_kernelINS0_14default_configENS1_38merge_sort_block_merge_config_selectorItNS0_10empty_typeEEEZZNS1_27merge_sort_block_merge_implIS3_N6thrust23THRUST_200600_302600_NS6detail15normal_iteratorINS9_10device_ptrItEEEEPS5_m9comp_mod3ItEEE10hipError_tT0_T1_T2_jT3_P12ihipStream_tbPNSt15iterator_traitsISJ_E10value_typeEPNSP_ISK_E10value_typeEPSL_NS1_7vsmem_tEENKUlT_SJ_SK_SL_E_clISE_PtSF_SF_EESI_SY_SJ_SK_SL_EUlSY_E_NS1_11comp_targetILNS1_3genE9ELNS1_11target_archE1100ELNS1_3gpuE3ELNS1_3repE0EEENS1_48merge_mergepath_partition_config_static_selectorELNS0_4arch9wavefront6targetE0EEEvSK_, .Lfunc_end904-_ZN7rocprim17ROCPRIM_400000_NS6detail17trampoline_kernelINS0_14default_configENS1_38merge_sort_block_merge_config_selectorItNS0_10empty_typeEEEZZNS1_27merge_sort_block_merge_implIS3_N6thrust23THRUST_200600_302600_NS6detail15normal_iteratorINS9_10device_ptrItEEEEPS5_m9comp_mod3ItEEE10hipError_tT0_T1_T2_jT3_P12ihipStream_tbPNSt15iterator_traitsISJ_E10value_typeEPNSP_ISK_E10value_typeEPSL_NS1_7vsmem_tEENKUlT_SJ_SK_SL_E_clISE_PtSF_SF_EESI_SY_SJ_SK_SL_EUlSY_E_NS1_11comp_targetILNS1_3genE9ELNS1_11target_archE1100ELNS1_3gpuE3ELNS1_3repE0EEENS1_48merge_mergepath_partition_config_static_selectorELNS0_4arch9wavefront6targetE0EEEvSK_
                                        ; -- End function
	.set _ZN7rocprim17ROCPRIM_400000_NS6detail17trampoline_kernelINS0_14default_configENS1_38merge_sort_block_merge_config_selectorItNS0_10empty_typeEEEZZNS1_27merge_sort_block_merge_implIS3_N6thrust23THRUST_200600_302600_NS6detail15normal_iteratorINS9_10device_ptrItEEEEPS5_m9comp_mod3ItEEE10hipError_tT0_T1_T2_jT3_P12ihipStream_tbPNSt15iterator_traitsISJ_E10value_typeEPNSP_ISK_E10value_typeEPSL_NS1_7vsmem_tEENKUlT_SJ_SK_SL_E_clISE_PtSF_SF_EESI_SY_SJ_SK_SL_EUlSY_E_NS1_11comp_targetILNS1_3genE9ELNS1_11target_archE1100ELNS1_3gpuE3ELNS1_3repE0EEENS1_48merge_mergepath_partition_config_static_selectorELNS0_4arch9wavefront6targetE0EEEvSK_.num_vgpr, 0
	.set _ZN7rocprim17ROCPRIM_400000_NS6detail17trampoline_kernelINS0_14default_configENS1_38merge_sort_block_merge_config_selectorItNS0_10empty_typeEEEZZNS1_27merge_sort_block_merge_implIS3_N6thrust23THRUST_200600_302600_NS6detail15normal_iteratorINS9_10device_ptrItEEEEPS5_m9comp_mod3ItEEE10hipError_tT0_T1_T2_jT3_P12ihipStream_tbPNSt15iterator_traitsISJ_E10value_typeEPNSP_ISK_E10value_typeEPSL_NS1_7vsmem_tEENKUlT_SJ_SK_SL_E_clISE_PtSF_SF_EESI_SY_SJ_SK_SL_EUlSY_E_NS1_11comp_targetILNS1_3genE9ELNS1_11target_archE1100ELNS1_3gpuE3ELNS1_3repE0EEENS1_48merge_mergepath_partition_config_static_selectorELNS0_4arch9wavefront6targetE0EEEvSK_.num_agpr, 0
	.set _ZN7rocprim17ROCPRIM_400000_NS6detail17trampoline_kernelINS0_14default_configENS1_38merge_sort_block_merge_config_selectorItNS0_10empty_typeEEEZZNS1_27merge_sort_block_merge_implIS3_N6thrust23THRUST_200600_302600_NS6detail15normal_iteratorINS9_10device_ptrItEEEEPS5_m9comp_mod3ItEEE10hipError_tT0_T1_T2_jT3_P12ihipStream_tbPNSt15iterator_traitsISJ_E10value_typeEPNSP_ISK_E10value_typeEPSL_NS1_7vsmem_tEENKUlT_SJ_SK_SL_E_clISE_PtSF_SF_EESI_SY_SJ_SK_SL_EUlSY_E_NS1_11comp_targetILNS1_3genE9ELNS1_11target_archE1100ELNS1_3gpuE3ELNS1_3repE0EEENS1_48merge_mergepath_partition_config_static_selectorELNS0_4arch9wavefront6targetE0EEEvSK_.numbered_sgpr, 0
	.set _ZN7rocprim17ROCPRIM_400000_NS6detail17trampoline_kernelINS0_14default_configENS1_38merge_sort_block_merge_config_selectorItNS0_10empty_typeEEEZZNS1_27merge_sort_block_merge_implIS3_N6thrust23THRUST_200600_302600_NS6detail15normal_iteratorINS9_10device_ptrItEEEEPS5_m9comp_mod3ItEEE10hipError_tT0_T1_T2_jT3_P12ihipStream_tbPNSt15iterator_traitsISJ_E10value_typeEPNSP_ISK_E10value_typeEPSL_NS1_7vsmem_tEENKUlT_SJ_SK_SL_E_clISE_PtSF_SF_EESI_SY_SJ_SK_SL_EUlSY_E_NS1_11comp_targetILNS1_3genE9ELNS1_11target_archE1100ELNS1_3gpuE3ELNS1_3repE0EEENS1_48merge_mergepath_partition_config_static_selectorELNS0_4arch9wavefront6targetE0EEEvSK_.num_named_barrier, 0
	.set _ZN7rocprim17ROCPRIM_400000_NS6detail17trampoline_kernelINS0_14default_configENS1_38merge_sort_block_merge_config_selectorItNS0_10empty_typeEEEZZNS1_27merge_sort_block_merge_implIS3_N6thrust23THRUST_200600_302600_NS6detail15normal_iteratorINS9_10device_ptrItEEEEPS5_m9comp_mod3ItEEE10hipError_tT0_T1_T2_jT3_P12ihipStream_tbPNSt15iterator_traitsISJ_E10value_typeEPNSP_ISK_E10value_typeEPSL_NS1_7vsmem_tEENKUlT_SJ_SK_SL_E_clISE_PtSF_SF_EESI_SY_SJ_SK_SL_EUlSY_E_NS1_11comp_targetILNS1_3genE9ELNS1_11target_archE1100ELNS1_3gpuE3ELNS1_3repE0EEENS1_48merge_mergepath_partition_config_static_selectorELNS0_4arch9wavefront6targetE0EEEvSK_.private_seg_size, 0
	.set _ZN7rocprim17ROCPRIM_400000_NS6detail17trampoline_kernelINS0_14default_configENS1_38merge_sort_block_merge_config_selectorItNS0_10empty_typeEEEZZNS1_27merge_sort_block_merge_implIS3_N6thrust23THRUST_200600_302600_NS6detail15normal_iteratorINS9_10device_ptrItEEEEPS5_m9comp_mod3ItEEE10hipError_tT0_T1_T2_jT3_P12ihipStream_tbPNSt15iterator_traitsISJ_E10value_typeEPNSP_ISK_E10value_typeEPSL_NS1_7vsmem_tEENKUlT_SJ_SK_SL_E_clISE_PtSF_SF_EESI_SY_SJ_SK_SL_EUlSY_E_NS1_11comp_targetILNS1_3genE9ELNS1_11target_archE1100ELNS1_3gpuE3ELNS1_3repE0EEENS1_48merge_mergepath_partition_config_static_selectorELNS0_4arch9wavefront6targetE0EEEvSK_.uses_vcc, 0
	.set _ZN7rocprim17ROCPRIM_400000_NS6detail17trampoline_kernelINS0_14default_configENS1_38merge_sort_block_merge_config_selectorItNS0_10empty_typeEEEZZNS1_27merge_sort_block_merge_implIS3_N6thrust23THRUST_200600_302600_NS6detail15normal_iteratorINS9_10device_ptrItEEEEPS5_m9comp_mod3ItEEE10hipError_tT0_T1_T2_jT3_P12ihipStream_tbPNSt15iterator_traitsISJ_E10value_typeEPNSP_ISK_E10value_typeEPSL_NS1_7vsmem_tEENKUlT_SJ_SK_SL_E_clISE_PtSF_SF_EESI_SY_SJ_SK_SL_EUlSY_E_NS1_11comp_targetILNS1_3genE9ELNS1_11target_archE1100ELNS1_3gpuE3ELNS1_3repE0EEENS1_48merge_mergepath_partition_config_static_selectorELNS0_4arch9wavefront6targetE0EEEvSK_.uses_flat_scratch, 0
	.set _ZN7rocprim17ROCPRIM_400000_NS6detail17trampoline_kernelINS0_14default_configENS1_38merge_sort_block_merge_config_selectorItNS0_10empty_typeEEEZZNS1_27merge_sort_block_merge_implIS3_N6thrust23THRUST_200600_302600_NS6detail15normal_iteratorINS9_10device_ptrItEEEEPS5_m9comp_mod3ItEEE10hipError_tT0_T1_T2_jT3_P12ihipStream_tbPNSt15iterator_traitsISJ_E10value_typeEPNSP_ISK_E10value_typeEPSL_NS1_7vsmem_tEENKUlT_SJ_SK_SL_E_clISE_PtSF_SF_EESI_SY_SJ_SK_SL_EUlSY_E_NS1_11comp_targetILNS1_3genE9ELNS1_11target_archE1100ELNS1_3gpuE3ELNS1_3repE0EEENS1_48merge_mergepath_partition_config_static_selectorELNS0_4arch9wavefront6targetE0EEEvSK_.has_dyn_sized_stack, 0
	.set _ZN7rocprim17ROCPRIM_400000_NS6detail17trampoline_kernelINS0_14default_configENS1_38merge_sort_block_merge_config_selectorItNS0_10empty_typeEEEZZNS1_27merge_sort_block_merge_implIS3_N6thrust23THRUST_200600_302600_NS6detail15normal_iteratorINS9_10device_ptrItEEEEPS5_m9comp_mod3ItEEE10hipError_tT0_T1_T2_jT3_P12ihipStream_tbPNSt15iterator_traitsISJ_E10value_typeEPNSP_ISK_E10value_typeEPSL_NS1_7vsmem_tEENKUlT_SJ_SK_SL_E_clISE_PtSF_SF_EESI_SY_SJ_SK_SL_EUlSY_E_NS1_11comp_targetILNS1_3genE9ELNS1_11target_archE1100ELNS1_3gpuE3ELNS1_3repE0EEENS1_48merge_mergepath_partition_config_static_selectorELNS0_4arch9wavefront6targetE0EEEvSK_.has_recursion, 0
	.set _ZN7rocprim17ROCPRIM_400000_NS6detail17trampoline_kernelINS0_14default_configENS1_38merge_sort_block_merge_config_selectorItNS0_10empty_typeEEEZZNS1_27merge_sort_block_merge_implIS3_N6thrust23THRUST_200600_302600_NS6detail15normal_iteratorINS9_10device_ptrItEEEEPS5_m9comp_mod3ItEEE10hipError_tT0_T1_T2_jT3_P12ihipStream_tbPNSt15iterator_traitsISJ_E10value_typeEPNSP_ISK_E10value_typeEPSL_NS1_7vsmem_tEENKUlT_SJ_SK_SL_E_clISE_PtSF_SF_EESI_SY_SJ_SK_SL_EUlSY_E_NS1_11comp_targetILNS1_3genE9ELNS1_11target_archE1100ELNS1_3gpuE3ELNS1_3repE0EEENS1_48merge_mergepath_partition_config_static_selectorELNS0_4arch9wavefront6targetE0EEEvSK_.has_indirect_call, 0
	.section	.AMDGPU.csdata,"",@progbits
; Kernel info:
; codeLenInByte = 0
; TotalNumSgprs: 0
; NumVgprs: 0
; ScratchSize: 0
; MemoryBound: 0
; FloatMode: 240
; IeeeMode: 1
; LDSByteSize: 0 bytes/workgroup (compile time only)
; SGPRBlocks: 0
; VGPRBlocks: 0
; NumSGPRsForWavesPerEU: 1
; NumVGPRsForWavesPerEU: 1
; Occupancy: 16
; WaveLimiterHint : 0
; COMPUTE_PGM_RSRC2:SCRATCH_EN: 0
; COMPUTE_PGM_RSRC2:USER_SGPR: 6
; COMPUTE_PGM_RSRC2:TRAP_HANDLER: 0
; COMPUTE_PGM_RSRC2:TGID_X_EN: 1
; COMPUTE_PGM_RSRC2:TGID_Y_EN: 0
; COMPUTE_PGM_RSRC2:TGID_Z_EN: 0
; COMPUTE_PGM_RSRC2:TIDIG_COMP_CNT: 0
	.section	.text._ZN7rocprim17ROCPRIM_400000_NS6detail17trampoline_kernelINS0_14default_configENS1_38merge_sort_block_merge_config_selectorItNS0_10empty_typeEEEZZNS1_27merge_sort_block_merge_implIS3_N6thrust23THRUST_200600_302600_NS6detail15normal_iteratorINS9_10device_ptrItEEEEPS5_m9comp_mod3ItEEE10hipError_tT0_T1_T2_jT3_P12ihipStream_tbPNSt15iterator_traitsISJ_E10value_typeEPNSP_ISK_E10value_typeEPSL_NS1_7vsmem_tEENKUlT_SJ_SK_SL_E_clISE_PtSF_SF_EESI_SY_SJ_SK_SL_EUlSY_E_NS1_11comp_targetILNS1_3genE8ELNS1_11target_archE1030ELNS1_3gpuE2ELNS1_3repE0EEENS1_48merge_mergepath_partition_config_static_selectorELNS0_4arch9wavefront6targetE0EEEvSK_,"axG",@progbits,_ZN7rocprim17ROCPRIM_400000_NS6detail17trampoline_kernelINS0_14default_configENS1_38merge_sort_block_merge_config_selectorItNS0_10empty_typeEEEZZNS1_27merge_sort_block_merge_implIS3_N6thrust23THRUST_200600_302600_NS6detail15normal_iteratorINS9_10device_ptrItEEEEPS5_m9comp_mod3ItEEE10hipError_tT0_T1_T2_jT3_P12ihipStream_tbPNSt15iterator_traitsISJ_E10value_typeEPNSP_ISK_E10value_typeEPSL_NS1_7vsmem_tEENKUlT_SJ_SK_SL_E_clISE_PtSF_SF_EESI_SY_SJ_SK_SL_EUlSY_E_NS1_11comp_targetILNS1_3genE8ELNS1_11target_archE1030ELNS1_3gpuE2ELNS1_3repE0EEENS1_48merge_mergepath_partition_config_static_selectorELNS0_4arch9wavefront6targetE0EEEvSK_,comdat
	.protected	_ZN7rocprim17ROCPRIM_400000_NS6detail17trampoline_kernelINS0_14default_configENS1_38merge_sort_block_merge_config_selectorItNS0_10empty_typeEEEZZNS1_27merge_sort_block_merge_implIS3_N6thrust23THRUST_200600_302600_NS6detail15normal_iteratorINS9_10device_ptrItEEEEPS5_m9comp_mod3ItEEE10hipError_tT0_T1_T2_jT3_P12ihipStream_tbPNSt15iterator_traitsISJ_E10value_typeEPNSP_ISK_E10value_typeEPSL_NS1_7vsmem_tEENKUlT_SJ_SK_SL_E_clISE_PtSF_SF_EESI_SY_SJ_SK_SL_EUlSY_E_NS1_11comp_targetILNS1_3genE8ELNS1_11target_archE1030ELNS1_3gpuE2ELNS1_3repE0EEENS1_48merge_mergepath_partition_config_static_selectorELNS0_4arch9wavefront6targetE0EEEvSK_ ; -- Begin function _ZN7rocprim17ROCPRIM_400000_NS6detail17trampoline_kernelINS0_14default_configENS1_38merge_sort_block_merge_config_selectorItNS0_10empty_typeEEEZZNS1_27merge_sort_block_merge_implIS3_N6thrust23THRUST_200600_302600_NS6detail15normal_iteratorINS9_10device_ptrItEEEEPS5_m9comp_mod3ItEEE10hipError_tT0_T1_T2_jT3_P12ihipStream_tbPNSt15iterator_traitsISJ_E10value_typeEPNSP_ISK_E10value_typeEPSL_NS1_7vsmem_tEENKUlT_SJ_SK_SL_E_clISE_PtSF_SF_EESI_SY_SJ_SK_SL_EUlSY_E_NS1_11comp_targetILNS1_3genE8ELNS1_11target_archE1030ELNS1_3gpuE2ELNS1_3repE0EEENS1_48merge_mergepath_partition_config_static_selectorELNS0_4arch9wavefront6targetE0EEEvSK_
	.globl	_ZN7rocprim17ROCPRIM_400000_NS6detail17trampoline_kernelINS0_14default_configENS1_38merge_sort_block_merge_config_selectorItNS0_10empty_typeEEEZZNS1_27merge_sort_block_merge_implIS3_N6thrust23THRUST_200600_302600_NS6detail15normal_iteratorINS9_10device_ptrItEEEEPS5_m9comp_mod3ItEEE10hipError_tT0_T1_T2_jT3_P12ihipStream_tbPNSt15iterator_traitsISJ_E10value_typeEPNSP_ISK_E10value_typeEPSL_NS1_7vsmem_tEENKUlT_SJ_SK_SL_E_clISE_PtSF_SF_EESI_SY_SJ_SK_SL_EUlSY_E_NS1_11comp_targetILNS1_3genE8ELNS1_11target_archE1030ELNS1_3gpuE2ELNS1_3repE0EEENS1_48merge_mergepath_partition_config_static_selectorELNS0_4arch9wavefront6targetE0EEEvSK_
	.p2align	8
	.type	_ZN7rocprim17ROCPRIM_400000_NS6detail17trampoline_kernelINS0_14default_configENS1_38merge_sort_block_merge_config_selectorItNS0_10empty_typeEEEZZNS1_27merge_sort_block_merge_implIS3_N6thrust23THRUST_200600_302600_NS6detail15normal_iteratorINS9_10device_ptrItEEEEPS5_m9comp_mod3ItEEE10hipError_tT0_T1_T2_jT3_P12ihipStream_tbPNSt15iterator_traitsISJ_E10value_typeEPNSP_ISK_E10value_typeEPSL_NS1_7vsmem_tEENKUlT_SJ_SK_SL_E_clISE_PtSF_SF_EESI_SY_SJ_SK_SL_EUlSY_E_NS1_11comp_targetILNS1_3genE8ELNS1_11target_archE1030ELNS1_3gpuE2ELNS1_3repE0EEENS1_48merge_mergepath_partition_config_static_selectorELNS0_4arch9wavefront6targetE0EEEvSK_,@function
_ZN7rocprim17ROCPRIM_400000_NS6detail17trampoline_kernelINS0_14default_configENS1_38merge_sort_block_merge_config_selectorItNS0_10empty_typeEEEZZNS1_27merge_sort_block_merge_implIS3_N6thrust23THRUST_200600_302600_NS6detail15normal_iteratorINS9_10device_ptrItEEEEPS5_m9comp_mod3ItEEE10hipError_tT0_T1_T2_jT3_P12ihipStream_tbPNSt15iterator_traitsISJ_E10value_typeEPNSP_ISK_E10value_typeEPSL_NS1_7vsmem_tEENKUlT_SJ_SK_SL_E_clISE_PtSF_SF_EESI_SY_SJ_SK_SL_EUlSY_E_NS1_11comp_targetILNS1_3genE8ELNS1_11target_archE1030ELNS1_3gpuE2ELNS1_3repE0EEENS1_48merge_mergepath_partition_config_static_selectorELNS0_4arch9wavefront6targetE0EEEvSK_: ; @_ZN7rocprim17ROCPRIM_400000_NS6detail17trampoline_kernelINS0_14default_configENS1_38merge_sort_block_merge_config_selectorItNS0_10empty_typeEEEZZNS1_27merge_sort_block_merge_implIS3_N6thrust23THRUST_200600_302600_NS6detail15normal_iteratorINS9_10device_ptrItEEEEPS5_m9comp_mod3ItEEE10hipError_tT0_T1_T2_jT3_P12ihipStream_tbPNSt15iterator_traitsISJ_E10value_typeEPNSP_ISK_E10value_typeEPSL_NS1_7vsmem_tEENKUlT_SJ_SK_SL_E_clISE_PtSF_SF_EESI_SY_SJ_SK_SL_EUlSY_E_NS1_11comp_targetILNS1_3genE8ELNS1_11target_archE1030ELNS1_3gpuE2ELNS1_3repE0EEENS1_48merge_mergepath_partition_config_static_selectorELNS0_4arch9wavefront6targetE0EEEvSK_
; %bb.0:
	s_load_dword s0, s[4:5], 0x0
	v_lshl_or_b32 v0, s6, 7, v0
	s_waitcnt lgkmcnt(0)
	v_cmp_gt_u32_e32 vcc_lo, s0, v0
	s_and_saveexec_b32 s0, vcc_lo
	s_cbranch_execz .LBB905_6
; %bb.1:
	s_clause 0x1
	s_load_dwordx4 s[0:3], s[4:5], 0x8
	s_load_dwordx4 s[8:11], s[4:5], 0x20
	v_mov_b32_e32 v2, 0
	v_mov_b32_e32 v11, v2
	s_waitcnt lgkmcnt(0)
	s_lshr_b64 s[6:7], s[0:1], 9
	s_and_b32 s6, s6, -2
	s_sub_i32 s7, 0, s6
	s_add_i32 s6, s6, -1
	v_and_b32_e32 v1, s7, v0
	v_and_b32_e32 v10, s6, v0
	v_lshlrev_b64 v[4:5], 10, v[1:2]
	v_add_co_u32 v6, vcc_lo, v4, s0
	v_add_co_ci_u32_e64 v7, null, s1, v5, vcc_lo
	v_cmp_lt_u64_e32 vcc_lo, s[2:3], v[6:7]
	v_cndmask_b32_e64 v8, v6, s2, vcc_lo
	v_cndmask_b32_e64 v9, v7, s3, vcc_lo
	v_add_co_u32 v6, vcc_lo, v8, s0
	v_add_co_ci_u32_e64 v7, null, s1, v9, vcc_lo
	v_cmp_lt_u64_e32 vcc_lo, s[2:3], v[4:5]
	s_mov_b32 s1, 0
	v_cmp_lt_u64_e64 s0, s[2:3], v[6:7]
	v_cndmask_b32_e64 v2, v4, s2, vcc_lo
	v_cndmask_b32_e64 v3, v5, s3, vcc_lo
	v_lshlrev_b64 v[4:5], 10, v[10:11]
	v_cndmask_b32_e64 v12, v6, s2, s0
	v_cndmask_b32_e64 v1, v7, s3, s0
	v_sub_co_u32 v6, vcc_lo, v12, v2
	v_sub_co_ci_u32_e64 v7, null, v1, v3, vcc_lo
	v_cmp_lt_u64_e32 vcc_lo, v[6:7], v[4:5]
	v_cndmask_b32_e32 v11, v5, v7, vcc_lo
	v_cndmask_b32_e32 v10, v4, v6, vcc_lo
	v_sub_co_u32 v4, vcc_lo, v8, v12
	v_sub_co_ci_u32_e64 v1, null, v9, v1, vcc_lo
	v_add_co_u32 v4, vcc_lo, v10, v4
	v_add_co_ci_u32_e64 v5, null, v11, v1, vcc_lo
	v_sub_co_u32 v6, vcc_lo, v8, v2
	v_sub_co_ci_u32_e64 v7, null, v9, v3, vcc_lo
	v_cmp_gt_u64_e32 vcc_lo, v[4:5], v[10:11]
	v_cmp_lt_u64_e64 s0, v[10:11], v[6:7]
	v_cndmask_b32_e64 v5, v5, 0, vcc_lo
	v_cndmask_b32_e64 v4, v4, 0, vcc_lo
	v_cndmask_b32_e64 v7, v7, v11, s0
	v_cndmask_b32_e64 v6, v6, v10, s0
	s_mov_b32 s0, exec_lo
	v_cmpx_lt_u64_e64 v[4:5], v[6:7]
	s_cbranch_execz .LBB905_5
; %bb.2:
	s_load_dwordx2 s[2:3], s[4:5], 0x18
	v_lshlrev_b64 v[8:9], 1, v[8:9]
	v_lshlrev_b64 v[12:13], 1, v[2:3]
	;; [unrolled: 1-line block ×3, first 2 shown]
	s_waitcnt lgkmcnt(0)
	v_add_co_u32 v14, vcc_lo, s2, v8
	v_add_co_ci_u32_e64 v15, null, s3, v9, vcc_lo
	v_add_co_u32 v1, vcc_lo, s2, v12
	v_add_co_ci_u32_e64 v8, null, s3, v13, vcc_lo
	;; [unrolled: 2-line block ×3, first 2 shown]
	s_inst_prefetch 0x1
	.p2align	6
.LBB905_3:                              ; =>This Inner Loop Header: Depth=1
	v_add_co_u32 v11, vcc_lo, v6, v4
	v_add_co_ci_u32_e64 v12, null, v7, v5, vcc_lo
	v_and_b32_e32 v13, -2, v11
	v_xor_b32_e32 v16, -1, v12
	v_xor_b32_e32 v15, -2, v13
	v_add_co_u32 v13, vcc_lo, v1, v13
	v_add_co_ci_u32_e64 v14, null, v8, v12, vcc_lo
	v_add_co_u32 v15, vcc_lo, v9, v15
	v_add_co_ci_u32_e64 v16, null, v10, v16, vcc_lo
	v_lshrrev_b64 v[11:12], 1, v[11:12]
	flat_load_ushort v13, v[13:14]
	flat_load_ushort v14, v[15:16]
	v_add_co_u32 v15, vcc_lo, v11, 1
	v_add_co_ci_u32_e64 v16, null, 0, v12, vcc_lo
	s_waitcnt vmcnt(1) lgkmcnt(1)
	v_lshlrev_b32_e32 v13, 1, v13
	s_waitcnt vmcnt(0) lgkmcnt(0)
	v_lshlrev_b32_e32 v14, 1, v14
	s_clause 0x1
	global_load_ushort v14, v14, s[8:9]
	global_load_ushort v13, v13, s[8:9]
	s_waitcnt vmcnt(0)
	v_cmp_lt_u16_e32 vcc_lo, v14, v13
	v_cndmask_b32_e32 v7, v7, v12, vcc_lo
	v_cndmask_b32_e32 v6, v6, v11, vcc_lo
	;; [unrolled: 1-line block ×4, first 2 shown]
	v_cmp_ge_u64_e32 vcc_lo, v[4:5], v[6:7]
	s_or_b32 s1, vcc_lo, s1
	s_andn2_b32 exec_lo, exec_lo, s1
	s_cbranch_execnz .LBB905_3
; %bb.4:
	s_inst_prefetch 0x2
	s_or_b32 exec_lo, exec_lo, s1
.LBB905_5:
	s_or_b32 exec_lo, exec_lo, s0
	v_mov_b32_e32 v1, 0
	v_add_co_u32 v2, vcc_lo, v4, v2
	v_add_co_ci_u32_e64 v3, null, v5, v3, vcc_lo
	v_lshlrev_b64 v[0:1], 3, v[0:1]
	v_add_co_u32 v0, vcc_lo, s10, v0
	v_add_co_ci_u32_e64 v1, null, s11, v1, vcc_lo
	global_store_dwordx2 v[0:1], v[2:3], off
.LBB905_6:
	s_endpgm
	.section	.rodata,"a",@progbits
	.p2align	6, 0x0
	.amdhsa_kernel _ZN7rocprim17ROCPRIM_400000_NS6detail17trampoline_kernelINS0_14default_configENS1_38merge_sort_block_merge_config_selectorItNS0_10empty_typeEEEZZNS1_27merge_sort_block_merge_implIS3_N6thrust23THRUST_200600_302600_NS6detail15normal_iteratorINS9_10device_ptrItEEEEPS5_m9comp_mod3ItEEE10hipError_tT0_T1_T2_jT3_P12ihipStream_tbPNSt15iterator_traitsISJ_E10value_typeEPNSP_ISK_E10value_typeEPSL_NS1_7vsmem_tEENKUlT_SJ_SK_SL_E_clISE_PtSF_SF_EESI_SY_SJ_SK_SL_EUlSY_E_NS1_11comp_targetILNS1_3genE8ELNS1_11target_archE1030ELNS1_3gpuE2ELNS1_3repE0EEENS1_48merge_mergepath_partition_config_static_selectorELNS0_4arch9wavefront6targetE0EEEvSK_
		.amdhsa_group_segment_fixed_size 0
		.amdhsa_private_segment_fixed_size 0
		.amdhsa_kernarg_size 48
		.amdhsa_user_sgpr_count 6
		.amdhsa_user_sgpr_private_segment_buffer 1
		.amdhsa_user_sgpr_dispatch_ptr 0
		.amdhsa_user_sgpr_queue_ptr 0
		.amdhsa_user_sgpr_kernarg_segment_ptr 1
		.amdhsa_user_sgpr_dispatch_id 0
		.amdhsa_user_sgpr_flat_scratch_init 0
		.amdhsa_user_sgpr_private_segment_size 0
		.amdhsa_wavefront_size32 1
		.amdhsa_uses_dynamic_stack 0
		.amdhsa_system_sgpr_private_segment_wavefront_offset 0
		.amdhsa_system_sgpr_workgroup_id_x 1
		.amdhsa_system_sgpr_workgroup_id_y 0
		.amdhsa_system_sgpr_workgroup_id_z 0
		.amdhsa_system_sgpr_workgroup_info 0
		.amdhsa_system_vgpr_workitem_id 0
		.amdhsa_next_free_vgpr 17
		.amdhsa_next_free_sgpr 12
		.amdhsa_reserve_vcc 1
		.amdhsa_reserve_flat_scratch 0
		.amdhsa_float_round_mode_32 0
		.amdhsa_float_round_mode_16_64 0
		.amdhsa_float_denorm_mode_32 3
		.amdhsa_float_denorm_mode_16_64 3
		.amdhsa_dx10_clamp 1
		.amdhsa_ieee_mode 1
		.amdhsa_fp16_overflow 0
		.amdhsa_workgroup_processor_mode 1
		.amdhsa_memory_ordered 1
		.amdhsa_forward_progress 1
		.amdhsa_shared_vgpr_count 0
		.amdhsa_exception_fp_ieee_invalid_op 0
		.amdhsa_exception_fp_denorm_src 0
		.amdhsa_exception_fp_ieee_div_zero 0
		.amdhsa_exception_fp_ieee_overflow 0
		.amdhsa_exception_fp_ieee_underflow 0
		.amdhsa_exception_fp_ieee_inexact 0
		.amdhsa_exception_int_div_zero 0
	.end_amdhsa_kernel
	.section	.text._ZN7rocprim17ROCPRIM_400000_NS6detail17trampoline_kernelINS0_14default_configENS1_38merge_sort_block_merge_config_selectorItNS0_10empty_typeEEEZZNS1_27merge_sort_block_merge_implIS3_N6thrust23THRUST_200600_302600_NS6detail15normal_iteratorINS9_10device_ptrItEEEEPS5_m9comp_mod3ItEEE10hipError_tT0_T1_T2_jT3_P12ihipStream_tbPNSt15iterator_traitsISJ_E10value_typeEPNSP_ISK_E10value_typeEPSL_NS1_7vsmem_tEENKUlT_SJ_SK_SL_E_clISE_PtSF_SF_EESI_SY_SJ_SK_SL_EUlSY_E_NS1_11comp_targetILNS1_3genE8ELNS1_11target_archE1030ELNS1_3gpuE2ELNS1_3repE0EEENS1_48merge_mergepath_partition_config_static_selectorELNS0_4arch9wavefront6targetE0EEEvSK_,"axG",@progbits,_ZN7rocprim17ROCPRIM_400000_NS6detail17trampoline_kernelINS0_14default_configENS1_38merge_sort_block_merge_config_selectorItNS0_10empty_typeEEEZZNS1_27merge_sort_block_merge_implIS3_N6thrust23THRUST_200600_302600_NS6detail15normal_iteratorINS9_10device_ptrItEEEEPS5_m9comp_mod3ItEEE10hipError_tT0_T1_T2_jT3_P12ihipStream_tbPNSt15iterator_traitsISJ_E10value_typeEPNSP_ISK_E10value_typeEPSL_NS1_7vsmem_tEENKUlT_SJ_SK_SL_E_clISE_PtSF_SF_EESI_SY_SJ_SK_SL_EUlSY_E_NS1_11comp_targetILNS1_3genE8ELNS1_11target_archE1030ELNS1_3gpuE2ELNS1_3repE0EEENS1_48merge_mergepath_partition_config_static_selectorELNS0_4arch9wavefront6targetE0EEEvSK_,comdat
.Lfunc_end905:
	.size	_ZN7rocprim17ROCPRIM_400000_NS6detail17trampoline_kernelINS0_14default_configENS1_38merge_sort_block_merge_config_selectorItNS0_10empty_typeEEEZZNS1_27merge_sort_block_merge_implIS3_N6thrust23THRUST_200600_302600_NS6detail15normal_iteratorINS9_10device_ptrItEEEEPS5_m9comp_mod3ItEEE10hipError_tT0_T1_T2_jT3_P12ihipStream_tbPNSt15iterator_traitsISJ_E10value_typeEPNSP_ISK_E10value_typeEPSL_NS1_7vsmem_tEENKUlT_SJ_SK_SL_E_clISE_PtSF_SF_EESI_SY_SJ_SK_SL_EUlSY_E_NS1_11comp_targetILNS1_3genE8ELNS1_11target_archE1030ELNS1_3gpuE2ELNS1_3repE0EEENS1_48merge_mergepath_partition_config_static_selectorELNS0_4arch9wavefront6targetE0EEEvSK_, .Lfunc_end905-_ZN7rocprim17ROCPRIM_400000_NS6detail17trampoline_kernelINS0_14default_configENS1_38merge_sort_block_merge_config_selectorItNS0_10empty_typeEEEZZNS1_27merge_sort_block_merge_implIS3_N6thrust23THRUST_200600_302600_NS6detail15normal_iteratorINS9_10device_ptrItEEEEPS5_m9comp_mod3ItEEE10hipError_tT0_T1_T2_jT3_P12ihipStream_tbPNSt15iterator_traitsISJ_E10value_typeEPNSP_ISK_E10value_typeEPSL_NS1_7vsmem_tEENKUlT_SJ_SK_SL_E_clISE_PtSF_SF_EESI_SY_SJ_SK_SL_EUlSY_E_NS1_11comp_targetILNS1_3genE8ELNS1_11target_archE1030ELNS1_3gpuE2ELNS1_3repE0EEENS1_48merge_mergepath_partition_config_static_selectorELNS0_4arch9wavefront6targetE0EEEvSK_
                                        ; -- End function
	.set _ZN7rocprim17ROCPRIM_400000_NS6detail17trampoline_kernelINS0_14default_configENS1_38merge_sort_block_merge_config_selectorItNS0_10empty_typeEEEZZNS1_27merge_sort_block_merge_implIS3_N6thrust23THRUST_200600_302600_NS6detail15normal_iteratorINS9_10device_ptrItEEEEPS5_m9comp_mod3ItEEE10hipError_tT0_T1_T2_jT3_P12ihipStream_tbPNSt15iterator_traitsISJ_E10value_typeEPNSP_ISK_E10value_typeEPSL_NS1_7vsmem_tEENKUlT_SJ_SK_SL_E_clISE_PtSF_SF_EESI_SY_SJ_SK_SL_EUlSY_E_NS1_11comp_targetILNS1_3genE8ELNS1_11target_archE1030ELNS1_3gpuE2ELNS1_3repE0EEENS1_48merge_mergepath_partition_config_static_selectorELNS0_4arch9wavefront6targetE0EEEvSK_.num_vgpr, 17
	.set _ZN7rocprim17ROCPRIM_400000_NS6detail17trampoline_kernelINS0_14default_configENS1_38merge_sort_block_merge_config_selectorItNS0_10empty_typeEEEZZNS1_27merge_sort_block_merge_implIS3_N6thrust23THRUST_200600_302600_NS6detail15normal_iteratorINS9_10device_ptrItEEEEPS5_m9comp_mod3ItEEE10hipError_tT0_T1_T2_jT3_P12ihipStream_tbPNSt15iterator_traitsISJ_E10value_typeEPNSP_ISK_E10value_typeEPSL_NS1_7vsmem_tEENKUlT_SJ_SK_SL_E_clISE_PtSF_SF_EESI_SY_SJ_SK_SL_EUlSY_E_NS1_11comp_targetILNS1_3genE8ELNS1_11target_archE1030ELNS1_3gpuE2ELNS1_3repE0EEENS1_48merge_mergepath_partition_config_static_selectorELNS0_4arch9wavefront6targetE0EEEvSK_.num_agpr, 0
	.set _ZN7rocprim17ROCPRIM_400000_NS6detail17trampoline_kernelINS0_14default_configENS1_38merge_sort_block_merge_config_selectorItNS0_10empty_typeEEEZZNS1_27merge_sort_block_merge_implIS3_N6thrust23THRUST_200600_302600_NS6detail15normal_iteratorINS9_10device_ptrItEEEEPS5_m9comp_mod3ItEEE10hipError_tT0_T1_T2_jT3_P12ihipStream_tbPNSt15iterator_traitsISJ_E10value_typeEPNSP_ISK_E10value_typeEPSL_NS1_7vsmem_tEENKUlT_SJ_SK_SL_E_clISE_PtSF_SF_EESI_SY_SJ_SK_SL_EUlSY_E_NS1_11comp_targetILNS1_3genE8ELNS1_11target_archE1030ELNS1_3gpuE2ELNS1_3repE0EEENS1_48merge_mergepath_partition_config_static_selectorELNS0_4arch9wavefront6targetE0EEEvSK_.numbered_sgpr, 12
	.set _ZN7rocprim17ROCPRIM_400000_NS6detail17trampoline_kernelINS0_14default_configENS1_38merge_sort_block_merge_config_selectorItNS0_10empty_typeEEEZZNS1_27merge_sort_block_merge_implIS3_N6thrust23THRUST_200600_302600_NS6detail15normal_iteratorINS9_10device_ptrItEEEEPS5_m9comp_mod3ItEEE10hipError_tT0_T1_T2_jT3_P12ihipStream_tbPNSt15iterator_traitsISJ_E10value_typeEPNSP_ISK_E10value_typeEPSL_NS1_7vsmem_tEENKUlT_SJ_SK_SL_E_clISE_PtSF_SF_EESI_SY_SJ_SK_SL_EUlSY_E_NS1_11comp_targetILNS1_3genE8ELNS1_11target_archE1030ELNS1_3gpuE2ELNS1_3repE0EEENS1_48merge_mergepath_partition_config_static_selectorELNS0_4arch9wavefront6targetE0EEEvSK_.num_named_barrier, 0
	.set _ZN7rocprim17ROCPRIM_400000_NS6detail17trampoline_kernelINS0_14default_configENS1_38merge_sort_block_merge_config_selectorItNS0_10empty_typeEEEZZNS1_27merge_sort_block_merge_implIS3_N6thrust23THRUST_200600_302600_NS6detail15normal_iteratorINS9_10device_ptrItEEEEPS5_m9comp_mod3ItEEE10hipError_tT0_T1_T2_jT3_P12ihipStream_tbPNSt15iterator_traitsISJ_E10value_typeEPNSP_ISK_E10value_typeEPSL_NS1_7vsmem_tEENKUlT_SJ_SK_SL_E_clISE_PtSF_SF_EESI_SY_SJ_SK_SL_EUlSY_E_NS1_11comp_targetILNS1_3genE8ELNS1_11target_archE1030ELNS1_3gpuE2ELNS1_3repE0EEENS1_48merge_mergepath_partition_config_static_selectorELNS0_4arch9wavefront6targetE0EEEvSK_.private_seg_size, 0
	.set _ZN7rocprim17ROCPRIM_400000_NS6detail17trampoline_kernelINS0_14default_configENS1_38merge_sort_block_merge_config_selectorItNS0_10empty_typeEEEZZNS1_27merge_sort_block_merge_implIS3_N6thrust23THRUST_200600_302600_NS6detail15normal_iteratorINS9_10device_ptrItEEEEPS5_m9comp_mod3ItEEE10hipError_tT0_T1_T2_jT3_P12ihipStream_tbPNSt15iterator_traitsISJ_E10value_typeEPNSP_ISK_E10value_typeEPSL_NS1_7vsmem_tEENKUlT_SJ_SK_SL_E_clISE_PtSF_SF_EESI_SY_SJ_SK_SL_EUlSY_E_NS1_11comp_targetILNS1_3genE8ELNS1_11target_archE1030ELNS1_3gpuE2ELNS1_3repE0EEENS1_48merge_mergepath_partition_config_static_selectorELNS0_4arch9wavefront6targetE0EEEvSK_.uses_vcc, 1
	.set _ZN7rocprim17ROCPRIM_400000_NS6detail17trampoline_kernelINS0_14default_configENS1_38merge_sort_block_merge_config_selectorItNS0_10empty_typeEEEZZNS1_27merge_sort_block_merge_implIS3_N6thrust23THRUST_200600_302600_NS6detail15normal_iteratorINS9_10device_ptrItEEEEPS5_m9comp_mod3ItEEE10hipError_tT0_T1_T2_jT3_P12ihipStream_tbPNSt15iterator_traitsISJ_E10value_typeEPNSP_ISK_E10value_typeEPSL_NS1_7vsmem_tEENKUlT_SJ_SK_SL_E_clISE_PtSF_SF_EESI_SY_SJ_SK_SL_EUlSY_E_NS1_11comp_targetILNS1_3genE8ELNS1_11target_archE1030ELNS1_3gpuE2ELNS1_3repE0EEENS1_48merge_mergepath_partition_config_static_selectorELNS0_4arch9wavefront6targetE0EEEvSK_.uses_flat_scratch, 0
	.set _ZN7rocprim17ROCPRIM_400000_NS6detail17trampoline_kernelINS0_14default_configENS1_38merge_sort_block_merge_config_selectorItNS0_10empty_typeEEEZZNS1_27merge_sort_block_merge_implIS3_N6thrust23THRUST_200600_302600_NS6detail15normal_iteratorINS9_10device_ptrItEEEEPS5_m9comp_mod3ItEEE10hipError_tT0_T1_T2_jT3_P12ihipStream_tbPNSt15iterator_traitsISJ_E10value_typeEPNSP_ISK_E10value_typeEPSL_NS1_7vsmem_tEENKUlT_SJ_SK_SL_E_clISE_PtSF_SF_EESI_SY_SJ_SK_SL_EUlSY_E_NS1_11comp_targetILNS1_3genE8ELNS1_11target_archE1030ELNS1_3gpuE2ELNS1_3repE0EEENS1_48merge_mergepath_partition_config_static_selectorELNS0_4arch9wavefront6targetE0EEEvSK_.has_dyn_sized_stack, 0
	.set _ZN7rocprim17ROCPRIM_400000_NS6detail17trampoline_kernelINS0_14default_configENS1_38merge_sort_block_merge_config_selectorItNS0_10empty_typeEEEZZNS1_27merge_sort_block_merge_implIS3_N6thrust23THRUST_200600_302600_NS6detail15normal_iteratorINS9_10device_ptrItEEEEPS5_m9comp_mod3ItEEE10hipError_tT0_T1_T2_jT3_P12ihipStream_tbPNSt15iterator_traitsISJ_E10value_typeEPNSP_ISK_E10value_typeEPSL_NS1_7vsmem_tEENKUlT_SJ_SK_SL_E_clISE_PtSF_SF_EESI_SY_SJ_SK_SL_EUlSY_E_NS1_11comp_targetILNS1_3genE8ELNS1_11target_archE1030ELNS1_3gpuE2ELNS1_3repE0EEENS1_48merge_mergepath_partition_config_static_selectorELNS0_4arch9wavefront6targetE0EEEvSK_.has_recursion, 0
	.set _ZN7rocprim17ROCPRIM_400000_NS6detail17trampoline_kernelINS0_14default_configENS1_38merge_sort_block_merge_config_selectorItNS0_10empty_typeEEEZZNS1_27merge_sort_block_merge_implIS3_N6thrust23THRUST_200600_302600_NS6detail15normal_iteratorINS9_10device_ptrItEEEEPS5_m9comp_mod3ItEEE10hipError_tT0_T1_T2_jT3_P12ihipStream_tbPNSt15iterator_traitsISJ_E10value_typeEPNSP_ISK_E10value_typeEPSL_NS1_7vsmem_tEENKUlT_SJ_SK_SL_E_clISE_PtSF_SF_EESI_SY_SJ_SK_SL_EUlSY_E_NS1_11comp_targetILNS1_3genE8ELNS1_11target_archE1030ELNS1_3gpuE2ELNS1_3repE0EEENS1_48merge_mergepath_partition_config_static_selectorELNS0_4arch9wavefront6targetE0EEEvSK_.has_indirect_call, 0
	.section	.AMDGPU.csdata,"",@progbits
; Kernel info:
; codeLenInByte = 692
; TotalNumSgprs: 14
; NumVgprs: 17
; ScratchSize: 0
; MemoryBound: 0
; FloatMode: 240
; IeeeMode: 1
; LDSByteSize: 0 bytes/workgroup (compile time only)
; SGPRBlocks: 0
; VGPRBlocks: 2
; NumSGPRsForWavesPerEU: 14
; NumVGPRsForWavesPerEU: 17
; Occupancy: 16
; WaveLimiterHint : 1
; COMPUTE_PGM_RSRC2:SCRATCH_EN: 0
; COMPUTE_PGM_RSRC2:USER_SGPR: 6
; COMPUTE_PGM_RSRC2:TRAP_HANDLER: 0
; COMPUTE_PGM_RSRC2:TGID_X_EN: 1
; COMPUTE_PGM_RSRC2:TGID_Y_EN: 0
; COMPUTE_PGM_RSRC2:TGID_Z_EN: 0
; COMPUTE_PGM_RSRC2:TIDIG_COMP_CNT: 0
	.section	.text._ZN7rocprim17ROCPRIM_400000_NS6detail17trampoline_kernelINS0_14default_configENS1_38merge_sort_block_merge_config_selectorItNS0_10empty_typeEEEZZNS1_27merge_sort_block_merge_implIS3_N6thrust23THRUST_200600_302600_NS6detail15normal_iteratorINS9_10device_ptrItEEEEPS5_m9comp_mod3ItEEE10hipError_tT0_T1_T2_jT3_P12ihipStream_tbPNSt15iterator_traitsISJ_E10value_typeEPNSP_ISK_E10value_typeEPSL_NS1_7vsmem_tEENKUlT_SJ_SK_SL_E_clISE_PtSF_SF_EESI_SY_SJ_SK_SL_EUlSY_E0_NS1_11comp_targetILNS1_3genE0ELNS1_11target_archE4294967295ELNS1_3gpuE0ELNS1_3repE0EEENS1_38merge_mergepath_config_static_selectorELNS0_4arch9wavefront6targetE0EEEvSK_,"axG",@progbits,_ZN7rocprim17ROCPRIM_400000_NS6detail17trampoline_kernelINS0_14default_configENS1_38merge_sort_block_merge_config_selectorItNS0_10empty_typeEEEZZNS1_27merge_sort_block_merge_implIS3_N6thrust23THRUST_200600_302600_NS6detail15normal_iteratorINS9_10device_ptrItEEEEPS5_m9comp_mod3ItEEE10hipError_tT0_T1_T2_jT3_P12ihipStream_tbPNSt15iterator_traitsISJ_E10value_typeEPNSP_ISK_E10value_typeEPSL_NS1_7vsmem_tEENKUlT_SJ_SK_SL_E_clISE_PtSF_SF_EESI_SY_SJ_SK_SL_EUlSY_E0_NS1_11comp_targetILNS1_3genE0ELNS1_11target_archE4294967295ELNS1_3gpuE0ELNS1_3repE0EEENS1_38merge_mergepath_config_static_selectorELNS0_4arch9wavefront6targetE0EEEvSK_,comdat
	.protected	_ZN7rocprim17ROCPRIM_400000_NS6detail17trampoline_kernelINS0_14default_configENS1_38merge_sort_block_merge_config_selectorItNS0_10empty_typeEEEZZNS1_27merge_sort_block_merge_implIS3_N6thrust23THRUST_200600_302600_NS6detail15normal_iteratorINS9_10device_ptrItEEEEPS5_m9comp_mod3ItEEE10hipError_tT0_T1_T2_jT3_P12ihipStream_tbPNSt15iterator_traitsISJ_E10value_typeEPNSP_ISK_E10value_typeEPSL_NS1_7vsmem_tEENKUlT_SJ_SK_SL_E_clISE_PtSF_SF_EESI_SY_SJ_SK_SL_EUlSY_E0_NS1_11comp_targetILNS1_3genE0ELNS1_11target_archE4294967295ELNS1_3gpuE0ELNS1_3repE0EEENS1_38merge_mergepath_config_static_selectorELNS0_4arch9wavefront6targetE0EEEvSK_ ; -- Begin function _ZN7rocprim17ROCPRIM_400000_NS6detail17trampoline_kernelINS0_14default_configENS1_38merge_sort_block_merge_config_selectorItNS0_10empty_typeEEEZZNS1_27merge_sort_block_merge_implIS3_N6thrust23THRUST_200600_302600_NS6detail15normal_iteratorINS9_10device_ptrItEEEEPS5_m9comp_mod3ItEEE10hipError_tT0_T1_T2_jT3_P12ihipStream_tbPNSt15iterator_traitsISJ_E10value_typeEPNSP_ISK_E10value_typeEPSL_NS1_7vsmem_tEENKUlT_SJ_SK_SL_E_clISE_PtSF_SF_EESI_SY_SJ_SK_SL_EUlSY_E0_NS1_11comp_targetILNS1_3genE0ELNS1_11target_archE4294967295ELNS1_3gpuE0ELNS1_3repE0EEENS1_38merge_mergepath_config_static_selectorELNS0_4arch9wavefront6targetE0EEEvSK_
	.globl	_ZN7rocprim17ROCPRIM_400000_NS6detail17trampoline_kernelINS0_14default_configENS1_38merge_sort_block_merge_config_selectorItNS0_10empty_typeEEEZZNS1_27merge_sort_block_merge_implIS3_N6thrust23THRUST_200600_302600_NS6detail15normal_iteratorINS9_10device_ptrItEEEEPS5_m9comp_mod3ItEEE10hipError_tT0_T1_T2_jT3_P12ihipStream_tbPNSt15iterator_traitsISJ_E10value_typeEPNSP_ISK_E10value_typeEPSL_NS1_7vsmem_tEENKUlT_SJ_SK_SL_E_clISE_PtSF_SF_EESI_SY_SJ_SK_SL_EUlSY_E0_NS1_11comp_targetILNS1_3genE0ELNS1_11target_archE4294967295ELNS1_3gpuE0ELNS1_3repE0EEENS1_38merge_mergepath_config_static_selectorELNS0_4arch9wavefront6targetE0EEEvSK_
	.p2align	8
	.type	_ZN7rocprim17ROCPRIM_400000_NS6detail17trampoline_kernelINS0_14default_configENS1_38merge_sort_block_merge_config_selectorItNS0_10empty_typeEEEZZNS1_27merge_sort_block_merge_implIS3_N6thrust23THRUST_200600_302600_NS6detail15normal_iteratorINS9_10device_ptrItEEEEPS5_m9comp_mod3ItEEE10hipError_tT0_T1_T2_jT3_P12ihipStream_tbPNSt15iterator_traitsISJ_E10value_typeEPNSP_ISK_E10value_typeEPSL_NS1_7vsmem_tEENKUlT_SJ_SK_SL_E_clISE_PtSF_SF_EESI_SY_SJ_SK_SL_EUlSY_E0_NS1_11comp_targetILNS1_3genE0ELNS1_11target_archE4294967295ELNS1_3gpuE0ELNS1_3repE0EEENS1_38merge_mergepath_config_static_selectorELNS0_4arch9wavefront6targetE0EEEvSK_,@function
_ZN7rocprim17ROCPRIM_400000_NS6detail17trampoline_kernelINS0_14default_configENS1_38merge_sort_block_merge_config_selectorItNS0_10empty_typeEEEZZNS1_27merge_sort_block_merge_implIS3_N6thrust23THRUST_200600_302600_NS6detail15normal_iteratorINS9_10device_ptrItEEEEPS5_m9comp_mod3ItEEE10hipError_tT0_T1_T2_jT3_P12ihipStream_tbPNSt15iterator_traitsISJ_E10value_typeEPNSP_ISK_E10value_typeEPSL_NS1_7vsmem_tEENKUlT_SJ_SK_SL_E_clISE_PtSF_SF_EESI_SY_SJ_SK_SL_EUlSY_E0_NS1_11comp_targetILNS1_3genE0ELNS1_11target_archE4294967295ELNS1_3gpuE0ELNS1_3repE0EEENS1_38merge_mergepath_config_static_selectorELNS0_4arch9wavefront6targetE0EEEvSK_: ; @_ZN7rocprim17ROCPRIM_400000_NS6detail17trampoline_kernelINS0_14default_configENS1_38merge_sort_block_merge_config_selectorItNS0_10empty_typeEEEZZNS1_27merge_sort_block_merge_implIS3_N6thrust23THRUST_200600_302600_NS6detail15normal_iteratorINS9_10device_ptrItEEEEPS5_m9comp_mod3ItEEE10hipError_tT0_T1_T2_jT3_P12ihipStream_tbPNSt15iterator_traitsISJ_E10value_typeEPNSP_ISK_E10value_typeEPSL_NS1_7vsmem_tEENKUlT_SJ_SK_SL_E_clISE_PtSF_SF_EESI_SY_SJ_SK_SL_EUlSY_E0_NS1_11comp_targetILNS1_3genE0ELNS1_11target_archE4294967295ELNS1_3gpuE0ELNS1_3repE0EEENS1_38merge_mergepath_config_static_selectorELNS0_4arch9wavefront6targetE0EEEvSK_
; %bb.0:
	.section	.rodata,"a",@progbits
	.p2align	6, 0x0
	.amdhsa_kernel _ZN7rocprim17ROCPRIM_400000_NS6detail17trampoline_kernelINS0_14default_configENS1_38merge_sort_block_merge_config_selectorItNS0_10empty_typeEEEZZNS1_27merge_sort_block_merge_implIS3_N6thrust23THRUST_200600_302600_NS6detail15normal_iteratorINS9_10device_ptrItEEEEPS5_m9comp_mod3ItEEE10hipError_tT0_T1_T2_jT3_P12ihipStream_tbPNSt15iterator_traitsISJ_E10value_typeEPNSP_ISK_E10value_typeEPSL_NS1_7vsmem_tEENKUlT_SJ_SK_SL_E_clISE_PtSF_SF_EESI_SY_SJ_SK_SL_EUlSY_E0_NS1_11comp_targetILNS1_3genE0ELNS1_11target_archE4294967295ELNS1_3gpuE0ELNS1_3repE0EEENS1_38merge_mergepath_config_static_selectorELNS0_4arch9wavefront6targetE0EEEvSK_
		.amdhsa_group_segment_fixed_size 0
		.amdhsa_private_segment_fixed_size 0
		.amdhsa_kernarg_size 80
		.amdhsa_user_sgpr_count 6
		.amdhsa_user_sgpr_private_segment_buffer 1
		.amdhsa_user_sgpr_dispatch_ptr 0
		.amdhsa_user_sgpr_queue_ptr 0
		.amdhsa_user_sgpr_kernarg_segment_ptr 1
		.amdhsa_user_sgpr_dispatch_id 0
		.amdhsa_user_sgpr_flat_scratch_init 0
		.amdhsa_user_sgpr_private_segment_size 0
		.amdhsa_wavefront_size32 1
		.amdhsa_uses_dynamic_stack 0
		.amdhsa_system_sgpr_private_segment_wavefront_offset 0
		.amdhsa_system_sgpr_workgroup_id_x 1
		.amdhsa_system_sgpr_workgroup_id_y 0
		.amdhsa_system_sgpr_workgroup_id_z 0
		.amdhsa_system_sgpr_workgroup_info 0
		.amdhsa_system_vgpr_workitem_id 0
		.amdhsa_next_free_vgpr 1
		.amdhsa_next_free_sgpr 1
		.amdhsa_reserve_vcc 0
		.amdhsa_reserve_flat_scratch 0
		.amdhsa_float_round_mode_32 0
		.amdhsa_float_round_mode_16_64 0
		.amdhsa_float_denorm_mode_32 3
		.amdhsa_float_denorm_mode_16_64 3
		.amdhsa_dx10_clamp 1
		.amdhsa_ieee_mode 1
		.amdhsa_fp16_overflow 0
		.amdhsa_workgroup_processor_mode 1
		.amdhsa_memory_ordered 1
		.amdhsa_forward_progress 1
		.amdhsa_shared_vgpr_count 0
		.amdhsa_exception_fp_ieee_invalid_op 0
		.amdhsa_exception_fp_denorm_src 0
		.amdhsa_exception_fp_ieee_div_zero 0
		.amdhsa_exception_fp_ieee_overflow 0
		.amdhsa_exception_fp_ieee_underflow 0
		.amdhsa_exception_fp_ieee_inexact 0
		.amdhsa_exception_int_div_zero 0
	.end_amdhsa_kernel
	.section	.text._ZN7rocprim17ROCPRIM_400000_NS6detail17trampoline_kernelINS0_14default_configENS1_38merge_sort_block_merge_config_selectorItNS0_10empty_typeEEEZZNS1_27merge_sort_block_merge_implIS3_N6thrust23THRUST_200600_302600_NS6detail15normal_iteratorINS9_10device_ptrItEEEEPS5_m9comp_mod3ItEEE10hipError_tT0_T1_T2_jT3_P12ihipStream_tbPNSt15iterator_traitsISJ_E10value_typeEPNSP_ISK_E10value_typeEPSL_NS1_7vsmem_tEENKUlT_SJ_SK_SL_E_clISE_PtSF_SF_EESI_SY_SJ_SK_SL_EUlSY_E0_NS1_11comp_targetILNS1_3genE0ELNS1_11target_archE4294967295ELNS1_3gpuE0ELNS1_3repE0EEENS1_38merge_mergepath_config_static_selectorELNS0_4arch9wavefront6targetE0EEEvSK_,"axG",@progbits,_ZN7rocprim17ROCPRIM_400000_NS6detail17trampoline_kernelINS0_14default_configENS1_38merge_sort_block_merge_config_selectorItNS0_10empty_typeEEEZZNS1_27merge_sort_block_merge_implIS3_N6thrust23THRUST_200600_302600_NS6detail15normal_iteratorINS9_10device_ptrItEEEEPS5_m9comp_mod3ItEEE10hipError_tT0_T1_T2_jT3_P12ihipStream_tbPNSt15iterator_traitsISJ_E10value_typeEPNSP_ISK_E10value_typeEPSL_NS1_7vsmem_tEENKUlT_SJ_SK_SL_E_clISE_PtSF_SF_EESI_SY_SJ_SK_SL_EUlSY_E0_NS1_11comp_targetILNS1_3genE0ELNS1_11target_archE4294967295ELNS1_3gpuE0ELNS1_3repE0EEENS1_38merge_mergepath_config_static_selectorELNS0_4arch9wavefront6targetE0EEEvSK_,comdat
.Lfunc_end906:
	.size	_ZN7rocprim17ROCPRIM_400000_NS6detail17trampoline_kernelINS0_14default_configENS1_38merge_sort_block_merge_config_selectorItNS0_10empty_typeEEEZZNS1_27merge_sort_block_merge_implIS3_N6thrust23THRUST_200600_302600_NS6detail15normal_iteratorINS9_10device_ptrItEEEEPS5_m9comp_mod3ItEEE10hipError_tT0_T1_T2_jT3_P12ihipStream_tbPNSt15iterator_traitsISJ_E10value_typeEPNSP_ISK_E10value_typeEPSL_NS1_7vsmem_tEENKUlT_SJ_SK_SL_E_clISE_PtSF_SF_EESI_SY_SJ_SK_SL_EUlSY_E0_NS1_11comp_targetILNS1_3genE0ELNS1_11target_archE4294967295ELNS1_3gpuE0ELNS1_3repE0EEENS1_38merge_mergepath_config_static_selectorELNS0_4arch9wavefront6targetE0EEEvSK_, .Lfunc_end906-_ZN7rocprim17ROCPRIM_400000_NS6detail17trampoline_kernelINS0_14default_configENS1_38merge_sort_block_merge_config_selectorItNS0_10empty_typeEEEZZNS1_27merge_sort_block_merge_implIS3_N6thrust23THRUST_200600_302600_NS6detail15normal_iteratorINS9_10device_ptrItEEEEPS5_m9comp_mod3ItEEE10hipError_tT0_T1_T2_jT3_P12ihipStream_tbPNSt15iterator_traitsISJ_E10value_typeEPNSP_ISK_E10value_typeEPSL_NS1_7vsmem_tEENKUlT_SJ_SK_SL_E_clISE_PtSF_SF_EESI_SY_SJ_SK_SL_EUlSY_E0_NS1_11comp_targetILNS1_3genE0ELNS1_11target_archE4294967295ELNS1_3gpuE0ELNS1_3repE0EEENS1_38merge_mergepath_config_static_selectorELNS0_4arch9wavefront6targetE0EEEvSK_
                                        ; -- End function
	.set _ZN7rocprim17ROCPRIM_400000_NS6detail17trampoline_kernelINS0_14default_configENS1_38merge_sort_block_merge_config_selectorItNS0_10empty_typeEEEZZNS1_27merge_sort_block_merge_implIS3_N6thrust23THRUST_200600_302600_NS6detail15normal_iteratorINS9_10device_ptrItEEEEPS5_m9comp_mod3ItEEE10hipError_tT0_T1_T2_jT3_P12ihipStream_tbPNSt15iterator_traitsISJ_E10value_typeEPNSP_ISK_E10value_typeEPSL_NS1_7vsmem_tEENKUlT_SJ_SK_SL_E_clISE_PtSF_SF_EESI_SY_SJ_SK_SL_EUlSY_E0_NS1_11comp_targetILNS1_3genE0ELNS1_11target_archE4294967295ELNS1_3gpuE0ELNS1_3repE0EEENS1_38merge_mergepath_config_static_selectorELNS0_4arch9wavefront6targetE0EEEvSK_.num_vgpr, 0
	.set _ZN7rocprim17ROCPRIM_400000_NS6detail17trampoline_kernelINS0_14default_configENS1_38merge_sort_block_merge_config_selectorItNS0_10empty_typeEEEZZNS1_27merge_sort_block_merge_implIS3_N6thrust23THRUST_200600_302600_NS6detail15normal_iteratorINS9_10device_ptrItEEEEPS5_m9comp_mod3ItEEE10hipError_tT0_T1_T2_jT3_P12ihipStream_tbPNSt15iterator_traitsISJ_E10value_typeEPNSP_ISK_E10value_typeEPSL_NS1_7vsmem_tEENKUlT_SJ_SK_SL_E_clISE_PtSF_SF_EESI_SY_SJ_SK_SL_EUlSY_E0_NS1_11comp_targetILNS1_3genE0ELNS1_11target_archE4294967295ELNS1_3gpuE0ELNS1_3repE0EEENS1_38merge_mergepath_config_static_selectorELNS0_4arch9wavefront6targetE0EEEvSK_.num_agpr, 0
	.set _ZN7rocprim17ROCPRIM_400000_NS6detail17trampoline_kernelINS0_14default_configENS1_38merge_sort_block_merge_config_selectorItNS0_10empty_typeEEEZZNS1_27merge_sort_block_merge_implIS3_N6thrust23THRUST_200600_302600_NS6detail15normal_iteratorINS9_10device_ptrItEEEEPS5_m9comp_mod3ItEEE10hipError_tT0_T1_T2_jT3_P12ihipStream_tbPNSt15iterator_traitsISJ_E10value_typeEPNSP_ISK_E10value_typeEPSL_NS1_7vsmem_tEENKUlT_SJ_SK_SL_E_clISE_PtSF_SF_EESI_SY_SJ_SK_SL_EUlSY_E0_NS1_11comp_targetILNS1_3genE0ELNS1_11target_archE4294967295ELNS1_3gpuE0ELNS1_3repE0EEENS1_38merge_mergepath_config_static_selectorELNS0_4arch9wavefront6targetE0EEEvSK_.numbered_sgpr, 0
	.set _ZN7rocprim17ROCPRIM_400000_NS6detail17trampoline_kernelINS0_14default_configENS1_38merge_sort_block_merge_config_selectorItNS0_10empty_typeEEEZZNS1_27merge_sort_block_merge_implIS3_N6thrust23THRUST_200600_302600_NS6detail15normal_iteratorINS9_10device_ptrItEEEEPS5_m9comp_mod3ItEEE10hipError_tT0_T1_T2_jT3_P12ihipStream_tbPNSt15iterator_traitsISJ_E10value_typeEPNSP_ISK_E10value_typeEPSL_NS1_7vsmem_tEENKUlT_SJ_SK_SL_E_clISE_PtSF_SF_EESI_SY_SJ_SK_SL_EUlSY_E0_NS1_11comp_targetILNS1_3genE0ELNS1_11target_archE4294967295ELNS1_3gpuE0ELNS1_3repE0EEENS1_38merge_mergepath_config_static_selectorELNS0_4arch9wavefront6targetE0EEEvSK_.num_named_barrier, 0
	.set _ZN7rocprim17ROCPRIM_400000_NS6detail17trampoline_kernelINS0_14default_configENS1_38merge_sort_block_merge_config_selectorItNS0_10empty_typeEEEZZNS1_27merge_sort_block_merge_implIS3_N6thrust23THRUST_200600_302600_NS6detail15normal_iteratorINS9_10device_ptrItEEEEPS5_m9comp_mod3ItEEE10hipError_tT0_T1_T2_jT3_P12ihipStream_tbPNSt15iterator_traitsISJ_E10value_typeEPNSP_ISK_E10value_typeEPSL_NS1_7vsmem_tEENKUlT_SJ_SK_SL_E_clISE_PtSF_SF_EESI_SY_SJ_SK_SL_EUlSY_E0_NS1_11comp_targetILNS1_3genE0ELNS1_11target_archE4294967295ELNS1_3gpuE0ELNS1_3repE0EEENS1_38merge_mergepath_config_static_selectorELNS0_4arch9wavefront6targetE0EEEvSK_.private_seg_size, 0
	.set _ZN7rocprim17ROCPRIM_400000_NS6detail17trampoline_kernelINS0_14default_configENS1_38merge_sort_block_merge_config_selectorItNS0_10empty_typeEEEZZNS1_27merge_sort_block_merge_implIS3_N6thrust23THRUST_200600_302600_NS6detail15normal_iteratorINS9_10device_ptrItEEEEPS5_m9comp_mod3ItEEE10hipError_tT0_T1_T2_jT3_P12ihipStream_tbPNSt15iterator_traitsISJ_E10value_typeEPNSP_ISK_E10value_typeEPSL_NS1_7vsmem_tEENKUlT_SJ_SK_SL_E_clISE_PtSF_SF_EESI_SY_SJ_SK_SL_EUlSY_E0_NS1_11comp_targetILNS1_3genE0ELNS1_11target_archE4294967295ELNS1_3gpuE0ELNS1_3repE0EEENS1_38merge_mergepath_config_static_selectorELNS0_4arch9wavefront6targetE0EEEvSK_.uses_vcc, 0
	.set _ZN7rocprim17ROCPRIM_400000_NS6detail17trampoline_kernelINS0_14default_configENS1_38merge_sort_block_merge_config_selectorItNS0_10empty_typeEEEZZNS1_27merge_sort_block_merge_implIS3_N6thrust23THRUST_200600_302600_NS6detail15normal_iteratorINS9_10device_ptrItEEEEPS5_m9comp_mod3ItEEE10hipError_tT0_T1_T2_jT3_P12ihipStream_tbPNSt15iterator_traitsISJ_E10value_typeEPNSP_ISK_E10value_typeEPSL_NS1_7vsmem_tEENKUlT_SJ_SK_SL_E_clISE_PtSF_SF_EESI_SY_SJ_SK_SL_EUlSY_E0_NS1_11comp_targetILNS1_3genE0ELNS1_11target_archE4294967295ELNS1_3gpuE0ELNS1_3repE0EEENS1_38merge_mergepath_config_static_selectorELNS0_4arch9wavefront6targetE0EEEvSK_.uses_flat_scratch, 0
	.set _ZN7rocprim17ROCPRIM_400000_NS6detail17trampoline_kernelINS0_14default_configENS1_38merge_sort_block_merge_config_selectorItNS0_10empty_typeEEEZZNS1_27merge_sort_block_merge_implIS3_N6thrust23THRUST_200600_302600_NS6detail15normal_iteratorINS9_10device_ptrItEEEEPS5_m9comp_mod3ItEEE10hipError_tT0_T1_T2_jT3_P12ihipStream_tbPNSt15iterator_traitsISJ_E10value_typeEPNSP_ISK_E10value_typeEPSL_NS1_7vsmem_tEENKUlT_SJ_SK_SL_E_clISE_PtSF_SF_EESI_SY_SJ_SK_SL_EUlSY_E0_NS1_11comp_targetILNS1_3genE0ELNS1_11target_archE4294967295ELNS1_3gpuE0ELNS1_3repE0EEENS1_38merge_mergepath_config_static_selectorELNS0_4arch9wavefront6targetE0EEEvSK_.has_dyn_sized_stack, 0
	.set _ZN7rocprim17ROCPRIM_400000_NS6detail17trampoline_kernelINS0_14default_configENS1_38merge_sort_block_merge_config_selectorItNS0_10empty_typeEEEZZNS1_27merge_sort_block_merge_implIS3_N6thrust23THRUST_200600_302600_NS6detail15normal_iteratorINS9_10device_ptrItEEEEPS5_m9comp_mod3ItEEE10hipError_tT0_T1_T2_jT3_P12ihipStream_tbPNSt15iterator_traitsISJ_E10value_typeEPNSP_ISK_E10value_typeEPSL_NS1_7vsmem_tEENKUlT_SJ_SK_SL_E_clISE_PtSF_SF_EESI_SY_SJ_SK_SL_EUlSY_E0_NS1_11comp_targetILNS1_3genE0ELNS1_11target_archE4294967295ELNS1_3gpuE0ELNS1_3repE0EEENS1_38merge_mergepath_config_static_selectorELNS0_4arch9wavefront6targetE0EEEvSK_.has_recursion, 0
	.set _ZN7rocprim17ROCPRIM_400000_NS6detail17trampoline_kernelINS0_14default_configENS1_38merge_sort_block_merge_config_selectorItNS0_10empty_typeEEEZZNS1_27merge_sort_block_merge_implIS3_N6thrust23THRUST_200600_302600_NS6detail15normal_iteratorINS9_10device_ptrItEEEEPS5_m9comp_mod3ItEEE10hipError_tT0_T1_T2_jT3_P12ihipStream_tbPNSt15iterator_traitsISJ_E10value_typeEPNSP_ISK_E10value_typeEPSL_NS1_7vsmem_tEENKUlT_SJ_SK_SL_E_clISE_PtSF_SF_EESI_SY_SJ_SK_SL_EUlSY_E0_NS1_11comp_targetILNS1_3genE0ELNS1_11target_archE4294967295ELNS1_3gpuE0ELNS1_3repE0EEENS1_38merge_mergepath_config_static_selectorELNS0_4arch9wavefront6targetE0EEEvSK_.has_indirect_call, 0
	.section	.AMDGPU.csdata,"",@progbits
; Kernel info:
; codeLenInByte = 0
; TotalNumSgprs: 0
; NumVgprs: 0
; ScratchSize: 0
; MemoryBound: 0
; FloatMode: 240
; IeeeMode: 1
; LDSByteSize: 0 bytes/workgroup (compile time only)
; SGPRBlocks: 0
; VGPRBlocks: 0
; NumSGPRsForWavesPerEU: 1
; NumVGPRsForWavesPerEU: 1
; Occupancy: 16
; WaveLimiterHint : 0
; COMPUTE_PGM_RSRC2:SCRATCH_EN: 0
; COMPUTE_PGM_RSRC2:USER_SGPR: 6
; COMPUTE_PGM_RSRC2:TRAP_HANDLER: 0
; COMPUTE_PGM_RSRC2:TGID_X_EN: 1
; COMPUTE_PGM_RSRC2:TGID_Y_EN: 0
; COMPUTE_PGM_RSRC2:TGID_Z_EN: 0
; COMPUTE_PGM_RSRC2:TIDIG_COMP_CNT: 0
	.section	.text._ZN7rocprim17ROCPRIM_400000_NS6detail17trampoline_kernelINS0_14default_configENS1_38merge_sort_block_merge_config_selectorItNS0_10empty_typeEEEZZNS1_27merge_sort_block_merge_implIS3_N6thrust23THRUST_200600_302600_NS6detail15normal_iteratorINS9_10device_ptrItEEEEPS5_m9comp_mod3ItEEE10hipError_tT0_T1_T2_jT3_P12ihipStream_tbPNSt15iterator_traitsISJ_E10value_typeEPNSP_ISK_E10value_typeEPSL_NS1_7vsmem_tEENKUlT_SJ_SK_SL_E_clISE_PtSF_SF_EESI_SY_SJ_SK_SL_EUlSY_E0_NS1_11comp_targetILNS1_3genE10ELNS1_11target_archE1201ELNS1_3gpuE5ELNS1_3repE0EEENS1_38merge_mergepath_config_static_selectorELNS0_4arch9wavefront6targetE0EEEvSK_,"axG",@progbits,_ZN7rocprim17ROCPRIM_400000_NS6detail17trampoline_kernelINS0_14default_configENS1_38merge_sort_block_merge_config_selectorItNS0_10empty_typeEEEZZNS1_27merge_sort_block_merge_implIS3_N6thrust23THRUST_200600_302600_NS6detail15normal_iteratorINS9_10device_ptrItEEEEPS5_m9comp_mod3ItEEE10hipError_tT0_T1_T2_jT3_P12ihipStream_tbPNSt15iterator_traitsISJ_E10value_typeEPNSP_ISK_E10value_typeEPSL_NS1_7vsmem_tEENKUlT_SJ_SK_SL_E_clISE_PtSF_SF_EESI_SY_SJ_SK_SL_EUlSY_E0_NS1_11comp_targetILNS1_3genE10ELNS1_11target_archE1201ELNS1_3gpuE5ELNS1_3repE0EEENS1_38merge_mergepath_config_static_selectorELNS0_4arch9wavefront6targetE0EEEvSK_,comdat
	.protected	_ZN7rocprim17ROCPRIM_400000_NS6detail17trampoline_kernelINS0_14default_configENS1_38merge_sort_block_merge_config_selectorItNS0_10empty_typeEEEZZNS1_27merge_sort_block_merge_implIS3_N6thrust23THRUST_200600_302600_NS6detail15normal_iteratorINS9_10device_ptrItEEEEPS5_m9comp_mod3ItEEE10hipError_tT0_T1_T2_jT3_P12ihipStream_tbPNSt15iterator_traitsISJ_E10value_typeEPNSP_ISK_E10value_typeEPSL_NS1_7vsmem_tEENKUlT_SJ_SK_SL_E_clISE_PtSF_SF_EESI_SY_SJ_SK_SL_EUlSY_E0_NS1_11comp_targetILNS1_3genE10ELNS1_11target_archE1201ELNS1_3gpuE5ELNS1_3repE0EEENS1_38merge_mergepath_config_static_selectorELNS0_4arch9wavefront6targetE0EEEvSK_ ; -- Begin function _ZN7rocprim17ROCPRIM_400000_NS6detail17trampoline_kernelINS0_14default_configENS1_38merge_sort_block_merge_config_selectorItNS0_10empty_typeEEEZZNS1_27merge_sort_block_merge_implIS3_N6thrust23THRUST_200600_302600_NS6detail15normal_iteratorINS9_10device_ptrItEEEEPS5_m9comp_mod3ItEEE10hipError_tT0_T1_T2_jT3_P12ihipStream_tbPNSt15iterator_traitsISJ_E10value_typeEPNSP_ISK_E10value_typeEPSL_NS1_7vsmem_tEENKUlT_SJ_SK_SL_E_clISE_PtSF_SF_EESI_SY_SJ_SK_SL_EUlSY_E0_NS1_11comp_targetILNS1_3genE10ELNS1_11target_archE1201ELNS1_3gpuE5ELNS1_3repE0EEENS1_38merge_mergepath_config_static_selectorELNS0_4arch9wavefront6targetE0EEEvSK_
	.globl	_ZN7rocprim17ROCPRIM_400000_NS6detail17trampoline_kernelINS0_14default_configENS1_38merge_sort_block_merge_config_selectorItNS0_10empty_typeEEEZZNS1_27merge_sort_block_merge_implIS3_N6thrust23THRUST_200600_302600_NS6detail15normal_iteratorINS9_10device_ptrItEEEEPS5_m9comp_mod3ItEEE10hipError_tT0_T1_T2_jT3_P12ihipStream_tbPNSt15iterator_traitsISJ_E10value_typeEPNSP_ISK_E10value_typeEPSL_NS1_7vsmem_tEENKUlT_SJ_SK_SL_E_clISE_PtSF_SF_EESI_SY_SJ_SK_SL_EUlSY_E0_NS1_11comp_targetILNS1_3genE10ELNS1_11target_archE1201ELNS1_3gpuE5ELNS1_3repE0EEENS1_38merge_mergepath_config_static_selectorELNS0_4arch9wavefront6targetE0EEEvSK_
	.p2align	8
	.type	_ZN7rocprim17ROCPRIM_400000_NS6detail17trampoline_kernelINS0_14default_configENS1_38merge_sort_block_merge_config_selectorItNS0_10empty_typeEEEZZNS1_27merge_sort_block_merge_implIS3_N6thrust23THRUST_200600_302600_NS6detail15normal_iteratorINS9_10device_ptrItEEEEPS5_m9comp_mod3ItEEE10hipError_tT0_T1_T2_jT3_P12ihipStream_tbPNSt15iterator_traitsISJ_E10value_typeEPNSP_ISK_E10value_typeEPSL_NS1_7vsmem_tEENKUlT_SJ_SK_SL_E_clISE_PtSF_SF_EESI_SY_SJ_SK_SL_EUlSY_E0_NS1_11comp_targetILNS1_3genE10ELNS1_11target_archE1201ELNS1_3gpuE5ELNS1_3repE0EEENS1_38merge_mergepath_config_static_selectorELNS0_4arch9wavefront6targetE0EEEvSK_,@function
_ZN7rocprim17ROCPRIM_400000_NS6detail17trampoline_kernelINS0_14default_configENS1_38merge_sort_block_merge_config_selectorItNS0_10empty_typeEEEZZNS1_27merge_sort_block_merge_implIS3_N6thrust23THRUST_200600_302600_NS6detail15normal_iteratorINS9_10device_ptrItEEEEPS5_m9comp_mod3ItEEE10hipError_tT0_T1_T2_jT3_P12ihipStream_tbPNSt15iterator_traitsISJ_E10value_typeEPNSP_ISK_E10value_typeEPSL_NS1_7vsmem_tEENKUlT_SJ_SK_SL_E_clISE_PtSF_SF_EESI_SY_SJ_SK_SL_EUlSY_E0_NS1_11comp_targetILNS1_3genE10ELNS1_11target_archE1201ELNS1_3gpuE5ELNS1_3repE0EEENS1_38merge_mergepath_config_static_selectorELNS0_4arch9wavefront6targetE0EEEvSK_: ; @_ZN7rocprim17ROCPRIM_400000_NS6detail17trampoline_kernelINS0_14default_configENS1_38merge_sort_block_merge_config_selectorItNS0_10empty_typeEEEZZNS1_27merge_sort_block_merge_implIS3_N6thrust23THRUST_200600_302600_NS6detail15normal_iteratorINS9_10device_ptrItEEEEPS5_m9comp_mod3ItEEE10hipError_tT0_T1_T2_jT3_P12ihipStream_tbPNSt15iterator_traitsISJ_E10value_typeEPNSP_ISK_E10value_typeEPSL_NS1_7vsmem_tEENKUlT_SJ_SK_SL_E_clISE_PtSF_SF_EESI_SY_SJ_SK_SL_EUlSY_E0_NS1_11comp_targetILNS1_3genE10ELNS1_11target_archE1201ELNS1_3gpuE5ELNS1_3repE0EEENS1_38merge_mergepath_config_static_selectorELNS0_4arch9wavefront6targetE0EEEvSK_
; %bb.0:
	.section	.rodata,"a",@progbits
	.p2align	6, 0x0
	.amdhsa_kernel _ZN7rocprim17ROCPRIM_400000_NS6detail17trampoline_kernelINS0_14default_configENS1_38merge_sort_block_merge_config_selectorItNS0_10empty_typeEEEZZNS1_27merge_sort_block_merge_implIS3_N6thrust23THRUST_200600_302600_NS6detail15normal_iteratorINS9_10device_ptrItEEEEPS5_m9comp_mod3ItEEE10hipError_tT0_T1_T2_jT3_P12ihipStream_tbPNSt15iterator_traitsISJ_E10value_typeEPNSP_ISK_E10value_typeEPSL_NS1_7vsmem_tEENKUlT_SJ_SK_SL_E_clISE_PtSF_SF_EESI_SY_SJ_SK_SL_EUlSY_E0_NS1_11comp_targetILNS1_3genE10ELNS1_11target_archE1201ELNS1_3gpuE5ELNS1_3repE0EEENS1_38merge_mergepath_config_static_selectorELNS0_4arch9wavefront6targetE0EEEvSK_
		.amdhsa_group_segment_fixed_size 0
		.amdhsa_private_segment_fixed_size 0
		.amdhsa_kernarg_size 80
		.amdhsa_user_sgpr_count 6
		.amdhsa_user_sgpr_private_segment_buffer 1
		.amdhsa_user_sgpr_dispatch_ptr 0
		.amdhsa_user_sgpr_queue_ptr 0
		.amdhsa_user_sgpr_kernarg_segment_ptr 1
		.amdhsa_user_sgpr_dispatch_id 0
		.amdhsa_user_sgpr_flat_scratch_init 0
		.amdhsa_user_sgpr_private_segment_size 0
		.amdhsa_wavefront_size32 1
		.amdhsa_uses_dynamic_stack 0
		.amdhsa_system_sgpr_private_segment_wavefront_offset 0
		.amdhsa_system_sgpr_workgroup_id_x 1
		.amdhsa_system_sgpr_workgroup_id_y 0
		.amdhsa_system_sgpr_workgroup_id_z 0
		.amdhsa_system_sgpr_workgroup_info 0
		.amdhsa_system_vgpr_workitem_id 0
		.amdhsa_next_free_vgpr 1
		.amdhsa_next_free_sgpr 1
		.amdhsa_reserve_vcc 0
		.amdhsa_reserve_flat_scratch 0
		.amdhsa_float_round_mode_32 0
		.amdhsa_float_round_mode_16_64 0
		.amdhsa_float_denorm_mode_32 3
		.amdhsa_float_denorm_mode_16_64 3
		.amdhsa_dx10_clamp 1
		.amdhsa_ieee_mode 1
		.amdhsa_fp16_overflow 0
		.amdhsa_workgroup_processor_mode 1
		.amdhsa_memory_ordered 1
		.amdhsa_forward_progress 1
		.amdhsa_shared_vgpr_count 0
		.amdhsa_exception_fp_ieee_invalid_op 0
		.amdhsa_exception_fp_denorm_src 0
		.amdhsa_exception_fp_ieee_div_zero 0
		.amdhsa_exception_fp_ieee_overflow 0
		.amdhsa_exception_fp_ieee_underflow 0
		.amdhsa_exception_fp_ieee_inexact 0
		.amdhsa_exception_int_div_zero 0
	.end_amdhsa_kernel
	.section	.text._ZN7rocprim17ROCPRIM_400000_NS6detail17trampoline_kernelINS0_14default_configENS1_38merge_sort_block_merge_config_selectorItNS0_10empty_typeEEEZZNS1_27merge_sort_block_merge_implIS3_N6thrust23THRUST_200600_302600_NS6detail15normal_iteratorINS9_10device_ptrItEEEEPS5_m9comp_mod3ItEEE10hipError_tT0_T1_T2_jT3_P12ihipStream_tbPNSt15iterator_traitsISJ_E10value_typeEPNSP_ISK_E10value_typeEPSL_NS1_7vsmem_tEENKUlT_SJ_SK_SL_E_clISE_PtSF_SF_EESI_SY_SJ_SK_SL_EUlSY_E0_NS1_11comp_targetILNS1_3genE10ELNS1_11target_archE1201ELNS1_3gpuE5ELNS1_3repE0EEENS1_38merge_mergepath_config_static_selectorELNS0_4arch9wavefront6targetE0EEEvSK_,"axG",@progbits,_ZN7rocprim17ROCPRIM_400000_NS6detail17trampoline_kernelINS0_14default_configENS1_38merge_sort_block_merge_config_selectorItNS0_10empty_typeEEEZZNS1_27merge_sort_block_merge_implIS3_N6thrust23THRUST_200600_302600_NS6detail15normal_iteratorINS9_10device_ptrItEEEEPS5_m9comp_mod3ItEEE10hipError_tT0_T1_T2_jT3_P12ihipStream_tbPNSt15iterator_traitsISJ_E10value_typeEPNSP_ISK_E10value_typeEPSL_NS1_7vsmem_tEENKUlT_SJ_SK_SL_E_clISE_PtSF_SF_EESI_SY_SJ_SK_SL_EUlSY_E0_NS1_11comp_targetILNS1_3genE10ELNS1_11target_archE1201ELNS1_3gpuE5ELNS1_3repE0EEENS1_38merge_mergepath_config_static_selectorELNS0_4arch9wavefront6targetE0EEEvSK_,comdat
.Lfunc_end907:
	.size	_ZN7rocprim17ROCPRIM_400000_NS6detail17trampoline_kernelINS0_14default_configENS1_38merge_sort_block_merge_config_selectorItNS0_10empty_typeEEEZZNS1_27merge_sort_block_merge_implIS3_N6thrust23THRUST_200600_302600_NS6detail15normal_iteratorINS9_10device_ptrItEEEEPS5_m9comp_mod3ItEEE10hipError_tT0_T1_T2_jT3_P12ihipStream_tbPNSt15iterator_traitsISJ_E10value_typeEPNSP_ISK_E10value_typeEPSL_NS1_7vsmem_tEENKUlT_SJ_SK_SL_E_clISE_PtSF_SF_EESI_SY_SJ_SK_SL_EUlSY_E0_NS1_11comp_targetILNS1_3genE10ELNS1_11target_archE1201ELNS1_3gpuE5ELNS1_3repE0EEENS1_38merge_mergepath_config_static_selectorELNS0_4arch9wavefront6targetE0EEEvSK_, .Lfunc_end907-_ZN7rocprim17ROCPRIM_400000_NS6detail17trampoline_kernelINS0_14default_configENS1_38merge_sort_block_merge_config_selectorItNS0_10empty_typeEEEZZNS1_27merge_sort_block_merge_implIS3_N6thrust23THRUST_200600_302600_NS6detail15normal_iteratorINS9_10device_ptrItEEEEPS5_m9comp_mod3ItEEE10hipError_tT0_T1_T2_jT3_P12ihipStream_tbPNSt15iterator_traitsISJ_E10value_typeEPNSP_ISK_E10value_typeEPSL_NS1_7vsmem_tEENKUlT_SJ_SK_SL_E_clISE_PtSF_SF_EESI_SY_SJ_SK_SL_EUlSY_E0_NS1_11comp_targetILNS1_3genE10ELNS1_11target_archE1201ELNS1_3gpuE5ELNS1_3repE0EEENS1_38merge_mergepath_config_static_selectorELNS0_4arch9wavefront6targetE0EEEvSK_
                                        ; -- End function
	.set _ZN7rocprim17ROCPRIM_400000_NS6detail17trampoline_kernelINS0_14default_configENS1_38merge_sort_block_merge_config_selectorItNS0_10empty_typeEEEZZNS1_27merge_sort_block_merge_implIS3_N6thrust23THRUST_200600_302600_NS6detail15normal_iteratorINS9_10device_ptrItEEEEPS5_m9comp_mod3ItEEE10hipError_tT0_T1_T2_jT3_P12ihipStream_tbPNSt15iterator_traitsISJ_E10value_typeEPNSP_ISK_E10value_typeEPSL_NS1_7vsmem_tEENKUlT_SJ_SK_SL_E_clISE_PtSF_SF_EESI_SY_SJ_SK_SL_EUlSY_E0_NS1_11comp_targetILNS1_3genE10ELNS1_11target_archE1201ELNS1_3gpuE5ELNS1_3repE0EEENS1_38merge_mergepath_config_static_selectorELNS0_4arch9wavefront6targetE0EEEvSK_.num_vgpr, 0
	.set _ZN7rocprim17ROCPRIM_400000_NS6detail17trampoline_kernelINS0_14default_configENS1_38merge_sort_block_merge_config_selectorItNS0_10empty_typeEEEZZNS1_27merge_sort_block_merge_implIS3_N6thrust23THRUST_200600_302600_NS6detail15normal_iteratorINS9_10device_ptrItEEEEPS5_m9comp_mod3ItEEE10hipError_tT0_T1_T2_jT3_P12ihipStream_tbPNSt15iterator_traitsISJ_E10value_typeEPNSP_ISK_E10value_typeEPSL_NS1_7vsmem_tEENKUlT_SJ_SK_SL_E_clISE_PtSF_SF_EESI_SY_SJ_SK_SL_EUlSY_E0_NS1_11comp_targetILNS1_3genE10ELNS1_11target_archE1201ELNS1_3gpuE5ELNS1_3repE0EEENS1_38merge_mergepath_config_static_selectorELNS0_4arch9wavefront6targetE0EEEvSK_.num_agpr, 0
	.set _ZN7rocprim17ROCPRIM_400000_NS6detail17trampoline_kernelINS0_14default_configENS1_38merge_sort_block_merge_config_selectorItNS0_10empty_typeEEEZZNS1_27merge_sort_block_merge_implIS3_N6thrust23THRUST_200600_302600_NS6detail15normal_iteratorINS9_10device_ptrItEEEEPS5_m9comp_mod3ItEEE10hipError_tT0_T1_T2_jT3_P12ihipStream_tbPNSt15iterator_traitsISJ_E10value_typeEPNSP_ISK_E10value_typeEPSL_NS1_7vsmem_tEENKUlT_SJ_SK_SL_E_clISE_PtSF_SF_EESI_SY_SJ_SK_SL_EUlSY_E0_NS1_11comp_targetILNS1_3genE10ELNS1_11target_archE1201ELNS1_3gpuE5ELNS1_3repE0EEENS1_38merge_mergepath_config_static_selectorELNS0_4arch9wavefront6targetE0EEEvSK_.numbered_sgpr, 0
	.set _ZN7rocprim17ROCPRIM_400000_NS6detail17trampoline_kernelINS0_14default_configENS1_38merge_sort_block_merge_config_selectorItNS0_10empty_typeEEEZZNS1_27merge_sort_block_merge_implIS3_N6thrust23THRUST_200600_302600_NS6detail15normal_iteratorINS9_10device_ptrItEEEEPS5_m9comp_mod3ItEEE10hipError_tT0_T1_T2_jT3_P12ihipStream_tbPNSt15iterator_traitsISJ_E10value_typeEPNSP_ISK_E10value_typeEPSL_NS1_7vsmem_tEENKUlT_SJ_SK_SL_E_clISE_PtSF_SF_EESI_SY_SJ_SK_SL_EUlSY_E0_NS1_11comp_targetILNS1_3genE10ELNS1_11target_archE1201ELNS1_3gpuE5ELNS1_3repE0EEENS1_38merge_mergepath_config_static_selectorELNS0_4arch9wavefront6targetE0EEEvSK_.num_named_barrier, 0
	.set _ZN7rocprim17ROCPRIM_400000_NS6detail17trampoline_kernelINS0_14default_configENS1_38merge_sort_block_merge_config_selectorItNS0_10empty_typeEEEZZNS1_27merge_sort_block_merge_implIS3_N6thrust23THRUST_200600_302600_NS6detail15normal_iteratorINS9_10device_ptrItEEEEPS5_m9comp_mod3ItEEE10hipError_tT0_T1_T2_jT3_P12ihipStream_tbPNSt15iterator_traitsISJ_E10value_typeEPNSP_ISK_E10value_typeEPSL_NS1_7vsmem_tEENKUlT_SJ_SK_SL_E_clISE_PtSF_SF_EESI_SY_SJ_SK_SL_EUlSY_E0_NS1_11comp_targetILNS1_3genE10ELNS1_11target_archE1201ELNS1_3gpuE5ELNS1_3repE0EEENS1_38merge_mergepath_config_static_selectorELNS0_4arch9wavefront6targetE0EEEvSK_.private_seg_size, 0
	.set _ZN7rocprim17ROCPRIM_400000_NS6detail17trampoline_kernelINS0_14default_configENS1_38merge_sort_block_merge_config_selectorItNS0_10empty_typeEEEZZNS1_27merge_sort_block_merge_implIS3_N6thrust23THRUST_200600_302600_NS6detail15normal_iteratorINS9_10device_ptrItEEEEPS5_m9comp_mod3ItEEE10hipError_tT0_T1_T2_jT3_P12ihipStream_tbPNSt15iterator_traitsISJ_E10value_typeEPNSP_ISK_E10value_typeEPSL_NS1_7vsmem_tEENKUlT_SJ_SK_SL_E_clISE_PtSF_SF_EESI_SY_SJ_SK_SL_EUlSY_E0_NS1_11comp_targetILNS1_3genE10ELNS1_11target_archE1201ELNS1_3gpuE5ELNS1_3repE0EEENS1_38merge_mergepath_config_static_selectorELNS0_4arch9wavefront6targetE0EEEvSK_.uses_vcc, 0
	.set _ZN7rocprim17ROCPRIM_400000_NS6detail17trampoline_kernelINS0_14default_configENS1_38merge_sort_block_merge_config_selectorItNS0_10empty_typeEEEZZNS1_27merge_sort_block_merge_implIS3_N6thrust23THRUST_200600_302600_NS6detail15normal_iteratorINS9_10device_ptrItEEEEPS5_m9comp_mod3ItEEE10hipError_tT0_T1_T2_jT3_P12ihipStream_tbPNSt15iterator_traitsISJ_E10value_typeEPNSP_ISK_E10value_typeEPSL_NS1_7vsmem_tEENKUlT_SJ_SK_SL_E_clISE_PtSF_SF_EESI_SY_SJ_SK_SL_EUlSY_E0_NS1_11comp_targetILNS1_3genE10ELNS1_11target_archE1201ELNS1_3gpuE5ELNS1_3repE0EEENS1_38merge_mergepath_config_static_selectorELNS0_4arch9wavefront6targetE0EEEvSK_.uses_flat_scratch, 0
	.set _ZN7rocprim17ROCPRIM_400000_NS6detail17trampoline_kernelINS0_14default_configENS1_38merge_sort_block_merge_config_selectorItNS0_10empty_typeEEEZZNS1_27merge_sort_block_merge_implIS3_N6thrust23THRUST_200600_302600_NS6detail15normal_iteratorINS9_10device_ptrItEEEEPS5_m9comp_mod3ItEEE10hipError_tT0_T1_T2_jT3_P12ihipStream_tbPNSt15iterator_traitsISJ_E10value_typeEPNSP_ISK_E10value_typeEPSL_NS1_7vsmem_tEENKUlT_SJ_SK_SL_E_clISE_PtSF_SF_EESI_SY_SJ_SK_SL_EUlSY_E0_NS1_11comp_targetILNS1_3genE10ELNS1_11target_archE1201ELNS1_3gpuE5ELNS1_3repE0EEENS1_38merge_mergepath_config_static_selectorELNS0_4arch9wavefront6targetE0EEEvSK_.has_dyn_sized_stack, 0
	.set _ZN7rocprim17ROCPRIM_400000_NS6detail17trampoline_kernelINS0_14default_configENS1_38merge_sort_block_merge_config_selectorItNS0_10empty_typeEEEZZNS1_27merge_sort_block_merge_implIS3_N6thrust23THRUST_200600_302600_NS6detail15normal_iteratorINS9_10device_ptrItEEEEPS5_m9comp_mod3ItEEE10hipError_tT0_T1_T2_jT3_P12ihipStream_tbPNSt15iterator_traitsISJ_E10value_typeEPNSP_ISK_E10value_typeEPSL_NS1_7vsmem_tEENKUlT_SJ_SK_SL_E_clISE_PtSF_SF_EESI_SY_SJ_SK_SL_EUlSY_E0_NS1_11comp_targetILNS1_3genE10ELNS1_11target_archE1201ELNS1_3gpuE5ELNS1_3repE0EEENS1_38merge_mergepath_config_static_selectorELNS0_4arch9wavefront6targetE0EEEvSK_.has_recursion, 0
	.set _ZN7rocprim17ROCPRIM_400000_NS6detail17trampoline_kernelINS0_14default_configENS1_38merge_sort_block_merge_config_selectorItNS0_10empty_typeEEEZZNS1_27merge_sort_block_merge_implIS3_N6thrust23THRUST_200600_302600_NS6detail15normal_iteratorINS9_10device_ptrItEEEEPS5_m9comp_mod3ItEEE10hipError_tT0_T1_T2_jT3_P12ihipStream_tbPNSt15iterator_traitsISJ_E10value_typeEPNSP_ISK_E10value_typeEPSL_NS1_7vsmem_tEENKUlT_SJ_SK_SL_E_clISE_PtSF_SF_EESI_SY_SJ_SK_SL_EUlSY_E0_NS1_11comp_targetILNS1_3genE10ELNS1_11target_archE1201ELNS1_3gpuE5ELNS1_3repE0EEENS1_38merge_mergepath_config_static_selectorELNS0_4arch9wavefront6targetE0EEEvSK_.has_indirect_call, 0
	.section	.AMDGPU.csdata,"",@progbits
; Kernel info:
; codeLenInByte = 0
; TotalNumSgprs: 0
; NumVgprs: 0
; ScratchSize: 0
; MemoryBound: 0
; FloatMode: 240
; IeeeMode: 1
; LDSByteSize: 0 bytes/workgroup (compile time only)
; SGPRBlocks: 0
; VGPRBlocks: 0
; NumSGPRsForWavesPerEU: 1
; NumVGPRsForWavesPerEU: 1
; Occupancy: 16
; WaveLimiterHint : 0
; COMPUTE_PGM_RSRC2:SCRATCH_EN: 0
; COMPUTE_PGM_RSRC2:USER_SGPR: 6
; COMPUTE_PGM_RSRC2:TRAP_HANDLER: 0
; COMPUTE_PGM_RSRC2:TGID_X_EN: 1
; COMPUTE_PGM_RSRC2:TGID_Y_EN: 0
; COMPUTE_PGM_RSRC2:TGID_Z_EN: 0
; COMPUTE_PGM_RSRC2:TIDIG_COMP_CNT: 0
	.section	.text._ZN7rocprim17ROCPRIM_400000_NS6detail17trampoline_kernelINS0_14default_configENS1_38merge_sort_block_merge_config_selectorItNS0_10empty_typeEEEZZNS1_27merge_sort_block_merge_implIS3_N6thrust23THRUST_200600_302600_NS6detail15normal_iteratorINS9_10device_ptrItEEEEPS5_m9comp_mod3ItEEE10hipError_tT0_T1_T2_jT3_P12ihipStream_tbPNSt15iterator_traitsISJ_E10value_typeEPNSP_ISK_E10value_typeEPSL_NS1_7vsmem_tEENKUlT_SJ_SK_SL_E_clISE_PtSF_SF_EESI_SY_SJ_SK_SL_EUlSY_E0_NS1_11comp_targetILNS1_3genE5ELNS1_11target_archE942ELNS1_3gpuE9ELNS1_3repE0EEENS1_38merge_mergepath_config_static_selectorELNS0_4arch9wavefront6targetE0EEEvSK_,"axG",@progbits,_ZN7rocprim17ROCPRIM_400000_NS6detail17trampoline_kernelINS0_14default_configENS1_38merge_sort_block_merge_config_selectorItNS0_10empty_typeEEEZZNS1_27merge_sort_block_merge_implIS3_N6thrust23THRUST_200600_302600_NS6detail15normal_iteratorINS9_10device_ptrItEEEEPS5_m9comp_mod3ItEEE10hipError_tT0_T1_T2_jT3_P12ihipStream_tbPNSt15iterator_traitsISJ_E10value_typeEPNSP_ISK_E10value_typeEPSL_NS1_7vsmem_tEENKUlT_SJ_SK_SL_E_clISE_PtSF_SF_EESI_SY_SJ_SK_SL_EUlSY_E0_NS1_11comp_targetILNS1_3genE5ELNS1_11target_archE942ELNS1_3gpuE9ELNS1_3repE0EEENS1_38merge_mergepath_config_static_selectorELNS0_4arch9wavefront6targetE0EEEvSK_,comdat
	.protected	_ZN7rocprim17ROCPRIM_400000_NS6detail17trampoline_kernelINS0_14default_configENS1_38merge_sort_block_merge_config_selectorItNS0_10empty_typeEEEZZNS1_27merge_sort_block_merge_implIS3_N6thrust23THRUST_200600_302600_NS6detail15normal_iteratorINS9_10device_ptrItEEEEPS5_m9comp_mod3ItEEE10hipError_tT0_T1_T2_jT3_P12ihipStream_tbPNSt15iterator_traitsISJ_E10value_typeEPNSP_ISK_E10value_typeEPSL_NS1_7vsmem_tEENKUlT_SJ_SK_SL_E_clISE_PtSF_SF_EESI_SY_SJ_SK_SL_EUlSY_E0_NS1_11comp_targetILNS1_3genE5ELNS1_11target_archE942ELNS1_3gpuE9ELNS1_3repE0EEENS1_38merge_mergepath_config_static_selectorELNS0_4arch9wavefront6targetE0EEEvSK_ ; -- Begin function _ZN7rocprim17ROCPRIM_400000_NS6detail17trampoline_kernelINS0_14default_configENS1_38merge_sort_block_merge_config_selectorItNS0_10empty_typeEEEZZNS1_27merge_sort_block_merge_implIS3_N6thrust23THRUST_200600_302600_NS6detail15normal_iteratorINS9_10device_ptrItEEEEPS5_m9comp_mod3ItEEE10hipError_tT0_T1_T2_jT3_P12ihipStream_tbPNSt15iterator_traitsISJ_E10value_typeEPNSP_ISK_E10value_typeEPSL_NS1_7vsmem_tEENKUlT_SJ_SK_SL_E_clISE_PtSF_SF_EESI_SY_SJ_SK_SL_EUlSY_E0_NS1_11comp_targetILNS1_3genE5ELNS1_11target_archE942ELNS1_3gpuE9ELNS1_3repE0EEENS1_38merge_mergepath_config_static_selectorELNS0_4arch9wavefront6targetE0EEEvSK_
	.globl	_ZN7rocprim17ROCPRIM_400000_NS6detail17trampoline_kernelINS0_14default_configENS1_38merge_sort_block_merge_config_selectorItNS0_10empty_typeEEEZZNS1_27merge_sort_block_merge_implIS3_N6thrust23THRUST_200600_302600_NS6detail15normal_iteratorINS9_10device_ptrItEEEEPS5_m9comp_mod3ItEEE10hipError_tT0_T1_T2_jT3_P12ihipStream_tbPNSt15iterator_traitsISJ_E10value_typeEPNSP_ISK_E10value_typeEPSL_NS1_7vsmem_tEENKUlT_SJ_SK_SL_E_clISE_PtSF_SF_EESI_SY_SJ_SK_SL_EUlSY_E0_NS1_11comp_targetILNS1_3genE5ELNS1_11target_archE942ELNS1_3gpuE9ELNS1_3repE0EEENS1_38merge_mergepath_config_static_selectorELNS0_4arch9wavefront6targetE0EEEvSK_
	.p2align	8
	.type	_ZN7rocprim17ROCPRIM_400000_NS6detail17trampoline_kernelINS0_14default_configENS1_38merge_sort_block_merge_config_selectorItNS0_10empty_typeEEEZZNS1_27merge_sort_block_merge_implIS3_N6thrust23THRUST_200600_302600_NS6detail15normal_iteratorINS9_10device_ptrItEEEEPS5_m9comp_mod3ItEEE10hipError_tT0_T1_T2_jT3_P12ihipStream_tbPNSt15iterator_traitsISJ_E10value_typeEPNSP_ISK_E10value_typeEPSL_NS1_7vsmem_tEENKUlT_SJ_SK_SL_E_clISE_PtSF_SF_EESI_SY_SJ_SK_SL_EUlSY_E0_NS1_11comp_targetILNS1_3genE5ELNS1_11target_archE942ELNS1_3gpuE9ELNS1_3repE0EEENS1_38merge_mergepath_config_static_selectorELNS0_4arch9wavefront6targetE0EEEvSK_,@function
_ZN7rocprim17ROCPRIM_400000_NS6detail17trampoline_kernelINS0_14default_configENS1_38merge_sort_block_merge_config_selectorItNS0_10empty_typeEEEZZNS1_27merge_sort_block_merge_implIS3_N6thrust23THRUST_200600_302600_NS6detail15normal_iteratorINS9_10device_ptrItEEEEPS5_m9comp_mod3ItEEE10hipError_tT0_T1_T2_jT3_P12ihipStream_tbPNSt15iterator_traitsISJ_E10value_typeEPNSP_ISK_E10value_typeEPSL_NS1_7vsmem_tEENKUlT_SJ_SK_SL_E_clISE_PtSF_SF_EESI_SY_SJ_SK_SL_EUlSY_E0_NS1_11comp_targetILNS1_3genE5ELNS1_11target_archE942ELNS1_3gpuE9ELNS1_3repE0EEENS1_38merge_mergepath_config_static_selectorELNS0_4arch9wavefront6targetE0EEEvSK_: ; @_ZN7rocprim17ROCPRIM_400000_NS6detail17trampoline_kernelINS0_14default_configENS1_38merge_sort_block_merge_config_selectorItNS0_10empty_typeEEEZZNS1_27merge_sort_block_merge_implIS3_N6thrust23THRUST_200600_302600_NS6detail15normal_iteratorINS9_10device_ptrItEEEEPS5_m9comp_mod3ItEEE10hipError_tT0_T1_T2_jT3_P12ihipStream_tbPNSt15iterator_traitsISJ_E10value_typeEPNSP_ISK_E10value_typeEPSL_NS1_7vsmem_tEENKUlT_SJ_SK_SL_E_clISE_PtSF_SF_EESI_SY_SJ_SK_SL_EUlSY_E0_NS1_11comp_targetILNS1_3genE5ELNS1_11target_archE942ELNS1_3gpuE9ELNS1_3repE0EEENS1_38merge_mergepath_config_static_selectorELNS0_4arch9wavefront6targetE0EEEvSK_
; %bb.0:
	.section	.rodata,"a",@progbits
	.p2align	6, 0x0
	.amdhsa_kernel _ZN7rocprim17ROCPRIM_400000_NS6detail17trampoline_kernelINS0_14default_configENS1_38merge_sort_block_merge_config_selectorItNS0_10empty_typeEEEZZNS1_27merge_sort_block_merge_implIS3_N6thrust23THRUST_200600_302600_NS6detail15normal_iteratorINS9_10device_ptrItEEEEPS5_m9comp_mod3ItEEE10hipError_tT0_T1_T2_jT3_P12ihipStream_tbPNSt15iterator_traitsISJ_E10value_typeEPNSP_ISK_E10value_typeEPSL_NS1_7vsmem_tEENKUlT_SJ_SK_SL_E_clISE_PtSF_SF_EESI_SY_SJ_SK_SL_EUlSY_E0_NS1_11comp_targetILNS1_3genE5ELNS1_11target_archE942ELNS1_3gpuE9ELNS1_3repE0EEENS1_38merge_mergepath_config_static_selectorELNS0_4arch9wavefront6targetE0EEEvSK_
		.amdhsa_group_segment_fixed_size 0
		.amdhsa_private_segment_fixed_size 0
		.amdhsa_kernarg_size 80
		.amdhsa_user_sgpr_count 6
		.amdhsa_user_sgpr_private_segment_buffer 1
		.amdhsa_user_sgpr_dispatch_ptr 0
		.amdhsa_user_sgpr_queue_ptr 0
		.amdhsa_user_sgpr_kernarg_segment_ptr 1
		.amdhsa_user_sgpr_dispatch_id 0
		.amdhsa_user_sgpr_flat_scratch_init 0
		.amdhsa_user_sgpr_private_segment_size 0
		.amdhsa_wavefront_size32 1
		.amdhsa_uses_dynamic_stack 0
		.amdhsa_system_sgpr_private_segment_wavefront_offset 0
		.amdhsa_system_sgpr_workgroup_id_x 1
		.amdhsa_system_sgpr_workgroup_id_y 0
		.amdhsa_system_sgpr_workgroup_id_z 0
		.amdhsa_system_sgpr_workgroup_info 0
		.amdhsa_system_vgpr_workitem_id 0
		.amdhsa_next_free_vgpr 1
		.amdhsa_next_free_sgpr 1
		.amdhsa_reserve_vcc 0
		.amdhsa_reserve_flat_scratch 0
		.amdhsa_float_round_mode_32 0
		.amdhsa_float_round_mode_16_64 0
		.amdhsa_float_denorm_mode_32 3
		.amdhsa_float_denorm_mode_16_64 3
		.amdhsa_dx10_clamp 1
		.amdhsa_ieee_mode 1
		.amdhsa_fp16_overflow 0
		.amdhsa_workgroup_processor_mode 1
		.amdhsa_memory_ordered 1
		.amdhsa_forward_progress 1
		.amdhsa_shared_vgpr_count 0
		.amdhsa_exception_fp_ieee_invalid_op 0
		.amdhsa_exception_fp_denorm_src 0
		.amdhsa_exception_fp_ieee_div_zero 0
		.amdhsa_exception_fp_ieee_overflow 0
		.amdhsa_exception_fp_ieee_underflow 0
		.amdhsa_exception_fp_ieee_inexact 0
		.amdhsa_exception_int_div_zero 0
	.end_amdhsa_kernel
	.section	.text._ZN7rocprim17ROCPRIM_400000_NS6detail17trampoline_kernelINS0_14default_configENS1_38merge_sort_block_merge_config_selectorItNS0_10empty_typeEEEZZNS1_27merge_sort_block_merge_implIS3_N6thrust23THRUST_200600_302600_NS6detail15normal_iteratorINS9_10device_ptrItEEEEPS5_m9comp_mod3ItEEE10hipError_tT0_T1_T2_jT3_P12ihipStream_tbPNSt15iterator_traitsISJ_E10value_typeEPNSP_ISK_E10value_typeEPSL_NS1_7vsmem_tEENKUlT_SJ_SK_SL_E_clISE_PtSF_SF_EESI_SY_SJ_SK_SL_EUlSY_E0_NS1_11comp_targetILNS1_3genE5ELNS1_11target_archE942ELNS1_3gpuE9ELNS1_3repE0EEENS1_38merge_mergepath_config_static_selectorELNS0_4arch9wavefront6targetE0EEEvSK_,"axG",@progbits,_ZN7rocprim17ROCPRIM_400000_NS6detail17trampoline_kernelINS0_14default_configENS1_38merge_sort_block_merge_config_selectorItNS0_10empty_typeEEEZZNS1_27merge_sort_block_merge_implIS3_N6thrust23THRUST_200600_302600_NS6detail15normal_iteratorINS9_10device_ptrItEEEEPS5_m9comp_mod3ItEEE10hipError_tT0_T1_T2_jT3_P12ihipStream_tbPNSt15iterator_traitsISJ_E10value_typeEPNSP_ISK_E10value_typeEPSL_NS1_7vsmem_tEENKUlT_SJ_SK_SL_E_clISE_PtSF_SF_EESI_SY_SJ_SK_SL_EUlSY_E0_NS1_11comp_targetILNS1_3genE5ELNS1_11target_archE942ELNS1_3gpuE9ELNS1_3repE0EEENS1_38merge_mergepath_config_static_selectorELNS0_4arch9wavefront6targetE0EEEvSK_,comdat
.Lfunc_end908:
	.size	_ZN7rocprim17ROCPRIM_400000_NS6detail17trampoline_kernelINS0_14default_configENS1_38merge_sort_block_merge_config_selectorItNS0_10empty_typeEEEZZNS1_27merge_sort_block_merge_implIS3_N6thrust23THRUST_200600_302600_NS6detail15normal_iteratorINS9_10device_ptrItEEEEPS5_m9comp_mod3ItEEE10hipError_tT0_T1_T2_jT3_P12ihipStream_tbPNSt15iterator_traitsISJ_E10value_typeEPNSP_ISK_E10value_typeEPSL_NS1_7vsmem_tEENKUlT_SJ_SK_SL_E_clISE_PtSF_SF_EESI_SY_SJ_SK_SL_EUlSY_E0_NS1_11comp_targetILNS1_3genE5ELNS1_11target_archE942ELNS1_3gpuE9ELNS1_3repE0EEENS1_38merge_mergepath_config_static_selectorELNS0_4arch9wavefront6targetE0EEEvSK_, .Lfunc_end908-_ZN7rocprim17ROCPRIM_400000_NS6detail17trampoline_kernelINS0_14default_configENS1_38merge_sort_block_merge_config_selectorItNS0_10empty_typeEEEZZNS1_27merge_sort_block_merge_implIS3_N6thrust23THRUST_200600_302600_NS6detail15normal_iteratorINS9_10device_ptrItEEEEPS5_m9comp_mod3ItEEE10hipError_tT0_T1_T2_jT3_P12ihipStream_tbPNSt15iterator_traitsISJ_E10value_typeEPNSP_ISK_E10value_typeEPSL_NS1_7vsmem_tEENKUlT_SJ_SK_SL_E_clISE_PtSF_SF_EESI_SY_SJ_SK_SL_EUlSY_E0_NS1_11comp_targetILNS1_3genE5ELNS1_11target_archE942ELNS1_3gpuE9ELNS1_3repE0EEENS1_38merge_mergepath_config_static_selectorELNS0_4arch9wavefront6targetE0EEEvSK_
                                        ; -- End function
	.set _ZN7rocprim17ROCPRIM_400000_NS6detail17trampoline_kernelINS0_14default_configENS1_38merge_sort_block_merge_config_selectorItNS0_10empty_typeEEEZZNS1_27merge_sort_block_merge_implIS3_N6thrust23THRUST_200600_302600_NS6detail15normal_iteratorINS9_10device_ptrItEEEEPS5_m9comp_mod3ItEEE10hipError_tT0_T1_T2_jT3_P12ihipStream_tbPNSt15iterator_traitsISJ_E10value_typeEPNSP_ISK_E10value_typeEPSL_NS1_7vsmem_tEENKUlT_SJ_SK_SL_E_clISE_PtSF_SF_EESI_SY_SJ_SK_SL_EUlSY_E0_NS1_11comp_targetILNS1_3genE5ELNS1_11target_archE942ELNS1_3gpuE9ELNS1_3repE0EEENS1_38merge_mergepath_config_static_selectorELNS0_4arch9wavefront6targetE0EEEvSK_.num_vgpr, 0
	.set _ZN7rocprim17ROCPRIM_400000_NS6detail17trampoline_kernelINS0_14default_configENS1_38merge_sort_block_merge_config_selectorItNS0_10empty_typeEEEZZNS1_27merge_sort_block_merge_implIS3_N6thrust23THRUST_200600_302600_NS6detail15normal_iteratorINS9_10device_ptrItEEEEPS5_m9comp_mod3ItEEE10hipError_tT0_T1_T2_jT3_P12ihipStream_tbPNSt15iterator_traitsISJ_E10value_typeEPNSP_ISK_E10value_typeEPSL_NS1_7vsmem_tEENKUlT_SJ_SK_SL_E_clISE_PtSF_SF_EESI_SY_SJ_SK_SL_EUlSY_E0_NS1_11comp_targetILNS1_3genE5ELNS1_11target_archE942ELNS1_3gpuE9ELNS1_3repE0EEENS1_38merge_mergepath_config_static_selectorELNS0_4arch9wavefront6targetE0EEEvSK_.num_agpr, 0
	.set _ZN7rocprim17ROCPRIM_400000_NS6detail17trampoline_kernelINS0_14default_configENS1_38merge_sort_block_merge_config_selectorItNS0_10empty_typeEEEZZNS1_27merge_sort_block_merge_implIS3_N6thrust23THRUST_200600_302600_NS6detail15normal_iteratorINS9_10device_ptrItEEEEPS5_m9comp_mod3ItEEE10hipError_tT0_T1_T2_jT3_P12ihipStream_tbPNSt15iterator_traitsISJ_E10value_typeEPNSP_ISK_E10value_typeEPSL_NS1_7vsmem_tEENKUlT_SJ_SK_SL_E_clISE_PtSF_SF_EESI_SY_SJ_SK_SL_EUlSY_E0_NS1_11comp_targetILNS1_3genE5ELNS1_11target_archE942ELNS1_3gpuE9ELNS1_3repE0EEENS1_38merge_mergepath_config_static_selectorELNS0_4arch9wavefront6targetE0EEEvSK_.numbered_sgpr, 0
	.set _ZN7rocprim17ROCPRIM_400000_NS6detail17trampoline_kernelINS0_14default_configENS1_38merge_sort_block_merge_config_selectorItNS0_10empty_typeEEEZZNS1_27merge_sort_block_merge_implIS3_N6thrust23THRUST_200600_302600_NS6detail15normal_iteratorINS9_10device_ptrItEEEEPS5_m9comp_mod3ItEEE10hipError_tT0_T1_T2_jT3_P12ihipStream_tbPNSt15iterator_traitsISJ_E10value_typeEPNSP_ISK_E10value_typeEPSL_NS1_7vsmem_tEENKUlT_SJ_SK_SL_E_clISE_PtSF_SF_EESI_SY_SJ_SK_SL_EUlSY_E0_NS1_11comp_targetILNS1_3genE5ELNS1_11target_archE942ELNS1_3gpuE9ELNS1_3repE0EEENS1_38merge_mergepath_config_static_selectorELNS0_4arch9wavefront6targetE0EEEvSK_.num_named_barrier, 0
	.set _ZN7rocprim17ROCPRIM_400000_NS6detail17trampoline_kernelINS0_14default_configENS1_38merge_sort_block_merge_config_selectorItNS0_10empty_typeEEEZZNS1_27merge_sort_block_merge_implIS3_N6thrust23THRUST_200600_302600_NS6detail15normal_iteratorINS9_10device_ptrItEEEEPS5_m9comp_mod3ItEEE10hipError_tT0_T1_T2_jT3_P12ihipStream_tbPNSt15iterator_traitsISJ_E10value_typeEPNSP_ISK_E10value_typeEPSL_NS1_7vsmem_tEENKUlT_SJ_SK_SL_E_clISE_PtSF_SF_EESI_SY_SJ_SK_SL_EUlSY_E0_NS1_11comp_targetILNS1_3genE5ELNS1_11target_archE942ELNS1_3gpuE9ELNS1_3repE0EEENS1_38merge_mergepath_config_static_selectorELNS0_4arch9wavefront6targetE0EEEvSK_.private_seg_size, 0
	.set _ZN7rocprim17ROCPRIM_400000_NS6detail17trampoline_kernelINS0_14default_configENS1_38merge_sort_block_merge_config_selectorItNS0_10empty_typeEEEZZNS1_27merge_sort_block_merge_implIS3_N6thrust23THRUST_200600_302600_NS6detail15normal_iteratorINS9_10device_ptrItEEEEPS5_m9comp_mod3ItEEE10hipError_tT0_T1_T2_jT3_P12ihipStream_tbPNSt15iterator_traitsISJ_E10value_typeEPNSP_ISK_E10value_typeEPSL_NS1_7vsmem_tEENKUlT_SJ_SK_SL_E_clISE_PtSF_SF_EESI_SY_SJ_SK_SL_EUlSY_E0_NS1_11comp_targetILNS1_3genE5ELNS1_11target_archE942ELNS1_3gpuE9ELNS1_3repE0EEENS1_38merge_mergepath_config_static_selectorELNS0_4arch9wavefront6targetE0EEEvSK_.uses_vcc, 0
	.set _ZN7rocprim17ROCPRIM_400000_NS6detail17trampoline_kernelINS0_14default_configENS1_38merge_sort_block_merge_config_selectorItNS0_10empty_typeEEEZZNS1_27merge_sort_block_merge_implIS3_N6thrust23THRUST_200600_302600_NS6detail15normal_iteratorINS9_10device_ptrItEEEEPS5_m9comp_mod3ItEEE10hipError_tT0_T1_T2_jT3_P12ihipStream_tbPNSt15iterator_traitsISJ_E10value_typeEPNSP_ISK_E10value_typeEPSL_NS1_7vsmem_tEENKUlT_SJ_SK_SL_E_clISE_PtSF_SF_EESI_SY_SJ_SK_SL_EUlSY_E0_NS1_11comp_targetILNS1_3genE5ELNS1_11target_archE942ELNS1_3gpuE9ELNS1_3repE0EEENS1_38merge_mergepath_config_static_selectorELNS0_4arch9wavefront6targetE0EEEvSK_.uses_flat_scratch, 0
	.set _ZN7rocprim17ROCPRIM_400000_NS6detail17trampoline_kernelINS0_14default_configENS1_38merge_sort_block_merge_config_selectorItNS0_10empty_typeEEEZZNS1_27merge_sort_block_merge_implIS3_N6thrust23THRUST_200600_302600_NS6detail15normal_iteratorINS9_10device_ptrItEEEEPS5_m9comp_mod3ItEEE10hipError_tT0_T1_T2_jT3_P12ihipStream_tbPNSt15iterator_traitsISJ_E10value_typeEPNSP_ISK_E10value_typeEPSL_NS1_7vsmem_tEENKUlT_SJ_SK_SL_E_clISE_PtSF_SF_EESI_SY_SJ_SK_SL_EUlSY_E0_NS1_11comp_targetILNS1_3genE5ELNS1_11target_archE942ELNS1_3gpuE9ELNS1_3repE0EEENS1_38merge_mergepath_config_static_selectorELNS0_4arch9wavefront6targetE0EEEvSK_.has_dyn_sized_stack, 0
	.set _ZN7rocprim17ROCPRIM_400000_NS6detail17trampoline_kernelINS0_14default_configENS1_38merge_sort_block_merge_config_selectorItNS0_10empty_typeEEEZZNS1_27merge_sort_block_merge_implIS3_N6thrust23THRUST_200600_302600_NS6detail15normal_iteratorINS9_10device_ptrItEEEEPS5_m9comp_mod3ItEEE10hipError_tT0_T1_T2_jT3_P12ihipStream_tbPNSt15iterator_traitsISJ_E10value_typeEPNSP_ISK_E10value_typeEPSL_NS1_7vsmem_tEENKUlT_SJ_SK_SL_E_clISE_PtSF_SF_EESI_SY_SJ_SK_SL_EUlSY_E0_NS1_11comp_targetILNS1_3genE5ELNS1_11target_archE942ELNS1_3gpuE9ELNS1_3repE0EEENS1_38merge_mergepath_config_static_selectorELNS0_4arch9wavefront6targetE0EEEvSK_.has_recursion, 0
	.set _ZN7rocprim17ROCPRIM_400000_NS6detail17trampoline_kernelINS0_14default_configENS1_38merge_sort_block_merge_config_selectorItNS0_10empty_typeEEEZZNS1_27merge_sort_block_merge_implIS3_N6thrust23THRUST_200600_302600_NS6detail15normal_iteratorINS9_10device_ptrItEEEEPS5_m9comp_mod3ItEEE10hipError_tT0_T1_T2_jT3_P12ihipStream_tbPNSt15iterator_traitsISJ_E10value_typeEPNSP_ISK_E10value_typeEPSL_NS1_7vsmem_tEENKUlT_SJ_SK_SL_E_clISE_PtSF_SF_EESI_SY_SJ_SK_SL_EUlSY_E0_NS1_11comp_targetILNS1_3genE5ELNS1_11target_archE942ELNS1_3gpuE9ELNS1_3repE0EEENS1_38merge_mergepath_config_static_selectorELNS0_4arch9wavefront6targetE0EEEvSK_.has_indirect_call, 0
	.section	.AMDGPU.csdata,"",@progbits
; Kernel info:
; codeLenInByte = 0
; TotalNumSgprs: 0
; NumVgprs: 0
; ScratchSize: 0
; MemoryBound: 0
; FloatMode: 240
; IeeeMode: 1
; LDSByteSize: 0 bytes/workgroup (compile time only)
; SGPRBlocks: 0
; VGPRBlocks: 0
; NumSGPRsForWavesPerEU: 1
; NumVGPRsForWavesPerEU: 1
; Occupancy: 16
; WaveLimiterHint : 0
; COMPUTE_PGM_RSRC2:SCRATCH_EN: 0
; COMPUTE_PGM_RSRC2:USER_SGPR: 6
; COMPUTE_PGM_RSRC2:TRAP_HANDLER: 0
; COMPUTE_PGM_RSRC2:TGID_X_EN: 1
; COMPUTE_PGM_RSRC2:TGID_Y_EN: 0
; COMPUTE_PGM_RSRC2:TGID_Z_EN: 0
; COMPUTE_PGM_RSRC2:TIDIG_COMP_CNT: 0
	.section	.text._ZN7rocprim17ROCPRIM_400000_NS6detail17trampoline_kernelINS0_14default_configENS1_38merge_sort_block_merge_config_selectorItNS0_10empty_typeEEEZZNS1_27merge_sort_block_merge_implIS3_N6thrust23THRUST_200600_302600_NS6detail15normal_iteratorINS9_10device_ptrItEEEEPS5_m9comp_mod3ItEEE10hipError_tT0_T1_T2_jT3_P12ihipStream_tbPNSt15iterator_traitsISJ_E10value_typeEPNSP_ISK_E10value_typeEPSL_NS1_7vsmem_tEENKUlT_SJ_SK_SL_E_clISE_PtSF_SF_EESI_SY_SJ_SK_SL_EUlSY_E0_NS1_11comp_targetILNS1_3genE4ELNS1_11target_archE910ELNS1_3gpuE8ELNS1_3repE0EEENS1_38merge_mergepath_config_static_selectorELNS0_4arch9wavefront6targetE0EEEvSK_,"axG",@progbits,_ZN7rocprim17ROCPRIM_400000_NS6detail17trampoline_kernelINS0_14default_configENS1_38merge_sort_block_merge_config_selectorItNS0_10empty_typeEEEZZNS1_27merge_sort_block_merge_implIS3_N6thrust23THRUST_200600_302600_NS6detail15normal_iteratorINS9_10device_ptrItEEEEPS5_m9comp_mod3ItEEE10hipError_tT0_T1_T2_jT3_P12ihipStream_tbPNSt15iterator_traitsISJ_E10value_typeEPNSP_ISK_E10value_typeEPSL_NS1_7vsmem_tEENKUlT_SJ_SK_SL_E_clISE_PtSF_SF_EESI_SY_SJ_SK_SL_EUlSY_E0_NS1_11comp_targetILNS1_3genE4ELNS1_11target_archE910ELNS1_3gpuE8ELNS1_3repE0EEENS1_38merge_mergepath_config_static_selectorELNS0_4arch9wavefront6targetE0EEEvSK_,comdat
	.protected	_ZN7rocprim17ROCPRIM_400000_NS6detail17trampoline_kernelINS0_14default_configENS1_38merge_sort_block_merge_config_selectorItNS0_10empty_typeEEEZZNS1_27merge_sort_block_merge_implIS3_N6thrust23THRUST_200600_302600_NS6detail15normal_iteratorINS9_10device_ptrItEEEEPS5_m9comp_mod3ItEEE10hipError_tT0_T1_T2_jT3_P12ihipStream_tbPNSt15iterator_traitsISJ_E10value_typeEPNSP_ISK_E10value_typeEPSL_NS1_7vsmem_tEENKUlT_SJ_SK_SL_E_clISE_PtSF_SF_EESI_SY_SJ_SK_SL_EUlSY_E0_NS1_11comp_targetILNS1_3genE4ELNS1_11target_archE910ELNS1_3gpuE8ELNS1_3repE0EEENS1_38merge_mergepath_config_static_selectorELNS0_4arch9wavefront6targetE0EEEvSK_ ; -- Begin function _ZN7rocprim17ROCPRIM_400000_NS6detail17trampoline_kernelINS0_14default_configENS1_38merge_sort_block_merge_config_selectorItNS0_10empty_typeEEEZZNS1_27merge_sort_block_merge_implIS3_N6thrust23THRUST_200600_302600_NS6detail15normal_iteratorINS9_10device_ptrItEEEEPS5_m9comp_mod3ItEEE10hipError_tT0_T1_T2_jT3_P12ihipStream_tbPNSt15iterator_traitsISJ_E10value_typeEPNSP_ISK_E10value_typeEPSL_NS1_7vsmem_tEENKUlT_SJ_SK_SL_E_clISE_PtSF_SF_EESI_SY_SJ_SK_SL_EUlSY_E0_NS1_11comp_targetILNS1_3genE4ELNS1_11target_archE910ELNS1_3gpuE8ELNS1_3repE0EEENS1_38merge_mergepath_config_static_selectorELNS0_4arch9wavefront6targetE0EEEvSK_
	.globl	_ZN7rocprim17ROCPRIM_400000_NS6detail17trampoline_kernelINS0_14default_configENS1_38merge_sort_block_merge_config_selectorItNS0_10empty_typeEEEZZNS1_27merge_sort_block_merge_implIS3_N6thrust23THRUST_200600_302600_NS6detail15normal_iteratorINS9_10device_ptrItEEEEPS5_m9comp_mod3ItEEE10hipError_tT0_T1_T2_jT3_P12ihipStream_tbPNSt15iterator_traitsISJ_E10value_typeEPNSP_ISK_E10value_typeEPSL_NS1_7vsmem_tEENKUlT_SJ_SK_SL_E_clISE_PtSF_SF_EESI_SY_SJ_SK_SL_EUlSY_E0_NS1_11comp_targetILNS1_3genE4ELNS1_11target_archE910ELNS1_3gpuE8ELNS1_3repE0EEENS1_38merge_mergepath_config_static_selectorELNS0_4arch9wavefront6targetE0EEEvSK_
	.p2align	8
	.type	_ZN7rocprim17ROCPRIM_400000_NS6detail17trampoline_kernelINS0_14default_configENS1_38merge_sort_block_merge_config_selectorItNS0_10empty_typeEEEZZNS1_27merge_sort_block_merge_implIS3_N6thrust23THRUST_200600_302600_NS6detail15normal_iteratorINS9_10device_ptrItEEEEPS5_m9comp_mod3ItEEE10hipError_tT0_T1_T2_jT3_P12ihipStream_tbPNSt15iterator_traitsISJ_E10value_typeEPNSP_ISK_E10value_typeEPSL_NS1_7vsmem_tEENKUlT_SJ_SK_SL_E_clISE_PtSF_SF_EESI_SY_SJ_SK_SL_EUlSY_E0_NS1_11comp_targetILNS1_3genE4ELNS1_11target_archE910ELNS1_3gpuE8ELNS1_3repE0EEENS1_38merge_mergepath_config_static_selectorELNS0_4arch9wavefront6targetE0EEEvSK_,@function
_ZN7rocprim17ROCPRIM_400000_NS6detail17trampoline_kernelINS0_14default_configENS1_38merge_sort_block_merge_config_selectorItNS0_10empty_typeEEEZZNS1_27merge_sort_block_merge_implIS3_N6thrust23THRUST_200600_302600_NS6detail15normal_iteratorINS9_10device_ptrItEEEEPS5_m9comp_mod3ItEEE10hipError_tT0_T1_T2_jT3_P12ihipStream_tbPNSt15iterator_traitsISJ_E10value_typeEPNSP_ISK_E10value_typeEPSL_NS1_7vsmem_tEENKUlT_SJ_SK_SL_E_clISE_PtSF_SF_EESI_SY_SJ_SK_SL_EUlSY_E0_NS1_11comp_targetILNS1_3genE4ELNS1_11target_archE910ELNS1_3gpuE8ELNS1_3repE0EEENS1_38merge_mergepath_config_static_selectorELNS0_4arch9wavefront6targetE0EEEvSK_: ; @_ZN7rocprim17ROCPRIM_400000_NS6detail17trampoline_kernelINS0_14default_configENS1_38merge_sort_block_merge_config_selectorItNS0_10empty_typeEEEZZNS1_27merge_sort_block_merge_implIS3_N6thrust23THRUST_200600_302600_NS6detail15normal_iteratorINS9_10device_ptrItEEEEPS5_m9comp_mod3ItEEE10hipError_tT0_T1_T2_jT3_P12ihipStream_tbPNSt15iterator_traitsISJ_E10value_typeEPNSP_ISK_E10value_typeEPSL_NS1_7vsmem_tEENKUlT_SJ_SK_SL_E_clISE_PtSF_SF_EESI_SY_SJ_SK_SL_EUlSY_E0_NS1_11comp_targetILNS1_3genE4ELNS1_11target_archE910ELNS1_3gpuE8ELNS1_3repE0EEENS1_38merge_mergepath_config_static_selectorELNS0_4arch9wavefront6targetE0EEEvSK_
; %bb.0:
	.section	.rodata,"a",@progbits
	.p2align	6, 0x0
	.amdhsa_kernel _ZN7rocprim17ROCPRIM_400000_NS6detail17trampoline_kernelINS0_14default_configENS1_38merge_sort_block_merge_config_selectorItNS0_10empty_typeEEEZZNS1_27merge_sort_block_merge_implIS3_N6thrust23THRUST_200600_302600_NS6detail15normal_iteratorINS9_10device_ptrItEEEEPS5_m9comp_mod3ItEEE10hipError_tT0_T1_T2_jT3_P12ihipStream_tbPNSt15iterator_traitsISJ_E10value_typeEPNSP_ISK_E10value_typeEPSL_NS1_7vsmem_tEENKUlT_SJ_SK_SL_E_clISE_PtSF_SF_EESI_SY_SJ_SK_SL_EUlSY_E0_NS1_11comp_targetILNS1_3genE4ELNS1_11target_archE910ELNS1_3gpuE8ELNS1_3repE0EEENS1_38merge_mergepath_config_static_selectorELNS0_4arch9wavefront6targetE0EEEvSK_
		.amdhsa_group_segment_fixed_size 0
		.amdhsa_private_segment_fixed_size 0
		.amdhsa_kernarg_size 80
		.amdhsa_user_sgpr_count 6
		.amdhsa_user_sgpr_private_segment_buffer 1
		.amdhsa_user_sgpr_dispatch_ptr 0
		.amdhsa_user_sgpr_queue_ptr 0
		.amdhsa_user_sgpr_kernarg_segment_ptr 1
		.amdhsa_user_sgpr_dispatch_id 0
		.amdhsa_user_sgpr_flat_scratch_init 0
		.amdhsa_user_sgpr_private_segment_size 0
		.amdhsa_wavefront_size32 1
		.amdhsa_uses_dynamic_stack 0
		.amdhsa_system_sgpr_private_segment_wavefront_offset 0
		.amdhsa_system_sgpr_workgroup_id_x 1
		.amdhsa_system_sgpr_workgroup_id_y 0
		.amdhsa_system_sgpr_workgroup_id_z 0
		.amdhsa_system_sgpr_workgroup_info 0
		.amdhsa_system_vgpr_workitem_id 0
		.amdhsa_next_free_vgpr 1
		.amdhsa_next_free_sgpr 1
		.amdhsa_reserve_vcc 0
		.amdhsa_reserve_flat_scratch 0
		.amdhsa_float_round_mode_32 0
		.amdhsa_float_round_mode_16_64 0
		.amdhsa_float_denorm_mode_32 3
		.amdhsa_float_denorm_mode_16_64 3
		.amdhsa_dx10_clamp 1
		.amdhsa_ieee_mode 1
		.amdhsa_fp16_overflow 0
		.amdhsa_workgroup_processor_mode 1
		.amdhsa_memory_ordered 1
		.amdhsa_forward_progress 1
		.amdhsa_shared_vgpr_count 0
		.amdhsa_exception_fp_ieee_invalid_op 0
		.amdhsa_exception_fp_denorm_src 0
		.amdhsa_exception_fp_ieee_div_zero 0
		.amdhsa_exception_fp_ieee_overflow 0
		.amdhsa_exception_fp_ieee_underflow 0
		.amdhsa_exception_fp_ieee_inexact 0
		.amdhsa_exception_int_div_zero 0
	.end_amdhsa_kernel
	.section	.text._ZN7rocprim17ROCPRIM_400000_NS6detail17trampoline_kernelINS0_14default_configENS1_38merge_sort_block_merge_config_selectorItNS0_10empty_typeEEEZZNS1_27merge_sort_block_merge_implIS3_N6thrust23THRUST_200600_302600_NS6detail15normal_iteratorINS9_10device_ptrItEEEEPS5_m9comp_mod3ItEEE10hipError_tT0_T1_T2_jT3_P12ihipStream_tbPNSt15iterator_traitsISJ_E10value_typeEPNSP_ISK_E10value_typeEPSL_NS1_7vsmem_tEENKUlT_SJ_SK_SL_E_clISE_PtSF_SF_EESI_SY_SJ_SK_SL_EUlSY_E0_NS1_11comp_targetILNS1_3genE4ELNS1_11target_archE910ELNS1_3gpuE8ELNS1_3repE0EEENS1_38merge_mergepath_config_static_selectorELNS0_4arch9wavefront6targetE0EEEvSK_,"axG",@progbits,_ZN7rocprim17ROCPRIM_400000_NS6detail17trampoline_kernelINS0_14default_configENS1_38merge_sort_block_merge_config_selectorItNS0_10empty_typeEEEZZNS1_27merge_sort_block_merge_implIS3_N6thrust23THRUST_200600_302600_NS6detail15normal_iteratorINS9_10device_ptrItEEEEPS5_m9comp_mod3ItEEE10hipError_tT0_T1_T2_jT3_P12ihipStream_tbPNSt15iterator_traitsISJ_E10value_typeEPNSP_ISK_E10value_typeEPSL_NS1_7vsmem_tEENKUlT_SJ_SK_SL_E_clISE_PtSF_SF_EESI_SY_SJ_SK_SL_EUlSY_E0_NS1_11comp_targetILNS1_3genE4ELNS1_11target_archE910ELNS1_3gpuE8ELNS1_3repE0EEENS1_38merge_mergepath_config_static_selectorELNS0_4arch9wavefront6targetE0EEEvSK_,comdat
.Lfunc_end909:
	.size	_ZN7rocprim17ROCPRIM_400000_NS6detail17trampoline_kernelINS0_14default_configENS1_38merge_sort_block_merge_config_selectorItNS0_10empty_typeEEEZZNS1_27merge_sort_block_merge_implIS3_N6thrust23THRUST_200600_302600_NS6detail15normal_iteratorINS9_10device_ptrItEEEEPS5_m9comp_mod3ItEEE10hipError_tT0_T1_T2_jT3_P12ihipStream_tbPNSt15iterator_traitsISJ_E10value_typeEPNSP_ISK_E10value_typeEPSL_NS1_7vsmem_tEENKUlT_SJ_SK_SL_E_clISE_PtSF_SF_EESI_SY_SJ_SK_SL_EUlSY_E0_NS1_11comp_targetILNS1_3genE4ELNS1_11target_archE910ELNS1_3gpuE8ELNS1_3repE0EEENS1_38merge_mergepath_config_static_selectorELNS0_4arch9wavefront6targetE0EEEvSK_, .Lfunc_end909-_ZN7rocprim17ROCPRIM_400000_NS6detail17trampoline_kernelINS0_14default_configENS1_38merge_sort_block_merge_config_selectorItNS0_10empty_typeEEEZZNS1_27merge_sort_block_merge_implIS3_N6thrust23THRUST_200600_302600_NS6detail15normal_iteratorINS9_10device_ptrItEEEEPS5_m9comp_mod3ItEEE10hipError_tT0_T1_T2_jT3_P12ihipStream_tbPNSt15iterator_traitsISJ_E10value_typeEPNSP_ISK_E10value_typeEPSL_NS1_7vsmem_tEENKUlT_SJ_SK_SL_E_clISE_PtSF_SF_EESI_SY_SJ_SK_SL_EUlSY_E0_NS1_11comp_targetILNS1_3genE4ELNS1_11target_archE910ELNS1_3gpuE8ELNS1_3repE0EEENS1_38merge_mergepath_config_static_selectorELNS0_4arch9wavefront6targetE0EEEvSK_
                                        ; -- End function
	.set _ZN7rocprim17ROCPRIM_400000_NS6detail17trampoline_kernelINS0_14default_configENS1_38merge_sort_block_merge_config_selectorItNS0_10empty_typeEEEZZNS1_27merge_sort_block_merge_implIS3_N6thrust23THRUST_200600_302600_NS6detail15normal_iteratorINS9_10device_ptrItEEEEPS5_m9comp_mod3ItEEE10hipError_tT0_T1_T2_jT3_P12ihipStream_tbPNSt15iterator_traitsISJ_E10value_typeEPNSP_ISK_E10value_typeEPSL_NS1_7vsmem_tEENKUlT_SJ_SK_SL_E_clISE_PtSF_SF_EESI_SY_SJ_SK_SL_EUlSY_E0_NS1_11comp_targetILNS1_3genE4ELNS1_11target_archE910ELNS1_3gpuE8ELNS1_3repE0EEENS1_38merge_mergepath_config_static_selectorELNS0_4arch9wavefront6targetE0EEEvSK_.num_vgpr, 0
	.set _ZN7rocprim17ROCPRIM_400000_NS6detail17trampoline_kernelINS0_14default_configENS1_38merge_sort_block_merge_config_selectorItNS0_10empty_typeEEEZZNS1_27merge_sort_block_merge_implIS3_N6thrust23THRUST_200600_302600_NS6detail15normal_iteratorINS9_10device_ptrItEEEEPS5_m9comp_mod3ItEEE10hipError_tT0_T1_T2_jT3_P12ihipStream_tbPNSt15iterator_traitsISJ_E10value_typeEPNSP_ISK_E10value_typeEPSL_NS1_7vsmem_tEENKUlT_SJ_SK_SL_E_clISE_PtSF_SF_EESI_SY_SJ_SK_SL_EUlSY_E0_NS1_11comp_targetILNS1_3genE4ELNS1_11target_archE910ELNS1_3gpuE8ELNS1_3repE0EEENS1_38merge_mergepath_config_static_selectorELNS0_4arch9wavefront6targetE0EEEvSK_.num_agpr, 0
	.set _ZN7rocprim17ROCPRIM_400000_NS6detail17trampoline_kernelINS0_14default_configENS1_38merge_sort_block_merge_config_selectorItNS0_10empty_typeEEEZZNS1_27merge_sort_block_merge_implIS3_N6thrust23THRUST_200600_302600_NS6detail15normal_iteratorINS9_10device_ptrItEEEEPS5_m9comp_mod3ItEEE10hipError_tT0_T1_T2_jT3_P12ihipStream_tbPNSt15iterator_traitsISJ_E10value_typeEPNSP_ISK_E10value_typeEPSL_NS1_7vsmem_tEENKUlT_SJ_SK_SL_E_clISE_PtSF_SF_EESI_SY_SJ_SK_SL_EUlSY_E0_NS1_11comp_targetILNS1_3genE4ELNS1_11target_archE910ELNS1_3gpuE8ELNS1_3repE0EEENS1_38merge_mergepath_config_static_selectorELNS0_4arch9wavefront6targetE0EEEvSK_.numbered_sgpr, 0
	.set _ZN7rocprim17ROCPRIM_400000_NS6detail17trampoline_kernelINS0_14default_configENS1_38merge_sort_block_merge_config_selectorItNS0_10empty_typeEEEZZNS1_27merge_sort_block_merge_implIS3_N6thrust23THRUST_200600_302600_NS6detail15normal_iteratorINS9_10device_ptrItEEEEPS5_m9comp_mod3ItEEE10hipError_tT0_T1_T2_jT3_P12ihipStream_tbPNSt15iterator_traitsISJ_E10value_typeEPNSP_ISK_E10value_typeEPSL_NS1_7vsmem_tEENKUlT_SJ_SK_SL_E_clISE_PtSF_SF_EESI_SY_SJ_SK_SL_EUlSY_E0_NS1_11comp_targetILNS1_3genE4ELNS1_11target_archE910ELNS1_3gpuE8ELNS1_3repE0EEENS1_38merge_mergepath_config_static_selectorELNS0_4arch9wavefront6targetE0EEEvSK_.num_named_barrier, 0
	.set _ZN7rocprim17ROCPRIM_400000_NS6detail17trampoline_kernelINS0_14default_configENS1_38merge_sort_block_merge_config_selectorItNS0_10empty_typeEEEZZNS1_27merge_sort_block_merge_implIS3_N6thrust23THRUST_200600_302600_NS6detail15normal_iteratorINS9_10device_ptrItEEEEPS5_m9comp_mod3ItEEE10hipError_tT0_T1_T2_jT3_P12ihipStream_tbPNSt15iterator_traitsISJ_E10value_typeEPNSP_ISK_E10value_typeEPSL_NS1_7vsmem_tEENKUlT_SJ_SK_SL_E_clISE_PtSF_SF_EESI_SY_SJ_SK_SL_EUlSY_E0_NS1_11comp_targetILNS1_3genE4ELNS1_11target_archE910ELNS1_3gpuE8ELNS1_3repE0EEENS1_38merge_mergepath_config_static_selectorELNS0_4arch9wavefront6targetE0EEEvSK_.private_seg_size, 0
	.set _ZN7rocprim17ROCPRIM_400000_NS6detail17trampoline_kernelINS0_14default_configENS1_38merge_sort_block_merge_config_selectorItNS0_10empty_typeEEEZZNS1_27merge_sort_block_merge_implIS3_N6thrust23THRUST_200600_302600_NS6detail15normal_iteratorINS9_10device_ptrItEEEEPS5_m9comp_mod3ItEEE10hipError_tT0_T1_T2_jT3_P12ihipStream_tbPNSt15iterator_traitsISJ_E10value_typeEPNSP_ISK_E10value_typeEPSL_NS1_7vsmem_tEENKUlT_SJ_SK_SL_E_clISE_PtSF_SF_EESI_SY_SJ_SK_SL_EUlSY_E0_NS1_11comp_targetILNS1_3genE4ELNS1_11target_archE910ELNS1_3gpuE8ELNS1_3repE0EEENS1_38merge_mergepath_config_static_selectorELNS0_4arch9wavefront6targetE0EEEvSK_.uses_vcc, 0
	.set _ZN7rocprim17ROCPRIM_400000_NS6detail17trampoline_kernelINS0_14default_configENS1_38merge_sort_block_merge_config_selectorItNS0_10empty_typeEEEZZNS1_27merge_sort_block_merge_implIS3_N6thrust23THRUST_200600_302600_NS6detail15normal_iteratorINS9_10device_ptrItEEEEPS5_m9comp_mod3ItEEE10hipError_tT0_T1_T2_jT3_P12ihipStream_tbPNSt15iterator_traitsISJ_E10value_typeEPNSP_ISK_E10value_typeEPSL_NS1_7vsmem_tEENKUlT_SJ_SK_SL_E_clISE_PtSF_SF_EESI_SY_SJ_SK_SL_EUlSY_E0_NS1_11comp_targetILNS1_3genE4ELNS1_11target_archE910ELNS1_3gpuE8ELNS1_3repE0EEENS1_38merge_mergepath_config_static_selectorELNS0_4arch9wavefront6targetE0EEEvSK_.uses_flat_scratch, 0
	.set _ZN7rocprim17ROCPRIM_400000_NS6detail17trampoline_kernelINS0_14default_configENS1_38merge_sort_block_merge_config_selectorItNS0_10empty_typeEEEZZNS1_27merge_sort_block_merge_implIS3_N6thrust23THRUST_200600_302600_NS6detail15normal_iteratorINS9_10device_ptrItEEEEPS5_m9comp_mod3ItEEE10hipError_tT0_T1_T2_jT3_P12ihipStream_tbPNSt15iterator_traitsISJ_E10value_typeEPNSP_ISK_E10value_typeEPSL_NS1_7vsmem_tEENKUlT_SJ_SK_SL_E_clISE_PtSF_SF_EESI_SY_SJ_SK_SL_EUlSY_E0_NS1_11comp_targetILNS1_3genE4ELNS1_11target_archE910ELNS1_3gpuE8ELNS1_3repE0EEENS1_38merge_mergepath_config_static_selectorELNS0_4arch9wavefront6targetE0EEEvSK_.has_dyn_sized_stack, 0
	.set _ZN7rocprim17ROCPRIM_400000_NS6detail17trampoline_kernelINS0_14default_configENS1_38merge_sort_block_merge_config_selectorItNS0_10empty_typeEEEZZNS1_27merge_sort_block_merge_implIS3_N6thrust23THRUST_200600_302600_NS6detail15normal_iteratorINS9_10device_ptrItEEEEPS5_m9comp_mod3ItEEE10hipError_tT0_T1_T2_jT3_P12ihipStream_tbPNSt15iterator_traitsISJ_E10value_typeEPNSP_ISK_E10value_typeEPSL_NS1_7vsmem_tEENKUlT_SJ_SK_SL_E_clISE_PtSF_SF_EESI_SY_SJ_SK_SL_EUlSY_E0_NS1_11comp_targetILNS1_3genE4ELNS1_11target_archE910ELNS1_3gpuE8ELNS1_3repE0EEENS1_38merge_mergepath_config_static_selectorELNS0_4arch9wavefront6targetE0EEEvSK_.has_recursion, 0
	.set _ZN7rocprim17ROCPRIM_400000_NS6detail17trampoline_kernelINS0_14default_configENS1_38merge_sort_block_merge_config_selectorItNS0_10empty_typeEEEZZNS1_27merge_sort_block_merge_implIS3_N6thrust23THRUST_200600_302600_NS6detail15normal_iteratorINS9_10device_ptrItEEEEPS5_m9comp_mod3ItEEE10hipError_tT0_T1_T2_jT3_P12ihipStream_tbPNSt15iterator_traitsISJ_E10value_typeEPNSP_ISK_E10value_typeEPSL_NS1_7vsmem_tEENKUlT_SJ_SK_SL_E_clISE_PtSF_SF_EESI_SY_SJ_SK_SL_EUlSY_E0_NS1_11comp_targetILNS1_3genE4ELNS1_11target_archE910ELNS1_3gpuE8ELNS1_3repE0EEENS1_38merge_mergepath_config_static_selectorELNS0_4arch9wavefront6targetE0EEEvSK_.has_indirect_call, 0
	.section	.AMDGPU.csdata,"",@progbits
; Kernel info:
; codeLenInByte = 0
; TotalNumSgprs: 0
; NumVgprs: 0
; ScratchSize: 0
; MemoryBound: 0
; FloatMode: 240
; IeeeMode: 1
; LDSByteSize: 0 bytes/workgroup (compile time only)
; SGPRBlocks: 0
; VGPRBlocks: 0
; NumSGPRsForWavesPerEU: 1
; NumVGPRsForWavesPerEU: 1
; Occupancy: 16
; WaveLimiterHint : 0
; COMPUTE_PGM_RSRC2:SCRATCH_EN: 0
; COMPUTE_PGM_RSRC2:USER_SGPR: 6
; COMPUTE_PGM_RSRC2:TRAP_HANDLER: 0
; COMPUTE_PGM_RSRC2:TGID_X_EN: 1
; COMPUTE_PGM_RSRC2:TGID_Y_EN: 0
; COMPUTE_PGM_RSRC2:TGID_Z_EN: 0
; COMPUTE_PGM_RSRC2:TIDIG_COMP_CNT: 0
	.section	.text._ZN7rocprim17ROCPRIM_400000_NS6detail17trampoline_kernelINS0_14default_configENS1_38merge_sort_block_merge_config_selectorItNS0_10empty_typeEEEZZNS1_27merge_sort_block_merge_implIS3_N6thrust23THRUST_200600_302600_NS6detail15normal_iteratorINS9_10device_ptrItEEEEPS5_m9comp_mod3ItEEE10hipError_tT0_T1_T2_jT3_P12ihipStream_tbPNSt15iterator_traitsISJ_E10value_typeEPNSP_ISK_E10value_typeEPSL_NS1_7vsmem_tEENKUlT_SJ_SK_SL_E_clISE_PtSF_SF_EESI_SY_SJ_SK_SL_EUlSY_E0_NS1_11comp_targetILNS1_3genE3ELNS1_11target_archE908ELNS1_3gpuE7ELNS1_3repE0EEENS1_38merge_mergepath_config_static_selectorELNS0_4arch9wavefront6targetE0EEEvSK_,"axG",@progbits,_ZN7rocprim17ROCPRIM_400000_NS6detail17trampoline_kernelINS0_14default_configENS1_38merge_sort_block_merge_config_selectorItNS0_10empty_typeEEEZZNS1_27merge_sort_block_merge_implIS3_N6thrust23THRUST_200600_302600_NS6detail15normal_iteratorINS9_10device_ptrItEEEEPS5_m9comp_mod3ItEEE10hipError_tT0_T1_T2_jT3_P12ihipStream_tbPNSt15iterator_traitsISJ_E10value_typeEPNSP_ISK_E10value_typeEPSL_NS1_7vsmem_tEENKUlT_SJ_SK_SL_E_clISE_PtSF_SF_EESI_SY_SJ_SK_SL_EUlSY_E0_NS1_11comp_targetILNS1_3genE3ELNS1_11target_archE908ELNS1_3gpuE7ELNS1_3repE0EEENS1_38merge_mergepath_config_static_selectorELNS0_4arch9wavefront6targetE0EEEvSK_,comdat
	.protected	_ZN7rocprim17ROCPRIM_400000_NS6detail17trampoline_kernelINS0_14default_configENS1_38merge_sort_block_merge_config_selectorItNS0_10empty_typeEEEZZNS1_27merge_sort_block_merge_implIS3_N6thrust23THRUST_200600_302600_NS6detail15normal_iteratorINS9_10device_ptrItEEEEPS5_m9comp_mod3ItEEE10hipError_tT0_T1_T2_jT3_P12ihipStream_tbPNSt15iterator_traitsISJ_E10value_typeEPNSP_ISK_E10value_typeEPSL_NS1_7vsmem_tEENKUlT_SJ_SK_SL_E_clISE_PtSF_SF_EESI_SY_SJ_SK_SL_EUlSY_E0_NS1_11comp_targetILNS1_3genE3ELNS1_11target_archE908ELNS1_3gpuE7ELNS1_3repE0EEENS1_38merge_mergepath_config_static_selectorELNS0_4arch9wavefront6targetE0EEEvSK_ ; -- Begin function _ZN7rocprim17ROCPRIM_400000_NS6detail17trampoline_kernelINS0_14default_configENS1_38merge_sort_block_merge_config_selectorItNS0_10empty_typeEEEZZNS1_27merge_sort_block_merge_implIS3_N6thrust23THRUST_200600_302600_NS6detail15normal_iteratorINS9_10device_ptrItEEEEPS5_m9comp_mod3ItEEE10hipError_tT0_T1_T2_jT3_P12ihipStream_tbPNSt15iterator_traitsISJ_E10value_typeEPNSP_ISK_E10value_typeEPSL_NS1_7vsmem_tEENKUlT_SJ_SK_SL_E_clISE_PtSF_SF_EESI_SY_SJ_SK_SL_EUlSY_E0_NS1_11comp_targetILNS1_3genE3ELNS1_11target_archE908ELNS1_3gpuE7ELNS1_3repE0EEENS1_38merge_mergepath_config_static_selectorELNS0_4arch9wavefront6targetE0EEEvSK_
	.globl	_ZN7rocprim17ROCPRIM_400000_NS6detail17trampoline_kernelINS0_14default_configENS1_38merge_sort_block_merge_config_selectorItNS0_10empty_typeEEEZZNS1_27merge_sort_block_merge_implIS3_N6thrust23THRUST_200600_302600_NS6detail15normal_iteratorINS9_10device_ptrItEEEEPS5_m9comp_mod3ItEEE10hipError_tT0_T1_T2_jT3_P12ihipStream_tbPNSt15iterator_traitsISJ_E10value_typeEPNSP_ISK_E10value_typeEPSL_NS1_7vsmem_tEENKUlT_SJ_SK_SL_E_clISE_PtSF_SF_EESI_SY_SJ_SK_SL_EUlSY_E0_NS1_11comp_targetILNS1_3genE3ELNS1_11target_archE908ELNS1_3gpuE7ELNS1_3repE0EEENS1_38merge_mergepath_config_static_selectorELNS0_4arch9wavefront6targetE0EEEvSK_
	.p2align	8
	.type	_ZN7rocprim17ROCPRIM_400000_NS6detail17trampoline_kernelINS0_14default_configENS1_38merge_sort_block_merge_config_selectorItNS0_10empty_typeEEEZZNS1_27merge_sort_block_merge_implIS3_N6thrust23THRUST_200600_302600_NS6detail15normal_iteratorINS9_10device_ptrItEEEEPS5_m9comp_mod3ItEEE10hipError_tT0_T1_T2_jT3_P12ihipStream_tbPNSt15iterator_traitsISJ_E10value_typeEPNSP_ISK_E10value_typeEPSL_NS1_7vsmem_tEENKUlT_SJ_SK_SL_E_clISE_PtSF_SF_EESI_SY_SJ_SK_SL_EUlSY_E0_NS1_11comp_targetILNS1_3genE3ELNS1_11target_archE908ELNS1_3gpuE7ELNS1_3repE0EEENS1_38merge_mergepath_config_static_selectorELNS0_4arch9wavefront6targetE0EEEvSK_,@function
_ZN7rocprim17ROCPRIM_400000_NS6detail17trampoline_kernelINS0_14default_configENS1_38merge_sort_block_merge_config_selectorItNS0_10empty_typeEEEZZNS1_27merge_sort_block_merge_implIS3_N6thrust23THRUST_200600_302600_NS6detail15normal_iteratorINS9_10device_ptrItEEEEPS5_m9comp_mod3ItEEE10hipError_tT0_T1_T2_jT3_P12ihipStream_tbPNSt15iterator_traitsISJ_E10value_typeEPNSP_ISK_E10value_typeEPSL_NS1_7vsmem_tEENKUlT_SJ_SK_SL_E_clISE_PtSF_SF_EESI_SY_SJ_SK_SL_EUlSY_E0_NS1_11comp_targetILNS1_3genE3ELNS1_11target_archE908ELNS1_3gpuE7ELNS1_3repE0EEENS1_38merge_mergepath_config_static_selectorELNS0_4arch9wavefront6targetE0EEEvSK_: ; @_ZN7rocprim17ROCPRIM_400000_NS6detail17trampoline_kernelINS0_14default_configENS1_38merge_sort_block_merge_config_selectorItNS0_10empty_typeEEEZZNS1_27merge_sort_block_merge_implIS3_N6thrust23THRUST_200600_302600_NS6detail15normal_iteratorINS9_10device_ptrItEEEEPS5_m9comp_mod3ItEEE10hipError_tT0_T1_T2_jT3_P12ihipStream_tbPNSt15iterator_traitsISJ_E10value_typeEPNSP_ISK_E10value_typeEPSL_NS1_7vsmem_tEENKUlT_SJ_SK_SL_E_clISE_PtSF_SF_EESI_SY_SJ_SK_SL_EUlSY_E0_NS1_11comp_targetILNS1_3genE3ELNS1_11target_archE908ELNS1_3gpuE7ELNS1_3repE0EEENS1_38merge_mergepath_config_static_selectorELNS0_4arch9wavefront6targetE0EEEvSK_
; %bb.0:
	.section	.rodata,"a",@progbits
	.p2align	6, 0x0
	.amdhsa_kernel _ZN7rocprim17ROCPRIM_400000_NS6detail17trampoline_kernelINS0_14default_configENS1_38merge_sort_block_merge_config_selectorItNS0_10empty_typeEEEZZNS1_27merge_sort_block_merge_implIS3_N6thrust23THRUST_200600_302600_NS6detail15normal_iteratorINS9_10device_ptrItEEEEPS5_m9comp_mod3ItEEE10hipError_tT0_T1_T2_jT3_P12ihipStream_tbPNSt15iterator_traitsISJ_E10value_typeEPNSP_ISK_E10value_typeEPSL_NS1_7vsmem_tEENKUlT_SJ_SK_SL_E_clISE_PtSF_SF_EESI_SY_SJ_SK_SL_EUlSY_E0_NS1_11comp_targetILNS1_3genE3ELNS1_11target_archE908ELNS1_3gpuE7ELNS1_3repE0EEENS1_38merge_mergepath_config_static_selectorELNS0_4arch9wavefront6targetE0EEEvSK_
		.amdhsa_group_segment_fixed_size 0
		.amdhsa_private_segment_fixed_size 0
		.amdhsa_kernarg_size 80
		.amdhsa_user_sgpr_count 6
		.amdhsa_user_sgpr_private_segment_buffer 1
		.amdhsa_user_sgpr_dispatch_ptr 0
		.amdhsa_user_sgpr_queue_ptr 0
		.amdhsa_user_sgpr_kernarg_segment_ptr 1
		.amdhsa_user_sgpr_dispatch_id 0
		.amdhsa_user_sgpr_flat_scratch_init 0
		.amdhsa_user_sgpr_private_segment_size 0
		.amdhsa_wavefront_size32 1
		.amdhsa_uses_dynamic_stack 0
		.amdhsa_system_sgpr_private_segment_wavefront_offset 0
		.amdhsa_system_sgpr_workgroup_id_x 1
		.amdhsa_system_sgpr_workgroup_id_y 0
		.amdhsa_system_sgpr_workgroup_id_z 0
		.amdhsa_system_sgpr_workgroup_info 0
		.amdhsa_system_vgpr_workitem_id 0
		.amdhsa_next_free_vgpr 1
		.amdhsa_next_free_sgpr 1
		.amdhsa_reserve_vcc 0
		.amdhsa_reserve_flat_scratch 0
		.amdhsa_float_round_mode_32 0
		.amdhsa_float_round_mode_16_64 0
		.amdhsa_float_denorm_mode_32 3
		.amdhsa_float_denorm_mode_16_64 3
		.amdhsa_dx10_clamp 1
		.amdhsa_ieee_mode 1
		.amdhsa_fp16_overflow 0
		.amdhsa_workgroup_processor_mode 1
		.amdhsa_memory_ordered 1
		.amdhsa_forward_progress 1
		.amdhsa_shared_vgpr_count 0
		.amdhsa_exception_fp_ieee_invalid_op 0
		.amdhsa_exception_fp_denorm_src 0
		.amdhsa_exception_fp_ieee_div_zero 0
		.amdhsa_exception_fp_ieee_overflow 0
		.amdhsa_exception_fp_ieee_underflow 0
		.amdhsa_exception_fp_ieee_inexact 0
		.amdhsa_exception_int_div_zero 0
	.end_amdhsa_kernel
	.section	.text._ZN7rocprim17ROCPRIM_400000_NS6detail17trampoline_kernelINS0_14default_configENS1_38merge_sort_block_merge_config_selectorItNS0_10empty_typeEEEZZNS1_27merge_sort_block_merge_implIS3_N6thrust23THRUST_200600_302600_NS6detail15normal_iteratorINS9_10device_ptrItEEEEPS5_m9comp_mod3ItEEE10hipError_tT0_T1_T2_jT3_P12ihipStream_tbPNSt15iterator_traitsISJ_E10value_typeEPNSP_ISK_E10value_typeEPSL_NS1_7vsmem_tEENKUlT_SJ_SK_SL_E_clISE_PtSF_SF_EESI_SY_SJ_SK_SL_EUlSY_E0_NS1_11comp_targetILNS1_3genE3ELNS1_11target_archE908ELNS1_3gpuE7ELNS1_3repE0EEENS1_38merge_mergepath_config_static_selectorELNS0_4arch9wavefront6targetE0EEEvSK_,"axG",@progbits,_ZN7rocprim17ROCPRIM_400000_NS6detail17trampoline_kernelINS0_14default_configENS1_38merge_sort_block_merge_config_selectorItNS0_10empty_typeEEEZZNS1_27merge_sort_block_merge_implIS3_N6thrust23THRUST_200600_302600_NS6detail15normal_iteratorINS9_10device_ptrItEEEEPS5_m9comp_mod3ItEEE10hipError_tT0_T1_T2_jT3_P12ihipStream_tbPNSt15iterator_traitsISJ_E10value_typeEPNSP_ISK_E10value_typeEPSL_NS1_7vsmem_tEENKUlT_SJ_SK_SL_E_clISE_PtSF_SF_EESI_SY_SJ_SK_SL_EUlSY_E0_NS1_11comp_targetILNS1_3genE3ELNS1_11target_archE908ELNS1_3gpuE7ELNS1_3repE0EEENS1_38merge_mergepath_config_static_selectorELNS0_4arch9wavefront6targetE0EEEvSK_,comdat
.Lfunc_end910:
	.size	_ZN7rocprim17ROCPRIM_400000_NS6detail17trampoline_kernelINS0_14default_configENS1_38merge_sort_block_merge_config_selectorItNS0_10empty_typeEEEZZNS1_27merge_sort_block_merge_implIS3_N6thrust23THRUST_200600_302600_NS6detail15normal_iteratorINS9_10device_ptrItEEEEPS5_m9comp_mod3ItEEE10hipError_tT0_T1_T2_jT3_P12ihipStream_tbPNSt15iterator_traitsISJ_E10value_typeEPNSP_ISK_E10value_typeEPSL_NS1_7vsmem_tEENKUlT_SJ_SK_SL_E_clISE_PtSF_SF_EESI_SY_SJ_SK_SL_EUlSY_E0_NS1_11comp_targetILNS1_3genE3ELNS1_11target_archE908ELNS1_3gpuE7ELNS1_3repE0EEENS1_38merge_mergepath_config_static_selectorELNS0_4arch9wavefront6targetE0EEEvSK_, .Lfunc_end910-_ZN7rocprim17ROCPRIM_400000_NS6detail17trampoline_kernelINS0_14default_configENS1_38merge_sort_block_merge_config_selectorItNS0_10empty_typeEEEZZNS1_27merge_sort_block_merge_implIS3_N6thrust23THRUST_200600_302600_NS6detail15normal_iteratorINS9_10device_ptrItEEEEPS5_m9comp_mod3ItEEE10hipError_tT0_T1_T2_jT3_P12ihipStream_tbPNSt15iterator_traitsISJ_E10value_typeEPNSP_ISK_E10value_typeEPSL_NS1_7vsmem_tEENKUlT_SJ_SK_SL_E_clISE_PtSF_SF_EESI_SY_SJ_SK_SL_EUlSY_E0_NS1_11comp_targetILNS1_3genE3ELNS1_11target_archE908ELNS1_3gpuE7ELNS1_3repE0EEENS1_38merge_mergepath_config_static_selectorELNS0_4arch9wavefront6targetE0EEEvSK_
                                        ; -- End function
	.set _ZN7rocprim17ROCPRIM_400000_NS6detail17trampoline_kernelINS0_14default_configENS1_38merge_sort_block_merge_config_selectorItNS0_10empty_typeEEEZZNS1_27merge_sort_block_merge_implIS3_N6thrust23THRUST_200600_302600_NS6detail15normal_iteratorINS9_10device_ptrItEEEEPS5_m9comp_mod3ItEEE10hipError_tT0_T1_T2_jT3_P12ihipStream_tbPNSt15iterator_traitsISJ_E10value_typeEPNSP_ISK_E10value_typeEPSL_NS1_7vsmem_tEENKUlT_SJ_SK_SL_E_clISE_PtSF_SF_EESI_SY_SJ_SK_SL_EUlSY_E0_NS1_11comp_targetILNS1_3genE3ELNS1_11target_archE908ELNS1_3gpuE7ELNS1_3repE0EEENS1_38merge_mergepath_config_static_selectorELNS0_4arch9wavefront6targetE0EEEvSK_.num_vgpr, 0
	.set _ZN7rocprim17ROCPRIM_400000_NS6detail17trampoline_kernelINS0_14default_configENS1_38merge_sort_block_merge_config_selectorItNS0_10empty_typeEEEZZNS1_27merge_sort_block_merge_implIS3_N6thrust23THRUST_200600_302600_NS6detail15normal_iteratorINS9_10device_ptrItEEEEPS5_m9comp_mod3ItEEE10hipError_tT0_T1_T2_jT3_P12ihipStream_tbPNSt15iterator_traitsISJ_E10value_typeEPNSP_ISK_E10value_typeEPSL_NS1_7vsmem_tEENKUlT_SJ_SK_SL_E_clISE_PtSF_SF_EESI_SY_SJ_SK_SL_EUlSY_E0_NS1_11comp_targetILNS1_3genE3ELNS1_11target_archE908ELNS1_3gpuE7ELNS1_3repE0EEENS1_38merge_mergepath_config_static_selectorELNS0_4arch9wavefront6targetE0EEEvSK_.num_agpr, 0
	.set _ZN7rocprim17ROCPRIM_400000_NS6detail17trampoline_kernelINS0_14default_configENS1_38merge_sort_block_merge_config_selectorItNS0_10empty_typeEEEZZNS1_27merge_sort_block_merge_implIS3_N6thrust23THRUST_200600_302600_NS6detail15normal_iteratorINS9_10device_ptrItEEEEPS5_m9comp_mod3ItEEE10hipError_tT0_T1_T2_jT3_P12ihipStream_tbPNSt15iterator_traitsISJ_E10value_typeEPNSP_ISK_E10value_typeEPSL_NS1_7vsmem_tEENKUlT_SJ_SK_SL_E_clISE_PtSF_SF_EESI_SY_SJ_SK_SL_EUlSY_E0_NS1_11comp_targetILNS1_3genE3ELNS1_11target_archE908ELNS1_3gpuE7ELNS1_3repE0EEENS1_38merge_mergepath_config_static_selectorELNS0_4arch9wavefront6targetE0EEEvSK_.numbered_sgpr, 0
	.set _ZN7rocprim17ROCPRIM_400000_NS6detail17trampoline_kernelINS0_14default_configENS1_38merge_sort_block_merge_config_selectorItNS0_10empty_typeEEEZZNS1_27merge_sort_block_merge_implIS3_N6thrust23THRUST_200600_302600_NS6detail15normal_iteratorINS9_10device_ptrItEEEEPS5_m9comp_mod3ItEEE10hipError_tT0_T1_T2_jT3_P12ihipStream_tbPNSt15iterator_traitsISJ_E10value_typeEPNSP_ISK_E10value_typeEPSL_NS1_7vsmem_tEENKUlT_SJ_SK_SL_E_clISE_PtSF_SF_EESI_SY_SJ_SK_SL_EUlSY_E0_NS1_11comp_targetILNS1_3genE3ELNS1_11target_archE908ELNS1_3gpuE7ELNS1_3repE0EEENS1_38merge_mergepath_config_static_selectorELNS0_4arch9wavefront6targetE0EEEvSK_.num_named_barrier, 0
	.set _ZN7rocprim17ROCPRIM_400000_NS6detail17trampoline_kernelINS0_14default_configENS1_38merge_sort_block_merge_config_selectorItNS0_10empty_typeEEEZZNS1_27merge_sort_block_merge_implIS3_N6thrust23THRUST_200600_302600_NS6detail15normal_iteratorINS9_10device_ptrItEEEEPS5_m9comp_mod3ItEEE10hipError_tT0_T1_T2_jT3_P12ihipStream_tbPNSt15iterator_traitsISJ_E10value_typeEPNSP_ISK_E10value_typeEPSL_NS1_7vsmem_tEENKUlT_SJ_SK_SL_E_clISE_PtSF_SF_EESI_SY_SJ_SK_SL_EUlSY_E0_NS1_11comp_targetILNS1_3genE3ELNS1_11target_archE908ELNS1_3gpuE7ELNS1_3repE0EEENS1_38merge_mergepath_config_static_selectorELNS0_4arch9wavefront6targetE0EEEvSK_.private_seg_size, 0
	.set _ZN7rocprim17ROCPRIM_400000_NS6detail17trampoline_kernelINS0_14default_configENS1_38merge_sort_block_merge_config_selectorItNS0_10empty_typeEEEZZNS1_27merge_sort_block_merge_implIS3_N6thrust23THRUST_200600_302600_NS6detail15normal_iteratorINS9_10device_ptrItEEEEPS5_m9comp_mod3ItEEE10hipError_tT0_T1_T2_jT3_P12ihipStream_tbPNSt15iterator_traitsISJ_E10value_typeEPNSP_ISK_E10value_typeEPSL_NS1_7vsmem_tEENKUlT_SJ_SK_SL_E_clISE_PtSF_SF_EESI_SY_SJ_SK_SL_EUlSY_E0_NS1_11comp_targetILNS1_3genE3ELNS1_11target_archE908ELNS1_3gpuE7ELNS1_3repE0EEENS1_38merge_mergepath_config_static_selectorELNS0_4arch9wavefront6targetE0EEEvSK_.uses_vcc, 0
	.set _ZN7rocprim17ROCPRIM_400000_NS6detail17trampoline_kernelINS0_14default_configENS1_38merge_sort_block_merge_config_selectorItNS0_10empty_typeEEEZZNS1_27merge_sort_block_merge_implIS3_N6thrust23THRUST_200600_302600_NS6detail15normal_iteratorINS9_10device_ptrItEEEEPS5_m9comp_mod3ItEEE10hipError_tT0_T1_T2_jT3_P12ihipStream_tbPNSt15iterator_traitsISJ_E10value_typeEPNSP_ISK_E10value_typeEPSL_NS1_7vsmem_tEENKUlT_SJ_SK_SL_E_clISE_PtSF_SF_EESI_SY_SJ_SK_SL_EUlSY_E0_NS1_11comp_targetILNS1_3genE3ELNS1_11target_archE908ELNS1_3gpuE7ELNS1_3repE0EEENS1_38merge_mergepath_config_static_selectorELNS0_4arch9wavefront6targetE0EEEvSK_.uses_flat_scratch, 0
	.set _ZN7rocprim17ROCPRIM_400000_NS6detail17trampoline_kernelINS0_14default_configENS1_38merge_sort_block_merge_config_selectorItNS0_10empty_typeEEEZZNS1_27merge_sort_block_merge_implIS3_N6thrust23THRUST_200600_302600_NS6detail15normal_iteratorINS9_10device_ptrItEEEEPS5_m9comp_mod3ItEEE10hipError_tT0_T1_T2_jT3_P12ihipStream_tbPNSt15iterator_traitsISJ_E10value_typeEPNSP_ISK_E10value_typeEPSL_NS1_7vsmem_tEENKUlT_SJ_SK_SL_E_clISE_PtSF_SF_EESI_SY_SJ_SK_SL_EUlSY_E0_NS1_11comp_targetILNS1_3genE3ELNS1_11target_archE908ELNS1_3gpuE7ELNS1_3repE0EEENS1_38merge_mergepath_config_static_selectorELNS0_4arch9wavefront6targetE0EEEvSK_.has_dyn_sized_stack, 0
	.set _ZN7rocprim17ROCPRIM_400000_NS6detail17trampoline_kernelINS0_14default_configENS1_38merge_sort_block_merge_config_selectorItNS0_10empty_typeEEEZZNS1_27merge_sort_block_merge_implIS3_N6thrust23THRUST_200600_302600_NS6detail15normal_iteratorINS9_10device_ptrItEEEEPS5_m9comp_mod3ItEEE10hipError_tT0_T1_T2_jT3_P12ihipStream_tbPNSt15iterator_traitsISJ_E10value_typeEPNSP_ISK_E10value_typeEPSL_NS1_7vsmem_tEENKUlT_SJ_SK_SL_E_clISE_PtSF_SF_EESI_SY_SJ_SK_SL_EUlSY_E0_NS1_11comp_targetILNS1_3genE3ELNS1_11target_archE908ELNS1_3gpuE7ELNS1_3repE0EEENS1_38merge_mergepath_config_static_selectorELNS0_4arch9wavefront6targetE0EEEvSK_.has_recursion, 0
	.set _ZN7rocprim17ROCPRIM_400000_NS6detail17trampoline_kernelINS0_14default_configENS1_38merge_sort_block_merge_config_selectorItNS0_10empty_typeEEEZZNS1_27merge_sort_block_merge_implIS3_N6thrust23THRUST_200600_302600_NS6detail15normal_iteratorINS9_10device_ptrItEEEEPS5_m9comp_mod3ItEEE10hipError_tT0_T1_T2_jT3_P12ihipStream_tbPNSt15iterator_traitsISJ_E10value_typeEPNSP_ISK_E10value_typeEPSL_NS1_7vsmem_tEENKUlT_SJ_SK_SL_E_clISE_PtSF_SF_EESI_SY_SJ_SK_SL_EUlSY_E0_NS1_11comp_targetILNS1_3genE3ELNS1_11target_archE908ELNS1_3gpuE7ELNS1_3repE0EEENS1_38merge_mergepath_config_static_selectorELNS0_4arch9wavefront6targetE0EEEvSK_.has_indirect_call, 0
	.section	.AMDGPU.csdata,"",@progbits
; Kernel info:
; codeLenInByte = 0
; TotalNumSgprs: 0
; NumVgprs: 0
; ScratchSize: 0
; MemoryBound: 0
; FloatMode: 240
; IeeeMode: 1
; LDSByteSize: 0 bytes/workgroup (compile time only)
; SGPRBlocks: 0
; VGPRBlocks: 0
; NumSGPRsForWavesPerEU: 1
; NumVGPRsForWavesPerEU: 1
; Occupancy: 16
; WaveLimiterHint : 0
; COMPUTE_PGM_RSRC2:SCRATCH_EN: 0
; COMPUTE_PGM_RSRC2:USER_SGPR: 6
; COMPUTE_PGM_RSRC2:TRAP_HANDLER: 0
; COMPUTE_PGM_RSRC2:TGID_X_EN: 1
; COMPUTE_PGM_RSRC2:TGID_Y_EN: 0
; COMPUTE_PGM_RSRC2:TGID_Z_EN: 0
; COMPUTE_PGM_RSRC2:TIDIG_COMP_CNT: 0
	.section	.text._ZN7rocprim17ROCPRIM_400000_NS6detail17trampoline_kernelINS0_14default_configENS1_38merge_sort_block_merge_config_selectorItNS0_10empty_typeEEEZZNS1_27merge_sort_block_merge_implIS3_N6thrust23THRUST_200600_302600_NS6detail15normal_iteratorINS9_10device_ptrItEEEEPS5_m9comp_mod3ItEEE10hipError_tT0_T1_T2_jT3_P12ihipStream_tbPNSt15iterator_traitsISJ_E10value_typeEPNSP_ISK_E10value_typeEPSL_NS1_7vsmem_tEENKUlT_SJ_SK_SL_E_clISE_PtSF_SF_EESI_SY_SJ_SK_SL_EUlSY_E0_NS1_11comp_targetILNS1_3genE2ELNS1_11target_archE906ELNS1_3gpuE6ELNS1_3repE0EEENS1_38merge_mergepath_config_static_selectorELNS0_4arch9wavefront6targetE0EEEvSK_,"axG",@progbits,_ZN7rocprim17ROCPRIM_400000_NS6detail17trampoline_kernelINS0_14default_configENS1_38merge_sort_block_merge_config_selectorItNS0_10empty_typeEEEZZNS1_27merge_sort_block_merge_implIS3_N6thrust23THRUST_200600_302600_NS6detail15normal_iteratorINS9_10device_ptrItEEEEPS5_m9comp_mod3ItEEE10hipError_tT0_T1_T2_jT3_P12ihipStream_tbPNSt15iterator_traitsISJ_E10value_typeEPNSP_ISK_E10value_typeEPSL_NS1_7vsmem_tEENKUlT_SJ_SK_SL_E_clISE_PtSF_SF_EESI_SY_SJ_SK_SL_EUlSY_E0_NS1_11comp_targetILNS1_3genE2ELNS1_11target_archE906ELNS1_3gpuE6ELNS1_3repE0EEENS1_38merge_mergepath_config_static_selectorELNS0_4arch9wavefront6targetE0EEEvSK_,comdat
	.protected	_ZN7rocprim17ROCPRIM_400000_NS6detail17trampoline_kernelINS0_14default_configENS1_38merge_sort_block_merge_config_selectorItNS0_10empty_typeEEEZZNS1_27merge_sort_block_merge_implIS3_N6thrust23THRUST_200600_302600_NS6detail15normal_iteratorINS9_10device_ptrItEEEEPS5_m9comp_mod3ItEEE10hipError_tT0_T1_T2_jT3_P12ihipStream_tbPNSt15iterator_traitsISJ_E10value_typeEPNSP_ISK_E10value_typeEPSL_NS1_7vsmem_tEENKUlT_SJ_SK_SL_E_clISE_PtSF_SF_EESI_SY_SJ_SK_SL_EUlSY_E0_NS1_11comp_targetILNS1_3genE2ELNS1_11target_archE906ELNS1_3gpuE6ELNS1_3repE0EEENS1_38merge_mergepath_config_static_selectorELNS0_4arch9wavefront6targetE0EEEvSK_ ; -- Begin function _ZN7rocprim17ROCPRIM_400000_NS6detail17trampoline_kernelINS0_14default_configENS1_38merge_sort_block_merge_config_selectorItNS0_10empty_typeEEEZZNS1_27merge_sort_block_merge_implIS3_N6thrust23THRUST_200600_302600_NS6detail15normal_iteratorINS9_10device_ptrItEEEEPS5_m9comp_mod3ItEEE10hipError_tT0_T1_T2_jT3_P12ihipStream_tbPNSt15iterator_traitsISJ_E10value_typeEPNSP_ISK_E10value_typeEPSL_NS1_7vsmem_tEENKUlT_SJ_SK_SL_E_clISE_PtSF_SF_EESI_SY_SJ_SK_SL_EUlSY_E0_NS1_11comp_targetILNS1_3genE2ELNS1_11target_archE906ELNS1_3gpuE6ELNS1_3repE0EEENS1_38merge_mergepath_config_static_selectorELNS0_4arch9wavefront6targetE0EEEvSK_
	.globl	_ZN7rocprim17ROCPRIM_400000_NS6detail17trampoline_kernelINS0_14default_configENS1_38merge_sort_block_merge_config_selectorItNS0_10empty_typeEEEZZNS1_27merge_sort_block_merge_implIS3_N6thrust23THRUST_200600_302600_NS6detail15normal_iteratorINS9_10device_ptrItEEEEPS5_m9comp_mod3ItEEE10hipError_tT0_T1_T2_jT3_P12ihipStream_tbPNSt15iterator_traitsISJ_E10value_typeEPNSP_ISK_E10value_typeEPSL_NS1_7vsmem_tEENKUlT_SJ_SK_SL_E_clISE_PtSF_SF_EESI_SY_SJ_SK_SL_EUlSY_E0_NS1_11comp_targetILNS1_3genE2ELNS1_11target_archE906ELNS1_3gpuE6ELNS1_3repE0EEENS1_38merge_mergepath_config_static_selectorELNS0_4arch9wavefront6targetE0EEEvSK_
	.p2align	8
	.type	_ZN7rocprim17ROCPRIM_400000_NS6detail17trampoline_kernelINS0_14default_configENS1_38merge_sort_block_merge_config_selectorItNS0_10empty_typeEEEZZNS1_27merge_sort_block_merge_implIS3_N6thrust23THRUST_200600_302600_NS6detail15normal_iteratorINS9_10device_ptrItEEEEPS5_m9comp_mod3ItEEE10hipError_tT0_T1_T2_jT3_P12ihipStream_tbPNSt15iterator_traitsISJ_E10value_typeEPNSP_ISK_E10value_typeEPSL_NS1_7vsmem_tEENKUlT_SJ_SK_SL_E_clISE_PtSF_SF_EESI_SY_SJ_SK_SL_EUlSY_E0_NS1_11comp_targetILNS1_3genE2ELNS1_11target_archE906ELNS1_3gpuE6ELNS1_3repE0EEENS1_38merge_mergepath_config_static_selectorELNS0_4arch9wavefront6targetE0EEEvSK_,@function
_ZN7rocprim17ROCPRIM_400000_NS6detail17trampoline_kernelINS0_14default_configENS1_38merge_sort_block_merge_config_selectorItNS0_10empty_typeEEEZZNS1_27merge_sort_block_merge_implIS3_N6thrust23THRUST_200600_302600_NS6detail15normal_iteratorINS9_10device_ptrItEEEEPS5_m9comp_mod3ItEEE10hipError_tT0_T1_T2_jT3_P12ihipStream_tbPNSt15iterator_traitsISJ_E10value_typeEPNSP_ISK_E10value_typeEPSL_NS1_7vsmem_tEENKUlT_SJ_SK_SL_E_clISE_PtSF_SF_EESI_SY_SJ_SK_SL_EUlSY_E0_NS1_11comp_targetILNS1_3genE2ELNS1_11target_archE906ELNS1_3gpuE6ELNS1_3repE0EEENS1_38merge_mergepath_config_static_selectorELNS0_4arch9wavefront6targetE0EEEvSK_: ; @_ZN7rocprim17ROCPRIM_400000_NS6detail17trampoline_kernelINS0_14default_configENS1_38merge_sort_block_merge_config_selectorItNS0_10empty_typeEEEZZNS1_27merge_sort_block_merge_implIS3_N6thrust23THRUST_200600_302600_NS6detail15normal_iteratorINS9_10device_ptrItEEEEPS5_m9comp_mod3ItEEE10hipError_tT0_T1_T2_jT3_P12ihipStream_tbPNSt15iterator_traitsISJ_E10value_typeEPNSP_ISK_E10value_typeEPSL_NS1_7vsmem_tEENKUlT_SJ_SK_SL_E_clISE_PtSF_SF_EESI_SY_SJ_SK_SL_EUlSY_E0_NS1_11comp_targetILNS1_3genE2ELNS1_11target_archE906ELNS1_3gpuE6ELNS1_3repE0EEENS1_38merge_mergepath_config_static_selectorELNS0_4arch9wavefront6targetE0EEEvSK_
; %bb.0:
	.section	.rodata,"a",@progbits
	.p2align	6, 0x0
	.amdhsa_kernel _ZN7rocprim17ROCPRIM_400000_NS6detail17trampoline_kernelINS0_14default_configENS1_38merge_sort_block_merge_config_selectorItNS0_10empty_typeEEEZZNS1_27merge_sort_block_merge_implIS3_N6thrust23THRUST_200600_302600_NS6detail15normal_iteratorINS9_10device_ptrItEEEEPS5_m9comp_mod3ItEEE10hipError_tT0_T1_T2_jT3_P12ihipStream_tbPNSt15iterator_traitsISJ_E10value_typeEPNSP_ISK_E10value_typeEPSL_NS1_7vsmem_tEENKUlT_SJ_SK_SL_E_clISE_PtSF_SF_EESI_SY_SJ_SK_SL_EUlSY_E0_NS1_11comp_targetILNS1_3genE2ELNS1_11target_archE906ELNS1_3gpuE6ELNS1_3repE0EEENS1_38merge_mergepath_config_static_selectorELNS0_4arch9wavefront6targetE0EEEvSK_
		.amdhsa_group_segment_fixed_size 0
		.amdhsa_private_segment_fixed_size 0
		.amdhsa_kernarg_size 80
		.amdhsa_user_sgpr_count 6
		.amdhsa_user_sgpr_private_segment_buffer 1
		.amdhsa_user_sgpr_dispatch_ptr 0
		.amdhsa_user_sgpr_queue_ptr 0
		.amdhsa_user_sgpr_kernarg_segment_ptr 1
		.amdhsa_user_sgpr_dispatch_id 0
		.amdhsa_user_sgpr_flat_scratch_init 0
		.amdhsa_user_sgpr_private_segment_size 0
		.amdhsa_wavefront_size32 1
		.amdhsa_uses_dynamic_stack 0
		.amdhsa_system_sgpr_private_segment_wavefront_offset 0
		.amdhsa_system_sgpr_workgroup_id_x 1
		.amdhsa_system_sgpr_workgroup_id_y 0
		.amdhsa_system_sgpr_workgroup_id_z 0
		.amdhsa_system_sgpr_workgroup_info 0
		.amdhsa_system_vgpr_workitem_id 0
		.amdhsa_next_free_vgpr 1
		.amdhsa_next_free_sgpr 1
		.amdhsa_reserve_vcc 0
		.amdhsa_reserve_flat_scratch 0
		.amdhsa_float_round_mode_32 0
		.amdhsa_float_round_mode_16_64 0
		.amdhsa_float_denorm_mode_32 3
		.amdhsa_float_denorm_mode_16_64 3
		.amdhsa_dx10_clamp 1
		.amdhsa_ieee_mode 1
		.amdhsa_fp16_overflow 0
		.amdhsa_workgroup_processor_mode 1
		.amdhsa_memory_ordered 1
		.amdhsa_forward_progress 1
		.amdhsa_shared_vgpr_count 0
		.amdhsa_exception_fp_ieee_invalid_op 0
		.amdhsa_exception_fp_denorm_src 0
		.amdhsa_exception_fp_ieee_div_zero 0
		.amdhsa_exception_fp_ieee_overflow 0
		.amdhsa_exception_fp_ieee_underflow 0
		.amdhsa_exception_fp_ieee_inexact 0
		.amdhsa_exception_int_div_zero 0
	.end_amdhsa_kernel
	.section	.text._ZN7rocprim17ROCPRIM_400000_NS6detail17trampoline_kernelINS0_14default_configENS1_38merge_sort_block_merge_config_selectorItNS0_10empty_typeEEEZZNS1_27merge_sort_block_merge_implIS3_N6thrust23THRUST_200600_302600_NS6detail15normal_iteratorINS9_10device_ptrItEEEEPS5_m9comp_mod3ItEEE10hipError_tT0_T1_T2_jT3_P12ihipStream_tbPNSt15iterator_traitsISJ_E10value_typeEPNSP_ISK_E10value_typeEPSL_NS1_7vsmem_tEENKUlT_SJ_SK_SL_E_clISE_PtSF_SF_EESI_SY_SJ_SK_SL_EUlSY_E0_NS1_11comp_targetILNS1_3genE2ELNS1_11target_archE906ELNS1_3gpuE6ELNS1_3repE0EEENS1_38merge_mergepath_config_static_selectorELNS0_4arch9wavefront6targetE0EEEvSK_,"axG",@progbits,_ZN7rocprim17ROCPRIM_400000_NS6detail17trampoline_kernelINS0_14default_configENS1_38merge_sort_block_merge_config_selectorItNS0_10empty_typeEEEZZNS1_27merge_sort_block_merge_implIS3_N6thrust23THRUST_200600_302600_NS6detail15normal_iteratorINS9_10device_ptrItEEEEPS5_m9comp_mod3ItEEE10hipError_tT0_T1_T2_jT3_P12ihipStream_tbPNSt15iterator_traitsISJ_E10value_typeEPNSP_ISK_E10value_typeEPSL_NS1_7vsmem_tEENKUlT_SJ_SK_SL_E_clISE_PtSF_SF_EESI_SY_SJ_SK_SL_EUlSY_E0_NS1_11comp_targetILNS1_3genE2ELNS1_11target_archE906ELNS1_3gpuE6ELNS1_3repE0EEENS1_38merge_mergepath_config_static_selectorELNS0_4arch9wavefront6targetE0EEEvSK_,comdat
.Lfunc_end911:
	.size	_ZN7rocprim17ROCPRIM_400000_NS6detail17trampoline_kernelINS0_14default_configENS1_38merge_sort_block_merge_config_selectorItNS0_10empty_typeEEEZZNS1_27merge_sort_block_merge_implIS3_N6thrust23THRUST_200600_302600_NS6detail15normal_iteratorINS9_10device_ptrItEEEEPS5_m9comp_mod3ItEEE10hipError_tT0_T1_T2_jT3_P12ihipStream_tbPNSt15iterator_traitsISJ_E10value_typeEPNSP_ISK_E10value_typeEPSL_NS1_7vsmem_tEENKUlT_SJ_SK_SL_E_clISE_PtSF_SF_EESI_SY_SJ_SK_SL_EUlSY_E0_NS1_11comp_targetILNS1_3genE2ELNS1_11target_archE906ELNS1_3gpuE6ELNS1_3repE0EEENS1_38merge_mergepath_config_static_selectorELNS0_4arch9wavefront6targetE0EEEvSK_, .Lfunc_end911-_ZN7rocprim17ROCPRIM_400000_NS6detail17trampoline_kernelINS0_14default_configENS1_38merge_sort_block_merge_config_selectorItNS0_10empty_typeEEEZZNS1_27merge_sort_block_merge_implIS3_N6thrust23THRUST_200600_302600_NS6detail15normal_iteratorINS9_10device_ptrItEEEEPS5_m9comp_mod3ItEEE10hipError_tT0_T1_T2_jT3_P12ihipStream_tbPNSt15iterator_traitsISJ_E10value_typeEPNSP_ISK_E10value_typeEPSL_NS1_7vsmem_tEENKUlT_SJ_SK_SL_E_clISE_PtSF_SF_EESI_SY_SJ_SK_SL_EUlSY_E0_NS1_11comp_targetILNS1_3genE2ELNS1_11target_archE906ELNS1_3gpuE6ELNS1_3repE0EEENS1_38merge_mergepath_config_static_selectorELNS0_4arch9wavefront6targetE0EEEvSK_
                                        ; -- End function
	.set _ZN7rocprim17ROCPRIM_400000_NS6detail17trampoline_kernelINS0_14default_configENS1_38merge_sort_block_merge_config_selectorItNS0_10empty_typeEEEZZNS1_27merge_sort_block_merge_implIS3_N6thrust23THRUST_200600_302600_NS6detail15normal_iteratorINS9_10device_ptrItEEEEPS5_m9comp_mod3ItEEE10hipError_tT0_T1_T2_jT3_P12ihipStream_tbPNSt15iterator_traitsISJ_E10value_typeEPNSP_ISK_E10value_typeEPSL_NS1_7vsmem_tEENKUlT_SJ_SK_SL_E_clISE_PtSF_SF_EESI_SY_SJ_SK_SL_EUlSY_E0_NS1_11comp_targetILNS1_3genE2ELNS1_11target_archE906ELNS1_3gpuE6ELNS1_3repE0EEENS1_38merge_mergepath_config_static_selectorELNS0_4arch9wavefront6targetE0EEEvSK_.num_vgpr, 0
	.set _ZN7rocprim17ROCPRIM_400000_NS6detail17trampoline_kernelINS0_14default_configENS1_38merge_sort_block_merge_config_selectorItNS0_10empty_typeEEEZZNS1_27merge_sort_block_merge_implIS3_N6thrust23THRUST_200600_302600_NS6detail15normal_iteratorINS9_10device_ptrItEEEEPS5_m9comp_mod3ItEEE10hipError_tT0_T1_T2_jT3_P12ihipStream_tbPNSt15iterator_traitsISJ_E10value_typeEPNSP_ISK_E10value_typeEPSL_NS1_7vsmem_tEENKUlT_SJ_SK_SL_E_clISE_PtSF_SF_EESI_SY_SJ_SK_SL_EUlSY_E0_NS1_11comp_targetILNS1_3genE2ELNS1_11target_archE906ELNS1_3gpuE6ELNS1_3repE0EEENS1_38merge_mergepath_config_static_selectorELNS0_4arch9wavefront6targetE0EEEvSK_.num_agpr, 0
	.set _ZN7rocprim17ROCPRIM_400000_NS6detail17trampoline_kernelINS0_14default_configENS1_38merge_sort_block_merge_config_selectorItNS0_10empty_typeEEEZZNS1_27merge_sort_block_merge_implIS3_N6thrust23THRUST_200600_302600_NS6detail15normal_iteratorINS9_10device_ptrItEEEEPS5_m9comp_mod3ItEEE10hipError_tT0_T1_T2_jT3_P12ihipStream_tbPNSt15iterator_traitsISJ_E10value_typeEPNSP_ISK_E10value_typeEPSL_NS1_7vsmem_tEENKUlT_SJ_SK_SL_E_clISE_PtSF_SF_EESI_SY_SJ_SK_SL_EUlSY_E0_NS1_11comp_targetILNS1_3genE2ELNS1_11target_archE906ELNS1_3gpuE6ELNS1_3repE0EEENS1_38merge_mergepath_config_static_selectorELNS0_4arch9wavefront6targetE0EEEvSK_.numbered_sgpr, 0
	.set _ZN7rocprim17ROCPRIM_400000_NS6detail17trampoline_kernelINS0_14default_configENS1_38merge_sort_block_merge_config_selectorItNS0_10empty_typeEEEZZNS1_27merge_sort_block_merge_implIS3_N6thrust23THRUST_200600_302600_NS6detail15normal_iteratorINS9_10device_ptrItEEEEPS5_m9comp_mod3ItEEE10hipError_tT0_T1_T2_jT3_P12ihipStream_tbPNSt15iterator_traitsISJ_E10value_typeEPNSP_ISK_E10value_typeEPSL_NS1_7vsmem_tEENKUlT_SJ_SK_SL_E_clISE_PtSF_SF_EESI_SY_SJ_SK_SL_EUlSY_E0_NS1_11comp_targetILNS1_3genE2ELNS1_11target_archE906ELNS1_3gpuE6ELNS1_3repE0EEENS1_38merge_mergepath_config_static_selectorELNS0_4arch9wavefront6targetE0EEEvSK_.num_named_barrier, 0
	.set _ZN7rocprim17ROCPRIM_400000_NS6detail17trampoline_kernelINS0_14default_configENS1_38merge_sort_block_merge_config_selectorItNS0_10empty_typeEEEZZNS1_27merge_sort_block_merge_implIS3_N6thrust23THRUST_200600_302600_NS6detail15normal_iteratorINS9_10device_ptrItEEEEPS5_m9comp_mod3ItEEE10hipError_tT0_T1_T2_jT3_P12ihipStream_tbPNSt15iterator_traitsISJ_E10value_typeEPNSP_ISK_E10value_typeEPSL_NS1_7vsmem_tEENKUlT_SJ_SK_SL_E_clISE_PtSF_SF_EESI_SY_SJ_SK_SL_EUlSY_E0_NS1_11comp_targetILNS1_3genE2ELNS1_11target_archE906ELNS1_3gpuE6ELNS1_3repE0EEENS1_38merge_mergepath_config_static_selectorELNS0_4arch9wavefront6targetE0EEEvSK_.private_seg_size, 0
	.set _ZN7rocprim17ROCPRIM_400000_NS6detail17trampoline_kernelINS0_14default_configENS1_38merge_sort_block_merge_config_selectorItNS0_10empty_typeEEEZZNS1_27merge_sort_block_merge_implIS3_N6thrust23THRUST_200600_302600_NS6detail15normal_iteratorINS9_10device_ptrItEEEEPS5_m9comp_mod3ItEEE10hipError_tT0_T1_T2_jT3_P12ihipStream_tbPNSt15iterator_traitsISJ_E10value_typeEPNSP_ISK_E10value_typeEPSL_NS1_7vsmem_tEENKUlT_SJ_SK_SL_E_clISE_PtSF_SF_EESI_SY_SJ_SK_SL_EUlSY_E0_NS1_11comp_targetILNS1_3genE2ELNS1_11target_archE906ELNS1_3gpuE6ELNS1_3repE0EEENS1_38merge_mergepath_config_static_selectorELNS0_4arch9wavefront6targetE0EEEvSK_.uses_vcc, 0
	.set _ZN7rocprim17ROCPRIM_400000_NS6detail17trampoline_kernelINS0_14default_configENS1_38merge_sort_block_merge_config_selectorItNS0_10empty_typeEEEZZNS1_27merge_sort_block_merge_implIS3_N6thrust23THRUST_200600_302600_NS6detail15normal_iteratorINS9_10device_ptrItEEEEPS5_m9comp_mod3ItEEE10hipError_tT0_T1_T2_jT3_P12ihipStream_tbPNSt15iterator_traitsISJ_E10value_typeEPNSP_ISK_E10value_typeEPSL_NS1_7vsmem_tEENKUlT_SJ_SK_SL_E_clISE_PtSF_SF_EESI_SY_SJ_SK_SL_EUlSY_E0_NS1_11comp_targetILNS1_3genE2ELNS1_11target_archE906ELNS1_3gpuE6ELNS1_3repE0EEENS1_38merge_mergepath_config_static_selectorELNS0_4arch9wavefront6targetE0EEEvSK_.uses_flat_scratch, 0
	.set _ZN7rocprim17ROCPRIM_400000_NS6detail17trampoline_kernelINS0_14default_configENS1_38merge_sort_block_merge_config_selectorItNS0_10empty_typeEEEZZNS1_27merge_sort_block_merge_implIS3_N6thrust23THRUST_200600_302600_NS6detail15normal_iteratorINS9_10device_ptrItEEEEPS5_m9comp_mod3ItEEE10hipError_tT0_T1_T2_jT3_P12ihipStream_tbPNSt15iterator_traitsISJ_E10value_typeEPNSP_ISK_E10value_typeEPSL_NS1_7vsmem_tEENKUlT_SJ_SK_SL_E_clISE_PtSF_SF_EESI_SY_SJ_SK_SL_EUlSY_E0_NS1_11comp_targetILNS1_3genE2ELNS1_11target_archE906ELNS1_3gpuE6ELNS1_3repE0EEENS1_38merge_mergepath_config_static_selectorELNS0_4arch9wavefront6targetE0EEEvSK_.has_dyn_sized_stack, 0
	.set _ZN7rocprim17ROCPRIM_400000_NS6detail17trampoline_kernelINS0_14default_configENS1_38merge_sort_block_merge_config_selectorItNS0_10empty_typeEEEZZNS1_27merge_sort_block_merge_implIS3_N6thrust23THRUST_200600_302600_NS6detail15normal_iteratorINS9_10device_ptrItEEEEPS5_m9comp_mod3ItEEE10hipError_tT0_T1_T2_jT3_P12ihipStream_tbPNSt15iterator_traitsISJ_E10value_typeEPNSP_ISK_E10value_typeEPSL_NS1_7vsmem_tEENKUlT_SJ_SK_SL_E_clISE_PtSF_SF_EESI_SY_SJ_SK_SL_EUlSY_E0_NS1_11comp_targetILNS1_3genE2ELNS1_11target_archE906ELNS1_3gpuE6ELNS1_3repE0EEENS1_38merge_mergepath_config_static_selectorELNS0_4arch9wavefront6targetE0EEEvSK_.has_recursion, 0
	.set _ZN7rocprim17ROCPRIM_400000_NS6detail17trampoline_kernelINS0_14default_configENS1_38merge_sort_block_merge_config_selectorItNS0_10empty_typeEEEZZNS1_27merge_sort_block_merge_implIS3_N6thrust23THRUST_200600_302600_NS6detail15normal_iteratorINS9_10device_ptrItEEEEPS5_m9comp_mod3ItEEE10hipError_tT0_T1_T2_jT3_P12ihipStream_tbPNSt15iterator_traitsISJ_E10value_typeEPNSP_ISK_E10value_typeEPSL_NS1_7vsmem_tEENKUlT_SJ_SK_SL_E_clISE_PtSF_SF_EESI_SY_SJ_SK_SL_EUlSY_E0_NS1_11comp_targetILNS1_3genE2ELNS1_11target_archE906ELNS1_3gpuE6ELNS1_3repE0EEENS1_38merge_mergepath_config_static_selectorELNS0_4arch9wavefront6targetE0EEEvSK_.has_indirect_call, 0
	.section	.AMDGPU.csdata,"",@progbits
; Kernel info:
; codeLenInByte = 0
; TotalNumSgprs: 0
; NumVgprs: 0
; ScratchSize: 0
; MemoryBound: 0
; FloatMode: 240
; IeeeMode: 1
; LDSByteSize: 0 bytes/workgroup (compile time only)
; SGPRBlocks: 0
; VGPRBlocks: 0
; NumSGPRsForWavesPerEU: 1
; NumVGPRsForWavesPerEU: 1
; Occupancy: 16
; WaveLimiterHint : 0
; COMPUTE_PGM_RSRC2:SCRATCH_EN: 0
; COMPUTE_PGM_RSRC2:USER_SGPR: 6
; COMPUTE_PGM_RSRC2:TRAP_HANDLER: 0
; COMPUTE_PGM_RSRC2:TGID_X_EN: 1
; COMPUTE_PGM_RSRC2:TGID_Y_EN: 0
; COMPUTE_PGM_RSRC2:TGID_Z_EN: 0
; COMPUTE_PGM_RSRC2:TIDIG_COMP_CNT: 0
	.section	.text._ZN7rocprim17ROCPRIM_400000_NS6detail17trampoline_kernelINS0_14default_configENS1_38merge_sort_block_merge_config_selectorItNS0_10empty_typeEEEZZNS1_27merge_sort_block_merge_implIS3_N6thrust23THRUST_200600_302600_NS6detail15normal_iteratorINS9_10device_ptrItEEEEPS5_m9comp_mod3ItEEE10hipError_tT0_T1_T2_jT3_P12ihipStream_tbPNSt15iterator_traitsISJ_E10value_typeEPNSP_ISK_E10value_typeEPSL_NS1_7vsmem_tEENKUlT_SJ_SK_SL_E_clISE_PtSF_SF_EESI_SY_SJ_SK_SL_EUlSY_E0_NS1_11comp_targetILNS1_3genE9ELNS1_11target_archE1100ELNS1_3gpuE3ELNS1_3repE0EEENS1_38merge_mergepath_config_static_selectorELNS0_4arch9wavefront6targetE0EEEvSK_,"axG",@progbits,_ZN7rocprim17ROCPRIM_400000_NS6detail17trampoline_kernelINS0_14default_configENS1_38merge_sort_block_merge_config_selectorItNS0_10empty_typeEEEZZNS1_27merge_sort_block_merge_implIS3_N6thrust23THRUST_200600_302600_NS6detail15normal_iteratorINS9_10device_ptrItEEEEPS5_m9comp_mod3ItEEE10hipError_tT0_T1_T2_jT3_P12ihipStream_tbPNSt15iterator_traitsISJ_E10value_typeEPNSP_ISK_E10value_typeEPSL_NS1_7vsmem_tEENKUlT_SJ_SK_SL_E_clISE_PtSF_SF_EESI_SY_SJ_SK_SL_EUlSY_E0_NS1_11comp_targetILNS1_3genE9ELNS1_11target_archE1100ELNS1_3gpuE3ELNS1_3repE0EEENS1_38merge_mergepath_config_static_selectorELNS0_4arch9wavefront6targetE0EEEvSK_,comdat
	.protected	_ZN7rocprim17ROCPRIM_400000_NS6detail17trampoline_kernelINS0_14default_configENS1_38merge_sort_block_merge_config_selectorItNS0_10empty_typeEEEZZNS1_27merge_sort_block_merge_implIS3_N6thrust23THRUST_200600_302600_NS6detail15normal_iteratorINS9_10device_ptrItEEEEPS5_m9comp_mod3ItEEE10hipError_tT0_T1_T2_jT3_P12ihipStream_tbPNSt15iterator_traitsISJ_E10value_typeEPNSP_ISK_E10value_typeEPSL_NS1_7vsmem_tEENKUlT_SJ_SK_SL_E_clISE_PtSF_SF_EESI_SY_SJ_SK_SL_EUlSY_E0_NS1_11comp_targetILNS1_3genE9ELNS1_11target_archE1100ELNS1_3gpuE3ELNS1_3repE0EEENS1_38merge_mergepath_config_static_selectorELNS0_4arch9wavefront6targetE0EEEvSK_ ; -- Begin function _ZN7rocprim17ROCPRIM_400000_NS6detail17trampoline_kernelINS0_14default_configENS1_38merge_sort_block_merge_config_selectorItNS0_10empty_typeEEEZZNS1_27merge_sort_block_merge_implIS3_N6thrust23THRUST_200600_302600_NS6detail15normal_iteratorINS9_10device_ptrItEEEEPS5_m9comp_mod3ItEEE10hipError_tT0_T1_T2_jT3_P12ihipStream_tbPNSt15iterator_traitsISJ_E10value_typeEPNSP_ISK_E10value_typeEPSL_NS1_7vsmem_tEENKUlT_SJ_SK_SL_E_clISE_PtSF_SF_EESI_SY_SJ_SK_SL_EUlSY_E0_NS1_11comp_targetILNS1_3genE9ELNS1_11target_archE1100ELNS1_3gpuE3ELNS1_3repE0EEENS1_38merge_mergepath_config_static_selectorELNS0_4arch9wavefront6targetE0EEEvSK_
	.globl	_ZN7rocprim17ROCPRIM_400000_NS6detail17trampoline_kernelINS0_14default_configENS1_38merge_sort_block_merge_config_selectorItNS0_10empty_typeEEEZZNS1_27merge_sort_block_merge_implIS3_N6thrust23THRUST_200600_302600_NS6detail15normal_iteratorINS9_10device_ptrItEEEEPS5_m9comp_mod3ItEEE10hipError_tT0_T1_T2_jT3_P12ihipStream_tbPNSt15iterator_traitsISJ_E10value_typeEPNSP_ISK_E10value_typeEPSL_NS1_7vsmem_tEENKUlT_SJ_SK_SL_E_clISE_PtSF_SF_EESI_SY_SJ_SK_SL_EUlSY_E0_NS1_11comp_targetILNS1_3genE9ELNS1_11target_archE1100ELNS1_3gpuE3ELNS1_3repE0EEENS1_38merge_mergepath_config_static_selectorELNS0_4arch9wavefront6targetE0EEEvSK_
	.p2align	8
	.type	_ZN7rocprim17ROCPRIM_400000_NS6detail17trampoline_kernelINS0_14default_configENS1_38merge_sort_block_merge_config_selectorItNS0_10empty_typeEEEZZNS1_27merge_sort_block_merge_implIS3_N6thrust23THRUST_200600_302600_NS6detail15normal_iteratorINS9_10device_ptrItEEEEPS5_m9comp_mod3ItEEE10hipError_tT0_T1_T2_jT3_P12ihipStream_tbPNSt15iterator_traitsISJ_E10value_typeEPNSP_ISK_E10value_typeEPSL_NS1_7vsmem_tEENKUlT_SJ_SK_SL_E_clISE_PtSF_SF_EESI_SY_SJ_SK_SL_EUlSY_E0_NS1_11comp_targetILNS1_3genE9ELNS1_11target_archE1100ELNS1_3gpuE3ELNS1_3repE0EEENS1_38merge_mergepath_config_static_selectorELNS0_4arch9wavefront6targetE0EEEvSK_,@function
_ZN7rocprim17ROCPRIM_400000_NS6detail17trampoline_kernelINS0_14default_configENS1_38merge_sort_block_merge_config_selectorItNS0_10empty_typeEEEZZNS1_27merge_sort_block_merge_implIS3_N6thrust23THRUST_200600_302600_NS6detail15normal_iteratorINS9_10device_ptrItEEEEPS5_m9comp_mod3ItEEE10hipError_tT0_T1_T2_jT3_P12ihipStream_tbPNSt15iterator_traitsISJ_E10value_typeEPNSP_ISK_E10value_typeEPSL_NS1_7vsmem_tEENKUlT_SJ_SK_SL_E_clISE_PtSF_SF_EESI_SY_SJ_SK_SL_EUlSY_E0_NS1_11comp_targetILNS1_3genE9ELNS1_11target_archE1100ELNS1_3gpuE3ELNS1_3repE0EEENS1_38merge_mergepath_config_static_selectorELNS0_4arch9wavefront6targetE0EEEvSK_: ; @_ZN7rocprim17ROCPRIM_400000_NS6detail17trampoline_kernelINS0_14default_configENS1_38merge_sort_block_merge_config_selectorItNS0_10empty_typeEEEZZNS1_27merge_sort_block_merge_implIS3_N6thrust23THRUST_200600_302600_NS6detail15normal_iteratorINS9_10device_ptrItEEEEPS5_m9comp_mod3ItEEE10hipError_tT0_T1_T2_jT3_P12ihipStream_tbPNSt15iterator_traitsISJ_E10value_typeEPNSP_ISK_E10value_typeEPSL_NS1_7vsmem_tEENKUlT_SJ_SK_SL_E_clISE_PtSF_SF_EESI_SY_SJ_SK_SL_EUlSY_E0_NS1_11comp_targetILNS1_3genE9ELNS1_11target_archE1100ELNS1_3gpuE3ELNS1_3repE0EEENS1_38merge_mergepath_config_static_selectorELNS0_4arch9wavefront6targetE0EEEvSK_
; %bb.0:
	.section	.rodata,"a",@progbits
	.p2align	6, 0x0
	.amdhsa_kernel _ZN7rocprim17ROCPRIM_400000_NS6detail17trampoline_kernelINS0_14default_configENS1_38merge_sort_block_merge_config_selectorItNS0_10empty_typeEEEZZNS1_27merge_sort_block_merge_implIS3_N6thrust23THRUST_200600_302600_NS6detail15normal_iteratorINS9_10device_ptrItEEEEPS5_m9comp_mod3ItEEE10hipError_tT0_T1_T2_jT3_P12ihipStream_tbPNSt15iterator_traitsISJ_E10value_typeEPNSP_ISK_E10value_typeEPSL_NS1_7vsmem_tEENKUlT_SJ_SK_SL_E_clISE_PtSF_SF_EESI_SY_SJ_SK_SL_EUlSY_E0_NS1_11comp_targetILNS1_3genE9ELNS1_11target_archE1100ELNS1_3gpuE3ELNS1_3repE0EEENS1_38merge_mergepath_config_static_selectorELNS0_4arch9wavefront6targetE0EEEvSK_
		.amdhsa_group_segment_fixed_size 0
		.amdhsa_private_segment_fixed_size 0
		.amdhsa_kernarg_size 80
		.amdhsa_user_sgpr_count 6
		.amdhsa_user_sgpr_private_segment_buffer 1
		.amdhsa_user_sgpr_dispatch_ptr 0
		.amdhsa_user_sgpr_queue_ptr 0
		.amdhsa_user_sgpr_kernarg_segment_ptr 1
		.amdhsa_user_sgpr_dispatch_id 0
		.amdhsa_user_sgpr_flat_scratch_init 0
		.amdhsa_user_sgpr_private_segment_size 0
		.amdhsa_wavefront_size32 1
		.amdhsa_uses_dynamic_stack 0
		.amdhsa_system_sgpr_private_segment_wavefront_offset 0
		.amdhsa_system_sgpr_workgroup_id_x 1
		.amdhsa_system_sgpr_workgroup_id_y 0
		.amdhsa_system_sgpr_workgroup_id_z 0
		.amdhsa_system_sgpr_workgroup_info 0
		.amdhsa_system_vgpr_workitem_id 0
		.amdhsa_next_free_vgpr 1
		.amdhsa_next_free_sgpr 1
		.amdhsa_reserve_vcc 0
		.amdhsa_reserve_flat_scratch 0
		.amdhsa_float_round_mode_32 0
		.amdhsa_float_round_mode_16_64 0
		.amdhsa_float_denorm_mode_32 3
		.amdhsa_float_denorm_mode_16_64 3
		.amdhsa_dx10_clamp 1
		.amdhsa_ieee_mode 1
		.amdhsa_fp16_overflow 0
		.amdhsa_workgroup_processor_mode 1
		.amdhsa_memory_ordered 1
		.amdhsa_forward_progress 1
		.amdhsa_shared_vgpr_count 0
		.amdhsa_exception_fp_ieee_invalid_op 0
		.amdhsa_exception_fp_denorm_src 0
		.amdhsa_exception_fp_ieee_div_zero 0
		.amdhsa_exception_fp_ieee_overflow 0
		.amdhsa_exception_fp_ieee_underflow 0
		.amdhsa_exception_fp_ieee_inexact 0
		.amdhsa_exception_int_div_zero 0
	.end_amdhsa_kernel
	.section	.text._ZN7rocprim17ROCPRIM_400000_NS6detail17trampoline_kernelINS0_14default_configENS1_38merge_sort_block_merge_config_selectorItNS0_10empty_typeEEEZZNS1_27merge_sort_block_merge_implIS3_N6thrust23THRUST_200600_302600_NS6detail15normal_iteratorINS9_10device_ptrItEEEEPS5_m9comp_mod3ItEEE10hipError_tT0_T1_T2_jT3_P12ihipStream_tbPNSt15iterator_traitsISJ_E10value_typeEPNSP_ISK_E10value_typeEPSL_NS1_7vsmem_tEENKUlT_SJ_SK_SL_E_clISE_PtSF_SF_EESI_SY_SJ_SK_SL_EUlSY_E0_NS1_11comp_targetILNS1_3genE9ELNS1_11target_archE1100ELNS1_3gpuE3ELNS1_3repE0EEENS1_38merge_mergepath_config_static_selectorELNS0_4arch9wavefront6targetE0EEEvSK_,"axG",@progbits,_ZN7rocprim17ROCPRIM_400000_NS6detail17trampoline_kernelINS0_14default_configENS1_38merge_sort_block_merge_config_selectorItNS0_10empty_typeEEEZZNS1_27merge_sort_block_merge_implIS3_N6thrust23THRUST_200600_302600_NS6detail15normal_iteratorINS9_10device_ptrItEEEEPS5_m9comp_mod3ItEEE10hipError_tT0_T1_T2_jT3_P12ihipStream_tbPNSt15iterator_traitsISJ_E10value_typeEPNSP_ISK_E10value_typeEPSL_NS1_7vsmem_tEENKUlT_SJ_SK_SL_E_clISE_PtSF_SF_EESI_SY_SJ_SK_SL_EUlSY_E0_NS1_11comp_targetILNS1_3genE9ELNS1_11target_archE1100ELNS1_3gpuE3ELNS1_3repE0EEENS1_38merge_mergepath_config_static_selectorELNS0_4arch9wavefront6targetE0EEEvSK_,comdat
.Lfunc_end912:
	.size	_ZN7rocprim17ROCPRIM_400000_NS6detail17trampoline_kernelINS0_14default_configENS1_38merge_sort_block_merge_config_selectorItNS0_10empty_typeEEEZZNS1_27merge_sort_block_merge_implIS3_N6thrust23THRUST_200600_302600_NS6detail15normal_iteratorINS9_10device_ptrItEEEEPS5_m9comp_mod3ItEEE10hipError_tT0_T1_T2_jT3_P12ihipStream_tbPNSt15iterator_traitsISJ_E10value_typeEPNSP_ISK_E10value_typeEPSL_NS1_7vsmem_tEENKUlT_SJ_SK_SL_E_clISE_PtSF_SF_EESI_SY_SJ_SK_SL_EUlSY_E0_NS1_11comp_targetILNS1_3genE9ELNS1_11target_archE1100ELNS1_3gpuE3ELNS1_3repE0EEENS1_38merge_mergepath_config_static_selectorELNS0_4arch9wavefront6targetE0EEEvSK_, .Lfunc_end912-_ZN7rocprim17ROCPRIM_400000_NS6detail17trampoline_kernelINS0_14default_configENS1_38merge_sort_block_merge_config_selectorItNS0_10empty_typeEEEZZNS1_27merge_sort_block_merge_implIS3_N6thrust23THRUST_200600_302600_NS6detail15normal_iteratorINS9_10device_ptrItEEEEPS5_m9comp_mod3ItEEE10hipError_tT0_T1_T2_jT3_P12ihipStream_tbPNSt15iterator_traitsISJ_E10value_typeEPNSP_ISK_E10value_typeEPSL_NS1_7vsmem_tEENKUlT_SJ_SK_SL_E_clISE_PtSF_SF_EESI_SY_SJ_SK_SL_EUlSY_E0_NS1_11comp_targetILNS1_3genE9ELNS1_11target_archE1100ELNS1_3gpuE3ELNS1_3repE0EEENS1_38merge_mergepath_config_static_selectorELNS0_4arch9wavefront6targetE0EEEvSK_
                                        ; -- End function
	.set _ZN7rocprim17ROCPRIM_400000_NS6detail17trampoline_kernelINS0_14default_configENS1_38merge_sort_block_merge_config_selectorItNS0_10empty_typeEEEZZNS1_27merge_sort_block_merge_implIS3_N6thrust23THRUST_200600_302600_NS6detail15normal_iteratorINS9_10device_ptrItEEEEPS5_m9comp_mod3ItEEE10hipError_tT0_T1_T2_jT3_P12ihipStream_tbPNSt15iterator_traitsISJ_E10value_typeEPNSP_ISK_E10value_typeEPSL_NS1_7vsmem_tEENKUlT_SJ_SK_SL_E_clISE_PtSF_SF_EESI_SY_SJ_SK_SL_EUlSY_E0_NS1_11comp_targetILNS1_3genE9ELNS1_11target_archE1100ELNS1_3gpuE3ELNS1_3repE0EEENS1_38merge_mergepath_config_static_selectorELNS0_4arch9wavefront6targetE0EEEvSK_.num_vgpr, 0
	.set _ZN7rocprim17ROCPRIM_400000_NS6detail17trampoline_kernelINS0_14default_configENS1_38merge_sort_block_merge_config_selectorItNS0_10empty_typeEEEZZNS1_27merge_sort_block_merge_implIS3_N6thrust23THRUST_200600_302600_NS6detail15normal_iteratorINS9_10device_ptrItEEEEPS5_m9comp_mod3ItEEE10hipError_tT0_T1_T2_jT3_P12ihipStream_tbPNSt15iterator_traitsISJ_E10value_typeEPNSP_ISK_E10value_typeEPSL_NS1_7vsmem_tEENKUlT_SJ_SK_SL_E_clISE_PtSF_SF_EESI_SY_SJ_SK_SL_EUlSY_E0_NS1_11comp_targetILNS1_3genE9ELNS1_11target_archE1100ELNS1_3gpuE3ELNS1_3repE0EEENS1_38merge_mergepath_config_static_selectorELNS0_4arch9wavefront6targetE0EEEvSK_.num_agpr, 0
	.set _ZN7rocprim17ROCPRIM_400000_NS6detail17trampoline_kernelINS0_14default_configENS1_38merge_sort_block_merge_config_selectorItNS0_10empty_typeEEEZZNS1_27merge_sort_block_merge_implIS3_N6thrust23THRUST_200600_302600_NS6detail15normal_iteratorINS9_10device_ptrItEEEEPS5_m9comp_mod3ItEEE10hipError_tT0_T1_T2_jT3_P12ihipStream_tbPNSt15iterator_traitsISJ_E10value_typeEPNSP_ISK_E10value_typeEPSL_NS1_7vsmem_tEENKUlT_SJ_SK_SL_E_clISE_PtSF_SF_EESI_SY_SJ_SK_SL_EUlSY_E0_NS1_11comp_targetILNS1_3genE9ELNS1_11target_archE1100ELNS1_3gpuE3ELNS1_3repE0EEENS1_38merge_mergepath_config_static_selectorELNS0_4arch9wavefront6targetE0EEEvSK_.numbered_sgpr, 0
	.set _ZN7rocprim17ROCPRIM_400000_NS6detail17trampoline_kernelINS0_14default_configENS1_38merge_sort_block_merge_config_selectorItNS0_10empty_typeEEEZZNS1_27merge_sort_block_merge_implIS3_N6thrust23THRUST_200600_302600_NS6detail15normal_iteratorINS9_10device_ptrItEEEEPS5_m9comp_mod3ItEEE10hipError_tT0_T1_T2_jT3_P12ihipStream_tbPNSt15iterator_traitsISJ_E10value_typeEPNSP_ISK_E10value_typeEPSL_NS1_7vsmem_tEENKUlT_SJ_SK_SL_E_clISE_PtSF_SF_EESI_SY_SJ_SK_SL_EUlSY_E0_NS1_11comp_targetILNS1_3genE9ELNS1_11target_archE1100ELNS1_3gpuE3ELNS1_3repE0EEENS1_38merge_mergepath_config_static_selectorELNS0_4arch9wavefront6targetE0EEEvSK_.num_named_barrier, 0
	.set _ZN7rocprim17ROCPRIM_400000_NS6detail17trampoline_kernelINS0_14default_configENS1_38merge_sort_block_merge_config_selectorItNS0_10empty_typeEEEZZNS1_27merge_sort_block_merge_implIS3_N6thrust23THRUST_200600_302600_NS6detail15normal_iteratorINS9_10device_ptrItEEEEPS5_m9comp_mod3ItEEE10hipError_tT0_T1_T2_jT3_P12ihipStream_tbPNSt15iterator_traitsISJ_E10value_typeEPNSP_ISK_E10value_typeEPSL_NS1_7vsmem_tEENKUlT_SJ_SK_SL_E_clISE_PtSF_SF_EESI_SY_SJ_SK_SL_EUlSY_E0_NS1_11comp_targetILNS1_3genE9ELNS1_11target_archE1100ELNS1_3gpuE3ELNS1_3repE0EEENS1_38merge_mergepath_config_static_selectorELNS0_4arch9wavefront6targetE0EEEvSK_.private_seg_size, 0
	.set _ZN7rocprim17ROCPRIM_400000_NS6detail17trampoline_kernelINS0_14default_configENS1_38merge_sort_block_merge_config_selectorItNS0_10empty_typeEEEZZNS1_27merge_sort_block_merge_implIS3_N6thrust23THRUST_200600_302600_NS6detail15normal_iteratorINS9_10device_ptrItEEEEPS5_m9comp_mod3ItEEE10hipError_tT0_T1_T2_jT3_P12ihipStream_tbPNSt15iterator_traitsISJ_E10value_typeEPNSP_ISK_E10value_typeEPSL_NS1_7vsmem_tEENKUlT_SJ_SK_SL_E_clISE_PtSF_SF_EESI_SY_SJ_SK_SL_EUlSY_E0_NS1_11comp_targetILNS1_3genE9ELNS1_11target_archE1100ELNS1_3gpuE3ELNS1_3repE0EEENS1_38merge_mergepath_config_static_selectorELNS0_4arch9wavefront6targetE0EEEvSK_.uses_vcc, 0
	.set _ZN7rocprim17ROCPRIM_400000_NS6detail17trampoline_kernelINS0_14default_configENS1_38merge_sort_block_merge_config_selectorItNS0_10empty_typeEEEZZNS1_27merge_sort_block_merge_implIS3_N6thrust23THRUST_200600_302600_NS6detail15normal_iteratorINS9_10device_ptrItEEEEPS5_m9comp_mod3ItEEE10hipError_tT0_T1_T2_jT3_P12ihipStream_tbPNSt15iterator_traitsISJ_E10value_typeEPNSP_ISK_E10value_typeEPSL_NS1_7vsmem_tEENKUlT_SJ_SK_SL_E_clISE_PtSF_SF_EESI_SY_SJ_SK_SL_EUlSY_E0_NS1_11comp_targetILNS1_3genE9ELNS1_11target_archE1100ELNS1_3gpuE3ELNS1_3repE0EEENS1_38merge_mergepath_config_static_selectorELNS0_4arch9wavefront6targetE0EEEvSK_.uses_flat_scratch, 0
	.set _ZN7rocprim17ROCPRIM_400000_NS6detail17trampoline_kernelINS0_14default_configENS1_38merge_sort_block_merge_config_selectorItNS0_10empty_typeEEEZZNS1_27merge_sort_block_merge_implIS3_N6thrust23THRUST_200600_302600_NS6detail15normal_iteratorINS9_10device_ptrItEEEEPS5_m9comp_mod3ItEEE10hipError_tT0_T1_T2_jT3_P12ihipStream_tbPNSt15iterator_traitsISJ_E10value_typeEPNSP_ISK_E10value_typeEPSL_NS1_7vsmem_tEENKUlT_SJ_SK_SL_E_clISE_PtSF_SF_EESI_SY_SJ_SK_SL_EUlSY_E0_NS1_11comp_targetILNS1_3genE9ELNS1_11target_archE1100ELNS1_3gpuE3ELNS1_3repE0EEENS1_38merge_mergepath_config_static_selectorELNS0_4arch9wavefront6targetE0EEEvSK_.has_dyn_sized_stack, 0
	.set _ZN7rocprim17ROCPRIM_400000_NS6detail17trampoline_kernelINS0_14default_configENS1_38merge_sort_block_merge_config_selectorItNS0_10empty_typeEEEZZNS1_27merge_sort_block_merge_implIS3_N6thrust23THRUST_200600_302600_NS6detail15normal_iteratorINS9_10device_ptrItEEEEPS5_m9comp_mod3ItEEE10hipError_tT0_T1_T2_jT3_P12ihipStream_tbPNSt15iterator_traitsISJ_E10value_typeEPNSP_ISK_E10value_typeEPSL_NS1_7vsmem_tEENKUlT_SJ_SK_SL_E_clISE_PtSF_SF_EESI_SY_SJ_SK_SL_EUlSY_E0_NS1_11comp_targetILNS1_3genE9ELNS1_11target_archE1100ELNS1_3gpuE3ELNS1_3repE0EEENS1_38merge_mergepath_config_static_selectorELNS0_4arch9wavefront6targetE0EEEvSK_.has_recursion, 0
	.set _ZN7rocprim17ROCPRIM_400000_NS6detail17trampoline_kernelINS0_14default_configENS1_38merge_sort_block_merge_config_selectorItNS0_10empty_typeEEEZZNS1_27merge_sort_block_merge_implIS3_N6thrust23THRUST_200600_302600_NS6detail15normal_iteratorINS9_10device_ptrItEEEEPS5_m9comp_mod3ItEEE10hipError_tT0_T1_T2_jT3_P12ihipStream_tbPNSt15iterator_traitsISJ_E10value_typeEPNSP_ISK_E10value_typeEPSL_NS1_7vsmem_tEENKUlT_SJ_SK_SL_E_clISE_PtSF_SF_EESI_SY_SJ_SK_SL_EUlSY_E0_NS1_11comp_targetILNS1_3genE9ELNS1_11target_archE1100ELNS1_3gpuE3ELNS1_3repE0EEENS1_38merge_mergepath_config_static_selectorELNS0_4arch9wavefront6targetE0EEEvSK_.has_indirect_call, 0
	.section	.AMDGPU.csdata,"",@progbits
; Kernel info:
; codeLenInByte = 0
; TotalNumSgprs: 0
; NumVgprs: 0
; ScratchSize: 0
; MemoryBound: 0
; FloatMode: 240
; IeeeMode: 1
; LDSByteSize: 0 bytes/workgroup (compile time only)
; SGPRBlocks: 0
; VGPRBlocks: 0
; NumSGPRsForWavesPerEU: 1
; NumVGPRsForWavesPerEU: 1
; Occupancy: 16
; WaveLimiterHint : 0
; COMPUTE_PGM_RSRC2:SCRATCH_EN: 0
; COMPUTE_PGM_RSRC2:USER_SGPR: 6
; COMPUTE_PGM_RSRC2:TRAP_HANDLER: 0
; COMPUTE_PGM_RSRC2:TGID_X_EN: 1
; COMPUTE_PGM_RSRC2:TGID_Y_EN: 0
; COMPUTE_PGM_RSRC2:TGID_Z_EN: 0
; COMPUTE_PGM_RSRC2:TIDIG_COMP_CNT: 0
	.section	.text._ZN7rocprim17ROCPRIM_400000_NS6detail17trampoline_kernelINS0_14default_configENS1_38merge_sort_block_merge_config_selectorItNS0_10empty_typeEEEZZNS1_27merge_sort_block_merge_implIS3_N6thrust23THRUST_200600_302600_NS6detail15normal_iteratorINS9_10device_ptrItEEEEPS5_m9comp_mod3ItEEE10hipError_tT0_T1_T2_jT3_P12ihipStream_tbPNSt15iterator_traitsISJ_E10value_typeEPNSP_ISK_E10value_typeEPSL_NS1_7vsmem_tEENKUlT_SJ_SK_SL_E_clISE_PtSF_SF_EESI_SY_SJ_SK_SL_EUlSY_E0_NS1_11comp_targetILNS1_3genE8ELNS1_11target_archE1030ELNS1_3gpuE2ELNS1_3repE0EEENS1_38merge_mergepath_config_static_selectorELNS0_4arch9wavefront6targetE0EEEvSK_,"axG",@progbits,_ZN7rocprim17ROCPRIM_400000_NS6detail17trampoline_kernelINS0_14default_configENS1_38merge_sort_block_merge_config_selectorItNS0_10empty_typeEEEZZNS1_27merge_sort_block_merge_implIS3_N6thrust23THRUST_200600_302600_NS6detail15normal_iteratorINS9_10device_ptrItEEEEPS5_m9comp_mod3ItEEE10hipError_tT0_T1_T2_jT3_P12ihipStream_tbPNSt15iterator_traitsISJ_E10value_typeEPNSP_ISK_E10value_typeEPSL_NS1_7vsmem_tEENKUlT_SJ_SK_SL_E_clISE_PtSF_SF_EESI_SY_SJ_SK_SL_EUlSY_E0_NS1_11comp_targetILNS1_3genE8ELNS1_11target_archE1030ELNS1_3gpuE2ELNS1_3repE0EEENS1_38merge_mergepath_config_static_selectorELNS0_4arch9wavefront6targetE0EEEvSK_,comdat
	.protected	_ZN7rocprim17ROCPRIM_400000_NS6detail17trampoline_kernelINS0_14default_configENS1_38merge_sort_block_merge_config_selectorItNS0_10empty_typeEEEZZNS1_27merge_sort_block_merge_implIS3_N6thrust23THRUST_200600_302600_NS6detail15normal_iteratorINS9_10device_ptrItEEEEPS5_m9comp_mod3ItEEE10hipError_tT0_T1_T2_jT3_P12ihipStream_tbPNSt15iterator_traitsISJ_E10value_typeEPNSP_ISK_E10value_typeEPSL_NS1_7vsmem_tEENKUlT_SJ_SK_SL_E_clISE_PtSF_SF_EESI_SY_SJ_SK_SL_EUlSY_E0_NS1_11comp_targetILNS1_3genE8ELNS1_11target_archE1030ELNS1_3gpuE2ELNS1_3repE0EEENS1_38merge_mergepath_config_static_selectorELNS0_4arch9wavefront6targetE0EEEvSK_ ; -- Begin function _ZN7rocprim17ROCPRIM_400000_NS6detail17trampoline_kernelINS0_14default_configENS1_38merge_sort_block_merge_config_selectorItNS0_10empty_typeEEEZZNS1_27merge_sort_block_merge_implIS3_N6thrust23THRUST_200600_302600_NS6detail15normal_iteratorINS9_10device_ptrItEEEEPS5_m9comp_mod3ItEEE10hipError_tT0_T1_T2_jT3_P12ihipStream_tbPNSt15iterator_traitsISJ_E10value_typeEPNSP_ISK_E10value_typeEPSL_NS1_7vsmem_tEENKUlT_SJ_SK_SL_E_clISE_PtSF_SF_EESI_SY_SJ_SK_SL_EUlSY_E0_NS1_11comp_targetILNS1_3genE8ELNS1_11target_archE1030ELNS1_3gpuE2ELNS1_3repE0EEENS1_38merge_mergepath_config_static_selectorELNS0_4arch9wavefront6targetE0EEEvSK_
	.globl	_ZN7rocprim17ROCPRIM_400000_NS6detail17trampoline_kernelINS0_14default_configENS1_38merge_sort_block_merge_config_selectorItNS0_10empty_typeEEEZZNS1_27merge_sort_block_merge_implIS3_N6thrust23THRUST_200600_302600_NS6detail15normal_iteratorINS9_10device_ptrItEEEEPS5_m9comp_mod3ItEEE10hipError_tT0_T1_T2_jT3_P12ihipStream_tbPNSt15iterator_traitsISJ_E10value_typeEPNSP_ISK_E10value_typeEPSL_NS1_7vsmem_tEENKUlT_SJ_SK_SL_E_clISE_PtSF_SF_EESI_SY_SJ_SK_SL_EUlSY_E0_NS1_11comp_targetILNS1_3genE8ELNS1_11target_archE1030ELNS1_3gpuE2ELNS1_3repE0EEENS1_38merge_mergepath_config_static_selectorELNS0_4arch9wavefront6targetE0EEEvSK_
	.p2align	8
	.type	_ZN7rocprim17ROCPRIM_400000_NS6detail17trampoline_kernelINS0_14default_configENS1_38merge_sort_block_merge_config_selectorItNS0_10empty_typeEEEZZNS1_27merge_sort_block_merge_implIS3_N6thrust23THRUST_200600_302600_NS6detail15normal_iteratorINS9_10device_ptrItEEEEPS5_m9comp_mod3ItEEE10hipError_tT0_T1_T2_jT3_P12ihipStream_tbPNSt15iterator_traitsISJ_E10value_typeEPNSP_ISK_E10value_typeEPSL_NS1_7vsmem_tEENKUlT_SJ_SK_SL_E_clISE_PtSF_SF_EESI_SY_SJ_SK_SL_EUlSY_E0_NS1_11comp_targetILNS1_3genE8ELNS1_11target_archE1030ELNS1_3gpuE2ELNS1_3repE0EEENS1_38merge_mergepath_config_static_selectorELNS0_4arch9wavefront6targetE0EEEvSK_,@function
_ZN7rocprim17ROCPRIM_400000_NS6detail17trampoline_kernelINS0_14default_configENS1_38merge_sort_block_merge_config_selectorItNS0_10empty_typeEEEZZNS1_27merge_sort_block_merge_implIS3_N6thrust23THRUST_200600_302600_NS6detail15normal_iteratorINS9_10device_ptrItEEEEPS5_m9comp_mod3ItEEE10hipError_tT0_T1_T2_jT3_P12ihipStream_tbPNSt15iterator_traitsISJ_E10value_typeEPNSP_ISK_E10value_typeEPSL_NS1_7vsmem_tEENKUlT_SJ_SK_SL_E_clISE_PtSF_SF_EESI_SY_SJ_SK_SL_EUlSY_E0_NS1_11comp_targetILNS1_3genE8ELNS1_11target_archE1030ELNS1_3gpuE2ELNS1_3repE0EEENS1_38merge_mergepath_config_static_selectorELNS0_4arch9wavefront6targetE0EEEvSK_: ; @_ZN7rocprim17ROCPRIM_400000_NS6detail17trampoline_kernelINS0_14default_configENS1_38merge_sort_block_merge_config_selectorItNS0_10empty_typeEEEZZNS1_27merge_sort_block_merge_implIS3_N6thrust23THRUST_200600_302600_NS6detail15normal_iteratorINS9_10device_ptrItEEEEPS5_m9comp_mod3ItEEE10hipError_tT0_T1_T2_jT3_P12ihipStream_tbPNSt15iterator_traitsISJ_E10value_typeEPNSP_ISK_E10value_typeEPSL_NS1_7vsmem_tEENKUlT_SJ_SK_SL_E_clISE_PtSF_SF_EESI_SY_SJ_SK_SL_EUlSY_E0_NS1_11comp_targetILNS1_3genE8ELNS1_11target_archE1030ELNS1_3gpuE2ELNS1_3repE0EEENS1_38merge_mergepath_config_static_selectorELNS0_4arch9wavefront6targetE0EEEvSK_
; %bb.0:
	s_clause 0x1
	s_load_dwordx2 s[22:23], s[4:5], 0x50
	s_load_dword s0, s[4:5], 0x38
	s_add_u32 s20, s4, 0x50
	s_addc_u32 s21, s5, 0
	s_waitcnt lgkmcnt(0)
	s_mul_i32 s1, s23, s8
	s_add_i32 s1, s1, s7
	s_mul_i32 s1, s1, s22
	s_add_i32 s18, s1, s6
	s_cmp_ge_u32 s18, s0
	s_cbranch_scc1 .LBB913_75
; %bb.1:
	s_clause 0x1
	s_load_dwordx2 s[0:1], s[4:5], 0x48
	s_load_dwordx4 s[8:11], s[4:5], 0x28
	s_mov_b32 s19, 0
	s_lshl_b64 s[2:3], s[18:19], 3
	s_waitcnt lgkmcnt(0)
	s_add_u32 s0, s0, s2
	s_addc_u32 s1, s1, s3
	s_lshr_b64 s[12:13], s[10:11], 9
	s_load_dwordx4 s[0:3], s[0:1], 0x0
	s_and_b32 s7, s12, -2
	s_mov_b32 s13, s19
	s_sub_i32 s29, 0, s7
	s_lshl_b64 s[16:17], s[18:19], 10
	s_and_b32 s12, s18, s29
	s_lshl_b64 s[24:25], s[12:13], 10
	s_sub_u32 s23, s16, s24
	s_subb_u32 s30, s17, s25
	s_lshl_b64 s[26:27], s[12:13], 11
	s_load_dwordx4 s[12:15], s[4:5], 0x8
	s_add_u32 s7, s26, s10
	s_addc_u32 s28, s27, s11
	s_add_u32 s23, s7, s23
	s_addc_u32 s26, s28, s30
	s_waitcnt lgkmcnt(0)
	s_sub_u32 s27, s23, s2
	s_subb_u32 s3, s26, s3
	s_add_u32 s30, s27, 0x400
	s_addc_u32 s31, s3, 0
	v_cmp_lt_u64_e64 s3, s[8:9], s[30:31]
	s_and_b32 s3, s3, exec_lo
	s_cselect_b32 s27, s8, s30
	s_or_b32 s3, s18, s29
	s_cmp_lg_u32 s3, -1
	s_mov_b32 s3, -1
	s_cbranch_scc1 .LBB913_3
; %bb.2:
	s_sub_u32 s24, s7, s24
	s_subb_u32 s25, s28, s25
	v_cmp_lt_u64_e64 s2, s[8:9], s[24:25]
	s_and_b32 s2, s2, exec_lo
	s_cselect_b32 s2, s8, s24
	s_add_u32 s10, s24, s10
	s_addc_u32 s11, s25, s11
	v_cmp_lt_u64_e64 s7, s[8:9], s[10:11]
	s_and_b32 s7, s7, exec_lo
	s_cselect_b32 s27, s8, s10
.LBB913_3:
	s_lshr_b64 s[28:29], s[8:9], 10
	v_mov_b32_e32 v10, 0
	s_cmp_lg_u64 s[28:29], s[18:19]
	v_lshlrev_b32_e32 v11, 1, v0
	s_cselect_b32 s7, -1, 0
	s_sub_u32 s10, s23, s0
	s_subb_u32 s11, s26, s1
	global_load_dword v1, v10, s[20:21] offset:14
	v_cmp_lt_u64_e64 s23, s[8:9], s[10:11]
	s_and_b32 s23, s23, exec_lo
	s_cselect_b32 s30, s8, s10
	s_cselect_b32 s31, s9, s11
	s_sub_i32 s9, s2, s0
	s_lshl_b64 s[0:1], s[0:1], 1
	s_sub_i32 s10, s27, s30
	s_add_u32 s23, s12, s0
	s_addc_u32 s24, s13, s1
	s_lshl_b64 s[0:1], s[30:31], 1
	s_add_u32 s11, s12, s0
	s_addc_u32 s12, s13, s1
	s_cmp_lt_u32 s6, s22
	s_cselect_b32 s0, 12, 18
	s_add_u32 s0, s20, s0
	s_addc_u32 s1, s21, 0
	s_cmp_eq_u64 s[28:29], s[18:19]
	global_load_ushort v2, v10, s[0:1]
	s_waitcnt vmcnt(1)
	v_lshrrev_b32_e32 v3, 16, v1
	v_and_b32_e32 v1, 0xffff, v1
	v_mul_lo_u32 v1, v1, v3
	s_waitcnt vmcnt(0)
	v_mul_lo_u32 v12, v1, v2
	v_add_nc_u32_e32 v7, v12, v0
	v_add_nc_u32_e32 v5, v7, v12
	s_cbranch_scc1 .LBB913_5
; %bb.4:
	v_mov_b32_e32 v8, v10
	v_mov_b32_e32 v6, v10
	v_add_co_u32 v21, s0, s23, v11
	v_add_co_ci_u32_e64 v22, null, s24, 0, s0
	v_lshlrev_b64 v[1:2], 1, v[7:8]
	v_sub_co_u32 v9, vcc_lo, v0, s9
	v_mov_b32_e32 v20, v10
	s_mov_b32 s19, -1
	v_add_co_u32 v23, s0, s23, v1
	v_add_co_ci_u32_e64 v24, null, s24, v2, s0
	v_lshlrev_b64 v[1:2], 1, v[5:6]
	v_lshlrev_b64 v[3:4], 1, v[9:10]
	v_sub_co_u32 v9, s0, v7, s9
	v_add_co_u32 v6, s1, s23, v1
	v_add_co_ci_u32_e64 v8, null, s24, v2, s1
	v_add_nc_u32_e32 v1, v5, v12
	v_mov_b32_e32 v2, v10
	v_lshlrev_b64 v[13:14], 1, v[9:10]
	v_sub_co_u32 v9, s1, v5, s9
	v_add_nc_u32_e32 v19, v1, v12
	v_lshlrev_b64 v[15:16], 1, v[1:2]
	v_add_co_u32 v3, s6, s11, v3
	v_lshlrev_b64 v[17:18], 1, v[9:10]
	v_add_co_ci_u32_e64 v4, null, s12, v4, s6
	v_add_co_u32 v25, s2, s23, v15
	v_add_co_ci_u32_e64 v26, null, s24, v16, s2
	v_sub_co_u32 v9, s2, v1, s9
	v_lshlrev_b64 v[1:2], 1, v[19:20]
	v_lshlrev_b64 v[15:16], 1, v[9:10]
	v_add_co_u32 v20, s3, s23, v1
	v_add_co_ci_u32_e64 v27, null, s24, v2, s3
	v_sub_co_u32 v9, s3, v19, s9
	v_lshlrev_b64 v[1:2], 1, v[9:10]
	v_add_co_u32 v9, s6, s11, v17
	v_add_co_ci_u32_e64 v17, null, s12, v18, s6
	v_add_co_u32 v18, s6, s11, v1
	v_add_co_ci_u32_e64 v28, null, s12, v2, s6
	v_cndmask_b32_e32 v2, v4, v22, vcc_lo
	v_cndmask_b32_e32 v1, v3, v21, vcc_lo
	v_cndmask_b32_e64 v4, v17, v8, s1
	v_cndmask_b32_e64 v3, v9, v6, s1
	;; [unrolled: 1-line block ×4, first 2 shown]
	global_load_ushort v1, v[1:2], off
	global_load_ushort v2, v[3:4], off
	;; [unrolled: 1-line block ×3, first 2 shown]
	v_add_nc_u32_e32 v8, v19, v12
	v_mov_b32_e32 v9, v10
	v_mov_b32_e32 v20, v10
	v_add_co_u32 v13, s3, s11, v13
	v_add_nc_u32_e32 v19, v8, v12
	v_lshlrev_b64 v[17:18], 1, v[8:9]
	v_add_co_ci_u32_e64 v14, null, s12, v14, s3
	v_cndmask_b32_e64 v13, v13, v23, s0
	v_add_co_u32 v4, vcc_lo, s23, v17
	v_add_co_ci_u32_e64 v6, null, s24, v18, vcc_lo
	v_lshlrev_b64 v[17:18], 1, v[19:20]
	v_sub_co_u32 v9, vcc_lo, v8, s9
	v_cndmask_b32_e64 v14, v14, v24, s0
	s_add_i32 s0, s9, s10
	v_add_co_u32 v17, s1, s23, v17
	v_lshlrev_b64 v[20:21], 1, v[9:10]
	v_add_co_ci_u32_e64 v18, null, s24, v18, s1
	v_sub_co_u32 v9, s1, v19, s9
	v_lshlrev_b64 v[8:9], 1, v[9:10]
	v_add_co_u32 v8, s3, s11, v8
	v_add_co_ci_u32_e64 v9, null, s12, v9, s3
	v_add_co_u32 v15, s3, s11, v15
	v_cndmask_b32_e64 v8, v8, v17, s1
	v_cndmask_b32_e64 v9, v9, v18, s1
	v_add_co_u32 v17, s1, s11, v20
	v_add_co_ci_u32_e64 v16, null, s12, v16, s3
	v_add_co_ci_u32_e64 v18, null, s12, v21, s1
	global_load_short_d16 v10, v[8:9], off
	v_cndmask_b32_e64 v16, v16, v26, s2
	v_cndmask_b32_e64 v15, v15, v25, s2
	v_cndmask_b32_e32 v9, v18, v6, vcc_lo
	v_cndmask_b32_e32 v8, v17, v4, vcc_lo
	v_add_nc_u32_e32 v6, v19, v12
	global_load_short_d16_hi v1, v[13:14], off
	global_load_short_d16_hi v2, v[15:16], off
	;; [unrolled: 1-line block ×3, first 2 shown]
	v_mov_b32_e32 v8, s0
	s_waitcnt vmcnt(3)
	v_mov_b32_e32 v4, v10
	s_cbranch_execz .LBB913_6
	s_branch .LBB913_19
.LBB913_5:
                                        ; implicit-def: $vgpr6
                                        ; implicit-def: $vgpr1_vgpr2_vgpr3_vgpr4
                                        ; implicit-def: $vgpr8
	s_andn2_b32 vcc_lo, exec_lo, s3
	s_cbranch_vccnz .LBB913_19
.LBB913_6:
	s_waitcnt vmcnt(2)
	v_mov_b32_e32 v1, 0
	s_add_i32 s1, s9, s10
	s_mov_b32 s2, exec_lo
	s_waitcnt vmcnt(1)
	v_mov_b32_e32 v2, v1
	s_waitcnt vmcnt(0)
	v_mov_b32_e32 v3, v1
	v_mov_b32_e32 v4, v1
	v_cmpx_gt_u32_e64 s1, v0
	s_cbranch_execnz .LBB913_76
; %bb.7:
	s_or_b32 exec_lo, exec_lo, s2
	s_mov_b32 s2, exec_lo
	v_cmpx_gt_u32_e64 s1, v7
	s_cbranch_execnz .LBB913_77
.LBB913_8:
	s_or_b32 exec_lo, exec_lo, s2
	s_mov_b32 s2, exec_lo
	v_cmpx_gt_u32_e64 s1, v5
	s_cbranch_execz .LBB913_10
.LBB913_9:
	v_mov_b32_e32 v6, 0
	v_lshlrev_b64 v[7:8], 1, v[5:6]
	v_mov_b32_e32 v9, v6
	v_add_co_u32 v10, vcc_lo, s23, v7
	v_add_co_ci_u32_e64 v13, null, s24, v8, vcc_lo
	v_sub_co_u32 v8, vcc_lo, v5, s9
	v_lshlrev_b64 v[6:7], 1, v[8:9]
	v_add_co_u32 v6, s0, s11, v6
	v_add_co_ci_u32_e64 v7, null, s12, v7, s0
	v_cndmask_b32_e32 v6, v6, v10, vcc_lo
	v_cndmask_b32_e32 v7, v7, v13, vcc_lo
	global_load_short_d16 v2, v[6:7], off
.LBB913_10:
	s_or_b32 exec_lo, exec_lo, s2
	v_add_nc_u32_e32 v5, v5, v12
	s_mov_b32 s2, exec_lo
	v_cmpx_gt_u32_e64 s1, v5
	s_cbranch_execz .LBB913_12
; %bb.11:
	v_mov_b32_e32 v6, 0
	v_lshlrev_b64 v[7:8], 1, v[5:6]
	v_mov_b32_e32 v9, v6
	v_add_co_u32 v10, vcc_lo, s23, v7
	v_add_co_ci_u32_e64 v13, null, s24, v8, vcc_lo
	v_sub_co_u32 v8, vcc_lo, v5, s9
	v_lshlrev_b64 v[6:7], 1, v[8:9]
	v_add_co_u32 v6, s0, s11, v6
	v_add_co_ci_u32_e64 v7, null, s12, v7, s0
	v_cndmask_b32_e32 v6, v6, v10, vcc_lo
	v_cndmask_b32_e32 v7, v7, v13, vcc_lo
	global_load_short_d16_hi v2, v[6:7], off
.LBB913_12:
	s_or_b32 exec_lo, exec_lo, s2
	v_add_nc_u32_e32 v5, v5, v12
	s_mov_b32 s2, exec_lo
	v_cmpx_gt_u32_e64 s1, v5
	s_cbranch_execz .LBB913_14
; %bb.13:
	v_mov_b32_e32 v6, 0
	v_lshlrev_b64 v[7:8], 1, v[5:6]
	v_mov_b32_e32 v9, v6
	v_add_co_u32 v10, vcc_lo, s23, v7
	v_add_co_ci_u32_e64 v13, null, s24, v8, vcc_lo
	v_sub_co_u32 v8, vcc_lo, v5, s9
	v_lshlrev_b64 v[6:7], 1, v[8:9]
	v_add_co_u32 v6, s0, s11, v6
	v_add_co_ci_u32_e64 v7, null, s12, v7, s0
	v_cndmask_b32_e32 v6, v6, v10, vcc_lo
	v_cndmask_b32_e32 v7, v7, v13, vcc_lo
	global_load_short_d16 v3, v[6:7], off
.LBB913_14:
	s_or_b32 exec_lo, exec_lo, s2
	v_add_nc_u32_e32 v5, v5, v12
	s_mov_b32 s2, exec_lo
	v_cmpx_gt_u32_e64 s1, v5
	s_cbranch_execz .LBB913_16
; %bb.15:
	v_mov_b32_e32 v6, 0
	v_lshlrev_b64 v[7:8], 1, v[5:6]
	v_mov_b32_e32 v9, v6
	v_add_co_u32 v10, vcc_lo, s23, v7
	v_add_co_ci_u32_e64 v13, null, s24, v8, vcc_lo
	v_sub_co_u32 v8, vcc_lo, v5, s9
	v_lshlrev_b64 v[6:7], 1, v[8:9]
	v_add_co_u32 v6, s0, s11, v6
	v_add_co_ci_u32_e64 v7, null, s12, v7, s0
	v_cndmask_b32_e32 v6, v6, v10, vcc_lo
	v_cndmask_b32_e32 v7, v7, v13, vcc_lo
	global_load_short_d16_hi v3, v[6:7], off
.LBB913_16:
	s_or_b32 exec_lo, exec_lo, s2
	v_add_nc_u32_e32 v5, v5, v12
	s_mov_b32 s2, exec_lo
	v_cmpx_gt_u32_e64 s1, v5
	s_cbranch_execz .LBB913_18
; %bb.17:
	v_mov_b32_e32 v6, 0
	v_lshlrev_b64 v[7:8], 1, v[5:6]
	v_mov_b32_e32 v9, v6
	v_add_co_u32 v10, vcc_lo, s23, v7
	v_add_co_ci_u32_e64 v13, null, s24, v8, vcc_lo
	v_sub_co_u32 v8, vcc_lo, v5, s9
	v_lshlrev_b64 v[6:7], 1, v[8:9]
	v_add_co_u32 v6, s0, s11, v6
	v_add_co_ci_u32_e64 v7, null, s12, v7, s0
	v_cndmask_b32_e32 v6, v6, v10, vcc_lo
	v_cndmask_b32_e32 v7, v7, v13, vcc_lo
	global_load_short_d16 v4, v[6:7], off
.LBB913_18:
	s_or_b32 exec_lo, exec_lo, s2
	v_add_nc_u32_e32 v6, v5, v12
	v_mov_b32_e32 v8, s1
	v_cmp_gt_u32_e64 s19, s1, v6
.LBB913_19:
	s_load_dwordx2 s[2:3], s[4:5], 0x40
	s_and_saveexec_b32 s1, s19
	s_cbranch_execz .LBB913_21
; %bb.20:
	v_mov_b32_e32 v10, 0
	v_mov_b32_e32 v7, v10
	v_lshlrev_b64 v[12:13], 1, v[6:7]
	v_add_co_u32 v7, vcc_lo, s23, v12
	v_add_co_ci_u32_e64 v12, null, s24, v13, vcc_lo
	v_sub_co_u32 v9, vcc_lo, v6, s9
	v_lshlrev_b64 v[5:6], 1, v[9:10]
	v_add_co_u32 v5, s0, s11, v5
	v_add_co_ci_u32_e64 v6, null, s12, v6, s0
	v_cndmask_b32_e32 v5, v5, v7, vcc_lo
	v_cndmask_b32_e32 v6, v6, v12, vcc_lo
	global_load_short_d16_hi v4, v[5:6], off
.LBB913_21:
	s_or_b32 exec_lo, exec_lo, s1
	v_lshlrev_b32_e32 v5, 3, v0
	s_waitcnt vmcnt(0)
	v_lshrrev_b32_e32 v6, 16, v1
	v_lshrrev_b32_e32 v10, 16, v2
	;; [unrolled: 1-line block ×4, first 2 shown]
	v_min_u32_e32 v9, v8, v5
	s_mov_b32 s0, exec_lo
	ds_write_b16 v11, v1
	ds_write_b16 v11, v2 offset:512
	ds_write_b16 v11, v6 offset:256
	ds_write_b16 v11, v10 offset:768
	v_sub_nc_u32_e64 v7, v9, s10 clamp
	v_min_u32_e32 v12, s9, v9
	ds_write_b16 v11, v3 offset:1024
	ds_write_b16 v11, v15 offset:1280
	;; [unrolled: 1-line block ×4, first 2 shown]
	s_waitcnt lgkmcnt(0)
	s_barrier
	buffer_gl0_inv
	v_cmpx_lt_u32_e64 v7, v12
	s_cbranch_execz .LBB913_25
; %bb.22:
	v_lshlrev_b32_e32 v13, 1, v9
	s_mov_b32 s1, 0
	v_lshl_add_u32 v13, s9, 1, v13
	.p2align	6
.LBB913_23:                             ; =>This Inner Loop Header: Depth=1
	v_add_nc_u32_e32 v16, v12, v7
	v_lshrrev_b32_e32 v17, 1, v16
	v_and_b32_e32 v16, -2, v16
	v_not_b32_e32 v18, v17
	v_add_nc_u32_e32 v19, 1, v17
	v_lshl_add_u32 v18, v18, 1, v13
	ds_read_u16 v16, v16
	ds_read_u16 v18, v18
	s_waitcnt lgkmcnt(1)
	v_lshlrev_b32_e32 v16, 1, v16
	s_waitcnt lgkmcnt(0)
	v_lshlrev_b32_e32 v18, 1, v18
	s_clause 0x1
	global_load_ushort v18, v18, s[2:3]
	global_load_ushort v16, v16, s[2:3]
	s_waitcnt vmcnt(0)
	v_cmp_lt_u16_e32 vcc_lo, v18, v16
	v_cndmask_b32_e32 v12, v12, v17, vcc_lo
	v_cndmask_b32_e32 v7, v19, v7, vcc_lo
	v_cmp_ge_u32_e32 vcc_lo, v7, v12
	s_or_b32 s1, vcc_lo, s1
	s_andn2_b32 exec_lo, exec_lo, s1
	s_cbranch_execnz .LBB913_23
; %bb.24:
	s_or_b32 exec_lo, exec_lo, s1
.LBB913_25:
	s_or_b32 exec_lo, exec_lo, s0
	v_sub_nc_u32_e32 v9, v9, v7
	v_cmp_ge_u32_e32 vcc_lo, s9, v7
	v_add_nc_u32_e32 v9, s9, v9
	v_cmp_le_u32_e64 s0, v9, v8
	s_or_b32 s0, vcc_lo, s0
	s_and_saveexec_b32 s1, s0
	s_cbranch_execz .LBB913_61
; %bb.26:
	s_mov_b32 s4, exec_lo
	v_cmp_le_u32_e32 vcc_lo, s9, v7
                                        ; implicit-def: $vgpr1
	v_cmpx_gt_u32_e64 s9, v7
; %bb.27:
	v_lshlrev_b32_e32 v1, 1, v7
	ds_read_u16 v1, v1
; %bb.28:
	s_or_b32 exec_lo, exec_lo, s4
	v_cmp_ge_u32_e64 s4, v9, v8
	s_mov_b32 s5, exec_lo
                                        ; implicit-def: $vgpr4
	v_cmpx_lt_u32_e64 v9, v8
; %bb.29:
	v_lshlrev_b32_e32 v2, 1, v9
	ds_read_u16 v4, v2
; %bb.30:
	s_or_b32 exec_lo, exec_lo, s5
	s_nor_b32 s5, vcc_lo, s4
	s_and_saveexec_b32 s0, s5
	s_cbranch_execz .LBB913_32
; %bb.31:
	v_mov_b32_e32 v2, 1
	s_andn2_b32 s4, s4, exec_lo
	s_waitcnt lgkmcnt(0)
	v_lshlrev_b32_sdwa v3, v2, v4 dst_sel:DWORD dst_unused:UNUSED_PAD src0_sel:DWORD src1_sel:WORD_0
	v_lshlrev_b32_sdwa v2, v2, v1 dst_sel:DWORD dst_unused:UNUSED_PAD src0_sel:DWORD src1_sel:WORD_0
	s_clause 0x1
	global_load_ushort v3, v3, s[2:3]
	global_load_ushort v2, v2, s[2:3]
	s_waitcnt vmcnt(0)
	v_cmp_ge_u16_e32 vcc_lo, v3, v2
	s_and_b32 s5, vcc_lo, exec_lo
	s_or_b32 s4, s4, s5
.LBB913_32:
	s_or_b32 exec_lo, exec_lo, s0
	v_cndmask_b32_e64 v2, v9, v7, s4
	v_cndmask_b32_e64 v3, v8, s9, s4
	s_mov_b32 s5, -1
	s_mov_b32 s0, -1
	s_mov_b32 s6, exec_lo
	v_add_nc_u32_e32 v6, 1, v2
	v_add_nc_u32_e32 v2, -1, v3
	v_cndmask_b32_e64 v3, v7, v6, s4
	v_min_u32_e32 v2, v6, v2
	v_lshlrev_b32_e32 v2, 1, v2
	ds_read_u16 v10, v2
	v_cndmask_b32_e64 v2, v6, v9, s4
	s_waitcnt lgkmcnt(0)
	v_cndmask_b32_e64 v6, v10, v4, s4
	v_cndmask_b32_e64 v7, v1, v10, s4
	v_cmpx_lt_u32_e64 v2, v8
	s_cbranch_execz .LBB913_36
; %bb.33:
	s_mov_b32 s10, 0
	s_mov_b32 s0, exec_lo
	v_cmpx_gt_u32_e64 s9, v3
	s_cbranch_execz .LBB913_35
; %bb.34:
	v_mov_b32_e32 v9, 1
	v_lshlrev_b32_sdwa v10, v9, v6 dst_sel:DWORD dst_unused:UNUSED_PAD src0_sel:DWORD src1_sel:WORD_0
	v_lshlrev_b32_sdwa v9, v9, v7 dst_sel:DWORD dst_unused:UNUSED_PAD src0_sel:DWORD src1_sel:WORD_0
	s_clause 0x1
	global_load_ushort v10, v10, s[2:3]
	global_load_ushort v9, v9, s[2:3]
	s_waitcnt vmcnt(0)
	v_cmp_ge_u16_e32 vcc_lo, v10, v9
	s_and_b32 s10, vcc_lo, exec_lo
.LBB913_35:
	s_or_b32 exec_lo, exec_lo, s0
	s_orn2_b32 s0, s10, exec_lo
.LBB913_36:
	s_or_b32 exec_lo, exec_lo, s6
	v_cndmask_b32_e64 v9, v2, v3, s0
	v_cndmask_b32_e64 v10, v8, s9, s0
	s_mov_b32 s6, exec_lo
	v_add_nc_u32_e32 v9, 1, v9
	v_add_nc_u32_e32 v10, -1, v10
	v_cndmask_b32_e64 v3, v3, v9, s0
	v_min_u32_e32 v10, v9, v10
	v_lshlrev_b32_e32 v10, 1, v10
	ds_read_u16 v12, v10
	v_cndmask_b32_e64 v10, v9, v2, s0
	s_waitcnt lgkmcnt(0)
	v_cndmask_b32_e64 v2, v12, v6, s0
	v_cndmask_b32_e64 v9, v7, v12, s0
	v_cmpx_lt_u32_e64 v10, v8
	s_cbranch_execz .LBB913_40
; %bb.37:
	s_mov_b32 s10, 0
	s_mov_b32 s5, exec_lo
	v_cmpx_gt_u32_e64 s9, v3
	s_cbranch_execz .LBB913_39
; %bb.38:
	v_mov_b32_e32 v12, 1
	v_lshlrev_b32_sdwa v13, v12, v2 dst_sel:DWORD dst_unused:UNUSED_PAD src0_sel:DWORD src1_sel:WORD_0
	v_lshlrev_b32_sdwa v12, v12, v9 dst_sel:DWORD dst_unused:UNUSED_PAD src0_sel:DWORD src1_sel:WORD_0
	s_clause 0x1
	global_load_ushort v13, v13, s[2:3]
	global_load_ushort v12, v12, s[2:3]
	s_waitcnt vmcnt(0)
	v_cmp_ge_u16_e32 vcc_lo, v13, v12
	s_and_b32 s10, vcc_lo, exec_lo
.LBB913_39:
	s_or_b32 exec_lo, exec_lo, s5
	s_orn2_b32 s5, s10, exec_lo
.LBB913_40:
	s_or_b32 exec_lo, exec_lo, s6
	v_cndmask_b32_e64 v12, v10, v3, s5
	v_cndmask_b32_e64 v13, v8, s9, s5
	s_mov_b32 s10, -1
	s_mov_b32 s6, -1
	s_mov_b32 s11, exec_lo
	v_add_nc_u32_e32 v12, 1, v12
	v_add_nc_u32_e32 v13, -1, v13
	v_cndmask_b32_e64 v3, v3, v12, s5
	v_min_u32_e32 v13, v12, v13
	v_lshlrev_b32_e32 v13, 1, v13
	ds_read_u16 v14, v13
	v_cndmask_b32_e64 v13, v12, v10, s5
	s_waitcnt lgkmcnt(0)
	v_cndmask_b32_e64 v10, v14, v2, s5
	v_cndmask_b32_e64 v12, v9, v14, s5
	v_cmpx_lt_u32_e64 v13, v8
	s_cbranch_execz .LBB913_44
; %bb.41:
	s_mov_b32 s12, 0
	s_mov_b32 s6, exec_lo
	v_cmpx_gt_u32_e64 s9, v3
	s_cbranch_execz .LBB913_43
; %bb.42:
	v_mov_b32_e32 v14, 1
	v_lshlrev_b32_sdwa v15, v14, v10 dst_sel:DWORD dst_unused:UNUSED_PAD src0_sel:DWORD src1_sel:WORD_0
	v_lshlrev_b32_sdwa v14, v14, v12 dst_sel:DWORD dst_unused:UNUSED_PAD src0_sel:DWORD src1_sel:WORD_0
	s_clause 0x1
	global_load_ushort v15, v15, s[2:3]
	global_load_ushort v14, v14, s[2:3]
	s_waitcnt vmcnt(0)
	v_cmp_ge_u16_e32 vcc_lo, v15, v14
	s_and_b32 s12, vcc_lo, exec_lo
.LBB913_43:
	s_or_b32 exec_lo, exec_lo, s6
	s_orn2_b32 s6, s12, exec_lo
.LBB913_44:
	s_or_b32 exec_lo, exec_lo, s11
	v_cndmask_b32_e64 v14, v13, v3, s6
	v_cndmask_b32_e64 v15, v8, s9, s6
	s_mov_b32 s11, exec_lo
	v_add_nc_u32_e32 v16, 1, v14
	v_add_nc_u32_e32 v14, -1, v15
	v_cndmask_b32_e64 v15, v3, v16, s6
	v_min_u32_e32 v14, v16, v14
	v_lshlrev_b32_e32 v14, 1, v14
	ds_read_u16 v17, v14
	v_cndmask_b32_e64 v14, v16, v13, s6
	s_waitcnt lgkmcnt(0)
	v_cndmask_b32_e64 v3, v17, v10, s6
	v_cndmask_b32_e64 v13, v12, v17, s6
	v_cmpx_lt_u32_e64 v14, v8
	s_cbranch_execz .LBB913_48
; %bb.45:
	s_mov_b32 s12, 0
	s_mov_b32 s10, exec_lo
	v_cmpx_gt_u32_e64 s9, v15
	s_cbranch_execz .LBB913_47
; %bb.46:
	v_mov_b32_e32 v16, 1
	v_lshlrev_b32_sdwa v17, v16, v3 dst_sel:DWORD dst_unused:UNUSED_PAD src0_sel:DWORD src1_sel:WORD_0
	v_lshlrev_b32_sdwa v16, v16, v13 dst_sel:DWORD dst_unused:UNUSED_PAD src0_sel:DWORD src1_sel:WORD_0
	s_clause 0x1
	global_load_ushort v17, v17, s[2:3]
	global_load_ushort v16, v16, s[2:3]
	s_waitcnt vmcnt(0)
	v_cmp_ge_u16_e32 vcc_lo, v17, v16
	s_and_b32 s12, vcc_lo, exec_lo
.LBB913_47:
	s_or_b32 exec_lo, exec_lo, s10
	s_orn2_b32 s10, s12, exec_lo
.LBB913_48:
	s_or_b32 exec_lo, exec_lo, s11
	v_cndmask_b32_e64 v16, v14, v15, s10
	v_cndmask_b32_e64 v17, v8, s9, s10
	s_mov_b32 s11, -1
	s_mov_b32 s12, -1
	s_mov_b32 s13, exec_lo
	v_add_nc_u32_e32 v16, 1, v16
	v_add_nc_u32_e32 v17, -1, v17
	v_cndmask_b32_e64 v14, v16, v14, s10
	v_min_u32_e32 v17, v16, v17
	v_lshlrev_b32_e32 v17, 1, v17
	ds_read_u16 v18, v17
	v_cndmask_b32_e64 v17, v15, v16, s10
	s_waitcnt lgkmcnt(0)
	v_cndmask_b32_e64 v15, v18, v3, s10
	v_cndmask_b32_e64 v16, v13, v18, s10
	v_cmpx_lt_u32_e64 v14, v8
	s_cbranch_execz .LBB913_52
; %bb.49:
	s_mov_b32 s18, 0
	s_mov_b32 s12, exec_lo
	v_cmpx_gt_u32_e64 s9, v17
	s_cbranch_execz .LBB913_51
; %bb.50:
	v_mov_b32_e32 v18, 1
	v_lshlrev_b32_sdwa v19, v18, v15 dst_sel:DWORD dst_unused:UNUSED_PAD src0_sel:DWORD src1_sel:WORD_0
	v_lshlrev_b32_sdwa v18, v18, v16 dst_sel:DWORD dst_unused:UNUSED_PAD src0_sel:DWORD src1_sel:WORD_0
	s_clause 0x1
	global_load_ushort v19, v19, s[2:3]
	global_load_ushort v18, v18, s[2:3]
	s_waitcnt vmcnt(0)
	v_cmp_ge_u16_e32 vcc_lo, v19, v18
	s_and_b32 s18, vcc_lo, exec_lo
.LBB913_51:
	s_or_b32 exec_lo, exec_lo, s12
	s_orn2_b32 s12, s18, exec_lo
.LBB913_52:
	s_or_b32 exec_lo, exec_lo, s13
	v_cndmask_b32_e64 v18, v14, v17, s12
	v_cndmask_b32_e64 v19, v8, s9, s12
	s_mov_b32 s13, exec_lo
	v_add_nc_u32_e32 v18, 1, v18
	v_add_nc_u32_e32 v19, -1, v19
	v_cndmask_b32_e64 v14, v18, v14, s12
	v_min_u32_e32 v19, v18, v19
	v_lshlrev_b32_e32 v19, 1, v19
	ds_read_u16 v20, v19
	v_cndmask_b32_e64 v19, v17, v18, s12
	s_waitcnt lgkmcnt(0)
	v_cndmask_b32_e64 v17, v20, v15, s12
	v_cndmask_b32_e64 v18, v16, v20, s12
	v_cmpx_lt_u32_e64 v14, v8
	s_cbranch_execz .LBB913_56
; %bb.53:
	s_mov_b32 s18, 0
	s_mov_b32 s11, exec_lo
	v_cmpx_gt_u32_e64 s9, v19
	s_cbranch_execz .LBB913_55
; %bb.54:
	v_mov_b32_e32 v20, 1
	v_lshlrev_b32_sdwa v21, v20, v17 dst_sel:DWORD dst_unused:UNUSED_PAD src0_sel:DWORD src1_sel:WORD_0
	v_lshlrev_b32_sdwa v20, v20, v18 dst_sel:DWORD dst_unused:UNUSED_PAD src0_sel:DWORD src1_sel:WORD_0
	s_clause 0x1
	global_load_ushort v21, v21, s[2:3]
	global_load_ushort v20, v20, s[2:3]
	s_waitcnt vmcnt(0)
	v_cmp_ge_u16_e32 vcc_lo, v21, v20
	s_and_b32 s18, vcc_lo, exec_lo
.LBB913_55:
	s_or_b32 exec_lo, exec_lo, s11
	s_orn2_b32 s11, s18, exec_lo
.LBB913_56:
	s_or_b32 exec_lo, exec_lo, s13
	v_cndmask_b32_e64 v20, v14, v19, s11
	v_cndmask_b32_e64 v21, v8, s9, s11
	s_mov_b32 s13, exec_lo
	v_add_nc_u32_e32 v20, 1, v20
	v_add_nc_u32_e32 v21, -1, v21
	v_cndmask_b32_e64 v22, v20, v14, s11
	v_min_u32_e32 v21, v20, v21
	v_lshlrev_b32_e32 v21, 1, v21
	ds_read_u16 v21, v21
	s_waitcnt lgkmcnt(0)
	v_cndmask_b32_e64 v14, v18, v21, s11
	v_cmpx_lt_u32_e64 v22, v8
	s_cbranch_execz .LBB913_60
; %bb.57:
	v_cndmask_b32_e64 v19, v19, v20, s11
	v_cndmask_b32_e64 v8, v21, v17, s11
	v_cmp_gt_u32_e32 vcc_lo, s9, v19
	s_and_saveexec_b32 s9, vcc_lo
	s_cbranch_execz .LBB913_59
; %bb.58:
	v_mov_b32_e32 v19, 1
	v_lshlrev_b32_sdwa v20, v19, v8 dst_sel:DWORD dst_unused:UNUSED_PAD src0_sel:DWORD src1_sel:WORD_0
	v_lshlrev_b32_sdwa v19, v19, v14 dst_sel:DWORD dst_unused:UNUSED_PAD src0_sel:DWORD src1_sel:WORD_0
	s_clause 0x1
	global_load_ushort v20, v20, s[2:3]
	global_load_ushort v19, v19, s[2:3]
	s_waitcnt vmcnt(0)
	v_cmp_lt_u16_e32 vcc_lo, v20, v19
	v_cndmask_b32_e32 v8, v14, v8, vcc_lo
.LBB913_59:
	s_or_b32 exec_lo, exec_lo, s9
	v_mov_b32_e32 v14, v8
.LBB913_60:
	s_or_b32 exec_lo, exec_lo, s13
	v_cndmask_b32_e64 v15, v15, v16, s12
	v_cndmask_b32_e64 v3, v3, v13, s10
	;; [unrolled: 1-line block ×7, first 2 shown]
.LBB913_61:
	s_or_b32 exec_lo, exec_lo, s1
	v_lshrrev_b32_e32 v7, 1, v0
	v_or_b32_e32 v8, 0x80, v0
	v_perm_b32 v1, v6, v1, 0x5040100
	v_lshrrev_b32_e32 v6, 4, v0
	v_perm_b32 v2, v10, v2, 0x5040100
	v_and_b32_e32 v7, 60, v7
	v_lshrrev_b32_e32 v9, 4, v8
	v_perm_b32 v4, v14, v4, 0x5040100
	v_and_b32_e32 v6, 4, v6
	v_perm_b32 v3, v15, v3, 0x5040100
	v_lshl_add_u32 v5, v5, 1, v7
	v_or_b32_e32 v7, 0x100, v0
	v_and_b32_e32 v9, 12, v9
	s_barrier
	buffer_gl0_inv
	v_lshrrev_b32_e32 v10, 4, v7
	v_add_nc_u32_e32 v13, v9, v11
	v_or_b32_e32 v9, 0x180, v0
	s_barrier
	buffer_gl0_inv
	v_and_b32_e32 v10, 20, v10
	ds_write2_b32 v5, v1, v2 offset1:1
	ds_write2_b32 v5, v3, v4 offset0:2 offset1:3
	v_add_nc_u32_e32 v12, v6, v11
	v_or_b32_e32 v6, 0x200, v0
	v_or_b32_e32 v5, 0x280, v0
	;; [unrolled: 1-line block ×4, first 2 shown]
	v_lshrrev_b32_e32 v1, 4, v9
	v_add_nc_u32_e32 v14, v10, v11
	v_lshrrev_b32_e32 v2, 4, v6
	v_lshrrev_b32_e32 v10, 4, v5
	;; [unrolled: 1-line block ×4, first 2 shown]
	v_and_b32_e32 v1, 28, v1
	s_lshl_b64 s[0:1], s[16:17], 1
	v_and_b32_e32 v2, 36, v2
	v_and_b32_e32 v10, 44, v10
	v_and_b32_e32 v18, 52, v15
	v_and_b32_e32 v19, 60, v16
	s_add_u32 s0, s14, s0
	s_addc_u32 s1, s15, s1
	v_add_nc_u32_e32 v15, v1, v11
	v_add_co_u32 v1, s0, s0, v11
	v_add_nc_u32_e32 v16, v2, v11
	v_add_nc_u32_e32 v17, v10, v11
	;; [unrolled: 1-line block ×4, first 2 shown]
	v_add_co_ci_u32_e64 v2, null, s1, 0, s0
	s_and_b32 vcc_lo, exec_lo, s7
	s_waitcnt lgkmcnt(0)
	s_cbranch_vccz .LBB913_63
; %bb.62:
	s_barrier
	buffer_gl0_inv
	ds_read_u16 v11, v12
	ds_read_u16 v20, v13 offset:256
	ds_read_u16 v21, v14 offset:512
	ds_read_u16 v22, v15 offset:768
	ds_read_u16 v23, v16 offset:1024
	ds_read_u16 v24, v17 offset:1280
	ds_read_u16 v25, v18 offset:1536
	ds_read_u16 v10, v19 offset:1792
	s_mov_b32 s0, -1
	s_waitcnt lgkmcnt(7)
	global_store_short v[1:2], v11, off
	s_waitcnt lgkmcnt(6)
	global_store_short v[1:2], v20, off offset:256
	s_waitcnt lgkmcnt(5)
	global_store_short v[1:2], v21, off offset:512
	;; [unrolled: 2-line block ×6, first 2 shown]
	s_cbranch_execz .LBB913_64
	s_branch .LBB913_73
.LBB913_63:
	s_mov_b32 s0, 0
                                        ; implicit-def: $vgpr10
.LBB913_64:
	s_barrier
	s_waitcnt lgkmcnt(0)
	s_waitcnt_vscnt null, 0x0
	buffer_gl0_inv
	ds_read_u16 v21, v13 offset:256
	ds_read_u16 v20, v14 offset:512
	;; [unrolled: 1-line block ×7, first 2 shown]
	s_sub_i32 s0, s8, s16
	s_mov_b32 s1, exec_lo
	v_cmpx_gt_u32_e64 s0, v0
	s_cbranch_execnz .LBB913_78
; %bb.65:
	s_or_b32 exec_lo, exec_lo, s1
	s_mov_b32 s1, exec_lo
	v_cmpx_gt_u32_e64 s0, v8
	s_cbranch_execnz .LBB913_79
.LBB913_66:
	s_or_b32 exec_lo, exec_lo, s1
	s_mov_b32 s1, exec_lo
	v_cmpx_gt_u32_e64 s0, v7
	s_cbranch_execnz .LBB913_80
.LBB913_67:
	s_or_b32 exec_lo, exec_lo, s1
	s_mov_b32 s1, exec_lo
	v_cmpx_gt_u32_e64 s0, v9
	s_cbranch_execnz .LBB913_81
.LBB913_68:
	s_or_b32 exec_lo, exec_lo, s1
	s_mov_b32 s1, exec_lo
	v_cmpx_gt_u32_e64 s0, v6
	s_cbranch_execnz .LBB913_82
.LBB913_69:
	s_or_b32 exec_lo, exec_lo, s1
	s_mov_b32 s1, exec_lo
	v_cmpx_gt_u32_e64 s0, v5
	s_cbranch_execnz .LBB913_83
.LBB913_70:
	s_or_b32 exec_lo, exec_lo, s1
	s_mov_b32 s1, exec_lo
	v_cmpx_gt_u32_e64 s0, v4
	s_cbranch_execz .LBB913_72
.LBB913_71:
	s_waitcnt lgkmcnt(1)
	global_store_short v[1:2], v11, off offset:1536
.LBB913_72:
	s_or_b32 exec_lo, exec_lo, s1
	v_cmp_gt_u32_e64 s0, s0, v3
.LBB913_73:
	s_and_saveexec_b32 s1, s0
	s_cbranch_execz .LBB913_75
; %bb.74:
	s_waitcnt lgkmcnt(0)
	global_store_short v[1:2], v10, off offset:1792
.LBB913_75:
	s_endpgm
.LBB913_76:
	v_sub_co_u32 v2, vcc_lo, v0, s9
	v_mov_b32_e32 v3, v1
	v_add_co_u32 v4, s0, s23, v11
	v_add_co_ci_u32_e64 v6, null, s24, 0, s0
	v_lshlrev_b64 v[2:3], 1, v[2:3]
	v_mov_b32_e32 v13, v1
	v_mov_b32_e32 v14, v1
	v_mov_b32_e32 v15, v1
	v_mov_b32_e32 v16, v1
	v_add_co_u32 v2, s0, s11, v2
	v_add_co_ci_u32_e64 v3, null, s12, v3, s0
	v_cndmask_b32_e32 v2, v2, v4, vcc_lo
	v_cndmask_b32_e32 v3, v3, v6, vcc_lo
	global_load_short_d16 v13, v[2:3], off
	s_waitcnt vmcnt(0)
	v_mov_b32_e32 v1, v13
	v_mov_b32_e32 v2, v14
	;; [unrolled: 1-line block ×4, first 2 shown]
	s_or_b32 exec_lo, exec_lo, s2
	s_mov_b32 s2, exec_lo
	v_cmpx_gt_u32_e64 s1, v7
	s_cbranch_execz .LBB913_8
.LBB913_77:
	v_mov_b32_e32 v8, 0
	v_lshlrev_b64 v[9:10], 1, v[7:8]
	v_add_co_u32 v9, vcc_lo, s23, v9
	v_add_co_ci_u32_e64 v10, null, s24, v10, vcc_lo
	v_sub_co_u32 v7, vcc_lo, v7, s9
	v_lshlrev_b64 v[6:7], 1, v[7:8]
	v_add_co_u32 v6, s0, s11, v6
	v_add_co_ci_u32_e64 v7, null, s12, v7, s0
	v_cndmask_b32_e32 v6, v6, v9, vcc_lo
	v_cndmask_b32_e32 v7, v7, v10, vcc_lo
	global_load_short_d16_hi v1, v[6:7], off
	s_or_b32 exec_lo, exec_lo, s2
	s_mov_b32 s2, exec_lo
	v_cmpx_gt_u32_e64 s1, v5
	s_cbranch_execnz .LBB913_9
	s_branch .LBB913_10
.LBB913_78:
	ds_read_u16 v0, v12
	s_waitcnt lgkmcnt(0)
	global_store_short v[1:2], v0, off
	s_or_b32 exec_lo, exec_lo, s1
	s_mov_b32 s1, exec_lo
	v_cmpx_gt_u32_e64 s0, v8
	s_cbranch_execz .LBB913_66
.LBB913_79:
	s_waitcnt lgkmcnt(6)
	global_store_short v[1:2], v21, off offset:256
	s_or_b32 exec_lo, exec_lo, s1
	s_mov_b32 s1, exec_lo
	v_cmpx_gt_u32_e64 s0, v7
	s_cbranch_execz .LBB913_67
.LBB913_80:
	s_waitcnt lgkmcnt(5)
	global_store_short v[1:2], v20, off offset:512
	s_or_b32 exec_lo, exec_lo, s1
	s_mov_b32 s1, exec_lo
	v_cmpx_gt_u32_e64 s0, v9
	s_cbranch_execz .LBB913_68
.LBB913_81:
	s_waitcnt lgkmcnt(4)
	global_store_short v[1:2], v15, off offset:768
	s_or_b32 exec_lo, exec_lo, s1
	s_mov_b32 s1, exec_lo
	v_cmpx_gt_u32_e64 s0, v6
	s_cbranch_execz .LBB913_69
.LBB913_82:
	s_waitcnt lgkmcnt(3)
	global_store_short v[1:2], v14, off offset:1024
	s_or_b32 exec_lo, exec_lo, s1
	s_mov_b32 s1, exec_lo
	v_cmpx_gt_u32_e64 s0, v5
	s_cbranch_execz .LBB913_70
.LBB913_83:
	s_waitcnt lgkmcnt(2)
	global_store_short v[1:2], v13, off offset:1280
	s_or_b32 exec_lo, exec_lo, s1
	s_mov_b32 s1, exec_lo
	v_cmpx_gt_u32_e64 s0, v4
	s_cbranch_execnz .LBB913_71
	s_branch .LBB913_72
	.section	.rodata,"a",@progbits
	.p2align	6, 0x0
	.amdhsa_kernel _ZN7rocprim17ROCPRIM_400000_NS6detail17trampoline_kernelINS0_14default_configENS1_38merge_sort_block_merge_config_selectorItNS0_10empty_typeEEEZZNS1_27merge_sort_block_merge_implIS3_N6thrust23THRUST_200600_302600_NS6detail15normal_iteratorINS9_10device_ptrItEEEEPS5_m9comp_mod3ItEEE10hipError_tT0_T1_T2_jT3_P12ihipStream_tbPNSt15iterator_traitsISJ_E10value_typeEPNSP_ISK_E10value_typeEPSL_NS1_7vsmem_tEENKUlT_SJ_SK_SL_E_clISE_PtSF_SF_EESI_SY_SJ_SK_SL_EUlSY_E0_NS1_11comp_targetILNS1_3genE8ELNS1_11target_archE1030ELNS1_3gpuE2ELNS1_3repE0EEENS1_38merge_mergepath_config_static_selectorELNS0_4arch9wavefront6targetE0EEEvSK_
		.amdhsa_group_segment_fixed_size 2112
		.amdhsa_private_segment_fixed_size 0
		.amdhsa_kernarg_size 336
		.amdhsa_user_sgpr_count 6
		.amdhsa_user_sgpr_private_segment_buffer 1
		.amdhsa_user_sgpr_dispatch_ptr 0
		.amdhsa_user_sgpr_queue_ptr 0
		.amdhsa_user_sgpr_kernarg_segment_ptr 1
		.amdhsa_user_sgpr_dispatch_id 0
		.amdhsa_user_sgpr_flat_scratch_init 0
		.amdhsa_user_sgpr_private_segment_size 0
		.amdhsa_wavefront_size32 1
		.amdhsa_uses_dynamic_stack 0
		.amdhsa_system_sgpr_private_segment_wavefront_offset 0
		.amdhsa_system_sgpr_workgroup_id_x 1
		.amdhsa_system_sgpr_workgroup_id_y 1
		.amdhsa_system_sgpr_workgroup_id_z 1
		.amdhsa_system_sgpr_workgroup_info 0
		.amdhsa_system_vgpr_workitem_id 0
		.amdhsa_next_free_vgpr 29
		.amdhsa_next_free_sgpr 32
		.amdhsa_reserve_vcc 1
		.amdhsa_reserve_flat_scratch 0
		.amdhsa_float_round_mode_32 0
		.amdhsa_float_round_mode_16_64 0
		.amdhsa_float_denorm_mode_32 3
		.amdhsa_float_denorm_mode_16_64 3
		.amdhsa_dx10_clamp 1
		.amdhsa_ieee_mode 1
		.amdhsa_fp16_overflow 0
		.amdhsa_workgroup_processor_mode 1
		.amdhsa_memory_ordered 1
		.amdhsa_forward_progress 1
		.amdhsa_shared_vgpr_count 0
		.amdhsa_exception_fp_ieee_invalid_op 0
		.amdhsa_exception_fp_denorm_src 0
		.amdhsa_exception_fp_ieee_div_zero 0
		.amdhsa_exception_fp_ieee_overflow 0
		.amdhsa_exception_fp_ieee_underflow 0
		.amdhsa_exception_fp_ieee_inexact 0
		.amdhsa_exception_int_div_zero 0
	.end_amdhsa_kernel
	.section	.text._ZN7rocprim17ROCPRIM_400000_NS6detail17trampoline_kernelINS0_14default_configENS1_38merge_sort_block_merge_config_selectorItNS0_10empty_typeEEEZZNS1_27merge_sort_block_merge_implIS3_N6thrust23THRUST_200600_302600_NS6detail15normal_iteratorINS9_10device_ptrItEEEEPS5_m9comp_mod3ItEEE10hipError_tT0_T1_T2_jT3_P12ihipStream_tbPNSt15iterator_traitsISJ_E10value_typeEPNSP_ISK_E10value_typeEPSL_NS1_7vsmem_tEENKUlT_SJ_SK_SL_E_clISE_PtSF_SF_EESI_SY_SJ_SK_SL_EUlSY_E0_NS1_11comp_targetILNS1_3genE8ELNS1_11target_archE1030ELNS1_3gpuE2ELNS1_3repE0EEENS1_38merge_mergepath_config_static_selectorELNS0_4arch9wavefront6targetE0EEEvSK_,"axG",@progbits,_ZN7rocprim17ROCPRIM_400000_NS6detail17trampoline_kernelINS0_14default_configENS1_38merge_sort_block_merge_config_selectorItNS0_10empty_typeEEEZZNS1_27merge_sort_block_merge_implIS3_N6thrust23THRUST_200600_302600_NS6detail15normal_iteratorINS9_10device_ptrItEEEEPS5_m9comp_mod3ItEEE10hipError_tT0_T1_T2_jT3_P12ihipStream_tbPNSt15iterator_traitsISJ_E10value_typeEPNSP_ISK_E10value_typeEPSL_NS1_7vsmem_tEENKUlT_SJ_SK_SL_E_clISE_PtSF_SF_EESI_SY_SJ_SK_SL_EUlSY_E0_NS1_11comp_targetILNS1_3genE8ELNS1_11target_archE1030ELNS1_3gpuE2ELNS1_3repE0EEENS1_38merge_mergepath_config_static_selectorELNS0_4arch9wavefront6targetE0EEEvSK_,comdat
.Lfunc_end913:
	.size	_ZN7rocprim17ROCPRIM_400000_NS6detail17trampoline_kernelINS0_14default_configENS1_38merge_sort_block_merge_config_selectorItNS0_10empty_typeEEEZZNS1_27merge_sort_block_merge_implIS3_N6thrust23THRUST_200600_302600_NS6detail15normal_iteratorINS9_10device_ptrItEEEEPS5_m9comp_mod3ItEEE10hipError_tT0_T1_T2_jT3_P12ihipStream_tbPNSt15iterator_traitsISJ_E10value_typeEPNSP_ISK_E10value_typeEPSL_NS1_7vsmem_tEENKUlT_SJ_SK_SL_E_clISE_PtSF_SF_EESI_SY_SJ_SK_SL_EUlSY_E0_NS1_11comp_targetILNS1_3genE8ELNS1_11target_archE1030ELNS1_3gpuE2ELNS1_3repE0EEENS1_38merge_mergepath_config_static_selectorELNS0_4arch9wavefront6targetE0EEEvSK_, .Lfunc_end913-_ZN7rocprim17ROCPRIM_400000_NS6detail17trampoline_kernelINS0_14default_configENS1_38merge_sort_block_merge_config_selectorItNS0_10empty_typeEEEZZNS1_27merge_sort_block_merge_implIS3_N6thrust23THRUST_200600_302600_NS6detail15normal_iteratorINS9_10device_ptrItEEEEPS5_m9comp_mod3ItEEE10hipError_tT0_T1_T2_jT3_P12ihipStream_tbPNSt15iterator_traitsISJ_E10value_typeEPNSP_ISK_E10value_typeEPSL_NS1_7vsmem_tEENKUlT_SJ_SK_SL_E_clISE_PtSF_SF_EESI_SY_SJ_SK_SL_EUlSY_E0_NS1_11comp_targetILNS1_3genE8ELNS1_11target_archE1030ELNS1_3gpuE2ELNS1_3repE0EEENS1_38merge_mergepath_config_static_selectorELNS0_4arch9wavefront6targetE0EEEvSK_
                                        ; -- End function
	.set _ZN7rocprim17ROCPRIM_400000_NS6detail17trampoline_kernelINS0_14default_configENS1_38merge_sort_block_merge_config_selectorItNS0_10empty_typeEEEZZNS1_27merge_sort_block_merge_implIS3_N6thrust23THRUST_200600_302600_NS6detail15normal_iteratorINS9_10device_ptrItEEEEPS5_m9comp_mod3ItEEE10hipError_tT0_T1_T2_jT3_P12ihipStream_tbPNSt15iterator_traitsISJ_E10value_typeEPNSP_ISK_E10value_typeEPSL_NS1_7vsmem_tEENKUlT_SJ_SK_SL_E_clISE_PtSF_SF_EESI_SY_SJ_SK_SL_EUlSY_E0_NS1_11comp_targetILNS1_3genE8ELNS1_11target_archE1030ELNS1_3gpuE2ELNS1_3repE0EEENS1_38merge_mergepath_config_static_selectorELNS0_4arch9wavefront6targetE0EEEvSK_.num_vgpr, 29
	.set _ZN7rocprim17ROCPRIM_400000_NS6detail17trampoline_kernelINS0_14default_configENS1_38merge_sort_block_merge_config_selectorItNS0_10empty_typeEEEZZNS1_27merge_sort_block_merge_implIS3_N6thrust23THRUST_200600_302600_NS6detail15normal_iteratorINS9_10device_ptrItEEEEPS5_m9comp_mod3ItEEE10hipError_tT0_T1_T2_jT3_P12ihipStream_tbPNSt15iterator_traitsISJ_E10value_typeEPNSP_ISK_E10value_typeEPSL_NS1_7vsmem_tEENKUlT_SJ_SK_SL_E_clISE_PtSF_SF_EESI_SY_SJ_SK_SL_EUlSY_E0_NS1_11comp_targetILNS1_3genE8ELNS1_11target_archE1030ELNS1_3gpuE2ELNS1_3repE0EEENS1_38merge_mergepath_config_static_selectorELNS0_4arch9wavefront6targetE0EEEvSK_.num_agpr, 0
	.set _ZN7rocprim17ROCPRIM_400000_NS6detail17trampoline_kernelINS0_14default_configENS1_38merge_sort_block_merge_config_selectorItNS0_10empty_typeEEEZZNS1_27merge_sort_block_merge_implIS3_N6thrust23THRUST_200600_302600_NS6detail15normal_iteratorINS9_10device_ptrItEEEEPS5_m9comp_mod3ItEEE10hipError_tT0_T1_T2_jT3_P12ihipStream_tbPNSt15iterator_traitsISJ_E10value_typeEPNSP_ISK_E10value_typeEPSL_NS1_7vsmem_tEENKUlT_SJ_SK_SL_E_clISE_PtSF_SF_EESI_SY_SJ_SK_SL_EUlSY_E0_NS1_11comp_targetILNS1_3genE8ELNS1_11target_archE1030ELNS1_3gpuE2ELNS1_3repE0EEENS1_38merge_mergepath_config_static_selectorELNS0_4arch9wavefront6targetE0EEEvSK_.numbered_sgpr, 32
	.set _ZN7rocprim17ROCPRIM_400000_NS6detail17trampoline_kernelINS0_14default_configENS1_38merge_sort_block_merge_config_selectorItNS0_10empty_typeEEEZZNS1_27merge_sort_block_merge_implIS3_N6thrust23THRUST_200600_302600_NS6detail15normal_iteratorINS9_10device_ptrItEEEEPS5_m9comp_mod3ItEEE10hipError_tT0_T1_T2_jT3_P12ihipStream_tbPNSt15iterator_traitsISJ_E10value_typeEPNSP_ISK_E10value_typeEPSL_NS1_7vsmem_tEENKUlT_SJ_SK_SL_E_clISE_PtSF_SF_EESI_SY_SJ_SK_SL_EUlSY_E0_NS1_11comp_targetILNS1_3genE8ELNS1_11target_archE1030ELNS1_3gpuE2ELNS1_3repE0EEENS1_38merge_mergepath_config_static_selectorELNS0_4arch9wavefront6targetE0EEEvSK_.num_named_barrier, 0
	.set _ZN7rocprim17ROCPRIM_400000_NS6detail17trampoline_kernelINS0_14default_configENS1_38merge_sort_block_merge_config_selectorItNS0_10empty_typeEEEZZNS1_27merge_sort_block_merge_implIS3_N6thrust23THRUST_200600_302600_NS6detail15normal_iteratorINS9_10device_ptrItEEEEPS5_m9comp_mod3ItEEE10hipError_tT0_T1_T2_jT3_P12ihipStream_tbPNSt15iterator_traitsISJ_E10value_typeEPNSP_ISK_E10value_typeEPSL_NS1_7vsmem_tEENKUlT_SJ_SK_SL_E_clISE_PtSF_SF_EESI_SY_SJ_SK_SL_EUlSY_E0_NS1_11comp_targetILNS1_3genE8ELNS1_11target_archE1030ELNS1_3gpuE2ELNS1_3repE0EEENS1_38merge_mergepath_config_static_selectorELNS0_4arch9wavefront6targetE0EEEvSK_.private_seg_size, 0
	.set _ZN7rocprim17ROCPRIM_400000_NS6detail17trampoline_kernelINS0_14default_configENS1_38merge_sort_block_merge_config_selectorItNS0_10empty_typeEEEZZNS1_27merge_sort_block_merge_implIS3_N6thrust23THRUST_200600_302600_NS6detail15normal_iteratorINS9_10device_ptrItEEEEPS5_m9comp_mod3ItEEE10hipError_tT0_T1_T2_jT3_P12ihipStream_tbPNSt15iterator_traitsISJ_E10value_typeEPNSP_ISK_E10value_typeEPSL_NS1_7vsmem_tEENKUlT_SJ_SK_SL_E_clISE_PtSF_SF_EESI_SY_SJ_SK_SL_EUlSY_E0_NS1_11comp_targetILNS1_3genE8ELNS1_11target_archE1030ELNS1_3gpuE2ELNS1_3repE0EEENS1_38merge_mergepath_config_static_selectorELNS0_4arch9wavefront6targetE0EEEvSK_.uses_vcc, 1
	.set _ZN7rocprim17ROCPRIM_400000_NS6detail17trampoline_kernelINS0_14default_configENS1_38merge_sort_block_merge_config_selectorItNS0_10empty_typeEEEZZNS1_27merge_sort_block_merge_implIS3_N6thrust23THRUST_200600_302600_NS6detail15normal_iteratorINS9_10device_ptrItEEEEPS5_m9comp_mod3ItEEE10hipError_tT0_T1_T2_jT3_P12ihipStream_tbPNSt15iterator_traitsISJ_E10value_typeEPNSP_ISK_E10value_typeEPSL_NS1_7vsmem_tEENKUlT_SJ_SK_SL_E_clISE_PtSF_SF_EESI_SY_SJ_SK_SL_EUlSY_E0_NS1_11comp_targetILNS1_3genE8ELNS1_11target_archE1030ELNS1_3gpuE2ELNS1_3repE0EEENS1_38merge_mergepath_config_static_selectorELNS0_4arch9wavefront6targetE0EEEvSK_.uses_flat_scratch, 0
	.set _ZN7rocprim17ROCPRIM_400000_NS6detail17trampoline_kernelINS0_14default_configENS1_38merge_sort_block_merge_config_selectorItNS0_10empty_typeEEEZZNS1_27merge_sort_block_merge_implIS3_N6thrust23THRUST_200600_302600_NS6detail15normal_iteratorINS9_10device_ptrItEEEEPS5_m9comp_mod3ItEEE10hipError_tT0_T1_T2_jT3_P12ihipStream_tbPNSt15iterator_traitsISJ_E10value_typeEPNSP_ISK_E10value_typeEPSL_NS1_7vsmem_tEENKUlT_SJ_SK_SL_E_clISE_PtSF_SF_EESI_SY_SJ_SK_SL_EUlSY_E0_NS1_11comp_targetILNS1_3genE8ELNS1_11target_archE1030ELNS1_3gpuE2ELNS1_3repE0EEENS1_38merge_mergepath_config_static_selectorELNS0_4arch9wavefront6targetE0EEEvSK_.has_dyn_sized_stack, 0
	.set _ZN7rocprim17ROCPRIM_400000_NS6detail17trampoline_kernelINS0_14default_configENS1_38merge_sort_block_merge_config_selectorItNS0_10empty_typeEEEZZNS1_27merge_sort_block_merge_implIS3_N6thrust23THRUST_200600_302600_NS6detail15normal_iteratorINS9_10device_ptrItEEEEPS5_m9comp_mod3ItEEE10hipError_tT0_T1_T2_jT3_P12ihipStream_tbPNSt15iterator_traitsISJ_E10value_typeEPNSP_ISK_E10value_typeEPSL_NS1_7vsmem_tEENKUlT_SJ_SK_SL_E_clISE_PtSF_SF_EESI_SY_SJ_SK_SL_EUlSY_E0_NS1_11comp_targetILNS1_3genE8ELNS1_11target_archE1030ELNS1_3gpuE2ELNS1_3repE0EEENS1_38merge_mergepath_config_static_selectorELNS0_4arch9wavefront6targetE0EEEvSK_.has_recursion, 0
	.set _ZN7rocprim17ROCPRIM_400000_NS6detail17trampoline_kernelINS0_14default_configENS1_38merge_sort_block_merge_config_selectorItNS0_10empty_typeEEEZZNS1_27merge_sort_block_merge_implIS3_N6thrust23THRUST_200600_302600_NS6detail15normal_iteratorINS9_10device_ptrItEEEEPS5_m9comp_mod3ItEEE10hipError_tT0_T1_T2_jT3_P12ihipStream_tbPNSt15iterator_traitsISJ_E10value_typeEPNSP_ISK_E10value_typeEPSL_NS1_7vsmem_tEENKUlT_SJ_SK_SL_E_clISE_PtSF_SF_EESI_SY_SJ_SK_SL_EUlSY_E0_NS1_11comp_targetILNS1_3genE8ELNS1_11target_archE1030ELNS1_3gpuE2ELNS1_3repE0EEENS1_38merge_mergepath_config_static_selectorELNS0_4arch9wavefront6targetE0EEEvSK_.has_indirect_call, 0
	.section	.AMDGPU.csdata,"",@progbits
; Kernel info:
; codeLenInByte = 4692
; TotalNumSgprs: 34
; NumVgprs: 29
; ScratchSize: 0
; MemoryBound: 0
; FloatMode: 240
; IeeeMode: 1
; LDSByteSize: 2112 bytes/workgroup (compile time only)
; SGPRBlocks: 0
; VGPRBlocks: 3
; NumSGPRsForWavesPerEU: 34
; NumVGPRsForWavesPerEU: 29
; Occupancy: 16
; WaveLimiterHint : 1
; COMPUTE_PGM_RSRC2:SCRATCH_EN: 0
; COMPUTE_PGM_RSRC2:USER_SGPR: 6
; COMPUTE_PGM_RSRC2:TRAP_HANDLER: 0
; COMPUTE_PGM_RSRC2:TGID_X_EN: 1
; COMPUTE_PGM_RSRC2:TGID_Y_EN: 1
; COMPUTE_PGM_RSRC2:TGID_Z_EN: 1
; COMPUTE_PGM_RSRC2:TIDIG_COMP_CNT: 0
	.section	.text._ZN7rocprim17ROCPRIM_400000_NS6detail17trampoline_kernelINS0_14default_configENS1_38merge_sort_block_merge_config_selectorItNS0_10empty_typeEEEZZNS1_27merge_sort_block_merge_implIS3_N6thrust23THRUST_200600_302600_NS6detail15normal_iteratorINS9_10device_ptrItEEEEPS5_m9comp_mod3ItEEE10hipError_tT0_T1_T2_jT3_P12ihipStream_tbPNSt15iterator_traitsISJ_E10value_typeEPNSP_ISK_E10value_typeEPSL_NS1_7vsmem_tEENKUlT_SJ_SK_SL_E_clISE_PtSF_SF_EESI_SY_SJ_SK_SL_EUlSY_E1_NS1_11comp_targetILNS1_3genE0ELNS1_11target_archE4294967295ELNS1_3gpuE0ELNS1_3repE0EEENS1_36merge_oddeven_config_static_selectorELNS0_4arch9wavefront6targetE0EEEvSK_,"axG",@progbits,_ZN7rocprim17ROCPRIM_400000_NS6detail17trampoline_kernelINS0_14default_configENS1_38merge_sort_block_merge_config_selectorItNS0_10empty_typeEEEZZNS1_27merge_sort_block_merge_implIS3_N6thrust23THRUST_200600_302600_NS6detail15normal_iteratorINS9_10device_ptrItEEEEPS5_m9comp_mod3ItEEE10hipError_tT0_T1_T2_jT3_P12ihipStream_tbPNSt15iterator_traitsISJ_E10value_typeEPNSP_ISK_E10value_typeEPSL_NS1_7vsmem_tEENKUlT_SJ_SK_SL_E_clISE_PtSF_SF_EESI_SY_SJ_SK_SL_EUlSY_E1_NS1_11comp_targetILNS1_3genE0ELNS1_11target_archE4294967295ELNS1_3gpuE0ELNS1_3repE0EEENS1_36merge_oddeven_config_static_selectorELNS0_4arch9wavefront6targetE0EEEvSK_,comdat
	.protected	_ZN7rocprim17ROCPRIM_400000_NS6detail17trampoline_kernelINS0_14default_configENS1_38merge_sort_block_merge_config_selectorItNS0_10empty_typeEEEZZNS1_27merge_sort_block_merge_implIS3_N6thrust23THRUST_200600_302600_NS6detail15normal_iteratorINS9_10device_ptrItEEEEPS5_m9comp_mod3ItEEE10hipError_tT0_T1_T2_jT3_P12ihipStream_tbPNSt15iterator_traitsISJ_E10value_typeEPNSP_ISK_E10value_typeEPSL_NS1_7vsmem_tEENKUlT_SJ_SK_SL_E_clISE_PtSF_SF_EESI_SY_SJ_SK_SL_EUlSY_E1_NS1_11comp_targetILNS1_3genE0ELNS1_11target_archE4294967295ELNS1_3gpuE0ELNS1_3repE0EEENS1_36merge_oddeven_config_static_selectorELNS0_4arch9wavefront6targetE0EEEvSK_ ; -- Begin function _ZN7rocprim17ROCPRIM_400000_NS6detail17trampoline_kernelINS0_14default_configENS1_38merge_sort_block_merge_config_selectorItNS0_10empty_typeEEEZZNS1_27merge_sort_block_merge_implIS3_N6thrust23THRUST_200600_302600_NS6detail15normal_iteratorINS9_10device_ptrItEEEEPS5_m9comp_mod3ItEEE10hipError_tT0_T1_T2_jT3_P12ihipStream_tbPNSt15iterator_traitsISJ_E10value_typeEPNSP_ISK_E10value_typeEPSL_NS1_7vsmem_tEENKUlT_SJ_SK_SL_E_clISE_PtSF_SF_EESI_SY_SJ_SK_SL_EUlSY_E1_NS1_11comp_targetILNS1_3genE0ELNS1_11target_archE4294967295ELNS1_3gpuE0ELNS1_3repE0EEENS1_36merge_oddeven_config_static_selectorELNS0_4arch9wavefront6targetE0EEEvSK_
	.globl	_ZN7rocprim17ROCPRIM_400000_NS6detail17trampoline_kernelINS0_14default_configENS1_38merge_sort_block_merge_config_selectorItNS0_10empty_typeEEEZZNS1_27merge_sort_block_merge_implIS3_N6thrust23THRUST_200600_302600_NS6detail15normal_iteratorINS9_10device_ptrItEEEEPS5_m9comp_mod3ItEEE10hipError_tT0_T1_T2_jT3_P12ihipStream_tbPNSt15iterator_traitsISJ_E10value_typeEPNSP_ISK_E10value_typeEPSL_NS1_7vsmem_tEENKUlT_SJ_SK_SL_E_clISE_PtSF_SF_EESI_SY_SJ_SK_SL_EUlSY_E1_NS1_11comp_targetILNS1_3genE0ELNS1_11target_archE4294967295ELNS1_3gpuE0ELNS1_3repE0EEENS1_36merge_oddeven_config_static_selectorELNS0_4arch9wavefront6targetE0EEEvSK_
	.p2align	8
	.type	_ZN7rocprim17ROCPRIM_400000_NS6detail17trampoline_kernelINS0_14default_configENS1_38merge_sort_block_merge_config_selectorItNS0_10empty_typeEEEZZNS1_27merge_sort_block_merge_implIS3_N6thrust23THRUST_200600_302600_NS6detail15normal_iteratorINS9_10device_ptrItEEEEPS5_m9comp_mod3ItEEE10hipError_tT0_T1_T2_jT3_P12ihipStream_tbPNSt15iterator_traitsISJ_E10value_typeEPNSP_ISK_E10value_typeEPSL_NS1_7vsmem_tEENKUlT_SJ_SK_SL_E_clISE_PtSF_SF_EESI_SY_SJ_SK_SL_EUlSY_E1_NS1_11comp_targetILNS1_3genE0ELNS1_11target_archE4294967295ELNS1_3gpuE0ELNS1_3repE0EEENS1_36merge_oddeven_config_static_selectorELNS0_4arch9wavefront6targetE0EEEvSK_,@function
_ZN7rocprim17ROCPRIM_400000_NS6detail17trampoline_kernelINS0_14default_configENS1_38merge_sort_block_merge_config_selectorItNS0_10empty_typeEEEZZNS1_27merge_sort_block_merge_implIS3_N6thrust23THRUST_200600_302600_NS6detail15normal_iteratorINS9_10device_ptrItEEEEPS5_m9comp_mod3ItEEE10hipError_tT0_T1_T2_jT3_P12ihipStream_tbPNSt15iterator_traitsISJ_E10value_typeEPNSP_ISK_E10value_typeEPSL_NS1_7vsmem_tEENKUlT_SJ_SK_SL_E_clISE_PtSF_SF_EESI_SY_SJ_SK_SL_EUlSY_E1_NS1_11comp_targetILNS1_3genE0ELNS1_11target_archE4294967295ELNS1_3gpuE0ELNS1_3repE0EEENS1_36merge_oddeven_config_static_selectorELNS0_4arch9wavefront6targetE0EEEvSK_: ; @_ZN7rocprim17ROCPRIM_400000_NS6detail17trampoline_kernelINS0_14default_configENS1_38merge_sort_block_merge_config_selectorItNS0_10empty_typeEEEZZNS1_27merge_sort_block_merge_implIS3_N6thrust23THRUST_200600_302600_NS6detail15normal_iteratorINS9_10device_ptrItEEEEPS5_m9comp_mod3ItEEE10hipError_tT0_T1_T2_jT3_P12ihipStream_tbPNSt15iterator_traitsISJ_E10value_typeEPNSP_ISK_E10value_typeEPSL_NS1_7vsmem_tEENKUlT_SJ_SK_SL_E_clISE_PtSF_SF_EESI_SY_SJ_SK_SL_EUlSY_E1_NS1_11comp_targetILNS1_3genE0ELNS1_11target_archE4294967295ELNS1_3gpuE0ELNS1_3repE0EEENS1_36merge_oddeven_config_static_selectorELNS0_4arch9wavefront6targetE0EEEvSK_
; %bb.0:
	.section	.rodata,"a",@progbits
	.p2align	6, 0x0
	.amdhsa_kernel _ZN7rocprim17ROCPRIM_400000_NS6detail17trampoline_kernelINS0_14default_configENS1_38merge_sort_block_merge_config_selectorItNS0_10empty_typeEEEZZNS1_27merge_sort_block_merge_implIS3_N6thrust23THRUST_200600_302600_NS6detail15normal_iteratorINS9_10device_ptrItEEEEPS5_m9comp_mod3ItEEE10hipError_tT0_T1_T2_jT3_P12ihipStream_tbPNSt15iterator_traitsISJ_E10value_typeEPNSP_ISK_E10value_typeEPSL_NS1_7vsmem_tEENKUlT_SJ_SK_SL_E_clISE_PtSF_SF_EESI_SY_SJ_SK_SL_EUlSY_E1_NS1_11comp_targetILNS1_3genE0ELNS1_11target_archE4294967295ELNS1_3gpuE0ELNS1_3repE0EEENS1_36merge_oddeven_config_static_selectorELNS0_4arch9wavefront6targetE0EEEvSK_
		.amdhsa_group_segment_fixed_size 0
		.amdhsa_private_segment_fixed_size 0
		.amdhsa_kernarg_size 56
		.amdhsa_user_sgpr_count 6
		.amdhsa_user_sgpr_private_segment_buffer 1
		.amdhsa_user_sgpr_dispatch_ptr 0
		.amdhsa_user_sgpr_queue_ptr 0
		.amdhsa_user_sgpr_kernarg_segment_ptr 1
		.amdhsa_user_sgpr_dispatch_id 0
		.amdhsa_user_sgpr_flat_scratch_init 0
		.amdhsa_user_sgpr_private_segment_size 0
		.amdhsa_wavefront_size32 1
		.amdhsa_uses_dynamic_stack 0
		.amdhsa_system_sgpr_private_segment_wavefront_offset 0
		.amdhsa_system_sgpr_workgroup_id_x 1
		.amdhsa_system_sgpr_workgroup_id_y 0
		.amdhsa_system_sgpr_workgroup_id_z 0
		.amdhsa_system_sgpr_workgroup_info 0
		.amdhsa_system_vgpr_workitem_id 0
		.amdhsa_next_free_vgpr 1
		.amdhsa_next_free_sgpr 1
		.amdhsa_reserve_vcc 0
		.amdhsa_reserve_flat_scratch 0
		.amdhsa_float_round_mode_32 0
		.amdhsa_float_round_mode_16_64 0
		.amdhsa_float_denorm_mode_32 3
		.amdhsa_float_denorm_mode_16_64 3
		.amdhsa_dx10_clamp 1
		.amdhsa_ieee_mode 1
		.amdhsa_fp16_overflow 0
		.amdhsa_workgroup_processor_mode 1
		.amdhsa_memory_ordered 1
		.amdhsa_forward_progress 1
		.amdhsa_shared_vgpr_count 0
		.amdhsa_exception_fp_ieee_invalid_op 0
		.amdhsa_exception_fp_denorm_src 0
		.amdhsa_exception_fp_ieee_div_zero 0
		.amdhsa_exception_fp_ieee_overflow 0
		.amdhsa_exception_fp_ieee_underflow 0
		.amdhsa_exception_fp_ieee_inexact 0
		.amdhsa_exception_int_div_zero 0
	.end_amdhsa_kernel
	.section	.text._ZN7rocprim17ROCPRIM_400000_NS6detail17trampoline_kernelINS0_14default_configENS1_38merge_sort_block_merge_config_selectorItNS0_10empty_typeEEEZZNS1_27merge_sort_block_merge_implIS3_N6thrust23THRUST_200600_302600_NS6detail15normal_iteratorINS9_10device_ptrItEEEEPS5_m9comp_mod3ItEEE10hipError_tT0_T1_T2_jT3_P12ihipStream_tbPNSt15iterator_traitsISJ_E10value_typeEPNSP_ISK_E10value_typeEPSL_NS1_7vsmem_tEENKUlT_SJ_SK_SL_E_clISE_PtSF_SF_EESI_SY_SJ_SK_SL_EUlSY_E1_NS1_11comp_targetILNS1_3genE0ELNS1_11target_archE4294967295ELNS1_3gpuE0ELNS1_3repE0EEENS1_36merge_oddeven_config_static_selectorELNS0_4arch9wavefront6targetE0EEEvSK_,"axG",@progbits,_ZN7rocprim17ROCPRIM_400000_NS6detail17trampoline_kernelINS0_14default_configENS1_38merge_sort_block_merge_config_selectorItNS0_10empty_typeEEEZZNS1_27merge_sort_block_merge_implIS3_N6thrust23THRUST_200600_302600_NS6detail15normal_iteratorINS9_10device_ptrItEEEEPS5_m9comp_mod3ItEEE10hipError_tT0_T1_T2_jT3_P12ihipStream_tbPNSt15iterator_traitsISJ_E10value_typeEPNSP_ISK_E10value_typeEPSL_NS1_7vsmem_tEENKUlT_SJ_SK_SL_E_clISE_PtSF_SF_EESI_SY_SJ_SK_SL_EUlSY_E1_NS1_11comp_targetILNS1_3genE0ELNS1_11target_archE4294967295ELNS1_3gpuE0ELNS1_3repE0EEENS1_36merge_oddeven_config_static_selectorELNS0_4arch9wavefront6targetE0EEEvSK_,comdat
.Lfunc_end914:
	.size	_ZN7rocprim17ROCPRIM_400000_NS6detail17trampoline_kernelINS0_14default_configENS1_38merge_sort_block_merge_config_selectorItNS0_10empty_typeEEEZZNS1_27merge_sort_block_merge_implIS3_N6thrust23THRUST_200600_302600_NS6detail15normal_iteratorINS9_10device_ptrItEEEEPS5_m9comp_mod3ItEEE10hipError_tT0_T1_T2_jT3_P12ihipStream_tbPNSt15iterator_traitsISJ_E10value_typeEPNSP_ISK_E10value_typeEPSL_NS1_7vsmem_tEENKUlT_SJ_SK_SL_E_clISE_PtSF_SF_EESI_SY_SJ_SK_SL_EUlSY_E1_NS1_11comp_targetILNS1_3genE0ELNS1_11target_archE4294967295ELNS1_3gpuE0ELNS1_3repE0EEENS1_36merge_oddeven_config_static_selectorELNS0_4arch9wavefront6targetE0EEEvSK_, .Lfunc_end914-_ZN7rocprim17ROCPRIM_400000_NS6detail17trampoline_kernelINS0_14default_configENS1_38merge_sort_block_merge_config_selectorItNS0_10empty_typeEEEZZNS1_27merge_sort_block_merge_implIS3_N6thrust23THRUST_200600_302600_NS6detail15normal_iteratorINS9_10device_ptrItEEEEPS5_m9comp_mod3ItEEE10hipError_tT0_T1_T2_jT3_P12ihipStream_tbPNSt15iterator_traitsISJ_E10value_typeEPNSP_ISK_E10value_typeEPSL_NS1_7vsmem_tEENKUlT_SJ_SK_SL_E_clISE_PtSF_SF_EESI_SY_SJ_SK_SL_EUlSY_E1_NS1_11comp_targetILNS1_3genE0ELNS1_11target_archE4294967295ELNS1_3gpuE0ELNS1_3repE0EEENS1_36merge_oddeven_config_static_selectorELNS0_4arch9wavefront6targetE0EEEvSK_
                                        ; -- End function
	.set _ZN7rocprim17ROCPRIM_400000_NS6detail17trampoline_kernelINS0_14default_configENS1_38merge_sort_block_merge_config_selectorItNS0_10empty_typeEEEZZNS1_27merge_sort_block_merge_implIS3_N6thrust23THRUST_200600_302600_NS6detail15normal_iteratorINS9_10device_ptrItEEEEPS5_m9comp_mod3ItEEE10hipError_tT0_T1_T2_jT3_P12ihipStream_tbPNSt15iterator_traitsISJ_E10value_typeEPNSP_ISK_E10value_typeEPSL_NS1_7vsmem_tEENKUlT_SJ_SK_SL_E_clISE_PtSF_SF_EESI_SY_SJ_SK_SL_EUlSY_E1_NS1_11comp_targetILNS1_3genE0ELNS1_11target_archE4294967295ELNS1_3gpuE0ELNS1_3repE0EEENS1_36merge_oddeven_config_static_selectorELNS0_4arch9wavefront6targetE0EEEvSK_.num_vgpr, 0
	.set _ZN7rocprim17ROCPRIM_400000_NS6detail17trampoline_kernelINS0_14default_configENS1_38merge_sort_block_merge_config_selectorItNS0_10empty_typeEEEZZNS1_27merge_sort_block_merge_implIS3_N6thrust23THRUST_200600_302600_NS6detail15normal_iteratorINS9_10device_ptrItEEEEPS5_m9comp_mod3ItEEE10hipError_tT0_T1_T2_jT3_P12ihipStream_tbPNSt15iterator_traitsISJ_E10value_typeEPNSP_ISK_E10value_typeEPSL_NS1_7vsmem_tEENKUlT_SJ_SK_SL_E_clISE_PtSF_SF_EESI_SY_SJ_SK_SL_EUlSY_E1_NS1_11comp_targetILNS1_3genE0ELNS1_11target_archE4294967295ELNS1_3gpuE0ELNS1_3repE0EEENS1_36merge_oddeven_config_static_selectorELNS0_4arch9wavefront6targetE0EEEvSK_.num_agpr, 0
	.set _ZN7rocprim17ROCPRIM_400000_NS6detail17trampoline_kernelINS0_14default_configENS1_38merge_sort_block_merge_config_selectorItNS0_10empty_typeEEEZZNS1_27merge_sort_block_merge_implIS3_N6thrust23THRUST_200600_302600_NS6detail15normal_iteratorINS9_10device_ptrItEEEEPS5_m9comp_mod3ItEEE10hipError_tT0_T1_T2_jT3_P12ihipStream_tbPNSt15iterator_traitsISJ_E10value_typeEPNSP_ISK_E10value_typeEPSL_NS1_7vsmem_tEENKUlT_SJ_SK_SL_E_clISE_PtSF_SF_EESI_SY_SJ_SK_SL_EUlSY_E1_NS1_11comp_targetILNS1_3genE0ELNS1_11target_archE4294967295ELNS1_3gpuE0ELNS1_3repE0EEENS1_36merge_oddeven_config_static_selectorELNS0_4arch9wavefront6targetE0EEEvSK_.numbered_sgpr, 0
	.set _ZN7rocprim17ROCPRIM_400000_NS6detail17trampoline_kernelINS0_14default_configENS1_38merge_sort_block_merge_config_selectorItNS0_10empty_typeEEEZZNS1_27merge_sort_block_merge_implIS3_N6thrust23THRUST_200600_302600_NS6detail15normal_iteratorINS9_10device_ptrItEEEEPS5_m9comp_mod3ItEEE10hipError_tT0_T1_T2_jT3_P12ihipStream_tbPNSt15iterator_traitsISJ_E10value_typeEPNSP_ISK_E10value_typeEPSL_NS1_7vsmem_tEENKUlT_SJ_SK_SL_E_clISE_PtSF_SF_EESI_SY_SJ_SK_SL_EUlSY_E1_NS1_11comp_targetILNS1_3genE0ELNS1_11target_archE4294967295ELNS1_3gpuE0ELNS1_3repE0EEENS1_36merge_oddeven_config_static_selectorELNS0_4arch9wavefront6targetE0EEEvSK_.num_named_barrier, 0
	.set _ZN7rocprim17ROCPRIM_400000_NS6detail17trampoline_kernelINS0_14default_configENS1_38merge_sort_block_merge_config_selectorItNS0_10empty_typeEEEZZNS1_27merge_sort_block_merge_implIS3_N6thrust23THRUST_200600_302600_NS6detail15normal_iteratorINS9_10device_ptrItEEEEPS5_m9comp_mod3ItEEE10hipError_tT0_T1_T2_jT3_P12ihipStream_tbPNSt15iterator_traitsISJ_E10value_typeEPNSP_ISK_E10value_typeEPSL_NS1_7vsmem_tEENKUlT_SJ_SK_SL_E_clISE_PtSF_SF_EESI_SY_SJ_SK_SL_EUlSY_E1_NS1_11comp_targetILNS1_3genE0ELNS1_11target_archE4294967295ELNS1_3gpuE0ELNS1_3repE0EEENS1_36merge_oddeven_config_static_selectorELNS0_4arch9wavefront6targetE0EEEvSK_.private_seg_size, 0
	.set _ZN7rocprim17ROCPRIM_400000_NS6detail17trampoline_kernelINS0_14default_configENS1_38merge_sort_block_merge_config_selectorItNS0_10empty_typeEEEZZNS1_27merge_sort_block_merge_implIS3_N6thrust23THRUST_200600_302600_NS6detail15normal_iteratorINS9_10device_ptrItEEEEPS5_m9comp_mod3ItEEE10hipError_tT0_T1_T2_jT3_P12ihipStream_tbPNSt15iterator_traitsISJ_E10value_typeEPNSP_ISK_E10value_typeEPSL_NS1_7vsmem_tEENKUlT_SJ_SK_SL_E_clISE_PtSF_SF_EESI_SY_SJ_SK_SL_EUlSY_E1_NS1_11comp_targetILNS1_3genE0ELNS1_11target_archE4294967295ELNS1_3gpuE0ELNS1_3repE0EEENS1_36merge_oddeven_config_static_selectorELNS0_4arch9wavefront6targetE0EEEvSK_.uses_vcc, 0
	.set _ZN7rocprim17ROCPRIM_400000_NS6detail17trampoline_kernelINS0_14default_configENS1_38merge_sort_block_merge_config_selectorItNS0_10empty_typeEEEZZNS1_27merge_sort_block_merge_implIS3_N6thrust23THRUST_200600_302600_NS6detail15normal_iteratorINS9_10device_ptrItEEEEPS5_m9comp_mod3ItEEE10hipError_tT0_T1_T2_jT3_P12ihipStream_tbPNSt15iterator_traitsISJ_E10value_typeEPNSP_ISK_E10value_typeEPSL_NS1_7vsmem_tEENKUlT_SJ_SK_SL_E_clISE_PtSF_SF_EESI_SY_SJ_SK_SL_EUlSY_E1_NS1_11comp_targetILNS1_3genE0ELNS1_11target_archE4294967295ELNS1_3gpuE0ELNS1_3repE0EEENS1_36merge_oddeven_config_static_selectorELNS0_4arch9wavefront6targetE0EEEvSK_.uses_flat_scratch, 0
	.set _ZN7rocprim17ROCPRIM_400000_NS6detail17trampoline_kernelINS0_14default_configENS1_38merge_sort_block_merge_config_selectorItNS0_10empty_typeEEEZZNS1_27merge_sort_block_merge_implIS3_N6thrust23THRUST_200600_302600_NS6detail15normal_iteratorINS9_10device_ptrItEEEEPS5_m9comp_mod3ItEEE10hipError_tT0_T1_T2_jT3_P12ihipStream_tbPNSt15iterator_traitsISJ_E10value_typeEPNSP_ISK_E10value_typeEPSL_NS1_7vsmem_tEENKUlT_SJ_SK_SL_E_clISE_PtSF_SF_EESI_SY_SJ_SK_SL_EUlSY_E1_NS1_11comp_targetILNS1_3genE0ELNS1_11target_archE4294967295ELNS1_3gpuE0ELNS1_3repE0EEENS1_36merge_oddeven_config_static_selectorELNS0_4arch9wavefront6targetE0EEEvSK_.has_dyn_sized_stack, 0
	.set _ZN7rocprim17ROCPRIM_400000_NS6detail17trampoline_kernelINS0_14default_configENS1_38merge_sort_block_merge_config_selectorItNS0_10empty_typeEEEZZNS1_27merge_sort_block_merge_implIS3_N6thrust23THRUST_200600_302600_NS6detail15normal_iteratorINS9_10device_ptrItEEEEPS5_m9comp_mod3ItEEE10hipError_tT0_T1_T2_jT3_P12ihipStream_tbPNSt15iterator_traitsISJ_E10value_typeEPNSP_ISK_E10value_typeEPSL_NS1_7vsmem_tEENKUlT_SJ_SK_SL_E_clISE_PtSF_SF_EESI_SY_SJ_SK_SL_EUlSY_E1_NS1_11comp_targetILNS1_3genE0ELNS1_11target_archE4294967295ELNS1_3gpuE0ELNS1_3repE0EEENS1_36merge_oddeven_config_static_selectorELNS0_4arch9wavefront6targetE0EEEvSK_.has_recursion, 0
	.set _ZN7rocprim17ROCPRIM_400000_NS6detail17trampoline_kernelINS0_14default_configENS1_38merge_sort_block_merge_config_selectorItNS0_10empty_typeEEEZZNS1_27merge_sort_block_merge_implIS3_N6thrust23THRUST_200600_302600_NS6detail15normal_iteratorINS9_10device_ptrItEEEEPS5_m9comp_mod3ItEEE10hipError_tT0_T1_T2_jT3_P12ihipStream_tbPNSt15iterator_traitsISJ_E10value_typeEPNSP_ISK_E10value_typeEPSL_NS1_7vsmem_tEENKUlT_SJ_SK_SL_E_clISE_PtSF_SF_EESI_SY_SJ_SK_SL_EUlSY_E1_NS1_11comp_targetILNS1_3genE0ELNS1_11target_archE4294967295ELNS1_3gpuE0ELNS1_3repE0EEENS1_36merge_oddeven_config_static_selectorELNS0_4arch9wavefront6targetE0EEEvSK_.has_indirect_call, 0
	.section	.AMDGPU.csdata,"",@progbits
; Kernel info:
; codeLenInByte = 0
; TotalNumSgprs: 0
; NumVgprs: 0
; ScratchSize: 0
; MemoryBound: 0
; FloatMode: 240
; IeeeMode: 1
; LDSByteSize: 0 bytes/workgroup (compile time only)
; SGPRBlocks: 0
; VGPRBlocks: 0
; NumSGPRsForWavesPerEU: 1
; NumVGPRsForWavesPerEU: 1
; Occupancy: 16
; WaveLimiterHint : 0
; COMPUTE_PGM_RSRC2:SCRATCH_EN: 0
; COMPUTE_PGM_RSRC2:USER_SGPR: 6
; COMPUTE_PGM_RSRC2:TRAP_HANDLER: 0
; COMPUTE_PGM_RSRC2:TGID_X_EN: 1
; COMPUTE_PGM_RSRC2:TGID_Y_EN: 0
; COMPUTE_PGM_RSRC2:TGID_Z_EN: 0
; COMPUTE_PGM_RSRC2:TIDIG_COMP_CNT: 0
	.section	.text._ZN7rocprim17ROCPRIM_400000_NS6detail17trampoline_kernelINS0_14default_configENS1_38merge_sort_block_merge_config_selectorItNS0_10empty_typeEEEZZNS1_27merge_sort_block_merge_implIS3_N6thrust23THRUST_200600_302600_NS6detail15normal_iteratorINS9_10device_ptrItEEEEPS5_m9comp_mod3ItEEE10hipError_tT0_T1_T2_jT3_P12ihipStream_tbPNSt15iterator_traitsISJ_E10value_typeEPNSP_ISK_E10value_typeEPSL_NS1_7vsmem_tEENKUlT_SJ_SK_SL_E_clISE_PtSF_SF_EESI_SY_SJ_SK_SL_EUlSY_E1_NS1_11comp_targetILNS1_3genE10ELNS1_11target_archE1201ELNS1_3gpuE5ELNS1_3repE0EEENS1_36merge_oddeven_config_static_selectorELNS0_4arch9wavefront6targetE0EEEvSK_,"axG",@progbits,_ZN7rocprim17ROCPRIM_400000_NS6detail17trampoline_kernelINS0_14default_configENS1_38merge_sort_block_merge_config_selectorItNS0_10empty_typeEEEZZNS1_27merge_sort_block_merge_implIS3_N6thrust23THRUST_200600_302600_NS6detail15normal_iteratorINS9_10device_ptrItEEEEPS5_m9comp_mod3ItEEE10hipError_tT0_T1_T2_jT3_P12ihipStream_tbPNSt15iterator_traitsISJ_E10value_typeEPNSP_ISK_E10value_typeEPSL_NS1_7vsmem_tEENKUlT_SJ_SK_SL_E_clISE_PtSF_SF_EESI_SY_SJ_SK_SL_EUlSY_E1_NS1_11comp_targetILNS1_3genE10ELNS1_11target_archE1201ELNS1_3gpuE5ELNS1_3repE0EEENS1_36merge_oddeven_config_static_selectorELNS0_4arch9wavefront6targetE0EEEvSK_,comdat
	.protected	_ZN7rocprim17ROCPRIM_400000_NS6detail17trampoline_kernelINS0_14default_configENS1_38merge_sort_block_merge_config_selectorItNS0_10empty_typeEEEZZNS1_27merge_sort_block_merge_implIS3_N6thrust23THRUST_200600_302600_NS6detail15normal_iteratorINS9_10device_ptrItEEEEPS5_m9comp_mod3ItEEE10hipError_tT0_T1_T2_jT3_P12ihipStream_tbPNSt15iterator_traitsISJ_E10value_typeEPNSP_ISK_E10value_typeEPSL_NS1_7vsmem_tEENKUlT_SJ_SK_SL_E_clISE_PtSF_SF_EESI_SY_SJ_SK_SL_EUlSY_E1_NS1_11comp_targetILNS1_3genE10ELNS1_11target_archE1201ELNS1_3gpuE5ELNS1_3repE0EEENS1_36merge_oddeven_config_static_selectorELNS0_4arch9wavefront6targetE0EEEvSK_ ; -- Begin function _ZN7rocprim17ROCPRIM_400000_NS6detail17trampoline_kernelINS0_14default_configENS1_38merge_sort_block_merge_config_selectorItNS0_10empty_typeEEEZZNS1_27merge_sort_block_merge_implIS3_N6thrust23THRUST_200600_302600_NS6detail15normal_iteratorINS9_10device_ptrItEEEEPS5_m9comp_mod3ItEEE10hipError_tT0_T1_T2_jT3_P12ihipStream_tbPNSt15iterator_traitsISJ_E10value_typeEPNSP_ISK_E10value_typeEPSL_NS1_7vsmem_tEENKUlT_SJ_SK_SL_E_clISE_PtSF_SF_EESI_SY_SJ_SK_SL_EUlSY_E1_NS1_11comp_targetILNS1_3genE10ELNS1_11target_archE1201ELNS1_3gpuE5ELNS1_3repE0EEENS1_36merge_oddeven_config_static_selectorELNS0_4arch9wavefront6targetE0EEEvSK_
	.globl	_ZN7rocprim17ROCPRIM_400000_NS6detail17trampoline_kernelINS0_14default_configENS1_38merge_sort_block_merge_config_selectorItNS0_10empty_typeEEEZZNS1_27merge_sort_block_merge_implIS3_N6thrust23THRUST_200600_302600_NS6detail15normal_iteratorINS9_10device_ptrItEEEEPS5_m9comp_mod3ItEEE10hipError_tT0_T1_T2_jT3_P12ihipStream_tbPNSt15iterator_traitsISJ_E10value_typeEPNSP_ISK_E10value_typeEPSL_NS1_7vsmem_tEENKUlT_SJ_SK_SL_E_clISE_PtSF_SF_EESI_SY_SJ_SK_SL_EUlSY_E1_NS1_11comp_targetILNS1_3genE10ELNS1_11target_archE1201ELNS1_3gpuE5ELNS1_3repE0EEENS1_36merge_oddeven_config_static_selectorELNS0_4arch9wavefront6targetE0EEEvSK_
	.p2align	8
	.type	_ZN7rocprim17ROCPRIM_400000_NS6detail17trampoline_kernelINS0_14default_configENS1_38merge_sort_block_merge_config_selectorItNS0_10empty_typeEEEZZNS1_27merge_sort_block_merge_implIS3_N6thrust23THRUST_200600_302600_NS6detail15normal_iteratorINS9_10device_ptrItEEEEPS5_m9comp_mod3ItEEE10hipError_tT0_T1_T2_jT3_P12ihipStream_tbPNSt15iterator_traitsISJ_E10value_typeEPNSP_ISK_E10value_typeEPSL_NS1_7vsmem_tEENKUlT_SJ_SK_SL_E_clISE_PtSF_SF_EESI_SY_SJ_SK_SL_EUlSY_E1_NS1_11comp_targetILNS1_3genE10ELNS1_11target_archE1201ELNS1_3gpuE5ELNS1_3repE0EEENS1_36merge_oddeven_config_static_selectorELNS0_4arch9wavefront6targetE0EEEvSK_,@function
_ZN7rocprim17ROCPRIM_400000_NS6detail17trampoline_kernelINS0_14default_configENS1_38merge_sort_block_merge_config_selectorItNS0_10empty_typeEEEZZNS1_27merge_sort_block_merge_implIS3_N6thrust23THRUST_200600_302600_NS6detail15normal_iteratorINS9_10device_ptrItEEEEPS5_m9comp_mod3ItEEE10hipError_tT0_T1_T2_jT3_P12ihipStream_tbPNSt15iterator_traitsISJ_E10value_typeEPNSP_ISK_E10value_typeEPSL_NS1_7vsmem_tEENKUlT_SJ_SK_SL_E_clISE_PtSF_SF_EESI_SY_SJ_SK_SL_EUlSY_E1_NS1_11comp_targetILNS1_3genE10ELNS1_11target_archE1201ELNS1_3gpuE5ELNS1_3repE0EEENS1_36merge_oddeven_config_static_selectorELNS0_4arch9wavefront6targetE0EEEvSK_: ; @_ZN7rocprim17ROCPRIM_400000_NS6detail17trampoline_kernelINS0_14default_configENS1_38merge_sort_block_merge_config_selectorItNS0_10empty_typeEEEZZNS1_27merge_sort_block_merge_implIS3_N6thrust23THRUST_200600_302600_NS6detail15normal_iteratorINS9_10device_ptrItEEEEPS5_m9comp_mod3ItEEE10hipError_tT0_T1_T2_jT3_P12ihipStream_tbPNSt15iterator_traitsISJ_E10value_typeEPNSP_ISK_E10value_typeEPSL_NS1_7vsmem_tEENKUlT_SJ_SK_SL_E_clISE_PtSF_SF_EESI_SY_SJ_SK_SL_EUlSY_E1_NS1_11comp_targetILNS1_3genE10ELNS1_11target_archE1201ELNS1_3gpuE5ELNS1_3repE0EEENS1_36merge_oddeven_config_static_selectorELNS0_4arch9wavefront6targetE0EEEvSK_
; %bb.0:
	.section	.rodata,"a",@progbits
	.p2align	6, 0x0
	.amdhsa_kernel _ZN7rocprim17ROCPRIM_400000_NS6detail17trampoline_kernelINS0_14default_configENS1_38merge_sort_block_merge_config_selectorItNS0_10empty_typeEEEZZNS1_27merge_sort_block_merge_implIS3_N6thrust23THRUST_200600_302600_NS6detail15normal_iteratorINS9_10device_ptrItEEEEPS5_m9comp_mod3ItEEE10hipError_tT0_T1_T2_jT3_P12ihipStream_tbPNSt15iterator_traitsISJ_E10value_typeEPNSP_ISK_E10value_typeEPSL_NS1_7vsmem_tEENKUlT_SJ_SK_SL_E_clISE_PtSF_SF_EESI_SY_SJ_SK_SL_EUlSY_E1_NS1_11comp_targetILNS1_3genE10ELNS1_11target_archE1201ELNS1_3gpuE5ELNS1_3repE0EEENS1_36merge_oddeven_config_static_selectorELNS0_4arch9wavefront6targetE0EEEvSK_
		.amdhsa_group_segment_fixed_size 0
		.amdhsa_private_segment_fixed_size 0
		.amdhsa_kernarg_size 56
		.amdhsa_user_sgpr_count 6
		.amdhsa_user_sgpr_private_segment_buffer 1
		.amdhsa_user_sgpr_dispatch_ptr 0
		.amdhsa_user_sgpr_queue_ptr 0
		.amdhsa_user_sgpr_kernarg_segment_ptr 1
		.amdhsa_user_sgpr_dispatch_id 0
		.amdhsa_user_sgpr_flat_scratch_init 0
		.amdhsa_user_sgpr_private_segment_size 0
		.amdhsa_wavefront_size32 1
		.amdhsa_uses_dynamic_stack 0
		.amdhsa_system_sgpr_private_segment_wavefront_offset 0
		.amdhsa_system_sgpr_workgroup_id_x 1
		.amdhsa_system_sgpr_workgroup_id_y 0
		.amdhsa_system_sgpr_workgroup_id_z 0
		.amdhsa_system_sgpr_workgroup_info 0
		.amdhsa_system_vgpr_workitem_id 0
		.amdhsa_next_free_vgpr 1
		.amdhsa_next_free_sgpr 1
		.amdhsa_reserve_vcc 0
		.amdhsa_reserve_flat_scratch 0
		.amdhsa_float_round_mode_32 0
		.amdhsa_float_round_mode_16_64 0
		.amdhsa_float_denorm_mode_32 3
		.amdhsa_float_denorm_mode_16_64 3
		.amdhsa_dx10_clamp 1
		.amdhsa_ieee_mode 1
		.amdhsa_fp16_overflow 0
		.amdhsa_workgroup_processor_mode 1
		.amdhsa_memory_ordered 1
		.amdhsa_forward_progress 1
		.amdhsa_shared_vgpr_count 0
		.amdhsa_exception_fp_ieee_invalid_op 0
		.amdhsa_exception_fp_denorm_src 0
		.amdhsa_exception_fp_ieee_div_zero 0
		.amdhsa_exception_fp_ieee_overflow 0
		.amdhsa_exception_fp_ieee_underflow 0
		.amdhsa_exception_fp_ieee_inexact 0
		.amdhsa_exception_int_div_zero 0
	.end_amdhsa_kernel
	.section	.text._ZN7rocprim17ROCPRIM_400000_NS6detail17trampoline_kernelINS0_14default_configENS1_38merge_sort_block_merge_config_selectorItNS0_10empty_typeEEEZZNS1_27merge_sort_block_merge_implIS3_N6thrust23THRUST_200600_302600_NS6detail15normal_iteratorINS9_10device_ptrItEEEEPS5_m9comp_mod3ItEEE10hipError_tT0_T1_T2_jT3_P12ihipStream_tbPNSt15iterator_traitsISJ_E10value_typeEPNSP_ISK_E10value_typeEPSL_NS1_7vsmem_tEENKUlT_SJ_SK_SL_E_clISE_PtSF_SF_EESI_SY_SJ_SK_SL_EUlSY_E1_NS1_11comp_targetILNS1_3genE10ELNS1_11target_archE1201ELNS1_3gpuE5ELNS1_3repE0EEENS1_36merge_oddeven_config_static_selectorELNS0_4arch9wavefront6targetE0EEEvSK_,"axG",@progbits,_ZN7rocprim17ROCPRIM_400000_NS6detail17trampoline_kernelINS0_14default_configENS1_38merge_sort_block_merge_config_selectorItNS0_10empty_typeEEEZZNS1_27merge_sort_block_merge_implIS3_N6thrust23THRUST_200600_302600_NS6detail15normal_iteratorINS9_10device_ptrItEEEEPS5_m9comp_mod3ItEEE10hipError_tT0_T1_T2_jT3_P12ihipStream_tbPNSt15iterator_traitsISJ_E10value_typeEPNSP_ISK_E10value_typeEPSL_NS1_7vsmem_tEENKUlT_SJ_SK_SL_E_clISE_PtSF_SF_EESI_SY_SJ_SK_SL_EUlSY_E1_NS1_11comp_targetILNS1_3genE10ELNS1_11target_archE1201ELNS1_3gpuE5ELNS1_3repE0EEENS1_36merge_oddeven_config_static_selectorELNS0_4arch9wavefront6targetE0EEEvSK_,comdat
.Lfunc_end915:
	.size	_ZN7rocprim17ROCPRIM_400000_NS6detail17trampoline_kernelINS0_14default_configENS1_38merge_sort_block_merge_config_selectorItNS0_10empty_typeEEEZZNS1_27merge_sort_block_merge_implIS3_N6thrust23THRUST_200600_302600_NS6detail15normal_iteratorINS9_10device_ptrItEEEEPS5_m9comp_mod3ItEEE10hipError_tT0_T1_T2_jT3_P12ihipStream_tbPNSt15iterator_traitsISJ_E10value_typeEPNSP_ISK_E10value_typeEPSL_NS1_7vsmem_tEENKUlT_SJ_SK_SL_E_clISE_PtSF_SF_EESI_SY_SJ_SK_SL_EUlSY_E1_NS1_11comp_targetILNS1_3genE10ELNS1_11target_archE1201ELNS1_3gpuE5ELNS1_3repE0EEENS1_36merge_oddeven_config_static_selectorELNS0_4arch9wavefront6targetE0EEEvSK_, .Lfunc_end915-_ZN7rocprim17ROCPRIM_400000_NS6detail17trampoline_kernelINS0_14default_configENS1_38merge_sort_block_merge_config_selectorItNS0_10empty_typeEEEZZNS1_27merge_sort_block_merge_implIS3_N6thrust23THRUST_200600_302600_NS6detail15normal_iteratorINS9_10device_ptrItEEEEPS5_m9comp_mod3ItEEE10hipError_tT0_T1_T2_jT3_P12ihipStream_tbPNSt15iterator_traitsISJ_E10value_typeEPNSP_ISK_E10value_typeEPSL_NS1_7vsmem_tEENKUlT_SJ_SK_SL_E_clISE_PtSF_SF_EESI_SY_SJ_SK_SL_EUlSY_E1_NS1_11comp_targetILNS1_3genE10ELNS1_11target_archE1201ELNS1_3gpuE5ELNS1_3repE0EEENS1_36merge_oddeven_config_static_selectorELNS0_4arch9wavefront6targetE0EEEvSK_
                                        ; -- End function
	.set _ZN7rocprim17ROCPRIM_400000_NS6detail17trampoline_kernelINS0_14default_configENS1_38merge_sort_block_merge_config_selectorItNS0_10empty_typeEEEZZNS1_27merge_sort_block_merge_implIS3_N6thrust23THRUST_200600_302600_NS6detail15normal_iteratorINS9_10device_ptrItEEEEPS5_m9comp_mod3ItEEE10hipError_tT0_T1_T2_jT3_P12ihipStream_tbPNSt15iterator_traitsISJ_E10value_typeEPNSP_ISK_E10value_typeEPSL_NS1_7vsmem_tEENKUlT_SJ_SK_SL_E_clISE_PtSF_SF_EESI_SY_SJ_SK_SL_EUlSY_E1_NS1_11comp_targetILNS1_3genE10ELNS1_11target_archE1201ELNS1_3gpuE5ELNS1_3repE0EEENS1_36merge_oddeven_config_static_selectorELNS0_4arch9wavefront6targetE0EEEvSK_.num_vgpr, 0
	.set _ZN7rocprim17ROCPRIM_400000_NS6detail17trampoline_kernelINS0_14default_configENS1_38merge_sort_block_merge_config_selectorItNS0_10empty_typeEEEZZNS1_27merge_sort_block_merge_implIS3_N6thrust23THRUST_200600_302600_NS6detail15normal_iteratorINS9_10device_ptrItEEEEPS5_m9comp_mod3ItEEE10hipError_tT0_T1_T2_jT3_P12ihipStream_tbPNSt15iterator_traitsISJ_E10value_typeEPNSP_ISK_E10value_typeEPSL_NS1_7vsmem_tEENKUlT_SJ_SK_SL_E_clISE_PtSF_SF_EESI_SY_SJ_SK_SL_EUlSY_E1_NS1_11comp_targetILNS1_3genE10ELNS1_11target_archE1201ELNS1_3gpuE5ELNS1_3repE0EEENS1_36merge_oddeven_config_static_selectorELNS0_4arch9wavefront6targetE0EEEvSK_.num_agpr, 0
	.set _ZN7rocprim17ROCPRIM_400000_NS6detail17trampoline_kernelINS0_14default_configENS1_38merge_sort_block_merge_config_selectorItNS0_10empty_typeEEEZZNS1_27merge_sort_block_merge_implIS3_N6thrust23THRUST_200600_302600_NS6detail15normal_iteratorINS9_10device_ptrItEEEEPS5_m9comp_mod3ItEEE10hipError_tT0_T1_T2_jT3_P12ihipStream_tbPNSt15iterator_traitsISJ_E10value_typeEPNSP_ISK_E10value_typeEPSL_NS1_7vsmem_tEENKUlT_SJ_SK_SL_E_clISE_PtSF_SF_EESI_SY_SJ_SK_SL_EUlSY_E1_NS1_11comp_targetILNS1_3genE10ELNS1_11target_archE1201ELNS1_3gpuE5ELNS1_3repE0EEENS1_36merge_oddeven_config_static_selectorELNS0_4arch9wavefront6targetE0EEEvSK_.numbered_sgpr, 0
	.set _ZN7rocprim17ROCPRIM_400000_NS6detail17trampoline_kernelINS0_14default_configENS1_38merge_sort_block_merge_config_selectorItNS0_10empty_typeEEEZZNS1_27merge_sort_block_merge_implIS3_N6thrust23THRUST_200600_302600_NS6detail15normal_iteratorINS9_10device_ptrItEEEEPS5_m9comp_mod3ItEEE10hipError_tT0_T1_T2_jT3_P12ihipStream_tbPNSt15iterator_traitsISJ_E10value_typeEPNSP_ISK_E10value_typeEPSL_NS1_7vsmem_tEENKUlT_SJ_SK_SL_E_clISE_PtSF_SF_EESI_SY_SJ_SK_SL_EUlSY_E1_NS1_11comp_targetILNS1_3genE10ELNS1_11target_archE1201ELNS1_3gpuE5ELNS1_3repE0EEENS1_36merge_oddeven_config_static_selectorELNS0_4arch9wavefront6targetE0EEEvSK_.num_named_barrier, 0
	.set _ZN7rocprim17ROCPRIM_400000_NS6detail17trampoline_kernelINS0_14default_configENS1_38merge_sort_block_merge_config_selectorItNS0_10empty_typeEEEZZNS1_27merge_sort_block_merge_implIS3_N6thrust23THRUST_200600_302600_NS6detail15normal_iteratorINS9_10device_ptrItEEEEPS5_m9comp_mod3ItEEE10hipError_tT0_T1_T2_jT3_P12ihipStream_tbPNSt15iterator_traitsISJ_E10value_typeEPNSP_ISK_E10value_typeEPSL_NS1_7vsmem_tEENKUlT_SJ_SK_SL_E_clISE_PtSF_SF_EESI_SY_SJ_SK_SL_EUlSY_E1_NS1_11comp_targetILNS1_3genE10ELNS1_11target_archE1201ELNS1_3gpuE5ELNS1_3repE0EEENS1_36merge_oddeven_config_static_selectorELNS0_4arch9wavefront6targetE0EEEvSK_.private_seg_size, 0
	.set _ZN7rocprim17ROCPRIM_400000_NS6detail17trampoline_kernelINS0_14default_configENS1_38merge_sort_block_merge_config_selectorItNS0_10empty_typeEEEZZNS1_27merge_sort_block_merge_implIS3_N6thrust23THRUST_200600_302600_NS6detail15normal_iteratorINS9_10device_ptrItEEEEPS5_m9comp_mod3ItEEE10hipError_tT0_T1_T2_jT3_P12ihipStream_tbPNSt15iterator_traitsISJ_E10value_typeEPNSP_ISK_E10value_typeEPSL_NS1_7vsmem_tEENKUlT_SJ_SK_SL_E_clISE_PtSF_SF_EESI_SY_SJ_SK_SL_EUlSY_E1_NS1_11comp_targetILNS1_3genE10ELNS1_11target_archE1201ELNS1_3gpuE5ELNS1_3repE0EEENS1_36merge_oddeven_config_static_selectorELNS0_4arch9wavefront6targetE0EEEvSK_.uses_vcc, 0
	.set _ZN7rocprim17ROCPRIM_400000_NS6detail17trampoline_kernelINS0_14default_configENS1_38merge_sort_block_merge_config_selectorItNS0_10empty_typeEEEZZNS1_27merge_sort_block_merge_implIS3_N6thrust23THRUST_200600_302600_NS6detail15normal_iteratorINS9_10device_ptrItEEEEPS5_m9comp_mod3ItEEE10hipError_tT0_T1_T2_jT3_P12ihipStream_tbPNSt15iterator_traitsISJ_E10value_typeEPNSP_ISK_E10value_typeEPSL_NS1_7vsmem_tEENKUlT_SJ_SK_SL_E_clISE_PtSF_SF_EESI_SY_SJ_SK_SL_EUlSY_E1_NS1_11comp_targetILNS1_3genE10ELNS1_11target_archE1201ELNS1_3gpuE5ELNS1_3repE0EEENS1_36merge_oddeven_config_static_selectorELNS0_4arch9wavefront6targetE0EEEvSK_.uses_flat_scratch, 0
	.set _ZN7rocprim17ROCPRIM_400000_NS6detail17trampoline_kernelINS0_14default_configENS1_38merge_sort_block_merge_config_selectorItNS0_10empty_typeEEEZZNS1_27merge_sort_block_merge_implIS3_N6thrust23THRUST_200600_302600_NS6detail15normal_iteratorINS9_10device_ptrItEEEEPS5_m9comp_mod3ItEEE10hipError_tT0_T1_T2_jT3_P12ihipStream_tbPNSt15iterator_traitsISJ_E10value_typeEPNSP_ISK_E10value_typeEPSL_NS1_7vsmem_tEENKUlT_SJ_SK_SL_E_clISE_PtSF_SF_EESI_SY_SJ_SK_SL_EUlSY_E1_NS1_11comp_targetILNS1_3genE10ELNS1_11target_archE1201ELNS1_3gpuE5ELNS1_3repE0EEENS1_36merge_oddeven_config_static_selectorELNS0_4arch9wavefront6targetE0EEEvSK_.has_dyn_sized_stack, 0
	.set _ZN7rocprim17ROCPRIM_400000_NS6detail17trampoline_kernelINS0_14default_configENS1_38merge_sort_block_merge_config_selectorItNS0_10empty_typeEEEZZNS1_27merge_sort_block_merge_implIS3_N6thrust23THRUST_200600_302600_NS6detail15normal_iteratorINS9_10device_ptrItEEEEPS5_m9comp_mod3ItEEE10hipError_tT0_T1_T2_jT3_P12ihipStream_tbPNSt15iterator_traitsISJ_E10value_typeEPNSP_ISK_E10value_typeEPSL_NS1_7vsmem_tEENKUlT_SJ_SK_SL_E_clISE_PtSF_SF_EESI_SY_SJ_SK_SL_EUlSY_E1_NS1_11comp_targetILNS1_3genE10ELNS1_11target_archE1201ELNS1_3gpuE5ELNS1_3repE0EEENS1_36merge_oddeven_config_static_selectorELNS0_4arch9wavefront6targetE0EEEvSK_.has_recursion, 0
	.set _ZN7rocprim17ROCPRIM_400000_NS6detail17trampoline_kernelINS0_14default_configENS1_38merge_sort_block_merge_config_selectorItNS0_10empty_typeEEEZZNS1_27merge_sort_block_merge_implIS3_N6thrust23THRUST_200600_302600_NS6detail15normal_iteratorINS9_10device_ptrItEEEEPS5_m9comp_mod3ItEEE10hipError_tT0_T1_T2_jT3_P12ihipStream_tbPNSt15iterator_traitsISJ_E10value_typeEPNSP_ISK_E10value_typeEPSL_NS1_7vsmem_tEENKUlT_SJ_SK_SL_E_clISE_PtSF_SF_EESI_SY_SJ_SK_SL_EUlSY_E1_NS1_11comp_targetILNS1_3genE10ELNS1_11target_archE1201ELNS1_3gpuE5ELNS1_3repE0EEENS1_36merge_oddeven_config_static_selectorELNS0_4arch9wavefront6targetE0EEEvSK_.has_indirect_call, 0
	.section	.AMDGPU.csdata,"",@progbits
; Kernel info:
; codeLenInByte = 0
; TotalNumSgprs: 0
; NumVgprs: 0
; ScratchSize: 0
; MemoryBound: 0
; FloatMode: 240
; IeeeMode: 1
; LDSByteSize: 0 bytes/workgroup (compile time only)
; SGPRBlocks: 0
; VGPRBlocks: 0
; NumSGPRsForWavesPerEU: 1
; NumVGPRsForWavesPerEU: 1
; Occupancy: 16
; WaveLimiterHint : 0
; COMPUTE_PGM_RSRC2:SCRATCH_EN: 0
; COMPUTE_PGM_RSRC2:USER_SGPR: 6
; COMPUTE_PGM_RSRC2:TRAP_HANDLER: 0
; COMPUTE_PGM_RSRC2:TGID_X_EN: 1
; COMPUTE_PGM_RSRC2:TGID_Y_EN: 0
; COMPUTE_PGM_RSRC2:TGID_Z_EN: 0
; COMPUTE_PGM_RSRC2:TIDIG_COMP_CNT: 0
	.section	.text._ZN7rocprim17ROCPRIM_400000_NS6detail17trampoline_kernelINS0_14default_configENS1_38merge_sort_block_merge_config_selectorItNS0_10empty_typeEEEZZNS1_27merge_sort_block_merge_implIS3_N6thrust23THRUST_200600_302600_NS6detail15normal_iteratorINS9_10device_ptrItEEEEPS5_m9comp_mod3ItEEE10hipError_tT0_T1_T2_jT3_P12ihipStream_tbPNSt15iterator_traitsISJ_E10value_typeEPNSP_ISK_E10value_typeEPSL_NS1_7vsmem_tEENKUlT_SJ_SK_SL_E_clISE_PtSF_SF_EESI_SY_SJ_SK_SL_EUlSY_E1_NS1_11comp_targetILNS1_3genE5ELNS1_11target_archE942ELNS1_3gpuE9ELNS1_3repE0EEENS1_36merge_oddeven_config_static_selectorELNS0_4arch9wavefront6targetE0EEEvSK_,"axG",@progbits,_ZN7rocprim17ROCPRIM_400000_NS6detail17trampoline_kernelINS0_14default_configENS1_38merge_sort_block_merge_config_selectorItNS0_10empty_typeEEEZZNS1_27merge_sort_block_merge_implIS3_N6thrust23THRUST_200600_302600_NS6detail15normal_iteratorINS9_10device_ptrItEEEEPS5_m9comp_mod3ItEEE10hipError_tT0_T1_T2_jT3_P12ihipStream_tbPNSt15iterator_traitsISJ_E10value_typeEPNSP_ISK_E10value_typeEPSL_NS1_7vsmem_tEENKUlT_SJ_SK_SL_E_clISE_PtSF_SF_EESI_SY_SJ_SK_SL_EUlSY_E1_NS1_11comp_targetILNS1_3genE5ELNS1_11target_archE942ELNS1_3gpuE9ELNS1_3repE0EEENS1_36merge_oddeven_config_static_selectorELNS0_4arch9wavefront6targetE0EEEvSK_,comdat
	.protected	_ZN7rocprim17ROCPRIM_400000_NS6detail17trampoline_kernelINS0_14default_configENS1_38merge_sort_block_merge_config_selectorItNS0_10empty_typeEEEZZNS1_27merge_sort_block_merge_implIS3_N6thrust23THRUST_200600_302600_NS6detail15normal_iteratorINS9_10device_ptrItEEEEPS5_m9comp_mod3ItEEE10hipError_tT0_T1_T2_jT3_P12ihipStream_tbPNSt15iterator_traitsISJ_E10value_typeEPNSP_ISK_E10value_typeEPSL_NS1_7vsmem_tEENKUlT_SJ_SK_SL_E_clISE_PtSF_SF_EESI_SY_SJ_SK_SL_EUlSY_E1_NS1_11comp_targetILNS1_3genE5ELNS1_11target_archE942ELNS1_3gpuE9ELNS1_3repE0EEENS1_36merge_oddeven_config_static_selectorELNS0_4arch9wavefront6targetE0EEEvSK_ ; -- Begin function _ZN7rocprim17ROCPRIM_400000_NS6detail17trampoline_kernelINS0_14default_configENS1_38merge_sort_block_merge_config_selectorItNS0_10empty_typeEEEZZNS1_27merge_sort_block_merge_implIS3_N6thrust23THRUST_200600_302600_NS6detail15normal_iteratorINS9_10device_ptrItEEEEPS5_m9comp_mod3ItEEE10hipError_tT0_T1_T2_jT3_P12ihipStream_tbPNSt15iterator_traitsISJ_E10value_typeEPNSP_ISK_E10value_typeEPSL_NS1_7vsmem_tEENKUlT_SJ_SK_SL_E_clISE_PtSF_SF_EESI_SY_SJ_SK_SL_EUlSY_E1_NS1_11comp_targetILNS1_3genE5ELNS1_11target_archE942ELNS1_3gpuE9ELNS1_3repE0EEENS1_36merge_oddeven_config_static_selectorELNS0_4arch9wavefront6targetE0EEEvSK_
	.globl	_ZN7rocprim17ROCPRIM_400000_NS6detail17trampoline_kernelINS0_14default_configENS1_38merge_sort_block_merge_config_selectorItNS0_10empty_typeEEEZZNS1_27merge_sort_block_merge_implIS3_N6thrust23THRUST_200600_302600_NS6detail15normal_iteratorINS9_10device_ptrItEEEEPS5_m9comp_mod3ItEEE10hipError_tT0_T1_T2_jT3_P12ihipStream_tbPNSt15iterator_traitsISJ_E10value_typeEPNSP_ISK_E10value_typeEPSL_NS1_7vsmem_tEENKUlT_SJ_SK_SL_E_clISE_PtSF_SF_EESI_SY_SJ_SK_SL_EUlSY_E1_NS1_11comp_targetILNS1_3genE5ELNS1_11target_archE942ELNS1_3gpuE9ELNS1_3repE0EEENS1_36merge_oddeven_config_static_selectorELNS0_4arch9wavefront6targetE0EEEvSK_
	.p2align	8
	.type	_ZN7rocprim17ROCPRIM_400000_NS6detail17trampoline_kernelINS0_14default_configENS1_38merge_sort_block_merge_config_selectorItNS0_10empty_typeEEEZZNS1_27merge_sort_block_merge_implIS3_N6thrust23THRUST_200600_302600_NS6detail15normal_iteratorINS9_10device_ptrItEEEEPS5_m9comp_mod3ItEEE10hipError_tT0_T1_T2_jT3_P12ihipStream_tbPNSt15iterator_traitsISJ_E10value_typeEPNSP_ISK_E10value_typeEPSL_NS1_7vsmem_tEENKUlT_SJ_SK_SL_E_clISE_PtSF_SF_EESI_SY_SJ_SK_SL_EUlSY_E1_NS1_11comp_targetILNS1_3genE5ELNS1_11target_archE942ELNS1_3gpuE9ELNS1_3repE0EEENS1_36merge_oddeven_config_static_selectorELNS0_4arch9wavefront6targetE0EEEvSK_,@function
_ZN7rocprim17ROCPRIM_400000_NS6detail17trampoline_kernelINS0_14default_configENS1_38merge_sort_block_merge_config_selectorItNS0_10empty_typeEEEZZNS1_27merge_sort_block_merge_implIS3_N6thrust23THRUST_200600_302600_NS6detail15normal_iteratorINS9_10device_ptrItEEEEPS5_m9comp_mod3ItEEE10hipError_tT0_T1_T2_jT3_P12ihipStream_tbPNSt15iterator_traitsISJ_E10value_typeEPNSP_ISK_E10value_typeEPSL_NS1_7vsmem_tEENKUlT_SJ_SK_SL_E_clISE_PtSF_SF_EESI_SY_SJ_SK_SL_EUlSY_E1_NS1_11comp_targetILNS1_3genE5ELNS1_11target_archE942ELNS1_3gpuE9ELNS1_3repE0EEENS1_36merge_oddeven_config_static_selectorELNS0_4arch9wavefront6targetE0EEEvSK_: ; @_ZN7rocprim17ROCPRIM_400000_NS6detail17trampoline_kernelINS0_14default_configENS1_38merge_sort_block_merge_config_selectorItNS0_10empty_typeEEEZZNS1_27merge_sort_block_merge_implIS3_N6thrust23THRUST_200600_302600_NS6detail15normal_iteratorINS9_10device_ptrItEEEEPS5_m9comp_mod3ItEEE10hipError_tT0_T1_T2_jT3_P12ihipStream_tbPNSt15iterator_traitsISJ_E10value_typeEPNSP_ISK_E10value_typeEPSL_NS1_7vsmem_tEENKUlT_SJ_SK_SL_E_clISE_PtSF_SF_EESI_SY_SJ_SK_SL_EUlSY_E1_NS1_11comp_targetILNS1_3genE5ELNS1_11target_archE942ELNS1_3gpuE9ELNS1_3repE0EEENS1_36merge_oddeven_config_static_selectorELNS0_4arch9wavefront6targetE0EEEvSK_
; %bb.0:
	.section	.rodata,"a",@progbits
	.p2align	6, 0x0
	.amdhsa_kernel _ZN7rocprim17ROCPRIM_400000_NS6detail17trampoline_kernelINS0_14default_configENS1_38merge_sort_block_merge_config_selectorItNS0_10empty_typeEEEZZNS1_27merge_sort_block_merge_implIS3_N6thrust23THRUST_200600_302600_NS6detail15normal_iteratorINS9_10device_ptrItEEEEPS5_m9comp_mod3ItEEE10hipError_tT0_T1_T2_jT3_P12ihipStream_tbPNSt15iterator_traitsISJ_E10value_typeEPNSP_ISK_E10value_typeEPSL_NS1_7vsmem_tEENKUlT_SJ_SK_SL_E_clISE_PtSF_SF_EESI_SY_SJ_SK_SL_EUlSY_E1_NS1_11comp_targetILNS1_3genE5ELNS1_11target_archE942ELNS1_3gpuE9ELNS1_3repE0EEENS1_36merge_oddeven_config_static_selectorELNS0_4arch9wavefront6targetE0EEEvSK_
		.amdhsa_group_segment_fixed_size 0
		.amdhsa_private_segment_fixed_size 0
		.amdhsa_kernarg_size 56
		.amdhsa_user_sgpr_count 6
		.amdhsa_user_sgpr_private_segment_buffer 1
		.amdhsa_user_sgpr_dispatch_ptr 0
		.amdhsa_user_sgpr_queue_ptr 0
		.amdhsa_user_sgpr_kernarg_segment_ptr 1
		.amdhsa_user_sgpr_dispatch_id 0
		.amdhsa_user_sgpr_flat_scratch_init 0
		.amdhsa_user_sgpr_private_segment_size 0
		.amdhsa_wavefront_size32 1
		.amdhsa_uses_dynamic_stack 0
		.amdhsa_system_sgpr_private_segment_wavefront_offset 0
		.amdhsa_system_sgpr_workgroup_id_x 1
		.amdhsa_system_sgpr_workgroup_id_y 0
		.amdhsa_system_sgpr_workgroup_id_z 0
		.amdhsa_system_sgpr_workgroup_info 0
		.amdhsa_system_vgpr_workitem_id 0
		.amdhsa_next_free_vgpr 1
		.amdhsa_next_free_sgpr 1
		.amdhsa_reserve_vcc 0
		.amdhsa_reserve_flat_scratch 0
		.amdhsa_float_round_mode_32 0
		.amdhsa_float_round_mode_16_64 0
		.amdhsa_float_denorm_mode_32 3
		.amdhsa_float_denorm_mode_16_64 3
		.amdhsa_dx10_clamp 1
		.amdhsa_ieee_mode 1
		.amdhsa_fp16_overflow 0
		.amdhsa_workgroup_processor_mode 1
		.amdhsa_memory_ordered 1
		.amdhsa_forward_progress 1
		.amdhsa_shared_vgpr_count 0
		.amdhsa_exception_fp_ieee_invalid_op 0
		.amdhsa_exception_fp_denorm_src 0
		.amdhsa_exception_fp_ieee_div_zero 0
		.amdhsa_exception_fp_ieee_overflow 0
		.amdhsa_exception_fp_ieee_underflow 0
		.amdhsa_exception_fp_ieee_inexact 0
		.amdhsa_exception_int_div_zero 0
	.end_amdhsa_kernel
	.section	.text._ZN7rocprim17ROCPRIM_400000_NS6detail17trampoline_kernelINS0_14default_configENS1_38merge_sort_block_merge_config_selectorItNS0_10empty_typeEEEZZNS1_27merge_sort_block_merge_implIS3_N6thrust23THRUST_200600_302600_NS6detail15normal_iteratorINS9_10device_ptrItEEEEPS5_m9comp_mod3ItEEE10hipError_tT0_T1_T2_jT3_P12ihipStream_tbPNSt15iterator_traitsISJ_E10value_typeEPNSP_ISK_E10value_typeEPSL_NS1_7vsmem_tEENKUlT_SJ_SK_SL_E_clISE_PtSF_SF_EESI_SY_SJ_SK_SL_EUlSY_E1_NS1_11comp_targetILNS1_3genE5ELNS1_11target_archE942ELNS1_3gpuE9ELNS1_3repE0EEENS1_36merge_oddeven_config_static_selectorELNS0_4arch9wavefront6targetE0EEEvSK_,"axG",@progbits,_ZN7rocprim17ROCPRIM_400000_NS6detail17trampoline_kernelINS0_14default_configENS1_38merge_sort_block_merge_config_selectorItNS0_10empty_typeEEEZZNS1_27merge_sort_block_merge_implIS3_N6thrust23THRUST_200600_302600_NS6detail15normal_iteratorINS9_10device_ptrItEEEEPS5_m9comp_mod3ItEEE10hipError_tT0_T1_T2_jT3_P12ihipStream_tbPNSt15iterator_traitsISJ_E10value_typeEPNSP_ISK_E10value_typeEPSL_NS1_7vsmem_tEENKUlT_SJ_SK_SL_E_clISE_PtSF_SF_EESI_SY_SJ_SK_SL_EUlSY_E1_NS1_11comp_targetILNS1_3genE5ELNS1_11target_archE942ELNS1_3gpuE9ELNS1_3repE0EEENS1_36merge_oddeven_config_static_selectorELNS0_4arch9wavefront6targetE0EEEvSK_,comdat
.Lfunc_end916:
	.size	_ZN7rocprim17ROCPRIM_400000_NS6detail17trampoline_kernelINS0_14default_configENS1_38merge_sort_block_merge_config_selectorItNS0_10empty_typeEEEZZNS1_27merge_sort_block_merge_implIS3_N6thrust23THRUST_200600_302600_NS6detail15normal_iteratorINS9_10device_ptrItEEEEPS5_m9comp_mod3ItEEE10hipError_tT0_T1_T2_jT3_P12ihipStream_tbPNSt15iterator_traitsISJ_E10value_typeEPNSP_ISK_E10value_typeEPSL_NS1_7vsmem_tEENKUlT_SJ_SK_SL_E_clISE_PtSF_SF_EESI_SY_SJ_SK_SL_EUlSY_E1_NS1_11comp_targetILNS1_3genE5ELNS1_11target_archE942ELNS1_3gpuE9ELNS1_3repE0EEENS1_36merge_oddeven_config_static_selectorELNS0_4arch9wavefront6targetE0EEEvSK_, .Lfunc_end916-_ZN7rocprim17ROCPRIM_400000_NS6detail17trampoline_kernelINS0_14default_configENS1_38merge_sort_block_merge_config_selectorItNS0_10empty_typeEEEZZNS1_27merge_sort_block_merge_implIS3_N6thrust23THRUST_200600_302600_NS6detail15normal_iteratorINS9_10device_ptrItEEEEPS5_m9comp_mod3ItEEE10hipError_tT0_T1_T2_jT3_P12ihipStream_tbPNSt15iterator_traitsISJ_E10value_typeEPNSP_ISK_E10value_typeEPSL_NS1_7vsmem_tEENKUlT_SJ_SK_SL_E_clISE_PtSF_SF_EESI_SY_SJ_SK_SL_EUlSY_E1_NS1_11comp_targetILNS1_3genE5ELNS1_11target_archE942ELNS1_3gpuE9ELNS1_3repE0EEENS1_36merge_oddeven_config_static_selectorELNS0_4arch9wavefront6targetE0EEEvSK_
                                        ; -- End function
	.set _ZN7rocprim17ROCPRIM_400000_NS6detail17trampoline_kernelINS0_14default_configENS1_38merge_sort_block_merge_config_selectorItNS0_10empty_typeEEEZZNS1_27merge_sort_block_merge_implIS3_N6thrust23THRUST_200600_302600_NS6detail15normal_iteratorINS9_10device_ptrItEEEEPS5_m9comp_mod3ItEEE10hipError_tT0_T1_T2_jT3_P12ihipStream_tbPNSt15iterator_traitsISJ_E10value_typeEPNSP_ISK_E10value_typeEPSL_NS1_7vsmem_tEENKUlT_SJ_SK_SL_E_clISE_PtSF_SF_EESI_SY_SJ_SK_SL_EUlSY_E1_NS1_11comp_targetILNS1_3genE5ELNS1_11target_archE942ELNS1_3gpuE9ELNS1_3repE0EEENS1_36merge_oddeven_config_static_selectorELNS0_4arch9wavefront6targetE0EEEvSK_.num_vgpr, 0
	.set _ZN7rocprim17ROCPRIM_400000_NS6detail17trampoline_kernelINS0_14default_configENS1_38merge_sort_block_merge_config_selectorItNS0_10empty_typeEEEZZNS1_27merge_sort_block_merge_implIS3_N6thrust23THRUST_200600_302600_NS6detail15normal_iteratorINS9_10device_ptrItEEEEPS5_m9comp_mod3ItEEE10hipError_tT0_T1_T2_jT3_P12ihipStream_tbPNSt15iterator_traitsISJ_E10value_typeEPNSP_ISK_E10value_typeEPSL_NS1_7vsmem_tEENKUlT_SJ_SK_SL_E_clISE_PtSF_SF_EESI_SY_SJ_SK_SL_EUlSY_E1_NS1_11comp_targetILNS1_3genE5ELNS1_11target_archE942ELNS1_3gpuE9ELNS1_3repE0EEENS1_36merge_oddeven_config_static_selectorELNS0_4arch9wavefront6targetE0EEEvSK_.num_agpr, 0
	.set _ZN7rocprim17ROCPRIM_400000_NS6detail17trampoline_kernelINS0_14default_configENS1_38merge_sort_block_merge_config_selectorItNS0_10empty_typeEEEZZNS1_27merge_sort_block_merge_implIS3_N6thrust23THRUST_200600_302600_NS6detail15normal_iteratorINS9_10device_ptrItEEEEPS5_m9comp_mod3ItEEE10hipError_tT0_T1_T2_jT3_P12ihipStream_tbPNSt15iterator_traitsISJ_E10value_typeEPNSP_ISK_E10value_typeEPSL_NS1_7vsmem_tEENKUlT_SJ_SK_SL_E_clISE_PtSF_SF_EESI_SY_SJ_SK_SL_EUlSY_E1_NS1_11comp_targetILNS1_3genE5ELNS1_11target_archE942ELNS1_3gpuE9ELNS1_3repE0EEENS1_36merge_oddeven_config_static_selectorELNS0_4arch9wavefront6targetE0EEEvSK_.numbered_sgpr, 0
	.set _ZN7rocprim17ROCPRIM_400000_NS6detail17trampoline_kernelINS0_14default_configENS1_38merge_sort_block_merge_config_selectorItNS0_10empty_typeEEEZZNS1_27merge_sort_block_merge_implIS3_N6thrust23THRUST_200600_302600_NS6detail15normal_iteratorINS9_10device_ptrItEEEEPS5_m9comp_mod3ItEEE10hipError_tT0_T1_T2_jT3_P12ihipStream_tbPNSt15iterator_traitsISJ_E10value_typeEPNSP_ISK_E10value_typeEPSL_NS1_7vsmem_tEENKUlT_SJ_SK_SL_E_clISE_PtSF_SF_EESI_SY_SJ_SK_SL_EUlSY_E1_NS1_11comp_targetILNS1_3genE5ELNS1_11target_archE942ELNS1_3gpuE9ELNS1_3repE0EEENS1_36merge_oddeven_config_static_selectorELNS0_4arch9wavefront6targetE0EEEvSK_.num_named_barrier, 0
	.set _ZN7rocprim17ROCPRIM_400000_NS6detail17trampoline_kernelINS0_14default_configENS1_38merge_sort_block_merge_config_selectorItNS0_10empty_typeEEEZZNS1_27merge_sort_block_merge_implIS3_N6thrust23THRUST_200600_302600_NS6detail15normal_iteratorINS9_10device_ptrItEEEEPS5_m9comp_mod3ItEEE10hipError_tT0_T1_T2_jT3_P12ihipStream_tbPNSt15iterator_traitsISJ_E10value_typeEPNSP_ISK_E10value_typeEPSL_NS1_7vsmem_tEENKUlT_SJ_SK_SL_E_clISE_PtSF_SF_EESI_SY_SJ_SK_SL_EUlSY_E1_NS1_11comp_targetILNS1_3genE5ELNS1_11target_archE942ELNS1_3gpuE9ELNS1_3repE0EEENS1_36merge_oddeven_config_static_selectorELNS0_4arch9wavefront6targetE0EEEvSK_.private_seg_size, 0
	.set _ZN7rocprim17ROCPRIM_400000_NS6detail17trampoline_kernelINS0_14default_configENS1_38merge_sort_block_merge_config_selectorItNS0_10empty_typeEEEZZNS1_27merge_sort_block_merge_implIS3_N6thrust23THRUST_200600_302600_NS6detail15normal_iteratorINS9_10device_ptrItEEEEPS5_m9comp_mod3ItEEE10hipError_tT0_T1_T2_jT3_P12ihipStream_tbPNSt15iterator_traitsISJ_E10value_typeEPNSP_ISK_E10value_typeEPSL_NS1_7vsmem_tEENKUlT_SJ_SK_SL_E_clISE_PtSF_SF_EESI_SY_SJ_SK_SL_EUlSY_E1_NS1_11comp_targetILNS1_3genE5ELNS1_11target_archE942ELNS1_3gpuE9ELNS1_3repE0EEENS1_36merge_oddeven_config_static_selectorELNS0_4arch9wavefront6targetE0EEEvSK_.uses_vcc, 0
	.set _ZN7rocprim17ROCPRIM_400000_NS6detail17trampoline_kernelINS0_14default_configENS1_38merge_sort_block_merge_config_selectorItNS0_10empty_typeEEEZZNS1_27merge_sort_block_merge_implIS3_N6thrust23THRUST_200600_302600_NS6detail15normal_iteratorINS9_10device_ptrItEEEEPS5_m9comp_mod3ItEEE10hipError_tT0_T1_T2_jT3_P12ihipStream_tbPNSt15iterator_traitsISJ_E10value_typeEPNSP_ISK_E10value_typeEPSL_NS1_7vsmem_tEENKUlT_SJ_SK_SL_E_clISE_PtSF_SF_EESI_SY_SJ_SK_SL_EUlSY_E1_NS1_11comp_targetILNS1_3genE5ELNS1_11target_archE942ELNS1_3gpuE9ELNS1_3repE0EEENS1_36merge_oddeven_config_static_selectorELNS0_4arch9wavefront6targetE0EEEvSK_.uses_flat_scratch, 0
	.set _ZN7rocprim17ROCPRIM_400000_NS6detail17trampoline_kernelINS0_14default_configENS1_38merge_sort_block_merge_config_selectorItNS0_10empty_typeEEEZZNS1_27merge_sort_block_merge_implIS3_N6thrust23THRUST_200600_302600_NS6detail15normal_iteratorINS9_10device_ptrItEEEEPS5_m9comp_mod3ItEEE10hipError_tT0_T1_T2_jT3_P12ihipStream_tbPNSt15iterator_traitsISJ_E10value_typeEPNSP_ISK_E10value_typeEPSL_NS1_7vsmem_tEENKUlT_SJ_SK_SL_E_clISE_PtSF_SF_EESI_SY_SJ_SK_SL_EUlSY_E1_NS1_11comp_targetILNS1_3genE5ELNS1_11target_archE942ELNS1_3gpuE9ELNS1_3repE0EEENS1_36merge_oddeven_config_static_selectorELNS0_4arch9wavefront6targetE0EEEvSK_.has_dyn_sized_stack, 0
	.set _ZN7rocprim17ROCPRIM_400000_NS6detail17trampoline_kernelINS0_14default_configENS1_38merge_sort_block_merge_config_selectorItNS0_10empty_typeEEEZZNS1_27merge_sort_block_merge_implIS3_N6thrust23THRUST_200600_302600_NS6detail15normal_iteratorINS9_10device_ptrItEEEEPS5_m9comp_mod3ItEEE10hipError_tT0_T1_T2_jT3_P12ihipStream_tbPNSt15iterator_traitsISJ_E10value_typeEPNSP_ISK_E10value_typeEPSL_NS1_7vsmem_tEENKUlT_SJ_SK_SL_E_clISE_PtSF_SF_EESI_SY_SJ_SK_SL_EUlSY_E1_NS1_11comp_targetILNS1_3genE5ELNS1_11target_archE942ELNS1_3gpuE9ELNS1_3repE0EEENS1_36merge_oddeven_config_static_selectorELNS0_4arch9wavefront6targetE0EEEvSK_.has_recursion, 0
	.set _ZN7rocprim17ROCPRIM_400000_NS6detail17trampoline_kernelINS0_14default_configENS1_38merge_sort_block_merge_config_selectorItNS0_10empty_typeEEEZZNS1_27merge_sort_block_merge_implIS3_N6thrust23THRUST_200600_302600_NS6detail15normal_iteratorINS9_10device_ptrItEEEEPS5_m9comp_mod3ItEEE10hipError_tT0_T1_T2_jT3_P12ihipStream_tbPNSt15iterator_traitsISJ_E10value_typeEPNSP_ISK_E10value_typeEPSL_NS1_7vsmem_tEENKUlT_SJ_SK_SL_E_clISE_PtSF_SF_EESI_SY_SJ_SK_SL_EUlSY_E1_NS1_11comp_targetILNS1_3genE5ELNS1_11target_archE942ELNS1_3gpuE9ELNS1_3repE0EEENS1_36merge_oddeven_config_static_selectorELNS0_4arch9wavefront6targetE0EEEvSK_.has_indirect_call, 0
	.section	.AMDGPU.csdata,"",@progbits
; Kernel info:
; codeLenInByte = 0
; TotalNumSgprs: 0
; NumVgprs: 0
; ScratchSize: 0
; MemoryBound: 0
; FloatMode: 240
; IeeeMode: 1
; LDSByteSize: 0 bytes/workgroup (compile time only)
; SGPRBlocks: 0
; VGPRBlocks: 0
; NumSGPRsForWavesPerEU: 1
; NumVGPRsForWavesPerEU: 1
; Occupancy: 16
; WaveLimiterHint : 0
; COMPUTE_PGM_RSRC2:SCRATCH_EN: 0
; COMPUTE_PGM_RSRC2:USER_SGPR: 6
; COMPUTE_PGM_RSRC2:TRAP_HANDLER: 0
; COMPUTE_PGM_RSRC2:TGID_X_EN: 1
; COMPUTE_PGM_RSRC2:TGID_Y_EN: 0
; COMPUTE_PGM_RSRC2:TGID_Z_EN: 0
; COMPUTE_PGM_RSRC2:TIDIG_COMP_CNT: 0
	.section	.text._ZN7rocprim17ROCPRIM_400000_NS6detail17trampoline_kernelINS0_14default_configENS1_38merge_sort_block_merge_config_selectorItNS0_10empty_typeEEEZZNS1_27merge_sort_block_merge_implIS3_N6thrust23THRUST_200600_302600_NS6detail15normal_iteratorINS9_10device_ptrItEEEEPS5_m9comp_mod3ItEEE10hipError_tT0_T1_T2_jT3_P12ihipStream_tbPNSt15iterator_traitsISJ_E10value_typeEPNSP_ISK_E10value_typeEPSL_NS1_7vsmem_tEENKUlT_SJ_SK_SL_E_clISE_PtSF_SF_EESI_SY_SJ_SK_SL_EUlSY_E1_NS1_11comp_targetILNS1_3genE4ELNS1_11target_archE910ELNS1_3gpuE8ELNS1_3repE0EEENS1_36merge_oddeven_config_static_selectorELNS0_4arch9wavefront6targetE0EEEvSK_,"axG",@progbits,_ZN7rocprim17ROCPRIM_400000_NS6detail17trampoline_kernelINS0_14default_configENS1_38merge_sort_block_merge_config_selectorItNS0_10empty_typeEEEZZNS1_27merge_sort_block_merge_implIS3_N6thrust23THRUST_200600_302600_NS6detail15normal_iteratorINS9_10device_ptrItEEEEPS5_m9comp_mod3ItEEE10hipError_tT0_T1_T2_jT3_P12ihipStream_tbPNSt15iterator_traitsISJ_E10value_typeEPNSP_ISK_E10value_typeEPSL_NS1_7vsmem_tEENKUlT_SJ_SK_SL_E_clISE_PtSF_SF_EESI_SY_SJ_SK_SL_EUlSY_E1_NS1_11comp_targetILNS1_3genE4ELNS1_11target_archE910ELNS1_3gpuE8ELNS1_3repE0EEENS1_36merge_oddeven_config_static_selectorELNS0_4arch9wavefront6targetE0EEEvSK_,comdat
	.protected	_ZN7rocprim17ROCPRIM_400000_NS6detail17trampoline_kernelINS0_14default_configENS1_38merge_sort_block_merge_config_selectorItNS0_10empty_typeEEEZZNS1_27merge_sort_block_merge_implIS3_N6thrust23THRUST_200600_302600_NS6detail15normal_iteratorINS9_10device_ptrItEEEEPS5_m9comp_mod3ItEEE10hipError_tT0_T1_T2_jT3_P12ihipStream_tbPNSt15iterator_traitsISJ_E10value_typeEPNSP_ISK_E10value_typeEPSL_NS1_7vsmem_tEENKUlT_SJ_SK_SL_E_clISE_PtSF_SF_EESI_SY_SJ_SK_SL_EUlSY_E1_NS1_11comp_targetILNS1_3genE4ELNS1_11target_archE910ELNS1_3gpuE8ELNS1_3repE0EEENS1_36merge_oddeven_config_static_selectorELNS0_4arch9wavefront6targetE0EEEvSK_ ; -- Begin function _ZN7rocprim17ROCPRIM_400000_NS6detail17trampoline_kernelINS0_14default_configENS1_38merge_sort_block_merge_config_selectorItNS0_10empty_typeEEEZZNS1_27merge_sort_block_merge_implIS3_N6thrust23THRUST_200600_302600_NS6detail15normal_iteratorINS9_10device_ptrItEEEEPS5_m9comp_mod3ItEEE10hipError_tT0_T1_T2_jT3_P12ihipStream_tbPNSt15iterator_traitsISJ_E10value_typeEPNSP_ISK_E10value_typeEPSL_NS1_7vsmem_tEENKUlT_SJ_SK_SL_E_clISE_PtSF_SF_EESI_SY_SJ_SK_SL_EUlSY_E1_NS1_11comp_targetILNS1_3genE4ELNS1_11target_archE910ELNS1_3gpuE8ELNS1_3repE0EEENS1_36merge_oddeven_config_static_selectorELNS0_4arch9wavefront6targetE0EEEvSK_
	.globl	_ZN7rocprim17ROCPRIM_400000_NS6detail17trampoline_kernelINS0_14default_configENS1_38merge_sort_block_merge_config_selectorItNS0_10empty_typeEEEZZNS1_27merge_sort_block_merge_implIS3_N6thrust23THRUST_200600_302600_NS6detail15normal_iteratorINS9_10device_ptrItEEEEPS5_m9comp_mod3ItEEE10hipError_tT0_T1_T2_jT3_P12ihipStream_tbPNSt15iterator_traitsISJ_E10value_typeEPNSP_ISK_E10value_typeEPSL_NS1_7vsmem_tEENKUlT_SJ_SK_SL_E_clISE_PtSF_SF_EESI_SY_SJ_SK_SL_EUlSY_E1_NS1_11comp_targetILNS1_3genE4ELNS1_11target_archE910ELNS1_3gpuE8ELNS1_3repE0EEENS1_36merge_oddeven_config_static_selectorELNS0_4arch9wavefront6targetE0EEEvSK_
	.p2align	8
	.type	_ZN7rocprim17ROCPRIM_400000_NS6detail17trampoline_kernelINS0_14default_configENS1_38merge_sort_block_merge_config_selectorItNS0_10empty_typeEEEZZNS1_27merge_sort_block_merge_implIS3_N6thrust23THRUST_200600_302600_NS6detail15normal_iteratorINS9_10device_ptrItEEEEPS5_m9comp_mod3ItEEE10hipError_tT0_T1_T2_jT3_P12ihipStream_tbPNSt15iterator_traitsISJ_E10value_typeEPNSP_ISK_E10value_typeEPSL_NS1_7vsmem_tEENKUlT_SJ_SK_SL_E_clISE_PtSF_SF_EESI_SY_SJ_SK_SL_EUlSY_E1_NS1_11comp_targetILNS1_3genE4ELNS1_11target_archE910ELNS1_3gpuE8ELNS1_3repE0EEENS1_36merge_oddeven_config_static_selectorELNS0_4arch9wavefront6targetE0EEEvSK_,@function
_ZN7rocprim17ROCPRIM_400000_NS6detail17trampoline_kernelINS0_14default_configENS1_38merge_sort_block_merge_config_selectorItNS0_10empty_typeEEEZZNS1_27merge_sort_block_merge_implIS3_N6thrust23THRUST_200600_302600_NS6detail15normal_iteratorINS9_10device_ptrItEEEEPS5_m9comp_mod3ItEEE10hipError_tT0_T1_T2_jT3_P12ihipStream_tbPNSt15iterator_traitsISJ_E10value_typeEPNSP_ISK_E10value_typeEPSL_NS1_7vsmem_tEENKUlT_SJ_SK_SL_E_clISE_PtSF_SF_EESI_SY_SJ_SK_SL_EUlSY_E1_NS1_11comp_targetILNS1_3genE4ELNS1_11target_archE910ELNS1_3gpuE8ELNS1_3repE0EEENS1_36merge_oddeven_config_static_selectorELNS0_4arch9wavefront6targetE0EEEvSK_: ; @_ZN7rocprim17ROCPRIM_400000_NS6detail17trampoline_kernelINS0_14default_configENS1_38merge_sort_block_merge_config_selectorItNS0_10empty_typeEEEZZNS1_27merge_sort_block_merge_implIS3_N6thrust23THRUST_200600_302600_NS6detail15normal_iteratorINS9_10device_ptrItEEEEPS5_m9comp_mod3ItEEE10hipError_tT0_T1_T2_jT3_P12ihipStream_tbPNSt15iterator_traitsISJ_E10value_typeEPNSP_ISK_E10value_typeEPSL_NS1_7vsmem_tEENKUlT_SJ_SK_SL_E_clISE_PtSF_SF_EESI_SY_SJ_SK_SL_EUlSY_E1_NS1_11comp_targetILNS1_3genE4ELNS1_11target_archE910ELNS1_3gpuE8ELNS1_3repE0EEENS1_36merge_oddeven_config_static_selectorELNS0_4arch9wavefront6targetE0EEEvSK_
; %bb.0:
	.section	.rodata,"a",@progbits
	.p2align	6, 0x0
	.amdhsa_kernel _ZN7rocprim17ROCPRIM_400000_NS6detail17trampoline_kernelINS0_14default_configENS1_38merge_sort_block_merge_config_selectorItNS0_10empty_typeEEEZZNS1_27merge_sort_block_merge_implIS3_N6thrust23THRUST_200600_302600_NS6detail15normal_iteratorINS9_10device_ptrItEEEEPS5_m9comp_mod3ItEEE10hipError_tT0_T1_T2_jT3_P12ihipStream_tbPNSt15iterator_traitsISJ_E10value_typeEPNSP_ISK_E10value_typeEPSL_NS1_7vsmem_tEENKUlT_SJ_SK_SL_E_clISE_PtSF_SF_EESI_SY_SJ_SK_SL_EUlSY_E1_NS1_11comp_targetILNS1_3genE4ELNS1_11target_archE910ELNS1_3gpuE8ELNS1_3repE0EEENS1_36merge_oddeven_config_static_selectorELNS0_4arch9wavefront6targetE0EEEvSK_
		.amdhsa_group_segment_fixed_size 0
		.amdhsa_private_segment_fixed_size 0
		.amdhsa_kernarg_size 56
		.amdhsa_user_sgpr_count 6
		.amdhsa_user_sgpr_private_segment_buffer 1
		.amdhsa_user_sgpr_dispatch_ptr 0
		.amdhsa_user_sgpr_queue_ptr 0
		.amdhsa_user_sgpr_kernarg_segment_ptr 1
		.amdhsa_user_sgpr_dispatch_id 0
		.amdhsa_user_sgpr_flat_scratch_init 0
		.amdhsa_user_sgpr_private_segment_size 0
		.amdhsa_wavefront_size32 1
		.amdhsa_uses_dynamic_stack 0
		.amdhsa_system_sgpr_private_segment_wavefront_offset 0
		.amdhsa_system_sgpr_workgroup_id_x 1
		.amdhsa_system_sgpr_workgroup_id_y 0
		.amdhsa_system_sgpr_workgroup_id_z 0
		.amdhsa_system_sgpr_workgroup_info 0
		.amdhsa_system_vgpr_workitem_id 0
		.amdhsa_next_free_vgpr 1
		.amdhsa_next_free_sgpr 1
		.amdhsa_reserve_vcc 0
		.amdhsa_reserve_flat_scratch 0
		.amdhsa_float_round_mode_32 0
		.amdhsa_float_round_mode_16_64 0
		.amdhsa_float_denorm_mode_32 3
		.amdhsa_float_denorm_mode_16_64 3
		.amdhsa_dx10_clamp 1
		.amdhsa_ieee_mode 1
		.amdhsa_fp16_overflow 0
		.amdhsa_workgroup_processor_mode 1
		.amdhsa_memory_ordered 1
		.amdhsa_forward_progress 1
		.amdhsa_shared_vgpr_count 0
		.amdhsa_exception_fp_ieee_invalid_op 0
		.amdhsa_exception_fp_denorm_src 0
		.amdhsa_exception_fp_ieee_div_zero 0
		.amdhsa_exception_fp_ieee_overflow 0
		.amdhsa_exception_fp_ieee_underflow 0
		.amdhsa_exception_fp_ieee_inexact 0
		.amdhsa_exception_int_div_zero 0
	.end_amdhsa_kernel
	.section	.text._ZN7rocprim17ROCPRIM_400000_NS6detail17trampoline_kernelINS0_14default_configENS1_38merge_sort_block_merge_config_selectorItNS0_10empty_typeEEEZZNS1_27merge_sort_block_merge_implIS3_N6thrust23THRUST_200600_302600_NS6detail15normal_iteratorINS9_10device_ptrItEEEEPS5_m9comp_mod3ItEEE10hipError_tT0_T1_T2_jT3_P12ihipStream_tbPNSt15iterator_traitsISJ_E10value_typeEPNSP_ISK_E10value_typeEPSL_NS1_7vsmem_tEENKUlT_SJ_SK_SL_E_clISE_PtSF_SF_EESI_SY_SJ_SK_SL_EUlSY_E1_NS1_11comp_targetILNS1_3genE4ELNS1_11target_archE910ELNS1_3gpuE8ELNS1_3repE0EEENS1_36merge_oddeven_config_static_selectorELNS0_4arch9wavefront6targetE0EEEvSK_,"axG",@progbits,_ZN7rocprim17ROCPRIM_400000_NS6detail17trampoline_kernelINS0_14default_configENS1_38merge_sort_block_merge_config_selectorItNS0_10empty_typeEEEZZNS1_27merge_sort_block_merge_implIS3_N6thrust23THRUST_200600_302600_NS6detail15normal_iteratorINS9_10device_ptrItEEEEPS5_m9comp_mod3ItEEE10hipError_tT0_T1_T2_jT3_P12ihipStream_tbPNSt15iterator_traitsISJ_E10value_typeEPNSP_ISK_E10value_typeEPSL_NS1_7vsmem_tEENKUlT_SJ_SK_SL_E_clISE_PtSF_SF_EESI_SY_SJ_SK_SL_EUlSY_E1_NS1_11comp_targetILNS1_3genE4ELNS1_11target_archE910ELNS1_3gpuE8ELNS1_3repE0EEENS1_36merge_oddeven_config_static_selectorELNS0_4arch9wavefront6targetE0EEEvSK_,comdat
.Lfunc_end917:
	.size	_ZN7rocprim17ROCPRIM_400000_NS6detail17trampoline_kernelINS0_14default_configENS1_38merge_sort_block_merge_config_selectorItNS0_10empty_typeEEEZZNS1_27merge_sort_block_merge_implIS3_N6thrust23THRUST_200600_302600_NS6detail15normal_iteratorINS9_10device_ptrItEEEEPS5_m9comp_mod3ItEEE10hipError_tT0_T1_T2_jT3_P12ihipStream_tbPNSt15iterator_traitsISJ_E10value_typeEPNSP_ISK_E10value_typeEPSL_NS1_7vsmem_tEENKUlT_SJ_SK_SL_E_clISE_PtSF_SF_EESI_SY_SJ_SK_SL_EUlSY_E1_NS1_11comp_targetILNS1_3genE4ELNS1_11target_archE910ELNS1_3gpuE8ELNS1_3repE0EEENS1_36merge_oddeven_config_static_selectorELNS0_4arch9wavefront6targetE0EEEvSK_, .Lfunc_end917-_ZN7rocprim17ROCPRIM_400000_NS6detail17trampoline_kernelINS0_14default_configENS1_38merge_sort_block_merge_config_selectorItNS0_10empty_typeEEEZZNS1_27merge_sort_block_merge_implIS3_N6thrust23THRUST_200600_302600_NS6detail15normal_iteratorINS9_10device_ptrItEEEEPS5_m9comp_mod3ItEEE10hipError_tT0_T1_T2_jT3_P12ihipStream_tbPNSt15iterator_traitsISJ_E10value_typeEPNSP_ISK_E10value_typeEPSL_NS1_7vsmem_tEENKUlT_SJ_SK_SL_E_clISE_PtSF_SF_EESI_SY_SJ_SK_SL_EUlSY_E1_NS1_11comp_targetILNS1_3genE4ELNS1_11target_archE910ELNS1_3gpuE8ELNS1_3repE0EEENS1_36merge_oddeven_config_static_selectorELNS0_4arch9wavefront6targetE0EEEvSK_
                                        ; -- End function
	.set _ZN7rocprim17ROCPRIM_400000_NS6detail17trampoline_kernelINS0_14default_configENS1_38merge_sort_block_merge_config_selectorItNS0_10empty_typeEEEZZNS1_27merge_sort_block_merge_implIS3_N6thrust23THRUST_200600_302600_NS6detail15normal_iteratorINS9_10device_ptrItEEEEPS5_m9comp_mod3ItEEE10hipError_tT0_T1_T2_jT3_P12ihipStream_tbPNSt15iterator_traitsISJ_E10value_typeEPNSP_ISK_E10value_typeEPSL_NS1_7vsmem_tEENKUlT_SJ_SK_SL_E_clISE_PtSF_SF_EESI_SY_SJ_SK_SL_EUlSY_E1_NS1_11comp_targetILNS1_3genE4ELNS1_11target_archE910ELNS1_3gpuE8ELNS1_3repE0EEENS1_36merge_oddeven_config_static_selectorELNS0_4arch9wavefront6targetE0EEEvSK_.num_vgpr, 0
	.set _ZN7rocprim17ROCPRIM_400000_NS6detail17trampoline_kernelINS0_14default_configENS1_38merge_sort_block_merge_config_selectorItNS0_10empty_typeEEEZZNS1_27merge_sort_block_merge_implIS3_N6thrust23THRUST_200600_302600_NS6detail15normal_iteratorINS9_10device_ptrItEEEEPS5_m9comp_mod3ItEEE10hipError_tT0_T1_T2_jT3_P12ihipStream_tbPNSt15iterator_traitsISJ_E10value_typeEPNSP_ISK_E10value_typeEPSL_NS1_7vsmem_tEENKUlT_SJ_SK_SL_E_clISE_PtSF_SF_EESI_SY_SJ_SK_SL_EUlSY_E1_NS1_11comp_targetILNS1_3genE4ELNS1_11target_archE910ELNS1_3gpuE8ELNS1_3repE0EEENS1_36merge_oddeven_config_static_selectorELNS0_4arch9wavefront6targetE0EEEvSK_.num_agpr, 0
	.set _ZN7rocprim17ROCPRIM_400000_NS6detail17trampoline_kernelINS0_14default_configENS1_38merge_sort_block_merge_config_selectorItNS0_10empty_typeEEEZZNS1_27merge_sort_block_merge_implIS3_N6thrust23THRUST_200600_302600_NS6detail15normal_iteratorINS9_10device_ptrItEEEEPS5_m9comp_mod3ItEEE10hipError_tT0_T1_T2_jT3_P12ihipStream_tbPNSt15iterator_traitsISJ_E10value_typeEPNSP_ISK_E10value_typeEPSL_NS1_7vsmem_tEENKUlT_SJ_SK_SL_E_clISE_PtSF_SF_EESI_SY_SJ_SK_SL_EUlSY_E1_NS1_11comp_targetILNS1_3genE4ELNS1_11target_archE910ELNS1_3gpuE8ELNS1_3repE0EEENS1_36merge_oddeven_config_static_selectorELNS0_4arch9wavefront6targetE0EEEvSK_.numbered_sgpr, 0
	.set _ZN7rocprim17ROCPRIM_400000_NS6detail17trampoline_kernelINS0_14default_configENS1_38merge_sort_block_merge_config_selectorItNS0_10empty_typeEEEZZNS1_27merge_sort_block_merge_implIS3_N6thrust23THRUST_200600_302600_NS6detail15normal_iteratorINS9_10device_ptrItEEEEPS5_m9comp_mod3ItEEE10hipError_tT0_T1_T2_jT3_P12ihipStream_tbPNSt15iterator_traitsISJ_E10value_typeEPNSP_ISK_E10value_typeEPSL_NS1_7vsmem_tEENKUlT_SJ_SK_SL_E_clISE_PtSF_SF_EESI_SY_SJ_SK_SL_EUlSY_E1_NS1_11comp_targetILNS1_3genE4ELNS1_11target_archE910ELNS1_3gpuE8ELNS1_3repE0EEENS1_36merge_oddeven_config_static_selectorELNS0_4arch9wavefront6targetE0EEEvSK_.num_named_barrier, 0
	.set _ZN7rocprim17ROCPRIM_400000_NS6detail17trampoline_kernelINS0_14default_configENS1_38merge_sort_block_merge_config_selectorItNS0_10empty_typeEEEZZNS1_27merge_sort_block_merge_implIS3_N6thrust23THRUST_200600_302600_NS6detail15normal_iteratorINS9_10device_ptrItEEEEPS5_m9comp_mod3ItEEE10hipError_tT0_T1_T2_jT3_P12ihipStream_tbPNSt15iterator_traitsISJ_E10value_typeEPNSP_ISK_E10value_typeEPSL_NS1_7vsmem_tEENKUlT_SJ_SK_SL_E_clISE_PtSF_SF_EESI_SY_SJ_SK_SL_EUlSY_E1_NS1_11comp_targetILNS1_3genE4ELNS1_11target_archE910ELNS1_3gpuE8ELNS1_3repE0EEENS1_36merge_oddeven_config_static_selectorELNS0_4arch9wavefront6targetE0EEEvSK_.private_seg_size, 0
	.set _ZN7rocprim17ROCPRIM_400000_NS6detail17trampoline_kernelINS0_14default_configENS1_38merge_sort_block_merge_config_selectorItNS0_10empty_typeEEEZZNS1_27merge_sort_block_merge_implIS3_N6thrust23THRUST_200600_302600_NS6detail15normal_iteratorINS9_10device_ptrItEEEEPS5_m9comp_mod3ItEEE10hipError_tT0_T1_T2_jT3_P12ihipStream_tbPNSt15iterator_traitsISJ_E10value_typeEPNSP_ISK_E10value_typeEPSL_NS1_7vsmem_tEENKUlT_SJ_SK_SL_E_clISE_PtSF_SF_EESI_SY_SJ_SK_SL_EUlSY_E1_NS1_11comp_targetILNS1_3genE4ELNS1_11target_archE910ELNS1_3gpuE8ELNS1_3repE0EEENS1_36merge_oddeven_config_static_selectorELNS0_4arch9wavefront6targetE0EEEvSK_.uses_vcc, 0
	.set _ZN7rocprim17ROCPRIM_400000_NS6detail17trampoline_kernelINS0_14default_configENS1_38merge_sort_block_merge_config_selectorItNS0_10empty_typeEEEZZNS1_27merge_sort_block_merge_implIS3_N6thrust23THRUST_200600_302600_NS6detail15normal_iteratorINS9_10device_ptrItEEEEPS5_m9comp_mod3ItEEE10hipError_tT0_T1_T2_jT3_P12ihipStream_tbPNSt15iterator_traitsISJ_E10value_typeEPNSP_ISK_E10value_typeEPSL_NS1_7vsmem_tEENKUlT_SJ_SK_SL_E_clISE_PtSF_SF_EESI_SY_SJ_SK_SL_EUlSY_E1_NS1_11comp_targetILNS1_3genE4ELNS1_11target_archE910ELNS1_3gpuE8ELNS1_3repE0EEENS1_36merge_oddeven_config_static_selectorELNS0_4arch9wavefront6targetE0EEEvSK_.uses_flat_scratch, 0
	.set _ZN7rocprim17ROCPRIM_400000_NS6detail17trampoline_kernelINS0_14default_configENS1_38merge_sort_block_merge_config_selectorItNS0_10empty_typeEEEZZNS1_27merge_sort_block_merge_implIS3_N6thrust23THRUST_200600_302600_NS6detail15normal_iteratorINS9_10device_ptrItEEEEPS5_m9comp_mod3ItEEE10hipError_tT0_T1_T2_jT3_P12ihipStream_tbPNSt15iterator_traitsISJ_E10value_typeEPNSP_ISK_E10value_typeEPSL_NS1_7vsmem_tEENKUlT_SJ_SK_SL_E_clISE_PtSF_SF_EESI_SY_SJ_SK_SL_EUlSY_E1_NS1_11comp_targetILNS1_3genE4ELNS1_11target_archE910ELNS1_3gpuE8ELNS1_3repE0EEENS1_36merge_oddeven_config_static_selectorELNS0_4arch9wavefront6targetE0EEEvSK_.has_dyn_sized_stack, 0
	.set _ZN7rocprim17ROCPRIM_400000_NS6detail17trampoline_kernelINS0_14default_configENS1_38merge_sort_block_merge_config_selectorItNS0_10empty_typeEEEZZNS1_27merge_sort_block_merge_implIS3_N6thrust23THRUST_200600_302600_NS6detail15normal_iteratorINS9_10device_ptrItEEEEPS5_m9comp_mod3ItEEE10hipError_tT0_T1_T2_jT3_P12ihipStream_tbPNSt15iterator_traitsISJ_E10value_typeEPNSP_ISK_E10value_typeEPSL_NS1_7vsmem_tEENKUlT_SJ_SK_SL_E_clISE_PtSF_SF_EESI_SY_SJ_SK_SL_EUlSY_E1_NS1_11comp_targetILNS1_3genE4ELNS1_11target_archE910ELNS1_3gpuE8ELNS1_3repE0EEENS1_36merge_oddeven_config_static_selectorELNS0_4arch9wavefront6targetE0EEEvSK_.has_recursion, 0
	.set _ZN7rocprim17ROCPRIM_400000_NS6detail17trampoline_kernelINS0_14default_configENS1_38merge_sort_block_merge_config_selectorItNS0_10empty_typeEEEZZNS1_27merge_sort_block_merge_implIS3_N6thrust23THRUST_200600_302600_NS6detail15normal_iteratorINS9_10device_ptrItEEEEPS5_m9comp_mod3ItEEE10hipError_tT0_T1_T2_jT3_P12ihipStream_tbPNSt15iterator_traitsISJ_E10value_typeEPNSP_ISK_E10value_typeEPSL_NS1_7vsmem_tEENKUlT_SJ_SK_SL_E_clISE_PtSF_SF_EESI_SY_SJ_SK_SL_EUlSY_E1_NS1_11comp_targetILNS1_3genE4ELNS1_11target_archE910ELNS1_3gpuE8ELNS1_3repE0EEENS1_36merge_oddeven_config_static_selectorELNS0_4arch9wavefront6targetE0EEEvSK_.has_indirect_call, 0
	.section	.AMDGPU.csdata,"",@progbits
; Kernel info:
; codeLenInByte = 0
; TotalNumSgprs: 0
; NumVgprs: 0
; ScratchSize: 0
; MemoryBound: 0
; FloatMode: 240
; IeeeMode: 1
; LDSByteSize: 0 bytes/workgroup (compile time only)
; SGPRBlocks: 0
; VGPRBlocks: 0
; NumSGPRsForWavesPerEU: 1
; NumVGPRsForWavesPerEU: 1
; Occupancy: 16
; WaveLimiterHint : 0
; COMPUTE_PGM_RSRC2:SCRATCH_EN: 0
; COMPUTE_PGM_RSRC2:USER_SGPR: 6
; COMPUTE_PGM_RSRC2:TRAP_HANDLER: 0
; COMPUTE_PGM_RSRC2:TGID_X_EN: 1
; COMPUTE_PGM_RSRC2:TGID_Y_EN: 0
; COMPUTE_PGM_RSRC2:TGID_Z_EN: 0
; COMPUTE_PGM_RSRC2:TIDIG_COMP_CNT: 0
	.section	.text._ZN7rocprim17ROCPRIM_400000_NS6detail17trampoline_kernelINS0_14default_configENS1_38merge_sort_block_merge_config_selectorItNS0_10empty_typeEEEZZNS1_27merge_sort_block_merge_implIS3_N6thrust23THRUST_200600_302600_NS6detail15normal_iteratorINS9_10device_ptrItEEEEPS5_m9comp_mod3ItEEE10hipError_tT0_T1_T2_jT3_P12ihipStream_tbPNSt15iterator_traitsISJ_E10value_typeEPNSP_ISK_E10value_typeEPSL_NS1_7vsmem_tEENKUlT_SJ_SK_SL_E_clISE_PtSF_SF_EESI_SY_SJ_SK_SL_EUlSY_E1_NS1_11comp_targetILNS1_3genE3ELNS1_11target_archE908ELNS1_3gpuE7ELNS1_3repE0EEENS1_36merge_oddeven_config_static_selectorELNS0_4arch9wavefront6targetE0EEEvSK_,"axG",@progbits,_ZN7rocprim17ROCPRIM_400000_NS6detail17trampoline_kernelINS0_14default_configENS1_38merge_sort_block_merge_config_selectorItNS0_10empty_typeEEEZZNS1_27merge_sort_block_merge_implIS3_N6thrust23THRUST_200600_302600_NS6detail15normal_iteratorINS9_10device_ptrItEEEEPS5_m9comp_mod3ItEEE10hipError_tT0_T1_T2_jT3_P12ihipStream_tbPNSt15iterator_traitsISJ_E10value_typeEPNSP_ISK_E10value_typeEPSL_NS1_7vsmem_tEENKUlT_SJ_SK_SL_E_clISE_PtSF_SF_EESI_SY_SJ_SK_SL_EUlSY_E1_NS1_11comp_targetILNS1_3genE3ELNS1_11target_archE908ELNS1_3gpuE7ELNS1_3repE0EEENS1_36merge_oddeven_config_static_selectorELNS0_4arch9wavefront6targetE0EEEvSK_,comdat
	.protected	_ZN7rocprim17ROCPRIM_400000_NS6detail17trampoline_kernelINS0_14default_configENS1_38merge_sort_block_merge_config_selectorItNS0_10empty_typeEEEZZNS1_27merge_sort_block_merge_implIS3_N6thrust23THRUST_200600_302600_NS6detail15normal_iteratorINS9_10device_ptrItEEEEPS5_m9comp_mod3ItEEE10hipError_tT0_T1_T2_jT3_P12ihipStream_tbPNSt15iterator_traitsISJ_E10value_typeEPNSP_ISK_E10value_typeEPSL_NS1_7vsmem_tEENKUlT_SJ_SK_SL_E_clISE_PtSF_SF_EESI_SY_SJ_SK_SL_EUlSY_E1_NS1_11comp_targetILNS1_3genE3ELNS1_11target_archE908ELNS1_3gpuE7ELNS1_3repE0EEENS1_36merge_oddeven_config_static_selectorELNS0_4arch9wavefront6targetE0EEEvSK_ ; -- Begin function _ZN7rocprim17ROCPRIM_400000_NS6detail17trampoline_kernelINS0_14default_configENS1_38merge_sort_block_merge_config_selectorItNS0_10empty_typeEEEZZNS1_27merge_sort_block_merge_implIS3_N6thrust23THRUST_200600_302600_NS6detail15normal_iteratorINS9_10device_ptrItEEEEPS5_m9comp_mod3ItEEE10hipError_tT0_T1_T2_jT3_P12ihipStream_tbPNSt15iterator_traitsISJ_E10value_typeEPNSP_ISK_E10value_typeEPSL_NS1_7vsmem_tEENKUlT_SJ_SK_SL_E_clISE_PtSF_SF_EESI_SY_SJ_SK_SL_EUlSY_E1_NS1_11comp_targetILNS1_3genE3ELNS1_11target_archE908ELNS1_3gpuE7ELNS1_3repE0EEENS1_36merge_oddeven_config_static_selectorELNS0_4arch9wavefront6targetE0EEEvSK_
	.globl	_ZN7rocprim17ROCPRIM_400000_NS6detail17trampoline_kernelINS0_14default_configENS1_38merge_sort_block_merge_config_selectorItNS0_10empty_typeEEEZZNS1_27merge_sort_block_merge_implIS3_N6thrust23THRUST_200600_302600_NS6detail15normal_iteratorINS9_10device_ptrItEEEEPS5_m9comp_mod3ItEEE10hipError_tT0_T1_T2_jT3_P12ihipStream_tbPNSt15iterator_traitsISJ_E10value_typeEPNSP_ISK_E10value_typeEPSL_NS1_7vsmem_tEENKUlT_SJ_SK_SL_E_clISE_PtSF_SF_EESI_SY_SJ_SK_SL_EUlSY_E1_NS1_11comp_targetILNS1_3genE3ELNS1_11target_archE908ELNS1_3gpuE7ELNS1_3repE0EEENS1_36merge_oddeven_config_static_selectorELNS0_4arch9wavefront6targetE0EEEvSK_
	.p2align	8
	.type	_ZN7rocprim17ROCPRIM_400000_NS6detail17trampoline_kernelINS0_14default_configENS1_38merge_sort_block_merge_config_selectorItNS0_10empty_typeEEEZZNS1_27merge_sort_block_merge_implIS3_N6thrust23THRUST_200600_302600_NS6detail15normal_iteratorINS9_10device_ptrItEEEEPS5_m9comp_mod3ItEEE10hipError_tT0_T1_T2_jT3_P12ihipStream_tbPNSt15iterator_traitsISJ_E10value_typeEPNSP_ISK_E10value_typeEPSL_NS1_7vsmem_tEENKUlT_SJ_SK_SL_E_clISE_PtSF_SF_EESI_SY_SJ_SK_SL_EUlSY_E1_NS1_11comp_targetILNS1_3genE3ELNS1_11target_archE908ELNS1_3gpuE7ELNS1_3repE0EEENS1_36merge_oddeven_config_static_selectorELNS0_4arch9wavefront6targetE0EEEvSK_,@function
_ZN7rocprim17ROCPRIM_400000_NS6detail17trampoline_kernelINS0_14default_configENS1_38merge_sort_block_merge_config_selectorItNS0_10empty_typeEEEZZNS1_27merge_sort_block_merge_implIS3_N6thrust23THRUST_200600_302600_NS6detail15normal_iteratorINS9_10device_ptrItEEEEPS5_m9comp_mod3ItEEE10hipError_tT0_T1_T2_jT3_P12ihipStream_tbPNSt15iterator_traitsISJ_E10value_typeEPNSP_ISK_E10value_typeEPSL_NS1_7vsmem_tEENKUlT_SJ_SK_SL_E_clISE_PtSF_SF_EESI_SY_SJ_SK_SL_EUlSY_E1_NS1_11comp_targetILNS1_3genE3ELNS1_11target_archE908ELNS1_3gpuE7ELNS1_3repE0EEENS1_36merge_oddeven_config_static_selectorELNS0_4arch9wavefront6targetE0EEEvSK_: ; @_ZN7rocprim17ROCPRIM_400000_NS6detail17trampoline_kernelINS0_14default_configENS1_38merge_sort_block_merge_config_selectorItNS0_10empty_typeEEEZZNS1_27merge_sort_block_merge_implIS3_N6thrust23THRUST_200600_302600_NS6detail15normal_iteratorINS9_10device_ptrItEEEEPS5_m9comp_mod3ItEEE10hipError_tT0_T1_T2_jT3_P12ihipStream_tbPNSt15iterator_traitsISJ_E10value_typeEPNSP_ISK_E10value_typeEPSL_NS1_7vsmem_tEENKUlT_SJ_SK_SL_E_clISE_PtSF_SF_EESI_SY_SJ_SK_SL_EUlSY_E1_NS1_11comp_targetILNS1_3genE3ELNS1_11target_archE908ELNS1_3gpuE7ELNS1_3repE0EEENS1_36merge_oddeven_config_static_selectorELNS0_4arch9wavefront6targetE0EEEvSK_
; %bb.0:
	.section	.rodata,"a",@progbits
	.p2align	6, 0x0
	.amdhsa_kernel _ZN7rocprim17ROCPRIM_400000_NS6detail17trampoline_kernelINS0_14default_configENS1_38merge_sort_block_merge_config_selectorItNS0_10empty_typeEEEZZNS1_27merge_sort_block_merge_implIS3_N6thrust23THRUST_200600_302600_NS6detail15normal_iteratorINS9_10device_ptrItEEEEPS5_m9comp_mod3ItEEE10hipError_tT0_T1_T2_jT3_P12ihipStream_tbPNSt15iterator_traitsISJ_E10value_typeEPNSP_ISK_E10value_typeEPSL_NS1_7vsmem_tEENKUlT_SJ_SK_SL_E_clISE_PtSF_SF_EESI_SY_SJ_SK_SL_EUlSY_E1_NS1_11comp_targetILNS1_3genE3ELNS1_11target_archE908ELNS1_3gpuE7ELNS1_3repE0EEENS1_36merge_oddeven_config_static_selectorELNS0_4arch9wavefront6targetE0EEEvSK_
		.amdhsa_group_segment_fixed_size 0
		.amdhsa_private_segment_fixed_size 0
		.amdhsa_kernarg_size 56
		.amdhsa_user_sgpr_count 6
		.amdhsa_user_sgpr_private_segment_buffer 1
		.amdhsa_user_sgpr_dispatch_ptr 0
		.amdhsa_user_sgpr_queue_ptr 0
		.amdhsa_user_sgpr_kernarg_segment_ptr 1
		.amdhsa_user_sgpr_dispatch_id 0
		.amdhsa_user_sgpr_flat_scratch_init 0
		.amdhsa_user_sgpr_private_segment_size 0
		.amdhsa_wavefront_size32 1
		.amdhsa_uses_dynamic_stack 0
		.amdhsa_system_sgpr_private_segment_wavefront_offset 0
		.amdhsa_system_sgpr_workgroup_id_x 1
		.amdhsa_system_sgpr_workgroup_id_y 0
		.amdhsa_system_sgpr_workgroup_id_z 0
		.amdhsa_system_sgpr_workgroup_info 0
		.amdhsa_system_vgpr_workitem_id 0
		.amdhsa_next_free_vgpr 1
		.amdhsa_next_free_sgpr 1
		.amdhsa_reserve_vcc 0
		.amdhsa_reserve_flat_scratch 0
		.amdhsa_float_round_mode_32 0
		.amdhsa_float_round_mode_16_64 0
		.amdhsa_float_denorm_mode_32 3
		.amdhsa_float_denorm_mode_16_64 3
		.amdhsa_dx10_clamp 1
		.amdhsa_ieee_mode 1
		.amdhsa_fp16_overflow 0
		.amdhsa_workgroup_processor_mode 1
		.amdhsa_memory_ordered 1
		.amdhsa_forward_progress 1
		.amdhsa_shared_vgpr_count 0
		.amdhsa_exception_fp_ieee_invalid_op 0
		.amdhsa_exception_fp_denorm_src 0
		.amdhsa_exception_fp_ieee_div_zero 0
		.amdhsa_exception_fp_ieee_overflow 0
		.amdhsa_exception_fp_ieee_underflow 0
		.amdhsa_exception_fp_ieee_inexact 0
		.amdhsa_exception_int_div_zero 0
	.end_amdhsa_kernel
	.section	.text._ZN7rocprim17ROCPRIM_400000_NS6detail17trampoline_kernelINS0_14default_configENS1_38merge_sort_block_merge_config_selectorItNS0_10empty_typeEEEZZNS1_27merge_sort_block_merge_implIS3_N6thrust23THRUST_200600_302600_NS6detail15normal_iteratorINS9_10device_ptrItEEEEPS5_m9comp_mod3ItEEE10hipError_tT0_T1_T2_jT3_P12ihipStream_tbPNSt15iterator_traitsISJ_E10value_typeEPNSP_ISK_E10value_typeEPSL_NS1_7vsmem_tEENKUlT_SJ_SK_SL_E_clISE_PtSF_SF_EESI_SY_SJ_SK_SL_EUlSY_E1_NS1_11comp_targetILNS1_3genE3ELNS1_11target_archE908ELNS1_3gpuE7ELNS1_3repE0EEENS1_36merge_oddeven_config_static_selectorELNS0_4arch9wavefront6targetE0EEEvSK_,"axG",@progbits,_ZN7rocprim17ROCPRIM_400000_NS6detail17trampoline_kernelINS0_14default_configENS1_38merge_sort_block_merge_config_selectorItNS0_10empty_typeEEEZZNS1_27merge_sort_block_merge_implIS3_N6thrust23THRUST_200600_302600_NS6detail15normal_iteratorINS9_10device_ptrItEEEEPS5_m9comp_mod3ItEEE10hipError_tT0_T1_T2_jT3_P12ihipStream_tbPNSt15iterator_traitsISJ_E10value_typeEPNSP_ISK_E10value_typeEPSL_NS1_7vsmem_tEENKUlT_SJ_SK_SL_E_clISE_PtSF_SF_EESI_SY_SJ_SK_SL_EUlSY_E1_NS1_11comp_targetILNS1_3genE3ELNS1_11target_archE908ELNS1_3gpuE7ELNS1_3repE0EEENS1_36merge_oddeven_config_static_selectorELNS0_4arch9wavefront6targetE0EEEvSK_,comdat
.Lfunc_end918:
	.size	_ZN7rocprim17ROCPRIM_400000_NS6detail17trampoline_kernelINS0_14default_configENS1_38merge_sort_block_merge_config_selectorItNS0_10empty_typeEEEZZNS1_27merge_sort_block_merge_implIS3_N6thrust23THRUST_200600_302600_NS6detail15normal_iteratorINS9_10device_ptrItEEEEPS5_m9comp_mod3ItEEE10hipError_tT0_T1_T2_jT3_P12ihipStream_tbPNSt15iterator_traitsISJ_E10value_typeEPNSP_ISK_E10value_typeEPSL_NS1_7vsmem_tEENKUlT_SJ_SK_SL_E_clISE_PtSF_SF_EESI_SY_SJ_SK_SL_EUlSY_E1_NS1_11comp_targetILNS1_3genE3ELNS1_11target_archE908ELNS1_3gpuE7ELNS1_3repE0EEENS1_36merge_oddeven_config_static_selectorELNS0_4arch9wavefront6targetE0EEEvSK_, .Lfunc_end918-_ZN7rocprim17ROCPRIM_400000_NS6detail17trampoline_kernelINS0_14default_configENS1_38merge_sort_block_merge_config_selectorItNS0_10empty_typeEEEZZNS1_27merge_sort_block_merge_implIS3_N6thrust23THRUST_200600_302600_NS6detail15normal_iteratorINS9_10device_ptrItEEEEPS5_m9comp_mod3ItEEE10hipError_tT0_T1_T2_jT3_P12ihipStream_tbPNSt15iterator_traitsISJ_E10value_typeEPNSP_ISK_E10value_typeEPSL_NS1_7vsmem_tEENKUlT_SJ_SK_SL_E_clISE_PtSF_SF_EESI_SY_SJ_SK_SL_EUlSY_E1_NS1_11comp_targetILNS1_3genE3ELNS1_11target_archE908ELNS1_3gpuE7ELNS1_3repE0EEENS1_36merge_oddeven_config_static_selectorELNS0_4arch9wavefront6targetE0EEEvSK_
                                        ; -- End function
	.set _ZN7rocprim17ROCPRIM_400000_NS6detail17trampoline_kernelINS0_14default_configENS1_38merge_sort_block_merge_config_selectorItNS0_10empty_typeEEEZZNS1_27merge_sort_block_merge_implIS3_N6thrust23THRUST_200600_302600_NS6detail15normal_iteratorINS9_10device_ptrItEEEEPS5_m9comp_mod3ItEEE10hipError_tT0_T1_T2_jT3_P12ihipStream_tbPNSt15iterator_traitsISJ_E10value_typeEPNSP_ISK_E10value_typeEPSL_NS1_7vsmem_tEENKUlT_SJ_SK_SL_E_clISE_PtSF_SF_EESI_SY_SJ_SK_SL_EUlSY_E1_NS1_11comp_targetILNS1_3genE3ELNS1_11target_archE908ELNS1_3gpuE7ELNS1_3repE0EEENS1_36merge_oddeven_config_static_selectorELNS0_4arch9wavefront6targetE0EEEvSK_.num_vgpr, 0
	.set _ZN7rocprim17ROCPRIM_400000_NS6detail17trampoline_kernelINS0_14default_configENS1_38merge_sort_block_merge_config_selectorItNS0_10empty_typeEEEZZNS1_27merge_sort_block_merge_implIS3_N6thrust23THRUST_200600_302600_NS6detail15normal_iteratorINS9_10device_ptrItEEEEPS5_m9comp_mod3ItEEE10hipError_tT0_T1_T2_jT3_P12ihipStream_tbPNSt15iterator_traitsISJ_E10value_typeEPNSP_ISK_E10value_typeEPSL_NS1_7vsmem_tEENKUlT_SJ_SK_SL_E_clISE_PtSF_SF_EESI_SY_SJ_SK_SL_EUlSY_E1_NS1_11comp_targetILNS1_3genE3ELNS1_11target_archE908ELNS1_3gpuE7ELNS1_3repE0EEENS1_36merge_oddeven_config_static_selectorELNS0_4arch9wavefront6targetE0EEEvSK_.num_agpr, 0
	.set _ZN7rocprim17ROCPRIM_400000_NS6detail17trampoline_kernelINS0_14default_configENS1_38merge_sort_block_merge_config_selectorItNS0_10empty_typeEEEZZNS1_27merge_sort_block_merge_implIS3_N6thrust23THRUST_200600_302600_NS6detail15normal_iteratorINS9_10device_ptrItEEEEPS5_m9comp_mod3ItEEE10hipError_tT0_T1_T2_jT3_P12ihipStream_tbPNSt15iterator_traitsISJ_E10value_typeEPNSP_ISK_E10value_typeEPSL_NS1_7vsmem_tEENKUlT_SJ_SK_SL_E_clISE_PtSF_SF_EESI_SY_SJ_SK_SL_EUlSY_E1_NS1_11comp_targetILNS1_3genE3ELNS1_11target_archE908ELNS1_3gpuE7ELNS1_3repE0EEENS1_36merge_oddeven_config_static_selectorELNS0_4arch9wavefront6targetE0EEEvSK_.numbered_sgpr, 0
	.set _ZN7rocprim17ROCPRIM_400000_NS6detail17trampoline_kernelINS0_14default_configENS1_38merge_sort_block_merge_config_selectorItNS0_10empty_typeEEEZZNS1_27merge_sort_block_merge_implIS3_N6thrust23THRUST_200600_302600_NS6detail15normal_iteratorINS9_10device_ptrItEEEEPS5_m9comp_mod3ItEEE10hipError_tT0_T1_T2_jT3_P12ihipStream_tbPNSt15iterator_traitsISJ_E10value_typeEPNSP_ISK_E10value_typeEPSL_NS1_7vsmem_tEENKUlT_SJ_SK_SL_E_clISE_PtSF_SF_EESI_SY_SJ_SK_SL_EUlSY_E1_NS1_11comp_targetILNS1_3genE3ELNS1_11target_archE908ELNS1_3gpuE7ELNS1_3repE0EEENS1_36merge_oddeven_config_static_selectorELNS0_4arch9wavefront6targetE0EEEvSK_.num_named_barrier, 0
	.set _ZN7rocprim17ROCPRIM_400000_NS6detail17trampoline_kernelINS0_14default_configENS1_38merge_sort_block_merge_config_selectorItNS0_10empty_typeEEEZZNS1_27merge_sort_block_merge_implIS3_N6thrust23THRUST_200600_302600_NS6detail15normal_iteratorINS9_10device_ptrItEEEEPS5_m9comp_mod3ItEEE10hipError_tT0_T1_T2_jT3_P12ihipStream_tbPNSt15iterator_traitsISJ_E10value_typeEPNSP_ISK_E10value_typeEPSL_NS1_7vsmem_tEENKUlT_SJ_SK_SL_E_clISE_PtSF_SF_EESI_SY_SJ_SK_SL_EUlSY_E1_NS1_11comp_targetILNS1_3genE3ELNS1_11target_archE908ELNS1_3gpuE7ELNS1_3repE0EEENS1_36merge_oddeven_config_static_selectorELNS0_4arch9wavefront6targetE0EEEvSK_.private_seg_size, 0
	.set _ZN7rocprim17ROCPRIM_400000_NS6detail17trampoline_kernelINS0_14default_configENS1_38merge_sort_block_merge_config_selectorItNS0_10empty_typeEEEZZNS1_27merge_sort_block_merge_implIS3_N6thrust23THRUST_200600_302600_NS6detail15normal_iteratorINS9_10device_ptrItEEEEPS5_m9comp_mod3ItEEE10hipError_tT0_T1_T2_jT3_P12ihipStream_tbPNSt15iterator_traitsISJ_E10value_typeEPNSP_ISK_E10value_typeEPSL_NS1_7vsmem_tEENKUlT_SJ_SK_SL_E_clISE_PtSF_SF_EESI_SY_SJ_SK_SL_EUlSY_E1_NS1_11comp_targetILNS1_3genE3ELNS1_11target_archE908ELNS1_3gpuE7ELNS1_3repE0EEENS1_36merge_oddeven_config_static_selectorELNS0_4arch9wavefront6targetE0EEEvSK_.uses_vcc, 0
	.set _ZN7rocprim17ROCPRIM_400000_NS6detail17trampoline_kernelINS0_14default_configENS1_38merge_sort_block_merge_config_selectorItNS0_10empty_typeEEEZZNS1_27merge_sort_block_merge_implIS3_N6thrust23THRUST_200600_302600_NS6detail15normal_iteratorINS9_10device_ptrItEEEEPS5_m9comp_mod3ItEEE10hipError_tT0_T1_T2_jT3_P12ihipStream_tbPNSt15iterator_traitsISJ_E10value_typeEPNSP_ISK_E10value_typeEPSL_NS1_7vsmem_tEENKUlT_SJ_SK_SL_E_clISE_PtSF_SF_EESI_SY_SJ_SK_SL_EUlSY_E1_NS1_11comp_targetILNS1_3genE3ELNS1_11target_archE908ELNS1_3gpuE7ELNS1_3repE0EEENS1_36merge_oddeven_config_static_selectorELNS0_4arch9wavefront6targetE0EEEvSK_.uses_flat_scratch, 0
	.set _ZN7rocprim17ROCPRIM_400000_NS6detail17trampoline_kernelINS0_14default_configENS1_38merge_sort_block_merge_config_selectorItNS0_10empty_typeEEEZZNS1_27merge_sort_block_merge_implIS3_N6thrust23THRUST_200600_302600_NS6detail15normal_iteratorINS9_10device_ptrItEEEEPS5_m9comp_mod3ItEEE10hipError_tT0_T1_T2_jT3_P12ihipStream_tbPNSt15iterator_traitsISJ_E10value_typeEPNSP_ISK_E10value_typeEPSL_NS1_7vsmem_tEENKUlT_SJ_SK_SL_E_clISE_PtSF_SF_EESI_SY_SJ_SK_SL_EUlSY_E1_NS1_11comp_targetILNS1_3genE3ELNS1_11target_archE908ELNS1_3gpuE7ELNS1_3repE0EEENS1_36merge_oddeven_config_static_selectorELNS0_4arch9wavefront6targetE0EEEvSK_.has_dyn_sized_stack, 0
	.set _ZN7rocprim17ROCPRIM_400000_NS6detail17trampoline_kernelINS0_14default_configENS1_38merge_sort_block_merge_config_selectorItNS0_10empty_typeEEEZZNS1_27merge_sort_block_merge_implIS3_N6thrust23THRUST_200600_302600_NS6detail15normal_iteratorINS9_10device_ptrItEEEEPS5_m9comp_mod3ItEEE10hipError_tT0_T1_T2_jT3_P12ihipStream_tbPNSt15iterator_traitsISJ_E10value_typeEPNSP_ISK_E10value_typeEPSL_NS1_7vsmem_tEENKUlT_SJ_SK_SL_E_clISE_PtSF_SF_EESI_SY_SJ_SK_SL_EUlSY_E1_NS1_11comp_targetILNS1_3genE3ELNS1_11target_archE908ELNS1_3gpuE7ELNS1_3repE0EEENS1_36merge_oddeven_config_static_selectorELNS0_4arch9wavefront6targetE0EEEvSK_.has_recursion, 0
	.set _ZN7rocprim17ROCPRIM_400000_NS6detail17trampoline_kernelINS0_14default_configENS1_38merge_sort_block_merge_config_selectorItNS0_10empty_typeEEEZZNS1_27merge_sort_block_merge_implIS3_N6thrust23THRUST_200600_302600_NS6detail15normal_iteratorINS9_10device_ptrItEEEEPS5_m9comp_mod3ItEEE10hipError_tT0_T1_T2_jT3_P12ihipStream_tbPNSt15iterator_traitsISJ_E10value_typeEPNSP_ISK_E10value_typeEPSL_NS1_7vsmem_tEENKUlT_SJ_SK_SL_E_clISE_PtSF_SF_EESI_SY_SJ_SK_SL_EUlSY_E1_NS1_11comp_targetILNS1_3genE3ELNS1_11target_archE908ELNS1_3gpuE7ELNS1_3repE0EEENS1_36merge_oddeven_config_static_selectorELNS0_4arch9wavefront6targetE0EEEvSK_.has_indirect_call, 0
	.section	.AMDGPU.csdata,"",@progbits
; Kernel info:
; codeLenInByte = 0
; TotalNumSgprs: 0
; NumVgprs: 0
; ScratchSize: 0
; MemoryBound: 0
; FloatMode: 240
; IeeeMode: 1
; LDSByteSize: 0 bytes/workgroup (compile time only)
; SGPRBlocks: 0
; VGPRBlocks: 0
; NumSGPRsForWavesPerEU: 1
; NumVGPRsForWavesPerEU: 1
; Occupancy: 16
; WaveLimiterHint : 0
; COMPUTE_PGM_RSRC2:SCRATCH_EN: 0
; COMPUTE_PGM_RSRC2:USER_SGPR: 6
; COMPUTE_PGM_RSRC2:TRAP_HANDLER: 0
; COMPUTE_PGM_RSRC2:TGID_X_EN: 1
; COMPUTE_PGM_RSRC2:TGID_Y_EN: 0
; COMPUTE_PGM_RSRC2:TGID_Z_EN: 0
; COMPUTE_PGM_RSRC2:TIDIG_COMP_CNT: 0
	.section	.text._ZN7rocprim17ROCPRIM_400000_NS6detail17trampoline_kernelINS0_14default_configENS1_38merge_sort_block_merge_config_selectorItNS0_10empty_typeEEEZZNS1_27merge_sort_block_merge_implIS3_N6thrust23THRUST_200600_302600_NS6detail15normal_iteratorINS9_10device_ptrItEEEEPS5_m9comp_mod3ItEEE10hipError_tT0_T1_T2_jT3_P12ihipStream_tbPNSt15iterator_traitsISJ_E10value_typeEPNSP_ISK_E10value_typeEPSL_NS1_7vsmem_tEENKUlT_SJ_SK_SL_E_clISE_PtSF_SF_EESI_SY_SJ_SK_SL_EUlSY_E1_NS1_11comp_targetILNS1_3genE2ELNS1_11target_archE906ELNS1_3gpuE6ELNS1_3repE0EEENS1_36merge_oddeven_config_static_selectorELNS0_4arch9wavefront6targetE0EEEvSK_,"axG",@progbits,_ZN7rocprim17ROCPRIM_400000_NS6detail17trampoline_kernelINS0_14default_configENS1_38merge_sort_block_merge_config_selectorItNS0_10empty_typeEEEZZNS1_27merge_sort_block_merge_implIS3_N6thrust23THRUST_200600_302600_NS6detail15normal_iteratorINS9_10device_ptrItEEEEPS5_m9comp_mod3ItEEE10hipError_tT0_T1_T2_jT3_P12ihipStream_tbPNSt15iterator_traitsISJ_E10value_typeEPNSP_ISK_E10value_typeEPSL_NS1_7vsmem_tEENKUlT_SJ_SK_SL_E_clISE_PtSF_SF_EESI_SY_SJ_SK_SL_EUlSY_E1_NS1_11comp_targetILNS1_3genE2ELNS1_11target_archE906ELNS1_3gpuE6ELNS1_3repE0EEENS1_36merge_oddeven_config_static_selectorELNS0_4arch9wavefront6targetE0EEEvSK_,comdat
	.protected	_ZN7rocprim17ROCPRIM_400000_NS6detail17trampoline_kernelINS0_14default_configENS1_38merge_sort_block_merge_config_selectorItNS0_10empty_typeEEEZZNS1_27merge_sort_block_merge_implIS3_N6thrust23THRUST_200600_302600_NS6detail15normal_iteratorINS9_10device_ptrItEEEEPS5_m9comp_mod3ItEEE10hipError_tT0_T1_T2_jT3_P12ihipStream_tbPNSt15iterator_traitsISJ_E10value_typeEPNSP_ISK_E10value_typeEPSL_NS1_7vsmem_tEENKUlT_SJ_SK_SL_E_clISE_PtSF_SF_EESI_SY_SJ_SK_SL_EUlSY_E1_NS1_11comp_targetILNS1_3genE2ELNS1_11target_archE906ELNS1_3gpuE6ELNS1_3repE0EEENS1_36merge_oddeven_config_static_selectorELNS0_4arch9wavefront6targetE0EEEvSK_ ; -- Begin function _ZN7rocprim17ROCPRIM_400000_NS6detail17trampoline_kernelINS0_14default_configENS1_38merge_sort_block_merge_config_selectorItNS0_10empty_typeEEEZZNS1_27merge_sort_block_merge_implIS3_N6thrust23THRUST_200600_302600_NS6detail15normal_iteratorINS9_10device_ptrItEEEEPS5_m9comp_mod3ItEEE10hipError_tT0_T1_T2_jT3_P12ihipStream_tbPNSt15iterator_traitsISJ_E10value_typeEPNSP_ISK_E10value_typeEPSL_NS1_7vsmem_tEENKUlT_SJ_SK_SL_E_clISE_PtSF_SF_EESI_SY_SJ_SK_SL_EUlSY_E1_NS1_11comp_targetILNS1_3genE2ELNS1_11target_archE906ELNS1_3gpuE6ELNS1_3repE0EEENS1_36merge_oddeven_config_static_selectorELNS0_4arch9wavefront6targetE0EEEvSK_
	.globl	_ZN7rocprim17ROCPRIM_400000_NS6detail17trampoline_kernelINS0_14default_configENS1_38merge_sort_block_merge_config_selectorItNS0_10empty_typeEEEZZNS1_27merge_sort_block_merge_implIS3_N6thrust23THRUST_200600_302600_NS6detail15normal_iteratorINS9_10device_ptrItEEEEPS5_m9comp_mod3ItEEE10hipError_tT0_T1_T2_jT3_P12ihipStream_tbPNSt15iterator_traitsISJ_E10value_typeEPNSP_ISK_E10value_typeEPSL_NS1_7vsmem_tEENKUlT_SJ_SK_SL_E_clISE_PtSF_SF_EESI_SY_SJ_SK_SL_EUlSY_E1_NS1_11comp_targetILNS1_3genE2ELNS1_11target_archE906ELNS1_3gpuE6ELNS1_3repE0EEENS1_36merge_oddeven_config_static_selectorELNS0_4arch9wavefront6targetE0EEEvSK_
	.p2align	8
	.type	_ZN7rocprim17ROCPRIM_400000_NS6detail17trampoline_kernelINS0_14default_configENS1_38merge_sort_block_merge_config_selectorItNS0_10empty_typeEEEZZNS1_27merge_sort_block_merge_implIS3_N6thrust23THRUST_200600_302600_NS6detail15normal_iteratorINS9_10device_ptrItEEEEPS5_m9comp_mod3ItEEE10hipError_tT0_T1_T2_jT3_P12ihipStream_tbPNSt15iterator_traitsISJ_E10value_typeEPNSP_ISK_E10value_typeEPSL_NS1_7vsmem_tEENKUlT_SJ_SK_SL_E_clISE_PtSF_SF_EESI_SY_SJ_SK_SL_EUlSY_E1_NS1_11comp_targetILNS1_3genE2ELNS1_11target_archE906ELNS1_3gpuE6ELNS1_3repE0EEENS1_36merge_oddeven_config_static_selectorELNS0_4arch9wavefront6targetE0EEEvSK_,@function
_ZN7rocprim17ROCPRIM_400000_NS6detail17trampoline_kernelINS0_14default_configENS1_38merge_sort_block_merge_config_selectorItNS0_10empty_typeEEEZZNS1_27merge_sort_block_merge_implIS3_N6thrust23THRUST_200600_302600_NS6detail15normal_iteratorINS9_10device_ptrItEEEEPS5_m9comp_mod3ItEEE10hipError_tT0_T1_T2_jT3_P12ihipStream_tbPNSt15iterator_traitsISJ_E10value_typeEPNSP_ISK_E10value_typeEPSL_NS1_7vsmem_tEENKUlT_SJ_SK_SL_E_clISE_PtSF_SF_EESI_SY_SJ_SK_SL_EUlSY_E1_NS1_11comp_targetILNS1_3genE2ELNS1_11target_archE906ELNS1_3gpuE6ELNS1_3repE0EEENS1_36merge_oddeven_config_static_selectorELNS0_4arch9wavefront6targetE0EEEvSK_: ; @_ZN7rocprim17ROCPRIM_400000_NS6detail17trampoline_kernelINS0_14default_configENS1_38merge_sort_block_merge_config_selectorItNS0_10empty_typeEEEZZNS1_27merge_sort_block_merge_implIS3_N6thrust23THRUST_200600_302600_NS6detail15normal_iteratorINS9_10device_ptrItEEEEPS5_m9comp_mod3ItEEE10hipError_tT0_T1_T2_jT3_P12ihipStream_tbPNSt15iterator_traitsISJ_E10value_typeEPNSP_ISK_E10value_typeEPSL_NS1_7vsmem_tEENKUlT_SJ_SK_SL_E_clISE_PtSF_SF_EESI_SY_SJ_SK_SL_EUlSY_E1_NS1_11comp_targetILNS1_3genE2ELNS1_11target_archE906ELNS1_3gpuE6ELNS1_3repE0EEENS1_36merge_oddeven_config_static_selectorELNS0_4arch9wavefront6targetE0EEEvSK_
; %bb.0:
	.section	.rodata,"a",@progbits
	.p2align	6, 0x0
	.amdhsa_kernel _ZN7rocprim17ROCPRIM_400000_NS6detail17trampoline_kernelINS0_14default_configENS1_38merge_sort_block_merge_config_selectorItNS0_10empty_typeEEEZZNS1_27merge_sort_block_merge_implIS3_N6thrust23THRUST_200600_302600_NS6detail15normal_iteratorINS9_10device_ptrItEEEEPS5_m9comp_mod3ItEEE10hipError_tT0_T1_T2_jT3_P12ihipStream_tbPNSt15iterator_traitsISJ_E10value_typeEPNSP_ISK_E10value_typeEPSL_NS1_7vsmem_tEENKUlT_SJ_SK_SL_E_clISE_PtSF_SF_EESI_SY_SJ_SK_SL_EUlSY_E1_NS1_11comp_targetILNS1_3genE2ELNS1_11target_archE906ELNS1_3gpuE6ELNS1_3repE0EEENS1_36merge_oddeven_config_static_selectorELNS0_4arch9wavefront6targetE0EEEvSK_
		.amdhsa_group_segment_fixed_size 0
		.amdhsa_private_segment_fixed_size 0
		.amdhsa_kernarg_size 56
		.amdhsa_user_sgpr_count 6
		.amdhsa_user_sgpr_private_segment_buffer 1
		.amdhsa_user_sgpr_dispatch_ptr 0
		.amdhsa_user_sgpr_queue_ptr 0
		.amdhsa_user_sgpr_kernarg_segment_ptr 1
		.amdhsa_user_sgpr_dispatch_id 0
		.amdhsa_user_sgpr_flat_scratch_init 0
		.amdhsa_user_sgpr_private_segment_size 0
		.amdhsa_wavefront_size32 1
		.amdhsa_uses_dynamic_stack 0
		.amdhsa_system_sgpr_private_segment_wavefront_offset 0
		.amdhsa_system_sgpr_workgroup_id_x 1
		.amdhsa_system_sgpr_workgroup_id_y 0
		.amdhsa_system_sgpr_workgroup_id_z 0
		.amdhsa_system_sgpr_workgroup_info 0
		.amdhsa_system_vgpr_workitem_id 0
		.amdhsa_next_free_vgpr 1
		.amdhsa_next_free_sgpr 1
		.amdhsa_reserve_vcc 0
		.amdhsa_reserve_flat_scratch 0
		.amdhsa_float_round_mode_32 0
		.amdhsa_float_round_mode_16_64 0
		.amdhsa_float_denorm_mode_32 3
		.amdhsa_float_denorm_mode_16_64 3
		.amdhsa_dx10_clamp 1
		.amdhsa_ieee_mode 1
		.amdhsa_fp16_overflow 0
		.amdhsa_workgroup_processor_mode 1
		.amdhsa_memory_ordered 1
		.amdhsa_forward_progress 1
		.amdhsa_shared_vgpr_count 0
		.amdhsa_exception_fp_ieee_invalid_op 0
		.amdhsa_exception_fp_denorm_src 0
		.amdhsa_exception_fp_ieee_div_zero 0
		.amdhsa_exception_fp_ieee_overflow 0
		.amdhsa_exception_fp_ieee_underflow 0
		.amdhsa_exception_fp_ieee_inexact 0
		.amdhsa_exception_int_div_zero 0
	.end_amdhsa_kernel
	.section	.text._ZN7rocprim17ROCPRIM_400000_NS6detail17trampoline_kernelINS0_14default_configENS1_38merge_sort_block_merge_config_selectorItNS0_10empty_typeEEEZZNS1_27merge_sort_block_merge_implIS3_N6thrust23THRUST_200600_302600_NS6detail15normal_iteratorINS9_10device_ptrItEEEEPS5_m9comp_mod3ItEEE10hipError_tT0_T1_T2_jT3_P12ihipStream_tbPNSt15iterator_traitsISJ_E10value_typeEPNSP_ISK_E10value_typeEPSL_NS1_7vsmem_tEENKUlT_SJ_SK_SL_E_clISE_PtSF_SF_EESI_SY_SJ_SK_SL_EUlSY_E1_NS1_11comp_targetILNS1_3genE2ELNS1_11target_archE906ELNS1_3gpuE6ELNS1_3repE0EEENS1_36merge_oddeven_config_static_selectorELNS0_4arch9wavefront6targetE0EEEvSK_,"axG",@progbits,_ZN7rocprim17ROCPRIM_400000_NS6detail17trampoline_kernelINS0_14default_configENS1_38merge_sort_block_merge_config_selectorItNS0_10empty_typeEEEZZNS1_27merge_sort_block_merge_implIS3_N6thrust23THRUST_200600_302600_NS6detail15normal_iteratorINS9_10device_ptrItEEEEPS5_m9comp_mod3ItEEE10hipError_tT0_T1_T2_jT3_P12ihipStream_tbPNSt15iterator_traitsISJ_E10value_typeEPNSP_ISK_E10value_typeEPSL_NS1_7vsmem_tEENKUlT_SJ_SK_SL_E_clISE_PtSF_SF_EESI_SY_SJ_SK_SL_EUlSY_E1_NS1_11comp_targetILNS1_3genE2ELNS1_11target_archE906ELNS1_3gpuE6ELNS1_3repE0EEENS1_36merge_oddeven_config_static_selectorELNS0_4arch9wavefront6targetE0EEEvSK_,comdat
.Lfunc_end919:
	.size	_ZN7rocprim17ROCPRIM_400000_NS6detail17trampoline_kernelINS0_14default_configENS1_38merge_sort_block_merge_config_selectorItNS0_10empty_typeEEEZZNS1_27merge_sort_block_merge_implIS3_N6thrust23THRUST_200600_302600_NS6detail15normal_iteratorINS9_10device_ptrItEEEEPS5_m9comp_mod3ItEEE10hipError_tT0_T1_T2_jT3_P12ihipStream_tbPNSt15iterator_traitsISJ_E10value_typeEPNSP_ISK_E10value_typeEPSL_NS1_7vsmem_tEENKUlT_SJ_SK_SL_E_clISE_PtSF_SF_EESI_SY_SJ_SK_SL_EUlSY_E1_NS1_11comp_targetILNS1_3genE2ELNS1_11target_archE906ELNS1_3gpuE6ELNS1_3repE0EEENS1_36merge_oddeven_config_static_selectorELNS0_4arch9wavefront6targetE0EEEvSK_, .Lfunc_end919-_ZN7rocprim17ROCPRIM_400000_NS6detail17trampoline_kernelINS0_14default_configENS1_38merge_sort_block_merge_config_selectorItNS0_10empty_typeEEEZZNS1_27merge_sort_block_merge_implIS3_N6thrust23THRUST_200600_302600_NS6detail15normal_iteratorINS9_10device_ptrItEEEEPS5_m9comp_mod3ItEEE10hipError_tT0_T1_T2_jT3_P12ihipStream_tbPNSt15iterator_traitsISJ_E10value_typeEPNSP_ISK_E10value_typeEPSL_NS1_7vsmem_tEENKUlT_SJ_SK_SL_E_clISE_PtSF_SF_EESI_SY_SJ_SK_SL_EUlSY_E1_NS1_11comp_targetILNS1_3genE2ELNS1_11target_archE906ELNS1_3gpuE6ELNS1_3repE0EEENS1_36merge_oddeven_config_static_selectorELNS0_4arch9wavefront6targetE0EEEvSK_
                                        ; -- End function
	.set _ZN7rocprim17ROCPRIM_400000_NS6detail17trampoline_kernelINS0_14default_configENS1_38merge_sort_block_merge_config_selectorItNS0_10empty_typeEEEZZNS1_27merge_sort_block_merge_implIS3_N6thrust23THRUST_200600_302600_NS6detail15normal_iteratorINS9_10device_ptrItEEEEPS5_m9comp_mod3ItEEE10hipError_tT0_T1_T2_jT3_P12ihipStream_tbPNSt15iterator_traitsISJ_E10value_typeEPNSP_ISK_E10value_typeEPSL_NS1_7vsmem_tEENKUlT_SJ_SK_SL_E_clISE_PtSF_SF_EESI_SY_SJ_SK_SL_EUlSY_E1_NS1_11comp_targetILNS1_3genE2ELNS1_11target_archE906ELNS1_3gpuE6ELNS1_3repE0EEENS1_36merge_oddeven_config_static_selectorELNS0_4arch9wavefront6targetE0EEEvSK_.num_vgpr, 0
	.set _ZN7rocprim17ROCPRIM_400000_NS6detail17trampoline_kernelINS0_14default_configENS1_38merge_sort_block_merge_config_selectorItNS0_10empty_typeEEEZZNS1_27merge_sort_block_merge_implIS3_N6thrust23THRUST_200600_302600_NS6detail15normal_iteratorINS9_10device_ptrItEEEEPS5_m9comp_mod3ItEEE10hipError_tT0_T1_T2_jT3_P12ihipStream_tbPNSt15iterator_traitsISJ_E10value_typeEPNSP_ISK_E10value_typeEPSL_NS1_7vsmem_tEENKUlT_SJ_SK_SL_E_clISE_PtSF_SF_EESI_SY_SJ_SK_SL_EUlSY_E1_NS1_11comp_targetILNS1_3genE2ELNS1_11target_archE906ELNS1_3gpuE6ELNS1_3repE0EEENS1_36merge_oddeven_config_static_selectorELNS0_4arch9wavefront6targetE0EEEvSK_.num_agpr, 0
	.set _ZN7rocprim17ROCPRIM_400000_NS6detail17trampoline_kernelINS0_14default_configENS1_38merge_sort_block_merge_config_selectorItNS0_10empty_typeEEEZZNS1_27merge_sort_block_merge_implIS3_N6thrust23THRUST_200600_302600_NS6detail15normal_iteratorINS9_10device_ptrItEEEEPS5_m9comp_mod3ItEEE10hipError_tT0_T1_T2_jT3_P12ihipStream_tbPNSt15iterator_traitsISJ_E10value_typeEPNSP_ISK_E10value_typeEPSL_NS1_7vsmem_tEENKUlT_SJ_SK_SL_E_clISE_PtSF_SF_EESI_SY_SJ_SK_SL_EUlSY_E1_NS1_11comp_targetILNS1_3genE2ELNS1_11target_archE906ELNS1_3gpuE6ELNS1_3repE0EEENS1_36merge_oddeven_config_static_selectorELNS0_4arch9wavefront6targetE0EEEvSK_.numbered_sgpr, 0
	.set _ZN7rocprim17ROCPRIM_400000_NS6detail17trampoline_kernelINS0_14default_configENS1_38merge_sort_block_merge_config_selectorItNS0_10empty_typeEEEZZNS1_27merge_sort_block_merge_implIS3_N6thrust23THRUST_200600_302600_NS6detail15normal_iteratorINS9_10device_ptrItEEEEPS5_m9comp_mod3ItEEE10hipError_tT0_T1_T2_jT3_P12ihipStream_tbPNSt15iterator_traitsISJ_E10value_typeEPNSP_ISK_E10value_typeEPSL_NS1_7vsmem_tEENKUlT_SJ_SK_SL_E_clISE_PtSF_SF_EESI_SY_SJ_SK_SL_EUlSY_E1_NS1_11comp_targetILNS1_3genE2ELNS1_11target_archE906ELNS1_3gpuE6ELNS1_3repE0EEENS1_36merge_oddeven_config_static_selectorELNS0_4arch9wavefront6targetE0EEEvSK_.num_named_barrier, 0
	.set _ZN7rocprim17ROCPRIM_400000_NS6detail17trampoline_kernelINS0_14default_configENS1_38merge_sort_block_merge_config_selectorItNS0_10empty_typeEEEZZNS1_27merge_sort_block_merge_implIS3_N6thrust23THRUST_200600_302600_NS6detail15normal_iteratorINS9_10device_ptrItEEEEPS5_m9comp_mod3ItEEE10hipError_tT0_T1_T2_jT3_P12ihipStream_tbPNSt15iterator_traitsISJ_E10value_typeEPNSP_ISK_E10value_typeEPSL_NS1_7vsmem_tEENKUlT_SJ_SK_SL_E_clISE_PtSF_SF_EESI_SY_SJ_SK_SL_EUlSY_E1_NS1_11comp_targetILNS1_3genE2ELNS1_11target_archE906ELNS1_3gpuE6ELNS1_3repE0EEENS1_36merge_oddeven_config_static_selectorELNS0_4arch9wavefront6targetE0EEEvSK_.private_seg_size, 0
	.set _ZN7rocprim17ROCPRIM_400000_NS6detail17trampoline_kernelINS0_14default_configENS1_38merge_sort_block_merge_config_selectorItNS0_10empty_typeEEEZZNS1_27merge_sort_block_merge_implIS3_N6thrust23THRUST_200600_302600_NS6detail15normal_iteratorINS9_10device_ptrItEEEEPS5_m9comp_mod3ItEEE10hipError_tT0_T1_T2_jT3_P12ihipStream_tbPNSt15iterator_traitsISJ_E10value_typeEPNSP_ISK_E10value_typeEPSL_NS1_7vsmem_tEENKUlT_SJ_SK_SL_E_clISE_PtSF_SF_EESI_SY_SJ_SK_SL_EUlSY_E1_NS1_11comp_targetILNS1_3genE2ELNS1_11target_archE906ELNS1_3gpuE6ELNS1_3repE0EEENS1_36merge_oddeven_config_static_selectorELNS0_4arch9wavefront6targetE0EEEvSK_.uses_vcc, 0
	.set _ZN7rocprim17ROCPRIM_400000_NS6detail17trampoline_kernelINS0_14default_configENS1_38merge_sort_block_merge_config_selectorItNS0_10empty_typeEEEZZNS1_27merge_sort_block_merge_implIS3_N6thrust23THRUST_200600_302600_NS6detail15normal_iteratorINS9_10device_ptrItEEEEPS5_m9comp_mod3ItEEE10hipError_tT0_T1_T2_jT3_P12ihipStream_tbPNSt15iterator_traitsISJ_E10value_typeEPNSP_ISK_E10value_typeEPSL_NS1_7vsmem_tEENKUlT_SJ_SK_SL_E_clISE_PtSF_SF_EESI_SY_SJ_SK_SL_EUlSY_E1_NS1_11comp_targetILNS1_3genE2ELNS1_11target_archE906ELNS1_3gpuE6ELNS1_3repE0EEENS1_36merge_oddeven_config_static_selectorELNS0_4arch9wavefront6targetE0EEEvSK_.uses_flat_scratch, 0
	.set _ZN7rocprim17ROCPRIM_400000_NS6detail17trampoline_kernelINS0_14default_configENS1_38merge_sort_block_merge_config_selectorItNS0_10empty_typeEEEZZNS1_27merge_sort_block_merge_implIS3_N6thrust23THRUST_200600_302600_NS6detail15normal_iteratorINS9_10device_ptrItEEEEPS5_m9comp_mod3ItEEE10hipError_tT0_T1_T2_jT3_P12ihipStream_tbPNSt15iterator_traitsISJ_E10value_typeEPNSP_ISK_E10value_typeEPSL_NS1_7vsmem_tEENKUlT_SJ_SK_SL_E_clISE_PtSF_SF_EESI_SY_SJ_SK_SL_EUlSY_E1_NS1_11comp_targetILNS1_3genE2ELNS1_11target_archE906ELNS1_3gpuE6ELNS1_3repE0EEENS1_36merge_oddeven_config_static_selectorELNS0_4arch9wavefront6targetE0EEEvSK_.has_dyn_sized_stack, 0
	.set _ZN7rocprim17ROCPRIM_400000_NS6detail17trampoline_kernelINS0_14default_configENS1_38merge_sort_block_merge_config_selectorItNS0_10empty_typeEEEZZNS1_27merge_sort_block_merge_implIS3_N6thrust23THRUST_200600_302600_NS6detail15normal_iteratorINS9_10device_ptrItEEEEPS5_m9comp_mod3ItEEE10hipError_tT0_T1_T2_jT3_P12ihipStream_tbPNSt15iterator_traitsISJ_E10value_typeEPNSP_ISK_E10value_typeEPSL_NS1_7vsmem_tEENKUlT_SJ_SK_SL_E_clISE_PtSF_SF_EESI_SY_SJ_SK_SL_EUlSY_E1_NS1_11comp_targetILNS1_3genE2ELNS1_11target_archE906ELNS1_3gpuE6ELNS1_3repE0EEENS1_36merge_oddeven_config_static_selectorELNS0_4arch9wavefront6targetE0EEEvSK_.has_recursion, 0
	.set _ZN7rocprim17ROCPRIM_400000_NS6detail17trampoline_kernelINS0_14default_configENS1_38merge_sort_block_merge_config_selectorItNS0_10empty_typeEEEZZNS1_27merge_sort_block_merge_implIS3_N6thrust23THRUST_200600_302600_NS6detail15normal_iteratorINS9_10device_ptrItEEEEPS5_m9comp_mod3ItEEE10hipError_tT0_T1_T2_jT3_P12ihipStream_tbPNSt15iterator_traitsISJ_E10value_typeEPNSP_ISK_E10value_typeEPSL_NS1_7vsmem_tEENKUlT_SJ_SK_SL_E_clISE_PtSF_SF_EESI_SY_SJ_SK_SL_EUlSY_E1_NS1_11comp_targetILNS1_3genE2ELNS1_11target_archE906ELNS1_3gpuE6ELNS1_3repE0EEENS1_36merge_oddeven_config_static_selectorELNS0_4arch9wavefront6targetE0EEEvSK_.has_indirect_call, 0
	.section	.AMDGPU.csdata,"",@progbits
; Kernel info:
; codeLenInByte = 0
; TotalNumSgprs: 0
; NumVgprs: 0
; ScratchSize: 0
; MemoryBound: 0
; FloatMode: 240
; IeeeMode: 1
; LDSByteSize: 0 bytes/workgroup (compile time only)
; SGPRBlocks: 0
; VGPRBlocks: 0
; NumSGPRsForWavesPerEU: 1
; NumVGPRsForWavesPerEU: 1
; Occupancy: 16
; WaveLimiterHint : 0
; COMPUTE_PGM_RSRC2:SCRATCH_EN: 0
; COMPUTE_PGM_RSRC2:USER_SGPR: 6
; COMPUTE_PGM_RSRC2:TRAP_HANDLER: 0
; COMPUTE_PGM_RSRC2:TGID_X_EN: 1
; COMPUTE_PGM_RSRC2:TGID_Y_EN: 0
; COMPUTE_PGM_RSRC2:TGID_Z_EN: 0
; COMPUTE_PGM_RSRC2:TIDIG_COMP_CNT: 0
	.section	.text._ZN7rocprim17ROCPRIM_400000_NS6detail17trampoline_kernelINS0_14default_configENS1_38merge_sort_block_merge_config_selectorItNS0_10empty_typeEEEZZNS1_27merge_sort_block_merge_implIS3_N6thrust23THRUST_200600_302600_NS6detail15normal_iteratorINS9_10device_ptrItEEEEPS5_m9comp_mod3ItEEE10hipError_tT0_T1_T2_jT3_P12ihipStream_tbPNSt15iterator_traitsISJ_E10value_typeEPNSP_ISK_E10value_typeEPSL_NS1_7vsmem_tEENKUlT_SJ_SK_SL_E_clISE_PtSF_SF_EESI_SY_SJ_SK_SL_EUlSY_E1_NS1_11comp_targetILNS1_3genE9ELNS1_11target_archE1100ELNS1_3gpuE3ELNS1_3repE0EEENS1_36merge_oddeven_config_static_selectorELNS0_4arch9wavefront6targetE0EEEvSK_,"axG",@progbits,_ZN7rocprim17ROCPRIM_400000_NS6detail17trampoline_kernelINS0_14default_configENS1_38merge_sort_block_merge_config_selectorItNS0_10empty_typeEEEZZNS1_27merge_sort_block_merge_implIS3_N6thrust23THRUST_200600_302600_NS6detail15normal_iteratorINS9_10device_ptrItEEEEPS5_m9comp_mod3ItEEE10hipError_tT0_T1_T2_jT3_P12ihipStream_tbPNSt15iterator_traitsISJ_E10value_typeEPNSP_ISK_E10value_typeEPSL_NS1_7vsmem_tEENKUlT_SJ_SK_SL_E_clISE_PtSF_SF_EESI_SY_SJ_SK_SL_EUlSY_E1_NS1_11comp_targetILNS1_3genE9ELNS1_11target_archE1100ELNS1_3gpuE3ELNS1_3repE0EEENS1_36merge_oddeven_config_static_selectorELNS0_4arch9wavefront6targetE0EEEvSK_,comdat
	.protected	_ZN7rocprim17ROCPRIM_400000_NS6detail17trampoline_kernelINS0_14default_configENS1_38merge_sort_block_merge_config_selectorItNS0_10empty_typeEEEZZNS1_27merge_sort_block_merge_implIS3_N6thrust23THRUST_200600_302600_NS6detail15normal_iteratorINS9_10device_ptrItEEEEPS5_m9comp_mod3ItEEE10hipError_tT0_T1_T2_jT3_P12ihipStream_tbPNSt15iterator_traitsISJ_E10value_typeEPNSP_ISK_E10value_typeEPSL_NS1_7vsmem_tEENKUlT_SJ_SK_SL_E_clISE_PtSF_SF_EESI_SY_SJ_SK_SL_EUlSY_E1_NS1_11comp_targetILNS1_3genE9ELNS1_11target_archE1100ELNS1_3gpuE3ELNS1_3repE0EEENS1_36merge_oddeven_config_static_selectorELNS0_4arch9wavefront6targetE0EEEvSK_ ; -- Begin function _ZN7rocprim17ROCPRIM_400000_NS6detail17trampoline_kernelINS0_14default_configENS1_38merge_sort_block_merge_config_selectorItNS0_10empty_typeEEEZZNS1_27merge_sort_block_merge_implIS3_N6thrust23THRUST_200600_302600_NS6detail15normal_iteratorINS9_10device_ptrItEEEEPS5_m9comp_mod3ItEEE10hipError_tT0_T1_T2_jT3_P12ihipStream_tbPNSt15iterator_traitsISJ_E10value_typeEPNSP_ISK_E10value_typeEPSL_NS1_7vsmem_tEENKUlT_SJ_SK_SL_E_clISE_PtSF_SF_EESI_SY_SJ_SK_SL_EUlSY_E1_NS1_11comp_targetILNS1_3genE9ELNS1_11target_archE1100ELNS1_3gpuE3ELNS1_3repE0EEENS1_36merge_oddeven_config_static_selectorELNS0_4arch9wavefront6targetE0EEEvSK_
	.globl	_ZN7rocprim17ROCPRIM_400000_NS6detail17trampoline_kernelINS0_14default_configENS1_38merge_sort_block_merge_config_selectorItNS0_10empty_typeEEEZZNS1_27merge_sort_block_merge_implIS3_N6thrust23THRUST_200600_302600_NS6detail15normal_iteratorINS9_10device_ptrItEEEEPS5_m9comp_mod3ItEEE10hipError_tT0_T1_T2_jT3_P12ihipStream_tbPNSt15iterator_traitsISJ_E10value_typeEPNSP_ISK_E10value_typeEPSL_NS1_7vsmem_tEENKUlT_SJ_SK_SL_E_clISE_PtSF_SF_EESI_SY_SJ_SK_SL_EUlSY_E1_NS1_11comp_targetILNS1_3genE9ELNS1_11target_archE1100ELNS1_3gpuE3ELNS1_3repE0EEENS1_36merge_oddeven_config_static_selectorELNS0_4arch9wavefront6targetE0EEEvSK_
	.p2align	8
	.type	_ZN7rocprim17ROCPRIM_400000_NS6detail17trampoline_kernelINS0_14default_configENS1_38merge_sort_block_merge_config_selectorItNS0_10empty_typeEEEZZNS1_27merge_sort_block_merge_implIS3_N6thrust23THRUST_200600_302600_NS6detail15normal_iteratorINS9_10device_ptrItEEEEPS5_m9comp_mod3ItEEE10hipError_tT0_T1_T2_jT3_P12ihipStream_tbPNSt15iterator_traitsISJ_E10value_typeEPNSP_ISK_E10value_typeEPSL_NS1_7vsmem_tEENKUlT_SJ_SK_SL_E_clISE_PtSF_SF_EESI_SY_SJ_SK_SL_EUlSY_E1_NS1_11comp_targetILNS1_3genE9ELNS1_11target_archE1100ELNS1_3gpuE3ELNS1_3repE0EEENS1_36merge_oddeven_config_static_selectorELNS0_4arch9wavefront6targetE0EEEvSK_,@function
_ZN7rocprim17ROCPRIM_400000_NS6detail17trampoline_kernelINS0_14default_configENS1_38merge_sort_block_merge_config_selectorItNS0_10empty_typeEEEZZNS1_27merge_sort_block_merge_implIS3_N6thrust23THRUST_200600_302600_NS6detail15normal_iteratorINS9_10device_ptrItEEEEPS5_m9comp_mod3ItEEE10hipError_tT0_T1_T2_jT3_P12ihipStream_tbPNSt15iterator_traitsISJ_E10value_typeEPNSP_ISK_E10value_typeEPSL_NS1_7vsmem_tEENKUlT_SJ_SK_SL_E_clISE_PtSF_SF_EESI_SY_SJ_SK_SL_EUlSY_E1_NS1_11comp_targetILNS1_3genE9ELNS1_11target_archE1100ELNS1_3gpuE3ELNS1_3repE0EEENS1_36merge_oddeven_config_static_selectorELNS0_4arch9wavefront6targetE0EEEvSK_: ; @_ZN7rocprim17ROCPRIM_400000_NS6detail17trampoline_kernelINS0_14default_configENS1_38merge_sort_block_merge_config_selectorItNS0_10empty_typeEEEZZNS1_27merge_sort_block_merge_implIS3_N6thrust23THRUST_200600_302600_NS6detail15normal_iteratorINS9_10device_ptrItEEEEPS5_m9comp_mod3ItEEE10hipError_tT0_T1_T2_jT3_P12ihipStream_tbPNSt15iterator_traitsISJ_E10value_typeEPNSP_ISK_E10value_typeEPSL_NS1_7vsmem_tEENKUlT_SJ_SK_SL_E_clISE_PtSF_SF_EESI_SY_SJ_SK_SL_EUlSY_E1_NS1_11comp_targetILNS1_3genE9ELNS1_11target_archE1100ELNS1_3gpuE3ELNS1_3repE0EEENS1_36merge_oddeven_config_static_selectorELNS0_4arch9wavefront6targetE0EEEvSK_
; %bb.0:
	.section	.rodata,"a",@progbits
	.p2align	6, 0x0
	.amdhsa_kernel _ZN7rocprim17ROCPRIM_400000_NS6detail17trampoline_kernelINS0_14default_configENS1_38merge_sort_block_merge_config_selectorItNS0_10empty_typeEEEZZNS1_27merge_sort_block_merge_implIS3_N6thrust23THRUST_200600_302600_NS6detail15normal_iteratorINS9_10device_ptrItEEEEPS5_m9comp_mod3ItEEE10hipError_tT0_T1_T2_jT3_P12ihipStream_tbPNSt15iterator_traitsISJ_E10value_typeEPNSP_ISK_E10value_typeEPSL_NS1_7vsmem_tEENKUlT_SJ_SK_SL_E_clISE_PtSF_SF_EESI_SY_SJ_SK_SL_EUlSY_E1_NS1_11comp_targetILNS1_3genE9ELNS1_11target_archE1100ELNS1_3gpuE3ELNS1_3repE0EEENS1_36merge_oddeven_config_static_selectorELNS0_4arch9wavefront6targetE0EEEvSK_
		.amdhsa_group_segment_fixed_size 0
		.amdhsa_private_segment_fixed_size 0
		.amdhsa_kernarg_size 56
		.amdhsa_user_sgpr_count 6
		.amdhsa_user_sgpr_private_segment_buffer 1
		.amdhsa_user_sgpr_dispatch_ptr 0
		.amdhsa_user_sgpr_queue_ptr 0
		.amdhsa_user_sgpr_kernarg_segment_ptr 1
		.amdhsa_user_sgpr_dispatch_id 0
		.amdhsa_user_sgpr_flat_scratch_init 0
		.amdhsa_user_sgpr_private_segment_size 0
		.amdhsa_wavefront_size32 1
		.amdhsa_uses_dynamic_stack 0
		.amdhsa_system_sgpr_private_segment_wavefront_offset 0
		.amdhsa_system_sgpr_workgroup_id_x 1
		.amdhsa_system_sgpr_workgroup_id_y 0
		.amdhsa_system_sgpr_workgroup_id_z 0
		.amdhsa_system_sgpr_workgroup_info 0
		.amdhsa_system_vgpr_workitem_id 0
		.amdhsa_next_free_vgpr 1
		.amdhsa_next_free_sgpr 1
		.amdhsa_reserve_vcc 0
		.amdhsa_reserve_flat_scratch 0
		.amdhsa_float_round_mode_32 0
		.amdhsa_float_round_mode_16_64 0
		.amdhsa_float_denorm_mode_32 3
		.amdhsa_float_denorm_mode_16_64 3
		.amdhsa_dx10_clamp 1
		.amdhsa_ieee_mode 1
		.amdhsa_fp16_overflow 0
		.amdhsa_workgroup_processor_mode 1
		.amdhsa_memory_ordered 1
		.amdhsa_forward_progress 1
		.amdhsa_shared_vgpr_count 0
		.amdhsa_exception_fp_ieee_invalid_op 0
		.amdhsa_exception_fp_denorm_src 0
		.amdhsa_exception_fp_ieee_div_zero 0
		.amdhsa_exception_fp_ieee_overflow 0
		.amdhsa_exception_fp_ieee_underflow 0
		.amdhsa_exception_fp_ieee_inexact 0
		.amdhsa_exception_int_div_zero 0
	.end_amdhsa_kernel
	.section	.text._ZN7rocprim17ROCPRIM_400000_NS6detail17trampoline_kernelINS0_14default_configENS1_38merge_sort_block_merge_config_selectorItNS0_10empty_typeEEEZZNS1_27merge_sort_block_merge_implIS3_N6thrust23THRUST_200600_302600_NS6detail15normal_iteratorINS9_10device_ptrItEEEEPS5_m9comp_mod3ItEEE10hipError_tT0_T1_T2_jT3_P12ihipStream_tbPNSt15iterator_traitsISJ_E10value_typeEPNSP_ISK_E10value_typeEPSL_NS1_7vsmem_tEENKUlT_SJ_SK_SL_E_clISE_PtSF_SF_EESI_SY_SJ_SK_SL_EUlSY_E1_NS1_11comp_targetILNS1_3genE9ELNS1_11target_archE1100ELNS1_3gpuE3ELNS1_3repE0EEENS1_36merge_oddeven_config_static_selectorELNS0_4arch9wavefront6targetE0EEEvSK_,"axG",@progbits,_ZN7rocprim17ROCPRIM_400000_NS6detail17trampoline_kernelINS0_14default_configENS1_38merge_sort_block_merge_config_selectorItNS0_10empty_typeEEEZZNS1_27merge_sort_block_merge_implIS3_N6thrust23THRUST_200600_302600_NS6detail15normal_iteratorINS9_10device_ptrItEEEEPS5_m9comp_mod3ItEEE10hipError_tT0_T1_T2_jT3_P12ihipStream_tbPNSt15iterator_traitsISJ_E10value_typeEPNSP_ISK_E10value_typeEPSL_NS1_7vsmem_tEENKUlT_SJ_SK_SL_E_clISE_PtSF_SF_EESI_SY_SJ_SK_SL_EUlSY_E1_NS1_11comp_targetILNS1_3genE9ELNS1_11target_archE1100ELNS1_3gpuE3ELNS1_3repE0EEENS1_36merge_oddeven_config_static_selectorELNS0_4arch9wavefront6targetE0EEEvSK_,comdat
.Lfunc_end920:
	.size	_ZN7rocprim17ROCPRIM_400000_NS6detail17trampoline_kernelINS0_14default_configENS1_38merge_sort_block_merge_config_selectorItNS0_10empty_typeEEEZZNS1_27merge_sort_block_merge_implIS3_N6thrust23THRUST_200600_302600_NS6detail15normal_iteratorINS9_10device_ptrItEEEEPS5_m9comp_mod3ItEEE10hipError_tT0_T1_T2_jT3_P12ihipStream_tbPNSt15iterator_traitsISJ_E10value_typeEPNSP_ISK_E10value_typeEPSL_NS1_7vsmem_tEENKUlT_SJ_SK_SL_E_clISE_PtSF_SF_EESI_SY_SJ_SK_SL_EUlSY_E1_NS1_11comp_targetILNS1_3genE9ELNS1_11target_archE1100ELNS1_3gpuE3ELNS1_3repE0EEENS1_36merge_oddeven_config_static_selectorELNS0_4arch9wavefront6targetE0EEEvSK_, .Lfunc_end920-_ZN7rocprim17ROCPRIM_400000_NS6detail17trampoline_kernelINS0_14default_configENS1_38merge_sort_block_merge_config_selectorItNS0_10empty_typeEEEZZNS1_27merge_sort_block_merge_implIS3_N6thrust23THRUST_200600_302600_NS6detail15normal_iteratorINS9_10device_ptrItEEEEPS5_m9comp_mod3ItEEE10hipError_tT0_T1_T2_jT3_P12ihipStream_tbPNSt15iterator_traitsISJ_E10value_typeEPNSP_ISK_E10value_typeEPSL_NS1_7vsmem_tEENKUlT_SJ_SK_SL_E_clISE_PtSF_SF_EESI_SY_SJ_SK_SL_EUlSY_E1_NS1_11comp_targetILNS1_3genE9ELNS1_11target_archE1100ELNS1_3gpuE3ELNS1_3repE0EEENS1_36merge_oddeven_config_static_selectorELNS0_4arch9wavefront6targetE0EEEvSK_
                                        ; -- End function
	.set _ZN7rocprim17ROCPRIM_400000_NS6detail17trampoline_kernelINS0_14default_configENS1_38merge_sort_block_merge_config_selectorItNS0_10empty_typeEEEZZNS1_27merge_sort_block_merge_implIS3_N6thrust23THRUST_200600_302600_NS6detail15normal_iteratorINS9_10device_ptrItEEEEPS5_m9comp_mod3ItEEE10hipError_tT0_T1_T2_jT3_P12ihipStream_tbPNSt15iterator_traitsISJ_E10value_typeEPNSP_ISK_E10value_typeEPSL_NS1_7vsmem_tEENKUlT_SJ_SK_SL_E_clISE_PtSF_SF_EESI_SY_SJ_SK_SL_EUlSY_E1_NS1_11comp_targetILNS1_3genE9ELNS1_11target_archE1100ELNS1_3gpuE3ELNS1_3repE0EEENS1_36merge_oddeven_config_static_selectorELNS0_4arch9wavefront6targetE0EEEvSK_.num_vgpr, 0
	.set _ZN7rocprim17ROCPRIM_400000_NS6detail17trampoline_kernelINS0_14default_configENS1_38merge_sort_block_merge_config_selectorItNS0_10empty_typeEEEZZNS1_27merge_sort_block_merge_implIS3_N6thrust23THRUST_200600_302600_NS6detail15normal_iteratorINS9_10device_ptrItEEEEPS5_m9comp_mod3ItEEE10hipError_tT0_T1_T2_jT3_P12ihipStream_tbPNSt15iterator_traitsISJ_E10value_typeEPNSP_ISK_E10value_typeEPSL_NS1_7vsmem_tEENKUlT_SJ_SK_SL_E_clISE_PtSF_SF_EESI_SY_SJ_SK_SL_EUlSY_E1_NS1_11comp_targetILNS1_3genE9ELNS1_11target_archE1100ELNS1_3gpuE3ELNS1_3repE0EEENS1_36merge_oddeven_config_static_selectorELNS0_4arch9wavefront6targetE0EEEvSK_.num_agpr, 0
	.set _ZN7rocprim17ROCPRIM_400000_NS6detail17trampoline_kernelINS0_14default_configENS1_38merge_sort_block_merge_config_selectorItNS0_10empty_typeEEEZZNS1_27merge_sort_block_merge_implIS3_N6thrust23THRUST_200600_302600_NS6detail15normal_iteratorINS9_10device_ptrItEEEEPS5_m9comp_mod3ItEEE10hipError_tT0_T1_T2_jT3_P12ihipStream_tbPNSt15iterator_traitsISJ_E10value_typeEPNSP_ISK_E10value_typeEPSL_NS1_7vsmem_tEENKUlT_SJ_SK_SL_E_clISE_PtSF_SF_EESI_SY_SJ_SK_SL_EUlSY_E1_NS1_11comp_targetILNS1_3genE9ELNS1_11target_archE1100ELNS1_3gpuE3ELNS1_3repE0EEENS1_36merge_oddeven_config_static_selectorELNS0_4arch9wavefront6targetE0EEEvSK_.numbered_sgpr, 0
	.set _ZN7rocprim17ROCPRIM_400000_NS6detail17trampoline_kernelINS0_14default_configENS1_38merge_sort_block_merge_config_selectorItNS0_10empty_typeEEEZZNS1_27merge_sort_block_merge_implIS3_N6thrust23THRUST_200600_302600_NS6detail15normal_iteratorINS9_10device_ptrItEEEEPS5_m9comp_mod3ItEEE10hipError_tT0_T1_T2_jT3_P12ihipStream_tbPNSt15iterator_traitsISJ_E10value_typeEPNSP_ISK_E10value_typeEPSL_NS1_7vsmem_tEENKUlT_SJ_SK_SL_E_clISE_PtSF_SF_EESI_SY_SJ_SK_SL_EUlSY_E1_NS1_11comp_targetILNS1_3genE9ELNS1_11target_archE1100ELNS1_3gpuE3ELNS1_3repE0EEENS1_36merge_oddeven_config_static_selectorELNS0_4arch9wavefront6targetE0EEEvSK_.num_named_barrier, 0
	.set _ZN7rocprim17ROCPRIM_400000_NS6detail17trampoline_kernelINS0_14default_configENS1_38merge_sort_block_merge_config_selectorItNS0_10empty_typeEEEZZNS1_27merge_sort_block_merge_implIS3_N6thrust23THRUST_200600_302600_NS6detail15normal_iteratorINS9_10device_ptrItEEEEPS5_m9comp_mod3ItEEE10hipError_tT0_T1_T2_jT3_P12ihipStream_tbPNSt15iterator_traitsISJ_E10value_typeEPNSP_ISK_E10value_typeEPSL_NS1_7vsmem_tEENKUlT_SJ_SK_SL_E_clISE_PtSF_SF_EESI_SY_SJ_SK_SL_EUlSY_E1_NS1_11comp_targetILNS1_3genE9ELNS1_11target_archE1100ELNS1_3gpuE3ELNS1_3repE0EEENS1_36merge_oddeven_config_static_selectorELNS0_4arch9wavefront6targetE0EEEvSK_.private_seg_size, 0
	.set _ZN7rocprim17ROCPRIM_400000_NS6detail17trampoline_kernelINS0_14default_configENS1_38merge_sort_block_merge_config_selectorItNS0_10empty_typeEEEZZNS1_27merge_sort_block_merge_implIS3_N6thrust23THRUST_200600_302600_NS6detail15normal_iteratorINS9_10device_ptrItEEEEPS5_m9comp_mod3ItEEE10hipError_tT0_T1_T2_jT3_P12ihipStream_tbPNSt15iterator_traitsISJ_E10value_typeEPNSP_ISK_E10value_typeEPSL_NS1_7vsmem_tEENKUlT_SJ_SK_SL_E_clISE_PtSF_SF_EESI_SY_SJ_SK_SL_EUlSY_E1_NS1_11comp_targetILNS1_3genE9ELNS1_11target_archE1100ELNS1_3gpuE3ELNS1_3repE0EEENS1_36merge_oddeven_config_static_selectorELNS0_4arch9wavefront6targetE0EEEvSK_.uses_vcc, 0
	.set _ZN7rocprim17ROCPRIM_400000_NS6detail17trampoline_kernelINS0_14default_configENS1_38merge_sort_block_merge_config_selectorItNS0_10empty_typeEEEZZNS1_27merge_sort_block_merge_implIS3_N6thrust23THRUST_200600_302600_NS6detail15normal_iteratorINS9_10device_ptrItEEEEPS5_m9comp_mod3ItEEE10hipError_tT0_T1_T2_jT3_P12ihipStream_tbPNSt15iterator_traitsISJ_E10value_typeEPNSP_ISK_E10value_typeEPSL_NS1_7vsmem_tEENKUlT_SJ_SK_SL_E_clISE_PtSF_SF_EESI_SY_SJ_SK_SL_EUlSY_E1_NS1_11comp_targetILNS1_3genE9ELNS1_11target_archE1100ELNS1_3gpuE3ELNS1_3repE0EEENS1_36merge_oddeven_config_static_selectorELNS0_4arch9wavefront6targetE0EEEvSK_.uses_flat_scratch, 0
	.set _ZN7rocprim17ROCPRIM_400000_NS6detail17trampoline_kernelINS0_14default_configENS1_38merge_sort_block_merge_config_selectorItNS0_10empty_typeEEEZZNS1_27merge_sort_block_merge_implIS3_N6thrust23THRUST_200600_302600_NS6detail15normal_iteratorINS9_10device_ptrItEEEEPS5_m9comp_mod3ItEEE10hipError_tT0_T1_T2_jT3_P12ihipStream_tbPNSt15iterator_traitsISJ_E10value_typeEPNSP_ISK_E10value_typeEPSL_NS1_7vsmem_tEENKUlT_SJ_SK_SL_E_clISE_PtSF_SF_EESI_SY_SJ_SK_SL_EUlSY_E1_NS1_11comp_targetILNS1_3genE9ELNS1_11target_archE1100ELNS1_3gpuE3ELNS1_3repE0EEENS1_36merge_oddeven_config_static_selectorELNS0_4arch9wavefront6targetE0EEEvSK_.has_dyn_sized_stack, 0
	.set _ZN7rocprim17ROCPRIM_400000_NS6detail17trampoline_kernelINS0_14default_configENS1_38merge_sort_block_merge_config_selectorItNS0_10empty_typeEEEZZNS1_27merge_sort_block_merge_implIS3_N6thrust23THRUST_200600_302600_NS6detail15normal_iteratorINS9_10device_ptrItEEEEPS5_m9comp_mod3ItEEE10hipError_tT0_T1_T2_jT3_P12ihipStream_tbPNSt15iterator_traitsISJ_E10value_typeEPNSP_ISK_E10value_typeEPSL_NS1_7vsmem_tEENKUlT_SJ_SK_SL_E_clISE_PtSF_SF_EESI_SY_SJ_SK_SL_EUlSY_E1_NS1_11comp_targetILNS1_3genE9ELNS1_11target_archE1100ELNS1_3gpuE3ELNS1_3repE0EEENS1_36merge_oddeven_config_static_selectorELNS0_4arch9wavefront6targetE0EEEvSK_.has_recursion, 0
	.set _ZN7rocprim17ROCPRIM_400000_NS6detail17trampoline_kernelINS0_14default_configENS1_38merge_sort_block_merge_config_selectorItNS0_10empty_typeEEEZZNS1_27merge_sort_block_merge_implIS3_N6thrust23THRUST_200600_302600_NS6detail15normal_iteratorINS9_10device_ptrItEEEEPS5_m9comp_mod3ItEEE10hipError_tT0_T1_T2_jT3_P12ihipStream_tbPNSt15iterator_traitsISJ_E10value_typeEPNSP_ISK_E10value_typeEPSL_NS1_7vsmem_tEENKUlT_SJ_SK_SL_E_clISE_PtSF_SF_EESI_SY_SJ_SK_SL_EUlSY_E1_NS1_11comp_targetILNS1_3genE9ELNS1_11target_archE1100ELNS1_3gpuE3ELNS1_3repE0EEENS1_36merge_oddeven_config_static_selectorELNS0_4arch9wavefront6targetE0EEEvSK_.has_indirect_call, 0
	.section	.AMDGPU.csdata,"",@progbits
; Kernel info:
; codeLenInByte = 0
; TotalNumSgprs: 0
; NumVgprs: 0
; ScratchSize: 0
; MemoryBound: 0
; FloatMode: 240
; IeeeMode: 1
; LDSByteSize: 0 bytes/workgroup (compile time only)
; SGPRBlocks: 0
; VGPRBlocks: 0
; NumSGPRsForWavesPerEU: 1
; NumVGPRsForWavesPerEU: 1
; Occupancy: 16
; WaveLimiterHint : 0
; COMPUTE_PGM_RSRC2:SCRATCH_EN: 0
; COMPUTE_PGM_RSRC2:USER_SGPR: 6
; COMPUTE_PGM_RSRC2:TRAP_HANDLER: 0
; COMPUTE_PGM_RSRC2:TGID_X_EN: 1
; COMPUTE_PGM_RSRC2:TGID_Y_EN: 0
; COMPUTE_PGM_RSRC2:TGID_Z_EN: 0
; COMPUTE_PGM_RSRC2:TIDIG_COMP_CNT: 0
	.section	.text._ZN7rocprim17ROCPRIM_400000_NS6detail17trampoline_kernelINS0_14default_configENS1_38merge_sort_block_merge_config_selectorItNS0_10empty_typeEEEZZNS1_27merge_sort_block_merge_implIS3_N6thrust23THRUST_200600_302600_NS6detail15normal_iteratorINS9_10device_ptrItEEEEPS5_m9comp_mod3ItEEE10hipError_tT0_T1_T2_jT3_P12ihipStream_tbPNSt15iterator_traitsISJ_E10value_typeEPNSP_ISK_E10value_typeEPSL_NS1_7vsmem_tEENKUlT_SJ_SK_SL_E_clISE_PtSF_SF_EESI_SY_SJ_SK_SL_EUlSY_E1_NS1_11comp_targetILNS1_3genE8ELNS1_11target_archE1030ELNS1_3gpuE2ELNS1_3repE0EEENS1_36merge_oddeven_config_static_selectorELNS0_4arch9wavefront6targetE0EEEvSK_,"axG",@progbits,_ZN7rocprim17ROCPRIM_400000_NS6detail17trampoline_kernelINS0_14default_configENS1_38merge_sort_block_merge_config_selectorItNS0_10empty_typeEEEZZNS1_27merge_sort_block_merge_implIS3_N6thrust23THRUST_200600_302600_NS6detail15normal_iteratorINS9_10device_ptrItEEEEPS5_m9comp_mod3ItEEE10hipError_tT0_T1_T2_jT3_P12ihipStream_tbPNSt15iterator_traitsISJ_E10value_typeEPNSP_ISK_E10value_typeEPSL_NS1_7vsmem_tEENKUlT_SJ_SK_SL_E_clISE_PtSF_SF_EESI_SY_SJ_SK_SL_EUlSY_E1_NS1_11comp_targetILNS1_3genE8ELNS1_11target_archE1030ELNS1_3gpuE2ELNS1_3repE0EEENS1_36merge_oddeven_config_static_selectorELNS0_4arch9wavefront6targetE0EEEvSK_,comdat
	.protected	_ZN7rocprim17ROCPRIM_400000_NS6detail17trampoline_kernelINS0_14default_configENS1_38merge_sort_block_merge_config_selectorItNS0_10empty_typeEEEZZNS1_27merge_sort_block_merge_implIS3_N6thrust23THRUST_200600_302600_NS6detail15normal_iteratorINS9_10device_ptrItEEEEPS5_m9comp_mod3ItEEE10hipError_tT0_T1_T2_jT3_P12ihipStream_tbPNSt15iterator_traitsISJ_E10value_typeEPNSP_ISK_E10value_typeEPSL_NS1_7vsmem_tEENKUlT_SJ_SK_SL_E_clISE_PtSF_SF_EESI_SY_SJ_SK_SL_EUlSY_E1_NS1_11comp_targetILNS1_3genE8ELNS1_11target_archE1030ELNS1_3gpuE2ELNS1_3repE0EEENS1_36merge_oddeven_config_static_selectorELNS0_4arch9wavefront6targetE0EEEvSK_ ; -- Begin function _ZN7rocprim17ROCPRIM_400000_NS6detail17trampoline_kernelINS0_14default_configENS1_38merge_sort_block_merge_config_selectorItNS0_10empty_typeEEEZZNS1_27merge_sort_block_merge_implIS3_N6thrust23THRUST_200600_302600_NS6detail15normal_iteratorINS9_10device_ptrItEEEEPS5_m9comp_mod3ItEEE10hipError_tT0_T1_T2_jT3_P12ihipStream_tbPNSt15iterator_traitsISJ_E10value_typeEPNSP_ISK_E10value_typeEPSL_NS1_7vsmem_tEENKUlT_SJ_SK_SL_E_clISE_PtSF_SF_EESI_SY_SJ_SK_SL_EUlSY_E1_NS1_11comp_targetILNS1_3genE8ELNS1_11target_archE1030ELNS1_3gpuE2ELNS1_3repE0EEENS1_36merge_oddeven_config_static_selectorELNS0_4arch9wavefront6targetE0EEEvSK_
	.globl	_ZN7rocprim17ROCPRIM_400000_NS6detail17trampoline_kernelINS0_14default_configENS1_38merge_sort_block_merge_config_selectorItNS0_10empty_typeEEEZZNS1_27merge_sort_block_merge_implIS3_N6thrust23THRUST_200600_302600_NS6detail15normal_iteratorINS9_10device_ptrItEEEEPS5_m9comp_mod3ItEEE10hipError_tT0_T1_T2_jT3_P12ihipStream_tbPNSt15iterator_traitsISJ_E10value_typeEPNSP_ISK_E10value_typeEPSL_NS1_7vsmem_tEENKUlT_SJ_SK_SL_E_clISE_PtSF_SF_EESI_SY_SJ_SK_SL_EUlSY_E1_NS1_11comp_targetILNS1_3genE8ELNS1_11target_archE1030ELNS1_3gpuE2ELNS1_3repE0EEENS1_36merge_oddeven_config_static_selectorELNS0_4arch9wavefront6targetE0EEEvSK_
	.p2align	8
	.type	_ZN7rocprim17ROCPRIM_400000_NS6detail17trampoline_kernelINS0_14default_configENS1_38merge_sort_block_merge_config_selectorItNS0_10empty_typeEEEZZNS1_27merge_sort_block_merge_implIS3_N6thrust23THRUST_200600_302600_NS6detail15normal_iteratorINS9_10device_ptrItEEEEPS5_m9comp_mod3ItEEE10hipError_tT0_T1_T2_jT3_P12ihipStream_tbPNSt15iterator_traitsISJ_E10value_typeEPNSP_ISK_E10value_typeEPSL_NS1_7vsmem_tEENKUlT_SJ_SK_SL_E_clISE_PtSF_SF_EESI_SY_SJ_SK_SL_EUlSY_E1_NS1_11comp_targetILNS1_3genE8ELNS1_11target_archE1030ELNS1_3gpuE2ELNS1_3repE0EEENS1_36merge_oddeven_config_static_selectorELNS0_4arch9wavefront6targetE0EEEvSK_,@function
_ZN7rocprim17ROCPRIM_400000_NS6detail17trampoline_kernelINS0_14default_configENS1_38merge_sort_block_merge_config_selectorItNS0_10empty_typeEEEZZNS1_27merge_sort_block_merge_implIS3_N6thrust23THRUST_200600_302600_NS6detail15normal_iteratorINS9_10device_ptrItEEEEPS5_m9comp_mod3ItEEE10hipError_tT0_T1_T2_jT3_P12ihipStream_tbPNSt15iterator_traitsISJ_E10value_typeEPNSP_ISK_E10value_typeEPSL_NS1_7vsmem_tEENKUlT_SJ_SK_SL_E_clISE_PtSF_SF_EESI_SY_SJ_SK_SL_EUlSY_E1_NS1_11comp_targetILNS1_3genE8ELNS1_11target_archE1030ELNS1_3gpuE2ELNS1_3repE0EEENS1_36merge_oddeven_config_static_selectorELNS0_4arch9wavefront6targetE0EEEvSK_: ; @_ZN7rocprim17ROCPRIM_400000_NS6detail17trampoline_kernelINS0_14default_configENS1_38merge_sort_block_merge_config_selectorItNS0_10empty_typeEEEZZNS1_27merge_sort_block_merge_implIS3_N6thrust23THRUST_200600_302600_NS6detail15normal_iteratorINS9_10device_ptrItEEEEPS5_m9comp_mod3ItEEE10hipError_tT0_T1_T2_jT3_P12ihipStream_tbPNSt15iterator_traitsISJ_E10value_typeEPNSP_ISK_E10value_typeEPSL_NS1_7vsmem_tEENKUlT_SJ_SK_SL_E_clISE_PtSF_SF_EESI_SY_SJ_SK_SL_EUlSY_E1_NS1_11comp_targetILNS1_3genE8ELNS1_11target_archE1030ELNS1_3gpuE2ELNS1_3repE0EEENS1_36merge_oddeven_config_static_selectorELNS0_4arch9wavefront6targetE0EEEvSK_
; %bb.0:
	s_load_dword s7, s[4:5], 0x20
	s_waitcnt lgkmcnt(0)
	s_lshr_b32 s0, s7, 8
	s_cmp_lg_u32 s6, s0
	s_cselect_b32 s14, -1, 0
	s_cmp_eq_u32 s6, s0
	s_cselect_b32 s12, -1, 0
	s_lshl_b32 s2, s6, 8
	s_sub_i32 s0, s7, s2
	v_cmp_gt_u32_e64 s0, s0, v0
	s_or_b32 s1, s14, s0
	s_and_saveexec_b32 s3, s1
	s_cbranch_execz .LBB921_28
; %bb.1:
	s_clause 0x1
	s_load_dwordx4 s[8:11], s[4:5], 0x0
	s_load_dword s13, s[4:5], 0x28
	s_mov_b32 s3, 0
	v_lshlrev_b32_e32 v1, 1, v0
	s_lshl_b64 s[16:17], s[2:3], 1
	v_add_nc_u32_e32 v2, s2, v0
	s_waitcnt lgkmcnt(0)
	s_add_u32 s16, s8, s16
	s_addc_u32 s17, s9, s17
	s_lshr_b32 s1, s13, 8
	global_load_ushort v4, v1, s[16:17]
	s_sub_i32 s15, 0, s1
	s_and_b32 s6, s6, s15
	s_and_b32 s16, s6, s1
	s_cmp_lg_u32 s16, 0
	s_cselect_b32 s1, -1, 0
	s_lshl_b32 s15, s6, 8
	s_sub_i32 s6, 0, s13
	s_cmp_eq_u32 s16, 0
	s_cselect_b32 s6, s13, s6
	s_add_i32 s6, s6, s15
	s_cmp_lt_u32 s6, s7
	s_cbranch_scc1 .LBB921_3
; %bb.2:
	v_cmp_gt_u32_e32 vcc_lo, s7, v2
	s_or_b32 s3, vcc_lo, s14
	s_and_b32 s3, s3, exec_lo
	s_cbranch_execz .LBB921_4
	s_branch .LBB921_26
.LBB921_3:
.LBB921_4:
	s_load_dwordx2 s[4:5], s[4:5], 0x30
	v_mov_b32_e32 v0, 1
	s_min_u32 s2, s6, s7
	s_and_b32 vcc_lo, exec_lo, s12
	s_add_i32 s14, s15, s2
	s_add_i32 s13, s2, s13
	v_subrev_nc_u32_e32 v1, s14, v2
	s_waitcnt vmcnt(0)
	v_lshlrev_b32_sdwa v0, v0, v4 dst_sel:DWORD dst_unused:UNUSED_PAD src0_sel:DWORD src1_sel:WORD_0
	s_min_u32 s14, s15, s2
	s_min_u32 s7, s13, s7
	v_add_nc_u32_e32 v3, s14, v1
	s_waitcnt lgkmcnt(0)
	v_add_co_u32 v0, s14, s4, v0
	v_add_co_ci_u32_e64 v1, null, s5, 0, s14
	s_cbranch_vccz .LBB921_13
; %bb.5:
                                        ; implicit-def: $vgpr2
	s_and_saveexec_b32 s12, s0
	s_cbranch_execz .LBB921_16
; %bb.6:
	v_mov_b32_e32 v2, s2
	s_cmp_ge_u32 s6, s7
	s_cbranch_scc1 .LBB921_15
; %bb.7:
	v_mov_b32_e32 v5, s7
	v_mov_b32_e32 v2, s2
	;; [unrolled: 1-line block ×3, first 2 shown]
	s_mov_b32 s0, 0
	s_inst_prefetch 0x1
	s_branch .LBB921_9
	.p2align	6
.LBB921_8:                              ;   in Loop: Header=BB921_9 Depth=1
	v_lshrrev_b32_e32 v7, 1, v7
	v_add_nc_u32_e32 v8, 1, v7
	v_cndmask_b32_e64 v5, v7, v5, s13
	v_cndmask_b32_e64 v2, v2, v8, s13
	v_cmp_ge_u32_e32 vcc_lo, v2, v5
	s_or_b32 s0, vcc_lo, s0
	s_andn2_b32 exec_lo, exec_lo, s0
	s_cbranch_execz .LBB921_14
.LBB921_9:                              ; =>This Inner Loop Header: Depth=1
	v_add_nc_u32_e32 v7, v2, v5
	s_andn2_b32 vcc_lo, exec_lo, s1
	s_mov_b32 s14, -1
                                        ; implicit-def: $sgpr13
	v_and_b32_e32 v8, -2, v7
	global_load_ushort v8, v8, s[8:9]
	s_waitcnt vmcnt(0)
	v_lshlrev_b32_sdwa v8, v6, v8 dst_sel:DWORD dst_unused:UNUSED_PAD src0_sel:DWORD src1_sel:WORD_0
	s_cbranch_vccnz .LBB921_11
; %bb.10:                               ;   in Loop: Header=BB921_9 Depth=1
	s_clause 0x1
	global_load_ushort v9, v[0:1], off
	global_load_ushort v10, v8, s[4:5]
	s_mov_b32 s14, 0
	s_waitcnt vmcnt(0)
	v_cmp_ge_u16_e64 s13, v9, v10
.LBB921_11:                             ;   in Loop: Header=BB921_9 Depth=1
	s_andn2_b32 vcc_lo, exec_lo, s14
	s_cbranch_vccnz .LBB921_8
; %bb.12:                               ;   in Loop: Header=BB921_9 Depth=1
	s_clause 0x1
	global_load_ushort v8, v8, s[4:5]
	global_load_ushort v9, v[0:1], off
	s_andn2_b32 s13, s13, exec_lo
	s_waitcnt vmcnt(0)
	v_cmp_lt_u16_e32 vcc_lo, v8, v9
	s_and_b32 s14, vcc_lo, exec_lo
	s_or_b32 s13, s13, s14
	s_branch .LBB921_8
.LBB921_13:
                                        ; implicit-def: $vgpr2
	s_cbranch_execnz .LBB921_17
	s_branch .LBB921_26
.LBB921_14:
	s_inst_prefetch 0x2
	s_or_b32 exec_lo, exec_lo, s0
.LBB921_15:
	v_add_nc_u32_e32 v2, v2, v3
	s_or_b32 s3, s3, exec_lo
.LBB921_16:
	s_or_b32 exec_lo, exec_lo, s12
	s_branch .LBB921_26
.LBB921_17:
	v_mov_b32_e32 v2, s2
	s_cmp_ge_u32 s6, s7
	s_cbranch_scc1 .LBB921_25
; %bb.18:
	v_mov_b32_e32 v5, s7
	v_mov_b32_e32 v2, s2
	;; [unrolled: 1-line block ×3, first 2 shown]
	s_mov_b32 s0, 0
	s_inst_prefetch 0x1
	s_branch .LBB921_20
	.p2align	6
.LBB921_19:                             ;   in Loop: Header=BB921_20 Depth=1
	v_lshrrev_b32_e32 v7, 1, v7
	v_add_nc_u32_e32 v8, 1, v7
	v_cndmask_b32_e64 v5, v7, v5, s2
	v_cndmask_b32_e64 v2, v2, v8, s2
	v_cmp_ge_u32_e32 vcc_lo, v2, v5
	s_or_b32 s0, vcc_lo, s0
	s_andn2_b32 exec_lo, exec_lo, s0
	s_cbranch_execz .LBB921_24
.LBB921_20:                             ; =>This Inner Loop Header: Depth=1
	v_add_nc_u32_e32 v7, v2, v5
	s_andn2_b32 vcc_lo, exec_lo, s1
	s_mov_b32 s3, -1
                                        ; implicit-def: $sgpr2
	v_and_b32_e32 v8, -2, v7
	global_load_ushort v8, v8, s[8:9]
	s_waitcnt vmcnt(0)
	v_lshlrev_b32_sdwa v8, v6, v8 dst_sel:DWORD dst_unused:UNUSED_PAD src0_sel:DWORD src1_sel:WORD_0
	s_cbranch_vccnz .LBB921_22
; %bb.21:                               ;   in Loop: Header=BB921_20 Depth=1
	s_clause 0x1
	global_load_ushort v9, v[0:1], off
	global_load_ushort v10, v8, s[4:5]
	s_mov_b32 s3, 0
	s_waitcnt vmcnt(0)
	v_cmp_ge_u16_e64 s2, v9, v10
.LBB921_22:                             ;   in Loop: Header=BB921_20 Depth=1
	s_andn2_b32 vcc_lo, exec_lo, s3
	s_cbranch_vccnz .LBB921_19
; %bb.23:                               ;   in Loop: Header=BB921_20 Depth=1
	s_clause 0x1
	global_load_ushort v8, v8, s[4:5]
	global_load_ushort v9, v[0:1], off
	s_andn2_b32 s2, s2, exec_lo
	s_waitcnt vmcnt(0)
	v_cmp_lt_u16_e32 vcc_lo, v8, v9
	s_and_b32 s3, vcc_lo, exec_lo
	s_or_b32 s2, s2, s3
	s_branch .LBB921_19
.LBB921_24:
	s_inst_prefetch 0x2
	s_or_b32 exec_lo, exec_lo, s0
.LBB921_25:
	v_add_nc_u32_e32 v2, v2, v3
	s_mov_b32 s3, -1
.LBB921_26:
	s_and_b32 exec_lo, exec_lo, s3
	s_cbranch_execz .LBB921_28
; %bb.27:
	v_mov_b32_e32 v3, 0
	v_lshlrev_b64 v[0:1], 1, v[2:3]
	v_add_co_u32 v0, vcc_lo, s10, v0
	v_add_co_ci_u32_e64 v1, null, s11, v1, vcc_lo
	s_waitcnt vmcnt(0)
	global_store_short v[0:1], v4, off
.LBB921_28:
	s_endpgm
	.section	.rodata,"a",@progbits
	.p2align	6, 0x0
	.amdhsa_kernel _ZN7rocprim17ROCPRIM_400000_NS6detail17trampoline_kernelINS0_14default_configENS1_38merge_sort_block_merge_config_selectorItNS0_10empty_typeEEEZZNS1_27merge_sort_block_merge_implIS3_N6thrust23THRUST_200600_302600_NS6detail15normal_iteratorINS9_10device_ptrItEEEEPS5_m9comp_mod3ItEEE10hipError_tT0_T1_T2_jT3_P12ihipStream_tbPNSt15iterator_traitsISJ_E10value_typeEPNSP_ISK_E10value_typeEPSL_NS1_7vsmem_tEENKUlT_SJ_SK_SL_E_clISE_PtSF_SF_EESI_SY_SJ_SK_SL_EUlSY_E1_NS1_11comp_targetILNS1_3genE8ELNS1_11target_archE1030ELNS1_3gpuE2ELNS1_3repE0EEENS1_36merge_oddeven_config_static_selectorELNS0_4arch9wavefront6targetE0EEEvSK_
		.amdhsa_group_segment_fixed_size 0
		.amdhsa_private_segment_fixed_size 0
		.amdhsa_kernarg_size 56
		.amdhsa_user_sgpr_count 6
		.amdhsa_user_sgpr_private_segment_buffer 1
		.amdhsa_user_sgpr_dispatch_ptr 0
		.amdhsa_user_sgpr_queue_ptr 0
		.amdhsa_user_sgpr_kernarg_segment_ptr 1
		.amdhsa_user_sgpr_dispatch_id 0
		.amdhsa_user_sgpr_flat_scratch_init 0
		.amdhsa_user_sgpr_private_segment_size 0
		.amdhsa_wavefront_size32 1
		.amdhsa_uses_dynamic_stack 0
		.amdhsa_system_sgpr_private_segment_wavefront_offset 0
		.amdhsa_system_sgpr_workgroup_id_x 1
		.amdhsa_system_sgpr_workgroup_id_y 0
		.amdhsa_system_sgpr_workgroup_id_z 0
		.amdhsa_system_sgpr_workgroup_info 0
		.amdhsa_system_vgpr_workitem_id 0
		.amdhsa_next_free_vgpr 11
		.amdhsa_next_free_sgpr 18
		.amdhsa_reserve_vcc 1
		.amdhsa_reserve_flat_scratch 0
		.amdhsa_float_round_mode_32 0
		.amdhsa_float_round_mode_16_64 0
		.amdhsa_float_denorm_mode_32 3
		.amdhsa_float_denorm_mode_16_64 3
		.amdhsa_dx10_clamp 1
		.amdhsa_ieee_mode 1
		.amdhsa_fp16_overflow 0
		.amdhsa_workgroup_processor_mode 1
		.amdhsa_memory_ordered 1
		.amdhsa_forward_progress 1
		.amdhsa_shared_vgpr_count 0
		.amdhsa_exception_fp_ieee_invalid_op 0
		.amdhsa_exception_fp_denorm_src 0
		.amdhsa_exception_fp_ieee_div_zero 0
		.amdhsa_exception_fp_ieee_overflow 0
		.amdhsa_exception_fp_ieee_underflow 0
		.amdhsa_exception_fp_ieee_inexact 0
		.amdhsa_exception_int_div_zero 0
	.end_amdhsa_kernel
	.section	.text._ZN7rocprim17ROCPRIM_400000_NS6detail17trampoline_kernelINS0_14default_configENS1_38merge_sort_block_merge_config_selectorItNS0_10empty_typeEEEZZNS1_27merge_sort_block_merge_implIS3_N6thrust23THRUST_200600_302600_NS6detail15normal_iteratorINS9_10device_ptrItEEEEPS5_m9comp_mod3ItEEE10hipError_tT0_T1_T2_jT3_P12ihipStream_tbPNSt15iterator_traitsISJ_E10value_typeEPNSP_ISK_E10value_typeEPSL_NS1_7vsmem_tEENKUlT_SJ_SK_SL_E_clISE_PtSF_SF_EESI_SY_SJ_SK_SL_EUlSY_E1_NS1_11comp_targetILNS1_3genE8ELNS1_11target_archE1030ELNS1_3gpuE2ELNS1_3repE0EEENS1_36merge_oddeven_config_static_selectorELNS0_4arch9wavefront6targetE0EEEvSK_,"axG",@progbits,_ZN7rocprim17ROCPRIM_400000_NS6detail17trampoline_kernelINS0_14default_configENS1_38merge_sort_block_merge_config_selectorItNS0_10empty_typeEEEZZNS1_27merge_sort_block_merge_implIS3_N6thrust23THRUST_200600_302600_NS6detail15normal_iteratorINS9_10device_ptrItEEEEPS5_m9comp_mod3ItEEE10hipError_tT0_T1_T2_jT3_P12ihipStream_tbPNSt15iterator_traitsISJ_E10value_typeEPNSP_ISK_E10value_typeEPSL_NS1_7vsmem_tEENKUlT_SJ_SK_SL_E_clISE_PtSF_SF_EESI_SY_SJ_SK_SL_EUlSY_E1_NS1_11comp_targetILNS1_3genE8ELNS1_11target_archE1030ELNS1_3gpuE2ELNS1_3repE0EEENS1_36merge_oddeven_config_static_selectorELNS0_4arch9wavefront6targetE0EEEvSK_,comdat
.Lfunc_end921:
	.size	_ZN7rocprim17ROCPRIM_400000_NS6detail17trampoline_kernelINS0_14default_configENS1_38merge_sort_block_merge_config_selectorItNS0_10empty_typeEEEZZNS1_27merge_sort_block_merge_implIS3_N6thrust23THRUST_200600_302600_NS6detail15normal_iteratorINS9_10device_ptrItEEEEPS5_m9comp_mod3ItEEE10hipError_tT0_T1_T2_jT3_P12ihipStream_tbPNSt15iterator_traitsISJ_E10value_typeEPNSP_ISK_E10value_typeEPSL_NS1_7vsmem_tEENKUlT_SJ_SK_SL_E_clISE_PtSF_SF_EESI_SY_SJ_SK_SL_EUlSY_E1_NS1_11comp_targetILNS1_3genE8ELNS1_11target_archE1030ELNS1_3gpuE2ELNS1_3repE0EEENS1_36merge_oddeven_config_static_selectorELNS0_4arch9wavefront6targetE0EEEvSK_, .Lfunc_end921-_ZN7rocprim17ROCPRIM_400000_NS6detail17trampoline_kernelINS0_14default_configENS1_38merge_sort_block_merge_config_selectorItNS0_10empty_typeEEEZZNS1_27merge_sort_block_merge_implIS3_N6thrust23THRUST_200600_302600_NS6detail15normal_iteratorINS9_10device_ptrItEEEEPS5_m9comp_mod3ItEEE10hipError_tT0_T1_T2_jT3_P12ihipStream_tbPNSt15iterator_traitsISJ_E10value_typeEPNSP_ISK_E10value_typeEPSL_NS1_7vsmem_tEENKUlT_SJ_SK_SL_E_clISE_PtSF_SF_EESI_SY_SJ_SK_SL_EUlSY_E1_NS1_11comp_targetILNS1_3genE8ELNS1_11target_archE1030ELNS1_3gpuE2ELNS1_3repE0EEENS1_36merge_oddeven_config_static_selectorELNS0_4arch9wavefront6targetE0EEEvSK_
                                        ; -- End function
	.set _ZN7rocprim17ROCPRIM_400000_NS6detail17trampoline_kernelINS0_14default_configENS1_38merge_sort_block_merge_config_selectorItNS0_10empty_typeEEEZZNS1_27merge_sort_block_merge_implIS3_N6thrust23THRUST_200600_302600_NS6detail15normal_iteratorINS9_10device_ptrItEEEEPS5_m9comp_mod3ItEEE10hipError_tT0_T1_T2_jT3_P12ihipStream_tbPNSt15iterator_traitsISJ_E10value_typeEPNSP_ISK_E10value_typeEPSL_NS1_7vsmem_tEENKUlT_SJ_SK_SL_E_clISE_PtSF_SF_EESI_SY_SJ_SK_SL_EUlSY_E1_NS1_11comp_targetILNS1_3genE8ELNS1_11target_archE1030ELNS1_3gpuE2ELNS1_3repE0EEENS1_36merge_oddeven_config_static_selectorELNS0_4arch9wavefront6targetE0EEEvSK_.num_vgpr, 11
	.set _ZN7rocprim17ROCPRIM_400000_NS6detail17trampoline_kernelINS0_14default_configENS1_38merge_sort_block_merge_config_selectorItNS0_10empty_typeEEEZZNS1_27merge_sort_block_merge_implIS3_N6thrust23THRUST_200600_302600_NS6detail15normal_iteratorINS9_10device_ptrItEEEEPS5_m9comp_mod3ItEEE10hipError_tT0_T1_T2_jT3_P12ihipStream_tbPNSt15iterator_traitsISJ_E10value_typeEPNSP_ISK_E10value_typeEPSL_NS1_7vsmem_tEENKUlT_SJ_SK_SL_E_clISE_PtSF_SF_EESI_SY_SJ_SK_SL_EUlSY_E1_NS1_11comp_targetILNS1_3genE8ELNS1_11target_archE1030ELNS1_3gpuE2ELNS1_3repE0EEENS1_36merge_oddeven_config_static_selectorELNS0_4arch9wavefront6targetE0EEEvSK_.num_agpr, 0
	.set _ZN7rocprim17ROCPRIM_400000_NS6detail17trampoline_kernelINS0_14default_configENS1_38merge_sort_block_merge_config_selectorItNS0_10empty_typeEEEZZNS1_27merge_sort_block_merge_implIS3_N6thrust23THRUST_200600_302600_NS6detail15normal_iteratorINS9_10device_ptrItEEEEPS5_m9comp_mod3ItEEE10hipError_tT0_T1_T2_jT3_P12ihipStream_tbPNSt15iterator_traitsISJ_E10value_typeEPNSP_ISK_E10value_typeEPSL_NS1_7vsmem_tEENKUlT_SJ_SK_SL_E_clISE_PtSF_SF_EESI_SY_SJ_SK_SL_EUlSY_E1_NS1_11comp_targetILNS1_3genE8ELNS1_11target_archE1030ELNS1_3gpuE2ELNS1_3repE0EEENS1_36merge_oddeven_config_static_selectorELNS0_4arch9wavefront6targetE0EEEvSK_.numbered_sgpr, 18
	.set _ZN7rocprim17ROCPRIM_400000_NS6detail17trampoline_kernelINS0_14default_configENS1_38merge_sort_block_merge_config_selectorItNS0_10empty_typeEEEZZNS1_27merge_sort_block_merge_implIS3_N6thrust23THRUST_200600_302600_NS6detail15normal_iteratorINS9_10device_ptrItEEEEPS5_m9comp_mod3ItEEE10hipError_tT0_T1_T2_jT3_P12ihipStream_tbPNSt15iterator_traitsISJ_E10value_typeEPNSP_ISK_E10value_typeEPSL_NS1_7vsmem_tEENKUlT_SJ_SK_SL_E_clISE_PtSF_SF_EESI_SY_SJ_SK_SL_EUlSY_E1_NS1_11comp_targetILNS1_3genE8ELNS1_11target_archE1030ELNS1_3gpuE2ELNS1_3repE0EEENS1_36merge_oddeven_config_static_selectorELNS0_4arch9wavefront6targetE0EEEvSK_.num_named_barrier, 0
	.set _ZN7rocprim17ROCPRIM_400000_NS6detail17trampoline_kernelINS0_14default_configENS1_38merge_sort_block_merge_config_selectorItNS0_10empty_typeEEEZZNS1_27merge_sort_block_merge_implIS3_N6thrust23THRUST_200600_302600_NS6detail15normal_iteratorINS9_10device_ptrItEEEEPS5_m9comp_mod3ItEEE10hipError_tT0_T1_T2_jT3_P12ihipStream_tbPNSt15iterator_traitsISJ_E10value_typeEPNSP_ISK_E10value_typeEPSL_NS1_7vsmem_tEENKUlT_SJ_SK_SL_E_clISE_PtSF_SF_EESI_SY_SJ_SK_SL_EUlSY_E1_NS1_11comp_targetILNS1_3genE8ELNS1_11target_archE1030ELNS1_3gpuE2ELNS1_3repE0EEENS1_36merge_oddeven_config_static_selectorELNS0_4arch9wavefront6targetE0EEEvSK_.private_seg_size, 0
	.set _ZN7rocprim17ROCPRIM_400000_NS6detail17trampoline_kernelINS0_14default_configENS1_38merge_sort_block_merge_config_selectorItNS0_10empty_typeEEEZZNS1_27merge_sort_block_merge_implIS3_N6thrust23THRUST_200600_302600_NS6detail15normal_iteratorINS9_10device_ptrItEEEEPS5_m9comp_mod3ItEEE10hipError_tT0_T1_T2_jT3_P12ihipStream_tbPNSt15iterator_traitsISJ_E10value_typeEPNSP_ISK_E10value_typeEPSL_NS1_7vsmem_tEENKUlT_SJ_SK_SL_E_clISE_PtSF_SF_EESI_SY_SJ_SK_SL_EUlSY_E1_NS1_11comp_targetILNS1_3genE8ELNS1_11target_archE1030ELNS1_3gpuE2ELNS1_3repE0EEENS1_36merge_oddeven_config_static_selectorELNS0_4arch9wavefront6targetE0EEEvSK_.uses_vcc, 1
	.set _ZN7rocprim17ROCPRIM_400000_NS6detail17trampoline_kernelINS0_14default_configENS1_38merge_sort_block_merge_config_selectorItNS0_10empty_typeEEEZZNS1_27merge_sort_block_merge_implIS3_N6thrust23THRUST_200600_302600_NS6detail15normal_iteratorINS9_10device_ptrItEEEEPS5_m9comp_mod3ItEEE10hipError_tT0_T1_T2_jT3_P12ihipStream_tbPNSt15iterator_traitsISJ_E10value_typeEPNSP_ISK_E10value_typeEPSL_NS1_7vsmem_tEENKUlT_SJ_SK_SL_E_clISE_PtSF_SF_EESI_SY_SJ_SK_SL_EUlSY_E1_NS1_11comp_targetILNS1_3genE8ELNS1_11target_archE1030ELNS1_3gpuE2ELNS1_3repE0EEENS1_36merge_oddeven_config_static_selectorELNS0_4arch9wavefront6targetE0EEEvSK_.uses_flat_scratch, 0
	.set _ZN7rocprim17ROCPRIM_400000_NS6detail17trampoline_kernelINS0_14default_configENS1_38merge_sort_block_merge_config_selectorItNS0_10empty_typeEEEZZNS1_27merge_sort_block_merge_implIS3_N6thrust23THRUST_200600_302600_NS6detail15normal_iteratorINS9_10device_ptrItEEEEPS5_m9comp_mod3ItEEE10hipError_tT0_T1_T2_jT3_P12ihipStream_tbPNSt15iterator_traitsISJ_E10value_typeEPNSP_ISK_E10value_typeEPSL_NS1_7vsmem_tEENKUlT_SJ_SK_SL_E_clISE_PtSF_SF_EESI_SY_SJ_SK_SL_EUlSY_E1_NS1_11comp_targetILNS1_3genE8ELNS1_11target_archE1030ELNS1_3gpuE2ELNS1_3repE0EEENS1_36merge_oddeven_config_static_selectorELNS0_4arch9wavefront6targetE0EEEvSK_.has_dyn_sized_stack, 0
	.set _ZN7rocprim17ROCPRIM_400000_NS6detail17trampoline_kernelINS0_14default_configENS1_38merge_sort_block_merge_config_selectorItNS0_10empty_typeEEEZZNS1_27merge_sort_block_merge_implIS3_N6thrust23THRUST_200600_302600_NS6detail15normal_iteratorINS9_10device_ptrItEEEEPS5_m9comp_mod3ItEEE10hipError_tT0_T1_T2_jT3_P12ihipStream_tbPNSt15iterator_traitsISJ_E10value_typeEPNSP_ISK_E10value_typeEPSL_NS1_7vsmem_tEENKUlT_SJ_SK_SL_E_clISE_PtSF_SF_EESI_SY_SJ_SK_SL_EUlSY_E1_NS1_11comp_targetILNS1_3genE8ELNS1_11target_archE1030ELNS1_3gpuE2ELNS1_3repE0EEENS1_36merge_oddeven_config_static_selectorELNS0_4arch9wavefront6targetE0EEEvSK_.has_recursion, 0
	.set _ZN7rocprim17ROCPRIM_400000_NS6detail17trampoline_kernelINS0_14default_configENS1_38merge_sort_block_merge_config_selectorItNS0_10empty_typeEEEZZNS1_27merge_sort_block_merge_implIS3_N6thrust23THRUST_200600_302600_NS6detail15normal_iteratorINS9_10device_ptrItEEEEPS5_m9comp_mod3ItEEE10hipError_tT0_T1_T2_jT3_P12ihipStream_tbPNSt15iterator_traitsISJ_E10value_typeEPNSP_ISK_E10value_typeEPSL_NS1_7vsmem_tEENKUlT_SJ_SK_SL_E_clISE_PtSF_SF_EESI_SY_SJ_SK_SL_EUlSY_E1_NS1_11comp_targetILNS1_3genE8ELNS1_11target_archE1030ELNS1_3gpuE2ELNS1_3repE0EEENS1_36merge_oddeven_config_static_selectorELNS0_4arch9wavefront6targetE0EEEvSK_.has_indirect_call, 0
	.section	.AMDGPU.csdata,"",@progbits
; Kernel info:
; codeLenInByte = 812
; TotalNumSgprs: 20
; NumVgprs: 11
; ScratchSize: 0
; MemoryBound: 0
; FloatMode: 240
; IeeeMode: 1
; LDSByteSize: 0 bytes/workgroup (compile time only)
; SGPRBlocks: 0
; VGPRBlocks: 1
; NumSGPRsForWavesPerEU: 20
; NumVGPRsForWavesPerEU: 11
; Occupancy: 16
; WaveLimiterHint : 1
; COMPUTE_PGM_RSRC2:SCRATCH_EN: 0
; COMPUTE_PGM_RSRC2:USER_SGPR: 6
; COMPUTE_PGM_RSRC2:TRAP_HANDLER: 0
; COMPUTE_PGM_RSRC2:TGID_X_EN: 1
; COMPUTE_PGM_RSRC2:TGID_Y_EN: 0
; COMPUTE_PGM_RSRC2:TGID_Z_EN: 0
; COMPUTE_PGM_RSRC2:TIDIG_COMP_CNT: 0
	.section	.text._ZN7rocprim17ROCPRIM_400000_NS6detail17trampoline_kernelINS0_14default_configENS1_37merge_sort_block_sort_config_selectorIxNS0_10empty_typeEEEZNS1_21merge_sort_block_sortIS3_N6thrust23THRUST_200600_302600_NS6detail15normal_iteratorINS9_10device_ptrIxEEEESE_PS5_SF_9comp_mod3IxEEE10hipError_tT0_T1_T2_T3_mRjT4_P12ihipStream_tbNS1_7vsmem_tEEUlT_E_NS1_11comp_targetILNS1_3genE0ELNS1_11target_archE4294967295ELNS1_3gpuE0ELNS1_3repE0EEENS1_30default_config_static_selectorELNS0_4arch9wavefront6targetE0EEEvSK_,"axG",@progbits,_ZN7rocprim17ROCPRIM_400000_NS6detail17trampoline_kernelINS0_14default_configENS1_37merge_sort_block_sort_config_selectorIxNS0_10empty_typeEEEZNS1_21merge_sort_block_sortIS3_N6thrust23THRUST_200600_302600_NS6detail15normal_iteratorINS9_10device_ptrIxEEEESE_PS5_SF_9comp_mod3IxEEE10hipError_tT0_T1_T2_T3_mRjT4_P12ihipStream_tbNS1_7vsmem_tEEUlT_E_NS1_11comp_targetILNS1_3genE0ELNS1_11target_archE4294967295ELNS1_3gpuE0ELNS1_3repE0EEENS1_30default_config_static_selectorELNS0_4arch9wavefront6targetE0EEEvSK_,comdat
	.protected	_ZN7rocprim17ROCPRIM_400000_NS6detail17trampoline_kernelINS0_14default_configENS1_37merge_sort_block_sort_config_selectorIxNS0_10empty_typeEEEZNS1_21merge_sort_block_sortIS3_N6thrust23THRUST_200600_302600_NS6detail15normal_iteratorINS9_10device_ptrIxEEEESE_PS5_SF_9comp_mod3IxEEE10hipError_tT0_T1_T2_T3_mRjT4_P12ihipStream_tbNS1_7vsmem_tEEUlT_E_NS1_11comp_targetILNS1_3genE0ELNS1_11target_archE4294967295ELNS1_3gpuE0ELNS1_3repE0EEENS1_30default_config_static_selectorELNS0_4arch9wavefront6targetE0EEEvSK_ ; -- Begin function _ZN7rocprim17ROCPRIM_400000_NS6detail17trampoline_kernelINS0_14default_configENS1_37merge_sort_block_sort_config_selectorIxNS0_10empty_typeEEEZNS1_21merge_sort_block_sortIS3_N6thrust23THRUST_200600_302600_NS6detail15normal_iteratorINS9_10device_ptrIxEEEESE_PS5_SF_9comp_mod3IxEEE10hipError_tT0_T1_T2_T3_mRjT4_P12ihipStream_tbNS1_7vsmem_tEEUlT_E_NS1_11comp_targetILNS1_3genE0ELNS1_11target_archE4294967295ELNS1_3gpuE0ELNS1_3repE0EEENS1_30default_config_static_selectorELNS0_4arch9wavefront6targetE0EEEvSK_
	.globl	_ZN7rocprim17ROCPRIM_400000_NS6detail17trampoline_kernelINS0_14default_configENS1_37merge_sort_block_sort_config_selectorIxNS0_10empty_typeEEEZNS1_21merge_sort_block_sortIS3_N6thrust23THRUST_200600_302600_NS6detail15normal_iteratorINS9_10device_ptrIxEEEESE_PS5_SF_9comp_mod3IxEEE10hipError_tT0_T1_T2_T3_mRjT4_P12ihipStream_tbNS1_7vsmem_tEEUlT_E_NS1_11comp_targetILNS1_3genE0ELNS1_11target_archE4294967295ELNS1_3gpuE0ELNS1_3repE0EEENS1_30default_config_static_selectorELNS0_4arch9wavefront6targetE0EEEvSK_
	.p2align	8
	.type	_ZN7rocprim17ROCPRIM_400000_NS6detail17trampoline_kernelINS0_14default_configENS1_37merge_sort_block_sort_config_selectorIxNS0_10empty_typeEEEZNS1_21merge_sort_block_sortIS3_N6thrust23THRUST_200600_302600_NS6detail15normal_iteratorINS9_10device_ptrIxEEEESE_PS5_SF_9comp_mod3IxEEE10hipError_tT0_T1_T2_T3_mRjT4_P12ihipStream_tbNS1_7vsmem_tEEUlT_E_NS1_11comp_targetILNS1_3genE0ELNS1_11target_archE4294967295ELNS1_3gpuE0ELNS1_3repE0EEENS1_30default_config_static_selectorELNS0_4arch9wavefront6targetE0EEEvSK_,@function
_ZN7rocprim17ROCPRIM_400000_NS6detail17trampoline_kernelINS0_14default_configENS1_37merge_sort_block_sort_config_selectorIxNS0_10empty_typeEEEZNS1_21merge_sort_block_sortIS3_N6thrust23THRUST_200600_302600_NS6detail15normal_iteratorINS9_10device_ptrIxEEEESE_PS5_SF_9comp_mod3IxEEE10hipError_tT0_T1_T2_T3_mRjT4_P12ihipStream_tbNS1_7vsmem_tEEUlT_E_NS1_11comp_targetILNS1_3genE0ELNS1_11target_archE4294967295ELNS1_3gpuE0ELNS1_3repE0EEENS1_30default_config_static_selectorELNS0_4arch9wavefront6targetE0EEEvSK_: ; @_ZN7rocprim17ROCPRIM_400000_NS6detail17trampoline_kernelINS0_14default_configENS1_37merge_sort_block_sort_config_selectorIxNS0_10empty_typeEEEZNS1_21merge_sort_block_sortIS3_N6thrust23THRUST_200600_302600_NS6detail15normal_iteratorINS9_10device_ptrIxEEEESE_PS5_SF_9comp_mod3IxEEE10hipError_tT0_T1_T2_T3_mRjT4_P12ihipStream_tbNS1_7vsmem_tEEUlT_E_NS1_11comp_targetILNS1_3genE0ELNS1_11target_archE4294967295ELNS1_3gpuE0ELNS1_3repE0EEENS1_30default_config_static_selectorELNS0_4arch9wavefront6targetE0EEEvSK_
; %bb.0:
	.section	.rodata,"a",@progbits
	.p2align	6, 0x0
	.amdhsa_kernel _ZN7rocprim17ROCPRIM_400000_NS6detail17trampoline_kernelINS0_14default_configENS1_37merge_sort_block_sort_config_selectorIxNS0_10empty_typeEEEZNS1_21merge_sort_block_sortIS3_N6thrust23THRUST_200600_302600_NS6detail15normal_iteratorINS9_10device_ptrIxEEEESE_PS5_SF_9comp_mod3IxEEE10hipError_tT0_T1_T2_T3_mRjT4_P12ihipStream_tbNS1_7vsmem_tEEUlT_E_NS1_11comp_targetILNS1_3genE0ELNS1_11target_archE4294967295ELNS1_3gpuE0ELNS1_3repE0EEENS1_30default_config_static_selectorELNS0_4arch9wavefront6targetE0EEEvSK_
		.amdhsa_group_segment_fixed_size 0
		.amdhsa_private_segment_fixed_size 0
		.amdhsa_kernarg_size 64
		.amdhsa_user_sgpr_count 6
		.amdhsa_user_sgpr_private_segment_buffer 1
		.amdhsa_user_sgpr_dispatch_ptr 0
		.amdhsa_user_sgpr_queue_ptr 0
		.amdhsa_user_sgpr_kernarg_segment_ptr 1
		.amdhsa_user_sgpr_dispatch_id 0
		.amdhsa_user_sgpr_flat_scratch_init 0
		.amdhsa_user_sgpr_private_segment_size 0
		.amdhsa_wavefront_size32 1
		.amdhsa_uses_dynamic_stack 0
		.amdhsa_system_sgpr_private_segment_wavefront_offset 0
		.amdhsa_system_sgpr_workgroup_id_x 1
		.amdhsa_system_sgpr_workgroup_id_y 0
		.amdhsa_system_sgpr_workgroup_id_z 0
		.amdhsa_system_sgpr_workgroup_info 0
		.amdhsa_system_vgpr_workitem_id 0
		.amdhsa_next_free_vgpr 1
		.amdhsa_next_free_sgpr 1
		.amdhsa_reserve_vcc 0
		.amdhsa_reserve_flat_scratch 0
		.amdhsa_float_round_mode_32 0
		.amdhsa_float_round_mode_16_64 0
		.amdhsa_float_denorm_mode_32 3
		.amdhsa_float_denorm_mode_16_64 3
		.amdhsa_dx10_clamp 1
		.amdhsa_ieee_mode 1
		.amdhsa_fp16_overflow 0
		.amdhsa_workgroup_processor_mode 1
		.amdhsa_memory_ordered 1
		.amdhsa_forward_progress 1
		.amdhsa_shared_vgpr_count 0
		.amdhsa_exception_fp_ieee_invalid_op 0
		.amdhsa_exception_fp_denorm_src 0
		.amdhsa_exception_fp_ieee_div_zero 0
		.amdhsa_exception_fp_ieee_overflow 0
		.amdhsa_exception_fp_ieee_underflow 0
		.amdhsa_exception_fp_ieee_inexact 0
		.amdhsa_exception_int_div_zero 0
	.end_amdhsa_kernel
	.section	.text._ZN7rocprim17ROCPRIM_400000_NS6detail17trampoline_kernelINS0_14default_configENS1_37merge_sort_block_sort_config_selectorIxNS0_10empty_typeEEEZNS1_21merge_sort_block_sortIS3_N6thrust23THRUST_200600_302600_NS6detail15normal_iteratorINS9_10device_ptrIxEEEESE_PS5_SF_9comp_mod3IxEEE10hipError_tT0_T1_T2_T3_mRjT4_P12ihipStream_tbNS1_7vsmem_tEEUlT_E_NS1_11comp_targetILNS1_3genE0ELNS1_11target_archE4294967295ELNS1_3gpuE0ELNS1_3repE0EEENS1_30default_config_static_selectorELNS0_4arch9wavefront6targetE0EEEvSK_,"axG",@progbits,_ZN7rocprim17ROCPRIM_400000_NS6detail17trampoline_kernelINS0_14default_configENS1_37merge_sort_block_sort_config_selectorIxNS0_10empty_typeEEEZNS1_21merge_sort_block_sortIS3_N6thrust23THRUST_200600_302600_NS6detail15normal_iteratorINS9_10device_ptrIxEEEESE_PS5_SF_9comp_mod3IxEEE10hipError_tT0_T1_T2_T3_mRjT4_P12ihipStream_tbNS1_7vsmem_tEEUlT_E_NS1_11comp_targetILNS1_3genE0ELNS1_11target_archE4294967295ELNS1_3gpuE0ELNS1_3repE0EEENS1_30default_config_static_selectorELNS0_4arch9wavefront6targetE0EEEvSK_,comdat
.Lfunc_end922:
	.size	_ZN7rocprim17ROCPRIM_400000_NS6detail17trampoline_kernelINS0_14default_configENS1_37merge_sort_block_sort_config_selectorIxNS0_10empty_typeEEEZNS1_21merge_sort_block_sortIS3_N6thrust23THRUST_200600_302600_NS6detail15normal_iteratorINS9_10device_ptrIxEEEESE_PS5_SF_9comp_mod3IxEEE10hipError_tT0_T1_T2_T3_mRjT4_P12ihipStream_tbNS1_7vsmem_tEEUlT_E_NS1_11comp_targetILNS1_3genE0ELNS1_11target_archE4294967295ELNS1_3gpuE0ELNS1_3repE0EEENS1_30default_config_static_selectorELNS0_4arch9wavefront6targetE0EEEvSK_, .Lfunc_end922-_ZN7rocprim17ROCPRIM_400000_NS6detail17trampoline_kernelINS0_14default_configENS1_37merge_sort_block_sort_config_selectorIxNS0_10empty_typeEEEZNS1_21merge_sort_block_sortIS3_N6thrust23THRUST_200600_302600_NS6detail15normal_iteratorINS9_10device_ptrIxEEEESE_PS5_SF_9comp_mod3IxEEE10hipError_tT0_T1_T2_T3_mRjT4_P12ihipStream_tbNS1_7vsmem_tEEUlT_E_NS1_11comp_targetILNS1_3genE0ELNS1_11target_archE4294967295ELNS1_3gpuE0ELNS1_3repE0EEENS1_30default_config_static_selectorELNS0_4arch9wavefront6targetE0EEEvSK_
                                        ; -- End function
	.set _ZN7rocprim17ROCPRIM_400000_NS6detail17trampoline_kernelINS0_14default_configENS1_37merge_sort_block_sort_config_selectorIxNS0_10empty_typeEEEZNS1_21merge_sort_block_sortIS3_N6thrust23THRUST_200600_302600_NS6detail15normal_iteratorINS9_10device_ptrIxEEEESE_PS5_SF_9comp_mod3IxEEE10hipError_tT0_T1_T2_T3_mRjT4_P12ihipStream_tbNS1_7vsmem_tEEUlT_E_NS1_11comp_targetILNS1_3genE0ELNS1_11target_archE4294967295ELNS1_3gpuE0ELNS1_3repE0EEENS1_30default_config_static_selectorELNS0_4arch9wavefront6targetE0EEEvSK_.num_vgpr, 0
	.set _ZN7rocprim17ROCPRIM_400000_NS6detail17trampoline_kernelINS0_14default_configENS1_37merge_sort_block_sort_config_selectorIxNS0_10empty_typeEEEZNS1_21merge_sort_block_sortIS3_N6thrust23THRUST_200600_302600_NS6detail15normal_iteratorINS9_10device_ptrIxEEEESE_PS5_SF_9comp_mod3IxEEE10hipError_tT0_T1_T2_T3_mRjT4_P12ihipStream_tbNS1_7vsmem_tEEUlT_E_NS1_11comp_targetILNS1_3genE0ELNS1_11target_archE4294967295ELNS1_3gpuE0ELNS1_3repE0EEENS1_30default_config_static_selectorELNS0_4arch9wavefront6targetE0EEEvSK_.num_agpr, 0
	.set _ZN7rocprim17ROCPRIM_400000_NS6detail17trampoline_kernelINS0_14default_configENS1_37merge_sort_block_sort_config_selectorIxNS0_10empty_typeEEEZNS1_21merge_sort_block_sortIS3_N6thrust23THRUST_200600_302600_NS6detail15normal_iteratorINS9_10device_ptrIxEEEESE_PS5_SF_9comp_mod3IxEEE10hipError_tT0_T1_T2_T3_mRjT4_P12ihipStream_tbNS1_7vsmem_tEEUlT_E_NS1_11comp_targetILNS1_3genE0ELNS1_11target_archE4294967295ELNS1_3gpuE0ELNS1_3repE0EEENS1_30default_config_static_selectorELNS0_4arch9wavefront6targetE0EEEvSK_.numbered_sgpr, 0
	.set _ZN7rocprim17ROCPRIM_400000_NS6detail17trampoline_kernelINS0_14default_configENS1_37merge_sort_block_sort_config_selectorIxNS0_10empty_typeEEEZNS1_21merge_sort_block_sortIS3_N6thrust23THRUST_200600_302600_NS6detail15normal_iteratorINS9_10device_ptrIxEEEESE_PS5_SF_9comp_mod3IxEEE10hipError_tT0_T1_T2_T3_mRjT4_P12ihipStream_tbNS1_7vsmem_tEEUlT_E_NS1_11comp_targetILNS1_3genE0ELNS1_11target_archE4294967295ELNS1_3gpuE0ELNS1_3repE0EEENS1_30default_config_static_selectorELNS0_4arch9wavefront6targetE0EEEvSK_.num_named_barrier, 0
	.set _ZN7rocprim17ROCPRIM_400000_NS6detail17trampoline_kernelINS0_14default_configENS1_37merge_sort_block_sort_config_selectorIxNS0_10empty_typeEEEZNS1_21merge_sort_block_sortIS3_N6thrust23THRUST_200600_302600_NS6detail15normal_iteratorINS9_10device_ptrIxEEEESE_PS5_SF_9comp_mod3IxEEE10hipError_tT0_T1_T2_T3_mRjT4_P12ihipStream_tbNS1_7vsmem_tEEUlT_E_NS1_11comp_targetILNS1_3genE0ELNS1_11target_archE4294967295ELNS1_3gpuE0ELNS1_3repE0EEENS1_30default_config_static_selectorELNS0_4arch9wavefront6targetE0EEEvSK_.private_seg_size, 0
	.set _ZN7rocprim17ROCPRIM_400000_NS6detail17trampoline_kernelINS0_14default_configENS1_37merge_sort_block_sort_config_selectorIxNS0_10empty_typeEEEZNS1_21merge_sort_block_sortIS3_N6thrust23THRUST_200600_302600_NS6detail15normal_iteratorINS9_10device_ptrIxEEEESE_PS5_SF_9comp_mod3IxEEE10hipError_tT0_T1_T2_T3_mRjT4_P12ihipStream_tbNS1_7vsmem_tEEUlT_E_NS1_11comp_targetILNS1_3genE0ELNS1_11target_archE4294967295ELNS1_3gpuE0ELNS1_3repE0EEENS1_30default_config_static_selectorELNS0_4arch9wavefront6targetE0EEEvSK_.uses_vcc, 0
	.set _ZN7rocprim17ROCPRIM_400000_NS6detail17trampoline_kernelINS0_14default_configENS1_37merge_sort_block_sort_config_selectorIxNS0_10empty_typeEEEZNS1_21merge_sort_block_sortIS3_N6thrust23THRUST_200600_302600_NS6detail15normal_iteratorINS9_10device_ptrIxEEEESE_PS5_SF_9comp_mod3IxEEE10hipError_tT0_T1_T2_T3_mRjT4_P12ihipStream_tbNS1_7vsmem_tEEUlT_E_NS1_11comp_targetILNS1_3genE0ELNS1_11target_archE4294967295ELNS1_3gpuE0ELNS1_3repE0EEENS1_30default_config_static_selectorELNS0_4arch9wavefront6targetE0EEEvSK_.uses_flat_scratch, 0
	.set _ZN7rocprim17ROCPRIM_400000_NS6detail17trampoline_kernelINS0_14default_configENS1_37merge_sort_block_sort_config_selectorIxNS0_10empty_typeEEEZNS1_21merge_sort_block_sortIS3_N6thrust23THRUST_200600_302600_NS6detail15normal_iteratorINS9_10device_ptrIxEEEESE_PS5_SF_9comp_mod3IxEEE10hipError_tT0_T1_T2_T3_mRjT4_P12ihipStream_tbNS1_7vsmem_tEEUlT_E_NS1_11comp_targetILNS1_3genE0ELNS1_11target_archE4294967295ELNS1_3gpuE0ELNS1_3repE0EEENS1_30default_config_static_selectorELNS0_4arch9wavefront6targetE0EEEvSK_.has_dyn_sized_stack, 0
	.set _ZN7rocprim17ROCPRIM_400000_NS6detail17trampoline_kernelINS0_14default_configENS1_37merge_sort_block_sort_config_selectorIxNS0_10empty_typeEEEZNS1_21merge_sort_block_sortIS3_N6thrust23THRUST_200600_302600_NS6detail15normal_iteratorINS9_10device_ptrIxEEEESE_PS5_SF_9comp_mod3IxEEE10hipError_tT0_T1_T2_T3_mRjT4_P12ihipStream_tbNS1_7vsmem_tEEUlT_E_NS1_11comp_targetILNS1_3genE0ELNS1_11target_archE4294967295ELNS1_3gpuE0ELNS1_3repE0EEENS1_30default_config_static_selectorELNS0_4arch9wavefront6targetE0EEEvSK_.has_recursion, 0
	.set _ZN7rocprim17ROCPRIM_400000_NS6detail17trampoline_kernelINS0_14default_configENS1_37merge_sort_block_sort_config_selectorIxNS0_10empty_typeEEEZNS1_21merge_sort_block_sortIS3_N6thrust23THRUST_200600_302600_NS6detail15normal_iteratorINS9_10device_ptrIxEEEESE_PS5_SF_9comp_mod3IxEEE10hipError_tT0_T1_T2_T3_mRjT4_P12ihipStream_tbNS1_7vsmem_tEEUlT_E_NS1_11comp_targetILNS1_3genE0ELNS1_11target_archE4294967295ELNS1_3gpuE0ELNS1_3repE0EEENS1_30default_config_static_selectorELNS0_4arch9wavefront6targetE0EEEvSK_.has_indirect_call, 0
	.section	.AMDGPU.csdata,"",@progbits
; Kernel info:
; codeLenInByte = 0
; TotalNumSgprs: 0
; NumVgprs: 0
; ScratchSize: 0
; MemoryBound: 0
; FloatMode: 240
; IeeeMode: 1
; LDSByteSize: 0 bytes/workgroup (compile time only)
; SGPRBlocks: 0
; VGPRBlocks: 0
; NumSGPRsForWavesPerEU: 1
; NumVGPRsForWavesPerEU: 1
; Occupancy: 16
; WaveLimiterHint : 0
; COMPUTE_PGM_RSRC2:SCRATCH_EN: 0
; COMPUTE_PGM_RSRC2:USER_SGPR: 6
; COMPUTE_PGM_RSRC2:TRAP_HANDLER: 0
; COMPUTE_PGM_RSRC2:TGID_X_EN: 1
; COMPUTE_PGM_RSRC2:TGID_Y_EN: 0
; COMPUTE_PGM_RSRC2:TGID_Z_EN: 0
; COMPUTE_PGM_RSRC2:TIDIG_COMP_CNT: 0
	.section	.text._ZN7rocprim17ROCPRIM_400000_NS6detail17trampoline_kernelINS0_14default_configENS1_37merge_sort_block_sort_config_selectorIxNS0_10empty_typeEEEZNS1_21merge_sort_block_sortIS3_N6thrust23THRUST_200600_302600_NS6detail15normal_iteratorINS9_10device_ptrIxEEEESE_PS5_SF_9comp_mod3IxEEE10hipError_tT0_T1_T2_T3_mRjT4_P12ihipStream_tbNS1_7vsmem_tEEUlT_E_NS1_11comp_targetILNS1_3genE5ELNS1_11target_archE942ELNS1_3gpuE9ELNS1_3repE0EEENS1_30default_config_static_selectorELNS0_4arch9wavefront6targetE0EEEvSK_,"axG",@progbits,_ZN7rocprim17ROCPRIM_400000_NS6detail17trampoline_kernelINS0_14default_configENS1_37merge_sort_block_sort_config_selectorIxNS0_10empty_typeEEEZNS1_21merge_sort_block_sortIS3_N6thrust23THRUST_200600_302600_NS6detail15normal_iteratorINS9_10device_ptrIxEEEESE_PS5_SF_9comp_mod3IxEEE10hipError_tT0_T1_T2_T3_mRjT4_P12ihipStream_tbNS1_7vsmem_tEEUlT_E_NS1_11comp_targetILNS1_3genE5ELNS1_11target_archE942ELNS1_3gpuE9ELNS1_3repE0EEENS1_30default_config_static_selectorELNS0_4arch9wavefront6targetE0EEEvSK_,comdat
	.protected	_ZN7rocprim17ROCPRIM_400000_NS6detail17trampoline_kernelINS0_14default_configENS1_37merge_sort_block_sort_config_selectorIxNS0_10empty_typeEEEZNS1_21merge_sort_block_sortIS3_N6thrust23THRUST_200600_302600_NS6detail15normal_iteratorINS9_10device_ptrIxEEEESE_PS5_SF_9comp_mod3IxEEE10hipError_tT0_T1_T2_T3_mRjT4_P12ihipStream_tbNS1_7vsmem_tEEUlT_E_NS1_11comp_targetILNS1_3genE5ELNS1_11target_archE942ELNS1_3gpuE9ELNS1_3repE0EEENS1_30default_config_static_selectorELNS0_4arch9wavefront6targetE0EEEvSK_ ; -- Begin function _ZN7rocprim17ROCPRIM_400000_NS6detail17trampoline_kernelINS0_14default_configENS1_37merge_sort_block_sort_config_selectorIxNS0_10empty_typeEEEZNS1_21merge_sort_block_sortIS3_N6thrust23THRUST_200600_302600_NS6detail15normal_iteratorINS9_10device_ptrIxEEEESE_PS5_SF_9comp_mod3IxEEE10hipError_tT0_T1_T2_T3_mRjT4_P12ihipStream_tbNS1_7vsmem_tEEUlT_E_NS1_11comp_targetILNS1_3genE5ELNS1_11target_archE942ELNS1_3gpuE9ELNS1_3repE0EEENS1_30default_config_static_selectorELNS0_4arch9wavefront6targetE0EEEvSK_
	.globl	_ZN7rocprim17ROCPRIM_400000_NS6detail17trampoline_kernelINS0_14default_configENS1_37merge_sort_block_sort_config_selectorIxNS0_10empty_typeEEEZNS1_21merge_sort_block_sortIS3_N6thrust23THRUST_200600_302600_NS6detail15normal_iteratorINS9_10device_ptrIxEEEESE_PS5_SF_9comp_mod3IxEEE10hipError_tT0_T1_T2_T3_mRjT4_P12ihipStream_tbNS1_7vsmem_tEEUlT_E_NS1_11comp_targetILNS1_3genE5ELNS1_11target_archE942ELNS1_3gpuE9ELNS1_3repE0EEENS1_30default_config_static_selectorELNS0_4arch9wavefront6targetE0EEEvSK_
	.p2align	8
	.type	_ZN7rocprim17ROCPRIM_400000_NS6detail17trampoline_kernelINS0_14default_configENS1_37merge_sort_block_sort_config_selectorIxNS0_10empty_typeEEEZNS1_21merge_sort_block_sortIS3_N6thrust23THRUST_200600_302600_NS6detail15normal_iteratorINS9_10device_ptrIxEEEESE_PS5_SF_9comp_mod3IxEEE10hipError_tT0_T1_T2_T3_mRjT4_P12ihipStream_tbNS1_7vsmem_tEEUlT_E_NS1_11comp_targetILNS1_3genE5ELNS1_11target_archE942ELNS1_3gpuE9ELNS1_3repE0EEENS1_30default_config_static_selectorELNS0_4arch9wavefront6targetE0EEEvSK_,@function
_ZN7rocprim17ROCPRIM_400000_NS6detail17trampoline_kernelINS0_14default_configENS1_37merge_sort_block_sort_config_selectorIxNS0_10empty_typeEEEZNS1_21merge_sort_block_sortIS3_N6thrust23THRUST_200600_302600_NS6detail15normal_iteratorINS9_10device_ptrIxEEEESE_PS5_SF_9comp_mod3IxEEE10hipError_tT0_T1_T2_T3_mRjT4_P12ihipStream_tbNS1_7vsmem_tEEUlT_E_NS1_11comp_targetILNS1_3genE5ELNS1_11target_archE942ELNS1_3gpuE9ELNS1_3repE0EEENS1_30default_config_static_selectorELNS0_4arch9wavefront6targetE0EEEvSK_: ; @_ZN7rocprim17ROCPRIM_400000_NS6detail17trampoline_kernelINS0_14default_configENS1_37merge_sort_block_sort_config_selectorIxNS0_10empty_typeEEEZNS1_21merge_sort_block_sortIS3_N6thrust23THRUST_200600_302600_NS6detail15normal_iteratorINS9_10device_ptrIxEEEESE_PS5_SF_9comp_mod3IxEEE10hipError_tT0_T1_T2_T3_mRjT4_P12ihipStream_tbNS1_7vsmem_tEEUlT_E_NS1_11comp_targetILNS1_3genE5ELNS1_11target_archE942ELNS1_3gpuE9ELNS1_3repE0EEENS1_30default_config_static_selectorELNS0_4arch9wavefront6targetE0EEEvSK_
; %bb.0:
	.section	.rodata,"a",@progbits
	.p2align	6, 0x0
	.amdhsa_kernel _ZN7rocprim17ROCPRIM_400000_NS6detail17trampoline_kernelINS0_14default_configENS1_37merge_sort_block_sort_config_selectorIxNS0_10empty_typeEEEZNS1_21merge_sort_block_sortIS3_N6thrust23THRUST_200600_302600_NS6detail15normal_iteratorINS9_10device_ptrIxEEEESE_PS5_SF_9comp_mod3IxEEE10hipError_tT0_T1_T2_T3_mRjT4_P12ihipStream_tbNS1_7vsmem_tEEUlT_E_NS1_11comp_targetILNS1_3genE5ELNS1_11target_archE942ELNS1_3gpuE9ELNS1_3repE0EEENS1_30default_config_static_selectorELNS0_4arch9wavefront6targetE0EEEvSK_
		.amdhsa_group_segment_fixed_size 0
		.amdhsa_private_segment_fixed_size 0
		.amdhsa_kernarg_size 64
		.amdhsa_user_sgpr_count 6
		.amdhsa_user_sgpr_private_segment_buffer 1
		.amdhsa_user_sgpr_dispatch_ptr 0
		.amdhsa_user_sgpr_queue_ptr 0
		.amdhsa_user_sgpr_kernarg_segment_ptr 1
		.amdhsa_user_sgpr_dispatch_id 0
		.amdhsa_user_sgpr_flat_scratch_init 0
		.amdhsa_user_sgpr_private_segment_size 0
		.amdhsa_wavefront_size32 1
		.amdhsa_uses_dynamic_stack 0
		.amdhsa_system_sgpr_private_segment_wavefront_offset 0
		.amdhsa_system_sgpr_workgroup_id_x 1
		.amdhsa_system_sgpr_workgroup_id_y 0
		.amdhsa_system_sgpr_workgroup_id_z 0
		.amdhsa_system_sgpr_workgroup_info 0
		.amdhsa_system_vgpr_workitem_id 0
		.amdhsa_next_free_vgpr 1
		.amdhsa_next_free_sgpr 1
		.amdhsa_reserve_vcc 0
		.amdhsa_reserve_flat_scratch 0
		.amdhsa_float_round_mode_32 0
		.amdhsa_float_round_mode_16_64 0
		.amdhsa_float_denorm_mode_32 3
		.amdhsa_float_denorm_mode_16_64 3
		.amdhsa_dx10_clamp 1
		.amdhsa_ieee_mode 1
		.amdhsa_fp16_overflow 0
		.amdhsa_workgroup_processor_mode 1
		.amdhsa_memory_ordered 1
		.amdhsa_forward_progress 1
		.amdhsa_shared_vgpr_count 0
		.amdhsa_exception_fp_ieee_invalid_op 0
		.amdhsa_exception_fp_denorm_src 0
		.amdhsa_exception_fp_ieee_div_zero 0
		.amdhsa_exception_fp_ieee_overflow 0
		.amdhsa_exception_fp_ieee_underflow 0
		.amdhsa_exception_fp_ieee_inexact 0
		.amdhsa_exception_int_div_zero 0
	.end_amdhsa_kernel
	.section	.text._ZN7rocprim17ROCPRIM_400000_NS6detail17trampoline_kernelINS0_14default_configENS1_37merge_sort_block_sort_config_selectorIxNS0_10empty_typeEEEZNS1_21merge_sort_block_sortIS3_N6thrust23THRUST_200600_302600_NS6detail15normal_iteratorINS9_10device_ptrIxEEEESE_PS5_SF_9comp_mod3IxEEE10hipError_tT0_T1_T2_T3_mRjT4_P12ihipStream_tbNS1_7vsmem_tEEUlT_E_NS1_11comp_targetILNS1_3genE5ELNS1_11target_archE942ELNS1_3gpuE9ELNS1_3repE0EEENS1_30default_config_static_selectorELNS0_4arch9wavefront6targetE0EEEvSK_,"axG",@progbits,_ZN7rocprim17ROCPRIM_400000_NS6detail17trampoline_kernelINS0_14default_configENS1_37merge_sort_block_sort_config_selectorIxNS0_10empty_typeEEEZNS1_21merge_sort_block_sortIS3_N6thrust23THRUST_200600_302600_NS6detail15normal_iteratorINS9_10device_ptrIxEEEESE_PS5_SF_9comp_mod3IxEEE10hipError_tT0_T1_T2_T3_mRjT4_P12ihipStream_tbNS1_7vsmem_tEEUlT_E_NS1_11comp_targetILNS1_3genE5ELNS1_11target_archE942ELNS1_3gpuE9ELNS1_3repE0EEENS1_30default_config_static_selectorELNS0_4arch9wavefront6targetE0EEEvSK_,comdat
.Lfunc_end923:
	.size	_ZN7rocprim17ROCPRIM_400000_NS6detail17trampoline_kernelINS0_14default_configENS1_37merge_sort_block_sort_config_selectorIxNS0_10empty_typeEEEZNS1_21merge_sort_block_sortIS3_N6thrust23THRUST_200600_302600_NS6detail15normal_iteratorINS9_10device_ptrIxEEEESE_PS5_SF_9comp_mod3IxEEE10hipError_tT0_T1_T2_T3_mRjT4_P12ihipStream_tbNS1_7vsmem_tEEUlT_E_NS1_11comp_targetILNS1_3genE5ELNS1_11target_archE942ELNS1_3gpuE9ELNS1_3repE0EEENS1_30default_config_static_selectorELNS0_4arch9wavefront6targetE0EEEvSK_, .Lfunc_end923-_ZN7rocprim17ROCPRIM_400000_NS6detail17trampoline_kernelINS0_14default_configENS1_37merge_sort_block_sort_config_selectorIxNS0_10empty_typeEEEZNS1_21merge_sort_block_sortIS3_N6thrust23THRUST_200600_302600_NS6detail15normal_iteratorINS9_10device_ptrIxEEEESE_PS5_SF_9comp_mod3IxEEE10hipError_tT0_T1_T2_T3_mRjT4_P12ihipStream_tbNS1_7vsmem_tEEUlT_E_NS1_11comp_targetILNS1_3genE5ELNS1_11target_archE942ELNS1_3gpuE9ELNS1_3repE0EEENS1_30default_config_static_selectorELNS0_4arch9wavefront6targetE0EEEvSK_
                                        ; -- End function
	.set _ZN7rocprim17ROCPRIM_400000_NS6detail17trampoline_kernelINS0_14default_configENS1_37merge_sort_block_sort_config_selectorIxNS0_10empty_typeEEEZNS1_21merge_sort_block_sortIS3_N6thrust23THRUST_200600_302600_NS6detail15normal_iteratorINS9_10device_ptrIxEEEESE_PS5_SF_9comp_mod3IxEEE10hipError_tT0_T1_T2_T3_mRjT4_P12ihipStream_tbNS1_7vsmem_tEEUlT_E_NS1_11comp_targetILNS1_3genE5ELNS1_11target_archE942ELNS1_3gpuE9ELNS1_3repE0EEENS1_30default_config_static_selectorELNS0_4arch9wavefront6targetE0EEEvSK_.num_vgpr, 0
	.set _ZN7rocprim17ROCPRIM_400000_NS6detail17trampoline_kernelINS0_14default_configENS1_37merge_sort_block_sort_config_selectorIxNS0_10empty_typeEEEZNS1_21merge_sort_block_sortIS3_N6thrust23THRUST_200600_302600_NS6detail15normal_iteratorINS9_10device_ptrIxEEEESE_PS5_SF_9comp_mod3IxEEE10hipError_tT0_T1_T2_T3_mRjT4_P12ihipStream_tbNS1_7vsmem_tEEUlT_E_NS1_11comp_targetILNS1_3genE5ELNS1_11target_archE942ELNS1_3gpuE9ELNS1_3repE0EEENS1_30default_config_static_selectorELNS0_4arch9wavefront6targetE0EEEvSK_.num_agpr, 0
	.set _ZN7rocprim17ROCPRIM_400000_NS6detail17trampoline_kernelINS0_14default_configENS1_37merge_sort_block_sort_config_selectorIxNS0_10empty_typeEEEZNS1_21merge_sort_block_sortIS3_N6thrust23THRUST_200600_302600_NS6detail15normal_iteratorINS9_10device_ptrIxEEEESE_PS5_SF_9comp_mod3IxEEE10hipError_tT0_T1_T2_T3_mRjT4_P12ihipStream_tbNS1_7vsmem_tEEUlT_E_NS1_11comp_targetILNS1_3genE5ELNS1_11target_archE942ELNS1_3gpuE9ELNS1_3repE0EEENS1_30default_config_static_selectorELNS0_4arch9wavefront6targetE0EEEvSK_.numbered_sgpr, 0
	.set _ZN7rocprim17ROCPRIM_400000_NS6detail17trampoline_kernelINS0_14default_configENS1_37merge_sort_block_sort_config_selectorIxNS0_10empty_typeEEEZNS1_21merge_sort_block_sortIS3_N6thrust23THRUST_200600_302600_NS6detail15normal_iteratorINS9_10device_ptrIxEEEESE_PS5_SF_9comp_mod3IxEEE10hipError_tT0_T1_T2_T3_mRjT4_P12ihipStream_tbNS1_7vsmem_tEEUlT_E_NS1_11comp_targetILNS1_3genE5ELNS1_11target_archE942ELNS1_3gpuE9ELNS1_3repE0EEENS1_30default_config_static_selectorELNS0_4arch9wavefront6targetE0EEEvSK_.num_named_barrier, 0
	.set _ZN7rocprim17ROCPRIM_400000_NS6detail17trampoline_kernelINS0_14default_configENS1_37merge_sort_block_sort_config_selectorIxNS0_10empty_typeEEEZNS1_21merge_sort_block_sortIS3_N6thrust23THRUST_200600_302600_NS6detail15normal_iteratorINS9_10device_ptrIxEEEESE_PS5_SF_9comp_mod3IxEEE10hipError_tT0_T1_T2_T3_mRjT4_P12ihipStream_tbNS1_7vsmem_tEEUlT_E_NS1_11comp_targetILNS1_3genE5ELNS1_11target_archE942ELNS1_3gpuE9ELNS1_3repE0EEENS1_30default_config_static_selectorELNS0_4arch9wavefront6targetE0EEEvSK_.private_seg_size, 0
	.set _ZN7rocprim17ROCPRIM_400000_NS6detail17trampoline_kernelINS0_14default_configENS1_37merge_sort_block_sort_config_selectorIxNS0_10empty_typeEEEZNS1_21merge_sort_block_sortIS3_N6thrust23THRUST_200600_302600_NS6detail15normal_iteratorINS9_10device_ptrIxEEEESE_PS5_SF_9comp_mod3IxEEE10hipError_tT0_T1_T2_T3_mRjT4_P12ihipStream_tbNS1_7vsmem_tEEUlT_E_NS1_11comp_targetILNS1_3genE5ELNS1_11target_archE942ELNS1_3gpuE9ELNS1_3repE0EEENS1_30default_config_static_selectorELNS0_4arch9wavefront6targetE0EEEvSK_.uses_vcc, 0
	.set _ZN7rocprim17ROCPRIM_400000_NS6detail17trampoline_kernelINS0_14default_configENS1_37merge_sort_block_sort_config_selectorIxNS0_10empty_typeEEEZNS1_21merge_sort_block_sortIS3_N6thrust23THRUST_200600_302600_NS6detail15normal_iteratorINS9_10device_ptrIxEEEESE_PS5_SF_9comp_mod3IxEEE10hipError_tT0_T1_T2_T3_mRjT4_P12ihipStream_tbNS1_7vsmem_tEEUlT_E_NS1_11comp_targetILNS1_3genE5ELNS1_11target_archE942ELNS1_3gpuE9ELNS1_3repE0EEENS1_30default_config_static_selectorELNS0_4arch9wavefront6targetE0EEEvSK_.uses_flat_scratch, 0
	.set _ZN7rocprim17ROCPRIM_400000_NS6detail17trampoline_kernelINS0_14default_configENS1_37merge_sort_block_sort_config_selectorIxNS0_10empty_typeEEEZNS1_21merge_sort_block_sortIS3_N6thrust23THRUST_200600_302600_NS6detail15normal_iteratorINS9_10device_ptrIxEEEESE_PS5_SF_9comp_mod3IxEEE10hipError_tT0_T1_T2_T3_mRjT4_P12ihipStream_tbNS1_7vsmem_tEEUlT_E_NS1_11comp_targetILNS1_3genE5ELNS1_11target_archE942ELNS1_3gpuE9ELNS1_3repE0EEENS1_30default_config_static_selectorELNS0_4arch9wavefront6targetE0EEEvSK_.has_dyn_sized_stack, 0
	.set _ZN7rocprim17ROCPRIM_400000_NS6detail17trampoline_kernelINS0_14default_configENS1_37merge_sort_block_sort_config_selectorIxNS0_10empty_typeEEEZNS1_21merge_sort_block_sortIS3_N6thrust23THRUST_200600_302600_NS6detail15normal_iteratorINS9_10device_ptrIxEEEESE_PS5_SF_9comp_mod3IxEEE10hipError_tT0_T1_T2_T3_mRjT4_P12ihipStream_tbNS1_7vsmem_tEEUlT_E_NS1_11comp_targetILNS1_3genE5ELNS1_11target_archE942ELNS1_3gpuE9ELNS1_3repE0EEENS1_30default_config_static_selectorELNS0_4arch9wavefront6targetE0EEEvSK_.has_recursion, 0
	.set _ZN7rocprim17ROCPRIM_400000_NS6detail17trampoline_kernelINS0_14default_configENS1_37merge_sort_block_sort_config_selectorIxNS0_10empty_typeEEEZNS1_21merge_sort_block_sortIS3_N6thrust23THRUST_200600_302600_NS6detail15normal_iteratorINS9_10device_ptrIxEEEESE_PS5_SF_9comp_mod3IxEEE10hipError_tT0_T1_T2_T3_mRjT4_P12ihipStream_tbNS1_7vsmem_tEEUlT_E_NS1_11comp_targetILNS1_3genE5ELNS1_11target_archE942ELNS1_3gpuE9ELNS1_3repE0EEENS1_30default_config_static_selectorELNS0_4arch9wavefront6targetE0EEEvSK_.has_indirect_call, 0
	.section	.AMDGPU.csdata,"",@progbits
; Kernel info:
; codeLenInByte = 0
; TotalNumSgprs: 0
; NumVgprs: 0
; ScratchSize: 0
; MemoryBound: 0
; FloatMode: 240
; IeeeMode: 1
; LDSByteSize: 0 bytes/workgroup (compile time only)
; SGPRBlocks: 0
; VGPRBlocks: 0
; NumSGPRsForWavesPerEU: 1
; NumVGPRsForWavesPerEU: 1
; Occupancy: 16
; WaveLimiterHint : 0
; COMPUTE_PGM_RSRC2:SCRATCH_EN: 0
; COMPUTE_PGM_RSRC2:USER_SGPR: 6
; COMPUTE_PGM_RSRC2:TRAP_HANDLER: 0
; COMPUTE_PGM_RSRC2:TGID_X_EN: 1
; COMPUTE_PGM_RSRC2:TGID_Y_EN: 0
; COMPUTE_PGM_RSRC2:TGID_Z_EN: 0
; COMPUTE_PGM_RSRC2:TIDIG_COMP_CNT: 0
	.section	.text._ZN7rocprim17ROCPRIM_400000_NS6detail17trampoline_kernelINS0_14default_configENS1_37merge_sort_block_sort_config_selectorIxNS0_10empty_typeEEEZNS1_21merge_sort_block_sortIS3_N6thrust23THRUST_200600_302600_NS6detail15normal_iteratorINS9_10device_ptrIxEEEESE_PS5_SF_9comp_mod3IxEEE10hipError_tT0_T1_T2_T3_mRjT4_P12ihipStream_tbNS1_7vsmem_tEEUlT_E_NS1_11comp_targetILNS1_3genE4ELNS1_11target_archE910ELNS1_3gpuE8ELNS1_3repE0EEENS1_30default_config_static_selectorELNS0_4arch9wavefront6targetE0EEEvSK_,"axG",@progbits,_ZN7rocprim17ROCPRIM_400000_NS6detail17trampoline_kernelINS0_14default_configENS1_37merge_sort_block_sort_config_selectorIxNS0_10empty_typeEEEZNS1_21merge_sort_block_sortIS3_N6thrust23THRUST_200600_302600_NS6detail15normal_iteratorINS9_10device_ptrIxEEEESE_PS5_SF_9comp_mod3IxEEE10hipError_tT0_T1_T2_T3_mRjT4_P12ihipStream_tbNS1_7vsmem_tEEUlT_E_NS1_11comp_targetILNS1_3genE4ELNS1_11target_archE910ELNS1_3gpuE8ELNS1_3repE0EEENS1_30default_config_static_selectorELNS0_4arch9wavefront6targetE0EEEvSK_,comdat
	.protected	_ZN7rocprim17ROCPRIM_400000_NS6detail17trampoline_kernelINS0_14default_configENS1_37merge_sort_block_sort_config_selectorIxNS0_10empty_typeEEEZNS1_21merge_sort_block_sortIS3_N6thrust23THRUST_200600_302600_NS6detail15normal_iteratorINS9_10device_ptrIxEEEESE_PS5_SF_9comp_mod3IxEEE10hipError_tT0_T1_T2_T3_mRjT4_P12ihipStream_tbNS1_7vsmem_tEEUlT_E_NS1_11comp_targetILNS1_3genE4ELNS1_11target_archE910ELNS1_3gpuE8ELNS1_3repE0EEENS1_30default_config_static_selectorELNS0_4arch9wavefront6targetE0EEEvSK_ ; -- Begin function _ZN7rocprim17ROCPRIM_400000_NS6detail17trampoline_kernelINS0_14default_configENS1_37merge_sort_block_sort_config_selectorIxNS0_10empty_typeEEEZNS1_21merge_sort_block_sortIS3_N6thrust23THRUST_200600_302600_NS6detail15normal_iteratorINS9_10device_ptrIxEEEESE_PS5_SF_9comp_mod3IxEEE10hipError_tT0_T1_T2_T3_mRjT4_P12ihipStream_tbNS1_7vsmem_tEEUlT_E_NS1_11comp_targetILNS1_3genE4ELNS1_11target_archE910ELNS1_3gpuE8ELNS1_3repE0EEENS1_30default_config_static_selectorELNS0_4arch9wavefront6targetE0EEEvSK_
	.globl	_ZN7rocprim17ROCPRIM_400000_NS6detail17trampoline_kernelINS0_14default_configENS1_37merge_sort_block_sort_config_selectorIxNS0_10empty_typeEEEZNS1_21merge_sort_block_sortIS3_N6thrust23THRUST_200600_302600_NS6detail15normal_iteratorINS9_10device_ptrIxEEEESE_PS5_SF_9comp_mod3IxEEE10hipError_tT0_T1_T2_T3_mRjT4_P12ihipStream_tbNS1_7vsmem_tEEUlT_E_NS1_11comp_targetILNS1_3genE4ELNS1_11target_archE910ELNS1_3gpuE8ELNS1_3repE0EEENS1_30default_config_static_selectorELNS0_4arch9wavefront6targetE0EEEvSK_
	.p2align	8
	.type	_ZN7rocprim17ROCPRIM_400000_NS6detail17trampoline_kernelINS0_14default_configENS1_37merge_sort_block_sort_config_selectorIxNS0_10empty_typeEEEZNS1_21merge_sort_block_sortIS3_N6thrust23THRUST_200600_302600_NS6detail15normal_iteratorINS9_10device_ptrIxEEEESE_PS5_SF_9comp_mod3IxEEE10hipError_tT0_T1_T2_T3_mRjT4_P12ihipStream_tbNS1_7vsmem_tEEUlT_E_NS1_11comp_targetILNS1_3genE4ELNS1_11target_archE910ELNS1_3gpuE8ELNS1_3repE0EEENS1_30default_config_static_selectorELNS0_4arch9wavefront6targetE0EEEvSK_,@function
_ZN7rocprim17ROCPRIM_400000_NS6detail17trampoline_kernelINS0_14default_configENS1_37merge_sort_block_sort_config_selectorIxNS0_10empty_typeEEEZNS1_21merge_sort_block_sortIS3_N6thrust23THRUST_200600_302600_NS6detail15normal_iteratorINS9_10device_ptrIxEEEESE_PS5_SF_9comp_mod3IxEEE10hipError_tT0_T1_T2_T3_mRjT4_P12ihipStream_tbNS1_7vsmem_tEEUlT_E_NS1_11comp_targetILNS1_3genE4ELNS1_11target_archE910ELNS1_3gpuE8ELNS1_3repE0EEENS1_30default_config_static_selectorELNS0_4arch9wavefront6targetE0EEEvSK_: ; @_ZN7rocprim17ROCPRIM_400000_NS6detail17trampoline_kernelINS0_14default_configENS1_37merge_sort_block_sort_config_selectorIxNS0_10empty_typeEEEZNS1_21merge_sort_block_sortIS3_N6thrust23THRUST_200600_302600_NS6detail15normal_iteratorINS9_10device_ptrIxEEEESE_PS5_SF_9comp_mod3IxEEE10hipError_tT0_T1_T2_T3_mRjT4_P12ihipStream_tbNS1_7vsmem_tEEUlT_E_NS1_11comp_targetILNS1_3genE4ELNS1_11target_archE910ELNS1_3gpuE8ELNS1_3repE0EEENS1_30default_config_static_selectorELNS0_4arch9wavefront6targetE0EEEvSK_
; %bb.0:
	.section	.rodata,"a",@progbits
	.p2align	6, 0x0
	.amdhsa_kernel _ZN7rocprim17ROCPRIM_400000_NS6detail17trampoline_kernelINS0_14default_configENS1_37merge_sort_block_sort_config_selectorIxNS0_10empty_typeEEEZNS1_21merge_sort_block_sortIS3_N6thrust23THRUST_200600_302600_NS6detail15normal_iteratorINS9_10device_ptrIxEEEESE_PS5_SF_9comp_mod3IxEEE10hipError_tT0_T1_T2_T3_mRjT4_P12ihipStream_tbNS1_7vsmem_tEEUlT_E_NS1_11comp_targetILNS1_3genE4ELNS1_11target_archE910ELNS1_3gpuE8ELNS1_3repE0EEENS1_30default_config_static_selectorELNS0_4arch9wavefront6targetE0EEEvSK_
		.amdhsa_group_segment_fixed_size 0
		.amdhsa_private_segment_fixed_size 0
		.amdhsa_kernarg_size 64
		.amdhsa_user_sgpr_count 6
		.amdhsa_user_sgpr_private_segment_buffer 1
		.amdhsa_user_sgpr_dispatch_ptr 0
		.amdhsa_user_sgpr_queue_ptr 0
		.amdhsa_user_sgpr_kernarg_segment_ptr 1
		.amdhsa_user_sgpr_dispatch_id 0
		.amdhsa_user_sgpr_flat_scratch_init 0
		.amdhsa_user_sgpr_private_segment_size 0
		.amdhsa_wavefront_size32 1
		.amdhsa_uses_dynamic_stack 0
		.amdhsa_system_sgpr_private_segment_wavefront_offset 0
		.amdhsa_system_sgpr_workgroup_id_x 1
		.amdhsa_system_sgpr_workgroup_id_y 0
		.amdhsa_system_sgpr_workgroup_id_z 0
		.amdhsa_system_sgpr_workgroup_info 0
		.amdhsa_system_vgpr_workitem_id 0
		.amdhsa_next_free_vgpr 1
		.amdhsa_next_free_sgpr 1
		.amdhsa_reserve_vcc 0
		.amdhsa_reserve_flat_scratch 0
		.amdhsa_float_round_mode_32 0
		.amdhsa_float_round_mode_16_64 0
		.amdhsa_float_denorm_mode_32 3
		.amdhsa_float_denorm_mode_16_64 3
		.amdhsa_dx10_clamp 1
		.amdhsa_ieee_mode 1
		.amdhsa_fp16_overflow 0
		.amdhsa_workgroup_processor_mode 1
		.amdhsa_memory_ordered 1
		.amdhsa_forward_progress 1
		.amdhsa_shared_vgpr_count 0
		.amdhsa_exception_fp_ieee_invalid_op 0
		.amdhsa_exception_fp_denorm_src 0
		.amdhsa_exception_fp_ieee_div_zero 0
		.amdhsa_exception_fp_ieee_overflow 0
		.amdhsa_exception_fp_ieee_underflow 0
		.amdhsa_exception_fp_ieee_inexact 0
		.amdhsa_exception_int_div_zero 0
	.end_amdhsa_kernel
	.section	.text._ZN7rocprim17ROCPRIM_400000_NS6detail17trampoline_kernelINS0_14default_configENS1_37merge_sort_block_sort_config_selectorIxNS0_10empty_typeEEEZNS1_21merge_sort_block_sortIS3_N6thrust23THRUST_200600_302600_NS6detail15normal_iteratorINS9_10device_ptrIxEEEESE_PS5_SF_9comp_mod3IxEEE10hipError_tT0_T1_T2_T3_mRjT4_P12ihipStream_tbNS1_7vsmem_tEEUlT_E_NS1_11comp_targetILNS1_3genE4ELNS1_11target_archE910ELNS1_3gpuE8ELNS1_3repE0EEENS1_30default_config_static_selectorELNS0_4arch9wavefront6targetE0EEEvSK_,"axG",@progbits,_ZN7rocprim17ROCPRIM_400000_NS6detail17trampoline_kernelINS0_14default_configENS1_37merge_sort_block_sort_config_selectorIxNS0_10empty_typeEEEZNS1_21merge_sort_block_sortIS3_N6thrust23THRUST_200600_302600_NS6detail15normal_iteratorINS9_10device_ptrIxEEEESE_PS5_SF_9comp_mod3IxEEE10hipError_tT0_T1_T2_T3_mRjT4_P12ihipStream_tbNS1_7vsmem_tEEUlT_E_NS1_11comp_targetILNS1_3genE4ELNS1_11target_archE910ELNS1_3gpuE8ELNS1_3repE0EEENS1_30default_config_static_selectorELNS0_4arch9wavefront6targetE0EEEvSK_,comdat
.Lfunc_end924:
	.size	_ZN7rocprim17ROCPRIM_400000_NS6detail17trampoline_kernelINS0_14default_configENS1_37merge_sort_block_sort_config_selectorIxNS0_10empty_typeEEEZNS1_21merge_sort_block_sortIS3_N6thrust23THRUST_200600_302600_NS6detail15normal_iteratorINS9_10device_ptrIxEEEESE_PS5_SF_9comp_mod3IxEEE10hipError_tT0_T1_T2_T3_mRjT4_P12ihipStream_tbNS1_7vsmem_tEEUlT_E_NS1_11comp_targetILNS1_3genE4ELNS1_11target_archE910ELNS1_3gpuE8ELNS1_3repE0EEENS1_30default_config_static_selectorELNS0_4arch9wavefront6targetE0EEEvSK_, .Lfunc_end924-_ZN7rocprim17ROCPRIM_400000_NS6detail17trampoline_kernelINS0_14default_configENS1_37merge_sort_block_sort_config_selectorIxNS0_10empty_typeEEEZNS1_21merge_sort_block_sortIS3_N6thrust23THRUST_200600_302600_NS6detail15normal_iteratorINS9_10device_ptrIxEEEESE_PS5_SF_9comp_mod3IxEEE10hipError_tT0_T1_T2_T3_mRjT4_P12ihipStream_tbNS1_7vsmem_tEEUlT_E_NS1_11comp_targetILNS1_3genE4ELNS1_11target_archE910ELNS1_3gpuE8ELNS1_3repE0EEENS1_30default_config_static_selectorELNS0_4arch9wavefront6targetE0EEEvSK_
                                        ; -- End function
	.set _ZN7rocprim17ROCPRIM_400000_NS6detail17trampoline_kernelINS0_14default_configENS1_37merge_sort_block_sort_config_selectorIxNS0_10empty_typeEEEZNS1_21merge_sort_block_sortIS3_N6thrust23THRUST_200600_302600_NS6detail15normal_iteratorINS9_10device_ptrIxEEEESE_PS5_SF_9comp_mod3IxEEE10hipError_tT0_T1_T2_T3_mRjT4_P12ihipStream_tbNS1_7vsmem_tEEUlT_E_NS1_11comp_targetILNS1_3genE4ELNS1_11target_archE910ELNS1_3gpuE8ELNS1_3repE0EEENS1_30default_config_static_selectorELNS0_4arch9wavefront6targetE0EEEvSK_.num_vgpr, 0
	.set _ZN7rocprim17ROCPRIM_400000_NS6detail17trampoline_kernelINS0_14default_configENS1_37merge_sort_block_sort_config_selectorIxNS0_10empty_typeEEEZNS1_21merge_sort_block_sortIS3_N6thrust23THRUST_200600_302600_NS6detail15normal_iteratorINS9_10device_ptrIxEEEESE_PS5_SF_9comp_mod3IxEEE10hipError_tT0_T1_T2_T3_mRjT4_P12ihipStream_tbNS1_7vsmem_tEEUlT_E_NS1_11comp_targetILNS1_3genE4ELNS1_11target_archE910ELNS1_3gpuE8ELNS1_3repE0EEENS1_30default_config_static_selectorELNS0_4arch9wavefront6targetE0EEEvSK_.num_agpr, 0
	.set _ZN7rocprim17ROCPRIM_400000_NS6detail17trampoline_kernelINS0_14default_configENS1_37merge_sort_block_sort_config_selectorIxNS0_10empty_typeEEEZNS1_21merge_sort_block_sortIS3_N6thrust23THRUST_200600_302600_NS6detail15normal_iteratorINS9_10device_ptrIxEEEESE_PS5_SF_9comp_mod3IxEEE10hipError_tT0_T1_T2_T3_mRjT4_P12ihipStream_tbNS1_7vsmem_tEEUlT_E_NS1_11comp_targetILNS1_3genE4ELNS1_11target_archE910ELNS1_3gpuE8ELNS1_3repE0EEENS1_30default_config_static_selectorELNS0_4arch9wavefront6targetE0EEEvSK_.numbered_sgpr, 0
	.set _ZN7rocprim17ROCPRIM_400000_NS6detail17trampoline_kernelINS0_14default_configENS1_37merge_sort_block_sort_config_selectorIxNS0_10empty_typeEEEZNS1_21merge_sort_block_sortIS3_N6thrust23THRUST_200600_302600_NS6detail15normal_iteratorINS9_10device_ptrIxEEEESE_PS5_SF_9comp_mod3IxEEE10hipError_tT0_T1_T2_T3_mRjT4_P12ihipStream_tbNS1_7vsmem_tEEUlT_E_NS1_11comp_targetILNS1_3genE4ELNS1_11target_archE910ELNS1_3gpuE8ELNS1_3repE0EEENS1_30default_config_static_selectorELNS0_4arch9wavefront6targetE0EEEvSK_.num_named_barrier, 0
	.set _ZN7rocprim17ROCPRIM_400000_NS6detail17trampoline_kernelINS0_14default_configENS1_37merge_sort_block_sort_config_selectorIxNS0_10empty_typeEEEZNS1_21merge_sort_block_sortIS3_N6thrust23THRUST_200600_302600_NS6detail15normal_iteratorINS9_10device_ptrIxEEEESE_PS5_SF_9comp_mod3IxEEE10hipError_tT0_T1_T2_T3_mRjT4_P12ihipStream_tbNS1_7vsmem_tEEUlT_E_NS1_11comp_targetILNS1_3genE4ELNS1_11target_archE910ELNS1_3gpuE8ELNS1_3repE0EEENS1_30default_config_static_selectorELNS0_4arch9wavefront6targetE0EEEvSK_.private_seg_size, 0
	.set _ZN7rocprim17ROCPRIM_400000_NS6detail17trampoline_kernelINS0_14default_configENS1_37merge_sort_block_sort_config_selectorIxNS0_10empty_typeEEEZNS1_21merge_sort_block_sortIS3_N6thrust23THRUST_200600_302600_NS6detail15normal_iteratorINS9_10device_ptrIxEEEESE_PS5_SF_9comp_mod3IxEEE10hipError_tT0_T1_T2_T3_mRjT4_P12ihipStream_tbNS1_7vsmem_tEEUlT_E_NS1_11comp_targetILNS1_3genE4ELNS1_11target_archE910ELNS1_3gpuE8ELNS1_3repE0EEENS1_30default_config_static_selectorELNS0_4arch9wavefront6targetE0EEEvSK_.uses_vcc, 0
	.set _ZN7rocprim17ROCPRIM_400000_NS6detail17trampoline_kernelINS0_14default_configENS1_37merge_sort_block_sort_config_selectorIxNS0_10empty_typeEEEZNS1_21merge_sort_block_sortIS3_N6thrust23THRUST_200600_302600_NS6detail15normal_iteratorINS9_10device_ptrIxEEEESE_PS5_SF_9comp_mod3IxEEE10hipError_tT0_T1_T2_T3_mRjT4_P12ihipStream_tbNS1_7vsmem_tEEUlT_E_NS1_11comp_targetILNS1_3genE4ELNS1_11target_archE910ELNS1_3gpuE8ELNS1_3repE0EEENS1_30default_config_static_selectorELNS0_4arch9wavefront6targetE0EEEvSK_.uses_flat_scratch, 0
	.set _ZN7rocprim17ROCPRIM_400000_NS6detail17trampoline_kernelINS0_14default_configENS1_37merge_sort_block_sort_config_selectorIxNS0_10empty_typeEEEZNS1_21merge_sort_block_sortIS3_N6thrust23THRUST_200600_302600_NS6detail15normal_iteratorINS9_10device_ptrIxEEEESE_PS5_SF_9comp_mod3IxEEE10hipError_tT0_T1_T2_T3_mRjT4_P12ihipStream_tbNS1_7vsmem_tEEUlT_E_NS1_11comp_targetILNS1_3genE4ELNS1_11target_archE910ELNS1_3gpuE8ELNS1_3repE0EEENS1_30default_config_static_selectorELNS0_4arch9wavefront6targetE0EEEvSK_.has_dyn_sized_stack, 0
	.set _ZN7rocprim17ROCPRIM_400000_NS6detail17trampoline_kernelINS0_14default_configENS1_37merge_sort_block_sort_config_selectorIxNS0_10empty_typeEEEZNS1_21merge_sort_block_sortIS3_N6thrust23THRUST_200600_302600_NS6detail15normal_iteratorINS9_10device_ptrIxEEEESE_PS5_SF_9comp_mod3IxEEE10hipError_tT0_T1_T2_T3_mRjT4_P12ihipStream_tbNS1_7vsmem_tEEUlT_E_NS1_11comp_targetILNS1_3genE4ELNS1_11target_archE910ELNS1_3gpuE8ELNS1_3repE0EEENS1_30default_config_static_selectorELNS0_4arch9wavefront6targetE0EEEvSK_.has_recursion, 0
	.set _ZN7rocprim17ROCPRIM_400000_NS6detail17trampoline_kernelINS0_14default_configENS1_37merge_sort_block_sort_config_selectorIxNS0_10empty_typeEEEZNS1_21merge_sort_block_sortIS3_N6thrust23THRUST_200600_302600_NS6detail15normal_iteratorINS9_10device_ptrIxEEEESE_PS5_SF_9comp_mod3IxEEE10hipError_tT0_T1_T2_T3_mRjT4_P12ihipStream_tbNS1_7vsmem_tEEUlT_E_NS1_11comp_targetILNS1_3genE4ELNS1_11target_archE910ELNS1_3gpuE8ELNS1_3repE0EEENS1_30default_config_static_selectorELNS0_4arch9wavefront6targetE0EEEvSK_.has_indirect_call, 0
	.section	.AMDGPU.csdata,"",@progbits
; Kernel info:
; codeLenInByte = 0
; TotalNumSgprs: 0
; NumVgprs: 0
; ScratchSize: 0
; MemoryBound: 0
; FloatMode: 240
; IeeeMode: 1
; LDSByteSize: 0 bytes/workgroup (compile time only)
; SGPRBlocks: 0
; VGPRBlocks: 0
; NumSGPRsForWavesPerEU: 1
; NumVGPRsForWavesPerEU: 1
; Occupancy: 16
; WaveLimiterHint : 0
; COMPUTE_PGM_RSRC2:SCRATCH_EN: 0
; COMPUTE_PGM_RSRC2:USER_SGPR: 6
; COMPUTE_PGM_RSRC2:TRAP_HANDLER: 0
; COMPUTE_PGM_RSRC2:TGID_X_EN: 1
; COMPUTE_PGM_RSRC2:TGID_Y_EN: 0
; COMPUTE_PGM_RSRC2:TGID_Z_EN: 0
; COMPUTE_PGM_RSRC2:TIDIG_COMP_CNT: 0
	.section	.text._ZN7rocprim17ROCPRIM_400000_NS6detail17trampoline_kernelINS0_14default_configENS1_37merge_sort_block_sort_config_selectorIxNS0_10empty_typeEEEZNS1_21merge_sort_block_sortIS3_N6thrust23THRUST_200600_302600_NS6detail15normal_iteratorINS9_10device_ptrIxEEEESE_PS5_SF_9comp_mod3IxEEE10hipError_tT0_T1_T2_T3_mRjT4_P12ihipStream_tbNS1_7vsmem_tEEUlT_E_NS1_11comp_targetILNS1_3genE3ELNS1_11target_archE908ELNS1_3gpuE7ELNS1_3repE0EEENS1_30default_config_static_selectorELNS0_4arch9wavefront6targetE0EEEvSK_,"axG",@progbits,_ZN7rocprim17ROCPRIM_400000_NS6detail17trampoline_kernelINS0_14default_configENS1_37merge_sort_block_sort_config_selectorIxNS0_10empty_typeEEEZNS1_21merge_sort_block_sortIS3_N6thrust23THRUST_200600_302600_NS6detail15normal_iteratorINS9_10device_ptrIxEEEESE_PS5_SF_9comp_mod3IxEEE10hipError_tT0_T1_T2_T3_mRjT4_P12ihipStream_tbNS1_7vsmem_tEEUlT_E_NS1_11comp_targetILNS1_3genE3ELNS1_11target_archE908ELNS1_3gpuE7ELNS1_3repE0EEENS1_30default_config_static_selectorELNS0_4arch9wavefront6targetE0EEEvSK_,comdat
	.protected	_ZN7rocprim17ROCPRIM_400000_NS6detail17trampoline_kernelINS0_14default_configENS1_37merge_sort_block_sort_config_selectorIxNS0_10empty_typeEEEZNS1_21merge_sort_block_sortIS3_N6thrust23THRUST_200600_302600_NS6detail15normal_iteratorINS9_10device_ptrIxEEEESE_PS5_SF_9comp_mod3IxEEE10hipError_tT0_T1_T2_T3_mRjT4_P12ihipStream_tbNS1_7vsmem_tEEUlT_E_NS1_11comp_targetILNS1_3genE3ELNS1_11target_archE908ELNS1_3gpuE7ELNS1_3repE0EEENS1_30default_config_static_selectorELNS0_4arch9wavefront6targetE0EEEvSK_ ; -- Begin function _ZN7rocprim17ROCPRIM_400000_NS6detail17trampoline_kernelINS0_14default_configENS1_37merge_sort_block_sort_config_selectorIxNS0_10empty_typeEEEZNS1_21merge_sort_block_sortIS3_N6thrust23THRUST_200600_302600_NS6detail15normal_iteratorINS9_10device_ptrIxEEEESE_PS5_SF_9comp_mod3IxEEE10hipError_tT0_T1_T2_T3_mRjT4_P12ihipStream_tbNS1_7vsmem_tEEUlT_E_NS1_11comp_targetILNS1_3genE3ELNS1_11target_archE908ELNS1_3gpuE7ELNS1_3repE0EEENS1_30default_config_static_selectorELNS0_4arch9wavefront6targetE0EEEvSK_
	.globl	_ZN7rocprim17ROCPRIM_400000_NS6detail17trampoline_kernelINS0_14default_configENS1_37merge_sort_block_sort_config_selectorIxNS0_10empty_typeEEEZNS1_21merge_sort_block_sortIS3_N6thrust23THRUST_200600_302600_NS6detail15normal_iteratorINS9_10device_ptrIxEEEESE_PS5_SF_9comp_mod3IxEEE10hipError_tT0_T1_T2_T3_mRjT4_P12ihipStream_tbNS1_7vsmem_tEEUlT_E_NS1_11comp_targetILNS1_3genE3ELNS1_11target_archE908ELNS1_3gpuE7ELNS1_3repE0EEENS1_30default_config_static_selectorELNS0_4arch9wavefront6targetE0EEEvSK_
	.p2align	8
	.type	_ZN7rocprim17ROCPRIM_400000_NS6detail17trampoline_kernelINS0_14default_configENS1_37merge_sort_block_sort_config_selectorIxNS0_10empty_typeEEEZNS1_21merge_sort_block_sortIS3_N6thrust23THRUST_200600_302600_NS6detail15normal_iteratorINS9_10device_ptrIxEEEESE_PS5_SF_9comp_mod3IxEEE10hipError_tT0_T1_T2_T3_mRjT4_P12ihipStream_tbNS1_7vsmem_tEEUlT_E_NS1_11comp_targetILNS1_3genE3ELNS1_11target_archE908ELNS1_3gpuE7ELNS1_3repE0EEENS1_30default_config_static_selectorELNS0_4arch9wavefront6targetE0EEEvSK_,@function
_ZN7rocprim17ROCPRIM_400000_NS6detail17trampoline_kernelINS0_14default_configENS1_37merge_sort_block_sort_config_selectorIxNS0_10empty_typeEEEZNS1_21merge_sort_block_sortIS3_N6thrust23THRUST_200600_302600_NS6detail15normal_iteratorINS9_10device_ptrIxEEEESE_PS5_SF_9comp_mod3IxEEE10hipError_tT0_T1_T2_T3_mRjT4_P12ihipStream_tbNS1_7vsmem_tEEUlT_E_NS1_11comp_targetILNS1_3genE3ELNS1_11target_archE908ELNS1_3gpuE7ELNS1_3repE0EEENS1_30default_config_static_selectorELNS0_4arch9wavefront6targetE0EEEvSK_: ; @_ZN7rocprim17ROCPRIM_400000_NS6detail17trampoline_kernelINS0_14default_configENS1_37merge_sort_block_sort_config_selectorIxNS0_10empty_typeEEEZNS1_21merge_sort_block_sortIS3_N6thrust23THRUST_200600_302600_NS6detail15normal_iteratorINS9_10device_ptrIxEEEESE_PS5_SF_9comp_mod3IxEEE10hipError_tT0_T1_T2_T3_mRjT4_P12ihipStream_tbNS1_7vsmem_tEEUlT_E_NS1_11comp_targetILNS1_3genE3ELNS1_11target_archE908ELNS1_3gpuE7ELNS1_3repE0EEENS1_30default_config_static_selectorELNS0_4arch9wavefront6targetE0EEEvSK_
; %bb.0:
	.section	.rodata,"a",@progbits
	.p2align	6, 0x0
	.amdhsa_kernel _ZN7rocprim17ROCPRIM_400000_NS6detail17trampoline_kernelINS0_14default_configENS1_37merge_sort_block_sort_config_selectorIxNS0_10empty_typeEEEZNS1_21merge_sort_block_sortIS3_N6thrust23THRUST_200600_302600_NS6detail15normal_iteratorINS9_10device_ptrIxEEEESE_PS5_SF_9comp_mod3IxEEE10hipError_tT0_T1_T2_T3_mRjT4_P12ihipStream_tbNS1_7vsmem_tEEUlT_E_NS1_11comp_targetILNS1_3genE3ELNS1_11target_archE908ELNS1_3gpuE7ELNS1_3repE0EEENS1_30default_config_static_selectorELNS0_4arch9wavefront6targetE0EEEvSK_
		.amdhsa_group_segment_fixed_size 0
		.amdhsa_private_segment_fixed_size 0
		.amdhsa_kernarg_size 64
		.amdhsa_user_sgpr_count 6
		.amdhsa_user_sgpr_private_segment_buffer 1
		.amdhsa_user_sgpr_dispatch_ptr 0
		.amdhsa_user_sgpr_queue_ptr 0
		.amdhsa_user_sgpr_kernarg_segment_ptr 1
		.amdhsa_user_sgpr_dispatch_id 0
		.amdhsa_user_sgpr_flat_scratch_init 0
		.amdhsa_user_sgpr_private_segment_size 0
		.amdhsa_wavefront_size32 1
		.amdhsa_uses_dynamic_stack 0
		.amdhsa_system_sgpr_private_segment_wavefront_offset 0
		.amdhsa_system_sgpr_workgroup_id_x 1
		.amdhsa_system_sgpr_workgroup_id_y 0
		.amdhsa_system_sgpr_workgroup_id_z 0
		.amdhsa_system_sgpr_workgroup_info 0
		.amdhsa_system_vgpr_workitem_id 0
		.amdhsa_next_free_vgpr 1
		.amdhsa_next_free_sgpr 1
		.amdhsa_reserve_vcc 0
		.amdhsa_reserve_flat_scratch 0
		.amdhsa_float_round_mode_32 0
		.amdhsa_float_round_mode_16_64 0
		.amdhsa_float_denorm_mode_32 3
		.amdhsa_float_denorm_mode_16_64 3
		.amdhsa_dx10_clamp 1
		.amdhsa_ieee_mode 1
		.amdhsa_fp16_overflow 0
		.amdhsa_workgroup_processor_mode 1
		.amdhsa_memory_ordered 1
		.amdhsa_forward_progress 1
		.amdhsa_shared_vgpr_count 0
		.amdhsa_exception_fp_ieee_invalid_op 0
		.amdhsa_exception_fp_denorm_src 0
		.amdhsa_exception_fp_ieee_div_zero 0
		.amdhsa_exception_fp_ieee_overflow 0
		.amdhsa_exception_fp_ieee_underflow 0
		.amdhsa_exception_fp_ieee_inexact 0
		.amdhsa_exception_int_div_zero 0
	.end_amdhsa_kernel
	.section	.text._ZN7rocprim17ROCPRIM_400000_NS6detail17trampoline_kernelINS0_14default_configENS1_37merge_sort_block_sort_config_selectorIxNS0_10empty_typeEEEZNS1_21merge_sort_block_sortIS3_N6thrust23THRUST_200600_302600_NS6detail15normal_iteratorINS9_10device_ptrIxEEEESE_PS5_SF_9comp_mod3IxEEE10hipError_tT0_T1_T2_T3_mRjT4_P12ihipStream_tbNS1_7vsmem_tEEUlT_E_NS1_11comp_targetILNS1_3genE3ELNS1_11target_archE908ELNS1_3gpuE7ELNS1_3repE0EEENS1_30default_config_static_selectorELNS0_4arch9wavefront6targetE0EEEvSK_,"axG",@progbits,_ZN7rocprim17ROCPRIM_400000_NS6detail17trampoline_kernelINS0_14default_configENS1_37merge_sort_block_sort_config_selectorIxNS0_10empty_typeEEEZNS1_21merge_sort_block_sortIS3_N6thrust23THRUST_200600_302600_NS6detail15normal_iteratorINS9_10device_ptrIxEEEESE_PS5_SF_9comp_mod3IxEEE10hipError_tT0_T1_T2_T3_mRjT4_P12ihipStream_tbNS1_7vsmem_tEEUlT_E_NS1_11comp_targetILNS1_3genE3ELNS1_11target_archE908ELNS1_3gpuE7ELNS1_3repE0EEENS1_30default_config_static_selectorELNS0_4arch9wavefront6targetE0EEEvSK_,comdat
.Lfunc_end925:
	.size	_ZN7rocprim17ROCPRIM_400000_NS6detail17trampoline_kernelINS0_14default_configENS1_37merge_sort_block_sort_config_selectorIxNS0_10empty_typeEEEZNS1_21merge_sort_block_sortIS3_N6thrust23THRUST_200600_302600_NS6detail15normal_iteratorINS9_10device_ptrIxEEEESE_PS5_SF_9comp_mod3IxEEE10hipError_tT0_T1_T2_T3_mRjT4_P12ihipStream_tbNS1_7vsmem_tEEUlT_E_NS1_11comp_targetILNS1_3genE3ELNS1_11target_archE908ELNS1_3gpuE7ELNS1_3repE0EEENS1_30default_config_static_selectorELNS0_4arch9wavefront6targetE0EEEvSK_, .Lfunc_end925-_ZN7rocprim17ROCPRIM_400000_NS6detail17trampoline_kernelINS0_14default_configENS1_37merge_sort_block_sort_config_selectorIxNS0_10empty_typeEEEZNS1_21merge_sort_block_sortIS3_N6thrust23THRUST_200600_302600_NS6detail15normal_iteratorINS9_10device_ptrIxEEEESE_PS5_SF_9comp_mod3IxEEE10hipError_tT0_T1_T2_T3_mRjT4_P12ihipStream_tbNS1_7vsmem_tEEUlT_E_NS1_11comp_targetILNS1_3genE3ELNS1_11target_archE908ELNS1_3gpuE7ELNS1_3repE0EEENS1_30default_config_static_selectorELNS0_4arch9wavefront6targetE0EEEvSK_
                                        ; -- End function
	.set _ZN7rocprim17ROCPRIM_400000_NS6detail17trampoline_kernelINS0_14default_configENS1_37merge_sort_block_sort_config_selectorIxNS0_10empty_typeEEEZNS1_21merge_sort_block_sortIS3_N6thrust23THRUST_200600_302600_NS6detail15normal_iteratorINS9_10device_ptrIxEEEESE_PS5_SF_9comp_mod3IxEEE10hipError_tT0_T1_T2_T3_mRjT4_P12ihipStream_tbNS1_7vsmem_tEEUlT_E_NS1_11comp_targetILNS1_3genE3ELNS1_11target_archE908ELNS1_3gpuE7ELNS1_3repE0EEENS1_30default_config_static_selectorELNS0_4arch9wavefront6targetE0EEEvSK_.num_vgpr, 0
	.set _ZN7rocprim17ROCPRIM_400000_NS6detail17trampoline_kernelINS0_14default_configENS1_37merge_sort_block_sort_config_selectorIxNS0_10empty_typeEEEZNS1_21merge_sort_block_sortIS3_N6thrust23THRUST_200600_302600_NS6detail15normal_iteratorINS9_10device_ptrIxEEEESE_PS5_SF_9comp_mod3IxEEE10hipError_tT0_T1_T2_T3_mRjT4_P12ihipStream_tbNS1_7vsmem_tEEUlT_E_NS1_11comp_targetILNS1_3genE3ELNS1_11target_archE908ELNS1_3gpuE7ELNS1_3repE0EEENS1_30default_config_static_selectorELNS0_4arch9wavefront6targetE0EEEvSK_.num_agpr, 0
	.set _ZN7rocprim17ROCPRIM_400000_NS6detail17trampoline_kernelINS0_14default_configENS1_37merge_sort_block_sort_config_selectorIxNS0_10empty_typeEEEZNS1_21merge_sort_block_sortIS3_N6thrust23THRUST_200600_302600_NS6detail15normal_iteratorINS9_10device_ptrIxEEEESE_PS5_SF_9comp_mod3IxEEE10hipError_tT0_T1_T2_T3_mRjT4_P12ihipStream_tbNS1_7vsmem_tEEUlT_E_NS1_11comp_targetILNS1_3genE3ELNS1_11target_archE908ELNS1_3gpuE7ELNS1_3repE0EEENS1_30default_config_static_selectorELNS0_4arch9wavefront6targetE0EEEvSK_.numbered_sgpr, 0
	.set _ZN7rocprim17ROCPRIM_400000_NS6detail17trampoline_kernelINS0_14default_configENS1_37merge_sort_block_sort_config_selectorIxNS0_10empty_typeEEEZNS1_21merge_sort_block_sortIS3_N6thrust23THRUST_200600_302600_NS6detail15normal_iteratorINS9_10device_ptrIxEEEESE_PS5_SF_9comp_mod3IxEEE10hipError_tT0_T1_T2_T3_mRjT4_P12ihipStream_tbNS1_7vsmem_tEEUlT_E_NS1_11comp_targetILNS1_3genE3ELNS1_11target_archE908ELNS1_3gpuE7ELNS1_3repE0EEENS1_30default_config_static_selectorELNS0_4arch9wavefront6targetE0EEEvSK_.num_named_barrier, 0
	.set _ZN7rocprim17ROCPRIM_400000_NS6detail17trampoline_kernelINS0_14default_configENS1_37merge_sort_block_sort_config_selectorIxNS0_10empty_typeEEEZNS1_21merge_sort_block_sortIS3_N6thrust23THRUST_200600_302600_NS6detail15normal_iteratorINS9_10device_ptrIxEEEESE_PS5_SF_9comp_mod3IxEEE10hipError_tT0_T1_T2_T3_mRjT4_P12ihipStream_tbNS1_7vsmem_tEEUlT_E_NS1_11comp_targetILNS1_3genE3ELNS1_11target_archE908ELNS1_3gpuE7ELNS1_3repE0EEENS1_30default_config_static_selectorELNS0_4arch9wavefront6targetE0EEEvSK_.private_seg_size, 0
	.set _ZN7rocprim17ROCPRIM_400000_NS6detail17trampoline_kernelINS0_14default_configENS1_37merge_sort_block_sort_config_selectorIxNS0_10empty_typeEEEZNS1_21merge_sort_block_sortIS3_N6thrust23THRUST_200600_302600_NS6detail15normal_iteratorINS9_10device_ptrIxEEEESE_PS5_SF_9comp_mod3IxEEE10hipError_tT0_T1_T2_T3_mRjT4_P12ihipStream_tbNS1_7vsmem_tEEUlT_E_NS1_11comp_targetILNS1_3genE3ELNS1_11target_archE908ELNS1_3gpuE7ELNS1_3repE0EEENS1_30default_config_static_selectorELNS0_4arch9wavefront6targetE0EEEvSK_.uses_vcc, 0
	.set _ZN7rocprim17ROCPRIM_400000_NS6detail17trampoline_kernelINS0_14default_configENS1_37merge_sort_block_sort_config_selectorIxNS0_10empty_typeEEEZNS1_21merge_sort_block_sortIS3_N6thrust23THRUST_200600_302600_NS6detail15normal_iteratorINS9_10device_ptrIxEEEESE_PS5_SF_9comp_mod3IxEEE10hipError_tT0_T1_T2_T3_mRjT4_P12ihipStream_tbNS1_7vsmem_tEEUlT_E_NS1_11comp_targetILNS1_3genE3ELNS1_11target_archE908ELNS1_3gpuE7ELNS1_3repE0EEENS1_30default_config_static_selectorELNS0_4arch9wavefront6targetE0EEEvSK_.uses_flat_scratch, 0
	.set _ZN7rocprim17ROCPRIM_400000_NS6detail17trampoline_kernelINS0_14default_configENS1_37merge_sort_block_sort_config_selectorIxNS0_10empty_typeEEEZNS1_21merge_sort_block_sortIS3_N6thrust23THRUST_200600_302600_NS6detail15normal_iteratorINS9_10device_ptrIxEEEESE_PS5_SF_9comp_mod3IxEEE10hipError_tT0_T1_T2_T3_mRjT4_P12ihipStream_tbNS1_7vsmem_tEEUlT_E_NS1_11comp_targetILNS1_3genE3ELNS1_11target_archE908ELNS1_3gpuE7ELNS1_3repE0EEENS1_30default_config_static_selectorELNS0_4arch9wavefront6targetE0EEEvSK_.has_dyn_sized_stack, 0
	.set _ZN7rocprim17ROCPRIM_400000_NS6detail17trampoline_kernelINS0_14default_configENS1_37merge_sort_block_sort_config_selectorIxNS0_10empty_typeEEEZNS1_21merge_sort_block_sortIS3_N6thrust23THRUST_200600_302600_NS6detail15normal_iteratorINS9_10device_ptrIxEEEESE_PS5_SF_9comp_mod3IxEEE10hipError_tT0_T1_T2_T3_mRjT4_P12ihipStream_tbNS1_7vsmem_tEEUlT_E_NS1_11comp_targetILNS1_3genE3ELNS1_11target_archE908ELNS1_3gpuE7ELNS1_3repE0EEENS1_30default_config_static_selectorELNS0_4arch9wavefront6targetE0EEEvSK_.has_recursion, 0
	.set _ZN7rocprim17ROCPRIM_400000_NS6detail17trampoline_kernelINS0_14default_configENS1_37merge_sort_block_sort_config_selectorIxNS0_10empty_typeEEEZNS1_21merge_sort_block_sortIS3_N6thrust23THRUST_200600_302600_NS6detail15normal_iteratorINS9_10device_ptrIxEEEESE_PS5_SF_9comp_mod3IxEEE10hipError_tT0_T1_T2_T3_mRjT4_P12ihipStream_tbNS1_7vsmem_tEEUlT_E_NS1_11comp_targetILNS1_3genE3ELNS1_11target_archE908ELNS1_3gpuE7ELNS1_3repE0EEENS1_30default_config_static_selectorELNS0_4arch9wavefront6targetE0EEEvSK_.has_indirect_call, 0
	.section	.AMDGPU.csdata,"",@progbits
; Kernel info:
; codeLenInByte = 0
; TotalNumSgprs: 0
; NumVgprs: 0
; ScratchSize: 0
; MemoryBound: 0
; FloatMode: 240
; IeeeMode: 1
; LDSByteSize: 0 bytes/workgroup (compile time only)
; SGPRBlocks: 0
; VGPRBlocks: 0
; NumSGPRsForWavesPerEU: 1
; NumVGPRsForWavesPerEU: 1
; Occupancy: 16
; WaveLimiterHint : 0
; COMPUTE_PGM_RSRC2:SCRATCH_EN: 0
; COMPUTE_PGM_RSRC2:USER_SGPR: 6
; COMPUTE_PGM_RSRC2:TRAP_HANDLER: 0
; COMPUTE_PGM_RSRC2:TGID_X_EN: 1
; COMPUTE_PGM_RSRC2:TGID_Y_EN: 0
; COMPUTE_PGM_RSRC2:TGID_Z_EN: 0
; COMPUTE_PGM_RSRC2:TIDIG_COMP_CNT: 0
	.section	.text._ZN7rocprim17ROCPRIM_400000_NS6detail17trampoline_kernelINS0_14default_configENS1_37merge_sort_block_sort_config_selectorIxNS0_10empty_typeEEEZNS1_21merge_sort_block_sortIS3_N6thrust23THRUST_200600_302600_NS6detail15normal_iteratorINS9_10device_ptrIxEEEESE_PS5_SF_9comp_mod3IxEEE10hipError_tT0_T1_T2_T3_mRjT4_P12ihipStream_tbNS1_7vsmem_tEEUlT_E_NS1_11comp_targetILNS1_3genE2ELNS1_11target_archE906ELNS1_3gpuE6ELNS1_3repE0EEENS1_30default_config_static_selectorELNS0_4arch9wavefront6targetE0EEEvSK_,"axG",@progbits,_ZN7rocprim17ROCPRIM_400000_NS6detail17trampoline_kernelINS0_14default_configENS1_37merge_sort_block_sort_config_selectorIxNS0_10empty_typeEEEZNS1_21merge_sort_block_sortIS3_N6thrust23THRUST_200600_302600_NS6detail15normal_iteratorINS9_10device_ptrIxEEEESE_PS5_SF_9comp_mod3IxEEE10hipError_tT0_T1_T2_T3_mRjT4_P12ihipStream_tbNS1_7vsmem_tEEUlT_E_NS1_11comp_targetILNS1_3genE2ELNS1_11target_archE906ELNS1_3gpuE6ELNS1_3repE0EEENS1_30default_config_static_selectorELNS0_4arch9wavefront6targetE0EEEvSK_,comdat
	.protected	_ZN7rocprim17ROCPRIM_400000_NS6detail17trampoline_kernelINS0_14default_configENS1_37merge_sort_block_sort_config_selectorIxNS0_10empty_typeEEEZNS1_21merge_sort_block_sortIS3_N6thrust23THRUST_200600_302600_NS6detail15normal_iteratorINS9_10device_ptrIxEEEESE_PS5_SF_9comp_mod3IxEEE10hipError_tT0_T1_T2_T3_mRjT4_P12ihipStream_tbNS1_7vsmem_tEEUlT_E_NS1_11comp_targetILNS1_3genE2ELNS1_11target_archE906ELNS1_3gpuE6ELNS1_3repE0EEENS1_30default_config_static_selectorELNS0_4arch9wavefront6targetE0EEEvSK_ ; -- Begin function _ZN7rocprim17ROCPRIM_400000_NS6detail17trampoline_kernelINS0_14default_configENS1_37merge_sort_block_sort_config_selectorIxNS0_10empty_typeEEEZNS1_21merge_sort_block_sortIS3_N6thrust23THRUST_200600_302600_NS6detail15normal_iteratorINS9_10device_ptrIxEEEESE_PS5_SF_9comp_mod3IxEEE10hipError_tT0_T1_T2_T3_mRjT4_P12ihipStream_tbNS1_7vsmem_tEEUlT_E_NS1_11comp_targetILNS1_3genE2ELNS1_11target_archE906ELNS1_3gpuE6ELNS1_3repE0EEENS1_30default_config_static_selectorELNS0_4arch9wavefront6targetE0EEEvSK_
	.globl	_ZN7rocprim17ROCPRIM_400000_NS6detail17trampoline_kernelINS0_14default_configENS1_37merge_sort_block_sort_config_selectorIxNS0_10empty_typeEEEZNS1_21merge_sort_block_sortIS3_N6thrust23THRUST_200600_302600_NS6detail15normal_iteratorINS9_10device_ptrIxEEEESE_PS5_SF_9comp_mod3IxEEE10hipError_tT0_T1_T2_T3_mRjT4_P12ihipStream_tbNS1_7vsmem_tEEUlT_E_NS1_11comp_targetILNS1_3genE2ELNS1_11target_archE906ELNS1_3gpuE6ELNS1_3repE0EEENS1_30default_config_static_selectorELNS0_4arch9wavefront6targetE0EEEvSK_
	.p2align	8
	.type	_ZN7rocprim17ROCPRIM_400000_NS6detail17trampoline_kernelINS0_14default_configENS1_37merge_sort_block_sort_config_selectorIxNS0_10empty_typeEEEZNS1_21merge_sort_block_sortIS3_N6thrust23THRUST_200600_302600_NS6detail15normal_iteratorINS9_10device_ptrIxEEEESE_PS5_SF_9comp_mod3IxEEE10hipError_tT0_T1_T2_T3_mRjT4_P12ihipStream_tbNS1_7vsmem_tEEUlT_E_NS1_11comp_targetILNS1_3genE2ELNS1_11target_archE906ELNS1_3gpuE6ELNS1_3repE0EEENS1_30default_config_static_selectorELNS0_4arch9wavefront6targetE0EEEvSK_,@function
_ZN7rocprim17ROCPRIM_400000_NS6detail17trampoline_kernelINS0_14default_configENS1_37merge_sort_block_sort_config_selectorIxNS0_10empty_typeEEEZNS1_21merge_sort_block_sortIS3_N6thrust23THRUST_200600_302600_NS6detail15normal_iteratorINS9_10device_ptrIxEEEESE_PS5_SF_9comp_mod3IxEEE10hipError_tT0_T1_T2_T3_mRjT4_P12ihipStream_tbNS1_7vsmem_tEEUlT_E_NS1_11comp_targetILNS1_3genE2ELNS1_11target_archE906ELNS1_3gpuE6ELNS1_3repE0EEENS1_30default_config_static_selectorELNS0_4arch9wavefront6targetE0EEEvSK_: ; @_ZN7rocprim17ROCPRIM_400000_NS6detail17trampoline_kernelINS0_14default_configENS1_37merge_sort_block_sort_config_selectorIxNS0_10empty_typeEEEZNS1_21merge_sort_block_sortIS3_N6thrust23THRUST_200600_302600_NS6detail15normal_iteratorINS9_10device_ptrIxEEEESE_PS5_SF_9comp_mod3IxEEE10hipError_tT0_T1_T2_T3_mRjT4_P12ihipStream_tbNS1_7vsmem_tEEUlT_E_NS1_11comp_targetILNS1_3genE2ELNS1_11target_archE906ELNS1_3gpuE6ELNS1_3repE0EEENS1_30default_config_static_selectorELNS0_4arch9wavefront6targetE0EEEvSK_
; %bb.0:
	.section	.rodata,"a",@progbits
	.p2align	6, 0x0
	.amdhsa_kernel _ZN7rocprim17ROCPRIM_400000_NS6detail17trampoline_kernelINS0_14default_configENS1_37merge_sort_block_sort_config_selectorIxNS0_10empty_typeEEEZNS1_21merge_sort_block_sortIS3_N6thrust23THRUST_200600_302600_NS6detail15normal_iteratorINS9_10device_ptrIxEEEESE_PS5_SF_9comp_mod3IxEEE10hipError_tT0_T1_T2_T3_mRjT4_P12ihipStream_tbNS1_7vsmem_tEEUlT_E_NS1_11comp_targetILNS1_3genE2ELNS1_11target_archE906ELNS1_3gpuE6ELNS1_3repE0EEENS1_30default_config_static_selectorELNS0_4arch9wavefront6targetE0EEEvSK_
		.amdhsa_group_segment_fixed_size 0
		.amdhsa_private_segment_fixed_size 0
		.amdhsa_kernarg_size 64
		.amdhsa_user_sgpr_count 6
		.amdhsa_user_sgpr_private_segment_buffer 1
		.amdhsa_user_sgpr_dispatch_ptr 0
		.amdhsa_user_sgpr_queue_ptr 0
		.amdhsa_user_sgpr_kernarg_segment_ptr 1
		.amdhsa_user_sgpr_dispatch_id 0
		.amdhsa_user_sgpr_flat_scratch_init 0
		.amdhsa_user_sgpr_private_segment_size 0
		.amdhsa_wavefront_size32 1
		.amdhsa_uses_dynamic_stack 0
		.amdhsa_system_sgpr_private_segment_wavefront_offset 0
		.amdhsa_system_sgpr_workgroup_id_x 1
		.amdhsa_system_sgpr_workgroup_id_y 0
		.amdhsa_system_sgpr_workgroup_id_z 0
		.amdhsa_system_sgpr_workgroup_info 0
		.amdhsa_system_vgpr_workitem_id 0
		.amdhsa_next_free_vgpr 1
		.amdhsa_next_free_sgpr 1
		.amdhsa_reserve_vcc 0
		.amdhsa_reserve_flat_scratch 0
		.amdhsa_float_round_mode_32 0
		.amdhsa_float_round_mode_16_64 0
		.amdhsa_float_denorm_mode_32 3
		.amdhsa_float_denorm_mode_16_64 3
		.amdhsa_dx10_clamp 1
		.amdhsa_ieee_mode 1
		.amdhsa_fp16_overflow 0
		.amdhsa_workgroup_processor_mode 1
		.amdhsa_memory_ordered 1
		.amdhsa_forward_progress 1
		.amdhsa_shared_vgpr_count 0
		.amdhsa_exception_fp_ieee_invalid_op 0
		.amdhsa_exception_fp_denorm_src 0
		.amdhsa_exception_fp_ieee_div_zero 0
		.amdhsa_exception_fp_ieee_overflow 0
		.amdhsa_exception_fp_ieee_underflow 0
		.amdhsa_exception_fp_ieee_inexact 0
		.amdhsa_exception_int_div_zero 0
	.end_amdhsa_kernel
	.section	.text._ZN7rocprim17ROCPRIM_400000_NS6detail17trampoline_kernelINS0_14default_configENS1_37merge_sort_block_sort_config_selectorIxNS0_10empty_typeEEEZNS1_21merge_sort_block_sortIS3_N6thrust23THRUST_200600_302600_NS6detail15normal_iteratorINS9_10device_ptrIxEEEESE_PS5_SF_9comp_mod3IxEEE10hipError_tT0_T1_T2_T3_mRjT4_P12ihipStream_tbNS1_7vsmem_tEEUlT_E_NS1_11comp_targetILNS1_3genE2ELNS1_11target_archE906ELNS1_3gpuE6ELNS1_3repE0EEENS1_30default_config_static_selectorELNS0_4arch9wavefront6targetE0EEEvSK_,"axG",@progbits,_ZN7rocprim17ROCPRIM_400000_NS6detail17trampoline_kernelINS0_14default_configENS1_37merge_sort_block_sort_config_selectorIxNS0_10empty_typeEEEZNS1_21merge_sort_block_sortIS3_N6thrust23THRUST_200600_302600_NS6detail15normal_iteratorINS9_10device_ptrIxEEEESE_PS5_SF_9comp_mod3IxEEE10hipError_tT0_T1_T2_T3_mRjT4_P12ihipStream_tbNS1_7vsmem_tEEUlT_E_NS1_11comp_targetILNS1_3genE2ELNS1_11target_archE906ELNS1_3gpuE6ELNS1_3repE0EEENS1_30default_config_static_selectorELNS0_4arch9wavefront6targetE0EEEvSK_,comdat
.Lfunc_end926:
	.size	_ZN7rocprim17ROCPRIM_400000_NS6detail17trampoline_kernelINS0_14default_configENS1_37merge_sort_block_sort_config_selectorIxNS0_10empty_typeEEEZNS1_21merge_sort_block_sortIS3_N6thrust23THRUST_200600_302600_NS6detail15normal_iteratorINS9_10device_ptrIxEEEESE_PS5_SF_9comp_mod3IxEEE10hipError_tT0_T1_T2_T3_mRjT4_P12ihipStream_tbNS1_7vsmem_tEEUlT_E_NS1_11comp_targetILNS1_3genE2ELNS1_11target_archE906ELNS1_3gpuE6ELNS1_3repE0EEENS1_30default_config_static_selectorELNS0_4arch9wavefront6targetE0EEEvSK_, .Lfunc_end926-_ZN7rocprim17ROCPRIM_400000_NS6detail17trampoline_kernelINS0_14default_configENS1_37merge_sort_block_sort_config_selectorIxNS0_10empty_typeEEEZNS1_21merge_sort_block_sortIS3_N6thrust23THRUST_200600_302600_NS6detail15normal_iteratorINS9_10device_ptrIxEEEESE_PS5_SF_9comp_mod3IxEEE10hipError_tT0_T1_T2_T3_mRjT4_P12ihipStream_tbNS1_7vsmem_tEEUlT_E_NS1_11comp_targetILNS1_3genE2ELNS1_11target_archE906ELNS1_3gpuE6ELNS1_3repE0EEENS1_30default_config_static_selectorELNS0_4arch9wavefront6targetE0EEEvSK_
                                        ; -- End function
	.set _ZN7rocprim17ROCPRIM_400000_NS6detail17trampoline_kernelINS0_14default_configENS1_37merge_sort_block_sort_config_selectorIxNS0_10empty_typeEEEZNS1_21merge_sort_block_sortIS3_N6thrust23THRUST_200600_302600_NS6detail15normal_iteratorINS9_10device_ptrIxEEEESE_PS5_SF_9comp_mod3IxEEE10hipError_tT0_T1_T2_T3_mRjT4_P12ihipStream_tbNS1_7vsmem_tEEUlT_E_NS1_11comp_targetILNS1_3genE2ELNS1_11target_archE906ELNS1_3gpuE6ELNS1_3repE0EEENS1_30default_config_static_selectorELNS0_4arch9wavefront6targetE0EEEvSK_.num_vgpr, 0
	.set _ZN7rocprim17ROCPRIM_400000_NS6detail17trampoline_kernelINS0_14default_configENS1_37merge_sort_block_sort_config_selectorIxNS0_10empty_typeEEEZNS1_21merge_sort_block_sortIS3_N6thrust23THRUST_200600_302600_NS6detail15normal_iteratorINS9_10device_ptrIxEEEESE_PS5_SF_9comp_mod3IxEEE10hipError_tT0_T1_T2_T3_mRjT4_P12ihipStream_tbNS1_7vsmem_tEEUlT_E_NS1_11comp_targetILNS1_3genE2ELNS1_11target_archE906ELNS1_3gpuE6ELNS1_3repE0EEENS1_30default_config_static_selectorELNS0_4arch9wavefront6targetE0EEEvSK_.num_agpr, 0
	.set _ZN7rocprim17ROCPRIM_400000_NS6detail17trampoline_kernelINS0_14default_configENS1_37merge_sort_block_sort_config_selectorIxNS0_10empty_typeEEEZNS1_21merge_sort_block_sortIS3_N6thrust23THRUST_200600_302600_NS6detail15normal_iteratorINS9_10device_ptrIxEEEESE_PS5_SF_9comp_mod3IxEEE10hipError_tT0_T1_T2_T3_mRjT4_P12ihipStream_tbNS1_7vsmem_tEEUlT_E_NS1_11comp_targetILNS1_3genE2ELNS1_11target_archE906ELNS1_3gpuE6ELNS1_3repE0EEENS1_30default_config_static_selectorELNS0_4arch9wavefront6targetE0EEEvSK_.numbered_sgpr, 0
	.set _ZN7rocprim17ROCPRIM_400000_NS6detail17trampoline_kernelINS0_14default_configENS1_37merge_sort_block_sort_config_selectorIxNS0_10empty_typeEEEZNS1_21merge_sort_block_sortIS3_N6thrust23THRUST_200600_302600_NS6detail15normal_iteratorINS9_10device_ptrIxEEEESE_PS5_SF_9comp_mod3IxEEE10hipError_tT0_T1_T2_T3_mRjT4_P12ihipStream_tbNS1_7vsmem_tEEUlT_E_NS1_11comp_targetILNS1_3genE2ELNS1_11target_archE906ELNS1_3gpuE6ELNS1_3repE0EEENS1_30default_config_static_selectorELNS0_4arch9wavefront6targetE0EEEvSK_.num_named_barrier, 0
	.set _ZN7rocprim17ROCPRIM_400000_NS6detail17trampoline_kernelINS0_14default_configENS1_37merge_sort_block_sort_config_selectorIxNS0_10empty_typeEEEZNS1_21merge_sort_block_sortIS3_N6thrust23THRUST_200600_302600_NS6detail15normal_iteratorINS9_10device_ptrIxEEEESE_PS5_SF_9comp_mod3IxEEE10hipError_tT0_T1_T2_T3_mRjT4_P12ihipStream_tbNS1_7vsmem_tEEUlT_E_NS1_11comp_targetILNS1_3genE2ELNS1_11target_archE906ELNS1_3gpuE6ELNS1_3repE0EEENS1_30default_config_static_selectorELNS0_4arch9wavefront6targetE0EEEvSK_.private_seg_size, 0
	.set _ZN7rocprim17ROCPRIM_400000_NS6detail17trampoline_kernelINS0_14default_configENS1_37merge_sort_block_sort_config_selectorIxNS0_10empty_typeEEEZNS1_21merge_sort_block_sortIS3_N6thrust23THRUST_200600_302600_NS6detail15normal_iteratorINS9_10device_ptrIxEEEESE_PS5_SF_9comp_mod3IxEEE10hipError_tT0_T1_T2_T3_mRjT4_P12ihipStream_tbNS1_7vsmem_tEEUlT_E_NS1_11comp_targetILNS1_3genE2ELNS1_11target_archE906ELNS1_3gpuE6ELNS1_3repE0EEENS1_30default_config_static_selectorELNS0_4arch9wavefront6targetE0EEEvSK_.uses_vcc, 0
	.set _ZN7rocprim17ROCPRIM_400000_NS6detail17trampoline_kernelINS0_14default_configENS1_37merge_sort_block_sort_config_selectorIxNS0_10empty_typeEEEZNS1_21merge_sort_block_sortIS3_N6thrust23THRUST_200600_302600_NS6detail15normal_iteratorINS9_10device_ptrIxEEEESE_PS5_SF_9comp_mod3IxEEE10hipError_tT0_T1_T2_T3_mRjT4_P12ihipStream_tbNS1_7vsmem_tEEUlT_E_NS1_11comp_targetILNS1_3genE2ELNS1_11target_archE906ELNS1_3gpuE6ELNS1_3repE0EEENS1_30default_config_static_selectorELNS0_4arch9wavefront6targetE0EEEvSK_.uses_flat_scratch, 0
	.set _ZN7rocprim17ROCPRIM_400000_NS6detail17trampoline_kernelINS0_14default_configENS1_37merge_sort_block_sort_config_selectorIxNS0_10empty_typeEEEZNS1_21merge_sort_block_sortIS3_N6thrust23THRUST_200600_302600_NS6detail15normal_iteratorINS9_10device_ptrIxEEEESE_PS5_SF_9comp_mod3IxEEE10hipError_tT0_T1_T2_T3_mRjT4_P12ihipStream_tbNS1_7vsmem_tEEUlT_E_NS1_11comp_targetILNS1_3genE2ELNS1_11target_archE906ELNS1_3gpuE6ELNS1_3repE0EEENS1_30default_config_static_selectorELNS0_4arch9wavefront6targetE0EEEvSK_.has_dyn_sized_stack, 0
	.set _ZN7rocprim17ROCPRIM_400000_NS6detail17trampoline_kernelINS0_14default_configENS1_37merge_sort_block_sort_config_selectorIxNS0_10empty_typeEEEZNS1_21merge_sort_block_sortIS3_N6thrust23THRUST_200600_302600_NS6detail15normal_iteratorINS9_10device_ptrIxEEEESE_PS5_SF_9comp_mod3IxEEE10hipError_tT0_T1_T2_T3_mRjT4_P12ihipStream_tbNS1_7vsmem_tEEUlT_E_NS1_11comp_targetILNS1_3genE2ELNS1_11target_archE906ELNS1_3gpuE6ELNS1_3repE0EEENS1_30default_config_static_selectorELNS0_4arch9wavefront6targetE0EEEvSK_.has_recursion, 0
	.set _ZN7rocprim17ROCPRIM_400000_NS6detail17trampoline_kernelINS0_14default_configENS1_37merge_sort_block_sort_config_selectorIxNS0_10empty_typeEEEZNS1_21merge_sort_block_sortIS3_N6thrust23THRUST_200600_302600_NS6detail15normal_iteratorINS9_10device_ptrIxEEEESE_PS5_SF_9comp_mod3IxEEE10hipError_tT0_T1_T2_T3_mRjT4_P12ihipStream_tbNS1_7vsmem_tEEUlT_E_NS1_11comp_targetILNS1_3genE2ELNS1_11target_archE906ELNS1_3gpuE6ELNS1_3repE0EEENS1_30default_config_static_selectorELNS0_4arch9wavefront6targetE0EEEvSK_.has_indirect_call, 0
	.section	.AMDGPU.csdata,"",@progbits
; Kernel info:
; codeLenInByte = 0
; TotalNumSgprs: 0
; NumVgprs: 0
; ScratchSize: 0
; MemoryBound: 0
; FloatMode: 240
; IeeeMode: 1
; LDSByteSize: 0 bytes/workgroup (compile time only)
; SGPRBlocks: 0
; VGPRBlocks: 0
; NumSGPRsForWavesPerEU: 1
; NumVGPRsForWavesPerEU: 1
; Occupancy: 16
; WaveLimiterHint : 0
; COMPUTE_PGM_RSRC2:SCRATCH_EN: 0
; COMPUTE_PGM_RSRC2:USER_SGPR: 6
; COMPUTE_PGM_RSRC2:TRAP_HANDLER: 0
; COMPUTE_PGM_RSRC2:TGID_X_EN: 1
; COMPUTE_PGM_RSRC2:TGID_Y_EN: 0
; COMPUTE_PGM_RSRC2:TGID_Z_EN: 0
; COMPUTE_PGM_RSRC2:TIDIG_COMP_CNT: 0
	.section	.text._ZN7rocprim17ROCPRIM_400000_NS6detail17trampoline_kernelINS0_14default_configENS1_37merge_sort_block_sort_config_selectorIxNS0_10empty_typeEEEZNS1_21merge_sort_block_sortIS3_N6thrust23THRUST_200600_302600_NS6detail15normal_iteratorINS9_10device_ptrIxEEEESE_PS5_SF_9comp_mod3IxEEE10hipError_tT0_T1_T2_T3_mRjT4_P12ihipStream_tbNS1_7vsmem_tEEUlT_E_NS1_11comp_targetILNS1_3genE10ELNS1_11target_archE1201ELNS1_3gpuE5ELNS1_3repE0EEENS1_30default_config_static_selectorELNS0_4arch9wavefront6targetE0EEEvSK_,"axG",@progbits,_ZN7rocprim17ROCPRIM_400000_NS6detail17trampoline_kernelINS0_14default_configENS1_37merge_sort_block_sort_config_selectorIxNS0_10empty_typeEEEZNS1_21merge_sort_block_sortIS3_N6thrust23THRUST_200600_302600_NS6detail15normal_iteratorINS9_10device_ptrIxEEEESE_PS5_SF_9comp_mod3IxEEE10hipError_tT0_T1_T2_T3_mRjT4_P12ihipStream_tbNS1_7vsmem_tEEUlT_E_NS1_11comp_targetILNS1_3genE10ELNS1_11target_archE1201ELNS1_3gpuE5ELNS1_3repE0EEENS1_30default_config_static_selectorELNS0_4arch9wavefront6targetE0EEEvSK_,comdat
	.protected	_ZN7rocprim17ROCPRIM_400000_NS6detail17trampoline_kernelINS0_14default_configENS1_37merge_sort_block_sort_config_selectorIxNS0_10empty_typeEEEZNS1_21merge_sort_block_sortIS3_N6thrust23THRUST_200600_302600_NS6detail15normal_iteratorINS9_10device_ptrIxEEEESE_PS5_SF_9comp_mod3IxEEE10hipError_tT0_T1_T2_T3_mRjT4_P12ihipStream_tbNS1_7vsmem_tEEUlT_E_NS1_11comp_targetILNS1_3genE10ELNS1_11target_archE1201ELNS1_3gpuE5ELNS1_3repE0EEENS1_30default_config_static_selectorELNS0_4arch9wavefront6targetE0EEEvSK_ ; -- Begin function _ZN7rocprim17ROCPRIM_400000_NS6detail17trampoline_kernelINS0_14default_configENS1_37merge_sort_block_sort_config_selectorIxNS0_10empty_typeEEEZNS1_21merge_sort_block_sortIS3_N6thrust23THRUST_200600_302600_NS6detail15normal_iteratorINS9_10device_ptrIxEEEESE_PS5_SF_9comp_mod3IxEEE10hipError_tT0_T1_T2_T3_mRjT4_P12ihipStream_tbNS1_7vsmem_tEEUlT_E_NS1_11comp_targetILNS1_3genE10ELNS1_11target_archE1201ELNS1_3gpuE5ELNS1_3repE0EEENS1_30default_config_static_selectorELNS0_4arch9wavefront6targetE0EEEvSK_
	.globl	_ZN7rocprim17ROCPRIM_400000_NS6detail17trampoline_kernelINS0_14default_configENS1_37merge_sort_block_sort_config_selectorIxNS0_10empty_typeEEEZNS1_21merge_sort_block_sortIS3_N6thrust23THRUST_200600_302600_NS6detail15normal_iteratorINS9_10device_ptrIxEEEESE_PS5_SF_9comp_mod3IxEEE10hipError_tT0_T1_T2_T3_mRjT4_P12ihipStream_tbNS1_7vsmem_tEEUlT_E_NS1_11comp_targetILNS1_3genE10ELNS1_11target_archE1201ELNS1_3gpuE5ELNS1_3repE0EEENS1_30default_config_static_selectorELNS0_4arch9wavefront6targetE0EEEvSK_
	.p2align	8
	.type	_ZN7rocprim17ROCPRIM_400000_NS6detail17trampoline_kernelINS0_14default_configENS1_37merge_sort_block_sort_config_selectorIxNS0_10empty_typeEEEZNS1_21merge_sort_block_sortIS3_N6thrust23THRUST_200600_302600_NS6detail15normal_iteratorINS9_10device_ptrIxEEEESE_PS5_SF_9comp_mod3IxEEE10hipError_tT0_T1_T2_T3_mRjT4_P12ihipStream_tbNS1_7vsmem_tEEUlT_E_NS1_11comp_targetILNS1_3genE10ELNS1_11target_archE1201ELNS1_3gpuE5ELNS1_3repE0EEENS1_30default_config_static_selectorELNS0_4arch9wavefront6targetE0EEEvSK_,@function
_ZN7rocprim17ROCPRIM_400000_NS6detail17trampoline_kernelINS0_14default_configENS1_37merge_sort_block_sort_config_selectorIxNS0_10empty_typeEEEZNS1_21merge_sort_block_sortIS3_N6thrust23THRUST_200600_302600_NS6detail15normal_iteratorINS9_10device_ptrIxEEEESE_PS5_SF_9comp_mod3IxEEE10hipError_tT0_T1_T2_T3_mRjT4_P12ihipStream_tbNS1_7vsmem_tEEUlT_E_NS1_11comp_targetILNS1_3genE10ELNS1_11target_archE1201ELNS1_3gpuE5ELNS1_3repE0EEENS1_30default_config_static_selectorELNS0_4arch9wavefront6targetE0EEEvSK_: ; @_ZN7rocprim17ROCPRIM_400000_NS6detail17trampoline_kernelINS0_14default_configENS1_37merge_sort_block_sort_config_selectorIxNS0_10empty_typeEEEZNS1_21merge_sort_block_sortIS3_N6thrust23THRUST_200600_302600_NS6detail15normal_iteratorINS9_10device_ptrIxEEEESE_PS5_SF_9comp_mod3IxEEE10hipError_tT0_T1_T2_T3_mRjT4_P12ihipStream_tbNS1_7vsmem_tEEUlT_E_NS1_11comp_targetILNS1_3genE10ELNS1_11target_archE1201ELNS1_3gpuE5ELNS1_3repE0EEENS1_30default_config_static_selectorELNS0_4arch9wavefront6targetE0EEEvSK_
; %bb.0:
	.section	.rodata,"a",@progbits
	.p2align	6, 0x0
	.amdhsa_kernel _ZN7rocprim17ROCPRIM_400000_NS6detail17trampoline_kernelINS0_14default_configENS1_37merge_sort_block_sort_config_selectorIxNS0_10empty_typeEEEZNS1_21merge_sort_block_sortIS3_N6thrust23THRUST_200600_302600_NS6detail15normal_iteratorINS9_10device_ptrIxEEEESE_PS5_SF_9comp_mod3IxEEE10hipError_tT0_T1_T2_T3_mRjT4_P12ihipStream_tbNS1_7vsmem_tEEUlT_E_NS1_11comp_targetILNS1_3genE10ELNS1_11target_archE1201ELNS1_3gpuE5ELNS1_3repE0EEENS1_30default_config_static_selectorELNS0_4arch9wavefront6targetE0EEEvSK_
		.amdhsa_group_segment_fixed_size 0
		.amdhsa_private_segment_fixed_size 0
		.amdhsa_kernarg_size 64
		.amdhsa_user_sgpr_count 6
		.amdhsa_user_sgpr_private_segment_buffer 1
		.amdhsa_user_sgpr_dispatch_ptr 0
		.amdhsa_user_sgpr_queue_ptr 0
		.amdhsa_user_sgpr_kernarg_segment_ptr 1
		.amdhsa_user_sgpr_dispatch_id 0
		.amdhsa_user_sgpr_flat_scratch_init 0
		.amdhsa_user_sgpr_private_segment_size 0
		.amdhsa_wavefront_size32 1
		.amdhsa_uses_dynamic_stack 0
		.amdhsa_system_sgpr_private_segment_wavefront_offset 0
		.amdhsa_system_sgpr_workgroup_id_x 1
		.amdhsa_system_sgpr_workgroup_id_y 0
		.amdhsa_system_sgpr_workgroup_id_z 0
		.amdhsa_system_sgpr_workgroup_info 0
		.amdhsa_system_vgpr_workitem_id 0
		.amdhsa_next_free_vgpr 1
		.amdhsa_next_free_sgpr 1
		.amdhsa_reserve_vcc 0
		.amdhsa_reserve_flat_scratch 0
		.amdhsa_float_round_mode_32 0
		.amdhsa_float_round_mode_16_64 0
		.amdhsa_float_denorm_mode_32 3
		.amdhsa_float_denorm_mode_16_64 3
		.amdhsa_dx10_clamp 1
		.amdhsa_ieee_mode 1
		.amdhsa_fp16_overflow 0
		.amdhsa_workgroup_processor_mode 1
		.amdhsa_memory_ordered 1
		.amdhsa_forward_progress 1
		.amdhsa_shared_vgpr_count 0
		.amdhsa_exception_fp_ieee_invalid_op 0
		.amdhsa_exception_fp_denorm_src 0
		.amdhsa_exception_fp_ieee_div_zero 0
		.amdhsa_exception_fp_ieee_overflow 0
		.amdhsa_exception_fp_ieee_underflow 0
		.amdhsa_exception_fp_ieee_inexact 0
		.amdhsa_exception_int_div_zero 0
	.end_amdhsa_kernel
	.section	.text._ZN7rocprim17ROCPRIM_400000_NS6detail17trampoline_kernelINS0_14default_configENS1_37merge_sort_block_sort_config_selectorIxNS0_10empty_typeEEEZNS1_21merge_sort_block_sortIS3_N6thrust23THRUST_200600_302600_NS6detail15normal_iteratorINS9_10device_ptrIxEEEESE_PS5_SF_9comp_mod3IxEEE10hipError_tT0_T1_T2_T3_mRjT4_P12ihipStream_tbNS1_7vsmem_tEEUlT_E_NS1_11comp_targetILNS1_3genE10ELNS1_11target_archE1201ELNS1_3gpuE5ELNS1_3repE0EEENS1_30default_config_static_selectorELNS0_4arch9wavefront6targetE0EEEvSK_,"axG",@progbits,_ZN7rocprim17ROCPRIM_400000_NS6detail17trampoline_kernelINS0_14default_configENS1_37merge_sort_block_sort_config_selectorIxNS0_10empty_typeEEEZNS1_21merge_sort_block_sortIS3_N6thrust23THRUST_200600_302600_NS6detail15normal_iteratorINS9_10device_ptrIxEEEESE_PS5_SF_9comp_mod3IxEEE10hipError_tT0_T1_T2_T3_mRjT4_P12ihipStream_tbNS1_7vsmem_tEEUlT_E_NS1_11comp_targetILNS1_3genE10ELNS1_11target_archE1201ELNS1_3gpuE5ELNS1_3repE0EEENS1_30default_config_static_selectorELNS0_4arch9wavefront6targetE0EEEvSK_,comdat
.Lfunc_end927:
	.size	_ZN7rocprim17ROCPRIM_400000_NS6detail17trampoline_kernelINS0_14default_configENS1_37merge_sort_block_sort_config_selectorIxNS0_10empty_typeEEEZNS1_21merge_sort_block_sortIS3_N6thrust23THRUST_200600_302600_NS6detail15normal_iteratorINS9_10device_ptrIxEEEESE_PS5_SF_9comp_mod3IxEEE10hipError_tT0_T1_T2_T3_mRjT4_P12ihipStream_tbNS1_7vsmem_tEEUlT_E_NS1_11comp_targetILNS1_3genE10ELNS1_11target_archE1201ELNS1_3gpuE5ELNS1_3repE0EEENS1_30default_config_static_selectorELNS0_4arch9wavefront6targetE0EEEvSK_, .Lfunc_end927-_ZN7rocprim17ROCPRIM_400000_NS6detail17trampoline_kernelINS0_14default_configENS1_37merge_sort_block_sort_config_selectorIxNS0_10empty_typeEEEZNS1_21merge_sort_block_sortIS3_N6thrust23THRUST_200600_302600_NS6detail15normal_iteratorINS9_10device_ptrIxEEEESE_PS5_SF_9comp_mod3IxEEE10hipError_tT0_T1_T2_T3_mRjT4_P12ihipStream_tbNS1_7vsmem_tEEUlT_E_NS1_11comp_targetILNS1_3genE10ELNS1_11target_archE1201ELNS1_3gpuE5ELNS1_3repE0EEENS1_30default_config_static_selectorELNS0_4arch9wavefront6targetE0EEEvSK_
                                        ; -- End function
	.set _ZN7rocprim17ROCPRIM_400000_NS6detail17trampoline_kernelINS0_14default_configENS1_37merge_sort_block_sort_config_selectorIxNS0_10empty_typeEEEZNS1_21merge_sort_block_sortIS3_N6thrust23THRUST_200600_302600_NS6detail15normal_iteratorINS9_10device_ptrIxEEEESE_PS5_SF_9comp_mod3IxEEE10hipError_tT0_T1_T2_T3_mRjT4_P12ihipStream_tbNS1_7vsmem_tEEUlT_E_NS1_11comp_targetILNS1_3genE10ELNS1_11target_archE1201ELNS1_3gpuE5ELNS1_3repE0EEENS1_30default_config_static_selectorELNS0_4arch9wavefront6targetE0EEEvSK_.num_vgpr, 0
	.set _ZN7rocprim17ROCPRIM_400000_NS6detail17trampoline_kernelINS0_14default_configENS1_37merge_sort_block_sort_config_selectorIxNS0_10empty_typeEEEZNS1_21merge_sort_block_sortIS3_N6thrust23THRUST_200600_302600_NS6detail15normal_iteratorINS9_10device_ptrIxEEEESE_PS5_SF_9comp_mod3IxEEE10hipError_tT0_T1_T2_T3_mRjT4_P12ihipStream_tbNS1_7vsmem_tEEUlT_E_NS1_11comp_targetILNS1_3genE10ELNS1_11target_archE1201ELNS1_3gpuE5ELNS1_3repE0EEENS1_30default_config_static_selectorELNS0_4arch9wavefront6targetE0EEEvSK_.num_agpr, 0
	.set _ZN7rocprim17ROCPRIM_400000_NS6detail17trampoline_kernelINS0_14default_configENS1_37merge_sort_block_sort_config_selectorIxNS0_10empty_typeEEEZNS1_21merge_sort_block_sortIS3_N6thrust23THRUST_200600_302600_NS6detail15normal_iteratorINS9_10device_ptrIxEEEESE_PS5_SF_9comp_mod3IxEEE10hipError_tT0_T1_T2_T3_mRjT4_P12ihipStream_tbNS1_7vsmem_tEEUlT_E_NS1_11comp_targetILNS1_3genE10ELNS1_11target_archE1201ELNS1_3gpuE5ELNS1_3repE0EEENS1_30default_config_static_selectorELNS0_4arch9wavefront6targetE0EEEvSK_.numbered_sgpr, 0
	.set _ZN7rocprim17ROCPRIM_400000_NS6detail17trampoline_kernelINS0_14default_configENS1_37merge_sort_block_sort_config_selectorIxNS0_10empty_typeEEEZNS1_21merge_sort_block_sortIS3_N6thrust23THRUST_200600_302600_NS6detail15normal_iteratorINS9_10device_ptrIxEEEESE_PS5_SF_9comp_mod3IxEEE10hipError_tT0_T1_T2_T3_mRjT4_P12ihipStream_tbNS1_7vsmem_tEEUlT_E_NS1_11comp_targetILNS1_3genE10ELNS1_11target_archE1201ELNS1_3gpuE5ELNS1_3repE0EEENS1_30default_config_static_selectorELNS0_4arch9wavefront6targetE0EEEvSK_.num_named_barrier, 0
	.set _ZN7rocprim17ROCPRIM_400000_NS6detail17trampoline_kernelINS0_14default_configENS1_37merge_sort_block_sort_config_selectorIxNS0_10empty_typeEEEZNS1_21merge_sort_block_sortIS3_N6thrust23THRUST_200600_302600_NS6detail15normal_iteratorINS9_10device_ptrIxEEEESE_PS5_SF_9comp_mod3IxEEE10hipError_tT0_T1_T2_T3_mRjT4_P12ihipStream_tbNS1_7vsmem_tEEUlT_E_NS1_11comp_targetILNS1_3genE10ELNS1_11target_archE1201ELNS1_3gpuE5ELNS1_3repE0EEENS1_30default_config_static_selectorELNS0_4arch9wavefront6targetE0EEEvSK_.private_seg_size, 0
	.set _ZN7rocprim17ROCPRIM_400000_NS6detail17trampoline_kernelINS0_14default_configENS1_37merge_sort_block_sort_config_selectorIxNS0_10empty_typeEEEZNS1_21merge_sort_block_sortIS3_N6thrust23THRUST_200600_302600_NS6detail15normal_iteratorINS9_10device_ptrIxEEEESE_PS5_SF_9comp_mod3IxEEE10hipError_tT0_T1_T2_T3_mRjT4_P12ihipStream_tbNS1_7vsmem_tEEUlT_E_NS1_11comp_targetILNS1_3genE10ELNS1_11target_archE1201ELNS1_3gpuE5ELNS1_3repE0EEENS1_30default_config_static_selectorELNS0_4arch9wavefront6targetE0EEEvSK_.uses_vcc, 0
	.set _ZN7rocprim17ROCPRIM_400000_NS6detail17trampoline_kernelINS0_14default_configENS1_37merge_sort_block_sort_config_selectorIxNS0_10empty_typeEEEZNS1_21merge_sort_block_sortIS3_N6thrust23THRUST_200600_302600_NS6detail15normal_iteratorINS9_10device_ptrIxEEEESE_PS5_SF_9comp_mod3IxEEE10hipError_tT0_T1_T2_T3_mRjT4_P12ihipStream_tbNS1_7vsmem_tEEUlT_E_NS1_11comp_targetILNS1_3genE10ELNS1_11target_archE1201ELNS1_3gpuE5ELNS1_3repE0EEENS1_30default_config_static_selectorELNS0_4arch9wavefront6targetE0EEEvSK_.uses_flat_scratch, 0
	.set _ZN7rocprim17ROCPRIM_400000_NS6detail17trampoline_kernelINS0_14default_configENS1_37merge_sort_block_sort_config_selectorIxNS0_10empty_typeEEEZNS1_21merge_sort_block_sortIS3_N6thrust23THRUST_200600_302600_NS6detail15normal_iteratorINS9_10device_ptrIxEEEESE_PS5_SF_9comp_mod3IxEEE10hipError_tT0_T1_T2_T3_mRjT4_P12ihipStream_tbNS1_7vsmem_tEEUlT_E_NS1_11comp_targetILNS1_3genE10ELNS1_11target_archE1201ELNS1_3gpuE5ELNS1_3repE0EEENS1_30default_config_static_selectorELNS0_4arch9wavefront6targetE0EEEvSK_.has_dyn_sized_stack, 0
	.set _ZN7rocprim17ROCPRIM_400000_NS6detail17trampoline_kernelINS0_14default_configENS1_37merge_sort_block_sort_config_selectorIxNS0_10empty_typeEEEZNS1_21merge_sort_block_sortIS3_N6thrust23THRUST_200600_302600_NS6detail15normal_iteratorINS9_10device_ptrIxEEEESE_PS5_SF_9comp_mod3IxEEE10hipError_tT0_T1_T2_T3_mRjT4_P12ihipStream_tbNS1_7vsmem_tEEUlT_E_NS1_11comp_targetILNS1_3genE10ELNS1_11target_archE1201ELNS1_3gpuE5ELNS1_3repE0EEENS1_30default_config_static_selectorELNS0_4arch9wavefront6targetE0EEEvSK_.has_recursion, 0
	.set _ZN7rocprim17ROCPRIM_400000_NS6detail17trampoline_kernelINS0_14default_configENS1_37merge_sort_block_sort_config_selectorIxNS0_10empty_typeEEEZNS1_21merge_sort_block_sortIS3_N6thrust23THRUST_200600_302600_NS6detail15normal_iteratorINS9_10device_ptrIxEEEESE_PS5_SF_9comp_mod3IxEEE10hipError_tT0_T1_T2_T3_mRjT4_P12ihipStream_tbNS1_7vsmem_tEEUlT_E_NS1_11comp_targetILNS1_3genE10ELNS1_11target_archE1201ELNS1_3gpuE5ELNS1_3repE0EEENS1_30default_config_static_selectorELNS0_4arch9wavefront6targetE0EEEvSK_.has_indirect_call, 0
	.section	.AMDGPU.csdata,"",@progbits
; Kernel info:
; codeLenInByte = 0
; TotalNumSgprs: 0
; NumVgprs: 0
; ScratchSize: 0
; MemoryBound: 0
; FloatMode: 240
; IeeeMode: 1
; LDSByteSize: 0 bytes/workgroup (compile time only)
; SGPRBlocks: 0
; VGPRBlocks: 0
; NumSGPRsForWavesPerEU: 1
; NumVGPRsForWavesPerEU: 1
; Occupancy: 16
; WaveLimiterHint : 0
; COMPUTE_PGM_RSRC2:SCRATCH_EN: 0
; COMPUTE_PGM_RSRC2:USER_SGPR: 6
; COMPUTE_PGM_RSRC2:TRAP_HANDLER: 0
; COMPUTE_PGM_RSRC2:TGID_X_EN: 1
; COMPUTE_PGM_RSRC2:TGID_Y_EN: 0
; COMPUTE_PGM_RSRC2:TGID_Z_EN: 0
; COMPUTE_PGM_RSRC2:TIDIG_COMP_CNT: 0
	.section	.text._ZN7rocprim17ROCPRIM_400000_NS6detail17trampoline_kernelINS0_14default_configENS1_37merge_sort_block_sort_config_selectorIxNS0_10empty_typeEEEZNS1_21merge_sort_block_sortIS3_N6thrust23THRUST_200600_302600_NS6detail15normal_iteratorINS9_10device_ptrIxEEEESE_PS5_SF_9comp_mod3IxEEE10hipError_tT0_T1_T2_T3_mRjT4_P12ihipStream_tbNS1_7vsmem_tEEUlT_E_NS1_11comp_targetILNS1_3genE10ELNS1_11target_archE1200ELNS1_3gpuE4ELNS1_3repE0EEENS1_30default_config_static_selectorELNS0_4arch9wavefront6targetE0EEEvSK_,"axG",@progbits,_ZN7rocprim17ROCPRIM_400000_NS6detail17trampoline_kernelINS0_14default_configENS1_37merge_sort_block_sort_config_selectorIxNS0_10empty_typeEEEZNS1_21merge_sort_block_sortIS3_N6thrust23THRUST_200600_302600_NS6detail15normal_iteratorINS9_10device_ptrIxEEEESE_PS5_SF_9comp_mod3IxEEE10hipError_tT0_T1_T2_T3_mRjT4_P12ihipStream_tbNS1_7vsmem_tEEUlT_E_NS1_11comp_targetILNS1_3genE10ELNS1_11target_archE1200ELNS1_3gpuE4ELNS1_3repE0EEENS1_30default_config_static_selectorELNS0_4arch9wavefront6targetE0EEEvSK_,comdat
	.protected	_ZN7rocprim17ROCPRIM_400000_NS6detail17trampoline_kernelINS0_14default_configENS1_37merge_sort_block_sort_config_selectorIxNS0_10empty_typeEEEZNS1_21merge_sort_block_sortIS3_N6thrust23THRUST_200600_302600_NS6detail15normal_iteratorINS9_10device_ptrIxEEEESE_PS5_SF_9comp_mod3IxEEE10hipError_tT0_T1_T2_T3_mRjT4_P12ihipStream_tbNS1_7vsmem_tEEUlT_E_NS1_11comp_targetILNS1_3genE10ELNS1_11target_archE1200ELNS1_3gpuE4ELNS1_3repE0EEENS1_30default_config_static_selectorELNS0_4arch9wavefront6targetE0EEEvSK_ ; -- Begin function _ZN7rocprim17ROCPRIM_400000_NS6detail17trampoline_kernelINS0_14default_configENS1_37merge_sort_block_sort_config_selectorIxNS0_10empty_typeEEEZNS1_21merge_sort_block_sortIS3_N6thrust23THRUST_200600_302600_NS6detail15normal_iteratorINS9_10device_ptrIxEEEESE_PS5_SF_9comp_mod3IxEEE10hipError_tT0_T1_T2_T3_mRjT4_P12ihipStream_tbNS1_7vsmem_tEEUlT_E_NS1_11comp_targetILNS1_3genE10ELNS1_11target_archE1200ELNS1_3gpuE4ELNS1_3repE0EEENS1_30default_config_static_selectorELNS0_4arch9wavefront6targetE0EEEvSK_
	.globl	_ZN7rocprim17ROCPRIM_400000_NS6detail17trampoline_kernelINS0_14default_configENS1_37merge_sort_block_sort_config_selectorIxNS0_10empty_typeEEEZNS1_21merge_sort_block_sortIS3_N6thrust23THRUST_200600_302600_NS6detail15normal_iteratorINS9_10device_ptrIxEEEESE_PS5_SF_9comp_mod3IxEEE10hipError_tT0_T1_T2_T3_mRjT4_P12ihipStream_tbNS1_7vsmem_tEEUlT_E_NS1_11comp_targetILNS1_3genE10ELNS1_11target_archE1200ELNS1_3gpuE4ELNS1_3repE0EEENS1_30default_config_static_selectorELNS0_4arch9wavefront6targetE0EEEvSK_
	.p2align	8
	.type	_ZN7rocprim17ROCPRIM_400000_NS6detail17trampoline_kernelINS0_14default_configENS1_37merge_sort_block_sort_config_selectorIxNS0_10empty_typeEEEZNS1_21merge_sort_block_sortIS3_N6thrust23THRUST_200600_302600_NS6detail15normal_iteratorINS9_10device_ptrIxEEEESE_PS5_SF_9comp_mod3IxEEE10hipError_tT0_T1_T2_T3_mRjT4_P12ihipStream_tbNS1_7vsmem_tEEUlT_E_NS1_11comp_targetILNS1_3genE10ELNS1_11target_archE1200ELNS1_3gpuE4ELNS1_3repE0EEENS1_30default_config_static_selectorELNS0_4arch9wavefront6targetE0EEEvSK_,@function
_ZN7rocprim17ROCPRIM_400000_NS6detail17trampoline_kernelINS0_14default_configENS1_37merge_sort_block_sort_config_selectorIxNS0_10empty_typeEEEZNS1_21merge_sort_block_sortIS3_N6thrust23THRUST_200600_302600_NS6detail15normal_iteratorINS9_10device_ptrIxEEEESE_PS5_SF_9comp_mod3IxEEE10hipError_tT0_T1_T2_T3_mRjT4_P12ihipStream_tbNS1_7vsmem_tEEUlT_E_NS1_11comp_targetILNS1_3genE10ELNS1_11target_archE1200ELNS1_3gpuE4ELNS1_3repE0EEENS1_30default_config_static_selectorELNS0_4arch9wavefront6targetE0EEEvSK_: ; @_ZN7rocprim17ROCPRIM_400000_NS6detail17trampoline_kernelINS0_14default_configENS1_37merge_sort_block_sort_config_selectorIxNS0_10empty_typeEEEZNS1_21merge_sort_block_sortIS3_N6thrust23THRUST_200600_302600_NS6detail15normal_iteratorINS9_10device_ptrIxEEEESE_PS5_SF_9comp_mod3IxEEE10hipError_tT0_T1_T2_T3_mRjT4_P12ihipStream_tbNS1_7vsmem_tEEUlT_E_NS1_11comp_targetILNS1_3genE10ELNS1_11target_archE1200ELNS1_3gpuE4ELNS1_3repE0EEENS1_30default_config_static_selectorELNS0_4arch9wavefront6targetE0EEEvSK_
; %bb.0:
	.section	.rodata,"a",@progbits
	.p2align	6, 0x0
	.amdhsa_kernel _ZN7rocprim17ROCPRIM_400000_NS6detail17trampoline_kernelINS0_14default_configENS1_37merge_sort_block_sort_config_selectorIxNS0_10empty_typeEEEZNS1_21merge_sort_block_sortIS3_N6thrust23THRUST_200600_302600_NS6detail15normal_iteratorINS9_10device_ptrIxEEEESE_PS5_SF_9comp_mod3IxEEE10hipError_tT0_T1_T2_T3_mRjT4_P12ihipStream_tbNS1_7vsmem_tEEUlT_E_NS1_11comp_targetILNS1_3genE10ELNS1_11target_archE1200ELNS1_3gpuE4ELNS1_3repE0EEENS1_30default_config_static_selectorELNS0_4arch9wavefront6targetE0EEEvSK_
		.amdhsa_group_segment_fixed_size 0
		.amdhsa_private_segment_fixed_size 0
		.amdhsa_kernarg_size 64
		.amdhsa_user_sgpr_count 6
		.amdhsa_user_sgpr_private_segment_buffer 1
		.amdhsa_user_sgpr_dispatch_ptr 0
		.amdhsa_user_sgpr_queue_ptr 0
		.amdhsa_user_sgpr_kernarg_segment_ptr 1
		.amdhsa_user_sgpr_dispatch_id 0
		.amdhsa_user_sgpr_flat_scratch_init 0
		.amdhsa_user_sgpr_private_segment_size 0
		.amdhsa_wavefront_size32 1
		.amdhsa_uses_dynamic_stack 0
		.amdhsa_system_sgpr_private_segment_wavefront_offset 0
		.amdhsa_system_sgpr_workgroup_id_x 1
		.amdhsa_system_sgpr_workgroup_id_y 0
		.amdhsa_system_sgpr_workgroup_id_z 0
		.amdhsa_system_sgpr_workgroup_info 0
		.amdhsa_system_vgpr_workitem_id 0
		.amdhsa_next_free_vgpr 1
		.amdhsa_next_free_sgpr 1
		.amdhsa_reserve_vcc 0
		.amdhsa_reserve_flat_scratch 0
		.amdhsa_float_round_mode_32 0
		.amdhsa_float_round_mode_16_64 0
		.amdhsa_float_denorm_mode_32 3
		.amdhsa_float_denorm_mode_16_64 3
		.amdhsa_dx10_clamp 1
		.amdhsa_ieee_mode 1
		.amdhsa_fp16_overflow 0
		.amdhsa_workgroup_processor_mode 1
		.amdhsa_memory_ordered 1
		.amdhsa_forward_progress 1
		.amdhsa_shared_vgpr_count 0
		.amdhsa_exception_fp_ieee_invalid_op 0
		.amdhsa_exception_fp_denorm_src 0
		.amdhsa_exception_fp_ieee_div_zero 0
		.amdhsa_exception_fp_ieee_overflow 0
		.amdhsa_exception_fp_ieee_underflow 0
		.amdhsa_exception_fp_ieee_inexact 0
		.amdhsa_exception_int_div_zero 0
	.end_amdhsa_kernel
	.section	.text._ZN7rocprim17ROCPRIM_400000_NS6detail17trampoline_kernelINS0_14default_configENS1_37merge_sort_block_sort_config_selectorIxNS0_10empty_typeEEEZNS1_21merge_sort_block_sortIS3_N6thrust23THRUST_200600_302600_NS6detail15normal_iteratorINS9_10device_ptrIxEEEESE_PS5_SF_9comp_mod3IxEEE10hipError_tT0_T1_T2_T3_mRjT4_P12ihipStream_tbNS1_7vsmem_tEEUlT_E_NS1_11comp_targetILNS1_3genE10ELNS1_11target_archE1200ELNS1_3gpuE4ELNS1_3repE0EEENS1_30default_config_static_selectorELNS0_4arch9wavefront6targetE0EEEvSK_,"axG",@progbits,_ZN7rocprim17ROCPRIM_400000_NS6detail17trampoline_kernelINS0_14default_configENS1_37merge_sort_block_sort_config_selectorIxNS0_10empty_typeEEEZNS1_21merge_sort_block_sortIS3_N6thrust23THRUST_200600_302600_NS6detail15normal_iteratorINS9_10device_ptrIxEEEESE_PS5_SF_9comp_mod3IxEEE10hipError_tT0_T1_T2_T3_mRjT4_P12ihipStream_tbNS1_7vsmem_tEEUlT_E_NS1_11comp_targetILNS1_3genE10ELNS1_11target_archE1200ELNS1_3gpuE4ELNS1_3repE0EEENS1_30default_config_static_selectorELNS0_4arch9wavefront6targetE0EEEvSK_,comdat
.Lfunc_end928:
	.size	_ZN7rocprim17ROCPRIM_400000_NS6detail17trampoline_kernelINS0_14default_configENS1_37merge_sort_block_sort_config_selectorIxNS0_10empty_typeEEEZNS1_21merge_sort_block_sortIS3_N6thrust23THRUST_200600_302600_NS6detail15normal_iteratorINS9_10device_ptrIxEEEESE_PS5_SF_9comp_mod3IxEEE10hipError_tT0_T1_T2_T3_mRjT4_P12ihipStream_tbNS1_7vsmem_tEEUlT_E_NS1_11comp_targetILNS1_3genE10ELNS1_11target_archE1200ELNS1_3gpuE4ELNS1_3repE0EEENS1_30default_config_static_selectorELNS0_4arch9wavefront6targetE0EEEvSK_, .Lfunc_end928-_ZN7rocprim17ROCPRIM_400000_NS6detail17trampoline_kernelINS0_14default_configENS1_37merge_sort_block_sort_config_selectorIxNS0_10empty_typeEEEZNS1_21merge_sort_block_sortIS3_N6thrust23THRUST_200600_302600_NS6detail15normal_iteratorINS9_10device_ptrIxEEEESE_PS5_SF_9comp_mod3IxEEE10hipError_tT0_T1_T2_T3_mRjT4_P12ihipStream_tbNS1_7vsmem_tEEUlT_E_NS1_11comp_targetILNS1_3genE10ELNS1_11target_archE1200ELNS1_3gpuE4ELNS1_3repE0EEENS1_30default_config_static_selectorELNS0_4arch9wavefront6targetE0EEEvSK_
                                        ; -- End function
	.set _ZN7rocprim17ROCPRIM_400000_NS6detail17trampoline_kernelINS0_14default_configENS1_37merge_sort_block_sort_config_selectorIxNS0_10empty_typeEEEZNS1_21merge_sort_block_sortIS3_N6thrust23THRUST_200600_302600_NS6detail15normal_iteratorINS9_10device_ptrIxEEEESE_PS5_SF_9comp_mod3IxEEE10hipError_tT0_T1_T2_T3_mRjT4_P12ihipStream_tbNS1_7vsmem_tEEUlT_E_NS1_11comp_targetILNS1_3genE10ELNS1_11target_archE1200ELNS1_3gpuE4ELNS1_3repE0EEENS1_30default_config_static_selectorELNS0_4arch9wavefront6targetE0EEEvSK_.num_vgpr, 0
	.set _ZN7rocprim17ROCPRIM_400000_NS6detail17trampoline_kernelINS0_14default_configENS1_37merge_sort_block_sort_config_selectorIxNS0_10empty_typeEEEZNS1_21merge_sort_block_sortIS3_N6thrust23THRUST_200600_302600_NS6detail15normal_iteratorINS9_10device_ptrIxEEEESE_PS5_SF_9comp_mod3IxEEE10hipError_tT0_T1_T2_T3_mRjT4_P12ihipStream_tbNS1_7vsmem_tEEUlT_E_NS1_11comp_targetILNS1_3genE10ELNS1_11target_archE1200ELNS1_3gpuE4ELNS1_3repE0EEENS1_30default_config_static_selectorELNS0_4arch9wavefront6targetE0EEEvSK_.num_agpr, 0
	.set _ZN7rocprim17ROCPRIM_400000_NS6detail17trampoline_kernelINS0_14default_configENS1_37merge_sort_block_sort_config_selectorIxNS0_10empty_typeEEEZNS1_21merge_sort_block_sortIS3_N6thrust23THRUST_200600_302600_NS6detail15normal_iteratorINS9_10device_ptrIxEEEESE_PS5_SF_9comp_mod3IxEEE10hipError_tT0_T1_T2_T3_mRjT4_P12ihipStream_tbNS1_7vsmem_tEEUlT_E_NS1_11comp_targetILNS1_3genE10ELNS1_11target_archE1200ELNS1_3gpuE4ELNS1_3repE0EEENS1_30default_config_static_selectorELNS0_4arch9wavefront6targetE0EEEvSK_.numbered_sgpr, 0
	.set _ZN7rocprim17ROCPRIM_400000_NS6detail17trampoline_kernelINS0_14default_configENS1_37merge_sort_block_sort_config_selectorIxNS0_10empty_typeEEEZNS1_21merge_sort_block_sortIS3_N6thrust23THRUST_200600_302600_NS6detail15normal_iteratorINS9_10device_ptrIxEEEESE_PS5_SF_9comp_mod3IxEEE10hipError_tT0_T1_T2_T3_mRjT4_P12ihipStream_tbNS1_7vsmem_tEEUlT_E_NS1_11comp_targetILNS1_3genE10ELNS1_11target_archE1200ELNS1_3gpuE4ELNS1_3repE0EEENS1_30default_config_static_selectorELNS0_4arch9wavefront6targetE0EEEvSK_.num_named_barrier, 0
	.set _ZN7rocprim17ROCPRIM_400000_NS6detail17trampoline_kernelINS0_14default_configENS1_37merge_sort_block_sort_config_selectorIxNS0_10empty_typeEEEZNS1_21merge_sort_block_sortIS3_N6thrust23THRUST_200600_302600_NS6detail15normal_iteratorINS9_10device_ptrIxEEEESE_PS5_SF_9comp_mod3IxEEE10hipError_tT0_T1_T2_T3_mRjT4_P12ihipStream_tbNS1_7vsmem_tEEUlT_E_NS1_11comp_targetILNS1_3genE10ELNS1_11target_archE1200ELNS1_3gpuE4ELNS1_3repE0EEENS1_30default_config_static_selectorELNS0_4arch9wavefront6targetE0EEEvSK_.private_seg_size, 0
	.set _ZN7rocprim17ROCPRIM_400000_NS6detail17trampoline_kernelINS0_14default_configENS1_37merge_sort_block_sort_config_selectorIxNS0_10empty_typeEEEZNS1_21merge_sort_block_sortIS3_N6thrust23THRUST_200600_302600_NS6detail15normal_iteratorINS9_10device_ptrIxEEEESE_PS5_SF_9comp_mod3IxEEE10hipError_tT0_T1_T2_T3_mRjT4_P12ihipStream_tbNS1_7vsmem_tEEUlT_E_NS1_11comp_targetILNS1_3genE10ELNS1_11target_archE1200ELNS1_3gpuE4ELNS1_3repE0EEENS1_30default_config_static_selectorELNS0_4arch9wavefront6targetE0EEEvSK_.uses_vcc, 0
	.set _ZN7rocprim17ROCPRIM_400000_NS6detail17trampoline_kernelINS0_14default_configENS1_37merge_sort_block_sort_config_selectorIxNS0_10empty_typeEEEZNS1_21merge_sort_block_sortIS3_N6thrust23THRUST_200600_302600_NS6detail15normal_iteratorINS9_10device_ptrIxEEEESE_PS5_SF_9comp_mod3IxEEE10hipError_tT0_T1_T2_T3_mRjT4_P12ihipStream_tbNS1_7vsmem_tEEUlT_E_NS1_11comp_targetILNS1_3genE10ELNS1_11target_archE1200ELNS1_3gpuE4ELNS1_3repE0EEENS1_30default_config_static_selectorELNS0_4arch9wavefront6targetE0EEEvSK_.uses_flat_scratch, 0
	.set _ZN7rocprim17ROCPRIM_400000_NS6detail17trampoline_kernelINS0_14default_configENS1_37merge_sort_block_sort_config_selectorIxNS0_10empty_typeEEEZNS1_21merge_sort_block_sortIS3_N6thrust23THRUST_200600_302600_NS6detail15normal_iteratorINS9_10device_ptrIxEEEESE_PS5_SF_9comp_mod3IxEEE10hipError_tT0_T1_T2_T3_mRjT4_P12ihipStream_tbNS1_7vsmem_tEEUlT_E_NS1_11comp_targetILNS1_3genE10ELNS1_11target_archE1200ELNS1_3gpuE4ELNS1_3repE0EEENS1_30default_config_static_selectorELNS0_4arch9wavefront6targetE0EEEvSK_.has_dyn_sized_stack, 0
	.set _ZN7rocprim17ROCPRIM_400000_NS6detail17trampoline_kernelINS0_14default_configENS1_37merge_sort_block_sort_config_selectorIxNS0_10empty_typeEEEZNS1_21merge_sort_block_sortIS3_N6thrust23THRUST_200600_302600_NS6detail15normal_iteratorINS9_10device_ptrIxEEEESE_PS5_SF_9comp_mod3IxEEE10hipError_tT0_T1_T2_T3_mRjT4_P12ihipStream_tbNS1_7vsmem_tEEUlT_E_NS1_11comp_targetILNS1_3genE10ELNS1_11target_archE1200ELNS1_3gpuE4ELNS1_3repE0EEENS1_30default_config_static_selectorELNS0_4arch9wavefront6targetE0EEEvSK_.has_recursion, 0
	.set _ZN7rocprim17ROCPRIM_400000_NS6detail17trampoline_kernelINS0_14default_configENS1_37merge_sort_block_sort_config_selectorIxNS0_10empty_typeEEEZNS1_21merge_sort_block_sortIS3_N6thrust23THRUST_200600_302600_NS6detail15normal_iteratorINS9_10device_ptrIxEEEESE_PS5_SF_9comp_mod3IxEEE10hipError_tT0_T1_T2_T3_mRjT4_P12ihipStream_tbNS1_7vsmem_tEEUlT_E_NS1_11comp_targetILNS1_3genE10ELNS1_11target_archE1200ELNS1_3gpuE4ELNS1_3repE0EEENS1_30default_config_static_selectorELNS0_4arch9wavefront6targetE0EEEvSK_.has_indirect_call, 0
	.section	.AMDGPU.csdata,"",@progbits
; Kernel info:
; codeLenInByte = 0
; TotalNumSgprs: 0
; NumVgprs: 0
; ScratchSize: 0
; MemoryBound: 0
; FloatMode: 240
; IeeeMode: 1
; LDSByteSize: 0 bytes/workgroup (compile time only)
; SGPRBlocks: 0
; VGPRBlocks: 0
; NumSGPRsForWavesPerEU: 1
; NumVGPRsForWavesPerEU: 1
; Occupancy: 16
; WaveLimiterHint : 0
; COMPUTE_PGM_RSRC2:SCRATCH_EN: 0
; COMPUTE_PGM_RSRC2:USER_SGPR: 6
; COMPUTE_PGM_RSRC2:TRAP_HANDLER: 0
; COMPUTE_PGM_RSRC2:TGID_X_EN: 1
; COMPUTE_PGM_RSRC2:TGID_Y_EN: 0
; COMPUTE_PGM_RSRC2:TGID_Z_EN: 0
; COMPUTE_PGM_RSRC2:TIDIG_COMP_CNT: 0
	.section	.text._ZN7rocprim17ROCPRIM_400000_NS6detail17trampoline_kernelINS0_14default_configENS1_37merge_sort_block_sort_config_selectorIxNS0_10empty_typeEEEZNS1_21merge_sort_block_sortIS3_N6thrust23THRUST_200600_302600_NS6detail15normal_iteratorINS9_10device_ptrIxEEEESE_PS5_SF_9comp_mod3IxEEE10hipError_tT0_T1_T2_T3_mRjT4_P12ihipStream_tbNS1_7vsmem_tEEUlT_E_NS1_11comp_targetILNS1_3genE9ELNS1_11target_archE1100ELNS1_3gpuE3ELNS1_3repE0EEENS1_30default_config_static_selectorELNS0_4arch9wavefront6targetE0EEEvSK_,"axG",@progbits,_ZN7rocprim17ROCPRIM_400000_NS6detail17trampoline_kernelINS0_14default_configENS1_37merge_sort_block_sort_config_selectorIxNS0_10empty_typeEEEZNS1_21merge_sort_block_sortIS3_N6thrust23THRUST_200600_302600_NS6detail15normal_iteratorINS9_10device_ptrIxEEEESE_PS5_SF_9comp_mod3IxEEE10hipError_tT0_T1_T2_T3_mRjT4_P12ihipStream_tbNS1_7vsmem_tEEUlT_E_NS1_11comp_targetILNS1_3genE9ELNS1_11target_archE1100ELNS1_3gpuE3ELNS1_3repE0EEENS1_30default_config_static_selectorELNS0_4arch9wavefront6targetE0EEEvSK_,comdat
	.protected	_ZN7rocprim17ROCPRIM_400000_NS6detail17trampoline_kernelINS0_14default_configENS1_37merge_sort_block_sort_config_selectorIxNS0_10empty_typeEEEZNS1_21merge_sort_block_sortIS3_N6thrust23THRUST_200600_302600_NS6detail15normal_iteratorINS9_10device_ptrIxEEEESE_PS5_SF_9comp_mod3IxEEE10hipError_tT0_T1_T2_T3_mRjT4_P12ihipStream_tbNS1_7vsmem_tEEUlT_E_NS1_11comp_targetILNS1_3genE9ELNS1_11target_archE1100ELNS1_3gpuE3ELNS1_3repE0EEENS1_30default_config_static_selectorELNS0_4arch9wavefront6targetE0EEEvSK_ ; -- Begin function _ZN7rocprim17ROCPRIM_400000_NS6detail17trampoline_kernelINS0_14default_configENS1_37merge_sort_block_sort_config_selectorIxNS0_10empty_typeEEEZNS1_21merge_sort_block_sortIS3_N6thrust23THRUST_200600_302600_NS6detail15normal_iteratorINS9_10device_ptrIxEEEESE_PS5_SF_9comp_mod3IxEEE10hipError_tT0_T1_T2_T3_mRjT4_P12ihipStream_tbNS1_7vsmem_tEEUlT_E_NS1_11comp_targetILNS1_3genE9ELNS1_11target_archE1100ELNS1_3gpuE3ELNS1_3repE0EEENS1_30default_config_static_selectorELNS0_4arch9wavefront6targetE0EEEvSK_
	.globl	_ZN7rocprim17ROCPRIM_400000_NS6detail17trampoline_kernelINS0_14default_configENS1_37merge_sort_block_sort_config_selectorIxNS0_10empty_typeEEEZNS1_21merge_sort_block_sortIS3_N6thrust23THRUST_200600_302600_NS6detail15normal_iteratorINS9_10device_ptrIxEEEESE_PS5_SF_9comp_mod3IxEEE10hipError_tT0_T1_T2_T3_mRjT4_P12ihipStream_tbNS1_7vsmem_tEEUlT_E_NS1_11comp_targetILNS1_3genE9ELNS1_11target_archE1100ELNS1_3gpuE3ELNS1_3repE0EEENS1_30default_config_static_selectorELNS0_4arch9wavefront6targetE0EEEvSK_
	.p2align	8
	.type	_ZN7rocprim17ROCPRIM_400000_NS6detail17trampoline_kernelINS0_14default_configENS1_37merge_sort_block_sort_config_selectorIxNS0_10empty_typeEEEZNS1_21merge_sort_block_sortIS3_N6thrust23THRUST_200600_302600_NS6detail15normal_iteratorINS9_10device_ptrIxEEEESE_PS5_SF_9comp_mod3IxEEE10hipError_tT0_T1_T2_T3_mRjT4_P12ihipStream_tbNS1_7vsmem_tEEUlT_E_NS1_11comp_targetILNS1_3genE9ELNS1_11target_archE1100ELNS1_3gpuE3ELNS1_3repE0EEENS1_30default_config_static_selectorELNS0_4arch9wavefront6targetE0EEEvSK_,@function
_ZN7rocprim17ROCPRIM_400000_NS6detail17trampoline_kernelINS0_14default_configENS1_37merge_sort_block_sort_config_selectorIxNS0_10empty_typeEEEZNS1_21merge_sort_block_sortIS3_N6thrust23THRUST_200600_302600_NS6detail15normal_iteratorINS9_10device_ptrIxEEEESE_PS5_SF_9comp_mod3IxEEE10hipError_tT0_T1_T2_T3_mRjT4_P12ihipStream_tbNS1_7vsmem_tEEUlT_E_NS1_11comp_targetILNS1_3genE9ELNS1_11target_archE1100ELNS1_3gpuE3ELNS1_3repE0EEENS1_30default_config_static_selectorELNS0_4arch9wavefront6targetE0EEEvSK_: ; @_ZN7rocprim17ROCPRIM_400000_NS6detail17trampoline_kernelINS0_14default_configENS1_37merge_sort_block_sort_config_selectorIxNS0_10empty_typeEEEZNS1_21merge_sort_block_sortIS3_N6thrust23THRUST_200600_302600_NS6detail15normal_iteratorINS9_10device_ptrIxEEEESE_PS5_SF_9comp_mod3IxEEE10hipError_tT0_T1_T2_T3_mRjT4_P12ihipStream_tbNS1_7vsmem_tEEUlT_E_NS1_11comp_targetILNS1_3genE9ELNS1_11target_archE1100ELNS1_3gpuE3ELNS1_3repE0EEENS1_30default_config_static_selectorELNS0_4arch9wavefront6targetE0EEEvSK_
; %bb.0:
	.section	.rodata,"a",@progbits
	.p2align	6, 0x0
	.amdhsa_kernel _ZN7rocprim17ROCPRIM_400000_NS6detail17trampoline_kernelINS0_14default_configENS1_37merge_sort_block_sort_config_selectorIxNS0_10empty_typeEEEZNS1_21merge_sort_block_sortIS3_N6thrust23THRUST_200600_302600_NS6detail15normal_iteratorINS9_10device_ptrIxEEEESE_PS5_SF_9comp_mod3IxEEE10hipError_tT0_T1_T2_T3_mRjT4_P12ihipStream_tbNS1_7vsmem_tEEUlT_E_NS1_11comp_targetILNS1_3genE9ELNS1_11target_archE1100ELNS1_3gpuE3ELNS1_3repE0EEENS1_30default_config_static_selectorELNS0_4arch9wavefront6targetE0EEEvSK_
		.amdhsa_group_segment_fixed_size 0
		.amdhsa_private_segment_fixed_size 0
		.amdhsa_kernarg_size 64
		.amdhsa_user_sgpr_count 6
		.amdhsa_user_sgpr_private_segment_buffer 1
		.amdhsa_user_sgpr_dispatch_ptr 0
		.amdhsa_user_sgpr_queue_ptr 0
		.amdhsa_user_sgpr_kernarg_segment_ptr 1
		.amdhsa_user_sgpr_dispatch_id 0
		.amdhsa_user_sgpr_flat_scratch_init 0
		.amdhsa_user_sgpr_private_segment_size 0
		.amdhsa_wavefront_size32 1
		.amdhsa_uses_dynamic_stack 0
		.amdhsa_system_sgpr_private_segment_wavefront_offset 0
		.amdhsa_system_sgpr_workgroup_id_x 1
		.amdhsa_system_sgpr_workgroup_id_y 0
		.amdhsa_system_sgpr_workgroup_id_z 0
		.amdhsa_system_sgpr_workgroup_info 0
		.amdhsa_system_vgpr_workitem_id 0
		.amdhsa_next_free_vgpr 1
		.amdhsa_next_free_sgpr 1
		.amdhsa_reserve_vcc 0
		.amdhsa_reserve_flat_scratch 0
		.amdhsa_float_round_mode_32 0
		.amdhsa_float_round_mode_16_64 0
		.amdhsa_float_denorm_mode_32 3
		.amdhsa_float_denorm_mode_16_64 3
		.amdhsa_dx10_clamp 1
		.amdhsa_ieee_mode 1
		.amdhsa_fp16_overflow 0
		.amdhsa_workgroup_processor_mode 1
		.amdhsa_memory_ordered 1
		.amdhsa_forward_progress 1
		.amdhsa_shared_vgpr_count 0
		.amdhsa_exception_fp_ieee_invalid_op 0
		.amdhsa_exception_fp_denorm_src 0
		.amdhsa_exception_fp_ieee_div_zero 0
		.amdhsa_exception_fp_ieee_overflow 0
		.amdhsa_exception_fp_ieee_underflow 0
		.amdhsa_exception_fp_ieee_inexact 0
		.amdhsa_exception_int_div_zero 0
	.end_amdhsa_kernel
	.section	.text._ZN7rocprim17ROCPRIM_400000_NS6detail17trampoline_kernelINS0_14default_configENS1_37merge_sort_block_sort_config_selectorIxNS0_10empty_typeEEEZNS1_21merge_sort_block_sortIS3_N6thrust23THRUST_200600_302600_NS6detail15normal_iteratorINS9_10device_ptrIxEEEESE_PS5_SF_9comp_mod3IxEEE10hipError_tT0_T1_T2_T3_mRjT4_P12ihipStream_tbNS1_7vsmem_tEEUlT_E_NS1_11comp_targetILNS1_3genE9ELNS1_11target_archE1100ELNS1_3gpuE3ELNS1_3repE0EEENS1_30default_config_static_selectorELNS0_4arch9wavefront6targetE0EEEvSK_,"axG",@progbits,_ZN7rocprim17ROCPRIM_400000_NS6detail17trampoline_kernelINS0_14default_configENS1_37merge_sort_block_sort_config_selectorIxNS0_10empty_typeEEEZNS1_21merge_sort_block_sortIS3_N6thrust23THRUST_200600_302600_NS6detail15normal_iteratorINS9_10device_ptrIxEEEESE_PS5_SF_9comp_mod3IxEEE10hipError_tT0_T1_T2_T3_mRjT4_P12ihipStream_tbNS1_7vsmem_tEEUlT_E_NS1_11comp_targetILNS1_3genE9ELNS1_11target_archE1100ELNS1_3gpuE3ELNS1_3repE0EEENS1_30default_config_static_selectorELNS0_4arch9wavefront6targetE0EEEvSK_,comdat
.Lfunc_end929:
	.size	_ZN7rocprim17ROCPRIM_400000_NS6detail17trampoline_kernelINS0_14default_configENS1_37merge_sort_block_sort_config_selectorIxNS0_10empty_typeEEEZNS1_21merge_sort_block_sortIS3_N6thrust23THRUST_200600_302600_NS6detail15normal_iteratorINS9_10device_ptrIxEEEESE_PS5_SF_9comp_mod3IxEEE10hipError_tT0_T1_T2_T3_mRjT4_P12ihipStream_tbNS1_7vsmem_tEEUlT_E_NS1_11comp_targetILNS1_3genE9ELNS1_11target_archE1100ELNS1_3gpuE3ELNS1_3repE0EEENS1_30default_config_static_selectorELNS0_4arch9wavefront6targetE0EEEvSK_, .Lfunc_end929-_ZN7rocprim17ROCPRIM_400000_NS6detail17trampoline_kernelINS0_14default_configENS1_37merge_sort_block_sort_config_selectorIxNS0_10empty_typeEEEZNS1_21merge_sort_block_sortIS3_N6thrust23THRUST_200600_302600_NS6detail15normal_iteratorINS9_10device_ptrIxEEEESE_PS5_SF_9comp_mod3IxEEE10hipError_tT0_T1_T2_T3_mRjT4_P12ihipStream_tbNS1_7vsmem_tEEUlT_E_NS1_11comp_targetILNS1_3genE9ELNS1_11target_archE1100ELNS1_3gpuE3ELNS1_3repE0EEENS1_30default_config_static_selectorELNS0_4arch9wavefront6targetE0EEEvSK_
                                        ; -- End function
	.set _ZN7rocprim17ROCPRIM_400000_NS6detail17trampoline_kernelINS0_14default_configENS1_37merge_sort_block_sort_config_selectorIxNS0_10empty_typeEEEZNS1_21merge_sort_block_sortIS3_N6thrust23THRUST_200600_302600_NS6detail15normal_iteratorINS9_10device_ptrIxEEEESE_PS5_SF_9comp_mod3IxEEE10hipError_tT0_T1_T2_T3_mRjT4_P12ihipStream_tbNS1_7vsmem_tEEUlT_E_NS1_11comp_targetILNS1_3genE9ELNS1_11target_archE1100ELNS1_3gpuE3ELNS1_3repE0EEENS1_30default_config_static_selectorELNS0_4arch9wavefront6targetE0EEEvSK_.num_vgpr, 0
	.set _ZN7rocprim17ROCPRIM_400000_NS6detail17trampoline_kernelINS0_14default_configENS1_37merge_sort_block_sort_config_selectorIxNS0_10empty_typeEEEZNS1_21merge_sort_block_sortIS3_N6thrust23THRUST_200600_302600_NS6detail15normal_iteratorINS9_10device_ptrIxEEEESE_PS5_SF_9comp_mod3IxEEE10hipError_tT0_T1_T2_T3_mRjT4_P12ihipStream_tbNS1_7vsmem_tEEUlT_E_NS1_11comp_targetILNS1_3genE9ELNS1_11target_archE1100ELNS1_3gpuE3ELNS1_3repE0EEENS1_30default_config_static_selectorELNS0_4arch9wavefront6targetE0EEEvSK_.num_agpr, 0
	.set _ZN7rocprim17ROCPRIM_400000_NS6detail17trampoline_kernelINS0_14default_configENS1_37merge_sort_block_sort_config_selectorIxNS0_10empty_typeEEEZNS1_21merge_sort_block_sortIS3_N6thrust23THRUST_200600_302600_NS6detail15normal_iteratorINS9_10device_ptrIxEEEESE_PS5_SF_9comp_mod3IxEEE10hipError_tT0_T1_T2_T3_mRjT4_P12ihipStream_tbNS1_7vsmem_tEEUlT_E_NS1_11comp_targetILNS1_3genE9ELNS1_11target_archE1100ELNS1_3gpuE3ELNS1_3repE0EEENS1_30default_config_static_selectorELNS0_4arch9wavefront6targetE0EEEvSK_.numbered_sgpr, 0
	.set _ZN7rocprim17ROCPRIM_400000_NS6detail17trampoline_kernelINS0_14default_configENS1_37merge_sort_block_sort_config_selectorIxNS0_10empty_typeEEEZNS1_21merge_sort_block_sortIS3_N6thrust23THRUST_200600_302600_NS6detail15normal_iteratorINS9_10device_ptrIxEEEESE_PS5_SF_9comp_mod3IxEEE10hipError_tT0_T1_T2_T3_mRjT4_P12ihipStream_tbNS1_7vsmem_tEEUlT_E_NS1_11comp_targetILNS1_3genE9ELNS1_11target_archE1100ELNS1_3gpuE3ELNS1_3repE0EEENS1_30default_config_static_selectorELNS0_4arch9wavefront6targetE0EEEvSK_.num_named_barrier, 0
	.set _ZN7rocprim17ROCPRIM_400000_NS6detail17trampoline_kernelINS0_14default_configENS1_37merge_sort_block_sort_config_selectorIxNS0_10empty_typeEEEZNS1_21merge_sort_block_sortIS3_N6thrust23THRUST_200600_302600_NS6detail15normal_iteratorINS9_10device_ptrIxEEEESE_PS5_SF_9comp_mod3IxEEE10hipError_tT0_T1_T2_T3_mRjT4_P12ihipStream_tbNS1_7vsmem_tEEUlT_E_NS1_11comp_targetILNS1_3genE9ELNS1_11target_archE1100ELNS1_3gpuE3ELNS1_3repE0EEENS1_30default_config_static_selectorELNS0_4arch9wavefront6targetE0EEEvSK_.private_seg_size, 0
	.set _ZN7rocprim17ROCPRIM_400000_NS6detail17trampoline_kernelINS0_14default_configENS1_37merge_sort_block_sort_config_selectorIxNS0_10empty_typeEEEZNS1_21merge_sort_block_sortIS3_N6thrust23THRUST_200600_302600_NS6detail15normal_iteratorINS9_10device_ptrIxEEEESE_PS5_SF_9comp_mod3IxEEE10hipError_tT0_T1_T2_T3_mRjT4_P12ihipStream_tbNS1_7vsmem_tEEUlT_E_NS1_11comp_targetILNS1_3genE9ELNS1_11target_archE1100ELNS1_3gpuE3ELNS1_3repE0EEENS1_30default_config_static_selectorELNS0_4arch9wavefront6targetE0EEEvSK_.uses_vcc, 0
	.set _ZN7rocprim17ROCPRIM_400000_NS6detail17trampoline_kernelINS0_14default_configENS1_37merge_sort_block_sort_config_selectorIxNS0_10empty_typeEEEZNS1_21merge_sort_block_sortIS3_N6thrust23THRUST_200600_302600_NS6detail15normal_iteratorINS9_10device_ptrIxEEEESE_PS5_SF_9comp_mod3IxEEE10hipError_tT0_T1_T2_T3_mRjT4_P12ihipStream_tbNS1_7vsmem_tEEUlT_E_NS1_11comp_targetILNS1_3genE9ELNS1_11target_archE1100ELNS1_3gpuE3ELNS1_3repE0EEENS1_30default_config_static_selectorELNS0_4arch9wavefront6targetE0EEEvSK_.uses_flat_scratch, 0
	.set _ZN7rocprim17ROCPRIM_400000_NS6detail17trampoline_kernelINS0_14default_configENS1_37merge_sort_block_sort_config_selectorIxNS0_10empty_typeEEEZNS1_21merge_sort_block_sortIS3_N6thrust23THRUST_200600_302600_NS6detail15normal_iteratorINS9_10device_ptrIxEEEESE_PS5_SF_9comp_mod3IxEEE10hipError_tT0_T1_T2_T3_mRjT4_P12ihipStream_tbNS1_7vsmem_tEEUlT_E_NS1_11comp_targetILNS1_3genE9ELNS1_11target_archE1100ELNS1_3gpuE3ELNS1_3repE0EEENS1_30default_config_static_selectorELNS0_4arch9wavefront6targetE0EEEvSK_.has_dyn_sized_stack, 0
	.set _ZN7rocprim17ROCPRIM_400000_NS6detail17trampoline_kernelINS0_14default_configENS1_37merge_sort_block_sort_config_selectorIxNS0_10empty_typeEEEZNS1_21merge_sort_block_sortIS3_N6thrust23THRUST_200600_302600_NS6detail15normal_iteratorINS9_10device_ptrIxEEEESE_PS5_SF_9comp_mod3IxEEE10hipError_tT0_T1_T2_T3_mRjT4_P12ihipStream_tbNS1_7vsmem_tEEUlT_E_NS1_11comp_targetILNS1_3genE9ELNS1_11target_archE1100ELNS1_3gpuE3ELNS1_3repE0EEENS1_30default_config_static_selectorELNS0_4arch9wavefront6targetE0EEEvSK_.has_recursion, 0
	.set _ZN7rocprim17ROCPRIM_400000_NS6detail17trampoline_kernelINS0_14default_configENS1_37merge_sort_block_sort_config_selectorIxNS0_10empty_typeEEEZNS1_21merge_sort_block_sortIS3_N6thrust23THRUST_200600_302600_NS6detail15normal_iteratorINS9_10device_ptrIxEEEESE_PS5_SF_9comp_mod3IxEEE10hipError_tT0_T1_T2_T3_mRjT4_P12ihipStream_tbNS1_7vsmem_tEEUlT_E_NS1_11comp_targetILNS1_3genE9ELNS1_11target_archE1100ELNS1_3gpuE3ELNS1_3repE0EEENS1_30default_config_static_selectorELNS0_4arch9wavefront6targetE0EEEvSK_.has_indirect_call, 0
	.section	.AMDGPU.csdata,"",@progbits
; Kernel info:
; codeLenInByte = 0
; TotalNumSgprs: 0
; NumVgprs: 0
; ScratchSize: 0
; MemoryBound: 0
; FloatMode: 240
; IeeeMode: 1
; LDSByteSize: 0 bytes/workgroup (compile time only)
; SGPRBlocks: 0
; VGPRBlocks: 0
; NumSGPRsForWavesPerEU: 1
; NumVGPRsForWavesPerEU: 1
; Occupancy: 16
; WaveLimiterHint : 0
; COMPUTE_PGM_RSRC2:SCRATCH_EN: 0
; COMPUTE_PGM_RSRC2:USER_SGPR: 6
; COMPUTE_PGM_RSRC2:TRAP_HANDLER: 0
; COMPUTE_PGM_RSRC2:TGID_X_EN: 1
; COMPUTE_PGM_RSRC2:TGID_Y_EN: 0
; COMPUTE_PGM_RSRC2:TGID_Z_EN: 0
; COMPUTE_PGM_RSRC2:TIDIG_COMP_CNT: 0
	.section	.text._ZN7rocprim17ROCPRIM_400000_NS6detail17trampoline_kernelINS0_14default_configENS1_37merge_sort_block_sort_config_selectorIxNS0_10empty_typeEEEZNS1_21merge_sort_block_sortIS3_N6thrust23THRUST_200600_302600_NS6detail15normal_iteratorINS9_10device_ptrIxEEEESE_PS5_SF_9comp_mod3IxEEE10hipError_tT0_T1_T2_T3_mRjT4_P12ihipStream_tbNS1_7vsmem_tEEUlT_E_NS1_11comp_targetILNS1_3genE8ELNS1_11target_archE1030ELNS1_3gpuE2ELNS1_3repE0EEENS1_30default_config_static_selectorELNS0_4arch9wavefront6targetE0EEEvSK_,"axG",@progbits,_ZN7rocprim17ROCPRIM_400000_NS6detail17trampoline_kernelINS0_14default_configENS1_37merge_sort_block_sort_config_selectorIxNS0_10empty_typeEEEZNS1_21merge_sort_block_sortIS3_N6thrust23THRUST_200600_302600_NS6detail15normal_iteratorINS9_10device_ptrIxEEEESE_PS5_SF_9comp_mod3IxEEE10hipError_tT0_T1_T2_T3_mRjT4_P12ihipStream_tbNS1_7vsmem_tEEUlT_E_NS1_11comp_targetILNS1_3genE8ELNS1_11target_archE1030ELNS1_3gpuE2ELNS1_3repE0EEENS1_30default_config_static_selectorELNS0_4arch9wavefront6targetE0EEEvSK_,comdat
	.protected	_ZN7rocprim17ROCPRIM_400000_NS6detail17trampoline_kernelINS0_14default_configENS1_37merge_sort_block_sort_config_selectorIxNS0_10empty_typeEEEZNS1_21merge_sort_block_sortIS3_N6thrust23THRUST_200600_302600_NS6detail15normal_iteratorINS9_10device_ptrIxEEEESE_PS5_SF_9comp_mod3IxEEE10hipError_tT0_T1_T2_T3_mRjT4_P12ihipStream_tbNS1_7vsmem_tEEUlT_E_NS1_11comp_targetILNS1_3genE8ELNS1_11target_archE1030ELNS1_3gpuE2ELNS1_3repE0EEENS1_30default_config_static_selectorELNS0_4arch9wavefront6targetE0EEEvSK_ ; -- Begin function _ZN7rocprim17ROCPRIM_400000_NS6detail17trampoline_kernelINS0_14default_configENS1_37merge_sort_block_sort_config_selectorIxNS0_10empty_typeEEEZNS1_21merge_sort_block_sortIS3_N6thrust23THRUST_200600_302600_NS6detail15normal_iteratorINS9_10device_ptrIxEEEESE_PS5_SF_9comp_mod3IxEEE10hipError_tT0_T1_T2_T3_mRjT4_P12ihipStream_tbNS1_7vsmem_tEEUlT_E_NS1_11comp_targetILNS1_3genE8ELNS1_11target_archE1030ELNS1_3gpuE2ELNS1_3repE0EEENS1_30default_config_static_selectorELNS0_4arch9wavefront6targetE0EEEvSK_
	.globl	_ZN7rocprim17ROCPRIM_400000_NS6detail17trampoline_kernelINS0_14default_configENS1_37merge_sort_block_sort_config_selectorIxNS0_10empty_typeEEEZNS1_21merge_sort_block_sortIS3_N6thrust23THRUST_200600_302600_NS6detail15normal_iteratorINS9_10device_ptrIxEEEESE_PS5_SF_9comp_mod3IxEEE10hipError_tT0_T1_T2_T3_mRjT4_P12ihipStream_tbNS1_7vsmem_tEEUlT_E_NS1_11comp_targetILNS1_3genE8ELNS1_11target_archE1030ELNS1_3gpuE2ELNS1_3repE0EEENS1_30default_config_static_selectorELNS0_4arch9wavefront6targetE0EEEvSK_
	.p2align	8
	.type	_ZN7rocprim17ROCPRIM_400000_NS6detail17trampoline_kernelINS0_14default_configENS1_37merge_sort_block_sort_config_selectorIxNS0_10empty_typeEEEZNS1_21merge_sort_block_sortIS3_N6thrust23THRUST_200600_302600_NS6detail15normal_iteratorINS9_10device_ptrIxEEEESE_PS5_SF_9comp_mod3IxEEE10hipError_tT0_T1_T2_T3_mRjT4_P12ihipStream_tbNS1_7vsmem_tEEUlT_E_NS1_11comp_targetILNS1_3genE8ELNS1_11target_archE1030ELNS1_3gpuE2ELNS1_3repE0EEENS1_30default_config_static_selectorELNS0_4arch9wavefront6targetE0EEEvSK_,@function
_ZN7rocprim17ROCPRIM_400000_NS6detail17trampoline_kernelINS0_14default_configENS1_37merge_sort_block_sort_config_selectorIxNS0_10empty_typeEEEZNS1_21merge_sort_block_sortIS3_N6thrust23THRUST_200600_302600_NS6detail15normal_iteratorINS9_10device_ptrIxEEEESE_PS5_SF_9comp_mod3IxEEE10hipError_tT0_T1_T2_T3_mRjT4_P12ihipStream_tbNS1_7vsmem_tEEUlT_E_NS1_11comp_targetILNS1_3genE8ELNS1_11target_archE1030ELNS1_3gpuE2ELNS1_3repE0EEENS1_30default_config_static_selectorELNS0_4arch9wavefront6targetE0EEEvSK_: ; @_ZN7rocprim17ROCPRIM_400000_NS6detail17trampoline_kernelINS0_14default_configENS1_37merge_sort_block_sort_config_selectorIxNS0_10empty_typeEEEZNS1_21merge_sort_block_sortIS3_N6thrust23THRUST_200600_302600_NS6detail15normal_iteratorINS9_10device_ptrIxEEEESE_PS5_SF_9comp_mod3IxEEE10hipError_tT0_T1_T2_T3_mRjT4_P12ihipStream_tbNS1_7vsmem_tEEUlT_E_NS1_11comp_targetILNS1_3genE8ELNS1_11target_archE1030ELNS1_3gpuE2ELNS1_3repE0EEENS1_30default_config_static_selectorELNS0_4arch9wavefront6targetE0EEEvSK_
; %bb.0:
	s_clause 0x1
	s_load_dwordx2 s[10:11], s[4:5], 0x40
	s_load_dword s0, s[4:5], 0x0
	s_add_u32 s2, s4, 64
	s_addc_u32 s3, s5, 0
	s_waitcnt lgkmcnt(0)
	s_mul_i32 s1, s11, s8
	s_add_i32 s1, s1, s7
	s_mul_i32 s1, s1, s10
	s_add_i32 s12, s1, s6
	s_cmp_ge_u32 s12, s0
	s_cbranch_scc1 .LBB930_368
; %bb.1:
	s_clause 0x2
	s_load_dwordx2 s[14:15], s[4:5], 0x8
	s_load_dwordx4 s[16:19], s[4:5], 0x18
	s_load_dwordx2 s[8:9], s[4:5], 0x38
	s_mov_b32 s13, 0
	v_mov_b32_e32 v3, v1
	s_lshl_b64 s[0:1], s[12:13], 13
	v_lshlrev_b32_e32 v37, 3, v0
	v_lshrrev_b32_e32 v39, 2, v0
	v_or_b32_e32 v42, 0x100, v0
	v_or_b32_e32 v41, 0x200, v0
	;; [unrolled: 1-line block ×3, first 2 shown]
	v_and_b32_e32 v38, 0xf8, v0
	s_waitcnt lgkmcnt(0)
	s_lshr_b64 s[20:21], s[14:15], 10
	s_add_u32 s4, s16, s0
	s_addc_u32 s5, s17, s1
	s_add_u32 s7, s18, s0
	s_addc_u32 s11, s19, s1
	s_cmp_lg_u64 s[20:21], s[12:13]
	s_cbranch_scc0 .LBB930_205
; %bb.2:
	v_add_co_u32 v4, s0, s4, v37
	v_add_co_ci_u32_e64 v5, null, s5, 0, s0
	v_lshrrev_b32_e32 v1, 2, v42
	v_add_co_u32 v6, vcc_lo, 0x800, v4
	v_add_co_ci_u32_e64 v7, null, 0, v5, vcc_lo
	v_add_co_u32 v8, vcc_lo, 0x1000, v4
	v_add_co_ci_u32_e64 v9, null, 0, v5, vcc_lo
	v_add_co_u32 v10, vcc_lo, 0x1800, v4
	v_add_co_ci_u32_e64 v11, null, 0, v5, vcc_lo
	s_clause 0x3
	flat_load_dwordx2 v[4:5], v[4:5]
	flat_load_dwordx2 v[6:7], v[6:7]
	;; [unrolled: 1-line block ×4, first 2 shown]
	v_lshrrev_b32_e32 v12, 2, v41
	v_lshrrev_b32_e32 v13, 2, v40
	v_and_b32_e32 v14, 56, v39
	v_and_b32_e32 v1, 0x78, v1
	v_lshl_add_u32 v47, v0, 5, v38
	v_and_b32_e32 v12, 0xb8, v12
	v_and_b32_e32 v13, 0xf8, v13
	v_add_nc_u32_e32 v43, v14, v37
	v_add_nc_u32_e32 v44, v1, v37
	v_mov_b32_e32 v1, 0
	v_add_nc_u32_e32 v45, v12, v37
	v_add_nc_u32_e32 v46, v13, v37
	s_waitcnt vmcnt(3) lgkmcnt(3)
	ds_write_b64 v43, v[4:5]
	s_waitcnt vmcnt(2) lgkmcnt(3)
	ds_write_b64 v44, v[6:7] offset:2048
	s_waitcnt vmcnt(1) lgkmcnt(3)
	ds_write_b64 v45, v[8:9] offset:4096
	s_waitcnt vmcnt(0) lgkmcnt(3)
	ds_write_b64 v46, v[10:11] offset:6144
	s_waitcnt lgkmcnt(0)
	s_barrier
	buffer_gl0_inv
	ds_read2_b64 v[12:15], v47 offset1:1
	ds_read2_b64 v[16:19], v47 offset0:2 offset1:3
	s_waitcnt lgkmcnt(0)
	s_barrier
	buffer_gl0_inv
	s_load_dword s0, s[2:3], 0xc
	s_waitcnt lgkmcnt(0)
	s_lshr_b32 s15, s0, 16
	s_cmp_lt_u32 s6, s10
	v_mad_u32_u24 v5, v2, s15, v3
	s_cselect_b32 s0, 12, 18
	s_mov_b32 s15, exec_lo
	s_add_u32 s0, s2, s0
	s_addc_u32 s1, s3, 0
	global_load_ushort v4, v1, s[0:1]
	s_waitcnt vmcnt(0)
	v_mul_lo_u32 v4, v5, v4
	v_add_lshl_u32 v48, v4, v0, 2
	v_mov_b32_e32 v4, v12
	v_mov_b32_e32 v5, v13
	;; [unrolled: 1-line block ×8, first 2 shown]
	v_cmpx_gt_u32_e32 0x400, v48
	s_cbranch_execz .LBB930_12
; %bb.3:
	v_mov_b32_e32 v4, v1
	v_mov_b32_e32 v5, v14
	;; [unrolled: 1-line block ×6, first 2 shown]
	v_ashrrev_i64 v[4:5], 29, v[4:5]
	v_mov_b32_e32 v24, v16
	v_ashrrev_i64 v[6:7], 29, v[6:7]
	v_mov_b32_e32 v25, v17
	;; [unrolled: 2-line block ×3, first 2 shown]
	v_add_co_u32 v4, vcc_lo, s8, v4
	v_add_co_ci_u32_e64 v5, null, s9, v5, vcc_lo
	v_add_co_u32 v6, vcc_lo, s8, v6
	v_add_co_ci_u32_e64 v7, null, s9, v7, vcc_lo
	s_clause 0x1
	global_load_dwordx2 v[4:5], v[4:5], off
	global_load_dwordx2 v[6:7], v[6:7], off
	v_add_co_u32 v8, vcc_lo, s8, v31
	v_add_co_ci_u32_e64 v9, null, s9, v32, vcc_lo
	v_mov_b32_e32 v27, v19
	global_load_dwordx2 v[33:34], v[8:9], off
	s_waitcnt vmcnt(1)
	v_cmp_lt_i64_e32 vcc_lo, v[4:5], v[6:7]
	v_cndmask_b32_e32 v23, v15, v13, vcc_lo
	v_cndmask_b32_e32 v21, v13, v15, vcc_lo
	v_mov_b32_e32 v15, v1
	v_cndmask_b32_e32 v28, v12, v14, vcc_lo
	v_cndmask_b32_e32 v22, v14, v12, vcc_lo
	v_ashrrev_i64 v[29:30], 29, v[15:16]
	v_mov_b32_e32 v20, v28
	v_mov_b32_e32 v14, v18
	;; [unrolled: 1-line block ×3, first 2 shown]
	v_add_co_u32 v4, s0, s8, v29
	v_add_co_ci_u32_e64 v5, null, s9, v30, s0
	s_mov_b32 s0, exec_lo
	global_load_dwordx2 v[35:36], v[4:5], off
	v_mov_b32_e32 v4, v20
	v_mov_b32_e32 v5, v21
	;; [unrolled: 1-line block ×8, first 2 shown]
	s_waitcnt vmcnt(0)
	v_cmpx_lt_i64_e64 v[33:34], v[35:36]
	s_cbranch_execz .LBB930_5
; %bb.4:
	v_mov_b32_e32 v20, v28
	v_mov_b32_e32 v24, v18
	;; [unrolled: 1-line block ×21, first 2 shown]
.LBB930_5:
	s_or_b32 exec_lo, exec_lo, s0
	v_mov_b32_e32 v24, 0
	v_mov_b32_e32 v25, v22
	s_mov_b32 s0, exec_lo
                                        ; implicit-def: $vgpr18_vgpr19
	v_ashrrev_i64 v[12:13], 29, v[24:25]
	v_add_co_u32 v12, vcc_lo, s8, v12
	v_add_co_ci_u32_e64 v13, null, s9, v13, vcc_lo
	global_load_dwordx2 v[12:13], v[12:13], off
	s_waitcnt vmcnt(0)
	v_cmpx_ge_i64_e64 v[35:36], v[12:13]
	s_xor_b32 s0, exec_lo, s0
	s_cbranch_execz .LBB930_7
; %bb.6:
	v_mov_b32_e32 v25, v16
                                        ; implicit-def: $vgpr29_vgpr30
	v_ashrrev_i64 v[18:19], 29, v[24:25]
	v_add_co_u32 v18, vcc_lo, s8, v18
	v_add_co_ci_u32_e64 v19, null, s9, v19, vcc_lo
	global_load_dwordx2 v[18:19], v[18:19], off
.LBB930_7:
	s_or_saveexec_b32 s0, s0
	v_mov_b32_e32 v25, v17
	v_mov_b32_e32 v24, v16
	s_xor_b32 exec_lo, exec_lo, s0
	s_cbranch_execz .LBB930_9
; %bb.8:
	v_add_co_u32 v6, vcc_lo, s8, v29
	v_add_co_ci_u32_e64 v7, null, s9, v30, vcc_lo
	s_waitcnt vmcnt(0)
	v_mov_b32_e32 v19, v13
	v_mov_b32_e32 v25, v23
	;; [unrolled: 1-line block ×3, first 2 shown]
	global_load_dwordx2 v[26:27], v[6:7], off
	v_mov_b32_e32 v9, v23
	v_mov_b32_e32 v18, v12
	;; [unrolled: 1-line block ×7, first 2 shown]
	s_waitcnt vmcnt(0)
	v_mov_b32_e32 v12, v26
	v_mov_b32_e32 v13, v27
.LBB930_9:
	s_or_b32 exec_lo, exec_lo, s0
	v_mov_b32_e32 v27, 0
	s_mov_b32 s16, exec_lo
	v_ashrrev_i64 v[16:17], 29, v[27:28]
	v_add_co_u32 v16, vcc_lo, s8, v16
	v_add_co_ci_u32_e64 v17, null, s9, v17, vcc_lo
	global_load_dwordx2 v[16:17], v[16:17], off
	s_waitcnt vmcnt(0)
	v_cmp_lt_i64_e32 vcc_lo, v[12:13], v[16:17]
	v_cndmask_b32_e32 v6, v6, v28, vcc_lo
	v_cndmask_b32_e32 v12, v28, v22, vcc_lo
	;; [unrolled: 1-line block ×3, first 2 shown]
	v_mov_b32_e32 v28, v14
	v_cndmask_b32_e32 v7, v7, v21, vcc_lo
	v_cndmask_b32_e32 v5, v5, v23, vcc_lo
	;; [unrolled: 1-line block ×4, first 2 shown]
	v_ashrrev_i64 v[29:30], 29, v[27:28]
	v_mov_b32_e32 v28, v16
	v_ashrrev_i64 v[26:27], 29, v[27:28]
	v_add_co_u32 v29, s0, s8, v29
	v_add_co_ci_u32_e64 v30, null, s9, v30, s0
	v_add_co_u32 v26, s0, s8, v26
	global_load_dwordx2 v[28:29], v[29:30], off
	v_add_co_ci_u32_e64 v27, null, s9, v27, s0
	global_load_dwordx2 v[26:27], v[26:27], off
	s_waitcnt vmcnt(1)
	v_cmp_lt_i64_e64 s0, v[28:29], v[18:19]
	v_cndmask_b32_e64 v11, v11, v25, s0
	v_cndmask_b32_e64 v19, v19, v29, s0
	;; [unrolled: 1-line block ×6, first 2 shown]
	s_waitcnt vmcnt(0)
	v_cmpx_lt_i64_e64 v[18:19], v[26:27]
; %bb.10:
	v_cndmask_b32_e32 v9, v23, v21, vcc_lo
	v_cndmask_b32_e64 v7, v25, v15, s0
	v_cndmask_b32_e64 v6, v24, v14, s0
	v_mov_b32_e32 v8, v16
; %bb.11:
	s_or_b32 exec_lo, exec_lo, s16
.LBB930_12:
	s_or_b32 exec_lo, exec_lo, s15
	v_mbcnt_lo_u32_b32 v15, -1, 0
	v_and_b32_e32 v14, 0xffffff80, v48
	v_lshlrev_b32_e32 v20, 2, v0
	s_mov_b32 s0, 0
	s_mov_b32 s1, exec_lo
	v_lshlrev_b32_e32 v23, 2, v15
	v_sub_nc_u32_e64 v22, 0x400, v14 clamp
	v_lshlrev_b32_e32 v21, 3, v14
	v_mov_b32_e32 v14, v6
	v_or_b32_e32 v16, 4, v23
	v_and_b32_e32 v17, 4, v23
	v_and_b32_e32 v18, 0x78, v23
	v_lshl_or_b32 v24, v15, 5, v21
	v_mov_b32_e32 v15, v7
	v_min_u32_e32 v19, v22, v16
	v_min_u32_e32 v26, v22, v17
	ds_write_b128 v24, v[12:15]
	ds_write_b128 v24, v[8:11] offset:16
	v_add_nc_u32_e32 v16, 4, v19
	v_sub_nc_u32_e32 v17, v19, v18
	; wave barrier
	v_min_u32_e32 v25, v22, v16
	v_min_u32_e32 v27, v26, v17
	v_lshl_or_b32 v17, v18, 3, v21
	v_sub_nc_u32_e32 v16, v25, v19
	v_sub_nc_u32_e64 v16, v26, v16 clamp
	v_cmpx_lt_u32_e64 v16, v27
	s_cbranch_execz .LBB930_16
; %bb.13:
	v_lshlrev_b32_e32 v12, 3, v19
	v_lshlrev_b32_e32 v13, 3, v26
	v_add3_u32 v14, v21, v12, v13
	v_mov_b32_e32 v12, 0
	s_inst_prefetch 0x1
	.p2align	6
.LBB930_14:                             ; =>This Inner Loop Header: Depth=1
	v_add_nc_u32_e32 v13, v27, v16
	v_lshrrev_b32_e32 v15, 1, v13
	v_not_b32_e32 v13, v15
	v_lshl_add_u32 v30, v15, 3, v17
	v_lshl_add_u32 v13, v13, 3, v14
	ds_read_b32 v13, v13
	s_waitcnt lgkmcnt(0)
	v_ashrrev_i64 v[28:29], 29, v[12:13]
	ds_read_b32 v13, v30
	v_add_co_u32 v28, vcc_lo, s8, v28
	v_add_co_ci_u32_e64 v29, null, s9, v29, vcc_lo
	s_waitcnt lgkmcnt(0)
	v_ashrrev_i64 v[30:31], 29, v[12:13]
	v_add_nc_u32_e32 v13, 1, v15
	v_add_co_u32 v30, vcc_lo, s8, v30
	v_add_co_ci_u32_e64 v31, null, s9, v31, vcc_lo
	s_clause 0x1
	global_load_dwordx2 v[28:29], v[28:29], off
	global_load_dwordx2 v[30:31], v[30:31], off
	s_waitcnt vmcnt(0)
	v_cmp_lt_i64_e32 vcc_lo, v[28:29], v[30:31]
	v_cndmask_b32_e32 v27, v27, v15, vcc_lo
	v_cndmask_b32_e32 v16, v13, v16, vcc_lo
	v_cmp_ge_u32_e32 vcc_lo, v16, v27
	s_or_b32 s0, vcc_lo, s0
	s_andn2_b32 exec_lo, exec_lo, s0
	s_cbranch_execnz .LBB930_14
; %bb.15:
	s_inst_prefetch 0x2
	s_or_b32 exec_lo, exec_lo, s0
.LBB930_16:
	s_or_b32 exec_lo, exec_lo, s1
	v_add_nc_u32_e32 v13, v19, v26
	v_add_nc_u32_e32 v12, v16, v18
	v_sub_nc_u32_e32 v13, v13, v16
	v_cmp_le_u32_e32 vcc_lo, v12, v19
	v_cmp_le_u32_e64 s0, v13, v25
	s_or_b32 s0, vcc_lo, s0
	s_and_saveexec_b32 s1, s0
	s_cbranch_execz .LBB930_36
; %bb.17:
	s_mov_b32 s15, exec_lo
	v_cmp_ge_u32_e32 vcc_lo, v12, v19
                                        ; implicit-def: $vgpr4_vgpr5
	v_cmpx_lt_u32_e64 v12, v19
; %bb.18:
	v_lshl_add_u32 v4, v16, 3, v17
	ds_read_b64 v[4:5], v4
; %bb.19:
	s_or_b32 exec_lo, exec_lo, s15
	v_cmp_ge_u32_e64 s15, v13, v25
	s_mov_b32 s16, exec_lo
                                        ; implicit-def: $vgpr6_vgpr7
	v_cmpx_lt_u32_e64 v13, v25
; %bb.20:
	v_lshl_add_u32 v6, v13, 3, v21
	ds_read_b64 v[6:7], v6
; %bb.21:
	s_or_b32 exec_lo, exec_lo, s16
	s_nor_b32 s16, vcc_lo, s15
	s_and_saveexec_b32 s0, s16
	s_cbranch_execz .LBB930_23
; %bb.22:
	v_mov_b32_e32 v8, 0
	s_waitcnt lgkmcnt(0)
	v_mov_b32_e32 v9, v6
	s_andn2_b32 s15, s15, exec_lo
	v_ashrrev_i64 v[10:11], 29, v[8:9]
	v_mov_b32_e32 v9, v4
	v_ashrrev_i64 v[8:9], 29, v[8:9]
	v_add_co_u32 v10, vcc_lo, s8, v10
	v_add_co_ci_u32_e64 v11, null, s9, v11, vcc_lo
	v_add_co_u32 v8, vcc_lo, s8, v8
	v_add_co_ci_u32_e64 v9, null, s9, v9, vcc_lo
	s_clause 0x1
	global_load_dwordx2 v[10:11], v[10:11], off
	global_load_dwordx2 v[8:9], v[8:9], off
	s_waitcnt vmcnt(0)
	v_cmp_ge_i64_e32 vcc_lo, v[10:11], v[8:9]
	s_and_b32 s16, vcc_lo, exec_lo
	s_or_b32 s15, s15, s16
.LBB930_23:
	s_or_b32 exec_lo, exec_lo, s0
	v_cndmask_b32_e64 v8, v13, v12, s15
	v_cndmask_b32_e64 v9, v25, v19, s15
	s_mov_b32 s0, -1
	s_mov_b32 s16, -1
	s_mov_b32 s17, exec_lo
	v_add_nc_u32_e32 v8, 1, v8
	v_add_nc_u32_e32 v9, -1, v9
	v_cndmask_b32_e64 v10, v8, v13, s15
	v_min_u32_e32 v9, v8, v9
	v_cndmask_b32_e64 v13, v12, v8, s15
	v_lshl_add_u32 v9, v9, 3, v21
	ds_read_b64 v[14:15], v9
	s_waitcnt lgkmcnt(0)
	v_cndmask_b32_e64 v26, v15, v7, s15
	v_cndmask_b32_e64 v9, v14, v6, s15
	;; [unrolled: 1-line block ×4, first 2 shown]
	v_cmpx_lt_u32_e64 v10, v25
	s_cbranch_execz .LBB930_27
; %bb.24:
	s_mov_b32 s18, 0
	s_mov_b32 s16, exec_lo
	v_cmpx_lt_u32_e64 v13, v19
	s_cbranch_execz .LBB930_26
; %bb.25:
	v_mov_b32_e32 v8, 0
	v_mov_b32_e32 v11, v8
	v_ashrrev_i64 v[14:15], 29, v[8:9]
	v_ashrrev_i64 v[16:17], 29, v[11:12]
	v_add_co_u32 v14, vcc_lo, s8, v14
	v_add_co_ci_u32_e64 v15, null, s9, v15, vcc_lo
	v_add_co_u32 v16, vcc_lo, s8, v16
	v_add_co_ci_u32_e64 v17, null, s9, v17, vcc_lo
	s_clause 0x1
	global_load_dwordx2 v[14:15], v[14:15], off
	global_load_dwordx2 v[16:17], v[16:17], off
	s_waitcnt vmcnt(0)
	v_cmp_ge_i64_e32 vcc_lo, v[14:15], v[16:17]
	s_and_b32 s18, vcc_lo, exec_lo
.LBB930_26:
	s_or_b32 exec_lo, exec_lo, s16
	s_orn2_b32 s16, s18, exec_lo
.LBB930_27:
	s_or_b32 exec_lo, exec_lo, s17
	v_cndmask_b32_e64 v8, v10, v13, s16
	v_cndmask_b32_e64 v11, v25, v19, s16
	s_mov_b32 s17, exec_lo
	v_add_nc_u32_e32 v8, 1, v8
	v_add_nc_u32_e32 v11, -1, v11
	v_cndmask_b32_e64 v10, v8, v10, s16
	v_min_u32_e32 v11, v8, v11
	v_cndmask_b32_e64 v29, v13, v8, s16
	v_lshl_add_u32 v11, v11, 3, v21
	ds_read_b64 v[15:16], v11
	s_waitcnt lgkmcnt(0)
	v_cndmask_b32_e64 v8, v16, v26, s16
	v_cndmask_b32_e64 v14, v15, v9, s16
	;; [unrolled: 1-line block ×4, first 2 shown]
	v_cmpx_lt_u32_e64 v10, v25
	s_cbranch_execz .LBB930_31
; %bb.28:
	s_mov_b32 s18, 0
	s_mov_b32 s0, exec_lo
	v_cmpx_lt_u32_e64 v29, v19
	s_cbranch_execz .LBB930_30
; %bb.29:
	v_mov_b32_e32 v13, 0
	v_mov_b32_e32 v15, v13
	v_ashrrev_i64 v[17:18], 29, v[13:14]
	v_ashrrev_i64 v[30:31], 29, v[15:16]
	v_add_co_u32 v17, vcc_lo, s8, v17
	v_add_co_ci_u32_e64 v18, null, s9, v18, vcc_lo
	v_add_co_u32 v30, vcc_lo, s8, v30
	v_add_co_ci_u32_e64 v31, null, s9, v31, vcc_lo
	s_clause 0x1
	global_load_dwordx2 v[17:18], v[17:18], off
	global_load_dwordx2 v[30:31], v[30:31], off
	s_waitcnt vmcnt(0)
	v_cmp_ge_i64_e32 vcc_lo, v[17:18], v[30:31]
	s_and_b32 s18, vcc_lo, exec_lo
.LBB930_30:
	s_or_b32 exec_lo, exec_lo, s0
	s_orn2_b32 s0, s18, exec_lo
.LBB930_31:
	s_or_b32 exec_lo, exec_lo, s17
	v_cndmask_b32_e64 v11, v10, v29, s0
	v_cndmask_b32_e64 v15, v25, v19, s0
	s_mov_b32 s17, exec_lo
	v_add_nc_u32_e32 v13, 1, v11
	v_add_nc_u32_e32 v11, -1, v15
	v_cndmask_b32_e64 v15, v13, v10, s0
	v_min_u32_e32 v11, v13, v11
	v_lshl_add_u32 v11, v11, 3, v21
	ds_read_b64 v[17:18], v11
	s_waitcnt lgkmcnt(0)
	v_cndmask_b32_e64 v11, v28, v18, s0
	v_cndmask_b32_e64 v10, v16, v17, s0
	v_cmpx_lt_u32_e64 v15, v25
	s_cbranch_execz .LBB930_35
; %bb.32:
	v_cndmask_b32_e64 v13, v29, v13, s0
	v_cndmask_b32_e64 v18, v18, v8, s0
	;; [unrolled: 1-line block ×3, first 2 shown]
	s_mov_b32 s18, exec_lo
	v_cmpx_lt_u32_e64 v13, v19
	s_cbranch_execz .LBB930_34
; %bb.33:
	v_mov_b32_e32 v29, 0
	v_mov_b32_e32 v30, v17
	v_ashrrev_i64 v[31:32], 29, v[29:30]
	v_mov_b32_e32 v30, v10
	v_ashrrev_i64 v[29:30], 29, v[29:30]
	v_add_co_u32 v31, vcc_lo, s8, v31
	v_add_co_ci_u32_e64 v32, null, s9, v32, vcc_lo
	v_add_co_u32 v29, vcc_lo, s8, v29
	v_add_co_ci_u32_e64 v30, null, s9, v30, vcc_lo
	s_clause 0x1
	global_load_dwordx2 v[31:32], v[31:32], off
	global_load_dwordx2 v[29:30], v[29:30], off
	s_waitcnt vmcnt(0)
	v_cmp_lt_i64_e32 vcc_lo, v[31:32], v[29:30]
	v_cndmask_b32_e32 v18, v11, v18, vcc_lo
	v_cndmask_b32_e32 v17, v10, v17, vcc_lo
.LBB930_34:
	s_or_b32 exec_lo, exec_lo, s18
	v_mov_b32_e32 v10, v17
	v_mov_b32_e32 v11, v18
.LBB930_35:
	s_or_b32 exec_lo, exec_lo, s17
	v_cndmask_b32_e64 v5, v7, v5, s15
	v_cndmask_b32_e64 v4, v6, v4, s15
	;; [unrolled: 1-line block ×6, first 2 shown]
.LBB930_36:
	s_or_b32 exec_lo, exec_lo, s1
	v_and_b32_e32 v16, 0x70, v23
	v_and_b32_e32 v13, 12, v23
	s_mov_b32 s0, exec_lo
	; wave barrier
	v_or_b32_e32 v12, 8, v16
	v_min_u32_e32 v17, v22, v13
	v_lshl_add_u32 v15, v16, 3, v21
	ds_write_b128 v24, v[4:7]
	ds_write_b128 v24, v[8:11] offset:16
	v_min_u32_e32 v25, v22, v12
	; wave barrier
	v_add_nc_u32_e32 v12, 8, v25
	v_sub_nc_u32_e32 v13, v25, v16
	v_min_u32_e32 v26, v22, v12
	v_min_u32_e32 v18, v17, v13
	v_sub_nc_u32_e32 v12, v26, v25
	v_sub_nc_u32_e64 v14, v17, v12 clamp
	v_cmpx_lt_u32_e64 v14, v18
	s_cbranch_execz .LBB930_40
; %bb.37:
	v_lshlrev_b32_e32 v12, 3, v25
	v_lshlrev_b32_e32 v13, 3, v17
	s_mov_b32 s1, 0
	v_add3_u32 v19, v21, v12, v13
	v_mov_b32_e32 v12, 0
	s_inst_prefetch 0x1
	.p2align	6
.LBB930_38:                             ; =>This Inner Loop Header: Depth=1
	v_add_nc_u32_e32 v13, v18, v14
	v_lshrrev_b32_e32 v31, 1, v13
	v_not_b32_e32 v13, v31
	v_lshl_add_u32 v29, v31, 3, v15
	v_lshl_add_u32 v13, v13, 3, v19
	ds_read_b32 v13, v13
	s_waitcnt lgkmcnt(0)
	v_ashrrev_i64 v[27:28], 29, v[12:13]
	ds_read_b32 v13, v29
	v_add_co_u32 v27, vcc_lo, s8, v27
	v_add_co_ci_u32_e64 v28, null, s9, v28, vcc_lo
	s_waitcnt lgkmcnt(0)
	v_ashrrev_i64 v[29:30], 29, v[12:13]
	v_add_nc_u32_e32 v13, 1, v31
	v_add_co_u32 v29, vcc_lo, s8, v29
	v_add_co_ci_u32_e64 v30, null, s9, v30, vcc_lo
	s_clause 0x1
	global_load_dwordx2 v[27:28], v[27:28], off
	global_load_dwordx2 v[29:30], v[29:30], off
	s_waitcnt vmcnt(0)
	v_cmp_lt_i64_e32 vcc_lo, v[27:28], v[29:30]
	v_cndmask_b32_e32 v18, v18, v31, vcc_lo
	v_cndmask_b32_e32 v14, v13, v14, vcc_lo
	v_cmp_ge_u32_e32 vcc_lo, v14, v18
	s_or_b32 s1, vcc_lo, s1
	s_andn2_b32 exec_lo, exec_lo, s1
	s_cbranch_execnz .LBB930_38
; %bb.39:
	s_inst_prefetch 0x2
	s_or_b32 exec_lo, exec_lo, s1
.LBB930_40:
	s_or_b32 exec_lo, exec_lo, s0
	v_add_nc_u32_e32 v13, v25, v17
	v_add_nc_u32_e32 v12, v14, v16
	v_sub_nc_u32_e32 v13, v13, v14
	v_cmp_le_u32_e32 vcc_lo, v12, v25
	v_cmp_le_u32_e64 s0, v13, v26
	s_or_b32 s0, vcc_lo, s0
	s_and_saveexec_b32 s1, s0
	s_cbranch_execz .LBB930_60
; %bb.41:
	s_mov_b32 s15, exec_lo
	v_cmp_ge_u32_e32 vcc_lo, v12, v25
                                        ; implicit-def: $vgpr4_vgpr5
	v_cmpx_lt_u32_e64 v12, v25
; %bb.42:
	v_lshl_add_u32 v4, v14, 3, v15
	ds_read_b64 v[4:5], v4
; %bb.43:
	s_or_b32 exec_lo, exec_lo, s15
	v_cmp_ge_u32_e64 s15, v13, v26
	s_mov_b32 s16, exec_lo
                                        ; implicit-def: $vgpr8_vgpr9
	v_cmpx_lt_u32_e64 v13, v26
; %bb.44:
	v_lshl_add_u32 v6, v13, 3, v21
	ds_read_b64 v[8:9], v6
; %bb.45:
	s_or_b32 exec_lo, exec_lo, s16
	s_nor_b32 s16, vcc_lo, s15
	s_and_saveexec_b32 s0, s16
	s_cbranch_execz .LBB930_47
; %bb.46:
	v_mov_b32_e32 v6, 0
	s_waitcnt lgkmcnt(0)
	v_mov_b32_e32 v7, v8
	s_andn2_b32 s15, s15, exec_lo
	v_ashrrev_i64 v[10:11], 29, v[6:7]
	v_mov_b32_e32 v7, v4
	v_ashrrev_i64 v[6:7], 29, v[6:7]
	v_add_co_u32 v10, vcc_lo, s8, v10
	v_add_co_ci_u32_e64 v11, null, s9, v11, vcc_lo
	v_add_co_u32 v6, vcc_lo, s8, v6
	v_add_co_ci_u32_e64 v7, null, s9, v7, vcc_lo
	s_clause 0x1
	global_load_dwordx2 v[10:11], v[10:11], off
	global_load_dwordx2 v[6:7], v[6:7], off
	s_waitcnt vmcnt(0)
	v_cmp_ge_i64_e32 vcc_lo, v[10:11], v[6:7]
	s_and_b32 s16, vcc_lo, exec_lo
	s_or_b32 s15, s15, s16
.LBB930_47:
	s_or_b32 exec_lo, exec_lo, s0
	v_cndmask_b32_e64 v6, v13, v12, s15
	v_cndmask_b32_e64 v7, v26, v25, s15
	s_mov_b32 s0, -1
	s_mov_b32 s16, -1
	s_mov_b32 s17, exec_lo
	v_add_nc_u32_e32 v6, 1, v6
	v_add_nc_u32_e32 v7, -1, v7
	v_cndmask_b32_e64 v14, v6, v13, s15
	v_min_u32_e32 v7, v6, v7
	v_cndmask_b32_e64 v15, v12, v6, s15
	v_lshl_add_u32 v7, v7, 3, v21
	ds_read_b64 v[16:17], v7
	s_waitcnt lgkmcnt(0)
	v_cndmask_b32_e64 v6, v17, v9, s15
	v_cndmask_b32_e64 v11, v16, v8, s15
	;; [unrolled: 1-line block ×4, first 2 shown]
	v_cmpx_lt_u32_e64 v14, v26
	s_cbranch_execz .LBB930_51
; %bb.48:
	s_mov_b32 s18, 0
	s_mov_b32 s16, exec_lo
	v_cmpx_lt_u32_e64 v15, v25
	s_cbranch_execz .LBB930_50
; %bb.49:
	v_mov_b32_e32 v10, 0
	v_mov_b32_e32 v12, v10
	v_ashrrev_i64 v[16:17], 29, v[10:11]
	v_ashrrev_i64 v[18:19], 29, v[12:13]
	v_add_co_u32 v16, vcc_lo, s8, v16
	v_add_co_ci_u32_e64 v17, null, s9, v17, vcc_lo
	v_add_co_u32 v18, vcc_lo, s8, v18
	v_add_co_ci_u32_e64 v19, null, s9, v19, vcc_lo
	s_clause 0x1
	global_load_dwordx2 v[16:17], v[16:17], off
	global_load_dwordx2 v[18:19], v[18:19], off
	s_waitcnt vmcnt(0)
	v_cmp_ge_i64_e32 vcc_lo, v[16:17], v[18:19]
	s_and_b32 s18, vcc_lo, exec_lo
.LBB930_50:
	s_or_b32 exec_lo, exec_lo, s16
	s_orn2_b32 s16, s18, exec_lo
.LBB930_51:
	s_or_b32 exec_lo, exec_lo, s17
	v_cndmask_b32_e64 v10, v14, v15, s16
	v_cndmask_b32_e64 v12, v26, v25, s16
	s_mov_b32 s17, exec_lo
	v_add_nc_u32_e32 v18, 1, v10
	v_add_nc_u32_e32 v10, -1, v12
	v_cndmask_b32_e64 v12, v15, v18, s16
	v_min_u32_e32 v10, v18, v10
	v_lshl_add_u32 v10, v10, 3, v21
	ds_read_b64 v[16:17], v10
	v_cndmask_b32_e64 v10, v18, v14, s16
	s_waitcnt lgkmcnt(0)
	v_cndmask_b32_e64 v27, v17, v6, s16
	v_cndmask_b32_e64 v15, v16, v11, s16
	;; [unrolled: 1-line block ×4, first 2 shown]
	v_cmpx_lt_u32_e64 v10, v26
	s_cbranch_execz .LBB930_55
; %bb.52:
	s_mov_b32 s18, 0
	s_mov_b32 s0, exec_lo
	v_cmpx_lt_u32_e64 v12, v25
	s_cbranch_execz .LBB930_54
; %bb.53:
	v_mov_b32_e32 v14, 0
	v_mov_b32_e32 v16, v14
	v_ashrrev_i64 v[18:19], 29, v[14:15]
	v_ashrrev_i64 v[29:30], 29, v[16:17]
	v_add_co_u32 v18, vcc_lo, s8, v18
	v_add_co_ci_u32_e64 v19, null, s9, v19, vcc_lo
	v_add_co_u32 v29, vcc_lo, s8, v29
	v_add_co_ci_u32_e64 v30, null, s9, v30, vcc_lo
	s_clause 0x1
	global_load_dwordx2 v[18:19], v[18:19], off
	global_load_dwordx2 v[29:30], v[29:30], off
	s_waitcnt vmcnt(0)
	v_cmp_ge_i64_e32 vcc_lo, v[18:19], v[29:30]
	s_and_b32 s18, vcc_lo, exec_lo
.LBB930_54:
	s_or_b32 exec_lo, exec_lo, s0
	s_orn2_b32 s0, s18, exec_lo
.LBB930_55:
	s_or_b32 exec_lo, exec_lo, s17
	v_cndmask_b32_e64 v14, v10, v12, s0
	v_cndmask_b32_e64 v16, v26, v25, s0
	;; [unrolled: 1-line block ×5, first 2 shown]
	v_add_nc_u32_e32 v14, 1, v14
	v_add_nc_u32_e32 v16, -1, v16
	v_cndmask_b32_e64 v4, v8, v4, s15
	v_cndmask_b32_e64 v9, v27, v28, s0
	;; [unrolled: 1-line block ×4, first 2 shown]
	v_min_u32_e32 v16, v14, v16
	s_mov_b32 s15, exec_lo
	v_lshl_add_u32 v16, v16, 3, v21
	ds_read_b64 v[18:19], v16
	s_waitcnt lgkmcnt(0)
	v_cndmask_b32_e64 v11, v28, v19, s0
	v_cndmask_b32_e64 v10, v17, v18, s0
	v_cmpx_lt_u32_e64 v13, v26
	s_cbranch_execz .LBB930_59
; %bb.56:
	v_cndmask_b32_e64 v14, v12, v14, s0
	v_cndmask_b32_e64 v13, v19, v27, s0
	;; [unrolled: 1-line block ×3, first 2 shown]
	s_mov_b32 s0, exec_lo
	v_cmpx_lt_u32_e64 v14, v25
	s_cbranch_execz .LBB930_58
; %bb.57:
	v_mov_b32_e32 v14, 0
	v_mov_b32_e32 v15, v12
	v_ashrrev_i64 v[16:17], 29, v[14:15]
	v_mov_b32_e32 v15, v10
	v_ashrrev_i64 v[14:15], 29, v[14:15]
	v_add_co_u32 v16, vcc_lo, s8, v16
	v_add_co_ci_u32_e64 v17, null, s9, v17, vcc_lo
	v_add_co_u32 v14, vcc_lo, s8, v14
	v_add_co_ci_u32_e64 v15, null, s9, v15, vcc_lo
	s_clause 0x1
	global_load_dwordx2 v[16:17], v[16:17], off
	global_load_dwordx2 v[14:15], v[14:15], off
	s_waitcnt vmcnt(0)
	v_cmp_lt_i64_e32 vcc_lo, v[16:17], v[14:15]
	v_cndmask_b32_e32 v13, v11, v13, vcc_lo
	v_cndmask_b32_e32 v12, v10, v12, vcc_lo
.LBB930_58:
	s_or_b32 exec_lo, exec_lo, s0
	v_mov_b32_e32 v10, v12
	v_mov_b32_e32 v11, v13
.LBB930_59:
	s_or_b32 exec_lo, exec_lo, s15
.LBB930_60:
	s_or_b32 exec_lo, exec_lo, s1
	v_and_b32_e32 v16, 0x60, v23
	v_and_b32_e32 v13, 28, v23
	s_mov_b32 s0, exec_lo
	; wave barrier
	v_or_b32_e32 v12, 16, v16
	v_min_u32_e32 v17, v22, v13
	v_lshl_add_u32 v15, v16, 3, v21
	ds_write_b128 v24, v[4:7]
	ds_write_b128 v24, v[8:11] offset:16
	v_min_u32_e32 v25, v22, v12
	; wave barrier
	v_add_nc_u32_e32 v12, 16, v25
	v_sub_nc_u32_e32 v13, v25, v16
	v_min_u32_e32 v26, v22, v12
	v_min_u32_e32 v18, v17, v13
	v_sub_nc_u32_e32 v12, v26, v25
	v_sub_nc_u32_e64 v14, v17, v12 clamp
	v_cmpx_lt_u32_e64 v14, v18
	s_cbranch_execz .LBB930_64
; %bb.61:
	v_lshlrev_b32_e32 v12, 3, v25
	v_lshlrev_b32_e32 v13, 3, v17
	s_mov_b32 s1, 0
	v_add3_u32 v19, v21, v12, v13
	v_mov_b32_e32 v12, 0
	s_inst_prefetch 0x1
	.p2align	6
.LBB930_62:                             ; =>This Inner Loop Header: Depth=1
	v_add_nc_u32_e32 v13, v18, v14
	v_lshrrev_b32_e32 v31, 1, v13
	v_not_b32_e32 v13, v31
	v_lshl_add_u32 v29, v31, 3, v15
	v_lshl_add_u32 v13, v13, 3, v19
	ds_read_b32 v13, v13
	s_waitcnt lgkmcnt(0)
	v_ashrrev_i64 v[27:28], 29, v[12:13]
	ds_read_b32 v13, v29
	v_add_co_u32 v27, vcc_lo, s8, v27
	v_add_co_ci_u32_e64 v28, null, s9, v28, vcc_lo
	s_waitcnt lgkmcnt(0)
	v_ashrrev_i64 v[29:30], 29, v[12:13]
	v_add_nc_u32_e32 v13, 1, v31
	v_add_co_u32 v29, vcc_lo, s8, v29
	v_add_co_ci_u32_e64 v30, null, s9, v30, vcc_lo
	s_clause 0x1
	global_load_dwordx2 v[27:28], v[27:28], off
	global_load_dwordx2 v[29:30], v[29:30], off
	s_waitcnt vmcnt(0)
	v_cmp_lt_i64_e32 vcc_lo, v[27:28], v[29:30]
	v_cndmask_b32_e32 v18, v18, v31, vcc_lo
	v_cndmask_b32_e32 v14, v13, v14, vcc_lo
	v_cmp_ge_u32_e32 vcc_lo, v14, v18
	s_or_b32 s1, vcc_lo, s1
	s_andn2_b32 exec_lo, exec_lo, s1
	s_cbranch_execnz .LBB930_62
; %bb.63:
	s_inst_prefetch 0x2
	s_or_b32 exec_lo, exec_lo, s1
.LBB930_64:
	s_or_b32 exec_lo, exec_lo, s0
	v_add_nc_u32_e32 v13, v25, v17
	v_add_nc_u32_e32 v12, v14, v16
	v_sub_nc_u32_e32 v13, v13, v14
	v_cmp_le_u32_e32 vcc_lo, v12, v25
	v_cmp_le_u32_e64 s0, v13, v26
	s_or_b32 s0, vcc_lo, s0
	s_and_saveexec_b32 s1, s0
	s_cbranch_execz .LBB930_84
; %bb.65:
	s_mov_b32 s15, exec_lo
	v_cmp_ge_u32_e32 vcc_lo, v12, v25
                                        ; implicit-def: $vgpr4_vgpr5
	v_cmpx_lt_u32_e64 v12, v25
; %bb.66:
	v_lshl_add_u32 v4, v14, 3, v15
	ds_read_b64 v[4:5], v4
; %bb.67:
	s_or_b32 exec_lo, exec_lo, s15
	v_cmp_ge_u32_e64 s15, v13, v26
	s_mov_b32 s16, exec_lo
                                        ; implicit-def: $vgpr8_vgpr9
	v_cmpx_lt_u32_e64 v13, v26
; %bb.68:
	v_lshl_add_u32 v6, v13, 3, v21
	ds_read_b64 v[8:9], v6
; %bb.69:
	s_or_b32 exec_lo, exec_lo, s16
	s_nor_b32 s16, vcc_lo, s15
	s_and_saveexec_b32 s0, s16
	s_cbranch_execz .LBB930_71
; %bb.70:
	v_mov_b32_e32 v6, 0
	s_waitcnt lgkmcnt(0)
	v_mov_b32_e32 v7, v8
	s_andn2_b32 s15, s15, exec_lo
	v_ashrrev_i64 v[10:11], 29, v[6:7]
	v_mov_b32_e32 v7, v4
	v_ashrrev_i64 v[6:7], 29, v[6:7]
	v_add_co_u32 v10, vcc_lo, s8, v10
	v_add_co_ci_u32_e64 v11, null, s9, v11, vcc_lo
	v_add_co_u32 v6, vcc_lo, s8, v6
	v_add_co_ci_u32_e64 v7, null, s9, v7, vcc_lo
	s_clause 0x1
	global_load_dwordx2 v[10:11], v[10:11], off
	global_load_dwordx2 v[6:7], v[6:7], off
	s_waitcnt vmcnt(0)
	v_cmp_ge_i64_e32 vcc_lo, v[10:11], v[6:7]
	s_and_b32 s16, vcc_lo, exec_lo
	s_or_b32 s15, s15, s16
.LBB930_71:
	s_or_b32 exec_lo, exec_lo, s0
	v_cndmask_b32_e64 v6, v13, v12, s15
	v_cndmask_b32_e64 v7, v26, v25, s15
	s_mov_b32 s0, -1
	s_mov_b32 s16, -1
	s_mov_b32 s17, exec_lo
	v_add_nc_u32_e32 v6, 1, v6
	v_add_nc_u32_e32 v7, -1, v7
	v_cndmask_b32_e64 v14, v6, v13, s15
	v_min_u32_e32 v7, v6, v7
	v_cndmask_b32_e64 v15, v12, v6, s15
	v_lshl_add_u32 v7, v7, 3, v21
	ds_read_b64 v[16:17], v7
	s_waitcnt lgkmcnt(0)
	v_cndmask_b32_e64 v6, v17, v9, s15
	v_cndmask_b32_e64 v11, v16, v8, s15
	;; [unrolled: 1-line block ×4, first 2 shown]
	v_cmpx_lt_u32_e64 v14, v26
	s_cbranch_execz .LBB930_75
; %bb.72:
	s_mov_b32 s18, 0
	s_mov_b32 s16, exec_lo
	v_cmpx_lt_u32_e64 v15, v25
	s_cbranch_execz .LBB930_74
; %bb.73:
	v_mov_b32_e32 v10, 0
	v_mov_b32_e32 v12, v10
	v_ashrrev_i64 v[16:17], 29, v[10:11]
	v_ashrrev_i64 v[18:19], 29, v[12:13]
	v_add_co_u32 v16, vcc_lo, s8, v16
	v_add_co_ci_u32_e64 v17, null, s9, v17, vcc_lo
	v_add_co_u32 v18, vcc_lo, s8, v18
	v_add_co_ci_u32_e64 v19, null, s9, v19, vcc_lo
	s_clause 0x1
	global_load_dwordx2 v[16:17], v[16:17], off
	global_load_dwordx2 v[18:19], v[18:19], off
	s_waitcnt vmcnt(0)
	v_cmp_ge_i64_e32 vcc_lo, v[16:17], v[18:19]
	s_and_b32 s18, vcc_lo, exec_lo
.LBB930_74:
	s_or_b32 exec_lo, exec_lo, s16
	s_orn2_b32 s16, s18, exec_lo
.LBB930_75:
	s_or_b32 exec_lo, exec_lo, s17
	v_cndmask_b32_e64 v10, v14, v15, s16
	v_cndmask_b32_e64 v12, v26, v25, s16
	s_mov_b32 s17, exec_lo
	v_add_nc_u32_e32 v18, 1, v10
	v_add_nc_u32_e32 v10, -1, v12
	v_cndmask_b32_e64 v12, v15, v18, s16
	v_min_u32_e32 v10, v18, v10
	v_lshl_add_u32 v10, v10, 3, v21
	ds_read_b64 v[16:17], v10
	v_cndmask_b32_e64 v10, v18, v14, s16
	s_waitcnt lgkmcnt(0)
	v_cndmask_b32_e64 v27, v17, v6, s16
	v_cndmask_b32_e64 v15, v16, v11, s16
	;; [unrolled: 1-line block ×4, first 2 shown]
	v_cmpx_lt_u32_e64 v10, v26
	s_cbranch_execz .LBB930_79
; %bb.76:
	s_mov_b32 s18, 0
	s_mov_b32 s0, exec_lo
	v_cmpx_lt_u32_e64 v12, v25
	s_cbranch_execz .LBB930_78
; %bb.77:
	v_mov_b32_e32 v14, 0
	v_mov_b32_e32 v16, v14
	v_ashrrev_i64 v[18:19], 29, v[14:15]
	v_ashrrev_i64 v[29:30], 29, v[16:17]
	v_add_co_u32 v18, vcc_lo, s8, v18
	v_add_co_ci_u32_e64 v19, null, s9, v19, vcc_lo
	v_add_co_u32 v29, vcc_lo, s8, v29
	v_add_co_ci_u32_e64 v30, null, s9, v30, vcc_lo
	s_clause 0x1
	global_load_dwordx2 v[18:19], v[18:19], off
	global_load_dwordx2 v[29:30], v[29:30], off
	s_waitcnt vmcnt(0)
	v_cmp_ge_i64_e32 vcc_lo, v[18:19], v[29:30]
	s_and_b32 s18, vcc_lo, exec_lo
.LBB930_78:
	s_or_b32 exec_lo, exec_lo, s0
	s_orn2_b32 s0, s18, exec_lo
.LBB930_79:
	s_or_b32 exec_lo, exec_lo, s17
	v_cndmask_b32_e64 v14, v10, v12, s0
	v_cndmask_b32_e64 v16, v26, v25, s0
	;; [unrolled: 1-line block ×5, first 2 shown]
	v_add_nc_u32_e32 v14, 1, v14
	v_add_nc_u32_e32 v16, -1, v16
	v_cndmask_b32_e64 v4, v8, v4, s15
	v_cndmask_b32_e64 v9, v27, v28, s0
	;; [unrolled: 1-line block ×4, first 2 shown]
	v_min_u32_e32 v16, v14, v16
	s_mov_b32 s15, exec_lo
	v_lshl_add_u32 v16, v16, 3, v21
	ds_read_b64 v[18:19], v16
	s_waitcnt lgkmcnt(0)
	v_cndmask_b32_e64 v11, v28, v19, s0
	v_cndmask_b32_e64 v10, v17, v18, s0
	v_cmpx_lt_u32_e64 v13, v26
	s_cbranch_execz .LBB930_83
; %bb.80:
	v_cndmask_b32_e64 v14, v12, v14, s0
	v_cndmask_b32_e64 v13, v19, v27, s0
	;; [unrolled: 1-line block ×3, first 2 shown]
	s_mov_b32 s0, exec_lo
	v_cmpx_lt_u32_e64 v14, v25
	s_cbranch_execz .LBB930_82
; %bb.81:
	v_mov_b32_e32 v14, 0
	v_mov_b32_e32 v15, v12
	v_ashrrev_i64 v[16:17], 29, v[14:15]
	v_mov_b32_e32 v15, v10
	v_ashrrev_i64 v[14:15], 29, v[14:15]
	v_add_co_u32 v16, vcc_lo, s8, v16
	v_add_co_ci_u32_e64 v17, null, s9, v17, vcc_lo
	v_add_co_u32 v14, vcc_lo, s8, v14
	v_add_co_ci_u32_e64 v15, null, s9, v15, vcc_lo
	s_clause 0x1
	global_load_dwordx2 v[16:17], v[16:17], off
	global_load_dwordx2 v[14:15], v[14:15], off
	s_waitcnt vmcnt(0)
	v_cmp_lt_i64_e32 vcc_lo, v[16:17], v[14:15]
	v_cndmask_b32_e32 v13, v11, v13, vcc_lo
	v_cndmask_b32_e32 v12, v10, v12, vcc_lo
.LBB930_82:
	s_or_b32 exec_lo, exec_lo, s0
	v_mov_b32_e32 v10, v12
	v_mov_b32_e32 v11, v13
.LBB930_83:
	s_or_b32 exec_lo, exec_lo, s15
.LBB930_84:
	s_or_b32 exec_lo, exec_lo, s1
	v_and_b32_e32 v16, 64, v23
	v_and_b32_e32 v13, 60, v23
	s_mov_b32 s0, exec_lo
	; wave barrier
	v_or_b32_e32 v12, 32, v16
	v_min_u32_e32 v17, v22, v13
	v_lshl_add_u32 v15, v16, 3, v21
	ds_write_b128 v24, v[4:7]
	ds_write_b128 v24, v[8:11] offset:16
	v_min_u32_e32 v25, v22, v12
	; wave barrier
	v_add_nc_u32_e32 v12, 32, v25
	v_sub_nc_u32_e32 v13, v25, v16
	v_min_u32_e32 v23, v22, v12
	v_min_u32_e32 v18, v17, v13
	v_sub_nc_u32_e32 v12, v23, v25
	v_sub_nc_u32_e64 v14, v17, v12 clamp
	v_cmpx_lt_u32_e64 v14, v18
	s_cbranch_execz .LBB930_88
; %bb.85:
	v_lshlrev_b32_e32 v12, 3, v25
	v_lshlrev_b32_e32 v13, 3, v17
	s_mov_b32 s1, 0
	v_add3_u32 v19, v21, v12, v13
	v_mov_b32_e32 v12, 0
	s_inst_prefetch 0x1
	.p2align	6
.LBB930_86:                             ; =>This Inner Loop Header: Depth=1
	v_add_nc_u32_e32 v13, v18, v14
	v_lshrrev_b32_e32 v22, 1, v13
	v_not_b32_e32 v13, v22
	v_lshl_add_u32 v24, v22, 3, v15
	v_lshl_add_u32 v13, v13, 3, v19
	ds_read_b32 v13, v13
	s_waitcnt lgkmcnt(0)
	v_ashrrev_i64 v[26:27], 29, v[12:13]
	ds_read_b32 v13, v24
	v_add_co_u32 v26, vcc_lo, s8, v26
	v_add_co_ci_u32_e64 v27, null, s9, v27, vcc_lo
	s_waitcnt lgkmcnt(0)
	v_ashrrev_i64 v[28:29], 29, v[12:13]
	v_add_nc_u32_e32 v13, 1, v22
	v_add_co_u32 v28, vcc_lo, s8, v28
	v_add_co_ci_u32_e64 v29, null, s9, v29, vcc_lo
	s_clause 0x1
	global_load_dwordx2 v[26:27], v[26:27], off
	global_load_dwordx2 v[28:29], v[28:29], off
	s_waitcnt vmcnt(0)
	v_cmp_lt_i64_e32 vcc_lo, v[26:27], v[28:29]
	v_cndmask_b32_e32 v18, v18, v22, vcc_lo
	v_cndmask_b32_e32 v14, v13, v14, vcc_lo
	v_cmp_ge_u32_e32 vcc_lo, v14, v18
	s_or_b32 s1, vcc_lo, s1
	s_andn2_b32 exec_lo, exec_lo, s1
	s_cbranch_execnz .LBB930_86
; %bb.87:
	s_inst_prefetch 0x2
	s_or_b32 exec_lo, exec_lo, s1
.LBB930_88:
	s_or_b32 exec_lo, exec_lo, s0
	v_add_nc_u32_e32 v13, v25, v17
	v_add_nc_u32_e32 v12, v14, v16
	v_sub_nc_u32_e32 v13, v13, v14
	v_cmp_le_u32_e32 vcc_lo, v12, v25
	v_cmp_le_u32_e64 s0, v13, v23
	s_or_b32 s0, vcc_lo, s0
	s_and_saveexec_b32 s1, s0
	s_cbranch_execz .LBB930_108
; %bb.89:
	s_mov_b32 s15, exec_lo
	v_cmp_ge_u32_e32 vcc_lo, v12, v25
                                        ; implicit-def: $vgpr4_vgpr5
	v_cmpx_lt_u32_e64 v12, v25
; %bb.90:
	v_lshl_add_u32 v4, v14, 3, v15
	ds_read_b64 v[4:5], v4
; %bb.91:
	s_or_b32 exec_lo, exec_lo, s15
	v_cmp_ge_u32_e64 s15, v13, v23
	s_mov_b32 s16, exec_lo
                                        ; implicit-def: $vgpr8_vgpr9
	v_cmpx_lt_u32_e64 v13, v23
; %bb.92:
	v_lshl_add_u32 v6, v13, 3, v21
	ds_read_b64 v[8:9], v6
; %bb.93:
	s_or_b32 exec_lo, exec_lo, s16
	s_nor_b32 s16, vcc_lo, s15
	s_and_saveexec_b32 s0, s16
	s_cbranch_execz .LBB930_95
; %bb.94:
	v_mov_b32_e32 v6, 0
	s_waitcnt lgkmcnt(0)
	v_mov_b32_e32 v7, v8
	s_andn2_b32 s15, s15, exec_lo
	v_ashrrev_i64 v[10:11], 29, v[6:7]
	v_mov_b32_e32 v7, v4
	v_ashrrev_i64 v[6:7], 29, v[6:7]
	v_add_co_u32 v10, vcc_lo, s8, v10
	v_add_co_ci_u32_e64 v11, null, s9, v11, vcc_lo
	v_add_co_u32 v6, vcc_lo, s8, v6
	v_add_co_ci_u32_e64 v7, null, s9, v7, vcc_lo
	s_clause 0x1
	global_load_dwordx2 v[10:11], v[10:11], off
	global_load_dwordx2 v[6:7], v[6:7], off
	s_waitcnt vmcnt(0)
	v_cmp_ge_i64_e32 vcc_lo, v[10:11], v[6:7]
	s_and_b32 s16, vcc_lo, exec_lo
	s_or_b32 s15, s15, s16
.LBB930_95:
	s_or_b32 exec_lo, exec_lo, s0
	v_cndmask_b32_e64 v6, v13, v12, s15
	v_cndmask_b32_e64 v7, v23, v25, s15
	s_mov_b32 s0, -1
	s_mov_b32 s16, -1
	s_mov_b32 s17, exec_lo
	v_add_nc_u32_e32 v6, 1, v6
	v_add_nc_u32_e32 v7, -1, v7
	v_cndmask_b32_e64 v14, v6, v13, s15
	v_min_u32_e32 v7, v6, v7
	v_cndmask_b32_e64 v15, v12, v6, s15
	v_lshl_add_u32 v7, v7, 3, v21
	ds_read_b64 v[16:17], v7
	s_waitcnt lgkmcnt(0)
	v_cndmask_b32_e64 v6, v17, v9, s15
	v_cndmask_b32_e64 v11, v16, v8, s15
	;; [unrolled: 1-line block ×4, first 2 shown]
	v_cmpx_lt_u32_e64 v14, v23
	s_cbranch_execz .LBB930_99
; %bb.96:
	s_mov_b32 s18, 0
	s_mov_b32 s16, exec_lo
	v_cmpx_lt_u32_e64 v15, v25
	s_cbranch_execz .LBB930_98
; %bb.97:
	v_mov_b32_e32 v10, 0
	v_mov_b32_e32 v12, v10
	v_ashrrev_i64 v[16:17], 29, v[10:11]
	v_ashrrev_i64 v[18:19], 29, v[12:13]
	v_add_co_u32 v16, vcc_lo, s8, v16
	v_add_co_ci_u32_e64 v17, null, s9, v17, vcc_lo
	v_add_co_u32 v18, vcc_lo, s8, v18
	v_add_co_ci_u32_e64 v19, null, s9, v19, vcc_lo
	s_clause 0x1
	global_load_dwordx2 v[16:17], v[16:17], off
	global_load_dwordx2 v[18:19], v[18:19], off
	s_waitcnt vmcnt(0)
	v_cmp_ge_i64_e32 vcc_lo, v[16:17], v[18:19]
	s_and_b32 s18, vcc_lo, exec_lo
.LBB930_98:
	s_or_b32 exec_lo, exec_lo, s16
	s_orn2_b32 s16, s18, exec_lo
.LBB930_99:
	s_or_b32 exec_lo, exec_lo, s17
	v_cndmask_b32_e64 v10, v14, v15, s16
	v_cndmask_b32_e64 v12, v23, v25, s16
	s_mov_b32 s17, exec_lo
	v_add_nc_u32_e32 v18, 1, v10
	v_add_nc_u32_e32 v10, -1, v12
	v_cndmask_b32_e64 v12, v15, v18, s16
	v_min_u32_e32 v10, v18, v10
	v_lshl_add_u32 v10, v10, 3, v21
	ds_read_b64 v[16:17], v10
	v_cndmask_b32_e64 v10, v18, v14, s16
	s_waitcnt lgkmcnt(0)
	v_cndmask_b32_e64 v22, v17, v6, s16
	v_cndmask_b32_e64 v15, v16, v11, s16
	;; [unrolled: 1-line block ×4, first 2 shown]
	v_cmpx_lt_u32_e64 v10, v23
	s_cbranch_execz .LBB930_103
; %bb.100:
	s_mov_b32 s18, 0
	s_mov_b32 s0, exec_lo
	v_cmpx_lt_u32_e64 v12, v25
	s_cbranch_execz .LBB930_102
; %bb.101:
	v_mov_b32_e32 v14, 0
	v_mov_b32_e32 v16, v14
	v_ashrrev_i64 v[18:19], 29, v[14:15]
	v_ashrrev_i64 v[26:27], 29, v[16:17]
	v_add_co_u32 v18, vcc_lo, s8, v18
	v_add_co_ci_u32_e64 v19, null, s9, v19, vcc_lo
	v_add_co_u32 v26, vcc_lo, s8, v26
	v_add_co_ci_u32_e64 v27, null, s9, v27, vcc_lo
	s_clause 0x1
	global_load_dwordx2 v[18:19], v[18:19], off
	global_load_dwordx2 v[26:27], v[26:27], off
	s_waitcnt vmcnt(0)
	v_cmp_ge_i64_e32 vcc_lo, v[18:19], v[26:27]
	s_and_b32 s18, vcc_lo, exec_lo
.LBB930_102:
	s_or_b32 exec_lo, exec_lo, s0
	s_orn2_b32 s0, s18, exec_lo
.LBB930_103:
	s_or_b32 exec_lo, exec_lo, s17
	v_cndmask_b32_e64 v14, v10, v12, s0
	v_cndmask_b32_e64 v16, v23, v25, s0
	;; [unrolled: 1-line block ×5, first 2 shown]
	v_add_nc_u32_e32 v14, 1, v14
	v_add_nc_u32_e32 v16, -1, v16
	v_cndmask_b32_e64 v4, v8, v4, s15
	v_cndmask_b32_e64 v9, v22, v24, s0
	v_cndmask_b32_e64 v8, v15, v17, s0
	v_cndmask_b32_e64 v13, v14, v10, s0
	v_min_u32_e32 v16, v14, v16
	s_mov_b32 s15, exec_lo
	v_lshl_add_u32 v16, v16, 3, v21
	ds_read_b64 v[18:19], v16
	s_waitcnt lgkmcnt(0)
	v_cndmask_b32_e64 v11, v24, v19, s0
	v_cndmask_b32_e64 v10, v17, v18, s0
	v_cmpx_lt_u32_e64 v13, v23
	s_cbranch_execz .LBB930_107
; %bb.104:
	v_cndmask_b32_e64 v14, v12, v14, s0
	v_cndmask_b32_e64 v13, v19, v22, s0
	;; [unrolled: 1-line block ×3, first 2 shown]
	s_mov_b32 s0, exec_lo
	v_cmpx_lt_u32_e64 v14, v25
	s_cbranch_execz .LBB930_106
; %bb.105:
	v_mov_b32_e32 v14, 0
	v_mov_b32_e32 v15, v12
	v_ashrrev_i64 v[16:17], 29, v[14:15]
	v_mov_b32_e32 v15, v10
	v_ashrrev_i64 v[14:15], 29, v[14:15]
	v_add_co_u32 v16, vcc_lo, s8, v16
	v_add_co_ci_u32_e64 v17, null, s9, v17, vcc_lo
	v_add_co_u32 v14, vcc_lo, s8, v14
	v_add_co_ci_u32_e64 v15, null, s9, v15, vcc_lo
	s_clause 0x1
	global_load_dwordx2 v[16:17], v[16:17], off
	global_load_dwordx2 v[14:15], v[14:15], off
	s_waitcnt vmcnt(0)
	v_cmp_lt_i64_e32 vcc_lo, v[16:17], v[14:15]
	v_cndmask_b32_e32 v13, v11, v13, vcc_lo
	v_cndmask_b32_e32 v12, v10, v12, vcc_lo
.LBB930_106:
	s_or_b32 exec_lo, exec_lo, s0
	v_mov_b32_e32 v10, v12
	v_mov_b32_e32 v11, v13
.LBB930_107:
	s_or_b32 exec_lo, exec_lo, s15
.LBB930_108:
	s_or_b32 exec_lo, exec_lo, s1
	v_and_b32_e32 v16, 0x380, v20
	v_and_b32_e32 v17, 0x7c, v20
	v_lshlrev_b32_e32 v21, 3, v20
	s_mov_b32 s0, exec_lo
	v_or_b32_e32 v22, 64, v16
	v_add_nc_u32_e32 v23, 0x80, v16
	v_lshlrev_b32_e32 v15, 3, v16
	; wave barrier
	s_waitcnt lgkmcnt(0)
	v_sub_nc_u32_e32 v13, v22, v16
	v_sub_nc_u32_e32 v12, v23, v22
	s_barrier
	buffer_gl0_inv
	ds_write_b128 v21, v[4:7]
	v_min_u32_e32 v18, v17, v13
	v_sub_nc_u32_e64 v14, v17, v12 clamp
	ds_write_b128 v21, v[8:11] offset:16
	s_waitcnt lgkmcnt(0)
	s_barrier
	buffer_gl0_inv
	v_cmpx_lt_u32_e64 v14, v18
	s_cbranch_execz .LBB930_112
; %bb.109:
	v_lshlrev_b32_e32 v12, 3, v17
	s_mov_b32 s1, 0
	v_lshl_add_u32 v19, v22, 3, v12
	v_mov_b32_e32 v12, 0
	s_inst_prefetch 0x1
	.p2align	6
.LBB930_110:                            ; =>This Inner Loop Header: Depth=1
	v_add_nc_u32_e32 v13, v18, v14
	v_lshrrev_b32_e32 v28, 1, v13
	v_not_b32_e32 v13, v28
	v_lshl_add_u32 v26, v28, 3, v15
	v_lshl_add_u32 v13, v13, 3, v19
	ds_read_b32 v13, v13
	s_waitcnt lgkmcnt(0)
	v_ashrrev_i64 v[24:25], 29, v[12:13]
	ds_read_b32 v13, v26
	v_add_co_u32 v24, vcc_lo, s8, v24
	v_add_co_ci_u32_e64 v25, null, s9, v25, vcc_lo
	s_waitcnt lgkmcnt(0)
	v_ashrrev_i64 v[26:27], 29, v[12:13]
	v_add_nc_u32_e32 v13, 1, v28
	v_add_co_u32 v26, vcc_lo, s8, v26
	v_add_co_ci_u32_e64 v27, null, s9, v27, vcc_lo
	s_clause 0x1
	global_load_dwordx2 v[24:25], v[24:25], off
	global_load_dwordx2 v[26:27], v[26:27], off
	s_waitcnt vmcnt(0)
	v_cmp_lt_i64_e32 vcc_lo, v[24:25], v[26:27]
	v_cndmask_b32_e32 v18, v18, v28, vcc_lo
	v_cndmask_b32_e32 v14, v13, v14, vcc_lo
	v_cmp_ge_u32_e32 vcc_lo, v14, v18
	s_or_b32 s1, vcc_lo, s1
	s_andn2_b32 exec_lo, exec_lo, s1
	s_cbranch_execnz .LBB930_110
; %bb.111:
	s_inst_prefetch 0x2
	s_or_b32 exec_lo, exec_lo, s1
.LBB930_112:
	s_or_b32 exec_lo, exec_lo, s0
	v_sub_nc_u32_e32 v13, v17, v14
	v_add_nc_u32_e32 v12, v14, v16
	v_add_nc_u32_e32 v13, v13, v22
	v_cmp_le_u32_e32 vcc_lo, v12, v22
	v_cmp_le_u32_e64 s0, v13, v23
	s_or_b32 s0, vcc_lo, s0
	s_and_saveexec_b32 s1, s0
	s_cbranch_execz .LBB930_132
; %bb.113:
	s_mov_b32 s15, exec_lo
	v_cmp_ge_u32_e32 vcc_lo, v12, v22
                                        ; implicit-def: $vgpr4_vgpr5
	v_cmpx_lt_u32_e64 v12, v22
; %bb.114:
	v_lshl_add_u32 v4, v14, 3, v15
	ds_read_b64 v[4:5], v4
; %bb.115:
	s_or_b32 exec_lo, exec_lo, s15
	v_cmp_ge_u32_e64 s15, v13, v23
	s_mov_b32 s16, exec_lo
                                        ; implicit-def: $vgpr8_vgpr9
	v_cmpx_lt_u32_e64 v13, v23
; %bb.116:
	v_lshlrev_b32_e32 v6, 3, v13
	ds_read_b64 v[8:9], v6
; %bb.117:
	s_or_b32 exec_lo, exec_lo, s16
	s_nor_b32 s16, vcc_lo, s15
	s_and_saveexec_b32 s0, s16
	s_cbranch_execz .LBB930_119
; %bb.118:
	v_mov_b32_e32 v6, 0
	s_waitcnt lgkmcnt(0)
	v_mov_b32_e32 v7, v8
	s_andn2_b32 s15, s15, exec_lo
	v_ashrrev_i64 v[10:11], 29, v[6:7]
	v_mov_b32_e32 v7, v4
	v_ashrrev_i64 v[6:7], 29, v[6:7]
	v_add_co_u32 v10, vcc_lo, s8, v10
	v_add_co_ci_u32_e64 v11, null, s9, v11, vcc_lo
	v_add_co_u32 v6, vcc_lo, s8, v6
	v_add_co_ci_u32_e64 v7, null, s9, v7, vcc_lo
	s_clause 0x1
	global_load_dwordx2 v[10:11], v[10:11], off
	global_load_dwordx2 v[6:7], v[6:7], off
	s_waitcnt vmcnt(0)
	v_cmp_ge_i64_e32 vcc_lo, v[10:11], v[6:7]
	s_and_b32 s16, vcc_lo, exec_lo
	s_or_b32 s15, s15, s16
.LBB930_119:
	s_or_b32 exec_lo, exec_lo, s0
	v_cndmask_b32_e64 v6, v13, v12, s15
	v_cndmask_b32_e64 v7, v23, v22, s15
	s_mov_b32 s0, -1
	s_mov_b32 s16, -1
	s_mov_b32 s17, exec_lo
	v_add_nc_u32_e32 v6, 1, v6
	v_add_nc_u32_e32 v7, -1, v7
	v_cndmask_b32_e64 v14, v6, v13, s15
	v_min_u32_e32 v7, v6, v7
	v_cndmask_b32_e64 v15, v12, v6, s15
	v_lshlrev_b32_e32 v7, 3, v7
	ds_read_b64 v[16:17], v7
	s_waitcnt lgkmcnt(0)
	v_cndmask_b32_e64 v6, v17, v9, s15
	v_cndmask_b32_e64 v11, v16, v8, s15
	;; [unrolled: 1-line block ×4, first 2 shown]
	v_cmpx_lt_u32_e64 v14, v23
	s_cbranch_execz .LBB930_123
; %bb.120:
	s_mov_b32 s18, 0
	s_mov_b32 s16, exec_lo
	v_cmpx_lt_u32_e64 v15, v22
	s_cbranch_execz .LBB930_122
; %bb.121:
	v_mov_b32_e32 v10, 0
	v_mov_b32_e32 v12, v10
	v_ashrrev_i64 v[16:17], 29, v[10:11]
	v_ashrrev_i64 v[18:19], 29, v[12:13]
	v_add_co_u32 v16, vcc_lo, s8, v16
	v_add_co_ci_u32_e64 v17, null, s9, v17, vcc_lo
	v_add_co_u32 v18, vcc_lo, s8, v18
	v_add_co_ci_u32_e64 v19, null, s9, v19, vcc_lo
	s_clause 0x1
	global_load_dwordx2 v[16:17], v[16:17], off
	global_load_dwordx2 v[18:19], v[18:19], off
	s_waitcnt vmcnt(0)
	v_cmp_ge_i64_e32 vcc_lo, v[16:17], v[18:19]
	s_and_b32 s18, vcc_lo, exec_lo
.LBB930_122:
	s_or_b32 exec_lo, exec_lo, s16
	s_orn2_b32 s16, s18, exec_lo
.LBB930_123:
	s_or_b32 exec_lo, exec_lo, s17
	v_cndmask_b32_e64 v10, v14, v15, s16
	v_cndmask_b32_e64 v12, v23, v22, s16
	s_mov_b32 s17, exec_lo
	v_add_nc_u32_e32 v18, 1, v10
	v_add_nc_u32_e32 v10, -1, v12
	v_cndmask_b32_e64 v12, v15, v18, s16
	v_min_u32_e32 v10, v18, v10
	v_lshlrev_b32_e32 v10, 3, v10
	ds_read_b64 v[16:17], v10
	v_cndmask_b32_e64 v10, v18, v14, s16
	s_waitcnt lgkmcnt(0)
	v_cndmask_b32_e64 v24, v17, v6, s16
	v_cndmask_b32_e64 v15, v16, v11, s16
	;; [unrolled: 1-line block ×4, first 2 shown]
	v_cmpx_lt_u32_e64 v10, v23
	s_cbranch_execz .LBB930_127
; %bb.124:
	s_mov_b32 s18, 0
	s_mov_b32 s0, exec_lo
	v_cmpx_lt_u32_e64 v12, v22
	s_cbranch_execz .LBB930_126
; %bb.125:
	v_mov_b32_e32 v14, 0
	v_mov_b32_e32 v16, v14
	v_ashrrev_i64 v[18:19], 29, v[14:15]
	v_ashrrev_i64 v[26:27], 29, v[16:17]
	v_add_co_u32 v18, vcc_lo, s8, v18
	v_add_co_ci_u32_e64 v19, null, s9, v19, vcc_lo
	v_add_co_u32 v26, vcc_lo, s8, v26
	v_add_co_ci_u32_e64 v27, null, s9, v27, vcc_lo
	s_clause 0x1
	global_load_dwordx2 v[18:19], v[18:19], off
	global_load_dwordx2 v[26:27], v[26:27], off
	s_waitcnt vmcnt(0)
	v_cmp_ge_i64_e32 vcc_lo, v[18:19], v[26:27]
	s_and_b32 s18, vcc_lo, exec_lo
.LBB930_126:
	s_or_b32 exec_lo, exec_lo, s0
	s_orn2_b32 s0, s18, exec_lo
.LBB930_127:
	s_or_b32 exec_lo, exec_lo, s17
	v_cndmask_b32_e64 v14, v10, v12, s0
	v_cndmask_b32_e64 v16, v23, v22, s0
	;; [unrolled: 1-line block ×5, first 2 shown]
	v_add_nc_u32_e32 v14, 1, v14
	v_add_nc_u32_e32 v16, -1, v16
	v_cndmask_b32_e64 v4, v8, v4, s15
	v_cndmask_b32_e64 v9, v24, v25, s0
	;; [unrolled: 1-line block ×4, first 2 shown]
	v_min_u32_e32 v16, v14, v16
	s_mov_b32 s15, exec_lo
	v_lshlrev_b32_e32 v16, 3, v16
	ds_read_b64 v[18:19], v16
	s_waitcnt lgkmcnt(0)
	v_cndmask_b32_e64 v11, v25, v19, s0
	v_cndmask_b32_e64 v10, v17, v18, s0
	v_cmpx_lt_u32_e64 v13, v23
	s_cbranch_execz .LBB930_131
; %bb.128:
	v_cndmask_b32_e64 v14, v12, v14, s0
	v_cndmask_b32_e64 v13, v19, v24, s0
	;; [unrolled: 1-line block ×3, first 2 shown]
	s_mov_b32 s0, exec_lo
	v_cmpx_lt_u32_e64 v14, v22
	s_cbranch_execz .LBB930_130
; %bb.129:
	v_mov_b32_e32 v14, 0
	v_mov_b32_e32 v15, v12
	v_ashrrev_i64 v[16:17], 29, v[14:15]
	v_mov_b32_e32 v15, v10
	v_ashrrev_i64 v[14:15], 29, v[14:15]
	v_add_co_u32 v16, vcc_lo, s8, v16
	v_add_co_ci_u32_e64 v17, null, s9, v17, vcc_lo
	v_add_co_u32 v14, vcc_lo, s8, v14
	v_add_co_ci_u32_e64 v15, null, s9, v15, vcc_lo
	s_clause 0x1
	global_load_dwordx2 v[16:17], v[16:17], off
	global_load_dwordx2 v[14:15], v[14:15], off
	s_waitcnt vmcnt(0)
	v_cmp_lt_i64_e32 vcc_lo, v[16:17], v[14:15]
	v_cndmask_b32_e32 v13, v11, v13, vcc_lo
	v_cndmask_b32_e32 v12, v10, v12, vcc_lo
.LBB930_130:
	s_or_b32 exec_lo, exec_lo, s0
	v_mov_b32_e32 v10, v12
	v_mov_b32_e32 v11, v13
.LBB930_131:
	s_or_b32 exec_lo, exec_lo, s15
.LBB930_132:
	s_or_b32 exec_lo, exec_lo, s1
	v_and_b32_e32 v16, 0x300, v20
	v_and_b32_e32 v17, 0xfc, v20
	s_mov_b32 s0, exec_lo
	s_barrier
	v_or_b32_e32 v22, 0x80, v16
	v_add_nc_u32_e32 v23, 0x100, v16
	v_lshlrev_b32_e32 v15, 3, v16
	buffer_gl0_inv
	ds_write_b128 v21, v[4:7]
	v_sub_nc_u32_e32 v13, v22, v16
	v_sub_nc_u32_e32 v12, v23, v22
	ds_write_b128 v21, v[8:11] offset:16
	s_waitcnt lgkmcnt(0)
	s_barrier
	v_min_u32_e32 v18, v17, v13
	v_sub_nc_u32_e64 v14, v17, v12 clamp
	buffer_gl0_inv
	v_cmpx_lt_u32_e64 v14, v18
	s_cbranch_execz .LBB930_136
; %bb.133:
	v_lshlrev_b32_e32 v12, 3, v17
	s_mov_b32 s1, 0
	v_lshl_add_u32 v19, v22, 3, v12
	v_mov_b32_e32 v12, 0
	s_inst_prefetch 0x1
	.p2align	6
.LBB930_134:                            ; =>This Inner Loop Header: Depth=1
	v_add_nc_u32_e32 v13, v18, v14
	v_lshrrev_b32_e32 v28, 1, v13
	v_not_b32_e32 v13, v28
	v_lshl_add_u32 v26, v28, 3, v15
	v_lshl_add_u32 v13, v13, 3, v19
	ds_read_b32 v13, v13
	s_waitcnt lgkmcnt(0)
	v_ashrrev_i64 v[24:25], 29, v[12:13]
	ds_read_b32 v13, v26
	v_add_co_u32 v24, vcc_lo, s8, v24
	v_add_co_ci_u32_e64 v25, null, s9, v25, vcc_lo
	s_waitcnt lgkmcnt(0)
	v_ashrrev_i64 v[26:27], 29, v[12:13]
	v_add_nc_u32_e32 v13, 1, v28
	v_add_co_u32 v26, vcc_lo, s8, v26
	v_add_co_ci_u32_e64 v27, null, s9, v27, vcc_lo
	s_clause 0x1
	global_load_dwordx2 v[24:25], v[24:25], off
	global_load_dwordx2 v[26:27], v[26:27], off
	s_waitcnt vmcnt(0)
	v_cmp_lt_i64_e32 vcc_lo, v[24:25], v[26:27]
	v_cndmask_b32_e32 v18, v18, v28, vcc_lo
	v_cndmask_b32_e32 v14, v13, v14, vcc_lo
	v_cmp_ge_u32_e32 vcc_lo, v14, v18
	s_or_b32 s1, vcc_lo, s1
	s_andn2_b32 exec_lo, exec_lo, s1
	s_cbranch_execnz .LBB930_134
; %bb.135:
	s_inst_prefetch 0x2
	s_or_b32 exec_lo, exec_lo, s1
.LBB930_136:
	s_or_b32 exec_lo, exec_lo, s0
	v_sub_nc_u32_e32 v13, v17, v14
	v_add_nc_u32_e32 v12, v14, v16
	v_add_nc_u32_e32 v13, v13, v22
	v_cmp_le_u32_e32 vcc_lo, v12, v22
	v_cmp_le_u32_e64 s0, v13, v23
	s_or_b32 s0, vcc_lo, s0
	s_and_saveexec_b32 s1, s0
	s_cbranch_execz .LBB930_156
; %bb.137:
	s_mov_b32 s15, exec_lo
	v_cmp_ge_u32_e32 vcc_lo, v12, v22
                                        ; implicit-def: $vgpr4_vgpr5
	v_cmpx_lt_u32_e64 v12, v22
; %bb.138:
	v_lshl_add_u32 v4, v14, 3, v15
	ds_read_b64 v[4:5], v4
; %bb.139:
	s_or_b32 exec_lo, exec_lo, s15
	v_cmp_ge_u32_e64 s15, v13, v23
	s_mov_b32 s16, exec_lo
                                        ; implicit-def: $vgpr8_vgpr9
	v_cmpx_lt_u32_e64 v13, v23
; %bb.140:
	v_lshlrev_b32_e32 v6, 3, v13
	ds_read_b64 v[8:9], v6
; %bb.141:
	s_or_b32 exec_lo, exec_lo, s16
	s_nor_b32 s16, vcc_lo, s15
	s_and_saveexec_b32 s0, s16
	s_cbranch_execz .LBB930_143
; %bb.142:
	v_mov_b32_e32 v6, 0
	s_waitcnt lgkmcnt(0)
	v_mov_b32_e32 v7, v8
	s_andn2_b32 s15, s15, exec_lo
	v_ashrrev_i64 v[10:11], 29, v[6:7]
	v_mov_b32_e32 v7, v4
	v_ashrrev_i64 v[6:7], 29, v[6:7]
	v_add_co_u32 v10, vcc_lo, s8, v10
	v_add_co_ci_u32_e64 v11, null, s9, v11, vcc_lo
	v_add_co_u32 v6, vcc_lo, s8, v6
	v_add_co_ci_u32_e64 v7, null, s9, v7, vcc_lo
	s_clause 0x1
	global_load_dwordx2 v[10:11], v[10:11], off
	global_load_dwordx2 v[6:7], v[6:7], off
	s_waitcnt vmcnt(0)
	v_cmp_ge_i64_e32 vcc_lo, v[10:11], v[6:7]
	s_and_b32 s16, vcc_lo, exec_lo
	s_or_b32 s15, s15, s16
.LBB930_143:
	s_or_b32 exec_lo, exec_lo, s0
	v_cndmask_b32_e64 v6, v13, v12, s15
	v_cndmask_b32_e64 v7, v23, v22, s15
	s_mov_b32 s0, -1
	s_mov_b32 s16, -1
	s_mov_b32 s17, exec_lo
	v_add_nc_u32_e32 v6, 1, v6
	v_add_nc_u32_e32 v7, -1, v7
	v_cndmask_b32_e64 v14, v6, v13, s15
	v_min_u32_e32 v7, v6, v7
	v_cndmask_b32_e64 v15, v12, v6, s15
	v_lshlrev_b32_e32 v7, 3, v7
	ds_read_b64 v[16:17], v7
	s_waitcnt lgkmcnt(0)
	v_cndmask_b32_e64 v6, v17, v9, s15
	v_cndmask_b32_e64 v11, v16, v8, s15
	v_cndmask_b32_e64 v7, v5, v17, s15
	v_cndmask_b32_e64 v13, v4, v16, s15
	v_cmpx_lt_u32_e64 v14, v23
	s_cbranch_execz .LBB930_147
; %bb.144:
	s_mov_b32 s18, 0
	s_mov_b32 s16, exec_lo
	v_cmpx_lt_u32_e64 v15, v22
	s_cbranch_execz .LBB930_146
; %bb.145:
	v_mov_b32_e32 v10, 0
	v_mov_b32_e32 v12, v10
	v_ashrrev_i64 v[16:17], 29, v[10:11]
	v_ashrrev_i64 v[18:19], 29, v[12:13]
	v_add_co_u32 v16, vcc_lo, s8, v16
	v_add_co_ci_u32_e64 v17, null, s9, v17, vcc_lo
	v_add_co_u32 v18, vcc_lo, s8, v18
	v_add_co_ci_u32_e64 v19, null, s9, v19, vcc_lo
	s_clause 0x1
	global_load_dwordx2 v[16:17], v[16:17], off
	global_load_dwordx2 v[18:19], v[18:19], off
	s_waitcnt vmcnt(0)
	v_cmp_ge_i64_e32 vcc_lo, v[16:17], v[18:19]
	s_and_b32 s18, vcc_lo, exec_lo
.LBB930_146:
	s_or_b32 exec_lo, exec_lo, s16
	s_orn2_b32 s16, s18, exec_lo
.LBB930_147:
	s_or_b32 exec_lo, exec_lo, s17
	v_cndmask_b32_e64 v10, v14, v15, s16
	v_cndmask_b32_e64 v12, v23, v22, s16
	s_mov_b32 s17, exec_lo
	v_add_nc_u32_e32 v18, 1, v10
	v_add_nc_u32_e32 v10, -1, v12
	v_cndmask_b32_e64 v12, v15, v18, s16
	v_min_u32_e32 v10, v18, v10
	v_lshlrev_b32_e32 v10, 3, v10
	ds_read_b64 v[16:17], v10
	v_cndmask_b32_e64 v10, v18, v14, s16
	s_waitcnt lgkmcnt(0)
	v_cndmask_b32_e64 v24, v17, v6, s16
	v_cndmask_b32_e64 v15, v16, v11, s16
	;; [unrolled: 1-line block ×4, first 2 shown]
	v_cmpx_lt_u32_e64 v10, v23
	s_cbranch_execz .LBB930_151
; %bb.148:
	s_mov_b32 s18, 0
	s_mov_b32 s0, exec_lo
	v_cmpx_lt_u32_e64 v12, v22
	s_cbranch_execz .LBB930_150
; %bb.149:
	v_mov_b32_e32 v14, 0
	v_mov_b32_e32 v16, v14
	v_ashrrev_i64 v[18:19], 29, v[14:15]
	v_ashrrev_i64 v[26:27], 29, v[16:17]
	v_add_co_u32 v18, vcc_lo, s8, v18
	v_add_co_ci_u32_e64 v19, null, s9, v19, vcc_lo
	v_add_co_u32 v26, vcc_lo, s8, v26
	v_add_co_ci_u32_e64 v27, null, s9, v27, vcc_lo
	s_clause 0x1
	global_load_dwordx2 v[18:19], v[18:19], off
	global_load_dwordx2 v[26:27], v[26:27], off
	s_waitcnt vmcnt(0)
	v_cmp_ge_i64_e32 vcc_lo, v[18:19], v[26:27]
	s_and_b32 s18, vcc_lo, exec_lo
.LBB930_150:
	s_or_b32 exec_lo, exec_lo, s0
	s_orn2_b32 s0, s18, exec_lo
.LBB930_151:
	s_or_b32 exec_lo, exec_lo, s17
	v_cndmask_b32_e64 v14, v10, v12, s0
	v_cndmask_b32_e64 v16, v23, v22, s0
	;; [unrolled: 1-line block ×5, first 2 shown]
	v_add_nc_u32_e32 v14, 1, v14
	v_add_nc_u32_e32 v16, -1, v16
	v_cndmask_b32_e64 v4, v8, v4, s15
	v_cndmask_b32_e64 v9, v24, v25, s0
	;; [unrolled: 1-line block ×4, first 2 shown]
	v_min_u32_e32 v16, v14, v16
	s_mov_b32 s15, exec_lo
	v_lshlrev_b32_e32 v16, 3, v16
	ds_read_b64 v[18:19], v16
	s_waitcnt lgkmcnt(0)
	v_cndmask_b32_e64 v11, v25, v19, s0
	v_cndmask_b32_e64 v10, v17, v18, s0
	v_cmpx_lt_u32_e64 v13, v23
	s_cbranch_execz .LBB930_155
; %bb.152:
	v_cndmask_b32_e64 v14, v12, v14, s0
	v_cndmask_b32_e64 v13, v19, v24, s0
	;; [unrolled: 1-line block ×3, first 2 shown]
	s_mov_b32 s0, exec_lo
	v_cmpx_lt_u32_e64 v14, v22
	s_cbranch_execz .LBB930_154
; %bb.153:
	v_mov_b32_e32 v14, 0
	v_mov_b32_e32 v15, v12
	v_ashrrev_i64 v[16:17], 29, v[14:15]
	v_mov_b32_e32 v15, v10
	v_ashrrev_i64 v[14:15], 29, v[14:15]
	v_add_co_u32 v16, vcc_lo, s8, v16
	v_add_co_ci_u32_e64 v17, null, s9, v17, vcc_lo
	v_add_co_u32 v14, vcc_lo, s8, v14
	v_add_co_ci_u32_e64 v15, null, s9, v15, vcc_lo
	s_clause 0x1
	global_load_dwordx2 v[16:17], v[16:17], off
	global_load_dwordx2 v[14:15], v[14:15], off
	s_waitcnt vmcnt(0)
	v_cmp_lt_i64_e32 vcc_lo, v[16:17], v[14:15]
	v_cndmask_b32_e32 v13, v11, v13, vcc_lo
	v_cndmask_b32_e32 v12, v10, v12, vcc_lo
.LBB930_154:
	s_or_b32 exec_lo, exec_lo, s0
	v_mov_b32_e32 v10, v12
	v_mov_b32_e32 v11, v13
.LBB930_155:
	s_or_b32 exec_lo, exec_lo, s15
.LBB930_156:
	s_or_b32 exec_lo, exec_lo, s1
	v_and_b32_e32 v16, 0x200, v20
	v_and_b32_e32 v17, 0x1fc, v20
	s_mov_b32 s0, exec_lo
	s_barrier
	v_or_b32_e32 v22, 0x100, v16
	v_add_nc_u32_e32 v23, 0x200, v16
	v_lshlrev_b32_e32 v15, 3, v16
	buffer_gl0_inv
	ds_write_b128 v21, v[4:7]
	v_sub_nc_u32_e32 v13, v22, v16
	v_sub_nc_u32_e32 v12, v23, v22
	ds_write_b128 v21, v[8:11] offset:16
	s_waitcnt lgkmcnt(0)
	s_barrier
	v_min_u32_e32 v18, v17, v13
	v_sub_nc_u32_e64 v14, v17, v12 clamp
	buffer_gl0_inv
	v_cmpx_lt_u32_e64 v14, v18
	s_cbranch_execz .LBB930_160
; %bb.157:
	v_lshlrev_b32_e32 v12, 3, v17
	s_mov_b32 s1, 0
	v_lshl_add_u32 v19, v22, 3, v12
	v_mov_b32_e32 v12, 0
	s_inst_prefetch 0x1
	.p2align	6
.LBB930_158:                            ; =>This Inner Loop Header: Depth=1
	v_add_nc_u32_e32 v13, v18, v14
	v_lshrrev_b32_e32 v28, 1, v13
	v_not_b32_e32 v13, v28
	v_lshl_add_u32 v26, v28, 3, v15
	v_lshl_add_u32 v13, v13, 3, v19
	ds_read_b32 v13, v13
	s_waitcnt lgkmcnt(0)
	v_ashrrev_i64 v[24:25], 29, v[12:13]
	ds_read_b32 v13, v26
	v_add_co_u32 v24, vcc_lo, s8, v24
	v_add_co_ci_u32_e64 v25, null, s9, v25, vcc_lo
	s_waitcnt lgkmcnt(0)
	v_ashrrev_i64 v[26:27], 29, v[12:13]
	v_add_nc_u32_e32 v13, 1, v28
	v_add_co_u32 v26, vcc_lo, s8, v26
	v_add_co_ci_u32_e64 v27, null, s9, v27, vcc_lo
	s_clause 0x1
	global_load_dwordx2 v[24:25], v[24:25], off
	global_load_dwordx2 v[26:27], v[26:27], off
	s_waitcnt vmcnt(0)
	v_cmp_lt_i64_e32 vcc_lo, v[24:25], v[26:27]
	v_cndmask_b32_e32 v18, v18, v28, vcc_lo
	v_cndmask_b32_e32 v14, v13, v14, vcc_lo
	v_cmp_ge_u32_e32 vcc_lo, v14, v18
	s_or_b32 s1, vcc_lo, s1
	s_andn2_b32 exec_lo, exec_lo, s1
	s_cbranch_execnz .LBB930_158
; %bb.159:
	s_inst_prefetch 0x2
	s_or_b32 exec_lo, exec_lo, s1
.LBB930_160:
	s_or_b32 exec_lo, exec_lo, s0
	v_sub_nc_u32_e32 v13, v17, v14
	v_add_nc_u32_e32 v12, v14, v16
	v_add_nc_u32_e32 v13, v13, v22
	v_cmp_le_u32_e32 vcc_lo, v12, v22
	v_cmp_le_u32_e64 s0, v13, v23
	s_or_b32 s0, vcc_lo, s0
	s_and_saveexec_b32 s1, s0
	s_cbranch_execz .LBB930_180
; %bb.161:
	s_mov_b32 s15, exec_lo
	v_cmp_ge_u32_e32 vcc_lo, v12, v22
                                        ; implicit-def: $vgpr4_vgpr5
	v_cmpx_lt_u32_e64 v12, v22
; %bb.162:
	v_lshl_add_u32 v4, v14, 3, v15
	ds_read_b64 v[4:5], v4
; %bb.163:
	s_or_b32 exec_lo, exec_lo, s15
	v_cmp_ge_u32_e64 s15, v13, v23
	s_mov_b32 s16, exec_lo
                                        ; implicit-def: $vgpr8_vgpr9
	v_cmpx_lt_u32_e64 v13, v23
; %bb.164:
	v_lshlrev_b32_e32 v6, 3, v13
	ds_read_b64 v[8:9], v6
; %bb.165:
	s_or_b32 exec_lo, exec_lo, s16
	s_nor_b32 s16, vcc_lo, s15
	s_and_saveexec_b32 s0, s16
	s_cbranch_execz .LBB930_167
; %bb.166:
	v_mov_b32_e32 v6, 0
	s_waitcnt lgkmcnt(0)
	v_mov_b32_e32 v7, v8
	s_andn2_b32 s15, s15, exec_lo
	v_ashrrev_i64 v[10:11], 29, v[6:7]
	v_mov_b32_e32 v7, v4
	v_ashrrev_i64 v[6:7], 29, v[6:7]
	v_add_co_u32 v10, vcc_lo, s8, v10
	v_add_co_ci_u32_e64 v11, null, s9, v11, vcc_lo
	v_add_co_u32 v6, vcc_lo, s8, v6
	v_add_co_ci_u32_e64 v7, null, s9, v7, vcc_lo
	s_clause 0x1
	global_load_dwordx2 v[10:11], v[10:11], off
	global_load_dwordx2 v[6:7], v[6:7], off
	s_waitcnt vmcnt(0)
	v_cmp_ge_i64_e32 vcc_lo, v[10:11], v[6:7]
	s_and_b32 s16, vcc_lo, exec_lo
	s_or_b32 s15, s15, s16
.LBB930_167:
	s_or_b32 exec_lo, exec_lo, s0
	v_cndmask_b32_e64 v6, v13, v12, s15
	v_cndmask_b32_e64 v7, v23, v22, s15
	s_mov_b32 s0, -1
	s_mov_b32 s16, -1
	s_mov_b32 s17, exec_lo
	v_add_nc_u32_e32 v6, 1, v6
	v_add_nc_u32_e32 v7, -1, v7
	v_cndmask_b32_e64 v14, v6, v13, s15
	v_min_u32_e32 v7, v6, v7
	v_cndmask_b32_e64 v15, v12, v6, s15
	v_lshlrev_b32_e32 v7, 3, v7
	ds_read_b64 v[16:17], v7
	s_waitcnt lgkmcnt(0)
	v_cndmask_b32_e64 v6, v17, v9, s15
	v_cndmask_b32_e64 v11, v16, v8, s15
	;; [unrolled: 1-line block ×4, first 2 shown]
	v_cmpx_lt_u32_e64 v14, v23
	s_cbranch_execz .LBB930_171
; %bb.168:
	s_mov_b32 s18, 0
	s_mov_b32 s16, exec_lo
	v_cmpx_lt_u32_e64 v15, v22
	s_cbranch_execz .LBB930_170
; %bb.169:
	v_mov_b32_e32 v10, 0
	v_mov_b32_e32 v12, v10
	v_ashrrev_i64 v[16:17], 29, v[10:11]
	v_ashrrev_i64 v[18:19], 29, v[12:13]
	v_add_co_u32 v16, vcc_lo, s8, v16
	v_add_co_ci_u32_e64 v17, null, s9, v17, vcc_lo
	v_add_co_u32 v18, vcc_lo, s8, v18
	v_add_co_ci_u32_e64 v19, null, s9, v19, vcc_lo
	s_clause 0x1
	global_load_dwordx2 v[16:17], v[16:17], off
	global_load_dwordx2 v[18:19], v[18:19], off
	s_waitcnt vmcnt(0)
	v_cmp_ge_i64_e32 vcc_lo, v[16:17], v[18:19]
	s_and_b32 s18, vcc_lo, exec_lo
.LBB930_170:
	s_or_b32 exec_lo, exec_lo, s16
	s_orn2_b32 s16, s18, exec_lo
.LBB930_171:
	s_or_b32 exec_lo, exec_lo, s17
	v_cndmask_b32_e64 v10, v14, v15, s16
	v_cndmask_b32_e64 v12, v23, v22, s16
	s_mov_b32 s17, exec_lo
	v_add_nc_u32_e32 v18, 1, v10
	v_add_nc_u32_e32 v10, -1, v12
	v_cndmask_b32_e64 v12, v15, v18, s16
	v_min_u32_e32 v10, v18, v10
	v_lshlrev_b32_e32 v10, 3, v10
	ds_read_b64 v[16:17], v10
	v_cndmask_b32_e64 v10, v18, v14, s16
	s_waitcnt lgkmcnt(0)
	v_cndmask_b32_e64 v24, v17, v6, s16
	v_cndmask_b32_e64 v15, v16, v11, s16
	;; [unrolled: 1-line block ×4, first 2 shown]
	v_cmpx_lt_u32_e64 v10, v23
	s_cbranch_execz .LBB930_175
; %bb.172:
	s_mov_b32 s18, 0
	s_mov_b32 s0, exec_lo
	v_cmpx_lt_u32_e64 v12, v22
	s_cbranch_execz .LBB930_174
; %bb.173:
	v_mov_b32_e32 v14, 0
	v_mov_b32_e32 v16, v14
	v_ashrrev_i64 v[18:19], 29, v[14:15]
	v_ashrrev_i64 v[26:27], 29, v[16:17]
	v_add_co_u32 v18, vcc_lo, s8, v18
	v_add_co_ci_u32_e64 v19, null, s9, v19, vcc_lo
	v_add_co_u32 v26, vcc_lo, s8, v26
	v_add_co_ci_u32_e64 v27, null, s9, v27, vcc_lo
	s_clause 0x1
	global_load_dwordx2 v[18:19], v[18:19], off
	global_load_dwordx2 v[26:27], v[26:27], off
	s_waitcnt vmcnt(0)
	v_cmp_ge_i64_e32 vcc_lo, v[18:19], v[26:27]
	s_and_b32 s18, vcc_lo, exec_lo
.LBB930_174:
	s_or_b32 exec_lo, exec_lo, s0
	s_orn2_b32 s0, s18, exec_lo
.LBB930_175:
	s_or_b32 exec_lo, exec_lo, s17
	v_cndmask_b32_e64 v14, v10, v12, s0
	v_cndmask_b32_e64 v16, v23, v22, s0
	;; [unrolled: 1-line block ×5, first 2 shown]
	v_add_nc_u32_e32 v14, 1, v14
	v_add_nc_u32_e32 v16, -1, v16
	v_cndmask_b32_e64 v4, v8, v4, s15
	v_cndmask_b32_e64 v9, v24, v25, s0
	;; [unrolled: 1-line block ×4, first 2 shown]
	v_min_u32_e32 v16, v14, v16
	s_mov_b32 s15, exec_lo
	v_lshlrev_b32_e32 v16, 3, v16
	ds_read_b64 v[18:19], v16
	s_waitcnt lgkmcnt(0)
	v_cndmask_b32_e64 v11, v25, v19, s0
	v_cndmask_b32_e64 v10, v17, v18, s0
	v_cmpx_lt_u32_e64 v13, v23
	s_cbranch_execz .LBB930_179
; %bb.176:
	v_cndmask_b32_e64 v14, v12, v14, s0
	v_cndmask_b32_e64 v13, v19, v24, s0
	;; [unrolled: 1-line block ×3, first 2 shown]
	s_mov_b32 s0, exec_lo
	v_cmpx_lt_u32_e64 v14, v22
	s_cbranch_execz .LBB930_178
; %bb.177:
	v_mov_b32_e32 v14, 0
	v_mov_b32_e32 v15, v12
	v_ashrrev_i64 v[16:17], 29, v[14:15]
	v_mov_b32_e32 v15, v10
	v_ashrrev_i64 v[14:15], 29, v[14:15]
	v_add_co_u32 v16, vcc_lo, s8, v16
	v_add_co_ci_u32_e64 v17, null, s9, v17, vcc_lo
	v_add_co_u32 v14, vcc_lo, s8, v14
	v_add_co_ci_u32_e64 v15, null, s9, v15, vcc_lo
	s_clause 0x1
	global_load_dwordx2 v[16:17], v[16:17], off
	global_load_dwordx2 v[14:15], v[14:15], off
	s_waitcnt vmcnt(0)
	v_cmp_lt_i64_e32 vcc_lo, v[16:17], v[14:15]
	v_cndmask_b32_e32 v13, v11, v13, vcc_lo
	v_cndmask_b32_e32 v12, v10, v12, vcc_lo
.LBB930_178:
	s_or_b32 exec_lo, exec_lo, s0
	v_mov_b32_e32 v10, v12
	v_mov_b32_e32 v11, v13
.LBB930_179:
	s_or_b32 exec_lo, exec_lo, s15
.LBB930_180:
	s_or_b32 exec_lo, exec_lo, s1
	v_and_b32_e32 v15, 0x3fc, v20
	s_mov_b32 s0, exec_lo
	s_barrier
	buffer_gl0_inv
	v_subrev_nc_u32_e64 v14, 0x200, v15 clamp
	v_min_u32_e32 v16, 0x200, v15
	ds_write_b128 v21, v[4:7]
	ds_write_b128 v21, v[8:11] offset:16
	s_waitcnt lgkmcnt(0)
	s_barrier
	buffer_gl0_inv
	v_cmpx_lt_u32_e64 v14, v16
	s_cbranch_execz .LBB930_184
; %bb.181:
	v_lshlrev_b32_e32 v12, 3, v15
	s_mov_b32 s1, 0
	v_lshl_add_u32 v17, 0x200, 3, v12
	v_mov_b32_e32 v12, 0
	s_inst_prefetch 0x1
	.p2align	6
.LBB930_182:                            ; =>This Inner Loop Header: Depth=1
	v_add_nc_u32_e32 v13, v16, v14
	v_lshrrev_b32_e32 v22, 1, v13
	v_not_b32_e32 v13, v22
	v_lshlrev_b32_e32 v20, 3, v22
	v_lshl_add_u32 v13, v13, 3, v17
	ds_read_b32 v13, v13
	s_waitcnt lgkmcnt(0)
	v_ashrrev_i64 v[18:19], 29, v[12:13]
	ds_read_b32 v13, v20
	v_add_co_u32 v18, vcc_lo, s8, v18
	v_add_co_ci_u32_e64 v19, null, s9, v19, vcc_lo
	s_waitcnt lgkmcnt(0)
	v_ashrrev_i64 v[20:21], 29, v[12:13]
	v_add_nc_u32_e32 v13, 1, v22
	v_add_co_u32 v20, vcc_lo, s8, v20
	v_add_co_ci_u32_e64 v21, null, s9, v21, vcc_lo
	s_clause 0x1
	global_load_dwordx2 v[18:19], v[18:19], off
	global_load_dwordx2 v[20:21], v[20:21], off
	s_waitcnt vmcnt(0)
	v_cmp_lt_i64_e32 vcc_lo, v[18:19], v[20:21]
	v_cndmask_b32_e32 v16, v16, v22, vcc_lo
	v_cndmask_b32_e32 v14, v13, v14, vcc_lo
	v_cmp_ge_u32_e32 vcc_lo, v14, v16
	s_or_b32 s1, vcc_lo, s1
	s_andn2_b32 exec_lo, exec_lo, s1
	s_cbranch_execnz .LBB930_182
; %bb.183:
	s_inst_prefetch 0x2
	s_or_b32 exec_lo, exec_lo, s1
.LBB930_184:
	s_or_b32 exec_lo, exec_lo, s0
	v_sub_nc_u32_e32 v12, v15, v14
	v_cmp_ge_u32_e32 vcc_lo, 0x200, v14
	v_add_nc_u32_e32 v12, 0x200, v12
	v_cmp_gt_u32_e64 s0, 0x401, v12
	s_or_b32 s0, vcc_lo, s0
	s_and_saveexec_b32 s1, s0
	s_cbranch_execz .LBB930_204
; %bb.185:
	s_mov_b32 s15, exec_lo
	v_cmp_le_u32_e32 vcc_lo, 0x200, v14
                                        ; implicit-def: $vgpr4_vgpr5
	v_cmpx_gt_u32_e32 0x200, v14
; %bb.186:
	v_lshlrev_b32_e32 v4, 3, v14
	ds_read_b64 v[4:5], v4
; %bb.187:
	s_or_b32 exec_lo, exec_lo, s15
	v_cmp_lt_u32_e64 s15, 0x3ff, v12
	s_mov_b32 s16, exec_lo
                                        ; implicit-def: $vgpr8_vgpr9
	v_cmpx_gt_u32_e32 0x400, v12
; %bb.188:
	v_lshlrev_b32_e32 v6, 3, v12
	ds_read_b64 v[8:9], v6
; %bb.189:
	s_or_b32 exec_lo, exec_lo, s16
	s_nor_b32 s16, vcc_lo, s15
	s_and_saveexec_b32 s0, s16
	s_cbranch_execz .LBB930_191
; %bb.190:
	v_mov_b32_e32 v6, 0
	s_waitcnt lgkmcnt(0)
	v_mov_b32_e32 v7, v8
	s_andn2_b32 s15, s15, exec_lo
	v_ashrrev_i64 v[10:11], 29, v[6:7]
	v_mov_b32_e32 v7, v4
	v_ashrrev_i64 v[6:7], 29, v[6:7]
	v_add_co_u32 v10, vcc_lo, s8, v10
	v_add_co_ci_u32_e64 v11, null, s9, v11, vcc_lo
	v_add_co_u32 v6, vcc_lo, s8, v6
	v_add_co_ci_u32_e64 v7, null, s9, v7, vcc_lo
	s_clause 0x1
	global_load_dwordx2 v[10:11], v[10:11], off
	global_load_dwordx2 v[6:7], v[6:7], off
	s_waitcnt vmcnt(0)
	v_cmp_ge_i64_e32 vcc_lo, v[10:11], v[6:7]
	s_and_b32 s16, vcc_lo, exec_lo
	s_or_b32 s15, s15, s16
.LBB930_191:
	s_or_b32 exec_lo, exec_lo, s0
	v_cndmask_b32_e64 v7, v12, v14, s15
	v_add_nc_u32_e64 v6, 0x200, -1
	s_mov_b32 s0, -1
	s_mov_b32 s16, -1
	s_mov_b32 s17, exec_lo
	v_add_nc_u32_e32 v7, 1, v7
	v_cndmask_b32_e64 v10, 0x3ff, v6, s15
	v_cndmask_b32_e64 v15, v7, v12, s15
	v_min_u32_e32 v10, v7, v10
	v_cndmask_b32_e64 v14, v14, v7, s15
	v_lshlrev_b32_e32 v10, 3, v10
	ds_read_b64 v[16:17], v10
	s_waitcnt lgkmcnt(0)
	v_cndmask_b32_e64 v7, v17, v9, s15
	v_cndmask_b32_e64 v11, v16, v8, s15
	;; [unrolled: 1-line block ×4, first 2 shown]
	v_cmpx_gt_u32_e32 0x400, v15
	s_cbranch_execz .LBB930_195
; %bb.192:
	s_mov_b32 s18, 0
	s_mov_b32 s16, exec_lo
	v_cmpx_gt_u32_e32 0x200, v14
	s_cbranch_execz .LBB930_194
; %bb.193:
	v_mov_b32_e32 v10, 0
	v_mov_b32_e32 v12, v10
	v_ashrrev_i64 v[16:17], 29, v[10:11]
	v_ashrrev_i64 v[18:19], 29, v[12:13]
	v_add_co_u32 v16, vcc_lo, s8, v16
	v_add_co_ci_u32_e64 v17, null, s9, v17, vcc_lo
	v_add_co_u32 v18, vcc_lo, s8, v18
	v_add_co_ci_u32_e64 v19, null, s9, v19, vcc_lo
	s_clause 0x1
	global_load_dwordx2 v[16:17], v[16:17], off
	global_load_dwordx2 v[18:19], v[18:19], off
	s_waitcnt vmcnt(0)
	v_cmp_ge_i64_e32 vcc_lo, v[16:17], v[18:19]
	s_and_b32 s18, vcc_lo, exec_lo
.LBB930_194:
	s_or_b32 exec_lo, exec_lo, s16
	s_orn2_b32 s16, s18, exec_lo
.LBB930_195:
	s_or_b32 exec_lo, exec_lo, s17
	v_cndmask_b32_e64 v10, v15, v14, s16
	v_cndmask_b32_e64 v12, 0x3ff, v6, s16
	s_mov_b32 s17, exec_lo
	v_add_nc_u32_e32 v18, 1, v10
	v_min_u32_e32 v10, v18, v12
	v_cndmask_b32_e64 v12, v14, v18, s16
	v_lshlrev_b32_e32 v10, 3, v10
	ds_read_b64 v[16:17], v10
	v_cndmask_b32_e64 v10, v18, v15, s16
	s_waitcnt lgkmcnt(0)
	v_cndmask_b32_e64 v21, v17, v7, s16
	v_cndmask_b32_e64 v15, v16, v11, s16
	;; [unrolled: 1-line block ×4, first 2 shown]
	v_cmpx_gt_u32_e32 0x400, v10
	s_cbranch_execz .LBB930_199
; %bb.196:
	s_mov_b32 s18, 0
	s_mov_b32 s0, exec_lo
	v_cmpx_gt_u32_e32 0x200, v12
	s_cbranch_execz .LBB930_198
; %bb.197:
	v_mov_b32_e32 v14, 0
	v_mov_b32_e32 v16, v14
	v_ashrrev_i64 v[18:19], 29, v[14:15]
	v_ashrrev_i64 v[23:24], 29, v[16:17]
	v_add_co_u32 v18, vcc_lo, s8, v18
	v_add_co_ci_u32_e64 v19, null, s9, v19, vcc_lo
	v_add_co_u32 v23, vcc_lo, s8, v23
	v_add_co_ci_u32_e64 v24, null, s9, v24, vcc_lo
	s_clause 0x1
	global_load_dwordx2 v[18:19], v[18:19], off
	global_load_dwordx2 v[23:24], v[23:24], off
	s_waitcnt vmcnt(0)
	v_cmp_ge_i64_e32 vcc_lo, v[18:19], v[23:24]
	s_and_b32 s18, vcc_lo, exec_lo
.LBB930_198:
	s_or_b32 exec_lo, exec_lo, s0
	s_orn2_b32 s0, s18, exec_lo
.LBB930_199:
	s_or_b32 exec_lo, exec_lo, s17
	v_cndmask_b32_e64 v14, v10, v12, s0
	v_cndmask_b32_e64 v6, 0x3ff, v6, s0
	;; [unrolled: 1-line block ×5, first 2 shown]
	v_add_nc_u32_e32 v14, 1, v14
	v_cndmask_b32_e64 v9, v21, v22, s0
	v_cndmask_b32_e64 v8, v15, v17, s0
	s_mov_b32 s15, exec_lo
	v_min_u32_e32 v6, v14, v6
	v_lshlrev_b32_e32 v6, 3, v6
	ds_read_b64 v[18:19], v6
	v_cndmask_b32_e64 v6, v11, v13, s16
	v_cndmask_b32_e64 v13, v14, v10, s0
	s_waitcnt lgkmcnt(0)
	v_cndmask_b32_e64 v11, v22, v19, s0
	v_cndmask_b32_e64 v10, v17, v18, s0
	v_cmpx_gt_u32_e32 0x400, v13
	s_cbranch_execz .LBB930_203
; %bb.200:
	v_cndmask_b32_e64 v14, v12, v14, s0
	v_cndmask_b32_e64 v13, v19, v21, s0
	;; [unrolled: 1-line block ×3, first 2 shown]
	s_mov_b32 s0, exec_lo
	v_cmpx_gt_u32_e32 0x200, v14
	s_cbranch_execz .LBB930_202
; %bb.201:
	v_mov_b32_e32 v14, 0
	v_mov_b32_e32 v15, v12
	v_ashrrev_i64 v[16:17], 29, v[14:15]
	v_mov_b32_e32 v15, v10
	v_ashrrev_i64 v[14:15], 29, v[14:15]
	v_add_co_u32 v16, vcc_lo, s8, v16
	v_add_co_ci_u32_e64 v17, null, s9, v17, vcc_lo
	v_add_co_u32 v14, vcc_lo, s8, v14
	v_add_co_ci_u32_e64 v15, null, s9, v15, vcc_lo
	s_clause 0x1
	global_load_dwordx2 v[16:17], v[16:17], off
	global_load_dwordx2 v[14:15], v[14:15], off
	s_waitcnt vmcnt(0)
	v_cmp_lt_i64_e32 vcc_lo, v[16:17], v[14:15]
	v_cndmask_b32_e32 v13, v11, v13, vcc_lo
	v_cndmask_b32_e32 v12, v10, v12, vcc_lo
.LBB930_202:
	s_or_b32 exec_lo, exec_lo, s0
	v_mov_b32_e32 v10, v12
	v_mov_b32_e32 v11, v13
.LBB930_203:
	s_or_b32 exec_lo, exec_lo, s15
.LBB930_204:
	s_or_b32 exec_lo, exec_lo, s1
	s_barrier
	buffer_gl0_inv
	s_barrier
	buffer_gl0_inv
	ds_write2_b64 v47, v[4:5], v[6:7] offset1:1
	ds_write2_b64 v47, v[8:9], v[10:11] offset0:2 offset1:3
	s_waitcnt lgkmcnt(0)
	s_barrier
	buffer_gl0_inv
	ds_read_b64 v[6:7], v43
	ds_read_b64 v[8:9], v44 offset:2048
	ds_read_b64 v[10:11], v45 offset:4096
	;; [unrolled: 1-line block ×3, first 2 shown]
	v_add_co_u32 v12, s0, s7, v37
	v_add_co_ci_u32_e64 v13, null, s11, 0, s0
	v_add_co_u32 v14, vcc_lo, 0x800, v12
	v_add_co_ci_u32_e64 v15, null, 0, v13, vcc_lo
	v_add_co_u32 v16, vcc_lo, 0x1000, v12
	v_add_co_ci_u32_e64 v17, null, 0, v13, vcc_lo
	s_mov_b32 s15, -1
	s_waitcnt lgkmcnt(3)
	flat_store_dwordx2 v[12:13], v[6:7]
	s_waitcnt lgkmcnt(3)
	flat_store_dwordx2 v[14:15], v[8:9]
	;; [unrolled: 2-line block ×3, first 2 shown]
	s_branch .LBB930_366
.LBB930_205:
	s_mov_b32 s15, s13
                                        ; implicit-def: $vgpr4_vgpr5
	s_cbranch_execz .LBB930_366
; %bb.206:
	s_waitcnt lgkmcnt(3)
	v_mov_b32_e32 v4, 0
	s_lshl_b64 s[0:1], s[12:13], 10
	s_sub_i32 s12, s14, s0
	v_cmp_gt_u32_e32 vcc_lo, s12, v0
	v_mov_b32_e32 v5, v4
	v_mov_b32_e32 v6, v4
	;; [unrolled: 1-line block ×7, first 2 shown]
	s_and_saveexec_b32 s0, vcc_lo
	s_cbranch_execnz .LBB930_223
; %bb.207:
	s_or_b32 exec_lo, exec_lo, s0
	v_cmp_gt_u32_e64 s0, s12, v42
	s_and_saveexec_b32 s1, s0
	s_cbranch_execnz .LBB930_224
.LBB930_208:
	s_or_b32 exec_lo, exec_lo, s1
	v_cmp_gt_u32_e64 s1, s12, v41
	s_and_saveexec_b32 s13, s1
	s_cbranch_execnz .LBB930_225
.LBB930_209:
	s_or_b32 exec_lo, exec_lo, s13
	v_cmp_gt_u32_e64 s15, s12, v40
	s_and_saveexec_b32 s13, s15
	s_cbranch_execz .LBB930_211
.LBB930_210:
	v_lshlrev_b32_e32 v1, 3, v40
	v_add_co_u32 v10, s4, s4, v1
	v_add_co_ci_u32_e64 v11, null, s5, 0, s4
	flat_load_dwordx2 v[10:11], v[10:11]
.LBB930_211:
	s_or_b32 exec_lo, exec_lo, s13
	v_lshrrev_b32_e32 v1, 2, v42
	v_lshrrev_b32_e32 v12, 2, v41
	;; [unrolled: 1-line block ×3, first 2 shown]
	v_and_b32_e32 v14, 56, v39
	v_lshl_add_u32 v23, v0, 5, v38
	v_and_b32_e32 v1, 0x78, v1
	v_and_b32_e32 v12, 0xf8, v12
	;; [unrolled: 1-line block ×3, first 2 shown]
	v_add_nc_u32_e32 v19, v14, v37
	v_add_nc_u32_e32 v20, v1, v37
	;; [unrolled: 1-line block ×4, first 2 shown]
	v_mov_b32_e32 v1, 0
	ds_write_b64 v19, v[4:5]
	s_waitcnt vmcnt(0) lgkmcnt(1)
	ds_write_b64 v20, v[6:7] offset:2048
	ds_write_b64 v21, v[8:9] offset:4096
	;; [unrolled: 1-line block ×3, first 2 shown]
	s_waitcnt lgkmcnt(0)
	s_waitcnt_vscnt null, 0x0
	s_barrier
	buffer_gl0_inv
	ds_read2_b64 v[4:7], v23 offset1:1
	ds_read2_b64 v[8:11], v23 offset0:2 offset1:3
	s_waitcnt lgkmcnt(0)
	s_barrier
	buffer_gl0_inv
	s_load_dword s4, s[2:3], 0xc
	s_waitcnt lgkmcnt(0)
	s_lshr_b32 s4, s4, 16
	s_cmp_lt_u32 s6, s10
	v_mad_u32_u24 v2, v2, s4, v3
	s_cselect_b32 s5, 12, 18
	s_add_u32 s2, s2, s5
	s_addc_u32 s3, s3, 0
	global_load_ushort v12, v1, s[2:3]
	s_waitcnt vmcnt(0)
	v_mul_lo_u32 v2, v2, v12
	v_add_lshl_u32 v3, v2, v0, 2
	v_sub_nc_u32_e64 v12, s12, v3 clamp
	v_cmp_lt_u32_e64 s3, 1, v12
	s_and_saveexec_b32 s4, s3
	s_cbranch_execz .LBB930_215
; %bb.212:
	v_mov_b32_e32 v2, v6
	s_mov_b32 s5, exec_lo
	v_ashrrev_i64 v[13:14], 29, v[1:2]
	v_mov_b32_e32 v2, v4
	v_ashrrev_i64 v[1:2], 29, v[1:2]
	v_add_co_u32 v13, s2, s8, v13
	v_add_co_ci_u32_e64 v14, null, s9, v14, s2
	v_add_co_u32 v1, s2, s8, v1
	v_add_co_ci_u32_e64 v2, null, s9, v2, s2
	s_clause 0x1
	global_load_dwordx2 v[13:14], v[13:14], off
	global_load_dwordx2 v[1:2], v[1:2], off
	s_waitcnt vmcnt(0)
	v_cmpx_lt_i64_e64 v[13:14], v[1:2]
	s_cbranch_execz .LBB930_214
; %bb.213:
	v_mov_b32_e32 v31, v11
	v_mov_b32_e32 v24, v4
	;; [unrolled: 1-line block ×20, first 2 shown]
.LBB930_214:
	s_or_b32 exec_lo, exec_lo, s5
.LBB930_215:
	s_or_b32 exec_lo, exec_lo, s4
	v_cmp_lt_u32_e64 s2, 3, v12
	s_and_saveexec_b32 s5, s2
	s_cbranch_execz .LBB930_219
; %bb.216:
	v_mov_b32_e32 v1, 0
	v_mov_b32_e32 v2, v10
	s_mov_b32 s6, exec_lo
	v_ashrrev_i64 v[13:14], 29, v[1:2]
	v_mov_b32_e32 v2, v8
	v_ashrrev_i64 v[1:2], 29, v[1:2]
	v_add_co_u32 v13, s4, s8, v13
	v_add_co_ci_u32_e64 v14, null, s9, v14, s4
	v_add_co_u32 v1, s4, s8, v1
	v_add_co_ci_u32_e64 v2, null, s9, v2, s4
	s_clause 0x1
	global_load_dwordx2 v[13:14], v[13:14], off
	global_load_dwordx2 v[1:2], v[1:2], off
	s_waitcnt vmcnt(0)
	v_cmpx_lt_i64_e64 v[13:14], v[1:2]
	s_cbranch_execz .LBB930_218
; %bb.217:
	v_mov_b32_e32 v24, v4
	v_mov_b32_e32 v25, v5
	;; [unrolled: 1-line block ×16, first 2 shown]
.LBB930_218:
	s_or_b32 exec_lo, exec_lo, s6
.LBB930_219:
	s_or_b32 exec_lo, exec_lo, s5
	v_cmp_lt_u32_e64 s4, 2, v12
	s_and_saveexec_b32 s5, s4
	s_xor_b32 s6, exec_lo, s5
	s_cbranch_execnz .LBB930_226
; %bb.220:
	s_or_b32 exec_lo, exec_lo, s6
	s_and_saveexec_b32 s5, s3
	s_cbranch_execnz .LBB930_229
.LBB930_221:
	s_or_b32 exec_lo, exec_lo, s5
	s_and_saveexec_b32 s3, s2
	s_cbranch_execnz .LBB930_232
.LBB930_222:
	s_or_b32 exec_lo, exec_lo, s3
	s_and_saveexec_b32 s3, s4
	s_cbranch_execnz .LBB930_235
	s_branch .LBB930_238
.LBB930_223:
	v_add_co_u32 v5, s1, s4, v37
	v_add_co_ci_u32_e64 v6, null, s5, 0, s1
	v_mov_b32_e32 v12, v4
	v_mov_b32_e32 v7, v4
	v_mov_b32_e32 v8, v4
	flat_load_dwordx2 v[5:6], v[5:6]
	v_mov_b32_e32 v9, v4
	v_mov_b32_e32 v10, v4
	;; [unrolled: 1-line block ×3, first 2 shown]
	s_waitcnt vmcnt(0) lgkmcnt(0)
	v_mov_b32_e32 v4, v5
	v_mov_b32_e32 v5, v6
	;; [unrolled: 1-line block ×8, first 2 shown]
	s_or_b32 exec_lo, exec_lo, s0
	v_cmp_gt_u32_e64 s0, s12, v42
	s_and_saveexec_b32 s1, s0
	s_cbranch_execz .LBB930_208
.LBB930_224:
	v_lshlrev_b32_e32 v1, 3, v42
	v_add_co_u32 v6, s13, s4, v1
	v_add_co_ci_u32_e64 v7, null, s5, 0, s13
	flat_load_dwordx2 v[6:7], v[6:7]
	s_or_b32 exec_lo, exec_lo, s1
	v_cmp_gt_u32_e64 s1, s12, v41
	s_and_saveexec_b32 s13, s1
	s_cbranch_execz .LBB930_209
.LBB930_225:
	v_lshlrev_b32_e32 v1, 3, v41
	v_add_co_u32 v8, s14, s4, v1
	v_add_co_ci_u32_e64 v9, null, s5, 0, s14
	flat_load_dwordx2 v[8:9], v[8:9]
	s_or_b32 exec_lo, exec_lo, s13
	v_cmp_gt_u32_e64 s15, s12, v40
	s_and_saveexec_b32 s13, s15
	s_cbranch_execnz .LBB930_210
	s_branch .LBB930_211
.LBB930_226:
	v_mov_b32_e32 v1, 0
	v_mov_b32_e32 v2, v8
	s_mov_b32 s10, exec_lo
	v_ashrrev_i64 v[12:13], 29, v[1:2]
	v_mov_b32_e32 v2, v6
	v_ashrrev_i64 v[1:2], 29, v[1:2]
	v_add_co_u32 v12, s5, s8, v12
	v_add_co_ci_u32_e64 v13, null, s9, v13, s5
	v_add_co_u32 v1, s5, s8, v1
	v_add_co_ci_u32_e64 v2, null, s9, v2, s5
	s_clause 0x1
	global_load_dwordx2 v[12:13], v[12:13], off
	global_load_dwordx2 v[1:2], v[1:2], off
	s_waitcnt vmcnt(0)
	v_cmpx_lt_i64_e64 v[12:13], v[1:2]
	s_cbranch_execz .LBB930_228
; %bb.227:
	v_mov_b32_e32 v24, v4
	v_mov_b32_e32 v25, v5
	;; [unrolled: 1-line block ×16, first 2 shown]
.LBB930_228:
	s_or_b32 exec_lo, exec_lo, s10
	s_or_b32 exec_lo, exec_lo, s6
	s_and_saveexec_b32 s5, s3
	s_cbranch_execz .LBB930_221
.LBB930_229:
	v_mov_b32_e32 v1, 0
	v_mov_b32_e32 v2, v6
	s_mov_b32 s6, exec_lo
	v_ashrrev_i64 v[12:13], 29, v[1:2]
	v_mov_b32_e32 v2, v4
	v_ashrrev_i64 v[1:2], 29, v[1:2]
	v_add_co_u32 v12, s3, s8, v12
	v_add_co_ci_u32_e64 v13, null, s9, v13, s3
	v_add_co_u32 v1, s3, s8, v1
	v_add_co_ci_u32_e64 v2, null, s9, v2, s3
	s_clause 0x1
	global_load_dwordx2 v[12:13], v[12:13], off
	global_load_dwordx2 v[1:2], v[1:2], off
	s_waitcnt vmcnt(0)
	v_cmpx_lt_i64_e64 v[12:13], v[1:2]
	s_cbranch_execz .LBB930_231
; %bb.230:
	v_mov_b32_e32 v24, v6
	v_mov_b32_e32 v25, v7
	;; [unrolled: 1-line block ×16, first 2 shown]
.LBB930_231:
	s_or_b32 exec_lo, exec_lo, s6
	s_or_b32 exec_lo, exec_lo, s5
	s_and_saveexec_b32 s3, s2
	s_cbranch_execz .LBB930_222
.LBB930_232:
	v_mov_b32_e32 v1, 0
	v_mov_b32_e32 v2, v10
	s_mov_b32 s5, exec_lo
	v_ashrrev_i64 v[12:13], 29, v[1:2]
	v_mov_b32_e32 v2, v8
	v_ashrrev_i64 v[1:2], 29, v[1:2]
	v_add_co_u32 v12, s2, s8, v12
	v_add_co_ci_u32_e64 v13, null, s9, v13, s2
	v_add_co_u32 v1, s2, s8, v1
	v_add_co_ci_u32_e64 v2, null, s9, v2, s2
	s_clause 0x1
	global_load_dwordx2 v[12:13], v[12:13], off
	global_load_dwordx2 v[1:2], v[1:2], off
	s_waitcnt vmcnt(0)
	v_cmpx_lt_i64_e64 v[12:13], v[1:2]
	s_cbranch_execz .LBB930_234
; %bb.233:
	v_mov_b32_e32 v24, v4
	v_mov_b32_e32 v25, v5
	;; [unrolled: 1-line block ×16, first 2 shown]
.LBB930_234:
	s_or_b32 exec_lo, exec_lo, s5
	s_or_b32 exec_lo, exec_lo, s3
	s_and_saveexec_b32 s3, s4
	s_cbranch_execz .LBB930_238
.LBB930_235:
	v_mov_b32_e32 v1, 0
	v_mov_b32_e32 v2, v8
	s_mov_b32 s4, exec_lo
	v_ashrrev_i64 v[12:13], 29, v[1:2]
	v_mov_b32_e32 v2, v6
	v_ashrrev_i64 v[1:2], 29, v[1:2]
	v_add_co_u32 v12, s2, s8, v12
	v_add_co_ci_u32_e64 v13, null, s9, v13, s2
	v_add_co_u32 v1, s2, s8, v1
	v_add_co_ci_u32_e64 v2, null, s9, v2, s2
	s_clause 0x1
	global_load_dwordx2 v[12:13], v[12:13], off
	global_load_dwordx2 v[1:2], v[1:2], off
	s_waitcnt vmcnt(0)
	v_cmpx_lt_i64_e64 v[12:13], v[1:2]
	s_cbranch_execz .LBB930_237
; %bb.236:
	v_mov_b32_e32 v24, v4
	v_mov_b32_e32 v25, v5
	;; [unrolled: 1-line block ×16, first 2 shown]
.LBB930_237:
	s_or_b32 exec_lo, exec_lo, s4
.LBB930_238:
	s_or_b32 exec_lo, exec_lo, s3
	v_mbcnt_lo_u32_b32 v1, -1, 0
	v_and_b32_e32 v2, 0xffffff80, v3
	s_mov_b32 s3, 0
	s_mov_b32 s4, exec_lo
	v_lshlrev_b32_e32 v25, 2, v1
	v_sub_nc_u32_e64 v18, s12, v2 clamp
	v_lshlrev_b32_e32 v17, 3, v2
	v_or_b32_e32 v3, 4, v25
	v_and_b32_e32 v12, 4, v25
	v_and_b32_e32 v13, 0x78, v25
	v_lshl_or_b32 v26, v1, 5, v17
	ds_write_b128 v26, v[4:7]
	ds_write_b128 v26, v[8:11] offset:16
	v_min_u32_e32 v27, v18, v3
	v_min_u32_e32 v14, v18, v12
	; wave barrier
	v_add_nc_u32_e32 v3, 4, v27
	v_sub_nc_u32_e32 v12, v27, v13
	v_min_u32_e32 v28, v18, v3
	v_min_u32_e32 v15, v14, v12
	v_lshl_or_b32 v12, v13, 3, v17
	v_sub_nc_u32_e32 v3, v28, v27
	v_sub_nc_u32_e64 v3, v14, v3 clamp
	v_cmpx_lt_u32_e64 v3, v15
	s_cbranch_execz .LBB930_242
; %bb.239:
	v_lshlrev_b32_e32 v1, 3, v27
	v_lshlrev_b32_e32 v2, 3, v14
	v_add3_u32 v16, v17, v1, v2
	v_mov_b32_e32 v1, 0
	s_inst_prefetch 0x1
	.p2align	6
.LBB930_240:                            ; =>This Inner Loop Header: Depth=1
	v_add_nc_u32_e32 v2, v15, v3
	v_lshrrev_b32_e32 v24, 1, v2
	v_not_b32_e32 v2, v24
	v_lshl_add_u32 v31, v24, 3, v12
	v_lshl_add_u32 v2, v2, 3, v16
	ds_read_b32 v2, v2
	s_waitcnt lgkmcnt(0)
	v_ashrrev_i64 v[29:30], 29, v[1:2]
	ds_read_b32 v2, v31
	v_add_co_u32 v29, s2, s8, v29
	v_add_co_ci_u32_e64 v30, null, s9, v30, s2
	s_waitcnt lgkmcnt(0)
	v_ashrrev_i64 v[31:32], 29, v[1:2]
	v_add_nc_u32_e32 v2, 1, v24
	v_add_co_u32 v31, s2, s8, v31
	v_add_co_ci_u32_e64 v32, null, s9, v32, s2
	s_clause 0x1
	global_load_dwordx2 v[29:30], v[29:30], off
	global_load_dwordx2 v[31:32], v[31:32], off
	s_waitcnt vmcnt(0)
	v_cmp_lt_i64_e64 s2, v[29:30], v[31:32]
	v_cndmask_b32_e64 v15, v15, v24, s2
	v_cndmask_b32_e64 v3, v2, v3, s2
	v_cmp_ge_u32_e64 s2, v3, v15
	s_or_b32 s3, s2, s3
	s_andn2_b32 exec_lo, exec_lo, s3
	s_cbranch_execnz .LBB930_240
; %bb.241:
	s_inst_prefetch 0x2
	s_or_b32 exec_lo, exec_lo, s3
.LBB930_242:
	s_or_b32 exec_lo, exec_lo, s4
	v_add_nc_u32_e32 v1, v27, v14
	v_add_nc_u32_e32 v13, v3, v13
	v_lshlrev_b32_e32 v24, 2, v0
	v_sub_nc_u32_e32 v14, v1, v3
	v_cmp_le_u32_e64 s2, v13, v27
	v_cmp_le_u32_e64 s3, v14, v28
	s_or_b32 s2, s2, s3
	s_and_saveexec_b32 s4, s2
	s_cbranch_execz .LBB930_262
; %bb.243:
	v_cmp_ge_u32_e64 s2, v13, v27
	s_mov_b32 s5, exec_lo
                                        ; implicit-def: $vgpr1_vgpr2
	v_cmpx_lt_u32_e64 v13, v27
; %bb.244:
	v_lshl_add_u32 v1, v3, 3, v12
	ds_read_b64 v[1:2], v1
; %bb.245:
	s_or_b32 exec_lo, exec_lo, s5
	v_cmp_ge_u32_e64 s5, v14, v28
	s_mov_b32 s6, exec_lo
                                        ; implicit-def: $vgpr3_vgpr4
	v_cmpx_lt_u32_e64 v14, v28
; %bb.246:
	v_lshl_add_u32 v3, v14, 3, v17
	ds_read_b64 v[3:4], v3
; %bb.247:
	s_or_b32 exec_lo, exec_lo, s6
	s_nor_b32 s2, s2, s5
	s_and_saveexec_b32 s3, s2
	s_cbranch_execz .LBB930_249
; %bb.248:
	v_mov_b32_e32 v5, 0
	s_waitcnt lgkmcnt(0)
	v_mov_b32_e32 v6, v3
	s_andn2_b32 s5, s5, exec_lo
	v_ashrrev_i64 v[7:8], 29, v[5:6]
	v_mov_b32_e32 v6, v1
	v_ashrrev_i64 v[5:6], 29, v[5:6]
	v_add_co_u32 v7, s2, s8, v7
	v_add_co_ci_u32_e64 v8, null, s9, v8, s2
	v_add_co_u32 v5, s2, s8, v5
	v_add_co_ci_u32_e64 v6, null, s9, v6, s2
	s_clause 0x1
	global_load_dwordx2 v[7:8], v[7:8], off
	global_load_dwordx2 v[5:6], v[5:6], off
	s_waitcnt vmcnt(0)
	v_cmp_ge_i64_e64 s2, v[7:8], v[5:6]
	s_and_b32 s2, s2, exec_lo
	s_or_b32 s5, s5, s2
.LBB930_249:
	s_or_b32 exec_lo, exec_lo, s3
	v_cndmask_b32_e64 v5, v14, v13, s5
	v_cndmask_b32_e64 v6, v28, v27, s5
	s_mov_b32 s3, -1
	s_mov_b32 s6, -1
	s_mov_b32 s10, exec_lo
	v_add_nc_u32_e32 v5, 1, v5
	v_add_nc_u32_e32 v6, -1, v6
	v_cndmask_b32_e64 v10, v5, v14, s5
	v_min_u32_e32 v6, v5, v6
	v_cndmask_b32_e64 v11, v13, v5, s5
	v_lshl_add_u32 v6, v6, 3, v17
	ds_read_b64 v[7:8], v6
	s_waitcnt lgkmcnt(0)
	v_cndmask_b32_e64 v9, v8, v4, s5
	v_cndmask_b32_e64 v6, v7, v3, s5
	v_cndmask_b32_e64 v29, v2, v8, s5
	v_cndmask_b32_e64 v8, v1, v7, s5
	v_cmpx_lt_u32_e64 v10, v28
	s_cbranch_execz .LBB930_253
; %bb.250:
	s_mov_b32 s13, 0
	s_mov_b32 s6, exec_lo
	v_cmpx_lt_u32_e64 v11, v27
	s_cbranch_execz .LBB930_252
; %bb.251:
	v_mov_b32_e32 v5, 0
	v_mov_b32_e32 v7, v5
	v_ashrrev_i64 v[12:13], 29, v[5:6]
	v_ashrrev_i64 v[14:15], 29, v[7:8]
	v_add_co_u32 v12, s2, s8, v12
	v_add_co_ci_u32_e64 v13, null, s9, v13, s2
	v_add_co_u32 v14, s2, s8, v14
	v_add_co_ci_u32_e64 v15, null, s9, v15, s2
	s_clause 0x1
	global_load_dwordx2 v[12:13], v[12:13], off
	global_load_dwordx2 v[14:15], v[14:15], off
	s_waitcnt vmcnt(0)
	v_cmp_ge_i64_e64 s2, v[12:13], v[14:15]
	s_and_b32 s13, s2, exec_lo
.LBB930_252:
	s_or_b32 exec_lo, exec_lo, s6
	s_orn2_b32 s6, s13, exec_lo
.LBB930_253:
	s_or_b32 exec_lo, exec_lo, s10
	v_cndmask_b32_e64 v5, v10, v11, s6
	v_cndmask_b32_e64 v7, v28, v27, s6
	s_mov_b32 s10, exec_lo
	v_add_nc_u32_e32 v5, 1, v5
	v_add_nc_u32_e32 v7, -1, v7
	v_min_u32_e32 v7, v5, v7
	v_lshl_add_u32 v7, v7, 3, v17
	ds_read_b64 v[13:14], v7
	v_cndmask_b32_e64 v7, v5, v10, s6
	v_cndmask_b32_e64 v5, v11, v5, s6
	s_waitcnt lgkmcnt(0)
	v_cndmask_b32_e64 v30, v14, v9, s6
	v_cndmask_b32_e64 v12, v13, v6, s6
	;; [unrolled: 1-line block ×4, first 2 shown]
	v_cmpx_lt_u32_e64 v7, v28
	s_cbranch_execz .LBB930_257
; %bb.254:
	s_mov_b32 s13, 0
	s_mov_b32 s3, exec_lo
	v_cmpx_lt_u32_e64 v5, v27
	s_cbranch_execz .LBB930_256
; %bb.255:
	v_mov_b32_e32 v11, 0
	v_mov_b32_e32 v13, v11
	v_ashrrev_i64 v[10:11], 29, v[11:12]
	v_ashrrev_i64 v[15:16], 29, v[13:14]
	v_add_co_u32 v10, s2, s8, v10
	v_add_co_ci_u32_e64 v11, null, s9, v11, s2
	v_add_co_u32 v15, s2, s8, v15
	v_add_co_ci_u32_e64 v16, null, s9, v16, s2
	s_clause 0x1
	global_load_dwordx2 v[10:11], v[10:11], off
	global_load_dwordx2 v[15:16], v[15:16], off
	s_waitcnt vmcnt(0)
	v_cmp_ge_i64_e64 s2, v[10:11], v[15:16]
	s_and_b32 s13, s2, exec_lo
.LBB930_256:
	s_or_b32 exec_lo, exec_lo, s3
	s_orn2_b32 s3, s13, exec_lo
.LBB930_257:
	s_or_b32 exec_lo, exec_lo, s10
	v_cndmask_b32_e64 v10, v7, v5, s3
	v_cndmask_b32_e64 v11, v28, v27, s3
	s_mov_b32 s10, exec_lo
	v_add_nc_u32_e32 v13, 1, v10
	v_add_nc_u32_e32 v10, -1, v11
	v_cndmask_b32_e64 v7, v13, v7, s3
	v_min_u32_e32 v10, v13, v10
	v_lshl_add_u32 v10, v10, 3, v17
	ds_read_b64 v[15:16], v10
	s_waitcnt lgkmcnt(0)
	v_cndmask_b32_e64 v11, v31, v16, s3
	v_cndmask_b32_e64 v10, v14, v15, s3
	v_cmpx_lt_u32_e64 v7, v28
	s_cbranch_execz .LBB930_261
; %bb.258:
	v_cndmask_b32_e64 v5, v5, v13, s3
	v_cndmask_b32_e64 v16, v16, v30, s3
	;; [unrolled: 1-line block ×3, first 2 shown]
	s_mov_b32 s13, exec_lo
	v_cmpx_lt_u32_e64 v5, v27
	s_cbranch_execz .LBB930_260
; %bb.259:
	v_mov_b32_e32 v27, 0
	v_mov_b32_e32 v28, v15
	v_ashrrev_i64 v[32:33], 29, v[27:28]
	v_mov_b32_e32 v28, v10
	v_ashrrev_i64 v[27:28], 29, v[27:28]
	v_add_co_u32 v32, s2, s8, v32
	v_add_co_ci_u32_e64 v33, null, s9, v33, s2
	v_add_co_u32 v27, s2, s8, v27
	v_add_co_ci_u32_e64 v28, null, s9, v28, s2
	s_clause 0x1
	global_load_dwordx2 v[32:33], v[32:33], off
	global_load_dwordx2 v[27:28], v[27:28], off
	s_waitcnt vmcnt(0)
	v_cmp_lt_i64_e64 s2, v[32:33], v[27:28]
	v_cndmask_b32_e64 v16, v11, v16, s2
	v_cndmask_b32_e64 v15, v10, v15, s2
.LBB930_260:
	s_or_b32 exec_lo, exec_lo, s13
	v_mov_b32_e32 v10, v15
	v_mov_b32_e32 v11, v16
.LBB930_261:
	s_or_b32 exec_lo, exec_lo, s10
	v_cndmask_b32_e64 v5, v4, v2, s5
	v_cndmask_b32_e64 v4, v3, v1, s5
	v_cndmask_b32_e64 v7, v9, v29, s6
	v_cndmask_b32_e64 v6, v6, v8, s6
	v_cndmask_b32_e64 v9, v30, v31, s3
	v_cndmask_b32_e64 v8, v12, v14, s3
.LBB930_262:
	s_or_b32 exec_lo, exec_lo, s4
	v_and_b32_e32 v13, 0x70, v25
	v_and_b32_e32 v2, 12, v25
	s_mov_b32 s3, exec_lo
	; wave barrier
	v_or_b32_e32 v1, 8, v13
	v_min_u32_e32 v14, v18, v2
	v_lshl_add_u32 v12, v13, 3, v17
	ds_write_b128 v26, v[4:7]
	ds_write_b128 v26, v[8:11] offset:16
	v_min_u32_e32 v27, v18, v1
	; wave barrier
	v_add_nc_u32_e32 v1, 8, v27
	v_sub_nc_u32_e32 v2, v27, v13
	v_min_u32_e32 v28, v18, v1
	v_min_u32_e32 v15, v14, v2
	v_sub_nc_u32_e32 v1, v28, v27
	v_sub_nc_u32_e64 v3, v14, v1 clamp
	v_cmpx_lt_u32_e64 v3, v15
	s_cbranch_execz .LBB930_266
; %bb.263:
	v_lshlrev_b32_e32 v1, 3, v27
	v_lshlrev_b32_e32 v2, 3, v14
	s_mov_b32 s4, 0
	v_add3_u32 v16, v17, v1, v2
	v_mov_b32_e32 v1, 0
	s_inst_prefetch 0x1
	.p2align	6
.LBB930_264:                            ; =>This Inner Loop Header: Depth=1
	v_add_nc_u32_e32 v2, v15, v3
	v_lshrrev_b32_e32 v33, 1, v2
	v_not_b32_e32 v2, v33
	v_lshl_add_u32 v31, v33, 3, v12
	v_lshl_add_u32 v2, v2, 3, v16
	ds_read_b32 v2, v2
	s_waitcnt lgkmcnt(0)
	v_ashrrev_i64 v[29:30], 29, v[1:2]
	ds_read_b32 v2, v31
	v_add_co_u32 v29, s2, s8, v29
	v_add_co_ci_u32_e64 v30, null, s9, v30, s2
	s_waitcnt lgkmcnt(0)
	v_ashrrev_i64 v[31:32], 29, v[1:2]
	v_add_nc_u32_e32 v2, 1, v33
	v_add_co_u32 v31, s2, s8, v31
	v_add_co_ci_u32_e64 v32, null, s9, v32, s2
	s_clause 0x1
	global_load_dwordx2 v[29:30], v[29:30], off
	global_load_dwordx2 v[31:32], v[31:32], off
	s_waitcnt vmcnt(0)
	v_cmp_lt_i64_e64 s2, v[29:30], v[31:32]
	v_cndmask_b32_e64 v15, v15, v33, s2
	v_cndmask_b32_e64 v3, v2, v3, s2
	v_cmp_ge_u32_e64 s2, v3, v15
	s_or_b32 s4, s2, s4
	s_andn2_b32 exec_lo, exec_lo, s4
	s_cbranch_execnz .LBB930_264
; %bb.265:
	s_inst_prefetch 0x2
	s_or_b32 exec_lo, exec_lo, s4
.LBB930_266:
	s_or_b32 exec_lo, exec_lo, s3
	v_add_nc_u32_e32 v1, v27, v14
	v_add_nc_u32_e32 v13, v3, v13
	v_sub_nc_u32_e32 v14, v1, v3
	v_cmp_le_u32_e64 s2, v13, v27
	v_cmp_le_u32_e64 s3, v14, v28
	s_or_b32 s2, s2, s3
	s_and_saveexec_b32 s4, s2
	s_cbranch_execz .LBB930_286
; %bb.267:
	v_cmp_ge_u32_e64 s2, v13, v27
	s_mov_b32 s5, exec_lo
                                        ; implicit-def: $vgpr1_vgpr2
	v_cmpx_lt_u32_e64 v13, v27
; %bb.268:
	v_lshl_add_u32 v1, v3, 3, v12
	ds_read_b64 v[1:2], v1
; %bb.269:
	s_or_b32 exec_lo, exec_lo, s5
	v_cmp_ge_u32_e64 s5, v14, v28
	s_mov_b32 s6, exec_lo
                                        ; implicit-def: $vgpr3_vgpr4
	v_cmpx_lt_u32_e64 v14, v28
; %bb.270:
	v_lshl_add_u32 v3, v14, 3, v17
	ds_read_b64 v[3:4], v3
; %bb.271:
	s_or_b32 exec_lo, exec_lo, s6
	s_nor_b32 s2, s2, s5
	s_and_saveexec_b32 s3, s2
	s_cbranch_execz .LBB930_273
; %bb.272:
	v_mov_b32_e32 v5, 0
	s_waitcnt lgkmcnt(0)
	v_mov_b32_e32 v6, v3
	s_andn2_b32 s5, s5, exec_lo
	v_ashrrev_i64 v[7:8], 29, v[5:6]
	v_mov_b32_e32 v6, v1
	v_ashrrev_i64 v[5:6], 29, v[5:6]
	v_add_co_u32 v7, s2, s8, v7
	v_add_co_ci_u32_e64 v8, null, s9, v8, s2
	v_add_co_u32 v5, s2, s8, v5
	v_add_co_ci_u32_e64 v6, null, s9, v6, s2
	s_clause 0x1
	global_load_dwordx2 v[7:8], v[7:8], off
	global_load_dwordx2 v[5:6], v[5:6], off
	s_waitcnt vmcnt(0)
	v_cmp_ge_i64_e64 s2, v[7:8], v[5:6]
	s_and_b32 s2, s2, exec_lo
	s_or_b32 s5, s5, s2
.LBB930_273:
	s_or_b32 exec_lo, exec_lo, s3
	v_cndmask_b32_e64 v5, v14, v13, s5
	v_cndmask_b32_e64 v6, v28, v27, s5
	s_mov_b32 s3, -1
	s_mov_b32 s6, -1
	s_mov_b32 s10, exec_lo
	v_add_nc_u32_e32 v5, 1, v5
	v_add_nc_u32_e32 v6, -1, v6
	v_cndmask_b32_e64 v10, v5, v14, s5
	v_min_u32_e32 v6, v5, v6
	v_cndmask_b32_e64 v11, v13, v5, s5
	v_lshl_add_u32 v6, v6, 3, v17
	ds_read_b64 v[7:8], v6
	s_waitcnt lgkmcnt(0)
	v_cndmask_b32_e64 v9, v8, v4, s5
	v_cndmask_b32_e64 v6, v7, v3, s5
	;; [unrolled: 1-line block ×4, first 2 shown]
	v_cmpx_lt_u32_e64 v10, v28
	s_cbranch_execz .LBB930_277
; %bb.274:
	s_mov_b32 s13, 0
	s_mov_b32 s6, exec_lo
	v_cmpx_lt_u32_e64 v11, v27
	s_cbranch_execz .LBB930_276
; %bb.275:
	v_mov_b32_e32 v5, 0
	v_mov_b32_e32 v7, v5
	v_ashrrev_i64 v[12:13], 29, v[5:6]
	v_ashrrev_i64 v[14:15], 29, v[7:8]
	v_add_co_u32 v12, s2, s8, v12
	v_add_co_ci_u32_e64 v13, null, s9, v13, s2
	v_add_co_u32 v14, s2, s8, v14
	v_add_co_ci_u32_e64 v15, null, s9, v15, s2
	s_clause 0x1
	global_load_dwordx2 v[12:13], v[12:13], off
	global_load_dwordx2 v[14:15], v[14:15], off
	s_waitcnt vmcnt(0)
	v_cmp_ge_i64_e64 s2, v[12:13], v[14:15]
	s_and_b32 s13, s2, exec_lo
.LBB930_276:
	s_or_b32 exec_lo, exec_lo, s6
	s_orn2_b32 s6, s13, exec_lo
.LBB930_277:
	s_or_b32 exec_lo, exec_lo, s10
	v_cndmask_b32_e64 v5, v10, v11, s6
	v_cndmask_b32_e64 v7, v28, v27, s6
	s_mov_b32 s10, exec_lo
	v_add_nc_u32_e32 v5, 1, v5
	v_add_nc_u32_e32 v7, -1, v7
	v_min_u32_e32 v7, v5, v7
	v_lshl_add_u32 v7, v7, 3, v17
	ds_read_b64 v[13:14], v7
	v_cndmask_b32_e64 v7, v5, v10, s6
	v_cndmask_b32_e64 v5, v11, v5, s6
	s_waitcnt lgkmcnt(0)
	v_cndmask_b32_e64 v30, v14, v9, s6
	v_cndmask_b32_e64 v12, v13, v6, s6
	;; [unrolled: 1-line block ×4, first 2 shown]
	v_cmpx_lt_u32_e64 v7, v28
	s_cbranch_execz .LBB930_281
; %bb.278:
	s_mov_b32 s13, 0
	s_mov_b32 s3, exec_lo
	v_cmpx_lt_u32_e64 v5, v27
	s_cbranch_execz .LBB930_280
; %bb.279:
	v_mov_b32_e32 v11, 0
	v_mov_b32_e32 v13, v11
	v_ashrrev_i64 v[10:11], 29, v[11:12]
	v_ashrrev_i64 v[15:16], 29, v[13:14]
	v_add_co_u32 v10, s2, s8, v10
	v_add_co_ci_u32_e64 v11, null, s9, v11, s2
	v_add_co_u32 v15, s2, s8, v15
	v_add_co_ci_u32_e64 v16, null, s9, v16, s2
	s_clause 0x1
	global_load_dwordx2 v[10:11], v[10:11], off
	global_load_dwordx2 v[15:16], v[15:16], off
	s_waitcnt vmcnt(0)
	v_cmp_ge_i64_e64 s2, v[10:11], v[15:16]
	s_and_b32 s13, s2, exec_lo
.LBB930_280:
	s_or_b32 exec_lo, exec_lo, s3
	s_orn2_b32 s3, s13, exec_lo
.LBB930_281:
	s_or_b32 exec_lo, exec_lo, s10
	v_cndmask_b32_e64 v10, v7, v5, s3
	v_cndmask_b32_e64 v11, v28, v27, s3
	s_mov_b32 s10, exec_lo
	v_add_nc_u32_e32 v13, 1, v10
	v_add_nc_u32_e32 v10, -1, v11
	v_cndmask_b32_e64 v7, v13, v7, s3
	v_min_u32_e32 v10, v13, v10
	v_lshl_add_u32 v10, v10, 3, v17
	ds_read_b64 v[15:16], v10
	s_waitcnt lgkmcnt(0)
	v_cndmask_b32_e64 v11, v31, v16, s3
	v_cndmask_b32_e64 v10, v14, v15, s3
	v_cmpx_lt_u32_e64 v7, v28
	s_cbranch_execz .LBB930_285
; %bb.282:
	v_cndmask_b32_e64 v5, v5, v13, s3
	v_cndmask_b32_e64 v16, v16, v30, s3
	;; [unrolled: 1-line block ×3, first 2 shown]
	s_mov_b32 s13, exec_lo
	v_cmpx_lt_u32_e64 v5, v27
	s_cbranch_execz .LBB930_284
; %bb.283:
	v_mov_b32_e32 v27, 0
	v_mov_b32_e32 v28, v15
	v_ashrrev_i64 v[32:33], 29, v[27:28]
	v_mov_b32_e32 v28, v10
	v_ashrrev_i64 v[27:28], 29, v[27:28]
	v_add_co_u32 v32, s2, s8, v32
	v_add_co_ci_u32_e64 v33, null, s9, v33, s2
	v_add_co_u32 v27, s2, s8, v27
	v_add_co_ci_u32_e64 v28, null, s9, v28, s2
	s_clause 0x1
	global_load_dwordx2 v[32:33], v[32:33], off
	global_load_dwordx2 v[27:28], v[27:28], off
	s_waitcnt vmcnt(0)
	v_cmp_lt_i64_e64 s2, v[32:33], v[27:28]
	v_cndmask_b32_e64 v16, v11, v16, s2
	v_cndmask_b32_e64 v15, v10, v15, s2
.LBB930_284:
	s_or_b32 exec_lo, exec_lo, s13
	v_mov_b32_e32 v10, v15
	v_mov_b32_e32 v11, v16
.LBB930_285:
	s_or_b32 exec_lo, exec_lo, s10
	v_cndmask_b32_e64 v5, v4, v2, s5
	v_cndmask_b32_e64 v4, v3, v1, s5
	v_cndmask_b32_e64 v7, v9, v29, s6
	v_cndmask_b32_e64 v6, v6, v8, s6
	v_cndmask_b32_e64 v9, v30, v31, s3
	v_cndmask_b32_e64 v8, v12, v14, s3
.LBB930_286:
	s_or_b32 exec_lo, exec_lo, s4
	v_and_b32_e32 v13, 0x60, v25
	v_and_b32_e32 v2, 28, v25
	s_mov_b32 s3, exec_lo
	; wave barrier
	v_or_b32_e32 v1, 16, v13
	v_min_u32_e32 v14, v18, v2
	v_lshl_add_u32 v12, v13, 3, v17
	ds_write_b128 v26, v[4:7]
	ds_write_b128 v26, v[8:11] offset:16
	v_min_u32_e32 v27, v18, v1
	; wave barrier
	v_add_nc_u32_e32 v1, 16, v27
	v_sub_nc_u32_e32 v2, v27, v13
	v_min_u32_e32 v28, v18, v1
	v_min_u32_e32 v15, v14, v2
	v_sub_nc_u32_e32 v1, v28, v27
	v_sub_nc_u32_e64 v3, v14, v1 clamp
	v_cmpx_lt_u32_e64 v3, v15
	s_cbranch_execz .LBB930_290
; %bb.287:
	v_lshlrev_b32_e32 v1, 3, v27
	v_lshlrev_b32_e32 v2, 3, v14
	s_mov_b32 s4, 0
	v_add3_u32 v16, v17, v1, v2
	v_mov_b32_e32 v1, 0
	s_inst_prefetch 0x1
	.p2align	6
.LBB930_288:                            ; =>This Inner Loop Header: Depth=1
	v_add_nc_u32_e32 v2, v15, v3
	v_lshrrev_b32_e32 v33, 1, v2
	v_not_b32_e32 v2, v33
	v_lshl_add_u32 v31, v33, 3, v12
	v_lshl_add_u32 v2, v2, 3, v16
	ds_read_b32 v2, v2
	s_waitcnt lgkmcnt(0)
	v_ashrrev_i64 v[29:30], 29, v[1:2]
	ds_read_b32 v2, v31
	v_add_co_u32 v29, s2, s8, v29
	v_add_co_ci_u32_e64 v30, null, s9, v30, s2
	s_waitcnt lgkmcnt(0)
	v_ashrrev_i64 v[31:32], 29, v[1:2]
	v_add_nc_u32_e32 v2, 1, v33
	v_add_co_u32 v31, s2, s8, v31
	v_add_co_ci_u32_e64 v32, null, s9, v32, s2
	s_clause 0x1
	global_load_dwordx2 v[29:30], v[29:30], off
	global_load_dwordx2 v[31:32], v[31:32], off
	s_waitcnt vmcnt(0)
	v_cmp_lt_i64_e64 s2, v[29:30], v[31:32]
	v_cndmask_b32_e64 v15, v15, v33, s2
	v_cndmask_b32_e64 v3, v2, v3, s2
	v_cmp_ge_u32_e64 s2, v3, v15
	s_or_b32 s4, s2, s4
	s_andn2_b32 exec_lo, exec_lo, s4
	s_cbranch_execnz .LBB930_288
; %bb.289:
	s_inst_prefetch 0x2
	s_or_b32 exec_lo, exec_lo, s4
.LBB930_290:
	s_or_b32 exec_lo, exec_lo, s3
	v_add_nc_u32_e32 v1, v27, v14
	v_add_nc_u32_e32 v13, v3, v13
	v_sub_nc_u32_e32 v14, v1, v3
	v_cmp_le_u32_e64 s2, v13, v27
	v_cmp_le_u32_e64 s3, v14, v28
	s_or_b32 s2, s2, s3
	s_and_saveexec_b32 s4, s2
	s_cbranch_execz .LBB930_310
; %bb.291:
	v_cmp_ge_u32_e64 s2, v13, v27
	s_mov_b32 s5, exec_lo
                                        ; implicit-def: $vgpr1_vgpr2
	v_cmpx_lt_u32_e64 v13, v27
; %bb.292:
	v_lshl_add_u32 v1, v3, 3, v12
	ds_read_b64 v[1:2], v1
; %bb.293:
	s_or_b32 exec_lo, exec_lo, s5
	v_cmp_ge_u32_e64 s5, v14, v28
	s_mov_b32 s6, exec_lo
                                        ; implicit-def: $vgpr3_vgpr4
	v_cmpx_lt_u32_e64 v14, v28
; %bb.294:
	v_lshl_add_u32 v3, v14, 3, v17
	ds_read_b64 v[3:4], v3
; %bb.295:
	s_or_b32 exec_lo, exec_lo, s6
	s_nor_b32 s2, s2, s5
	s_and_saveexec_b32 s3, s2
	s_cbranch_execz .LBB930_297
; %bb.296:
	v_mov_b32_e32 v5, 0
	s_waitcnt lgkmcnt(0)
	v_mov_b32_e32 v6, v3
	s_andn2_b32 s5, s5, exec_lo
	v_ashrrev_i64 v[7:8], 29, v[5:6]
	v_mov_b32_e32 v6, v1
	v_ashrrev_i64 v[5:6], 29, v[5:6]
	v_add_co_u32 v7, s2, s8, v7
	v_add_co_ci_u32_e64 v8, null, s9, v8, s2
	v_add_co_u32 v5, s2, s8, v5
	v_add_co_ci_u32_e64 v6, null, s9, v6, s2
	s_clause 0x1
	global_load_dwordx2 v[7:8], v[7:8], off
	global_load_dwordx2 v[5:6], v[5:6], off
	s_waitcnt vmcnt(0)
	v_cmp_ge_i64_e64 s2, v[7:8], v[5:6]
	s_and_b32 s2, s2, exec_lo
	s_or_b32 s5, s5, s2
.LBB930_297:
	s_or_b32 exec_lo, exec_lo, s3
	v_cndmask_b32_e64 v5, v14, v13, s5
	v_cndmask_b32_e64 v6, v28, v27, s5
	s_mov_b32 s3, -1
	s_mov_b32 s6, -1
	s_mov_b32 s10, exec_lo
	v_add_nc_u32_e32 v5, 1, v5
	v_add_nc_u32_e32 v6, -1, v6
	v_cndmask_b32_e64 v10, v5, v14, s5
	v_min_u32_e32 v6, v5, v6
	v_cndmask_b32_e64 v11, v13, v5, s5
	v_lshl_add_u32 v6, v6, 3, v17
	ds_read_b64 v[7:8], v6
	s_waitcnt lgkmcnt(0)
	v_cndmask_b32_e64 v9, v8, v4, s5
	v_cndmask_b32_e64 v6, v7, v3, s5
	;; [unrolled: 1-line block ×4, first 2 shown]
	v_cmpx_lt_u32_e64 v10, v28
	s_cbranch_execz .LBB930_301
; %bb.298:
	s_mov_b32 s13, 0
	s_mov_b32 s6, exec_lo
	v_cmpx_lt_u32_e64 v11, v27
	s_cbranch_execz .LBB930_300
; %bb.299:
	v_mov_b32_e32 v5, 0
	v_mov_b32_e32 v7, v5
	v_ashrrev_i64 v[12:13], 29, v[5:6]
	v_ashrrev_i64 v[14:15], 29, v[7:8]
	v_add_co_u32 v12, s2, s8, v12
	v_add_co_ci_u32_e64 v13, null, s9, v13, s2
	v_add_co_u32 v14, s2, s8, v14
	v_add_co_ci_u32_e64 v15, null, s9, v15, s2
	s_clause 0x1
	global_load_dwordx2 v[12:13], v[12:13], off
	global_load_dwordx2 v[14:15], v[14:15], off
	s_waitcnt vmcnt(0)
	v_cmp_ge_i64_e64 s2, v[12:13], v[14:15]
	s_and_b32 s13, s2, exec_lo
.LBB930_300:
	s_or_b32 exec_lo, exec_lo, s6
	s_orn2_b32 s6, s13, exec_lo
.LBB930_301:
	s_or_b32 exec_lo, exec_lo, s10
	v_cndmask_b32_e64 v5, v10, v11, s6
	v_cndmask_b32_e64 v7, v28, v27, s6
	s_mov_b32 s10, exec_lo
	v_add_nc_u32_e32 v5, 1, v5
	v_add_nc_u32_e32 v7, -1, v7
	v_min_u32_e32 v7, v5, v7
	v_lshl_add_u32 v7, v7, 3, v17
	ds_read_b64 v[13:14], v7
	v_cndmask_b32_e64 v7, v5, v10, s6
	v_cndmask_b32_e64 v5, v11, v5, s6
	s_waitcnt lgkmcnt(0)
	v_cndmask_b32_e64 v30, v14, v9, s6
	v_cndmask_b32_e64 v12, v13, v6, s6
	;; [unrolled: 1-line block ×4, first 2 shown]
	v_cmpx_lt_u32_e64 v7, v28
	s_cbranch_execz .LBB930_305
; %bb.302:
	s_mov_b32 s13, 0
	s_mov_b32 s3, exec_lo
	v_cmpx_lt_u32_e64 v5, v27
	s_cbranch_execz .LBB930_304
; %bb.303:
	v_mov_b32_e32 v11, 0
	v_mov_b32_e32 v13, v11
	v_ashrrev_i64 v[10:11], 29, v[11:12]
	v_ashrrev_i64 v[15:16], 29, v[13:14]
	v_add_co_u32 v10, s2, s8, v10
	v_add_co_ci_u32_e64 v11, null, s9, v11, s2
	v_add_co_u32 v15, s2, s8, v15
	v_add_co_ci_u32_e64 v16, null, s9, v16, s2
	s_clause 0x1
	global_load_dwordx2 v[10:11], v[10:11], off
	global_load_dwordx2 v[15:16], v[15:16], off
	s_waitcnt vmcnt(0)
	v_cmp_ge_i64_e64 s2, v[10:11], v[15:16]
	s_and_b32 s13, s2, exec_lo
.LBB930_304:
	s_or_b32 exec_lo, exec_lo, s3
	s_orn2_b32 s3, s13, exec_lo
.LBB930_305:
	s_or_b32 exec_lo, exec_lo, s10
	v_cndmask_b32_e64 v10, v7, v5, s3
	v_cndmask_b32_e64 v11, v28, v27, s3
	s_mov_b32 s10, exec_lo
	v_add_nc_u32_e32 v13, 1, v10
	v_add_nc_u32_e32 v10, -1, v11
	v_cndmask_b32_e64 v7, v13, v7, s3
	v_min_u32_e32 v10, v13, v10
	v_lshl_add_u32 v10, v10, 3, v17
	ds_read_b64 v[15:16], v10
	s_waitcnt lgkmcnt(0)
	v_cndmask_b32_e64 v11, v31, v16, s3
	v_cndmask_b32_e64 v10, v14, v15, s3
	v_cmpx_lt_u32_e64 v7, v28
	s_cbranch_execz .LBB930_309
; %bb.306:
	v_cndmask_b32_e64 v5, v5, v13, s3
	v_cndmask_b32_e64 v16, v16, v30, s3
	;; [unrolled: 1-line block ×3, first 2 shown]
	s_mov_b32 s13, exec_lo
	v_cmpx_lt_u32_e64 v5, v27
	s_cbranch_execz .LBB930_308
; %bb.307:
	v_mov_b32_e32 v27, 0
	v_mov_b32_e32 v28, v15
	v_ashrrev_i64 v[32:33], 29, v[27:28]
	v_mov_b32_e32 v28, v10
	v_ashrrev_i64 v[27:28], 29, v[27:28]
	v_add_co_u32 v32, s2, s8, v32
	v_add_co_ci_u32_e64 v33, null, s9, v33, s2
	v_add_co_u32 v27, s2, s8, v27
	v_add_co_ci_u32_e64 v28, null, s9, v28, s2
	s_clause 0x1
	global_load_dwordx2 v[32:33], v[32:33], off
	global_load_dwordx2 v[27:28], v[27:28], off
	s_waitcnt vmcnt(0)
	v_cmp_lt_i64_e64 s2, v[32:33], v[27:28]
	v_cndmask_b32_e64 v16, v11, v16, s2
	v_cndmask_b32_e64 v15, v10, v15, s2
.LBB930_308:
	s_or_b32 exec_lo, exec_lo, s13
	v_mov_b32_e32 v10, v15
	v_mov_b32_e32 v11, v16
.LBB930_309:
	s_or_b32 exec_lo, exec_lo, s10
	v_cndmask_b32_e64 v5, v4, v2, s5
	v_cndmask_b32_e64 v4, v3, v1, s5
	v_cndmask_b32_e64 v7, v9, v29, s6
	v_cndmask_b32_e64 v6, v6, v8, s6
	v_cndmask_b32_e64 v9, v30, v31, s3
	v_cndmask_b32_e64 v8, v12, v14, s3
.LBB930_310:
	s_or_b32 exec_lo, exec_lo, s4
	v_and_b32_e32 v13, 64, v25
	v_and_b32_e32 v2, 60, v25
	s_mov_b32 s3, exec_lo
	; wave barrier
	v_or_b32_e32 v1, 32, v13
	v_min_u32_e32 v14, v18, v2
	v_lshl_add_u32 v12, v13, 3, v17
	ds_write_b128 v26, v[4:7]
	ds_write_b128 v26, v[8:11] offset:16
	v_min_u32_e32 v27, v18, v1
	; wave barrier
	v_add_nc_u32_e32 v1, 32, v27
	v_sub_nc_u32_e32 v2, v27, v13
	v_min_u32_e32 v25, v18, v1
	v_min_u32_e32 v15, v14, v2
	v_sub_nc_u32_e32 v1, v25, v27
	v_sub_nc_u32_e64 v3, v14, v1 clamp
	v_cmpx_lt_u32_e64 v3, v15
	s_cbranch_execz .LBB930_314
; %bb.311:
	v_lshlrev_b32_e32 v1, 3, v27
	v_lshlrev_b32_e32 v2, 3, v14
	s_mov_b32 s4, 0
	v_add3_u32 v16, v17, v1, v2
	v_mov_b32_e32 v1, 0
	s_inst_prefetch 0x1
	.p2align	6
.LBB930_312:                            ; =>This Inner Loop Header: Depth=1
	v_add_nc_u32_e32 v2, v15, v3
	v_lshrrev_b32_e32 v18, 1, v2
	v_not_b32_e32 v2, v18
	v_lshl_add_u32 v26, v18, 3, v12
	v_lshl_add_u32 v2, v2, 3, v16
	ds_read_b32 v2, v2
	s_waitcnt lgkmcnt(0)
	v_ashrrev_i64 v[28:29], 29, v[1:2]
	ds_read_b32 v2, v26
	v_add_co_u32 v28, s2, s8, v28
	v_add_co_ci_u32_e64 v29, null, s9, v29, s2
	s_waitcnt lgkmcnt(0)
	v_ashrrev_i64 v[30:31], 29, v[1:2]
	v_add_nc_u32_e32 v2, 1, v18
	v_add_co_u32 v30, s2, s8, v30
	v_add_co_ci_u32_e64 v31, null, s9, v31, s2
	s_clause 0x1
	global_load_dwordx2 v[28:29], v[28:29], off
	global_load_dwordx2 v[30:31], v[30:31], off
	s_waitcnt vmcnt(0)
	v_cmp_lt_i64_e64 s2, v[28:29], v[30:31]
	v_cndmask_b32_e64 v15, v15, v18, s2
	v_cndmask_b32_e64 v3, v2, v3, s2
	v_cmp_ge_u32_e64 s2, v3, v15
	s_or_b32 s4, s2, s4
	s_andn2_b32 exec_lo, exec_lo, s4
	s_cbranch_execnz .LBB930_312
; %bb.313:
	s_inst_prefetch 0x2
	s_or_b32 exec_lo, exec_lo, s4
.LBB930_314:
	s_or_b32 exec_lo, exec_lo, s3
	v_add_nc_u32_e32 v1, v27, v14
	v_add_nc_u32_e32 v13, v3, v13
	v_sub_nc_u32_e32 v14, v1, v3
	v_cmp_le_u32_e64 s2, v13, v27
	v_cmp_le_u32_e64 s3, v14, v25
	s_or_b32 s2, s2, s3
	s_and_saveexec_b32 s4, s2
	s_cbranch_execz .LBB930_334
; %bb.315:
	v_cmp_ge_u32_e64 s2, v13, v27
	s_mov_b32 s5, exec_lo
                                        ; implicit-def: $vgpr1_vgpr2
	v_cmpx_lt_u32_e64 v13, v27
; %bb.316:
	v_lshl_add_u32 v1, v3, 3, v12
	ds_read_b64 v[1:2], v1
; %bb.317:
	s_or_b32 exec_lo, exec_lo, s5
	v_cmp_ge_u32_e64 s5, v14, v25
	s_mov_b32 s6, exec_lo
                                        ; implicit-def: $vgpr3_vgpr4
	v_cmpx_lt_u32_e64 v14, v25
; %bb.318:
	v_lshl_add_u32 v3, v14, 3, v17
	ds_read_b64 v[3:4], v3
; %bb.319:
	s_or_b32 exec_lo, exec_lo, s6
	s_nor_b32 s2, s2, s5
	s_and_saveexec_b32 s3, s2
	s_cbranch_execz .LBB930_321
; %bb.320:
	v_mov_b32_e32 v5, 0
	s_waitcnt lgkmcnt(0)
	v_mov_b32_e32 v6, v3
	s_andn2_b32 s5, s5, exec_lo
	v_ashrrev_i64 v[7:8], 29, v[5:6]
	v_mov_b32_e32 v6, v1
	v_ashrrev_i64 v[5:6], 29, v[5:6]
	v_add_co_u32 v7, s2, s8, v7
	v_add_co_ci_u32_e64 v8, null, s9, v8, s2
	v_add_co_u32 v5, s2, s8, v5
	v_add_co_ci_u32_e64 v6, null, s9, v6, s2
	s_clause 0x1
	global_load_dwordx2 v[7:8], v[7:8], off
	global_load_dwordx2 v[5:6], v[5:6], off
	s_waitcnt vmcnt(0)
	v_cmp_ge_i64_e64 s2, v[7:8], v[5:6]
	s_and_b32 s2, s2, exec_lo
	s_or_b32 s5, s5, s2
.LBB930_321:
	s_or_b32 exec_lo, exec_lo, s3
	v_cndmask_b32_e64 v5, v14, v13, s5
	v_cndmask_b32_e64 v6, v25, v27, s5
	s_mov_b32 s3, -1
	s_mov_b32 s6, -1
	s_mov_b32 s10, exec_lo
	v_add_nc_u32_e32 v5, 1, v5
	v_add_nc_u32_e32 v6, -1, v6
	v_cndmask_b32_e64 v10, v5, v14, s5
	v_min_u32_e32 v6, v5, v6
	v_cndmask_b32_e64 v11, v13, v5, s5
	v_lshl_add_u32 v6, v6, 3, v17
	ds_read_b64 v[7:8], v6
	s_waitcnt lgkmcnt(0)
	v_cndmask_b32_e64 v9, v8, v4, s5
	v_cndmask_b32_e64 v6, v7, v3, s5
	;; [unrolled: 1-line block ×4, first 2 shown]
	v_cmpx_lt_u32_e64 v10, v25
	s_cbranch_execz .LBB930_325
; %bb.322:
	s_mov_b32 s13, 0
	s_mov_b32 s6, exec_lo
	v_cmpx_lt_u32_e64 v11, v27
	s_cbranch_execz .LBB930_324
; %bb.323:
	v_mov_b32_e32 v5, 0
	v_mov_b32_e32 v7, v5
	v_ashrrev_i64 v[12:13], 29, v[5:6]
	v_ashrrev_i64 v[14:15], 29, v[7:8]
	v_add_co_u32 v12, s2, s8, v12
	v_add_co_ci_u32_e64 v13, null, s9, v13, s2
	v_add_co_u32 v14, s2, s8, v14
	v_add_co_ci_u32_e64 v15, null, s9, v15, s2
	s_clause 0x1
	global_load_dwordx2 v[12:13], v[12:13], off
	global_load_dwordx2 v[14:15], v[14:15], off
	s_waitcnt vmcnt(0)
	v_cmp_ge_i64_e64 s2, v[12:13], v[14:15]
	s_and_b32 s13, s2, exec_lo
.LBB930_324:
	s_or_b32 exec_lo, exec_lo, s6
	s_orn2_b32 s6, s13, exec_lo
.LBB930_325:
	s_or_b32 exec_lo, exec_lo, s10
	v_cndmask_b32_e64 v5, v10, v11, s6
	v_cndmask_b32_e64 v7, v25, v27, s6
	s_mov_b32 s10, exec_lo
	v_add_nc_u32_e32 v5, 1, v5
	v_add_nc_u32_e32 v7, -1, v7
	v_min_u32_e32 v7, v5, v7
	v_lshl_add_u32 v7, v7, 3, v17
	ds_read_b64 v[13:14], v7
	v_cndmask_b32_e64 v7, v5, v10, s6
	v_cndmask_b32_e64 v5, v11, v5, s6
	s_waitcnt lgkmcnt(0)
	v_cndmask_b32_e64 v26, v14, v9, s6
	v_cndmask_b32_e64 v12, v13, v6, s6
	;; [unrolled: 1-line block ×4, first 2 shown]
	v_cmpx_lt_u32_e64 v7, v25
	s_cbranch_execz .LBB930_329
; %bb.326:
	s_mov_b32 s13, 0
	s_mov_b32 s3, exec_lo
	v_cmpx_lt_u32_e64 v5, v27
	s_cbranch_execz .LBB930_328
; %bb.327:
	v_mov_b32_e32 v11, 0
	v_mov_b32_e32 v13, v11
	v_ashrrev_i64 v[10:11], 29, v[11:12]
	v_ashrrev_i64 v[15:16], 29, v[13:14]
	v_add_co_u32 v10, s2, s8, v10
	v_add_co_ci_u32_e64 v11, null, s9, v11, s2
	v_add_co_u32 v15, s2, s8, v15
	v_add_co_ci_u32_e64 v16, null, s9, v16, s2
	s_clause 0x1
	global_load_dwordx2 v[10:11], v[10:11], off
	global_load_dwordx2 v[15:16], v[15:16], off
	s_waitcnt vmcnt(0)
	v_cmp_ge_i64_e64 s2, v[10:11], v[15:16]
	s_and_b32 s13, s2, exec_lo
.LBB930_328:
	s_or_b32 exec_lo, exec_lo, s3
	s_orn2_b32 s3, s13, exec_lo
.LBB930_329:
	s_or_b32 exec_lo, exec_lo, s10
	v_cndmask_b32_e64 v10, v7, v5, s3
	v_cndmask_b32_e64 v11, v25, v27, s3
	s_mov_b32 s10, exec_lo
	v_add_nc_u32_e32 v13, 1, v10
	v_add_nc_u32_e32 v10, -1, v11
	v_cndmask_b32_e64 v7, v13, v7, s3
	v_min_u32_e32 v10, v13, v10
	v_lshl_add_u32 v10, v10, 3, v17
	ds_read_b64 v[15:16], v10
	s_waitcnt lgkmcnt(0)
	v_cndmask_b32_e64 v11, v28, v16, s3
	v_cndmask_b32_e64 v10, v14, v15, s3
	v_cmpx_lt_u32_e64 v7, v25
	s_cbranch_execz .LBB930_333
; %bb.330:
	v_cndmask_b32_e64 v5, v5, v13, s3
	v_cndmask_b32_e64 v16, v16, v26, s3
	;; [unrolled: 1-line block ×3, first 2 shown]
	s_mov_b32 s13, exec_lo
	v_cmpx_lt_u32_e64 v5, v27
	s_cbranch_execz .LBB930_332
; %bb.331:
	v_mov_b32_e32 v29, 0
	v_mov_b32_e32 v30, v15
	v_ashrrev_i64 v[31:32], 29, v[29:30]
	v_mov_b32_e32 v30, v10
	v_ashrrev_i64 v[29:30], 29, v[29:30]
	v_add_co_u32 v31, s2, s8, v31
	v_add_co_ci_u32_e64 v32, null, s9, v32, s2
	v_add_co_u32 v29, s2, s8, v29
	v_add_co_ci_u32_e64 v30, null, s9, v30, s2
	s_clause 0x1
	global_load_dwordx2 v[31:32], v[31:32], off
	global_load_dwordx2 v[29:30], v[29:30], off
	s_waitcnt vmcnt(0)
	v_cmp_lt_i64_e64 s2, v[31:32], v[29:30]
	v_cndmask_b32_e64 v16, v11, v16, s2
	v_cndmask_b32_e64 v15, v10, v15, s2
.LBB930_332:
	s_or_b32 exec_lo, exec_lo, s13
	v_mov_b32_e32 v10, v15
	v_mov_b32_e32 v11, v16
.LBB930_333:
	s_or_b32 exec_lo, exec_lo, s10
	v_cndmask_b32_e64 v5, v4, v2, s5
	v_cndmask_b32_e64 v4, v3, v1, s5
	v_cndmask_b32_e64 v7, v9, v18, s6
	v_cndmask_b32_e64 v6, v6, v8, s6
	v_cndmask_b32_e64 v9, v26, v28, s3
	v_cndmask_b32_e64 v8, v12, v14, s3
.LBB930_334:
	s_or_b32 exec_lo, exec_lo, s4
	s_cmpk_lt_u32 s12, 0x41
	; wave barrier
	s_waitcnt lgkmcnt(0)
	s_barrier
	buffer_gl0_inv
	s_cbranch_scc1 .LBB930_361
; %bb.335:
	v_lshlrev_b32_e32 v25, 3, v24
	v_mov_b32_e32 v1, 0
	s_mov_b32 s4, 64
	s_branch .LBB930_339
.LBB930_336:                            ;   in Loop: Header=BB930_339 Depth=1
	s_or_b32 exec_lo, exec_lo, s14
	v_mov_b32_e32 v10, v17
	v_mov_b32_e32 v11, v18
.LBB930_337:                            ;   in Loop: Header=BB930_339 Depth=1
	s_or_b32 exec_lo, exec_lo, s13
	v_cndmask_b32_e64 v5, v7, v4, s6
	v_cndmask_b32_e64 v4, v6, v3, s6
	;; [unrolled: 1-line block ×6, first 2 shown]
.LBB930_338:                            ;   in Loop: Header=BB930_339 Depth=1
	s_or_b32 exec_lo, exec_lo, s5
	s_cmp_lt_u32 s4, s12
	s_barrier
	buffer_gl0_inv
	s_cbranch_scc0 .LBB930_361
.LBB930_339:                            ; =>This Loop Header: Depth=1
                                        ;     Child Loop BB930_341 Depth 2
	s_mov_b32 s2, s4
	s_lshl_b32 s4, s4, 1
	ds_write_b128 v25, v[4:7]
	s_sub_i32 s3, 0, s4
	ds_write_b128 v25, v[8:11] offset:16
	v_and_b32_e32 v3, s3, v24
	s_mov_b32 s3, exec_lo
	s_waitcnt lgkmcnt(0)
	s_barrier
	buffer_gl0_inv
	v_add_nc_u32_e32 v2, s2, v3
	v_min_u32_e32 v26, s12, v2
	v_add_nc_u32_e32 v2, s2, v26
	s_add_i32 s2, s4, -1
	v_sub_nc_u32_e32 v13, v26, v3
	v_and_b32_e32 v12, s2, v24
	v_min_u32_e32 v17, s12, v2
	v_min_u32_e32 v14, s12, v12
	v_sub_nc_u32_e32 v2, v17, v26
	v_min_u32_e32 v15, v14, v13
	v_lshlrev_b32_e32 v13, 3, v3
	v_sub_nc_u32_e64 v12, v14, v2 clamp
	v_cmpx_lt_u32_e64 v12, v15
	s_cbranch_execz .LBB930_343
; %bb.340:                              ;   in Loop: Header=BB930_339 Depth=1
	v_lshlrev_b32_e32 v2, 3, v14
	s_mov_b32 s5, 0
	v_lshl_add_u32 v16, v26, 3, v2
	s_inst_prefetch 0x1
	.p2align	6
.LBB930_341:                            ;   Parent Loop BB930_339 Depth=1
                                        ; =>  This Inner Loop Header: Depth=2
	v_add_nc_u32_e32 v2, v15, v12
	v_lshrrev_b32_e32 v18, 1, v2
	v_not_b32_e32 v2, v18
	v_lshl_add_u32 v29, v18, 3, v13
	v_lshl_add_u32 v2, v2, 3, v16
	ds_read_b32 v2, v2
	s_waitcnt lgkmcnt(0)
	v_ashrrev_i64 v[27:28], 29, v[1:2]
	ds_read_b32 v2, v29
	v_add_co_u32 v27, s2, s8, v27
	v_add_co_ci_u32_e64 v28, null, s9, v28, s2
	s_waitcnt lgkmcnt(0)
	v_ashrrev_i64 v[29:30], 29, v[1:2]
	v_add_nc_u32_e32 v2, 1, v18
	v_add_co_u32 v29, s2, s8, v29
	v_add_co_ci_u32_e64 v30, null, s9, v30, s2
	s_clause 0x1
	global_load_dwordx2 v[27:28], v[27:28], off
	global_load_dwordx2 v[29:30], v[29:30], off
	s_waitcnt vmcnt(0)
	v_cmp_lt_i64_e64 s2, v[27:28], v[29:30]
	v_cndmask_b32_e64 v15, v15, v18, s2
	v_cndmask_b32_e64 v12, v2, v12, s2
	v_cmp_ge_u32_e64 s2, v12, v15
	s_or_b32 s5, s2, s5
	s_andn2_b32 exec_lo, exec_lo, s5
	s_cbranch_execnz .LBB930_341
; %bb.342:                              ;   in Loop: Header=BB930_339 Depth=1
	s_inst_prefetch 0x2
	s_or_b32 exec_lo, exec_lo, s5
.LBB930_343:                            ;   in Loop: Header=BB930_339 Depth=1
	s_or_b32 exec_lo, exec_lo, s3
	v_sub_nc_u32_e32 v2, v14, v12
	v_add_nc_u32_e32 v14, v12, v3
	v_add_nc_u32_e32 v15, v2, v26
	v_cmp_le_u32_e64 s2, v14, v26
	v_cmp_le_u32_e64 s3, v15, v17
	s_or_b32 s2, s2, s3
	s_and_saveexec_b32 s5, s2
	s_cbranch_execz .LBB930_338
; %bb.344:                              ;   in Loop: Header=BB930_339 Depth=1
	v_cmp_ge_u32_e64 s2, v14, v26
	s_mov_b32 s6, exec_lo
                                        ; implicit-def: $vgpr3_vgpr4
	v_cmpx_lt_u32_e64 v14, v26
; %bb.345:                              ;   in Loop: Header=BB930_339 Depth=1
	v_lshl_add_u32 v2, v12, 3, v13
	ds_read_b64 v[3:4], v2
; %bb.346:                              ;   in Loop: Header=BB930_339 Depth=1
	s_or_b32 exec_lo, exec_lo, s6
	v_cmp_ge_u32_e64 s6, v15, v17
	s_mov_b32 s10, exec_lo
                                        ; implicit-def: $vgpr6_vgpr7
	v_cmpx_lt_u32_e64 v15, v17
; %bb.347:                              ;   in Loop: Header=BB930_339 Depth=1
	v_lshlrev_b32_e32 v2, 3, v15
	ds_read_b64 v[6:7], v2
; %bb.348:                              ;   in Loop: Header=BB930_339 Depth=1
	s_or_b32 exec_lo, exec_lo, s10
	s_nor_b32 s2, s2, s6
	s_and_saveexec_b32 s3, s2
	s_cbranch_execz .LBB930_350
; %bb.349:                              ;   in Loop: Header=BB930_339 Depth=1
	s_waitcnt lgkmcnt(0)
	v_mov_b32_e32 v2, v6
	s_andn2_b32 s6, s6, exec_lo
	v_ashrrev_i64 v[8:9], 29, v[1:2]
	v_mov_b32_e32 v2, v3
	v_ashrrev_i64 v[10:11], 29, v[1:2]
	v_add_co_u32 v8, s2, s8, v8
	v_add_co_ci_u32_e64 v9, null, s9, v9, s2
	v_add_co_u32 v10, s2, s8, v10
	v_add_co_ci_u32_e64 v11, null, s9, v11, s2
	s_clause 0x1
	global_load_dwordx2 v[8:9], v[8:9], off
	global_load_dwordx2 v[10:11], v[10:11], off
	s_waitcnt vmcnt(0)
	v_cmp_ge_i64_e64 s2, v[8:9], v[10:11]
	s_and_b32 s2, s2, exec_lo
	s_or_b32 s6, s6, s2
.LBB930_350:                            ;   in Loop: Header=BB930_339 Depth=1
	s_or_b32 exec_lo, exec_lo, s3
	v_cndmask_b32_e64 v2, v15, v14, s6
	v_cndmask_b32_e64 v5, v17, v26, s6
	s_mov_b32 s3, -1
	s_mov_b32 s10, -1
	s_mov_b32 s13, exec_lo
	v_add_nc_u32_e32 v2, 1, v2
	v_add_nc_u32_e32 v5, -1, v5
	v_cndmask_b32_e64 v8, v14, v2, s6
	v_min_u32_e32 v5, v2, v5
	v_lshlrev_b32_e32 v5, 3, v5
	ds_read_b64 v[9:10], v5
	v_cndmask_b32_e64 v5, v2, v15, s6
	s_waitcnt lgkmcnt(0)
	v_cndmask_b32_e64 v27, v10, v7, s6
	v_cndmask_b32_e64 v2, v9, v6, s6
	;; [unrolled: 1-line block ×4, first 2 shown]
	v_cmpx_lt_u32_e64 v5, v17
	s_cbranch_execz .LBB930_354
; %bb.351:                              ;   in Loop: Header=BB930_339 Depth=1
	s_mov_b32 s14, 0
	s_mov_b32 s10, exec_lo
	v_cmpx_lt_u32_e64 v8, v26
	s_cbranch_execz .LBB930_353
; %bb.352:                              ;   in Loop: Header=BB930_339 Depth=1
	v_mov_b32_e32 v11, v1
	v_ashrrev_i64 v[9:10], 29, v[1:2]
	v_ashrrev_i64 v[13:14], 29, v[11:12]
	v_add_co_u32 v9, s2, s8, v9
	v_add_co_ci_u32_e64 v10, null, s9, v10, s2
	v_add_co_u32 v13, s2, s8, v13
	v_add_co_ci_u32_e64 v14, null, s9, v14, s2
	s_clause 0x1
	global_load_dwordx2 v[9:10], v[9:10], off
	global_load_dwordx2 v[13:14], v[13:14], off
	s_waitcnt vmcnt(0)
	v_cmp_ge_i64_e64 s2, v[9:10], v[13:14]
	s_and_b32 s14, s2, exec_lo
.LBB930_353:                            ;   in Loop: Header=BB930_339 Depth=1
	s_or_b32 exec_lo, exec_lo, s10
	s_orn2_b32 s10, s14, exec_lo
.LBB930_354:                            ;   in Loop: Header=BB930_339 Depth=1
	s_or_b32 exec_lo, exec_lo, s13
	v_cndmask_b32_e64 v9, v5, v8, s10
	v_cndmask_b32_e64 v10, v17, v26, s10
	s_mov_b32 s13, exec_lo
	v_add_nc_u32_e32 v9, 1, v9
	v_add_nc_u32_e32 v10, -1, v10
	v_min_u32_e32 v10, v9, v10
	v_lshlrev_b32_e32 v10, 3, v10
	ds_read_b64 v[15:16], v10
	v_cndmask_b32_e64 v10, v9, v5, s10
	v_cndmask_b32_e64 v5, v8, v9, s10
	s_waitcnt lgkmcnt(0)
	v_cndmask_b32_e64 v29, v16, v27, s10
	v_cndmask_b32_e64 v14, v15, v2, s10
	;; [unrolled: 1-line block ×4, first 2 shown]
	v_cmpx_lt_u32_e64 v10, v17
	s_cbranch_execz .LBB930_358
; %bb.355:                              ;   in Loop: Header=BB930_339 Depth=1
	s_mov_b32 s14, 0
	s_mov_b32 s3, exec_lo
	v_cmpx_lt_u32_e64 v5, v26
	s_cbranch_execz .LBB930_357
; %bb.356:                              ;   in Loop: Header=BB930_339 Depth=1
	v_mov_b32_e32 v13, v1
	v_mov_b32_e32 v15, v1
	v_ashrrev_i64 v[8:9], 29, v[13:14]
	v_ashrrev_i64 v[31:32], 29, v[15:16]
	v_add_co_u32 v8, s2, s8, v8
	v_add_co_ci_u32_e64 v9, null, s9, v9, s2
	v_add_co_u32 v31, s2, s8, v31
	v_add_co_ci_u32_e64 v32, null, s9, v32, s2
	s_clause 0x1
	global_load_dwordx2 v[8:9], v[8:9], off
	global_load_dwordx2 v[31:32], v[31:32], off
	s_waitcnt vmcnt(0)
	v_cmp_ge_i64_e64 s2, v[8:9], v[31:32]
	s_and_b32 s14, s2, exec_lo
.LBB930_357:                            ;   in Loop: Header=BB930_339 Depth=1
	s_or_b32 exec_lo, exec_lo, s3
	s_orn2_b32 s3, s14, exec_lo
.LBB930_358:                            ;   in Loop: Header=BB930_339 Depth=1
	s_or_b32 exec_lo, exec_lo, s13
	v_cndmask_b32_e64 v8, v10, v5, s3
	v_cndmask_b32_e64 v9, v17, v26, s3
	s_mov_b32 s13, exec_lo
	v_add_nc_u32_e32 v13, 1, v8
	v_add_nc_u32_e32 v8, -1, v9
	v_cndmask_b32_e64 v15, v13, v10, s3
	v_min_u32_e32 v8, v13, v8
	v_lshlrev_b32_e32 v8, 3, v8
	ds_read_b64 v[8:9], v8
	s_waitcnt lgkmcnt(0)
	v_cndmask_b32_e64 v11, v30, v9, s3
	v_cndmask_b32_e64 v10, v16, v8, s3
	v_cmpx_lt_u32_e64 v15, v17
	s_cbranch_execz .LBB930_337
; %bb.359:                              ;   in Loop: Header=BB930_339 Depth=1
	v_cndmask_b32_e64 v5, v5, v13, s3
	v_cndmask_b32_e64 v18, v9, v29, s3
	;; [unrolled: 1-line block ×3, first 2 shown]
	s_mov_b32 s14, exec_lo
	v_cmpx_lt_u32_e64 v5, v26
	s_cbranch_execz .LBB930_336
; %bb.360:                              ;   in Loop: Header=BB930_339 Depth=1
	v_mov_b32_e32 v31, v1
	v_mov_b32_e32 v32, v17
	;; [unrolled: 1-line block ×3, first 2 shown]
	v_ashrrev_i64 v[31:32], 29, v[31:32]
	v_ashrrev_i64 v[8:9], 29, v[9:10]
	v_add_co_u32 v31, s2, s8, v31
	v_add_co_ci_u32_e64 v32, null, s9, v32, s2
	v_add_co_u32 v8, s2, s8, v8
	v_add_co_ci_u32_e64 v9, null, s9, v9, s2
	s_clause 0x1
	global_load_dwordx2 v[31:32], v[31:32], off
	global_load_dwordx2 v[8:9], v[8:9], off
	s_waitcnt vmcnt(0)
	v_cmp_lt_i64_e64 s2, v[31:32], v[8:9]
	v_cndmask_b32_e64 v18, v11, v18, s2
	v_cndmask_b32_e64 v17, v10, v17, s2
	s_branch .LBB930_336
.LBB930_361:
	s_barrier
	buffer_gl0_inv
	ds_write2_b64 v23, v[4:5], v[6:7] offset1:1
	ds_write2_b64 v23, v[8:9], v[10:11] offset0:2 offset1:3
	s_waitcnt lgkmcnt(0)
	s_barrier
	buffer_gl0_inv
	ds_read_b64 v[8:9], v20 offset:2048
	ds_read_b64 v[2:3], v21 offset:4096
	;; [unrolled: 1-line block ×3, first 2 shown]
	v_add_co_u32 v6, s2, s7, v37
	v_mov_b32_e32 v1, 0
	v_add_co_ci_u32_e64 v7, null, s11, 0, s2
	s_and_saveexec_b32 s2, vcc_lo
	s_cbranch_execnz .LBB930_369
; %bb.362:
	s_or_b32 exec_lo, exec_lo, s2
	s_and_saveexec_b32 s2, s0
	s_cbranch_execnz .LBB930_370
.LBB930_363:
	s_or_b32 exec_lo, exec_lo, s2
	s_and_saveexec_b32 s0, s1
	s_cbranch_execz .LBB930_365
.LBB930_364:
	v_add_co_u32 v6, vcc_lo, 0x1000, v6
	v_add_co_ci_u32_e64 v7, null, 0, v7, vcc_lo
	s_waitcnt lgkmcnt(1)
	flat_store_dwordx2 v[6:7], v[2:3]
.LBB930_365:
	s_or_b32 exec_lo, exec_lo, s0
.LBB930_366:
	s_and_saveexec_b32 s0, s15
	s_cbranch_execz .LBB930_368
; %bb.367:
	v_lshlrev_b64 v[0:1], 3, v[0:1]
	v_add_co_u32 v0, vcc_lo, s7, v0
	v_add_co_ci_u32_e64 v1, null, s11, v1, vcc_lo
	v_add_co_u32 v0, vcc_lo, 0x1800, v0
	v_add_co_ci_u32_e64 v1, null, 0, v1, vcc_lo
	s_waitcnt lgkmcnt(0)
	flat_store_dwordx2 v[0:1], v[4:5]
.LBB930_368:
	s_endpgm
.LBB930_369:
	ds_read_b64 v[10:11], v19
	s_waitcnt lgkmcnt(0)
	flat_store_dwordx2 v[6:7], v[10:11]
	s_or_b32 exec_lo, exec_lo, s2
	s_and_saveexec_b32 s2, s0
	s_cbranch_execz .LBB930_363
.LBB930_370:
	v_add_co_u32 v10, vcc_lo, 0x800, v6
	v_add_co_ci_u32_e64 v11, null, 0, v7, vcc_lo
	s_waitcnt lgkmcnt(2)
	flat_store_dwordx2 v[10:11], v[8:9]
	s_or_b32 exec_lo, exec_lo, s2
	s_and_saveexec_b32 s0, s1
	s_cbranch_execnz .LBB930_364
	s_branch .LBB930_365
	.section	.rodata,"a",@progbits
	.p2align	6, 0x0
	.amdhsa_kernel _ZN7rocprim17ROCPRIM_400000_NS6detail17trampoline_kernelINS0_14default_configENS1_37merge_sort_block_sort_config_selectorIxNS0_10empty_typeEEEZNS1_21merge_sort_block_sortIS3_N6thrust23THRUST_200600_302600_NS6detail15normal_iteratorINS9_10device_ptrIxEEEESE_PS5_SF_9comp_mod3IxEEE10hipError_tT0_T1_T2_T3_mRjT4_P12ihipStream_tbNS1_7vsmem_tEEUlT_E_NS1_11comp_targetILNS1_3genE8ELNS1_11target_archE1030ELNS1_3gpuE2ELNS1_3repE0EEENS1_30default_config_static_selectorELNS0_4arch9wavefront6targetE0EEEvSK_
		.amdhsa_group_segment_fixed_size 8448
		.amdhsa_private_segment_fixed_size 0
		.amdhsa_kernarg_size 320
		.amdhsa_user_sgpr_count 6
		.amdhsa_user_sgpr_private_segment_buffer 1
		.amdhsa_user_sgpr_dispatch_ptr 0
		.amdhsa_user_sgpr_queue_ptr 0
		.amdhsa_user_sgpr_kernarg_segment_ptr 1
		.amdhsa_user_sgpr_dispatch_id 0
		.amdhsa_user_sgpr_flat_scratch_init 0
		.amdhsa_user_sgpr_private_segment_size 0
		.amdhsa_wavefront_size32 1
		.amdhsa_uses_dynamic_stack 0
		.amdhsa_system_sgpr_private_segment_wavefront_offset 0
		.amdhsa_system_sgpr_workgroup_id_x 1
		.amdhsa_system_sgpr_workgroup_id_y 1
		.amdhsa_system_sgpr_workgroup_id_z 1
		.amdhsa_system_sgpr_workgroup_info 0
		.amdhsa_system_vgpr_workitem_id 2
		.amdhsa_next_free_vgpr 49
		.amdhsa_next_free_sgpr 22
		.amdhsa_reserve_vcc 1
		.amdhsa_reserve_flat_scratch 1
		.amdhsa_float_round_mode_32 0
		.amdhsa_float_round_mode_16_64 0
		.amdhsa_float_denorm_mode_32 3
		.amdhsa_float_denorm_mode_16_64 3
		.amdhsa_dx10_clamp 1
		.amdhsa_ieee_mode 1
		.amdhsa_fp16_overflow 0
		.amdhsa_workgroup_processor_mode 1
		.amdhsa_memory_ordered 1
		.amdhsa_forward_progress 1
		.amdhsa_shared_vgpr_count 0
		.amdhsa_exception_fp_ieee_invalid_op 0
		.amdhsa_exception_fp_denorm_src 0
		.amdhsa_exception_fp_ieee_div_zero 0
		.amdhsa_exception_fp_ieee_overflow 0
		.amdhsa_exception_fp_ieee_underflow 0
		.amdhsa_exception_fp_ieee_inexact 0
		.amdhsa_exception_int_div_zero 0
	.end_amdhsa_kernel
	.section	.text._ZN7rocprim17ROCPRIM_400000_NS6detail17trampoline_kernelINS0_14default_configENS1_37merge_sort_block_sort_config_selectorIxNS0_10empty_typeEEEZNS1_21merge_sort_block_sortIS3_N6thrust23THRUST_200600_302600_NS6detail15normal_iteratorINS9_10device_ptrIxEEEESE_PS5_SF_9comp_mod3IxEEE10hipError_tT0_T1_T2_T3_mRjT4_P12ihipStream_tbNS1_7vsmem_tEEUlT_E_NS1_11comp_targetILNS1_3genE8ELNS1_11target_archE1030ELNS1_3gpuE2ELNS1_3repE0EEENS1_30default_config_static_selectorELNS0_4arch9wavefront6targetE0EEEvSK_,"axG",@progbits,_ZN7rocprim17ROCPRIM_400000_NS6detail17trampoline_kernelINS0_14default_configENS1_37merge_sort_block_sort_config_selectorIxNS0_10empty_typeEEEZNS1_21merge_sort_block_sortIS3_N6thrust23THRUST_200600_302600_NS6detail15normal_iteratorINS9_10device_ptrIxEEEESE_PS5_SF_9comp_mod3IxEEE10hipError_tT0_T1_T2_T3_mRjT4_P12ihipStream_tbNS1_7vsmem_tEEUlT_E_NS1_11comp_targetILNS1_3genE8ELNS1_11target_archE1030ELNS1_3gpuE2ELNS1_3repE0EEENS1_30default_config_static_selectorELNS0_4arch9wavefront6targetE0EEEvSK_,comdat
.Lfunc_end930:
	.size	_ZN7rocprim17ROCPRIM_400000_NS6detail17trampoline_kernelINS0_14default_configENS1_37merge_sort_block_sort_config_selectorIxNS0_10empty_typeEEEZNS1_21merge_sort_block_sortIS3_N6thrust23THRUST_200600_302600_NS6detail15normal_iteratorINS9_10device_ptrIxEEEESE_PS5_SF_9comp_mod3IxEEE10hipError_tT0_T1_T2_T3_mRjT4_P12ihipStream_tbNS1_7vsmem_tEEUlT_E_NS1_11comp_targetILNS1_3genE8ELNS1_11target_archE1030ELNS1_3gpuE2ELNS1_3repE0EEENS1_30default_config_static_selectorELNS0_4arch9wavefront6targetE0EEEvSK_, .Lfunc_end930-_ZN7rocprim17ROCPRIM_400000_NS6detail17trampoline_kernelINS0_14default_configENS1_37merge_sort_block_sort_config_selectorIxNS0_10empty_typeEEEZNS1_21merge_sort_block_sortIS3_N6thrust23THRUST_200600_302600_NS6detail15normal_iteratorINS9_10device_ptrIxEEEESE_PS5_SF_9comp_mod3IxEEE10hipError_tT0_T1_T2_T3_mRjT4_P12ihipStream_tbNS1_7vsmem_tEEUlT_E_NS1_11comp_targetILNS1_3genE8ELNS1_11target_archE1030ELNS1_3gpuE2ELNS1_3repE0EEENS1_30default_config_static_selectorELNS0_4arch9wavefront6targetE0EEEvSK_
                                        ; -- End function
	.set _ZN7rocprim17ROCPRIM_400000_NS6detail17trampoline_kernelINS0_14default_configENS1_37merge_sort_block_sort_config_selectorIxNS0_10empty_typeEEEZNS1_21merge_sort_block_sortIS3_N6thrust23THRUST_200600_302600_NS6detail15normal_iteratorINS9_10device_ptrIxEEEESE_PS5_SF_9comp_mod3IxEEE10hipError_tT0_T1_T2_T3_mRjT4_P12ihipStream_tbNS1_7vsmem_tEEUlT_E_NS1_11comp_targetILNS1_3genE8ELNS1_11target_archE1030ELNS1_3gpuE2ELNS1_3repE0EEENS1_30default_config_static_selectorELNS0_4arch9wavefront6targetE0EEEvSK_.num_vgpr, 49
	.set _ZN7rocprim17ROCPRIM_400000_NS6detail17trampoline_kernelINS0_14default_configENS1_37merge_sort_block_sort_config_selectorIxNS0_10empty_typeEEEZNS1_21merge_sort_block_sortIS3_N6thrust23THRUST_200600_302600_NS6detail15normal_iteratorINS9_10device_ptrIxEEEESE_PS5_SF_9comp_mod3IxEEE10hipError_tT0_T1_T2_T3_mRjT4_P12ihipStream_tbNS1_7vsmem_tEEUlT_E_NS1_11comp_targetILNS1_3genE8ELNS1_11target_archE1030ELNS1_3gpuE2ELNS1_3repE0EEENS1_30default_config_static_selectorELNS0_4arch9wavefront6targetE0EEEvSK_.num_agpr, 0
	.set _ZN7rocprim17ROCPRIM_400000_NS6detail17trampoline_kernelINS0_14default_configENS1_37merge_sort_block_sort_config_selectorIxNS0_10empty_typeEEEZNS1_21merge_sort_block_sortIS3_N6thrust23THRUST_200600_302600_NS6detail15normal_iteratorINS9_10device_ptrIxEEEESE_PS5_SF_9comp_mod3IxEEE10hipError_tT0_T1_T2_T3_mRjT4_P12ihipStream_tbNS1_7vsmem_tEEUlT_E_NS1_11comp_targetILNS1_3genE8ELNS1_11target_archE1030ELNS1_3gpuE2ELNS1_3repE0EEENS1_30default_config_static_selectorELNS0_4arch9wavefront6targetE0EEEvSK_.numbered_sgpr, 22
	.set _ZN7rocprim17ROCPRIM_400000_NS6detail17trampoline_kernelINS0_14default_configENS1_37merge_sort_block_sort_config_selectorIxNS0_10empty_typeEEEZNS1_21merge_sort_block_sortIS3_N6thrust23THRUST_200600_302600_NS6detail15normal_iteratorINS9_10device_ptrIxEEEESE_PS5_SF_9comp_mod3IxEEE10hipError_tT0_T1_T2_T3_mRjT4_P12ihipStream_tbNS1_7vsmem_tEEUlT_E_NS1_11comp_targetILNS1_3genE8ELNS1_11target_archE1030ELNS1_3gpuE2ELNS1_3repE0EEENS1_30default_config_static_selectorELNS0_4arch9wavefront6targetE0EEEvSK_.num_named_barrier, 0
	.set _ZN7rocprim17ROCPRIM_400000_NS6detail17trampoline_kernelINS0_14default_configENS1_37merge_sort_block_sort_config_selectorIxNS0_10empty_typeEEEZNS1_21merge_sort_block_sortIS3_N6thrust23THRUST_200600_302600_NS6detail15normal_iteratorINS9_10device_ptrIxEEEESE_PS5_SF_9comp_mod3IxEEE10hipError_tT0_T1_T2_T3_mRjT4_P12ihipStream_tbNS1_7vsmem_tEEUlT_E_NS1_11comp_targetILNS1_3genE8ELNS1_11target_archE1030ELNS1_3gpuE2ELNS1_3repE0EEENS1_30default_config_static_selectorELNS0_4arch9wavefront6targetE0EEEvSK_.private_seg_size, 0
	.set _ZN7rocprim17ROCPRIM_400000_NS6detail17trampoline_kernelINS0_14default_configENS1_37merge_sort_block_sort_config_selectorIxNS0_10empty_typeEEEZNS1_21merge_sort_block_sortIS3_N6thrust23THRUST_200600_302600_NS6detail15normal_iteratorINS9_10device_ptrIxEEEESE_PS5_SF_9comp_mod3IxEEE10hipError_tT0_T1_T2_T3_mRjT4_P12ihipStream_tbNS1_7vsmem_tEEUlT_E_NS1_11comp_targetILNS1_3genE8ELNS1_11target_archE1030ELNS1_3gpuE2ELNS1_3repE0EEENS1_30default_config_static_selectorELNS0_4arch9wavefront6targetE0EEEvSK_.uses_vcc, 1
	.set _ZN7rocprim17ROCPRIM_400000_NS6detail17trampoline_kernelINS0_14default_configENS1_37merge_sort_block_sort_config_selectorIxNS0_10empty_typeEEEZNS1_21merge_sort_block_sortIS3_N6thrust23THRUST_200600_302600_NS6detail15normal_iteratorINS9_10device_ptrIxEEEESE_PS5_SF_9comp_mod3IxEEE10hipError_tT0_T1_T2_T3_mRjT4_P12ihipStream_tbNS1_7vsmem_tEEUlT_E_NS1_11comp_targetILNS1_3genE8ELNS1_11target_archE1030ELNS1_3gpuE2ELNS1_3repE0EEENS1_30default_config_static_selectorELNS0_4arch9wavefront6targetE0EEEvSK_.uses_flat_scratch, 1
	.set _ZN7rocprim17ROCPRIM_400000_NS6detail17trampoline_kernelINS0_14default_configENS1_37merge_sort_block_sort_config_selectorIxNS0_10empty_typeEEEZNS1_21merge_sort_block_sortIS3_N6thrust23THRUST_200600_302600_NS6detail15normal_iteratorINS9_10device_ptrIxEEEESE_PS5_SF_9comp_mod3IxEEE10hipError_tT0_T1_T2_T3_mRjT4_P12ihipStream_tbNS1_7vsmem_tEEUlT_E_NS1_11comp_targetILNS1_3genE8ELNS1_11target_archE1030ELNS1_3gpuE2ELNS1_3repE0EEENS1_30default_config_static_selectorELNS0_4arch9wavefront6targetE0EEEvSK_.has_dyn_sized_stack, 0
	.set _ZN7rocprim17ROCPRIM_400000_NS6detail17trampoline_kernelINS0_14default_configENS1_37merge_sort_block_sort_config_selectorIxNS0_10empty_typeEEEZNS1_21merge_sort_block_sortIS3_N6thrust23THRUST_200600_302600_NS6detail15normal_iteratorINS9_10device_ptrIxEEEESE_PS5_SF_9comp_mod3IxEEE10hipError_tT0_T1_T2_T3_mRjT4_P12ihipStream_tbNS1_7vsmem_tEEUlT_E_NS1_11comp_targetILNS1_3genE8ELNS1_11target_archE1030ELNS1_3gpuE2ELNS1_3repE0EEENS1_30default_config_static_selectorELNS0_4arch9wavefront6targetE0EEEvSK_.has_recursion, 0
	.set _ZN7rocprim17ROCPRIM_400000_NS6detail17trampoline_kernelINS0_14default_configENS1_37merge_sort_block_sort_config_selectorIxNS0_10empty_typeEEEZNS1_21merge_sort_block_sortIS3_N6thrust23THRUST_200600_302600_NS6detail15normal_iteratorINS9_10device_ptrIxEEEESE_PS5_SF_9comp_mod3IxEEE10hipError_tT0_T1_T2_T3_mRjT4_P12ihipStream_tbNS1_7vsmem_tEEUlT_E_NS1_11comp_targetILNS1_3genE8ELNS1_11target_archE1030ELNS1_3gpuE2ELNS1_3repE0EEENS1_30default_config_static_selectorELNS0_4arch9wavefront6targetE0EEEvSK_.has_indirect_call, 0
	.section	.AMDGPU.csdata,"",@progbits
; Kernel info:
; codeLenInByte = 21204
; TotalNumSgprs: 24
; NumVgprs: 49
; ScratchSize: 0
; MemoryBound: 0
; FloatMode: 240
; IeeeMode: 1
; LDSByteSize: 8448 bytes/workgroup (compile time only)
; SGPRBlocks: 0
; VGPRBlocks: 6
; NumSGPRsForWavesPerEU: 24
; NumVGPRsForWavesPerEU: 49
; Occupancy: 16
; WaveLimiterHint : 1
; COMPUTE_PGM_RSRC2:SCRATCH_EN: 0
; COMPUTE_PGM_RSRC2:USER_SGPR: 6
; COMPUTE_PGM_RSRC2:TRAP_HANDLER: 0
; COMPUTE_PGM_RSRC2:TGID_X_EN: 1
; COMPUTE_PGM_RSRC2:TGID_Y_EN: 1
; COMPUTE_PGM_RSRC2:TGID_Z_EN: 1
; COMPUTE_PGM_RSRC2:TIDIG_COMP_CNT: 2
	.section	.text._ZN7rocprim17ROCPRIM_400000_NS6detail17trampoline_kernelINS0_14default_configENS1_38merge_sort_block_merge_config_selectorIxNS0_10empty_typeEEEZZNS1_27merge_sort_block_merge_implIS3_N6thrust23THRUST_200600_302600_NS6detail15normal_iteratorINS9_10device_ptrIxEEEEPS5_m9comp_mod3IxEEE10hipError_tT0_T1_T2_jT3_P12ihipStream_tbPNSt15iterator_traitsISJ_E10value_typeEPNSP_ISK_E10value_typeEPSL_NS1_7vsmem_tEENKUlT_SJ_SK_SL_E_clIPxSE_SF_SF_EESI_SY_SJ_SK_SL_EUlSY_E_NS1_11comp_targetILNS1_3genE0ELNS1_11target_archE4294967295ELNS1_3gpuE0ELNS1_3repE0EEENS1_48merge_mergepath_partition_config_static_selectorELNS0_4arch9wavefront6targetE0EEEvSK_,"axG",@progbits,_ZN7rocprim17ROCPRIM_400000_NS6detail17trampoline_kernelINS0_14default_configENS1_38merge_sort_block_merge_config_selectorIxNS0_10empty_typeEEEZZNS1_27merge_sort_block_merge_implIS3_N6thrust23THRUST_200600_302600_NS6detail15normal_iteratorINS9_10device_ptrIxEEEEPS5_m9comp_mod3IxEEE10hipError_tT0_T1_T2_jT3_P12ihipStream_tbPNSt15iterator_traitsISJ_E10value_typeEPNSP_ISK_E10value_typeEPSL_NS1_7vsmem_tEENKUlT_SJ_SK_SL_E_clIPxSE_SF_SF_EESI_SY_SJ_SK_SL_EUlSY_E_NS1_11comp_targetILNS1_3genE0ELNS1_11target_archE4294967295ELNS1_3gpuE0ELNS1_3repE0EEENS1_48merge_mergepath_partition_config_static_selectorELNS0_4arch9wavefront6targetE0EEEvSK_,comdat
	.protected	_ZN7rocprim17ROCPRIM_400000_NS6detail17trampoline_kernelINS0_14default_configENS1_38merge_sort_block_merge_config_selectorIxNS0_10empty_typeEEEZZNS1_27merge_sort_block_merge_implIS3_N6thrust23THRUST_200600_302600_NS6detail15normal_iteratorINS9_10device_ptrIxEEEEPS5_m9comp_mod3IxEEE10hipError_tT0_T1_T2_jT3_P12ihipStream_tbPNSt15iterator_traitsISJ_E10value_typeEPNSP_ISK_E10value_typeEPSL_NS1_7vsmem_tEENKUlT_SJ_SK_SL_E_clIPxSE_SF_SF_EESI_SY_SJ_SK_SL_EUlSY_E_NS1_11comp_targetILNS1_3genE0ELNS1_11target_archE4294967295ELNS1_3gpuE0ELNS1_3repE0EEENS1_48merge_mergepath_partition_config_static_selectorELNS0_4arch9wavefront6targetE0EEEvSK_ ; -- Begin function _ZN7rocprim17ROCPRIM_400000_NS6detail17trampoline_kernelINS0_14default_configENS1_38merge_sort_block_merge_config_selectorIxNS0_10empty_typeEEEZZNS1_27merge_sort_block_merge_implIS3_N6thrust23THRUST_200600_302600_NS6detail15normal_iteratorINS9_10device_ptrIxEEEEPS5_m9comp_mod3IxEEE10hipError_tT0_T1_T2_jT3_P12ihipStream_tbPNSt15iterator_traitsISJ_E10value_typeEPNSP_ISK_E10value_typeEPSL_NS1_7vsmem_tEENKUlT_SJ_SK_SL_E_clIPxSE_SF_SF_EESI_SY_SJ_SK_SL_EUlSY_E_NS1_11comp_targetILNS1_3genE0ELNS1_11target_archE4294967295ELNS1_3gpuE0ELNS1_3repE0EEENS1_48merge_mergepath_partition_config_static_selectorELNS0_4arch9wavefront6targetE0EEEvSK_
	.globl	_ZN7rocprim17ROCPRIM_400000_NS6detail17trampoline_kernelINS0_14default_configENS1_38merge_sort_block_merge_config_selectorIxNS0_10empty_typeEEEZZNS1_27merge_sort_block_merge_implIS3_N6thrust23THRUST_200600_302600_NS6detail15normal_iteratorINS9_10device_ptrIxEEEEPS5_m9comp_mod3IxEEE10hipError_tT0_T1_T2_jT3_P12ihipStream_tbPNSt15iterator_traitsISJ_E10value_typeEPNSP_ISK_E10value_typeEPSL_NS1_7vsmem_tEENKUlT_SJ_SK_SL_E_clIPxSE_SF_SF_EESI_SY_SJ_SK_SL_EUlSY_E_NS1_11comp_targetILNS1_3genE0ELNS1_11target_archE4294967295ELNS1_3gpuE0ELNS1_3repE0EEENS1_48merge_mergepath_partition_config_static_selectorELNS0_4arch9wavefront6targetE0EEEvSK_
	.p2align	8
	.type	_ZN7rocprim17ROCPRIM_400000_NS6detail17trampoline_kernelINS0_14default_configENS1_38merge_sort_block_merge_config_selectorIxNS0_10empty_typeEEEZZNS1_27merge_sort_block_merge_implIS3_N6thrust23THRUST_200600_302600_NS6detail15normal_iteratorINS9_10device_ptrIxEEEEPS5_m9comp_mod3IxEEE10hipError_tT0_T1_T2_jT3_P12ihipStream_tbPNSt15iterator_traitsISJ_E10value_typeEPNSP_ISK_E10value_typeEPSL_NS1_7vsmem_tEENKUlT_SJ_SK_SL_E_clIPxSE_SF_SF_EESI_SY_SJ_SK_SL_EUlSY_E_NS1_11comp_targetILNS1_3genE0ELNS1_11target_archE4294967295ELNS1_3gpuE0ELNS1_3repE0EEENS1_48merge_mergepath_partition_config_static_selectorELNS0_4arch9wavefront6targetE0EEEvSK_,@function
_ZN7rocprim17ROCPRIM_400000_NS6detail17trampoline_kernelINS0_14default_configENS1_38merge_sort_block_merge_config_selectorIxNS0_10empty_typeEEEZZNS1_27merge_sort_block_merge_implIS3_N6thrust23THRUST_200600_302600_NS6detail15normal_iteratorINS9_10device_ptrIxEEEEPS5_m9comp_mod3IxEEE10hipError_tT0_T1_T2_jT3_P12ihipStream_tbPNSt15iterator_traitsISJ_E10value_typeEPNSP_ISK_E10value_typeEPSL_NS1_7vsmem_tEENKUlT_SJ_SK_SL_E_clIPxSE_SF_SF_EESI_SY_SJ_SK_SL_EUlSY_E_NS1_11comp_targetILNS1_3genE0ELNS1_11target_archE4294967295ELNS1_3gpuE0ELNS1_3repE0EEENS1_48merge_mergepath_partition_config_static_selectorELNS0_4arch9wavefront6targetE0EEEvSK_: ; @_ZN7rocprim17ROCPRIM_400000_NS6detail17trampoline_kernelINS0_14default_configENS1_38merge_sort_block_merge_config_selectorIxNS0_10empty_typeEEEZZNS1_27merge_sort_block_merge_implIS3_N6thrust23THRUST_200600_302600_NS6detail15normal_iteratorINS9_10device_ptrIxEEEEPS5_m9comp_mod3IxEEE10hipError_tT0_T1_T2_jT3_P12ihipStream_tbPNSt15iterator_traitsISJ_E10value_typeEPNSP_ISK_E10value_typeEPSL_NS1_7vsmem_tEENKUlT_SJ_SK_SL_E_clIPxSE_SF_SF_EESI_SY_SJ_SK_SL_EUlSY_E_NS1_11comp_targetILNS1_3genE0ELNS1_11target_archE4294967295ELNS1_3gpuE0ELNS1_3repE0EEENS1_48merge_mergepath_partition_config_static_selectorELNS0_4arch9wavefront6targetE0EEEvSK_
; %bb.0:
	.section	.rodata,"a",@progbits
	.p2align	6, 0x0
	.amdhsa_kernel _ZN7rocprim17ROCPRIM_400000_NS6detail17trampoline_kernelINS0_14default_configENS1_38merge_sort_block_merge_config_selectorIxNS0_10empty_typeEEEZZNS1_27merge_sort_block_merge_implIS3_N6thrust23THRUST_200600_302600_NS6detail15normal_iteratorINS9_10device_ptrIxEEEEPS5_m9comp_mod3IxEEE10hipError_tT0_T1_T2_jT3_P12ihipStream_tbPNSt15iterator_traitsISJ_E10value_typeEPNSP_ISK_E10value_typeEPSL_NS1_7vsmem_tEENKUlT_SJ_SK_SL_E_clIPxSE_SF_SF_EESI_SY_SJ_SK_SL_EUlSY_E_NS1_11comp_targetILNS1_3genE0ELNS1_11target_archE4294967295ELNS1_3gpuE0ELNS1_3repE0EEENS1_48merge_mergepath_partition_config_static_selectorELNS0_4arch9wavefront6targetE0EEEvSK_
		.amdhsa_group_segment_fixed_size 0
		.amdhsa_private_segment_fixed_size 0
		.amdhsa_kernarg_size 48
		.amdhsa_user_sgpr_count 6
		.amdhsa_user_sgpr_private_segment_buffer 1
		.amdhsa_user_sgpr_dispatch_ptr 0
		.amdhsa_user_sgpr_queue_ptr 0
		.amdhsa_user_sgpr_kernarg_segment_ptr 1
		.amdhsa_user_sgpr_dispatch_id 0
		.amdhsa_user_sgpr_flat_scratch_init 0
		.amdhsa_user_sgpr_private_segment_size 0
		.amdhsa_wavefront_size32 1
		.amdhsa_uses_dynamic_stack 0
		.amdhsa_system_sgpr_private_segment_wavefront_offset 0
		.amdhsa_system_sgpr_workgroup_id_x 1
		.amdhsa_system_sgpr_workgroup_id_y 0
		.amdhsa_system_sgpr_workgroup_id_z 0
		.amdhsa_system_sgpr_workgroup_info 0
		.amdhsa_system_vgpr_workitem_id 0
		.amdhsa_next_free_vgpr 1
		.amdhsa_next_free_sgpr 1
		.amdhsa_reserve_vcc 0
		.amdhsa_reserve_flat_scratch 0
		.amdhsa_float_round_mode_32 0
		.amdhsa_float_round_mode_16_64 0
		.amdhsa_float_denorm_mode_32 3
		.amdhsa_float_denorm_mode_16_64 3
		.amdhsa_dx10_clamp 1
		.amdhsa_ieee_mode 1
		.amdhsa_fp16_overflow 0
		.amdhsa_workgroup_processor_mode 1
		.amdhsa_memory_ordered 1
		.amdhsa_forward_progress 1
		.amdhsa_shared_vgpr_count 0
		.amdhsa_exception_fp_ieee_invalid_op 0
		.amdhsa_exception_fp_denorm_src 0
		.amdhsa_exception_fp_ieee_div_zero 0
		.amdhsa_exception_fp_ieee_overflow 0
		.amdhsa_exception_fp_ieee_underflow 0
		.amdhsa_exception_fp_ieee_inexact 0
		.amdhsa_exception_int_div_zero 0
	.end_amdhsa_kernel
	.section	.text._ZN7rocprim17ROCPRIM_400000_NS6detail17trampoline_kernelINS0_14default_configENS1_38merge_sort_block_merge_config_selectorIxNS0_10empty_typeEEEZZNS1_27merge_sort_block_merge_implIS3_N6thrust23THRUST_200600_302600_NS6detail15normal_iteratorINS9_10device_ptrIxEEEEPS5_m9comp_mod3IxEEE10hipError_tT0_T1_T2_jT3_P12ihipStream_tbPNSt15iterator_traitsISJ_E10value_typeEPNSP_ISK_E10value_typeEPSL_NS1_7vsmem_tEENKUlT_SJ_SK_SL_E_clIPxSE_SF_SF_EESI_SY_SJ_SK_SL_EUlSY_E_NS1_11comp_targetILNS1_3genE0ELNS1_11target_archE4294967295ELNS1_3gpuE0ELNS1_3repE0EEENS1_48merge_mergepath_partition_config_static_selectorELNS0_4arch9wavefront6targetE0EEEvSK_,"axG",@progbits,_ZN7rocprim17ROCPRIM_400000_NS6detail17trampoline_kernelINS0_14default_configENS1_38merge_sort_block_merge_config_selectorIxNS0_10empty_typeEEEZZNS1_27merge_sort_block_merge_implIS3_N6thrust23THRUST_200600_302600_NS6detail15normal_iteratorINS9_10device_ptrIxEEEEPS5_m9comp_mod3IxEEE10hipError_tT0_T1_T2_jT3_P12ihipStream_tbPNSt15iterator_traitsISJ_E10value_typeEPNSP_ISK_E10value_typeEPSL_NS1_7vsmem_tEENKUlT_SJ_SK_SL_E_clIPxSE_SF_SF_EESI_SY_SJ_SK_SL_EUlSY_E_NS1_11comp_targetILNS1_3genE0ELNS1_11target_archE4294967295ELNS1_3gpuE0ELNS1_3repE0EEENS1_48merge_mergepath_partition_config_static_selectorELNS0_4arch9wavefront6targetE0EEEvSK_,comdat
.Lfunc_end931:
	.size	_ZN7rocprim17ROCPRIM_400000_NS6detail17trampoline_kernelINS0_14default_configENS1_38merge_sort_block_merge_config_selectorIxNS0_10empty_typeEEEZZNS1_27merge_sort_block_merge_implIS3_N6thrust23THRUST_200600_302600_NS6detail15normal_iteratorINS9_10device_ptrIxEEEEPS5_m9comp_mod3IxEEE10hipError_tT0_T1_T2_jT3_P12ihipStream_tbPNSt15iterator_traitsISJ_E10value_typeEPNSP_ISK_E10value_typeEPSL_NS1_7vsmem_tEENKUlT_SJ_SK_SL_E_clIPxSE_SF_SF_EESI_SY_SJ_SK_SL_EUlSY_E_NS1_11comp_targetILNS1_3genE0ELNS1_11target_archE4294967295ELNS1_3gpuE0ELNS1_3repE0EEENS1_48merge_mergepath_partition_config_static_selectorELNS0_4arch9wavefront6targetE0EEEvSK_, .Lfunc_end931-_ZN7rocprim17ROCPRIM_400000_NS6detail17trampoline_kernelINS0_14default_configENS1_38merge_sort_block_merge_config_selectorIxNS0_10empty_typeEEEZZNS1_27merge_sort_block_merge_implIS3_N6thrust23THRUST_200600_302600_NS6detail15normal_iteratorINS9_10device_ptrIxEEEEPS5_m9comp_mod3IxEEE10hipError_tT0_T1_T2_jT3_P12ihipStream_tbPNSt15iterator_traitsISJ_E10value_typeEPNSP_ISK_E10value_typeEPSL_NS1_7vsmem_tEENKUlT_SJ_SK_SL_E_clIPxSE_SF_SF_EESI_SY_SJ_SK_SL_EUlSY_E_NS1_11comp_targetILNS1_3genE0ELNS1_11target_archE4294967295ELNS1_3gpuE0ELNS1_3repE0EEENS1_48merge_mergepath_partition_config_static_selectorELNS0_4arch9wavefront6targetE0EEEvSK_
                                        ; -- End function
	.set _ZN7rocprim17ROCPRIM_400000_NS6detail17trampoline_kernelINS0_14default_configENS1_38merge_sort_block_merge_config_selectorIxNS0_10empty_typeEEEZZNS1_27merge_sort_block_merge_implIS3_N6thrust23THRUST_200600_302600_NS6detail15normal_iteratorINS9_10device_ptrIxEEEEPS5_m9comp_mod3IxEEE10hipError_tT0_T1_T2_jT3_P12ihipStream_tbPNSt15iterator_traitsISJ_E10value_typeEPNSP_ISK_E10value_typeEPSL_NS1_7vsmem_tEENKUlT_SJ_SK_SL_E_clIPxSE_SF_SF_EESI_SY_SJ_SK_SL_EUlSY_E_NS1_11comp_targetILNS1_3genE0ELNS1_11target_archE4294967295ELNS1_3gpuE0ELNS1_3repE0EEENS1_48merge_mergepath_partition_config_static_selectorELNS0_4arch9wavefront6targetE0EEEvSK_.num_vgpr, 0
	.set _ZN7rocprim17ROCPRIM_400000_NS6detail17trampoline_kernelINS0_14default_configENS1_38merge_sort_block_merge_config_selectorIxNS0_10empty_typeEEEZZNS1_27merge_sort_block_merge_implIS3_N6thrust23THRUST_200600_302600_NS6detail15normal_iteratorINS9_10device_ptrIxEEEEPS5_m9comp_mod3IxEEE10hipError_tT0_T1_T2_jT3_P12ihipStream_tbPNSt15iterator_traitsISJ_E10value_typeEPNSP_ISK_E10value_typeEPSL_NS1_7vsmem_tEENKUlT_SJ_SK_SL_E_clIPxSE_SF_SF_EESI_SY_SJ_SK_SL_EUlSY_E_NS1_11comp_targetILNS1_3genE0ELNS1_11target_archE4294967295ELNS1_3gpuE0ELNS1_3repE0EEENS1_48merge_mergepath_partition_config_static_selectorELNS0_4arch9wavefront6targetE0EEEvSK_.num_agpr, 0
	.set _ZN7rocprim17ROCPRIM_400000_NS6detail17trampoline_kernelINS0_14default_configENS1_38merge_sort_block_merge_config_selectorIxNS0_10empty_typeEEEZZNS1_27merge_sort_block_merge_implIS3_N6thrust23THRUST_200600_302600_NS6detail15normal_iteratorINS9_10device_ptrIxEEEEPS5_m9comp_mod3IxEEE10hipError_tT0_T1_T2_jT3_P12ihipStream_tbPNSt15iterator_traitsISJ_E10value_typeEPNSP_ISK_E10value_typeEPSL_NS1_7vsmem_tEENKUlT_SJ_SK_SL_E_clIPxSE_SF_SF_EESI_SY_SJ_SK_SL_EUlSY_E_NS1_11comp_targetILNS1_3genE0ELNS1_11target_archE4294967295ELNS1_3gpuE0ELNS1_3repE0EEENS1_48merge_mergepath_partition_config_static_selectorELNS0_4arch9wavefront6targetE0EEEvSK_.numbered_sgpr, 0
	.set _ZN7rocprim17ROCPRIM_400000_NS6detail17trampoline_kernelINS0_14default_configENS1_38merge_sort_block_merge_config_selectorIxNS0_10empty_typeEEEZZNS1_27merge_sort_block_merge_implIS3_N6thrust23THRUST_200600_302600_NS6detail15normal_iteratorINS9_10device_ptrIxEEEEPS5_m9comp_mod3IxEEE10hipError_tT0_T1_T2_jT3_P12ihipStream_tbPNSt15iterator_traitsISJ_E10value_typeEPNSP_ISK_E10value_typeEPSL_NS1_7vsmem_tEENKUlT_SJ_SK_SL_E_clIPxSE_SF_SF_EESI_SY_SJ_SK_SL_EUlSY_E_NS1_11comp_targetILNS1_3genE0ELNS1_11target_archE4294967295ELNS1_3gpuE0ELNS1_3repE0EEENS1_48merge_mergepath_partition_config_static_selectorELNS0_4arch9wavefront6targetE0EEEvSK_.num_named_barrier, 0
	.set _ZN7rocprim17ROCPRIM_400000_NS6detail17trampoline_kernelINS0_14default_configENS1_38merge_sort_block_merge_config_selectorIxNS0_10empty_typeEEEZZNS1_27merge_sort_block_merge_implIS3_N6thrust23THRUST_200600_302600_NS6detail15normal_iteratorINS9_10device_ptrIxEEEEPS5_m9comp_mod3IxEEE10hipError_tT0_T1_T2_jT3_P12ihipStream_tbPNSt15iterator_traitsISJ_E10value_typeEPNSP_ISK_E10value_typeEPSL_NS1_7vsmem_tEENKUlT_SJ_SK_SL_E_clIPxSE_SF_SF_EESI_SY_SJ_SK_SL_EUlSY_E_NS1_11comp_targetILNS1_3genE0ELNS1_11target_archE4294967295ELNS1_3gpuE0ELNS1_3repE0EEENS1_48merge_mergepath_partition_config_static_selectorELNS0_4arch9wavefront6targetE0EEEvSK_.private_seg_size, 0
	.set _ZN7rocprim17ROCPRIM_400000_NS6detail17trampoline_kernelINS0_14default_configENS1_38merge_sort_block_merge_config_selectorIxNS0_10empty_typeEEEZZNS1_27merge_sort_block_merge_implIS3_N6thrust23THRUST_200600_302600_NS6detail15normal_iteratorINS9_10device_ptrIxEEEEPS5_m9comp_mod3IxEEE10hipError_tT0_T1_T2_jT3_P12ihipStream_tbPNSt15iterator_traitsISJ_E10value_typeEPNSP_ISK_E10value_typeEPSL_NS1_7vsmem_tEENKUlT_SJ_SK_SL_E_clIPxSE_SF_SF_EESI_SY_SJ_SK_SL_EUlSY_E_NS1_11comp_targetILNS1_3genE0ELNS1_11target_archE4294967295ELNS1_3gpuE0ELNS1_3repE0EEENS1_48merge_mergepath_partition_config_static_selectorELNS0_4arch9wavefront6targetE0EEEvSK_.uses_vcc, 0
	.set _ZN7rocprim17ROCPRIM_400000_NS6detail17trampoline_kernelINS0_14default_configENS1_38merge_sort_block_merge_config_selectorIxNS0_10empty_typeEEEZZNS1_27merge_sort_block_merge_implIS3_N6thrust23THRUST_200600_302600_NS6detail15normal_iteratorINS9_10device_ptrIxEEEEPS5_m9comp_mod3IxEEE10hipError_tT0_T1_T2_jT3_P12ihipStream_tbPNSt15iterator_traitsISJ_E10value_typeEPNSP_ISK_E10value_typeEPSL_NS1_7vsmem_tEENKUlT_SJ_SK_SL_E_clIPxSE_SF_SF_EESI_SY_SJ_SK_SL_EUlSY_E_NS1_11comp_targetILNS1_3genE0ELNS1_11target_archE4294967295ELNS1_3gpuE0ELNS1_3repE0EEENS1_48merge_mergepath_partition_config_static_selectorELNS0_4arch9wavefront6targetE0EEEvSK_.uses_flat_scratch, 0
	.set _ZN7rocprim17ROCPRIM_400000_NS6detail17trampoline_kernelINS0_14default_configENS1_38merge_sort_block_merge_config_selectorIxNS0_10empty_typeEEEZZNS1_27merge_sort_block_merge_implIS3_N6thrust23THRUST_200600_302600_NS6detail15normal_iteratorINS9_10device_ptrIxEEEEPS5_m9comp_mod3IxEEE10hipError_tT0_T1_T2_jT3_P12ihipStream_tbPNSt15iterator_traitsISJ_E10value_typeEPNSP_ISK_E10value_typeEPSL_NS1_7vsmem_tEENKUlT_SJ_SK_SL_E_clIPxSE_SF_SF_EESI_SY_SJ_SK_SL_EUlSY_E_NS1_11comp_targetILNS1_3genE0ELNS1_11target_archE4294967295ELNS1_3gpuE0ELNS1_3repE0EEENS1_48merge_mergepath_partition_config_static_selectorELNS0_4arch9wavefront6targetE0EEEvSK_.has_dyn_sized_stack, 0
	.set _ZN7rocprim17ROCPRIM_400000_NS6detail17trampoline_kernelINS0_14default_configENS1_38merge_sort_block_merge_config_selectorIxNS0_10empty_typeEEEZZNS1_27merge_sort_block_merge_implIS3_N6thrust23THRUST_200600_302600_NS6detail15normal_iteratorINS9_10device_ptrIxEEEEPS5_m9comp_mod3IxEEE10hipError_tT0_T1_T2_jT3_P12ihipStream_tbPNSt15iterator_traitsISJ_E10value_typeEPNSP_ISK_E10value_typeEPSL_NS1_7vsmem_tEENKUlT_SJ_SK_SL_E_clIPxSE_SF_SF_EESI_SY_SJ_SK_SL_EUlSY_E_NS1_11comp_targetILNS1_3genE0ELNS1_11target_archE4294967295ELNS1_3gpuE0ELNS1_3repE0EEENS1_48merge_mergepath_partition_config_static_selectorELNS0_4arch9wavefront6targetE0EEEvSK_.has_recursion, 0
	.set _ZN7rocprim17ROCPRIM_400000_NS6detail17trampoline_kernelINS0_14default_configENS1_38merge_sort_block_merge_config_selectorIxNS0_10empty_typeEEEZZNS1_27merge_sort_block_merge_implIS3_N6thrust23THRUST_200600_302600_NS6detail15normal_iteratorINS9_10device_ptrIxEEEEPS5_m9comp_mod3IxEEE10hipError_tT0_T1_T2_jT3_P12ihipStream_tbPNSt15iterator_traitsISJ_E10value_typeEPNSP_ISK_E10value_typeEPSL_NS1_7vsmem_tEENKUlT_SJ_SK_SL_E_clIPxSE_SF_SF_EESI_SY_SJ_SK_SL_EUlSY_E_NS1_11comp_targetILNS1_3genE0ELNS1_11target_archE4294967295ELNS1_3gpuE0ELNS1_3repE0EEENS1_48merge_mergepath_partition_config_static_selectorELNS0_4arch9wavefront6targetE0EEEvSK_.has_indirect_call, 0
	.section	.AMDGPU.csdata,"",@progbits
; Kernel info:
; codeLenInByte = 0
; TotalNumSgprs: 0
; NumVgprs: 0
; ScratchSize: 0
; MemoryBound: 0
; FloatMode: 240
; IeeeMode: 1
; LDSByteSize: 0 bytes/workgroup (compile time only)
; SGPRBlocks: 0
; VGPRBlocks: 0
; NumSGPRsForWavesPerEU: 1
; NumVGPRsForWavesPerEU: 1
; Occupancy: 16
; WaveLimiterHint : 0
; COMPUTE_PGM_RSRC2:SCRATCH_EN: 0
; COMPUTE_PGM_RSRC2:USER_SGPR: 6
; COMPUTE_PGM_RSRC2:TRAP_HANDLER: 0
; COMPUTE_PGM_RSRC2:TGID_X_EN: 1
; COMPUTE_PGM_RSRC2:TGID_Y_EN: 0
; COMPUTE_PGM_RSRC2:TGID_Z_EN: 0
; COMPUTE_PGM_RSRC2:TIDIG_COMP_CNT: 0
	.section	.text._ZN7rocprim17ROCPRIM_400000_NS6detail17trampoline_kernelINS0_14default_configENS1_38merge_sort_block_merge_config_selectorIxNS0_10empty_typeEEEZZNS1_27merge_sort_block_merge_implIS3_N6thrust23THRUST_200600_302600_NS6detail15normal_iteratorINS9_10device_ptrIxEEEEPS5_m9comp_mod3IxEEE10hipError_tT0_T1_T2_jT3_P12ihipStream_tbPNSt15iterator_traitsISJ_E10value_typeEPNSP_ISK_E10value_typeEPSL_NS1_7vsmem_tEENKUlT_SJ_SK_SL_E_clIPxSE_SF_SF_EESI_SY_SJ_SK_SL_EUlSY_E_NS1_11comp_targetILNS1_3genE10ELNS1_11target_archE1201ELNS1_3gpuE5ELNS1_3repE0EEENS1_48merge_mergepath_partition_config_static_selectorELNS0_4arch9wavefront6targetE0EEEvSK_,"axG",@progbits,_ZN7rocprim17ROCPRIM_400000_NS6detail17trampoline_kernelINS0_14default_configENS1_38merge_sort_block_merge_config_selectorIxNS0_10empty_typeEEEZZNS1_27merge_sort_block_merge_implIS3_N6thrust23THRUST_200600_302600_NS6detail15normal_iteratorINS9_10device_ptrIxEEEEPS5_m9comp_mod3IxEEE10hipError_tT0_T1_T2_jT3_P12ihipStream_tbPNSt15iterator_traitsISJ_E10value_typeEPNSP_ISK_E10value_typeEPSL_NS1_7vsmem_tEENKUlT_SJ_SK_SL_E_clIPxSE_SF_SF_EESI_SY_SJ_SK_SL_EUlSY_E_NS1_11comp_targetILNS1_3genE10ELNS1_11target_archE1201ELNS1_3gpuE5ELNS1_3repE0EEENS1_48merge_mergepath_partition_config_static_selectorELNS0_4arch9wavefront6targetE0EEEvSK_,comdat
	.protected	_ZN7rocprim17ROCPRIM_400000_NS6detail17trampoline_kernelINS0_14default_configENS1_38merge_sort_block_merge_config_selectorIxNS0_10empty_typeEEEZZNS1_27merge_sort_block_merge_implIS3_N6thrust23THRUST_200600_302600_NS6detail15normal_iteratorINS9_10device_ptrIxEEEEPS5_m9comp_mod3IxEEE10hipError_tT0_T1_T2_jT3_P12ihipStream_tbPNSt15iterator_traitsISJ_E10value_typeEPNSP_ISK_E10value_typeEPSL_NS1_7vsmem_tEENKUlT_SJ_SK_SL_E_clIPxSE_SF_SF_EESI_SY_SJ_SK_SL_EUlSY_E_NS1_11comp_targetILNS1_3genE10ELNS1_11target_archE1201ELNS1_3gpuE5ELNS1_3repE0EEENS1_48merge_mergepath_partition_config_static_selectorELNS0_4arch9wavefront6targetE0EEEvSK_ ; -- Begin function _ZN7rocprim17ROCPRIM_400000_NS6detail17trampoline_kernelINS0_14default_configENS1_38merge_sort_block_merge_config_selectorIxNS0_10empty_typeEEEZZNS1_27merge_sort_block_merge_implIS3_N6thrust23THRUST_200600_302600_NS6detail15normal_iteratorINS9_10device_ptrIxEEEEPS5_m9comp_mod3IxEEE10hipError_tT0_T1_T2_jT3_P12ihipStream_tbPNSt15iterator_traitsISJ_E10value_typeEPNSP_ISK_E10value_typeEPSL_NS1_7vsmem_tEENKUlT_SJ_SK_SL_E_clIPxSE_SF_SF_EESI_SY_SJ_SK_SL_EUlSY_E_NS1_11comp_targetILNS1_3genE10ELNS1_11target_archE1201ELNS1_3gpuE5ELNS1_3repE0EEENS1_48merge_mergepath_partition_config_static_selectorELNS0_4arch9wavefront6targetE0EEEvSK_
	.globl	_ZN7rocprim17ROCPRIM_400000_NS6detail17trampoline_kernelINS0_14default_configENS1_38merge_sort_block_merge_config_selectorIxNS0_10empty_typeEEEZZNS1_27merge_sort_block_merge_implIS3_N6thrust23THRUST_200600_302600_NS6detail15normal_iteratorINS9_10device_ptrIxEEEEPS5_m9comp_mod3IxEEE10hipError_tT0_T1_T2_jT3_P12ihipStream_tbPNSt15iterator_traitsISJ_E10value_typeEPNSP_ISK_E10value_typeEPSL_NS1_7vsmem_tEENKUlT_SJ_SK_SL_E_clIPxSE_SF_SF_EESI_SY_SJ_SK_SL_EUlSY_E_NS1_11comp_targetILNS1_3genE10ELNS1_11target_archE1201ELNS1_3gpuE5ELNS1_3repE0EEENS1_48merge_mergepath_partition_config_static_selectorELNS0_4arch9wavefront6targetE0EEEvSK_
	.p2align	8
	.type	_ZN7rocprim17ROCPRIM_400000_NS6detail17trampoline_kernelINS0_14default_configENS1_38merge_sort_block_merge_config_selectorIxNS0_10empty_typeEEEZZNS1_27merge_sort_block_merge_implIS3_N6thrust23THRUST_200600_302600_NS6detail15normal_iteratorINS9_10device_ptrIxEEEEPS5_m9comp_mod3IxEEE10hipError_tT0_T1_T2_jT3_P12ihipStream_tbPNSt15iterator_traitsISJ_E10value_typeEPNSP_ISK_E10value_typeEPSL_NS1_7vsmem_tEENKUlT_SJ_SK_SL_E_clIPxSE_SF_SF_EESI_SY_SJ_SK_SL_EUlSY_E_NS1_11comp_targetILNS1_3genE10ELNS1_11target_archE1201ELNS1_3gpuE5ELNS1_3repE0EEENS1_48merge_mergepath_partition_config_static_selectorELNS0_4arch9wavefront6targetE0EEEvSK_,@function
_ZN7rocprim17ROCPRIM_400000_NS6detail17trampoline_kernelINS0_14default_configENS1_38merge_sort_block_merge_config_selectorIxNS0_10empty_typeEEEZZNS1_27merge_sort_block_merge_implIS3_N6thrust23THRUST_200600_302600_NS6detail15normal_iteratorINS9_10device_ptrIxEEEEPS5_m9comp_mod3IxEEE10hipError_tT0_T1_T2_jT3_P12ihipStream_tbPNSt15iterator_traitsISJ_E10value_typeEPNSP_ISK_E10value_typeEPSL_NS1_7vsmem_tEENKUlT_SJ_SK_SL_E_clIPxSE_SF_SF_EESI_SY_SJ_SK_SL_EUlSY_E_NS1_11comp_targetILNS1_3genE10ELNS1_11target_archE1201ELNS1_3gpuE5ELNS1_3repE0EEENS1_48merge_mergepath_partition_config_static_selectorELNS0_4arch9wavefront6targetE0EEEvSK_: ; @_ZN7rocprim17ROCPRIM_400000_NS6detail17trampoline_kernelINS0_14default_configENS1_38merge_sort_block_merge_config_selectorIxNS0_10empty_typeEEEZZNS1_27merge_sort_block_merge_implIS3_N6thrust23THRUST_200600_302600_NS6detail15normal_iteratorINS9_10device_ptrIxEEEEPS5_m9comp_mod3IxEEE10hipError_tT0_T1_T2_jT3_P12ihipStream_tbPNSt15iterator_traitsISJ_E10value_typeEPNSP_ISK_E10value_typeEPSL_NS1_7vsmem_tEENKUlT_SJ_SK_SL_E_clIPxSE_SF_SF_EESI_SY_SJ_SK_SL_EUlSY_E_NS1_11comp_targetILNS1_3genE10ELNS1_11target_archE1201ELNS1_3gpuE5ELNS1_3repE0EEENS1_48merge_mergepath_partition_config_static_selectorELNS0_4arch9wavefront6targetE0EEEvSK_
; %bb.0:
	.section	.rodata,"a",@progbits
	.p2align	6, 0x0
	.amdhsa_kernel _ZN7rocprim17ROCPRIM_400000_NS6detail17trampoline_kernelINS0_14default_configENS1_38merge_sort_block_merge_config_selectorIxNS0_10empty_typeEEEZZNS1_27merge_sort_block_merge_implIS3_N6thrust23THRUST_200600_302600_NS6detail15normal_iteratorINS9_10device_ptrIxEEEEPS5_m9comp_mod3IxEEE10hipError_tT0_T1_T2_jT3_P12ihipStream_tbPNSt15iterator_traitsISJ_E10value_typeEPNSP_ISK_E10value_typeEPSL_NS1_7vsmem_tEENKUlT_SJ_SK_SL_E_clIPxSE_SF_SF_EESI_SY_SJ_SK_SL_EUlSY_E_NS1_11comp_targetILNS1_3genE10ELNS1_11target_archE1201ELNS1_3gpuE5ELNS1_3repE0EEENS1_48merge_mergepath_partition_config_static_selectorELNS0_4arch9wavefront6targetE0EEEvSK_
		.amdhsa_group_segment_fixed_size 0
		.amdhsa_private_segment_fixed_size 0
		.amdhsa_kernarg_size 48
		.amdhsa_user_sgpr_count 6
		.amdhsa_user_sgpr_private_segment_buffer 1
		.amdhsa_user_sgpr_dispatch_ptr 0
		.amdhsa_user_sgpr_queue_ptr 0
		.amdhsa_user_sgpr_kernarg_segment_ptr 1
		.amdhsa_user_sgpr_dispatch_id 0
		.amdhsa_user_sgpr_flat_scratch_init 0
		.amdhsa_user_sgpr_private_segment_size 0
		.amdhsa_wavefront_size32 1
		.amdhsa_uses_dynamic_stack 0
		.amdhsa_system_sgpr_private_segment_wavefront_offset 0
		.amdhsa_system_sgpr_workgroup_id_x 1
		.amdhsa_system_sgpr_workgroup_id_y 0
		.amdhsa_system_sgpr_workgroup_id_z 0
		.amdhsa_system_sgpr_workgroup_info 0
		.amdhsa_system_vgpr_workitem_id 0
		.amdhsa_next_free_vgpr 1
		.amdhsa_next_free_sgpr 1
		.amdhsa_reserve_vcc 0
		.amdhsa_reserve_flat_scratch 0
		.amdhsa_float_round_mode_32 0
		.amdhsa_float_round_mode_16_64 0
		.amdhsa_float_denorm_mode_32 3
		.amdhsa_float_denorm_mode_16_64 3
		.amdhsa_dx10_clamp 1
		.amdhsa_ieee_mode 1
		.amdhsa_fp16_overflow 0
		.amdhsa_workgroup_processor_mode 1
		.amdhsa_memory_ordered 1
		.amdhsa_forward_progress 1
		.amdhsa_shared_vgpr_count 0
		.amdhsa_exception_fp_ieee_invalid_op 0
		.amdhsa_exception_fp_denorm_src 0
		.amdhsa_exception_fp_ieee_div_zero 0
		.amdhsa_exception_fp_ieee_overflow 0
		.amdhsa_exception_fp_ieee_underflow 0
		.amdhsa_exception_fp_ieee_inexact 0
		.amdhsa_exception_int_div_zero 0
	.end_amdhsa_kernel
	.section	.text._ZN7rocprim17ROCPRIM_400000_NS6detail17trampoline_kernelINS0_14default_configENS1_38merge_sort_block_merge_config_selectorIxNS0_10empty_typeEEEZZNS1_27merge_sort_block_merge_implIS3_N6thrust23THRUST_200600_302600_NS6detail15normal_iteratorINS9_10device_ptrIxEEEEPS5_m9comp_mod3IxEEE10hipError_tT0_T1_T2_jT3_P12ihipStream_tbPNSt15iterator_traitsISJ_E10value_typeEPNSP_ISK_E10value_typeEPSL_NS1_7vsmem_tEENKUlT_SJ_SK_SL_E_clIPxSE_SF_SF_EESI_SY_SJ_SK_SL_EUlSY_E_NS1_11comp_targetILNS1_3genE10ELNS1_11target_archE1201ELNS1_3gpuE5ELNS1_3repE0EEENS1_48merge_mergepath_partition_config_static_selectorELNS0_4arch9wavefront6targetE0EEEvSK_,"axG",@progbits,_ZN7rocprim17ROCPRIM_400000_NS6detail17trampoline_kernelINS0_14default_configENS1_38merge_sort_block_merge_config_selectorIxNS0_10empty_typeEEEZZNS1_27merge_sort_block_merge_implIS3_N6thrust23THRUST_200600_302600_NS6detail15normal_iteratorINS9_10device_ptrIxEEEEPS5_m9comp_mod3IxEEE10hipError_tT0_T1_T2_jT3_P12ihipStream_tbPNSt15iterator_traitsISJ_E10value_typeEPNSP_ISK_E10value_typeEPSL_NS1_7vsmem_tEENKUlT_SJ_SK_SL_E_clIPxSE_SF_SF_EESI_SY_SJ_SK_SL_EUlSY_E_NS1_11comp_targetILNS1_3genE10ELNS1_11target_archE1201ELNS1_3gpuE5ELNS1_3repE0EEENS1_48merge_mergepath_partition_config_static_selectorELNS0_4arch9wavefront6targetE0EEEvSK_,comdat
.Lfunc_end932:
	.size	_ZN7rocprim17ROCPRIM_400000_NS6detail17trampoline_kernelINS0_14default_configENS1_38merge_sort_block_merge_config_selectorIxNS0_10empty_typeEEEZZNS1_27merge_sort_block_merge_implIS3_N6thrust23THRUST_200600_302600_NS6detail15normal_iteratorINS9_10device_ptrIxEEEEPS5_m9comp_mod3IxEEE10hipError_tT0_T1_T2_jT3_P12ihipStream_tbPNSt15iterator_traitsISJ_E10value_typeEPNSP_ISK_E10value_typeEPSL_NS1_7vsmem_tEENKUlT_SJ_SK_SL_E_clIPxSE_SF_SF_EESI_SY_SJ_SK_SL_EUlSY_E_NS1_11comp_targetILNS1_3genE10ELNS1_11target_archE1201ELNS1_3gpuE5ELNS1_3repE0EEENS1_48merge_mergepath_partition_config_static_selectorELNS0_4arch9wavefront6targetE0EEEvSK_, .Lfunc_end932-_ZN7rocprim17ROCPRIM_400000_NS6detail17trampoline_kernelINS0_14default_configENS1_38merge_sort_block_merge_config_selectorIxNS0_10empty_typeEEEZZNS1_27merge_sort_block_merge_implIS3_N6thrust23THRUST_200600_302600_NS6detail15normal_iteratorINS9_10device_ptrIxEEEEPS5_m9comp_mod3IxEEE10hipError_tT0_T1_T2_jT3_P12ihipStream_tbPNSt15iterator_traitsISJ_E10value_typeEPNSP_ISK_E10value_typeEPSL_NS1_7vsmem_tEENKUlT_SJ_SK_SL_E_clIPxSE_SF_SF_EESI_SY_SJ_SK_SL_EUlSY_E_NS1_11comp_targetILNS1_3genE10ELNS1_11target_archE1201ELNS1_3gpuE5ELNS1_3repE0EEENS1_48merge_mergepath_partition_config_static_selectorELNS0_4arch9wavefront6targetE0EEEvSK_
                                        ; -- End function
	.set _ZN7rocprim17ROCPRIM_400000_NS6detail17trampoline_kernelINS0_14default_configENS1_38merge_sort_block_merge_config_selectorIxNS0_10empty_typeEEEZZNS1_27merge_sort_block_merge_implIS3_N6thrust23THRUST_200600_302600_NS6detail15normal_iteratorINS9_10device_ptrIxEEEEPS5_m9comp_mod3IxEEE10hipError_tT0_T1_T2_jT3_P12ihipStream_tbPNSt15iterator_traitsISJ_E10value_typeEPNSP_ISK_E10value_typeEPSL_NS1_7vsmem_tEENKUlT_SJ_SK_SL_E_clIPxSE_SF_SF_EESI_SY_SJ_SK_SL_EUlSY_E_NS1_11comp_targetILNS1_3genE10ELNS1_11target_archE1201ELNS1_3gpuE5ELNS1_3repE0EEENS1_48merge_mergepath_partition_config_static_selectorELNS0_4arch9wavefront6targetE0EEEvSK_.num_vgpr, 0
	.set _ZN7rocprim17ROCPRIM_400000_NS6detail17trampoline_kernelINS0_14default_configENS1_38merge_sort_block_merge_config_selectorIxNS0_10empty_typeEEEZZNS1_27merge_sort_block_merge_implIS3_N6thrust23THRUST_200600_302600_NS6detail15normal_iteratorINS9_10device_ptrIxEEEEPS5_m9comp_mod3IxEEE10hipError_tT0_T1_T2_jT3_P12ihipStream_tbPNSt15iterator_traitsISJ_E10value_typeEPNSP_ISK_E10value_typeEPSL_NS1_7vsmem_tEENKUlT_SJ_SK_SL_E_clIPxSE_SF_SF_EESI_SY_SJ_SK_SL_EUlSY_E_NS1_11comp_targetILNS1_3genE10ELNS1_11target_archE1201ELNS1_3gpuE5ELNS1_3repE0EEENS1_48merge_mergepath_partition_config_static_selectorELNS0_4arch9wavefront6targetE0EEEvSK_.num_agpr, 0
	.set _ZN7rocprim17ROCPRIM_400000_NS6detail17trampoline_kernelINS0_14default_configENS1_38merge_sort_block_merge_config_selectorIxNS0_10empty_typeEEEZZNS1_27merge_sort_block_merge_implIS3_N6thrust23THRUST_200600_302600_NS6detail15normal_iteratorINS9_10device_ptrIxEEEEPS5_m9comp_mod3IxEEE10hipError_tT0_T1_T2_jT3_P12ihipStream_tbPNSt15iterator_traitsISJ_E10value_typeEPNSP_ISK_E10value_typeEPSL_NS1_7vsmem_tEENKUlT_SJ_SK_SL_E_clIPxSE_SF_SF_EESI_SY_SJ_SK_SL_EUlSY_E_NS1_11comp_targetILNS1_3genE10ELNS1_11target_archE1201ELNS1_3gpuE5ELNS1_3repE0EEENS1_48merge_mergepath_partition_config_static_selectorELNS0_4arch9wavefront6targetE0EEEvSK_.numbered_sgpr, 0
	.set _ZN7rocprim17ROCPRIM_400000_NS6detail17trampoline_kernelINS0_14default_configENS1_38merge_sort_block_merge_config_selectorIxNS0_10empty_typeEEEZZNS1_27merge_sort_block_merge_implIS3_N6thrust23THRUST_200600_302600_NS6detail15normal_iteratorINS9_10device_ptrIxEEEEPS5_m9comp_mod3IxEEE10hipError_tT0_T1_T2_jT3_P12ihipStream_tbPNSt15iterator_traitsISJ_E10value_typeEPNSP_ISK_E10value_typeEPSL_NS1_7vsmem_tEENKUlT_SJ_SK_SL_E_clIPxSE_SF_SF_EESI_SY_SJ_SK_SL_EUlSY_E_NS1_11comp_targetILNS1_3genE10ELNS1_11target_archE1201ELNS1_3gpuE5ELNS1_3repE0EEENS1_48merge_mergepath_partition_config_static_selectorELNS0_4arch9wavefront6targetE0EEEvSK_.num_named_barrier, 0
	.set _ZN7rocprim17ROCPRIM_400000_NS6detail17trampoline_kernelINS0_14default_configENS1_38merge_sort_block_merge_config_selectorIxNS0_10empty_typeEEEZZNS1_27merge_sort_block_merge_implIS3_N6thrust23THRUST_200600_302600_NS6detail15normal_iteratorINS9_10device_ptrIxEEEEPS5_m9comp_mod3IxEEE10hipError_tT0_T1_T2_jT3_P12ihipStream_tbPNSt15iterator_traitsISJ_E10value_typeEPNSP_ISK_E10value_typeEPSL_NS1_7vsmem_tEENKUlT_SJ_SK_SL_E_clIPxSE_SF_SF_EESI_SY_SJ_SK_SL_EUlSY_E_NS1_11comp_targetILNS1_3genE10ELNS1_11target_archE1201ELNS1_3gpuE5ELNS1_3repE0EEENS1_48merge_mergepath_partition_config_static_selectorELNS0_4arch9wavefront6targetE0EEEvSK_.private_seg_size, 0
	.set _ZN7rocprim17ROCPRIM_400000_NS6detail17trampoline_kernelINS0_14default_configENS1_38merge_sort_block_merge_config_selectorIxNS0_10empty_typeEEEZZNS1_27merge_sort_block_merge_implIS3_N6thrust23THRUST_200600_302600_NS6detail15normal_iteratorINS9_10device_ptrIxEEEEPS5_m9comp_mod3IxEEE10hipError_tT0_T1_T2_jT3_P12ihipStream_tbPNSt15iterator_traitsISJ_E10value_typeEPNSP_ISK_E10value_typeEPSL_NS1_7vsmem_tEENKUlT_SJ_SK_SL_E_clIPxSE_SF_SF_EESI_SY_SJ_SK_SL_EUlSY_E_NS1_11comp_targetILNS1_3genE10ELNS1_11target_archE1201ELNS1_3gpuE5ELNS1_3repE0EEENS1_48merge_mergepath_partition_config_static_selectorELNS0_4arch9wavefront6targetE0EEEvSK_.uses_vcc, 0
	.set _ZN7rocprim17ROCPRIM_400000_NS6detail17trampoline_kernelINS0_14default_configENS1_38merge_sort_block_merge_config_selectorIxNS0_10empty_typeEEEZZNS1_27merge_sort_block_merge_implIS3_N6thrust23THRUST_200600_302600_NS6detail15normal_iteratorINS9_10device_ptrIxEEEEPS5_m9comp_mod3IxEEE10hipError_tT0_T1_T2_jT3_P12ihipStream_tbPNSt15iterator_traitsISJ_E10value_typeEPNSP_ISK_E10value_typeEPSL_NS1_7vsmem_tEENKUlT_SJ_SK_SL_E_clIPxSE_SF_SF_EESI_SY_SJ_SK_SL_EUlSY_E_NS1_11comp_targetILNS1_3genE10ELNS1_11target_archE1201ELNS1_3gpuE5ELNS1_3repE0EEENS1_48merge_mergepath_partition_config_static_selectorELNS0_4arch9wavefront6targetE0EEEvSK_.uses_flat_scratch, 0
	.set _ZN7rocprim17ROCPRIM_400000_NS6detail17trampoline_kernelINS0_14default_configENS1_38merge_sort_block_merge_config_selectorIxNS0_10empty_typeEEEZZNS1_27merge_sort_block_merge_implIS3_N6thrust23THRUST_200600_302600_NS6detail15normal_iteratorINS9_10device_ptrIxEEEEPS5_m9comp_mod3IxEEE10hipError_tT0_T1_T2_jT3_P12ihipStream_tbPNSt15iterator_traitsISJ_E10value_typeEPNSP_ISK_E10value_typeEPSL_NS1_7vsmem_tEENKUlT_SJ_SK_SL_E_clIPxSE_SF_SF_EESI_SY_SJ_SK_SL_EUlSY_E_NS1_11comp_targetILNS1_3genE10ELNS1_11target_archE1201ELNS1_3gpuE5ELNS1_3repE0EEENS1_48merge_mergepath_partition_config_static_selectorELNS0_4arch9wavefront6targetE0EEEvSK_.has_dyn_sized_stack, 0
	.set _ZN7rocprim17ROCPRIM_400000_NS6detail17trampoline_kernelINS0_14default_configENS1_38merge_sort_block_merge_config_selectorIxNS0_10empty_typeEEEZZNS1_27merge_sort_block_merge_implIS3_N6thrust23THRUST_200600_302600_NS6detail15normal_iteratorINS9_10device_ptrIxEEEEPS5_m9comp_mod3IxEEE10hipError_tT0_T1_T2_jT3_P12ihipStream_tbPNSt15iterator_traitsISJ_E10value_typeEPNSP_ISK_E10value_typeEPSL_NS1_7vsmem_tEENKUlT_SJ_SK_SL_E_clIPxSE_SF_SF_EESI_SY_SJ_SK_SL_EUlSY_E_NS1_11comp_targetILNS1_3genE10ELNS1_11target_archE1201ELNS1_3gpuE5ELNS1_3repE0EEENS1_48merge_mergepath_partition_config_static_selectorELNS0_4arch9wavefront6targetE0EEEvSK_.has_recursion, 0
	.set _ZN7rocprim17ROCPRIM_400000_NS6detail17trampoline_kernelINS0_14default_configENS1_38merge_sort_block_merge_config_selectorIxNS0_10empty_typeEEEZZNS1_27merge_sort_block_merge_implIS3_N6thrust23THRUST_200600_302600_NS6detail15normal_iteratorINS9_10device_ptrIxEEEEPS5_m9comp_mod3IxEEE10hipError_tT0_T1_T2_jT3_P12ihipStream_tbPNSt15iterator_traitsISJ_E10value_typeEPNSP_ISK_E10value_typeEPSL_NS1_7vsmem_tEENKUlT_SJ_SK_SL_E_clIPxSE_SF_SF_EESI_SY_SJ_SK_SL_EUlSY_E_NS1_11comp_targetILNS1_3genE10ELNS1_11target_archE1201ELNS1_3gpuE5ELNS1_3repE0EEENS1_48merge_mergepath_partition_config_static_selectorELNS0_4arch9wavefront6targetE0EEEvSK_.has_indirect_call, 0
	.section	.AMDGPU.csdata,"",@progbits
; Kernel info:
; codeLenInByte = 0
; TotalNumSgprs: 0
; NumVgprs: 0
; ScratchSize: 0
; MemoryBound: 0
; FloatMode: 240
; IeeeMode: 1
; LDSByteSize: 0 bytes/workgroup (compile time only)
; SGPRBlocks: 0
; VGPRBlocks: 0
; NumSGPRsForWavesPerEU: 1
; NumVGPRsForWavesPerEU: 1
; Occupancy: 16
; WaveLimiterHint : 0
; COMPUTE_PGM_RSRC2:SCRATCH_EN: 0
; COMPUTE_PGM_RSRC2:USER_SGPR: 6
; COMPUTE_PGM_RSRC2:TRAP_HANDLER: 0
; COMPUTE_PGM_RSRC2:TGID_X_EN: 1
; COMPUTE_PGM_RSRC2:TGID_Y_EN: 0
; COMPUTE_PGM_RSRC2:TGID_Z_EN: 0
; COMPUTE_PGM_RSRC2:TIDIG_COMP_CNT: 0
	.section	.text._ZN7rocprim17ROCPRIM_400000_NS6detail17trampoline_kernelINS0_14default_configENS1_38merge_sort_block_merge_config_selectorIxNS0_10empty_typeEEEZZNS1_27merge_sort_block_merge_implIS3_N6thrust23THRUST_200600_302600_NS6detail15normal_iteratorINS9_10device_ptrIxEEEEPS5_m9comp_mod3IxEEE10hipError_tT0_T1_T2_jT3_P12ihipStream_tbPNSt15iterator_traitsISJ_E10value_typeEPNSP_ISK_E10value_typeEPSL_NS1_7vsmem_tEENKUlT_SJ_SK_SL_E_clIPxSE_SF_SF_EESI_SY_SJ_SK_SL_EUlSY_E_NS1_11comp_targetILNS1_3genE5ELNS1_11target_archE942ELNS1_3gpuE9ELNS1_3repE0EEENS1_48merge_mergepath_partition_config_static_selectorELNS0_4arch9wavefront6targetE0EEEvSK_,"axG",@progbits,_ZN7rocprim17ROCPRIM_400000_NS6detail17trampoline_kernelINS0_14default_configENS1_38merge_sort_block_merge_config_selectorIxNS0_10empty_typeEEEZZNS1_27merge_sort_block_merge_implIS3_N6thrust23THRUST_200600_302600_NS6detail15normal_iteratorINS9_10device_ptrIxEEEEPS5_m9comp_mod3IxEEE10hipError_tT0_T1_T2_jT3_P12ihipStream_tbPNSt15iterator_traitsISJ_E10value_typeEPNSP_ISK_E10value_typeEPSL_NS1_7vsmem_tEENKUlT_SJ_SK_SL_E_clIPxSE_SF_SF_EESI_SY_SJ_SK_SL_EUlSY_E_NS1_11comp_targetILNS1_3genE5ELNS1_11target_archE942ELNS1_3gpuE9ELNS1_3repE0EEENS1_48merge_mergepath_partition_config_static_selectorELNS0_4arch9wavefront6targetE0EEEvSK_,comdat
	.protected	_ZN7rocprim17ROCPRIM_400000_NS6detail17trampoline_kernelINS0_14default_configENS1_38merge_sort_block_merge_config_selectorIxNS0_10empty_typeEEEZZNS1_27merge_sort_block_merge_implIS3_N6thrust23THRUST_200600_302600_NS6detail15normal_iteratorINS9_10device_ptrIxEEEEPS5_m9comp_mod3IxEEE10hipError_tT0_T1_T2_jT3_P12ihipStream_tbPNSt15iterator_traitsISJ_E10value_typeEPNSP_ISK_E10value_typeEPSL_NS1_7vsmem_tEENKUlT_SJ_SK_SL_E_clIPxSE_SF_SF_EESI_SY_SJ_SK_SL_EUlSY_E_NS1_11comp_targetILNS1_3genE5ELNS1_11target_archE942ELNS1_3gpuE9ELNS1_3repE0EEENS1_48merge_mergepath_partition_config_static_selectorELNS0_4arch9wavefront6targetE0EEEvSK_ ; -- Begin function _ZN7rocprim17ROCPRIM_400000_NS6detail17trampoline_kernelINS0_14default_configENS1_38merge_sort_block_merge_config_selectorIxNS0_10empty_typeEEEZZNS1_27merge_sort_block_merge_implIS3_N6thrust23THRUST_200600_302600_NS6detail15normal_iteratorINS9_10device_ptrIxEEEEPS5_m9comp_mod3IxEEE10hipError_tT0_T1_T2_jT3_P12ihipStream_tbPNSt15iterator_traitsISJ_E10value_typeEPNSP_ISK_E10value_typeEPSL_NS1_7vsmem_tEENKUlT_SJ_SK_SL_E_clIPxSE_SF_SF_EESI_SY_SJ_SK_SL_EUlSY_E_NS1_11comp_targetILNS1_3genE5ELNS1_11target_archE942ELNS1_3gpuE9ELNS1_3repE0EEENS1_48merge_mergepath_partition_config_static_selectorELNS0_4arch9wavefront6targetE0EEEvSK_
	.globl	_ZN7rocprim17ROCPRIM_400000_NS6detail17trampoline_kernelINS0_14default_configENS1_38merge_sort_block_merge_config_selectorIxNS0_10empty_typeEEEZZNS1_27merge_sort_block_merge_implIS3_N6thrust23THRUST_200600_302600_NS6detail15normal_iteratorINS9_10device_ptrIxEEEEPS5_m9comp_mod3IxEEE10hipError_tT0_T1_T2_jT3_P12ihipStream_tbPNSt15iterator_traitsISJ_E10value_typeEPNSP_ISK_E10value_typeEPSL_NS1_7vsmem_tEENKUlT_SJ_SK_SL_E_clIPxSE_SF_SF_EESI_SY_SJ_SK_SL_EUlSY_E_NS1_11comp_targetILNS1_3genE5ELNS1_11target_archE942ELNS1_3gpuE9ELNS1_3repE0EEENS1_48merge_mergepath_partition_config_static_selectorELNS0_4arch9wavefront6targetE0EEEvSK_
	.p2align	8
	.type	_ZN7rocprim17ROCPRIM_400000_NS6detail17trampoline_kernelINS0_14default_configENS1_38merge_sort_block_merge_config_selectorIxNS0_10empty_typeEEEZZNS1_27merge_sort_block_merge_implIS3_N6thrust23THRUST_200600_302600_NS6detail15normal_iteratorINS9_10device_ptrIxEEEEPS5_m9comp_mod3IxEEE10hipError_tT0_T1_T2_jT3_P12ihipStream_tbPNSt15iterator_traitsISJ_E10value_typeEPNSP_ISK_E10value_typeEPSL_NS1_7vsmem_tEENKUlT_SJ_SK_SL_E_clIPxSE_SF_SF_EESI_SY_SJ_SK_SL_EUlSY_E_NS1_11comp_targetILNS1_3genE5ELNS1_11target_archE942ELNS1_3gpuE9ELNS1_3repE0EEENS1_48merge_mergepath_partition_config_static_selectorELNS0_4arch9wavefront6targetE0EEEvSK_,@function
_ZN7rocprim17ROCPRIM_400000_NS6detail17trampoline_kernelINS0_14default_configENS1_38merge_sort_block_merge_config_selectorIxNS0_10empty_typeEEEZZNS1_27merge_sort_block_merge_implIS3_N6thrust23THRUST_200600_302600_NS6detail15normal_iteratorINS9_10device_ptrIxEEEEPS5_m9comp_mod3IxEEE10hipError_tT0_T1_T2_jT3_P12ihipStream_tbPNSt15iterator_traitsISJ_E10value_typeEPNSP_ISK_E10value_typeEPSL_NS1_7vsmem_tEENKUlT_SJ_SK_SL_E_clIPxSE_SF_SF_EESI_SY_SJ_SK_SL_EUlSY_E_NS1_11comp_targetILNS1_3genE5ELNS1_11target_archE942ELNS1_3gpuE9ELNS1_3repE0EEENS1_48merge_mergepath_partition_config_static_selectorELNS0_4arch9wavefront6targetE0EEEvSK_: ; @_ZN7rocprim17ROCPRIM_400000_NS6detail17trampoline_kernelINS0_14default_configENS1_38merge_sort_block_merge_config_selectorIxNS0_10empty_typeEEEZZNS1_27merge_sort_block_merge_implIS3_N6thrust23THRUST_200600_302600_NS6detail15normal_iteratorINS9_10device_ptrIxEEEEPS5_m9comp_mod3IxEEE10hipError_tT0_T1_T2_jT3_P12ihipStream_tbPNSt15iterator_traitsISJ_E10value_typeEPNSP_ISK_E10value_typeEPSL_NS1_7vsmem_tEENKUlT_SJ_SK_SL_E_clIPxSE_SF_SF_EESI_SY_SJ_SK_SL_EUlSY_E_NS1_11comp_targetILNS1_3genE5ELNS1_11target_archE942ELNS1_3gpuE9ELNS1_3repE0EEENS1_48merge_mergepath_partition_config_static_selectorELNS0_4arch9wavefront6targetE0EEEvSK_
; %bb.0:
	.section	.rodata,"a",@progbits
	.p2align	6, 0x0
	.amdhsa_kernel _ZN7rocprim17ROCPRIM_400000_NS6detail17trampoline_kernelINS0_14default_configENS1_38merge_sort_block_merge_config_selectorIxNS0_10empty_typeEEEZZNS1_27merge_sort_block_merge_implIS3_N6thrust23THRUST_200600_302600_NS6detail15normal_iteratorINS9_10device_ptrIxEEEEPS5_m9comp_mod3IxEEE10hipError_tT0_T1_T2_jT3_P12ihipStream_tbPNSt15iterator_traitsISJ_E10value_typeEPNSP_ISK_E10value_typeEPSL_NS1_7vsmem_tEENKUlT_SJ_SK_SL_E_clIPxSE_SF_SF_EESI_SY_SJ_SK_SL_EUlSY_E_NS1_11comp_targetILNS1_3genE5ELNS1_11target_archE942ELNS1_3gpuE9ELNS1_3repE0EEENS1_48merge_mergepath_partition_config_static_selectorELNS0_4arch9wavefront6targetE0EEEvSK_
		.amdhsa_group_segment_fixed_size 0
		.amdhsa_private_segment_fixed_size 0
		.amdhsa_kernarg_size 48
		.amdhsa_user_sgpr_count 6
		.amdhsa_user_sgpr_private_segment_buffer 1
		.amdhsa_user_sgpr_dispatch_ptr 0
		.amdhsa_user_sgpr_queue_ptr 0
		.amdhsa_user_sgpr_kernarg_segment_ptr 1
		.amdhsa_user_sgpr_dispatch_id 0
		.amdhsa_user_sgpr_flat_scratch_init 0
		.amdhsa_user_sgpr_private_segment_size 0
		.amdhsa_wavefront_size32 1
		.amdhsa_uses_dynamic_stack 0
		.amdhsa_system_sgpr_private_segment_wavefront_offset 0
		.amdhsa_system_sgpr_workgroup_id_x 1
		.amdhsa_system_sgpr_workgroup_id_y 0
		.amdhsa_system_sgpr_workgroup_id_z 0
		.amdhsa_system_sgpr_workgroup_info 0
		.amdhsa_system_vgpr_workitem_id 0
		.amdhsa_next_free_vgpr 1
		.amdhsa_next_free_sgpr 1
		.amdhsa_reserve_vcc 0
		.amdhsa_reserve_flat_scratch 0
		.amdhsa_float_round_mode_32 0
		.amdhsa_float_round_mode_16_64 0
		.amdhsa_float_denorm_mode_32 3
		.amdhsa_float_denorm_mode_16_64 3
		.amdhsa_dx10_clamp 1
		.amdhsa_ieee_mode 1
		.amdhsa_fp16_overflow 0
		.amdhsa_workgroup_processor_mode 1
		.amdhsa_memory_ordered 1
		.amdhsa_forward_progress 1
		.amdhsa_shared_vgpr_count 0
		.amdhsa_exception_fp_ieee_invalid_op 0
		.amdhsa_exception_fp_denorm_src 0
		.amdhsa_exception_fp_ieee_div_zero 0
		.amdhsa_exception_fp_ieee_overflow 0
		.amdhsa_exception_fp_ieee_underflow 0
		.amdhsa_exception_fp_ieee_inexact 0
		.amdhsa_exception_int_div_zero 0
	.end_amdhsa_kernel
	.section	.text._ZN7rocprim17ROCPRIM_400000_NS6detail17trampoline_kernelINS0_14default_configENS1_38merge_sort_block_merge_config_selectorIxNS0_10empty_typeEEEZZNS1_27merge_sort_block_merge_implIS3_N6thrust23THRUST_200600_302600_NS6detail15normal_iteratorINS9_10device_ptrIxEEEEPS5_m9comp_mod3IxEEE10hipError_tT0_T1_T2_jT3_P12ihipStream_tbPNSt15iterator_traitsISJ_E10value_typeEPNSP_ISK_E10value_typeEPSL_NS1_7vsmem_tEENKUlT_SJ_SK_SL_E_clIPxSE_SF_SF_EESI_SY_SJ_SK_SL_EUlSY_E_NS1_11comp_targetILNS1_3genE5ELNS1_11target_archE942ELNS1_3gpuE9ELNS1_3repE0EEENS1_48merge_mergepath_partition_config_static_selectorELNS0_4arch9wavefront6targetE0EEEvSK_,"axG",@progbits,_ZN7rocprim17ROCPRIM_400000_NS6detail17trampoline_kernelINS0_14default_configENS1_38merge_sort_block_merge_config_selectorIxNS0_10empty_typeEEEZZNS1_27merge_sort_block_merge_implIS3_N6thrust23THRUST_200600_302600_NS6detail15normal_iteratorINS9_10device_ptrIxEEEEPS5_m9comp_mod3IxEEE10hipError_tT0_T1_T2_jT3_P12ihipStream_tbPNSt15iterator_traitsISJ_E10value_typeEPNSP_ISK_E10value_typeEPSL_NS1_7vsmem_tEENKUlT_SJ_SK_SL_E_clIPxSE_SF_SF_EESI_SY_SJ_SK_SL_EUlSY_E_NS1_11comp_targetILNS1_3genE5ELNS1_11target_archE942ELNS1_3gpuE9ELNS1_3repE0EEENS1_48merge_mergepath_partition_config_static_selectorELNS0_4arch9wavefront6targetE0EEEvSK_,comdat
.Lfunc_end933:
	.size	_ZN7rocprim17ROCPRIM_400000_NS6detail17trampoline_kernelINS0_14default_configENS1_38merge_sort_block_merge_config_selectorIxNS0_10empty_typeEEEZZNS1_27merge_sort_block_merge_implIS3_N6thrust23THRUST_200600_302600_NS6detail15normal_iteratorINS9_10device_ptrIxEEEEPS5_m9comp_mod3IxEEE10hipError_tT0_T1_T2_jT3_P12ihipStream_tbPNSt15iterator_traitsISJ_E10value_typeEPNSP_ISK_E10value_typeEPSL_NS1_7vsmem_tEENKUlT_SJ_SK_SL_E_clIPxSE_SF_SF_EESI_SY_SJ_SK_SL_EUlSY_E_NS1_11comp_targetILNS1_3genE5ELNS1_11target_archE942ELNS1_3gpuE9ELNS1_3repE0EEENS1_48merge_mergepath_partition_config_static_selectorELNS0_4arch9wavefront6targetE0EEEvSK_, .Lfunc_end933-_ZN7rocprim17ROCPRIM_400000_NS6detail17trampoline_kernelINS0_14default_configENS1_38merge_sort_block_merge_config_selectorIxNS0_10empty_typeEEEZZNS1_27merge_sort_block_merge_implIS3_N6thrust23THRUST_200600_302600_NS6detail15normal_iteratorINS9_10device_ptrIxEEEEPS5_m9comp_mod3IxEEE10hipError_tT0_T1_T2_jT3_P12ihipStream_tbPNSt15iterator_traitsISJ_E10value_typeEPNSP_ISK_E10value_typeEPSL_NS1_7vsmem_tEENKUlT_SJ_SK_SL_E_clIPxSE_SF_SF_EESI_SY_SJ_SK_SL_EUlSY_E_NS1_11comp_targetILNS1_3genE5ELNS1_11target_archE942ELNS1_3gpuE9ELNS1_3repE0EEENS1_48merge_mergepath_partition_config_static_selectorELNS0_4arch9wavefront6targetE0EEEvSK_
                                        ; -- End function
	.set _ZN7rocprim17ROCPRIM_400000_NS6detail17trampoline_kernelINS0_14default_configENS1_38merge_sort_block_merge_config_selectorIxNS0_10empty_typeEEEZZNS1_27merge_sort_block_merge_implIS3_N6thrust23THRUST_200600_302600_NS6detail15normal_iteratorINS9_10device_ptrIxEEEEPS5_m9comp_mod3IxEEE10hipError_tT0_T1_T2_jT3_P12ihipStream_tbPNSt15iterator_traitsISJ_E10value_typeEPNSP_ISK_E10value_typeEPSL_NS1_7vsmem_tEENKUlT_SJ_SK_SL_E_clIPxSE_SF_SF_EESI_SY_SJ_SK_SL_EUlSY_E_NS1_11comp_targetILNS1_3genE5ELNS1_11target_archE942ELNS1_3gpuE9ELNS1_3repE0EEENS1_48merge_mergepath_partition_config_static_selectorELNS0_4arch9wavefront6targetE0EEEvSK_.num_vgpr, 0
	.set _ZN7rocprim17ROCPRIM_400000_NS6detail17trampoline_kernelINS0_14default_configENS1_38merge_sort_block_merge_config_selectorIxNS0_10empty_typeEEEZZNS1_27merge_sort_block_merge_implIS3_N6thrust23THRUST_200600_302600_NS6detail15normal_iteratorINS9_10device_ptrIxEEEEPS5_m9comp_mod3IxEEE10hipError_tT0_T1_T2_jT3_P12ihipStream_tbPNSt15iterator_traitsISJ_E10value_typeEPNSP_ISK_E10value_typeEPSL_NS1_7vsmem_tEENKUlT_SJ_SK_SL_E_clIPxSE_SF_SF_EESI_SY_SJ_SK_SL_EUlSY_E_NS1_11comp_targetILNS1_3genE5ELNS1_11target_archE942ELNS1_3gpuE9ELNS1_3repE0EEENS1_48merge_mergepath_partition_config_static_selectorELNS0_4arch9wavefront6targetE0EEEvSK_.num_agpr, 0
	.set _ZN7rocprim17ROCPRIM_400000_NS6detail17trampoline_kernelINS0_14default_configENS1_38merge_sort_block_merge_config_selectorIxNS0_10empty_typeEEEZZNS1_27merge_sort_block_merge_implIS3_N6thrust23THRUST_200600_302600_NS6detail15normal_iteratorINS9_10device_ptrIxEEEEPS5_m9comp_mod3IxEEE10hipError_tT0_T1_T2_jT3_P12ihipStream_tbPNSt15iterator_traitsISJ_E10value_typeEPNSP_ISK_E10value_typeEPSL_NS1_7vsmem_tEENKUlT_SJ_SK_SL_E_clIPxSE_SF_SF_EESI_SY_SJ_SK_SL_EUlSY_E_NS1_11comp_targetILNS1_3genE5ELNS1_11target_archE942ELNS1_3gpuE9ELNS1_3repE0EEENS1_48merge_mergepath_partition_config_static_selectorELNS0_4arch9wavefront6targetE0EEEvSK_.numbered_sgpr, 0
	.set _ZN7rocprim17ROCPRIM_400000_NS6detail17trampoline_kernelINS0_14default_configENS1_38merge_sort_block_merge_config_selectorIxNS0_10empty_typeEEEZZNS1_27merge_sort_block_merge_implIS3_N6thrust23THRUST_200600_302600_NS6detail15normal_iteratorINS9_10device_ptrIxEEEEPS5_m9comp_mod3IxEEE10hipError_tT0_T1_T2_jT3_P12ihipStream_tbPNSt15iterator_traitsISJ_E10value_typeEPNSP_ISK_E10value_typeEPSL_NS1_7vsmem_tEENKUlT_SJ_SK_SL_E_clIPxSE_SF_SF_EESI_SY_SJ_SK_SL_EUlSY_E_NS1_11comp_targetILNS1_3genE5ELNS1_11target_archE942ELNS1_3gpuE9ELNS1_3repE0EEENS1_48merge_mergepath_partition_config_static_selectorELNS0_4arch9wavefront6targetE0EEEvSK_.num_named_barrier, 0
	.set _ZN7rocprim17ROCPRIM_400000_NS6detail17trampoline_kernelINS0_14default_configENS1_38merge_sort_block_merge_config_selectorIxNS0_10empty_typeEEEZZNS1_27merge_sort_block_merge_implIS3_N6thrust23THRUST_200600_302600_NS6detail15normal_iteratorINS9_10device_ptrIxEEEEPS5_m9comp_mod3IxEEE10hipError_tT0_T1_T2_jT3_P12ihipStream_tbPNSt15iterator_traitsISJ_E10value_typeEPNSP_ISK_E10value_typeEPSL_NS1_7vsmem_tEENKUlT_SJ_SK_SL_E_clIPxSE_SF_SF_EESI_SY_SJ_SK_SL_EUlSY_E_NS1_11comp_targetILNS1_3genE5ELNS1_11target_archE942ELNS1_3gpuE9ELNS1_3repE0EEENS1_48merge_mergepath_partition_config_static_selectorELNS0_4arch9wavefront6targetE0EEEvSK_.private_seg_size, 0
	.set _ZN7rocprim17ROCPRIM_400000_NS6detail17trampoline_kernelINS0_14default_configENS1_38merge_sort_block_merge_config_selectorIxNS0_10empty_typeEEEZZNS1_27merge_sort_block_merge_implIS3_N6thrust23THRUST_200600_302600_NS6detail15normal_iteratorINS9_10device_ptrIxEEEEPS5_m9comp_mod3IxEEE10hipError_tT0_T1_T2_jT3_P12ihipStream_tbPNSt15iterator_traitsISJ_E10value_typeEPNSP_ISK_E10value_typeEPSL_NS1_7vsmem_tEENKUlT_SJ_SK_SL_E_clIPxSE_SF_SF_EESI_SY_SJ_SK_SL_EUlSY_E_NS1_11comp_targetILNS1_3genE5ELNS1_11target_archE942ELNS1_3gpuE9ELNS1_3repE0EEENS1_48merge_mergepath_partition_config_static_selectorELNS0_4arch9wavefront6targetE0EEEvSK_.uses_vcc, 0
	.set _ZN7rocprim17ROCPRIM_400000_NS6detail17trampoline_kernelINS0_14default_configENS1_38merge_sort_block_merge_config_selectorIxNS0_10empty_typeEEEZZNS1_27merge_sort_block_merge_implIS3_N6thrust23THRUST_200600_302600_NS6detail15normal_iteratorINS9_10device_ptrIxEEEEPS5_m9comp_mod3IxEEE10hipError_tT0_T1_T2_jT3_P12ihipStream_tbPNSt15iterator_traitsISJ_E10value_typeEPNSP_ISK_E10value_typeEPSL_NS1_7vsmem_tEENKUlT_SJ_SK_SL_E_clIPxSE_SF_SF_EESI_SY_SJ_SK_SL_EUlSY_E_NS1_11comp_targetILNS1_3genE5ELNS1_11target_archE942ELNS1_3gpuE9ELNS1_3repE0EEENS1_48merge_mergepath_partition_config_static_selectorELNS0_4arch9wavefront6targetE0EEEvSK_.uses_flat_scratch, 0
	.set _ZN7rocprim17ROCPRIM_400000_NS6detail17trampoline_kernelINS0_14default_configENS1_38merge_sort_block_merge_config_selectorIxNS0_10empty_typeEEEZZNS1_27merge_sort_block_merge_implIS3_N6thrust23THRUST_200600_302600_NS6detail15normal_iteratorINS9_10device_ptrIxEEEEPS5_m9comp_mod3IxEEE10hipError_tT0_T1_T2_jT3_P12ihipStream_tbPNSt15iterator_traitsISJ_E10value_typeEPNSP_ISK_E10value_typeEPSL_NS1_7vsmem_tEENKUlT_SJ_SK_SL_E_clIPxSE_SF_SF_EESI_SY_SJ_SK_SL_EUlSY_E_NS1_11comp_targetILNS1_3genE5ELNS1_11target_archE942ELNS1_3gpuE9ELNS1_3repE0EEENS1_48merge_mergepath_partition_config_static_selectorELNS0_4arch9wavefront6targetE0EEEvSK_.has_dyn_sized_stack, 0
	.set _ZN7rocprim17ROCPRIM_400000_NS6detail17trampoline_kernelINS0_14default_configENS1_38merge_sort_block_merge_config_selectorIxNS0_10empty_typeEEEZZNS1_27merge_sort_block_merge_implIS3_N6thrust23THRUST_200600_302600_NS6detail15normal_iteratorINS9_10device_ptrIxEEEEPS5_m9comp_mod3IxEEE10hipError_tT0_T1_T2_jT3_P12ihipStream_tbPNSt15iterator_traitsISJ_E10value_typeEPNSP_ISK_E10value_typeEPSL_NS1_7vsmem_tEENKUlT_SJ_SK_SL_E_clIPxSE_SF_SF_EESI_SY_SJ_SK_SL_EUlSY_E_NS1_11comp_targetILNS1_3genE5ELNS1_11target_archE942ELNS1_3gpuE9ELNS1_3repE0EEENS1_48merge_mergepath_partition_config_static_selectorELNS0_4arch9wavefront6targetE0EEEvSK_.has_recursion, 0
	.set _ZN7rocprim17ROCPRIM_400000_NS6detail17trampoline_kernelINS0_14default_configENS1_38merge_sort_block_merge_config_selectorIxNS0_10empty_typeEEEZZNS1_27merge_sort_block_merge_implIS3_N6thrust23THRUST_200600_302600_NS6detail15normal_iteratorINS9_10device_ptrIxEEEEPS5_m9comp_mod3IxEEE10hipError_tT0_T1_T2_jT3_P12ihipStream_tbPNSt15iterator_traitsISJ_E10value_typeEPNSP_ISK_E10value_typeEPSL_NS1_7vsmem_tEENKUlT_SJ_SK_SL_E_clIPxSE_SF_SF_EESI_SY_SJ_SK_SL_EUlSY_E_NS1_11comp_targetILNS1_3genE5ELNS1_11target_archE942ELNS1_3gpuE9ELNS1_3repE0EEENS1_48merge_mergepath_partition_config_static_selectorELNS0_4arch9wavefront6targetE0EEEvSK_.has_indirect_call, 0
	.section	.AMDGPU.csdata,"",@progbits
; Kernel info:
; codeLenInByte = 0
; TotalNumSgprs: 0
; NumVgprs: 0
; ScratchSize: 0
; MemoryBound: 0
; FloatMode: 240
; IeeeMode: 1
; LDSByteSize: 0 bytes/workgroup (compile time only)
; SGPRBlocks: 0
; VGPRBlocks: 0
; NumSGPRsForWavesPerEU: 1
; NumVGPRsForWavesPerEU: 1
; Occupancy: 16
; WaveLimiterHint : 0
; COMPUTE_PGM_RSRC2:SCRATCH_EN: 0
; COMPUTE_PGM_RSRC2:USER_SGPR: 6
; COMPUTE_PGM_RSRC2:TRAP_HANDLER: 0
; COMPUTE_PGM_RSRC2:TGID_X_EN: 1
; COMPUTE_PGM_RSRC2:TGID_Y_EN: 0
; COMPUTE_PGM_RSRC2:TGID_Z_EN: 0
; COMPUTE_PGM_RSRC2:TIDIG_COMP_CNT: 0
	.section	.text._ZN7rocprim17ROCPRIM_400000_NS6detail17trampoline_kernelINS0_14default_configENS1_38merge_sort_block_merge_config_selectorIxNS0_10empty_typeEEEZZNS1_27merge_sort_block_merge_implIS3_N6thrust23THRUST_200600_302600_NS6detail15normal_iteratorINS9_10device_ptrIxEEEEPS5_m9comp_mod3IxEEE10hipError_tT0_T1_T2_jT3_P12ihipStream_tbPNSt15iterator_traitsISJ_E10value_typeEPNSP_ISK_E10value_typeEPSL_NS1_7vsmem_tEENKUlT_SJ_SK_SL_E_clIPxSE_SF_SF_EESI_SY_SJ_SK_SL_EUlSY_E_NS1_11comp_targetILNS1_3genE4ELNS1_11target_archE910ELNS1_3gpuE8ELNS1_3repE0EEENS1_48merge_mergepath_partition_config_static_selectorELNS0_4arch9wavefront6targetE0EEEvSK_,"axG",@progbits,_ZN7rocprim17ROCPRIM_400000_NS6detail17trampoline_kernelINS0_14default_configENS1_38merge_sort_block_merge_config_selectorIxNS0_10empty_typeEEEZZNS1_27merge_sort_block_merge_implIS3_N6thrust23THRUST_200600_302600_NS6detail15normal_iteratorINS9_10device_ptrIxEEEEPS5_m9comp_mod3IxEEE10hipError_tT0_T1_T2_jT3_P12ihipStream_tbPNSt15iterator_traitsISJ_E10value_typeEPNSP_ISK_E10value_typeEPSL_NS1_7vsmem_tEENKUlT_SJ_SK_SL_E_clIPxSE_SF_SF_EESI_SY_SJ_SK_SL_EUlSY_E_NS1_11comp_targetILNS1_3genE4ELNS1_11target_archE910ELNS1_3gpuE8ELNS1_3repE0EEENS1_48merge_mergepath_partition_config_static_selectorELNS0_4arch9wavefront6targetE0EEEvSK_,comdat
	.protected	_ZN7rocprim17ROCPRIM_400000_NS6detail17trampoline_kernelINS0_14default_configENS1_38merge_sort_block_merge_config_selectorIxNS0_10empty_typeEEEZZNS1_27merge_sort_block_merge_implIS3_N6thrust23THRUST_200600_302600_NS6detail15normal_iteratorINS9_10device_ptrIxEEEEPS5_m9comp_mod3IxEEE10hipError_tT0_T1_T2_jT3_P12ihipStream_tbPNSt15iterator_traitsISJ_E10value_typeEPNSP_ISK_E10value_typeEPSL_NS1_7vsmem_tEENKUlT_SJ_SK_SL_E_clIPxSE_SF_SF_EESI_SY_SJ_SK_SL_EUlSY_E_NS1_11comp_targetILNS1_3genE4ELNS1_11target_archE910ELNS1_3gpuE8ELNS1_3repE0EEENS1_48merge_mergepath_partition_config_static_selectorELNS0_4arch9wavefront6targetE0EEEvSK_ ; -- Begin function _ZN7rocprim17ROCPRIM_400000_NS6detail17trampoline_kernelINS0_14default_configENS1_38merge_sort_block_merge_config_selectorIxNS0_10empty_typeEEEZZNS1_27merge_sort_block_merge_implIS3_N6thrust23THRUST_200600_302600_NS6detail15normal_iteratorINS9_10device_ptrIxEEEEPS5_m9comp_mod3IxEEE10hipError_tT0_T1_T2_jT3_P12ihipStream_tbPNSt15iterator_traitsISJ_E10value_typeEPNSP_ISK_E10value_typeEPSL_NS1_7vsmem_tEENKUlT_SJ_SK_SL_E_clIPxSE_SF_SF_EESI_SY_SJ_SK_SL_EUlSY_E_NS1_11comp_targetILNS1_3genE4ELNS1_11target_archE910ELNS1_3gpuE8ELNS1_3repE0EEENS1_48merge_mergepath_partition_config_static_selectorELNS0_4arch9wavefront6targetE0EEEvSK_
	.globl	_ZN7rocprim17ROCPRIM_400000_NS6detail17trampoline_kernelINS0_14default_configENS1_38merge_sort_block_merge_config_selectorIxNS0_10empty_typeEEEZZNS1_27merge_sort_block_merge_implIS3_N6thrust23THRUST_200600_302600_NS6detail15normal_iteratorINS9_10device_ptrIxEEEEPS5_m9comp_mod3IxEEE10hipError_tT0_T1_T2_jT3_P12ihipStream_tbPNSt15iterator_traitsISJ_E10value_typeEPNSP_ISK_E10value_typeEPSL_NS1_7vsmem_tEENKUlT_SJ_SK_SL_E_clIPxSE_SF_SF_EESI_SY_SJ_SK_SL_EUlSY_E_NS1_11comp_targetILNS1_3genE4ELNS1_11target_archE910ELNS1_3gpuE8ELNS1_3repE0EEENS1_48merge_mergepath_partition_config_static_selectorELNS0_4arch9wavefront6targetE0EEEvSK_
	.p2align	8
	.type	_ZN7rocprim17ROCPRIM_400000_NS6detail17trampoline_kernelINS0_14default_configENS1_38merge_sort_block_merge_config_selectorIxNS0_10empty_typeEEEZZNS1_27merge_sort_block_merge_implIS3_N6thrust23THRUST_200600_302600_NS6detail15normal_iteratorINS9_10device_ptrIxEEEEPS5_m9comp_mod3IxEEE10hipError_tT0_T1_T2_jT3_P12ihipStream_tbPNSt15iterator_traitsISJ_E10value_typeEPNSP_ISK_E10value_typeEPSL_NS1_7vsmem_tEENKUlT_SJ_SK_SL_E_clIPxSE_SF_SF_EESI_SY_SJ_SK_SL_EUlSY_E_NS1_11comp_targetILNS1_3genE4ELNS1_11target_archE910ELNS1_3gpuE8ELNS1_3repE0EEENS1_48merge_mergepath_partition_config_static_selectorELNS0_4arch9wavefront6targetE0EEEvSK_,@function
_ZN7rocprim17ROCPRIM_400000_NS6detail17trampoline_kernelINS0_14default_configENS1_38merge_sort_block_merge_config_selectorIxNS0_10empty_typeEEEZZNS1_27merge_sort_block_merge_implIS3_N6thrust23THRUST_200600_302600_NS6detail15normal_iteratorINS9_10device_ptrIxEEEEPS5_m9comp_mod3IxEEE10hipError_tT0_T1_T2_jT3_P12ihipStream_tbPNSt15iterator_traitsISJ_E10value_typeEPNSP_ISK_E10value_typeEPSL_NS1_7vsmem_tEENKUlT_SJ_SK_SL_E_clIPxSE_SF_SF_EESI_SY_SJ_SK_SL_EUlSY_E_NS1_11comp_targetILNS1_3genE4ELNS1_11target_archE910ELNS1_3gpuE8ELNS1_3repE0EEENS1_48merge_mergepath_partition_config_static_selectorELNS0_4arch9wavefront6targetE0EEEvSK_: ; @_ZN7rocprim17ROCPRIM_400000_NS6detail17trampoline_kernelINS0_14default_configENS1_38merge_sort_block_merge_config_selectorIxNS0_10empty_typeEEEZZNS1_27merge_sort_block_merge_implIS3_N6thrust23THRUST_200600_302600_NS6detail15normal_iteratorINS9_10device_ptrIxEEEEPS5_m9comp_mod3IxEEE10hipError_tT0_T1_T2_jT3_P12ihipStream_tbPNSt15iterator_traitsISJ_E10value_typeEPNSP_ISK_E10value_typeEPSL_NS1_7vsmem_tEENKUlT_SJ_SK_SL_E_clIPxSE_SF_SF_EESI_SY_SJ_SK_SL_EUlSY_E_NS1_11comp_targetILNS1_3genE4ELNS1_11target_archE910ELNS1_3gpuE8ELNS1_3repE0EEENS1_48merge_mergepath_partition_config_static_selectorELNS0_4arch9wavefront6targetE0EEEvSK_
; %bb.0:
	.section	.rodata,"a",@progbits
	.p2align	6, 0x0
	.amdhsa_kernel _ZN7rocprim17ROCPRIM_400000_NS6detail17trampoline_kernelINS0_14default_configENS1_38merge_sort_block_merge_config_selectorIxNS0_10empty_typeEEEZZNS1_27merge_sort_block_merge_implIS3_N6thrust23THRUST_200600_302600_NS6detail15normal_iteratorINS9_10device_ptrIxEEEEPS5_m9comp_mod3IxEEE10hipError_tT0_T1_T2_jT3_P12ihipStream_tbPNSt15iterator_traitsISJ_E10value_typeEPNSP_ISK_E10value_typeEPSL_NS1_7vsmem_tEENKUlT_SJ_SK_SL_E_clIPxSE_SF_SF_EESI_SY_SJ_SK_SL_EUlSY_E_NS1_11comp_targetILNS1_3genE4ELNS1_11target_archE910ELNS1_3gpuE8ELNS1_3repE0EEENS1_48merge_mergepath_partition_config_static_selectorELNS0_4arch9wavefront6targetE0EEEvSK_
		.amdhsa_group_segment_fixed_size 0
		.amdhsa_private_segment_fixed_size 0
		.amdhsa_kernarg_size 48
		.amdhsa_user_sgpr_count 6
		.amdhsa_user_sgpr_private_segment_buffer 1
		.amdhsa_user_sgpr_dispatch_ptr 0
		.amdhsa_user_sgpr_queue_ptr 0
		.amdhsa_user_sgpr_kernarg_segment_ptr 1
		.amdhsa_user_sgpr_dispatch_id 0
		.amdhsa_user_sgpr_flat_scratch_init 0
		.amdhsa_user_sgpr_private_segment_size 0
		.amdhsa_wavefront_size32 1
		.amdhsa_uses_dynamic_stack 0
		.amdhsa_system_sgpr_private_segment_wavefront_offset 0
		.amdhsa_system_sgpr_workgroup_id_x 1
		.amdhsa_system_sgpr_workgroup_id_y 0
		.amdhsa_system_sgpr_workgroup_id_z 0
		.amdhsa_system_sgpr_workgroup_info 0
		.amdhsa_system_vgpr_workitem_id 0
		.amdhsa_next_free_vgpr 1
		.amdhsa_next_free_sgpr 1
		.amdhsa_reserve_vcc 0
		.amdhsa_reserve_flat_scratch 0
		.amdhsa_float_round_mode_32 0
		.amdhsa_float_round_mode_16_64 0
		.amdhsa_float_denorm_mode_32 3
		.amdhsa_float_denorm_mode_16_64 3
		.amdhsa_dx10_clamp 1
		.amdhsa_ieee_mode 1
		.amdhsa_fp16_overflow 0
		.amdhsa_workgroup_processor_mode 1
		.amdhsa_memory_ordered 1
		.amdhsa_forward_progress 1
		.amdhsa_shared_vgpr_count 0
		.amdhsa_exception_fp_ieee_invalid_op 0
		.amdhsa_exception_fp_denorm_src 0
		.amdhsa_exception_fp_ieee_div_zero 0
		.amdhsa_exception_fp_ieee_overflow 0
		.amdhsa_exception_fp_ieee_underflow 0
		.amdhsa_exception_fp_ieee_inexact 0
		.amdhsa_exception_int_div_zero 0
	.end_amdhsa_kernel
	.section	.text._ZN7rocprim17ROCPRIM_400000_NS6detail17trampoline_kernelINS0_14default_configENS1_38merge_sort_block_merge_config_selectorIxNS0_10empty_typeEEEZZNS1_27merge_sort_block_merge_implIS3_N6thrust23THRUST_200600_302600_NS6detail15normal_iteratorINS9_10device_ptrIxEEEEPS5_m9comp_mod3IxEEE10hipError_tT0_T1_T2_jT3_P12ihipStream_tbPNSt15iterator_traitsISJ_E10value_typeEPNSP_ISK_E10value_typeEPSL_NS1_7vsmem_tEENKUlT_SJ_SK_SL_E_clIPxSE_SF_SF_EESI_SY_SJ_SK_SL_EUlSY_E_NS1_11comp_targetILNS1_3genE4ELNS1_11target_archE910ELNS1_3gpuE8ELNS1_3repE0EEENS1_48merge_mergepath_partition_config_static_selectorELNS0_4arch9wavefront6targetE0EEEvSK_,"axG",@progbits,_ZN7rocprim17ROCPRIM_400000_NS6detail17trampoline_kernelINS0_14default_configENS1_38merge_sort_block_merge_config_selectorIxNS0_10empty_typeEEEZZNS1_27merge_sort_block_merge_implIS3_N6thrust23THRUST_200600_302600_NS6detail15normal_iteratorINS9_10device_ptrIxEEEEPS5_m9comp_mod3IxEEE10hipError_tT0_T1_T2_jT3_P12ihipStream_tbPNSt15iterator_traitsISJ_E10value_typeEPNSP_ISK_E10value_typeEPSL_NS1_7vsmem_tEENKUlT_SJ_SK_SL_E_clIPxSE_SF_SF_EESI_SY_SJ_SK_SL_EUlSY_E_NS1_11comp_targetILNS1_3genE4ELNS1_11target_archE910ELNS1_3gpuE8ELNS1_3repE0EEENS1_48merge_mergepath_partition_config_static_selectorELNS0_4arch9wavefront6targetE0EEEvSK_,comdat
.Lfunc_end934:
	.size	_ZN7rocprim17ROCPRIM_400000_NS6detail17trampoline_kernelINS0_14default_configENS1_38merge_sort_block_merge_config_selectorIxNS0_10empty_typeEEEZZNS1_27merge_sort_block_merge_implIS3_N6thrust23THRUST_200600_302600_NS6detail15normal_iteratorINS9_10device_ptrIxEEEEPS5_m9comp_mod3IxEEE10hipError_tT0_T1_T2_jT3_P12ihipStream_tbPNSt15iterator_traitsISJ_E10value_typeEPNSP_ISK_E10value_typeEPSL_NS1_7vsmem_tEENKUlT_SJ_SK_SL_E_clIPxSE_SF_SF_EESI_SY_SJ_SK_SL_EUlSY_E_NS1_11comp_targetILNS1_3genE4ELNS1_11target_archE910ELNS1_3gpuE8ELNS1_3repE0EEENS1_48merge_mergepath_partition_config_static_selectorELNS0_4arch9wavefront6targetE0EEEvSK_, .Lfunc_end934-_ZN7rocprim17ROCPRIM_400000_NS6detail17trampoline_kernelINS0_14default_configENS1_38merge_sort_block_merge_config_selectorIxNS0_10empty_typeEEEZZNS1_27merge_sort_block_merge_implIS3_N6thrust23THRUST_200600_302600_NS6detail15normal_iteratorINS9_10device_ptrIxEEEEPS5_m9comp_mod3IxEEE10hipError_tT0_T1_T2_jT3_P12ihipStream_tbPNSt15iterator_traitsISJ_E10value_typeEPNSP_ISK_E10value_typeEPSL_NS1_7vsmem_tEENKUlT_SJ_SK_SL_E_clIPxSE_SF_SF_EESI_SY_SJ_SK_SL_EUlSY_E_NS1_11comp_targetILNS1_3genE4ELNS1_11target_archE910ELNS1_3gpuE8ELNS1_3repE0EEENS1_48merge_mergepath_partition_config_static_selectorELNS0_4arch9wavefront6targetE0EEEvSK_
                                        ; -- End function
	.set _ZN7rocprim17ROCPRIM_400000_NS6detail17trampoline_kernelINS0_14default_configENS1_38merge_sort_block_merge_config_selectorIxNS0_10empty_typeEEEZZNS1_27merge_sort_block_merge_implIS3_N6thrust23THRUST_200600_302600_NS6detail15normal_iteratorINS9_10device_ptrIxEEEEPS5_m9comp_mod3IxEEE10hipError_tT0_T1_T2_jT3_P12ihipStream_tbPNSt15iterator_traitsISJ_E10value_typeEPNSP_ISK_E10value_typeEPSL_NS1_7vsmem_tEENKUlT_SJ_SK_SL_E_clIPxSE_SF_SF_EESI_SY_SJ_SK_SL_EUlSY_E_NS1_11comp_targetILNS1_3genE4ELNS1_11target_archE910ELNS1_3gpuE8ELNS1_3repE0EEENS1_48merge_mergepath_partition_config_static_selectorELNS0_4arch9wavefront6targetE0EEEvSK_.num_vgpr, 0
	.set _ZN7rocprim17ROCPRIM_400000_NS6detail17trampoline_kernelINS0_14default_configENS1_38merge_sort_block_merge_config_selectorIxNS0_10empty_typeEEEZZNS1_27merge_sort_block_merge_implIS3_N6thrust23THRUST_200600_302600_NS6detail15normal_iteratorINS9_10device_ptrIxEEEEPS5_m9comp_mod3IxEEE10hipError_tT0_T1_T2_jT3_P12ihipStream_tbPNSt15iterator_traitsISJ_E10value_typeEPNSP_ISK_E10value_typeEPSL_NS1_7vsmem_tEENKUlT_SJ_SK_SL_E_clIPxSE_SF_SF_EESI_SY_SJ_SK_SL_EUlSY_E_NS1_11comp_targetILNS1_3genE4ELNS1_11target_archE910ELNS1_3gpuE8ELNS1_3repE0EEENS1_48merge_mergepath_partition_config_static_selectorELNS0_4arch9wavefront6targetE0EEEvSK_.num_agpr, 0
	.set _ZN7rocprim17ROCPRIM_400000_NS6detail17trampoline_kernelINS0_14default_configENS1_38merge_sort_block_merge_config_selectorIxNS0_10empty_typeEEEZZNS1_27merge_sort_block_merge_implIS3_N6thrust23THRUST_200600_302600_NS6detail15normal_iteratorINS9_10device_ptrIxEEEEPS5_m9comp_mod3IxEEE10hipError_tT0_T1_T2_jT3_P12ihipStream_tbPNSt15iterator_traitsISJ_E10value_typeEPNSP_ISK_E10value_typeEPSL_NS1_7vsmem_tEENKUlT_SJ_SK_SL_E_clIPxSE_SF_SF_EESI_SY_SJ_SK_SL_EUlSY_E_NS1_11comp_targetILNS1_3genE4ELNS1_11target_archE910ELNS1_3gpuE8ELNS1_3repE0EEENS1_48merge_mergepath_partition_config_static_selectorELNS0_4arch9wavefront6targetE0EEEvSK_.numbered_sgpr, 0
	.set _ZN7rocprim17ROCPRIM_400000_NS6detail17trampoline_kernelINS0_14default_configENS1_38merge_sort_block_merge_config_selectorIxNS0_10empty_typeEEEZZNS1_27merge_sort_block_merge_implIS3_N6thrust23THRUST_200600_302600_NS6detail15normal_iteratorINS9_10device_ptrIxEEEEPS5_m9comp_mod3IxEEE10hipError_tT0_T1_T2_jT3_P12ihipStream_tbPNSt15iterator_traitsISJ_E10value_typeEPNSP_ISK_E10value_typeEPSL_NS1_7vsmem_tEENKUlT_SJ_SK_SL_E_clIPxSE_SF_SF_EESI_SY_SJ_SK_SL_EUlSY_E_NS1_11comp_targetILNS1_3genE4ELNS1_11target_archE910ELNS1_3gpuE8ELNS1_3repE0EEENS1_48merge_mergepath_partition_config_static_selectorELNS0_4arch9wavefront6targetE0EEEvSK_.num_named_barrier, 0
	.set _ZN7rocprim17ROCPRIM_400000_NS6detail17trampoline_kernelINS0_14default_configENS1_38merge_sort_block_merge_config_selectorIxNS0_10empty_typeEEEZZNS1_27merge_sort_block_merge_implIS3_N6thrust23THRUST_200600_302600_NS6detail15normal_iteratorINS9_10device_ptrIxEEEEPS5_m9comp_mod3IxEEE10hipError_tT0_T1_T2_jT3_P12ihipStream_tbPNSt15iterator_traitsISJ_E10value_typeEPNSP_ISK_E10value_typeEPSL_NS1_7vsmem_tEENKUlT_SJ_SK_SL_E_clIPxSE_SF_SF_EESI_SY_SJ_SK_SL_EUlSY_E_NS1_11comp_targetILNS1_3genE4ELNS1_11target_archE910ELNS1_3gpuE8ELNS1_3repE0EEENS1_48merge_mergepath_partition_config_static_selectorELNS0_4arch9wavefront6targetE0EEEvSK_.private_seg_size, 0
	.set _ZN7rocprim17ROCPRIM_400000_NS6detail17trampoline_kernelINS0_14default_configENS1_38merge_sort_block_merge_config_selectorIxNS0_10empty_typeEEEZZNS1_27merge_sort_block_merge_implIS3_N6thrust23THRUST_200600_302600_NS6detail15normal_iteratorINS9_10device_ptrIxEEEEPS5_m9comp_mod3IxEEE10hipError_tT0_T1_T2_jT3_P12ihipStream_tbPNSt15iterator_traitsISJ_E10value_typeEPNSP_ISK_E10value_typeEPSL_NS1_7vsmem_tEENKUlT_SJ_SK_SL_E_clIPxSE_SF_SF_EESI_SY_SJ_SK_SL_EUlSY_E_NS1_11comp_targetILNS1_3genE4ELNS1_11target_archE910ELNS1_3gpuE8ELNS1_3repE0EEENS1_48merge_mergepath_partition_config_static_selectorELNS0_4arch9wavefront6targetE0EEEvSK_.uses_vcc, 0
	.set _ZN7rocprim17ROCPRIM_400000_NS6detail17trampoline_kernelINS0_14default_configENS1_38merge_sort_block_merge_config_selectorIxNS0_10empty_typeEEEZZNS1_27merge_sort_block_merge_implIS3_N6thrust23THRUST_200600_302600_NS6detail15normal_iteratorINS9_10device_ptrIxEEEEPS5_m9comp_mod3IxEEE10hipError_tT0_T1_T2_jT3_P12ihipStream_tbPNSt15iterator_traitsISJ_E10value_typeEPNSP_ISK_E10value_typeEPSL_NS1_7vsmem_tEENKUlT_SJ_SK_SL_E_clIPxSE_SF_SF_EESI_SY_SJ_SK_SL_EUlSY_E_NS1_11comp_targetILNS1_3genE4ELNS1_11target_archE910ELNS1_3gpuE8ELNS1_3repE0EEENS1_48merge_mergepath_partition_config_static_selectorELNS0_4arch9wavefront6targetE0EEEvSK_.uses_flat_scratch, 0
	.set _ZN7rocprim17ROCPRIM_400000_NS6detail17trampoline_kernelINS0_14default_configENS1_38merge_sort_block_merge_config_selectorIxNS0_10empty_typeEEEZZNS1_27merge_sort_block_merge_implIS3_N6thrust23THRUST_200600_302600_NS6detail15normal_iteratorINS9_10device_ptrIxEEEEPS5_m9comp_mod3IxEEE10hipError_tT0_T1_T2_jT3_P12ihipStream_tbPNSt15iterator_traitsISJ_E10value_typeEPNSP_ISK_E10value_typeEPSL_NS1_7vsmem_tEENKUlT_SJ_SK_SL_E_clIPxSE_SF_SF_EESI_SY_SJ_SK_SL_EUlSY_E_NS1_11comp_targetILNS1_3genE4ELNS1_11target_archE910ELNS1_3gpuE8ELNS1_3repE0EEENS1_48merge_mergepath_partition_config_static_selectorELNS0_4arch9wavefront6targetE0EEEvSK_.has_dyn_sized_stack, 0
	.set _ZN7rocprim17ROCPRIM_400000_NS6detail17trampoline_kernelINS0_14default_configENS1_38merge_sort_block_merge_config_selectorIxNS0_10empty_typeEEEZZNS1_27merge_sort_block_merge_implIS3_N6thrust23THRUST_200600_302600_NS6detail15normal_iteratorINS9_10device_ptrIxEEEEPS5_m9comp_mod3IxEEE10hipError_tT0_T1_T2_jT3_P12ihipStream_tbPNSt15iterator_traitsISJ_E10value_typeEPNSP_ISK_E10value_typeEPSL_NS1_7vsmem_tEENKUlT_SJ_SK_SL_E_clIPxSE_SF_SF_EESI_SY_SJ_SK_SL_EUlSY_E_NS1_11comp_targetILNS1_3genE4ELNS1_11target_archE910ELNS1_3gpuE8ELNS1_3repE0EEENS1_48merge_mergepath_partition_config_static_selectorELNS0_4arch9wavefront6targetE0EEEvSK_.has_recursion, 0
	.set _ZN7rocprim17ROCPRIM_400000_NS6detail17trampoline_kernelINS0_14default_configENS1_38merge_sort_block_merge_config_selectorIxNS0_10empty_typeEEEZZNS1_27merge_sort_block_merge_implIS3_N6thrust23THRUST_200600_302600_NS6detail15normal_iteratorINS9_10device_ptrIxEEEEPS5_m9comp_mod3IxEEE10hipError_tT0_T1_T2_jT3_P12ihipStream_tbPNSt15iterator_traitsISJ_E10value_typeEPNSP_ISK_E10value_typeEPSL_NS1_7vsmem_tEENKUlT_SJ_SK_SL_E_clIPxSE_SF_SF_EESI_SY_SJ_SK_SL_EUlSY_E_NS1_11comp_targetILNS1_3genE4ELNS1_11target_archE910ELNS1_3gpuE8ELNS1_3repE0EEENS1_48merge_mergepath_partition_config_static_selectorELNS0_4arch9wavefront6targetE0EEEvSK_.has_indirect_call, 0
	.section	.AMDGPU.csdata,"",@progbits
; Kernel info:
; codeLenInByte = 0
; TotalNumSgprs: 0
; NumVgprs: 0
; ScratchSize: 0
; MemoryBound: 0
; FloatMode: 240
; IeeeMode: 1
; LDSByteSize: 0 bytes/workgroup (compile time only)
; SGPRBlocks: 0
; VGPRBlocks: 0
; NumSGPRsForWavesPerEU: 1
; NumVGPRsForWavesPerEU: 1
; Occupancy: 16
; WaveLimiterHint : 0
; COMPUTE_PGM_RSRC2:SCRATCH_EN: 0
; COMPUTE_PGM_RSRC2:USER_SGPR: 6
; COMPUTE_PGM_RSRC2:TRAP_HANDLER: 0
; COMPUTE_PGM_RSRC2:TGID_X_EN: 1
; COMPUTE_PGM_RSRC2:TGID_Y_EN: 0
; COMPUTE_PGM_RSRC2:TGID_Z_EN: 0
; COMPUTE_PGM_RSRC2:TIDIG_COMP_CNT: 0
	.section	.text._ZN7rocprim17ROCPRIM_400000_NS6detail17trampoline_kernelINS0_14default_configENS1_38merge_sort_block_merge_config_selectorIxNS0_10empty_typeEEEZZNS1_27merge_sort_block_merge_implIS3_N6thrust23THRUST_200600_302600_NS6detail15normal_iteratorINS9_10device_ptrIxEEEEPS5_m9comp_mod3IxEEE10hipError_tT0_T1_T2_jT3_P12ihipStream_tbPNSt15iterator_traitsISJ_E10value_typeEPNSP_ISK_E10value_typeEPSL_NS1_7vsmem_tEENKUlT_SJ_SK_SL_E_clIPxSE_SF_SF_EESI_SY_SJ_SK_SL_EUlSY_E_NS1_11comp_targetILNS1_3genE3ELNS1_11target_archE908ELNS1_3gpuE7ELNS1_3repE0EEENS1_48merge_mergepath_partition_config_static_selectorELNS0_4arch9wavefront6targetE0EEEvSK_,"axG",@progbits,_ZN7rocprim17ROCPRIM_400000_NS6detail17trampoline_kernelINS0_14default_configENS1_38merge_sort_block_merge_config_selectorIxNS0_10empty_typeEEEZZNS1_27merge_sort_block_merge_implIS3_N6thrust23THRUST_200600_302600_NS6detail15normal_iteratorINS9_10device_ptrIxEEEEPS5_m9comp_mod3IxEEE10hipError_tT0_T1_T2_jT3_P12ihipStream_tbPNSt15iterator_traitsISJ_E10value_typeEPNSP_ISK_E10value_typeEPSL_NS1_7vsmem_tEENKUlT_SJ_SK_SL_E_clIPxSE_SF_SF_EESI_SY_SJ_SK_SL_EUlSY_E_NS1_11comp_targetILNS1_3genE3ELNS1_11target_archE908ELNS1_3gpuE7ELNS1_3repE0EEENS1_48merge_mergepath_partition_config_static_selectorELNS0_4arch9wavefront6targetE0EEEvSK_,comdat
	.protected	_ZN7rocprim17ROCPRIM_400000_NS6detail17trampoline_kernelINS0_14default_configENS1_38merge_sort_block_merge_config_selectorIxNS0_10empty_typeEEEZZNS1_27merge_sort_block_merge_implIS3_N6thrust23THRUST_200600_302600_NS6detail15normal_iteratorINS9_10device_ptrIxEEEEPS5_m9comp_mod3IxEEE10hipError_tT0_T1_T2_jT3_P12ihipStream_tbPNSt15iterator_traitsISJ_E10value_typeEPNSP_ISK_E10value_typeEPSL_NS1_7vsmem_tEENKUlT_SJ_SK_SL_E_clIPxSE_SF_SF_EESI_SY_SJ_SK_SL_EUlSY_E_NS1_11comp_targetILNS1_3genE3ELNS1_11target_archE908ELNS1_3gpuE7ELNS1_3repE0EEENS1_48merge_mergepath_partition_config_static_selectorELNS0_4arch9wavefront6targetE0EEEvSK_ ; -- Begin function _ZN7rocprim17ROCPRIM_400000_NS6detail17trampoline_kernelINS0_14default_configENS1_38merge_sort_block_merge_config_selectorIxNS0_10empty_typeEEEZZNS1_27merge_sort_block_merge_implIS3_N6thrust23THRUST_200600_302600_NS6detail15normal_iteratorINS9_10device_ptrIxEEEEPS5_m9comp_mod3IxEEE10hipError_tT0_T1_T2_jT3_P12ihipStream_tbPNSt15iterator_traitsISJ_E10value_typeEPNSP_ISK_E10value_typeEPSL_NS1_7vsmem_tEENKUlT_SJ_SK_SL_E_clIPxSE_SF_SF_EESI_SY_SJ_SK_SL_EUlSY_E_NS1_11comp_targetILNS1_3genE3ELNS1_11target_archE908ELNS1_3gpuE7ELNS1_3repE0EEENS1_48merge_mergepath_partition_config_static_selectorELNS0_4arch9wavefront6targetE0EEEvSK_
	.globl	_ZN7rocprim17ROCPRIM_400000_NS6detail17trampoline_kernelINS0_14default_configENS1_38merge_sort_block_merge_config_selectorIxNS0_10empty_typeEEEZZNS1_27merge_sort_block_merge_implIS3_N6thrust23THRUST_200600_302600_NS6detail15normal_iteratorINS9_10device_ptrIxEEEEPS5_m9comp_mod3IxEEE10hipError_tT0_T1_T2_jT3_P12ihipStream_tbPNSt15iterator_traitsISJ_E10value_typeEPNSP_ISK_E10value_typeEPSL_NS1_7vsmem_tEENKUlT_SJ_SK_SL_E_clIPxSE_SF_SF_EESI_SY_SJ_SK_SL_EUlSY_E_NS1_11comp_targetILNS1_3genE3ELNS1_11target_archE908ELNS1_3gpuE7ELNS1_3repE0EEENS1_48merge_mergepath_partition_config_static_selectorELNS0_4arch9wavefront6targetE0EEEvSK_
	.p2align	8
	.type	_ZN7rocprim17ROCPRIM_400000_NS6detail17trampoline_kernelINS0_14default_configENS1_38merge_sort_block_merge_config_selectorIxNS0_10empty_typeEEEZZNS1_27merge_sort_block_merge_implIS3_N6thrust23THRUST_200600_302600_NS6detail15normal_iteratorINS9_10device_ptrIxEEEEPS5_m9comp_mod3IxEEE10hipError_tT0_T1_T2_jT3_P12ihipStream_tbPNSt15iterator_traitsISJ_E10value_typeEPNSP_ISK_E10value_typeEPSL_NS1_7vsmem_tEENKUlT_SJ_SK_SL_E_clIPxSE_SF_SF_EESI_SY_SJ_SK_SL_EUlSY_E_NS1_11comp_targetILNS1_3genE3ELNS1_11target_archE908ELNS1_3gpuE7ELNS1_3repE0EEENS1_48merge_mergepath_partition_config_static_selectorELNS0_4arch9wavefront6targetE0EEEvSK_,@function
_ZN7rocprim17ROCPRIM_400000_NS6detail17trampoline_kernelINS0_14default_configENS1_38merge_sort_block_merge_config_selectorIxNS0_10empty_typeEEEZZNS1_27merge_sort_block_merge_implIS3_N6thrust23THRUST_200600_302600_NS6detail15normal_iteratorINS9_10device_ptrIxEEEEPS5_m9comp_mod3IxEEE10hipError_tT0_T1_T2_jT3_P12ihipStream_tbPNSt15iterator_traitsISJ_E10value_typeEPNSP_ISK_E10value_typeEPSL_NS1_7vsmem_tEENKUlT_SJ_SK_SL_E_clIPxSE_SF_SF_EESI_SY_SJ_SK_SL_EUlSY_E_NS1_11comp_targetILNS1_3genE3ELNS1_11target_archE908ELNS1_3gpuE7ELNS1_3repE0EEENS1_48merge_mergepath_partition_config_static_selectorELNS0_4arch9wavefront6targetE0EEEvSK_: ; @_ZN7rocprim17ROCPRIM_400000_NS6detail17trampoline_kernelINS0_14default_configENS1_38merge_sort_block_merge_config_selectorIxNS0_10empty_typeEEEZZNS1_27merge_sort_block_merge_implIS3_N6thrust23THRUST_200600_302600_NS6detail15normal_iteratorINS9_10device_ptrIxEEEEPS5_m9comp_mod3IxEEE10hipError_tT0_T1_T2_jT3_P12ihipStream_tbPNSt15iterator_traitsISJ_E10value_typeEPNSP_ISK_E10value_typeEPSL_NS1_7vsmem_tEENKUlT_SJ_SK_SL_E_clIPxSE_SF_SF_EESI_SY_SJ_SK_SL_EUlSY_E_NS1_11comp_targetILNS1_3genE3ELNS1_11target_archE908ELNS1_3gpuE7ELNS1_3repE0EEENS1_48merge_mergepath_partition_config_static_selectorELNS0_4arch9wavefront6targetE0EEEvSK_
; %bb.0:
	.section	.rodata,"a",@progbits
	.p2align	6, 0x0
	.amdhsa_kernel _ZN7rocprim17ROCPRIM_400000_NS6detail17trampoline_kernelINS0_14default_configENS1_38merge_sort_block_merge_config_selectorIxNS0_10empty_typeEEEZZNS1_27merge_sort_block_merge_implIS3_N6thrust23THRUST_200600_302600_NS6detail15normal_iteratorINS9_10device_ptrIxEEEEPS5_m9comp_mod3IxEEE10hipError_tT0_T1_T2_jT3_P12ihipStream_tbPNSt15iterator_traitsISJ_E10value_typeEPNSP_ISK_E10value_typeEPSL_NS1_7vsmem_tEENKUlT_SJ_SK_SL_E_clIPxSE_SF_SF_EESI_SY_SJ_SK_SL_EUlSY_E_NS1_11comp_targetILNS1_3genE3ELNS1_11target_archE908ELNS1_3gpuE7ELNS1_3repE0EEENS1_48merge_mergepath_partition_config_static_selectorELNS0_4arch9wavefront6targetE0EEEvSK_
		.amdhsa_group_segment_fixed_size 0
		.amdhsa_private_segment_fixed_size 0
		.amdhsa_kernarg_size 48
		.amdhsa_user_sgpr_count 6
		.amdhsa_user_sgpr_private_segment_buffer 1
		.amdhsa_user_sgpr_dispatch_ptr 0
		.amdhsa_user_sgpr_queue_ptr 0
		.amdhsa_user_sgpr_kernarg_segment_ptr 1
		.amdhsa_user_sgpr_dispatch_id 0
		.amdhsa_user_sgpr_flat_scratch_init 0
		.amdhsa_user_sgpr_private_segment_size 0
		.amdhsa_wavefront_size32 1
		.amdhsa_uses_dynamic_stack 0
		.amdhsa_system_sgpr_private_segment_wavefront_offset 0
		.amdhsa_system_sgpr_workgroup_id_x 1
		.amdhsa_system_sgpr_workgroup_id_y 0
		.amdhsa_system_sgpr_workgroup_id_z 0
		.amdhsa_system_sgpr_workgroup_info 0
		.amdhsa_system_vgpr_workitem_id 0
		.amdhsa_next_free_vgpr 1
		.amdhsa_next_free_sgpr 1
		.amdhsa_reserve_vcc 0
		.amdhsa_reserve_flat_scratch 0
		.amdhsa_float_round_mode_32 0
		.amdhsa_float_round_mode_16_64 0
		.amdhsa_float_denorm_mode_32 3
		.amdhsa_float_denorm_mode_16_64 3
		.amdhsa_dx10_clamp 1
		.amdhsa_ieee_mode 1
		.amdhsa_fp16_overflow 0
		.amdhsa_workgroup_processor_mode 1
		.amdhsa_memory_ordered 1
		.amdhsa_forward_progress 1
		.amdhsa_shared_vgpr_count 0
		.amdhsa_exception_fp_ieee_invalid_op 0
		.amdhsa_exception_fp_denorm_src 0
		.amdhsa_exception_fp_ieee_div_zero 0
		.amdhsa_exception_fp_ieee_overflow 0
		.amdhsa_exception_fp_ieee_underflow 0
		.amdhsa_exception_fp_ieee_inexact 0
		.amdhsa_exception_int_div_zero 0
	.end_amdhsa_kernel
	.section	.text._ZN7rocprim17ROCPRIM_400000_NS6detail17trampoline_kernelINS0_14default_configENS1_38merge_sort_block_merge_config_selectorIxNS0_10empty_typeEEEZZNS1_27merge_sort_block_merge_implIS3_N6thrust23THRUST_200600_302600_NS6detail15normal_iteratorINS9_10device_ptrIxEEEEPS5_m9comp_mod3IxEEE10hipError_tT0_T1_T2_jT3_P12ihipStream_tbPNSt15iterator_traitsISJ_E10value_typeEPNSP_ISK_E10value_typeEPSL_NS1_7vsmem_tEENKUlT_SJ_SK_SL_E_clIPxSE_SF_SF_EESI_SY_SJ_SK_SL_EUlSY_E_NS1_11comp_targetILNS1_3genE3ELNS1_11target_archE908ELNS1_3gpuE7ELNS1_3repE0EEENS1_48merge_mergepath_partition_config_static_selectorELNS0_4arch9wavefront6targetE0EEEvSK_,"axG",@progbits,_ZN7rocprim17ROCPRIM_400000_NS6detail17trampoline_kernelINS0_14default_configENS1_38merge_sort_block_merge_config_selectorIxNS0_10empty_typeEEEZZNS1_27merge_sort_block_merge_implIS3_N6thrust23THRUST_200600_302600_NS6detail15normal_iteratorINS9_10device_ptrIxEEEEPS5_m9comp_mod3IxEEE10hipError_tT0_T1_T2_jT3_P12ihipStream_tbPNSt15iterator_traitsISJ_E10value_typeEPNSP_ISK_E10value_typeEPSL_NS1_7vsmem_tEENKUlT_SJ_SK_SL_E_clIPxSE_SF_SF_EESI_SY_SJ_SK_SL_EUlSY_E_NS1_11comp_targetILNS1_3genE3ELNS1_11target_archE908ELNS1_3gpuE7ELNS1_3repE0EEENS1_48merge_mergepath_partition_config_static_selectorELNS0_4arch9wavefront6targetE0EEEvSK_,comdat
.Lfunc_end935:
	.size	_ZN7rocprim17ROCPRIM_400000_NS6detail17trampoline_kernelINS0_14default_configENS1_38merge_sort_block_merge_config_selectorIxNS0_10empty_typeEEEZZNS1_27merge_sort_block_merge_implIS3_N6thrust23THRUST_200600_302600_NS6detail15normal_iteratorINS9_10device_ptrIxEEEEPS5_m9comp_mod3IxEEE10hipError_tT0_T1_T2_jT3_P12ihipStream_tbPNSt15iterator_traitsISJ_E10value_typeEPNSP_ISK_E10value_typeEPSL_NS1_7vsmem_tEENKUlT_SJ_SK_SL_E_clIPxSE_SF_SF_EESI_SY_SJ_SK_SL_EUlSY_E_NS1_11comp_targetILNS1_3genE3ELNS1_11target_archE908ELNS1_3gpuE7ELNS1_3repE0EEENS1_48merge_mergepath_partition_config_static_selectorELNS0_4arch9wavefront6targetE0EEEvSK_, .Lfunc_end935-_ZN7rocprim17ROCPRIM_400000_NS6detail17trampoline_kernelINS0_14default_configENS1_38merge_sort_block_merge_config_selectorIxNS0_10empty_typeEEEZZNS1_27merge_sort_block_merge_implIS3_N6thrust23THRUST_200600_302600_NS6detail15normal_iteratorINS9_10device_ptrIxEEEEPS5_m9comp_mod3IxEEE10hipError_tT0_T1_T2_jT3_P12ihipStream_tbPNSt15iterator_traitsISJ_E10value_typeEPNSP_ISK_E10value_typeEPSL_NS1_7vsmem_tEENKUlT_SJ_SK_SL_E_clIPxSE_SF_SF_EESI_SY_SJ_SK_SL_EUlSY_E_NS1_11comp_targetILNS1_3genE3ELNS1_11target_archE908ELNS1_3gpuE7ELNS1_3repE0EEENS1_48merge_mergepath_partition_config_static_selectorELNS0_4arch9wavefront6targetE0EEEvSK_
                                        ; -- End function
	.set _ZN7rocprim17ROCPRIM_400000_NS6detail17trampoline_kernelINS0_14default_configENS1_38merge_sort_block_merge_config_selectorIxNS0_10empty_typeEEEZZNS1_27merge_sort_block_merge_implIS3_N6thrust23THRUST_200600_302600_NS6detail15normal_iteratorINS9_10device_ptrIxEEEEPS5_m9comp_mod3IxEEE10hipError_tT0_T1_T2_jT3_P12ihipStream_tbPNSt15iterator_traitsISJ_E10value_typeEPNSP_ISK_E10value_typeEPSL_NS1_7vsmem_tEENKUlT_SJ_SK_SL_E_clIPxSE_SF_SF_EESI_SY_SJ_SK_SL_EUlSY_E_NS1_11comp_targetILNS1_3genE3ELNS1_11target_archE908ELNS1_3gpuE7ELNS1_3repE0EEENS1_48merge_mergepath_partition_config_static_selectorELNS0_4arch9wavefront6targetE0EEEvSK_.num_vgpr, 0
	.set _ZN7rocprim17ROCPRIM_400000_NS6detail17trampoline_kernelINS0_14default_configENS1_38merge_sort_block_merge_config_selectorIxNS0_10empty_typeEEEZZNS1_27merge_sort_block_merge_implIS3_N6thrust23THRUST_200600_302600_NS6detail15normal_iteratorINS9_10device_ptrIxEEEEPS5_m9comp_mod3IxEEE10hipError_tT0_T1_T2_jT3_P12ihipStream_tbPNSt15iterator_traitsISJ_E10value_typeEPNSP_ISK_E10value_typeEPSL_NS1_7vsmem_tEENKUlT_SJ_SK_SL_E_clIPxSE_SF_SF_EESI_SY_SJ_SK_SL_EUlSY_E_NS1_11comp_targetILNS1_3genE3ELNS1_11target_archE908ELNS1_3gpuE7ELNS1_3repE0EEENS1_48merge_mergepath_partition_config_static_selectorELNS0_4arch9wavefront6targetE0EEEvSK_.num_agpr, 0
	.set _ZN7rocprim17ROCPRIM_400000_NS6detail17trampoline_kernelINS0_14default_configENS1_38merge_sort_block_merge_config_selectorIxNS0_10empty_typeEEEZZNS1_27merge_sort_block_merge_implIS3_N6thrust23THRUST_200600_302600_NS6detail15normal_iteratorINS9_10device_ptrIxEEEEPS5_m9comp_mod3IxEEE10hipError_tT0_T1_T2_jT3_P12ihipStream_tbPNSt15iterator_traitsISJ_E10value_typeEPNSP_ISK_E10value_typeEPSL_NS1_7vsmem_tEENKUlT_SJ_SK_SL_E_clIPxSE_SF_SF_EESI_SY_SJ_SK_SL_EUlSY_E_NS1_11comp_targetILNS1_3genE3ELNS1_11target_archE908ELNS1_3gpuE7ELNS1_3repE0EEENS1_48merge_mergepath_partition_config_static_selectorELNS0_4arch9wavefront6targetE0EEEvSK_.numbered_sgpr, 0
	.set _ZN7rocprim17ROCPRIM_400000_NS6detail17trampoline_kernelINS0_14default_configENS1_38merge_sort_block_merge_config_selectorIxNS0_10empty_typeEEEZZNS1_27merge_sort_block_merge_implIS3_N6thrust23THRUST_200600_302600_NS6detail15normal_iteratorINS9_10device_ptrIxEEEEPS5_m9comp_mod3IxEEE10hipError_tT0_T1_T2_jT3_P12ihipStream_tbPNSt15iterator_traitsISJ_E10value_typeEPNSP_ISK_E10value_typeEPSL_NS1_7vsmem_tEENKUlT_SJ_SK_SL_E_clIPxSE_SF_SF_EESI_SY_SJ_SK_SL_EUlSY_E_NS1_11comp_targetILNS1_3genE3ELNS1_11target_archE908ELNS1_3gpuE7ELNS1_3repE0EEENS1_48merge_mergepath_partition_config_static_selectorELNS0_4arch9wavefront6targetE0EEEvSK_.num_named_barrier, 0
	.set _ZN7rocprim17ROCPRIM_400000_NS6detail17trampoline_kernelINS0_14default_configENS1_38merge_sort_block_merge_config_selectorIxNS0_10empty_typeEEEZZNS1_27merge_sort_block_merge_implIS3_N6thrust23THRUST_200600_302600_NS6detail15normal_iteratorINS9_10device_ptrIxEEEEPS5_m9comp_mod3IxEEE10hipError_tT0_T1_T2_jT3_P12ihipStream_tbPNSt15iterator_traitsISJ_E10value_typeEPNSP_ISK_E10value_typeEPSL_NS1_7vsmem_tEENKUlT_SJ_SK_SL_E_clIPxSE_SF_SF_EESI_SY_SJ_SK_SL_EUlSY_E_NS1_11comp_targetILNS1_3genE3ELNS1_11target_archE908ELNS1_3gpuE7ELNS1_3repE0EEENS1_48merge_mergepath_partition_config_static_selectorELNS0_4arch9wavefront6targetE0EEEvSK_.private_seg_size, 0
	.set _ZN7rocprim17ROCPRIM_400000_NS6detail17trampoline_kernelINS0_14default_configENS1_38merge_sort_block_merge_config_selectorIxNS0_10empty_typeEEEZZNS1_27merge_sort_block_merge_implIS3_N6thrust23THRUST_200600_302600_NS6detail15normal_iteratorINS9_10device_ptrIxEEEEPS5_m9comp_mod3IxEEE10hipError_tT0_T1_T2_jT3_P12ihipStream_tbPNSt15iterator_traitsISJ_E10value_typeEPNSP_ISK_E10value_typeEPSL_NS1_7vsmem_tEENKUlT_SJ_SK_SL_E_clIPxSE_SF_SF_EESI_SY_SJ_SK_SL_EUlSY_E_NS1_11comp_targetILNS1_3genE3ELNS1_11target_archE908ELNS1_3gpuE7ELNS1_3repE0EEENS1_48merge_mergepath_partition_config_static_selectorELNS0_4arch9wavefront6targetE0EEEvSK_.uses_vcc, 0
	.set _ZN7rocprim17ROCPRIM_400000_NS6detail17trampoline_kernelINS0_14default_configENS1_38merge_sort_block_merge_config_selectorIxNS0_10empty_typeEEEZZNS1_27merge_sort_block_merge_implIS3_N6thrust23THRUST_200600_302600_NS6detail15normal_iteratorINS9_10device_ptrIxEEEEPS5_m9comp_mod3IxEEE10hipError_tT0_T1_T2_jT3_P12ihipStream_tbPNSt15iterator_traitsISJ_E10value_typeEPNSP_ISK_E10value_typeEPSL_NS1_7vsmem_tEENKUlT_SJ_SK_SL_E_clIPxSE_SF_SF_EESI_SY_SJ_SK_SL_EUlSY_E_NS1_11comp_targetILNS1_3genE3ELNS1_11target_archE908ELNS1_3gpuE7ELNS1_3repE0EEENS1_48merge_mergepath_partition_config_static_selectorELNS0_4arch9wavefront6targetE0EEEvSK_.uses_flat_scratch, 0
	.set _ZN7rocprim17ROCPRIM_400000_NS6detail17trampoline_kernelINS0_14default_configENS1_38merge_sort_block_merge_config_selectorIxNS0_10empty_typeEEEZZNS1_27merge_sort_block_merge_implIS3_N6thrust23THRUST_200600_302600_NS6detail15normal_iteratorINS9_10device_ptrIxEEEEPS5_m9comp_mod3IxEEE10hipError_tT0_T1_T2_jT3_P12ihipStream_tbPNSt15iterator_traitsISJ_E10value_typeEPNSP_ISK_E10value_typeEPSL_NS1_7vsmem_tEENKUlT_SJ_SK_SL_E_clIPxSE_SF_SF_EESI_SY_SJ_SK_SL_EUlSY_E_NS1_11comp_targetILNS1_3genE3ELNS1_11target_archE908ELNS1_3gpuE7ELNS1_3repE0EEENS1_48merge_mergepath_partition_config_static_selectorELNS0_4arch9wavefront6targetE0EEEvSK_.has_dyn_sized_stack, 0
	.set _ZN7rocprim17ROCPRIM_400000_NS6detail17trampoline_kernelINS0_14default_configENS1_38merge_sort_block_merge_config_selectorIxNS0_10empty_typeEEEZZNS1_27merge_sort_block_merge_implIS3_N6thrust23THRUST_200600_302600_NS6detail15normal_iteratorINS9_10device_ptrIxEEEEPS5_m9comp_mod3IxEEE10hipError_tT0_T1_T2_jT3_P12ihipStream_tbPNSt15iterator_traitsISJ_E10value_typeEPNSP_ISK_E10value_typeEPSL_NS1_7vsmem_tEENKUlT_SJ_SK_SL_E_clIPxSE_SF_SF_EESI_SY_SJ_SK_SL_EUlSY_E_NS1_11comp_targetILNS1_3genE3ELNS1_11target_archE908ELNS1_3gpuE7ELNS1_3repE0EEENS1_48merge_mergepath_partition_config_static_selectorELNS0_4arch9wavefront6targetE0EEEvSK_.has_recursion, 0
	.set _ZN7rocprim17ROCPRIM_400000_NS6detail17trampoline_kernelINS0_14default_configENS1_38merge_sort_block_merge_config_selectorIxNS0_10empty_typeEEEZZNS1_27merge_sort_block_merge_implIS3_N6thrust23THRUST_200600_302600_NS6detail15normal_iteratorINS9_10device_ptrIxEEEEPS5_m9comp_mod3IxEEE10hipError_tT0_T1_T2_jT3_P12ihipStream_tbPNSt15iterator_traitsISJ_E10value_typeEPNSP_ISK_E10value_typeEPSL_NS1_7vsmem_tEENKUlT_SJ_SK_SL_E_clIPxSE_SF_SF_EESI_SY_SJ_SK_SL_EUlSY_E_NS1_11comp_targetILNS1_3genE3ELNS1_11target_archE908ELNS1_3gpuE7ELNS1_3repE0EEENS1_48merge_mergepath_partition_config_static_selectorELNS0_4arch9wavefront6targetE0EEEvSK_.has_indirect_call, 0
	.section	.AMDGPU.csdata,"",@progbits
; Kernel info:
; codeLenInByte = 0
; TotalNumSgprs: 0
; NumVgprs: 0
; ScratchSize: 0
; MemoryBound: 0
; FloatMode: 240
; IeeeMode: 1
; LDSByteSize: 0 bytes/workgroup (compile time only)
; SGPRBlocks: 0
; VGPRBlocks: 0
; NumSGPRsForWavesPerEU: 1
; NumVGPRsForWavesPerEU: 1
; Occupancy: 16
; WaveLimiterHint : 0
; COMPUTE_PGM_RSRC2:SCRATCH_EN: 0
; COMPUTE_PGM_RSRC2:USER_SGPR: 6
; COMPUTE_PGM_RSRC2:TRAP_HANDLER: 0
; COMPUTE_PGM_RSRC2:TGID_X_EN: 1
; COMPUTE_PGM_RSRC2:TGID_Y_EN: 0
; COMPUTE_PGM_RSRC2:TGID_Z_EN: 0
; COMPUTE_PGM_RSRC2:TIDIG_COMP_CNT: 0
	.section	.text._ZN7rocprim17ROCPRIM_400000_NS6detail17trampoline_kernelINS0_14default_configENS1_38merge_sort_block_merge_config_selectorIxNS0_10empty_typeEEEZZNS1_27merge_sort_block_merge_implIS3_N6thrust23THRUST_200600_302600_NS6detail15normal_iteratorINS9_10device_ptrIxEEEEPS5_m9comp_mod3IxEEE10hipError_tT0_T1_T2_jT3_P12ihipStream_tbPNSt15iterator_traitsISJ_E10value_typeEPNSP_ISK_E10value_typeEPSL_NS1_7vsmem_tEENKUlT_SJ_SK_SL_E_clIPxSE_SF_SF_EESI_SY_SJ_SK_SL_EUlSY_E_NS1_11comp_targetILNS1_3genE2ELNS1_11target_archE906ELNS1_3gpuE6ELNS1_3repE0EEENS1_48merge_mergepath_partition_config_static_selectorELNS0_4arch9wavefront6targetE0EEEvSK_,"axG",@progbits,_ZN7rocprim17ROCPRIM_400000_NS6detail17trampoline_kernelINS0_14default_configENS1_38merge_sort_block_merge_config_selectorIxNS0_10empty_typeEEEZZNS1_27merge_sort_block_merge_implIS3_N6thrust23THRUST_200600_302600_NS6detail15normal_iteratorINS9_10device_ptrIxEEEEPS5_m9comp_mod3IxEEE10hipError_tT0_T1_T2_jT3_P12ihipStream_tbPNSt15iterator_traitsISJ_E10value_typeEPNSP_ISK_E10value_typeEPSL_NS1_7vsmem_tEENKUlT_SJ_SK_SL_E_clIPxSE_SF_SF_EESI_SY_SJ_SK_SL_EUlSY_E_NS1_11comp_targetILNS1_3genE2ELNS1_11target_archE906ELNS1_3gpuE6ELNS1_3repE0EEENS1_48merge_mergepath_partition_config_static_selectorELNS0_4arch9wavefront6targetE0EEEvSK_,comdat
	.protected	_ZN7rocprim17ROCPRIM_400000_NS6detail17trampoline_kernelINS0_14default_configENS1_38merge_sort_block_merge_config_selectorIxNS0_10empty_typeEEEZZNS1_27merge_sort_block_merge_implIS3_N6thrust23THRUST_200600_302600_NS6detail15normal_iteratorINS9_10device_ptrIxEEEEPS5_m9comp_mod3IxEEE10hipError_tT0_T1_T2_jT3_P12ihipStream_tbPNSt15iterator_traitsISJ_E10value_typeEPNSP_ISK_E10value_typeEPSL_NS1_7vsmem_tEENKUlT_SJ_SK_SL_E_clIPxSE_SF_SF_EESI_SY_SJ_SK_SL_EUlSY_E_NS1_11comp_targetILNS1_3genE2ELNS1_11target_archE906ELNS1_3gpuE6ELNS1_3repE0EEENS1_48merge_mergepath_partition_config_static_selectorELNS0_4arch9wavefront6targetE0EEEvSK_ ; -- Begin function _ZN7rocprim17ROCPRIM_400000_NS6detail17trampoline_kernelINS0_14default_configENS1_38merge_sort_block_merge_config_selectorIxNS0_10empty_typeEEEZZNS1_27merge_sort_block_merge_implIS3_N6thrust23THRUST_200600_302600_NS6detail15normal_iteratorINS9_10device_ptrIxEEEEPS5_m9comp_mod3IxEEE10hipError_tT0_T1_T2_jT3_P12ihipStream_tbPNSt15iterator_traitsISJ_E10value_typeEPNSP_ISK_E10value_typeEPSL_NS1_7vsmem_tEENKUlT_SJ_SK_SL_E_clIPxSE_SF_SF_EESI_SY_SJ_SK_SL_EUlSY_E_NS1_11comp_targetILNS1_3genE2ELNS1_11target_archE906ELNS1_3gpuE6ELNS1_3repE0EEENS1_48merge_mergepath_partition_config_static_selectorELNS0_4arch9wavefront6targetE0EEEvSK_
	.globl	_ZN7rocprim17ROCPRIM_400000_NS6detail17trampoline_kernelINS0_14default_configENS1_38merge_sort_block_merge_config_selectorIxNS0_10empty_typeEEEZZNS1_27merge_sort_block_merge_implIS3_N6thrust23THRUST_200600_302600_NS6detail15normal_iteratorINS9_10device_ptrIxEEEEPS5_m9comp_mod3IxEEE10hipError_tT0_T1_T2_jT3_P12ihipStream_tbPNSt15iterator_traitsISJ_E10value_typeEPNSP_ISK_E10value_typeEPSL_NS1_7vsmem_tEENKUlT_SJ_SK_SL_E_clIPxSE_SF_SF_EESI_SY_SJ_SK_SL_EUlSY_E_NS1_11comp_targetILNS1_3genE2ELNS1_11target_archE906ELNS1_3gpuE6ELNS1_3repE0EEENS1_48merge_mergepath_partition_config_static_selectorELNS0_4arch9wavefront6targetE0EEEvSK_
	.p2align	8
	.type	_ZN7rocprim17ROCPRIM_400000_NS6detail17trampoline_kernelINS0_14default_configENS1_38merge_sort_block_merge_config_selectorIxNS0_10empty_typeEEEZZNS1_27merge_sort_block_merge_implIS3_N6thrust23THRUST_200600_302600_NS6detail15normal_iteratorINS9_10device_ptrIxEEEEPS5_m9comp_mod3IxEEE10hipError_tT0_T1_T2_jT3_P12ihipStream_tbPNSt15iterator_traitsISJ_E10value_typeEPNSP_ISK_E10value_typeEPSL_NS1_7vsmem_tEENKUlT_SJ_SK_SL_E_clIPxSE_SF_SF_EESI_SY_SJ_SK_SL_EUlSY_E_NS1_11comp_targetILNS1_3genE2ELNS1_11target_archE906ELNS1_3gpuE6ELNS1_3repE0EEENS1_48merge_mergepath_partition_config_static_selectorELNS0_4arch9wavefront6targetE0EEEvSK_,@function
_ZN7rocprim17ROCPRIM_400000_NS6detail17trampoline_kernelINS0_14default_configENS1_38merge_sort_block_merge_config_selectorIxNS0_10empty_typeEEEZZNS1_27merge_sort_block_merge_implIS3_N6thrust23THRUST_200600_302600_NS6detail15normal_iteratorINS9_10device_ptrIxEEEEPS5_m9comp_mod3IxEEE10hipError_tT0_T1_T2_jT3_P12ihipStream_tbPNSt15iterator_traitsISJ_E10value_typeEPNSP_ISK_E10value_typeEPSL_NS1_7vsmem_tEENKUlT_SJ_SK_SL_E_clIPxSE_SF_SF_EESI_SY_SJ_SK_SL_EUlSY_E_NS1_11comp_targetILNS1_3genE2ELNS1_11target_archE906ELNS1_3gpuE6ELNS1_3repE0EEENS1_48merge_mergepath_partition_config_static_selectorELNS0_4arch9wavefront6targetE0EEEvSK_: ; @_ZN7rocprim17ROCPRIM_400000_NS6detail17trampoline_kernelINS0_14default_configENS1_38merge_sort_block_merge_config_selectorIxNS0_10empty_typeEEEZZNS1_27merge_sort_block_merge_implIS3_N6thrust23THRUST_200600_302600_NS6detail15normal_iteratorINS9_10device_ptrIxEEEEPS5_m9comp_mod3IxEEE10hipError_tT0_T1_T2_jT3_P12ihipStream_tbPNSt15iterator_traitsISJ_E10value_typeEPNSP_ISK_E10value_typeEPSL_NS1_7vsmem_tEENKUlT_SJ_SK_SL_E_clIPxSE_SF_SF_EESI_SY_SJ_SK_SL_EUlSY_E_NS1_11comp_targetILNS1_3genE2ELNS1_11target_archE906ELNS1_3gpuE6ELNS1_3repE0EEENS1_48merge_mergepath_partition_config_static_selectorELNS0_4arch9wavefront6targetE0EEEvSK_
; %bb.0:
	.section	.rodata,"a",@progbits
	.p2align	6, 0x0
	.amdhsa_kernel _ZN7rocprim17ROCPRIM_400000_NS6detail17trampoline_kernelINS0_14default_configENS1_38merge_sort_block_merge_config_selectorIxNS0_10empty_typeEEEZZNS1_27merge_sort_block_merge_implIS3_N6thrust23THRUST_200600_302600_NS6detail15normal_iteratorINS9_10device_ptrIxEEEEPS5_m9comp_mod3IxEEE10hipError_tT0_T1_T2_jT3_P12ihipStream_tbPNSt15iterator_traitsISJ_E10value_typeEPNSP_ISK_E10value_typeEPSL_NS1_7vsmem_tEENKUlT_SJ_SK_SL_E_clIPxSE_SF_SF_EESI_SY_SJ_SK_SL_EUlSY_E_NS1_11comp_targetILNS1_3genE2ELNS1_11target_archE906ELNS1_3gpuE6ELNS1_3repE0EEENS1_48merge_mergepath_partition_config_static_selectorELNS0_4arch9wavefront6targetE0EEEvSK_
		.amdhsa_group_segment_fixed_size 0
		.amdhsa_private_segment_fixed_size 0
		.amdhsa_kernarg_size 48
		.amdhsa_user_sgpr_count 6
		.amdhsa_user_sgpr_private_segment_buffer 1
		.amdhsa_user_sgpr_dispatch_ptr 0
		.amdhsa_user_sgpr_queue_ptr 0
		.amdhsa_user_sgpr_kernarg_segment_ptr 1
		.amdhsa_user_sgpr_dispatch_id 0
		.amdhsa_user_sgpr_flat_scratch_init 0
		.amdhsa_user_sgpr_private_segment_size 0
		.amdhsa_wavefront_size32 1
		.amdhsa_uses_dynamic_stack 0
		.amdhsa_system_sgpr_private_segment_wavefront_offset 0
		.amdhsa_system_sgpr_workgroup_id_x 1
		.amdhsa_system_sgpr_workgroup_id_y 0
		.amdhsa_system_sgpr_workgroup_id_z 0
		.amdhsa_system_sgpr_workgroup_info 0
		.amdhsa_system_vgpr_workitem_id 0
		.amdhsa_next_free_vgpr 1
		.amdhsa_next_free_sgpr 1
		.amdhsa_reserve_vcc 0
		.amdhsa_reserve_flat_scratch 0
		.amdhsa_float_round_mode_32 0
		.amdhsa_float_round_mode_16_64 0
		.amdhsa_float_denorm_mode_32 3
		.amdhsa_float_denorm_mode_16_64 3
		.amdhsa_dx10_clamp 1
		.amdhsa_ieee_mode 1
		.amdhsa_fp16_overflow 0
		.amdhsa_workgroup_processor_mode 1
		.amdhsa_memory_ordered 1
		.amdhsa_forward_progress 1
		.amdhsa_shared_vgpr_count 0
		.amdhsa_exception_fp_ieee_invalid_op 0
		.amdhsa_exception_fp_denorm_src 0
		.amdhsa_exception_fp_ieee_div_zero 0
		.amdhsa_exception_fp_ieee_overflow 0
		.amdhsa_exception_fp_ieee_underflow 0
		.amdhsa_exception_fp_ieee_inexact 0
		.amdhsa_exception_int_div_zero 0
	.end_amdhsa_kernel
	.section	.text._ZN7rocprim17ROCPRIM_400000_NS6detail17trampoline_kernelINS0_14default_configENS1_38merge_sort_block_merge_config_selectorIxNS0_10empty_typeEEEZZNS1_27merge_sort_block_merge_implIS3_N6thrust23THRUST_200600_302600_NS6detail15normal_iteratorINS9_10device_ptrIxEEEEPS5_m9comp_mod3IxEEE10hipError_tT0_T1_T2_jT3_P12ihipStream_tbPNSt15iterator_traitsISJ_E10value_typeEPNSP_ISK_E10value_typeEPSL_NS1_7vsmem_tEENKUlT_SJ_SK_SL_E_clIPxSE_SF_SF_EESI_SY_SJ_SK_SL_EUlSY_E_NS1_11comp_targetILNS1_3genE2ELNS1_11target_archE906ELNS1_3gpuE6ELNS1_3repE0EEENS1_48merge_mergepath_partition_config_static_selectorELNS0_4arch9wavefront6targetE0EEEvSK_,"axG",@progbits,_ZN7rocprim17ROCPRIM_400000_NS6detail17trampoline_kernelINS0_14default_configENS1_38merge_sort_block_merge_config_selectorIxNS0_10empty_typeEEEZZNS1_27merge_sort_block_merge_implIS3_N6thrust23THRUST_200600_302600_NS6detail15normal_iteratorINS9_10device_ptrIxEEEEPS5_m9comp_mod3IxEEE10hipError_tT0_T1_T2_jT3_P12ihipStream_tbPNSt15iterator_traitsISJ_E10value_typeEPNSP_ISK_E10value_typeEPSL_NS1_7vsmem_tEENKUlT_SJ_SK_SL_E_clIPxSE_SF_SF_EESI_SY_SJ_SK_SL_EUlSY_E_NS1_11comp_targetILNS1_3genE2ELNS1_11target_archE906ELNS1_3gpuE6ELNS1_3repE0EEENS1_48merge_mergepath_partition_config_static_selectorELNS0_4arch9wavefront6targetE0EEEvSK_,comdat
.Lfunc_end936:
	.size	_ZN7rocprim17ROCPRIM_400000_NS6detail17trampoline_kernelINS0_14default_configENS1_38merge_sort_block_merge_config_selectorIxNS0_10empty_typeEEEZZNS1_27merge_sort_block_merge_implIS3_N6thrust23THRUST_200600_302600_NS6detail15normal_iteratorINS9_10device_ptrIxEEEEPS5_m9comp_mod3IxEEE10hipError_tT0_T1_T2_jT3_P12ihipStream_tbPNSt15iterator_traitsISJ_E10value_typeEPNSP_ISK_E10value_typeEPSL_NS1_7vsmem_tEENKUlT_SJ_SK_SL_E_clIPxSE_SF_SF_EESI_SY_SJ_SK_SL_EUlSY_E_NS1_11comp_targetILNS1_3genE2ELNS1_11target_archE906ELNS1_3gpuE6ELNS1_3repE0EEENS1_48merge_mergepath_partition_config_static_selectorELNS0_4arch9wavefront6targetE0EEEvSK_, .Lfunc_end936-_ZN7rocprim17ROCPRIM_400000_NS6detail17trampoline_kernelINS0_14default_configENS1_38merge_sort_block_merge_config_selectorIxNS0_10empty_typeEEEZZNS1_27merge_sort_block_merge_implIS3_N6thrust23THRUST_200600_302600_NS6detail15normal_iteratorINS9_10device_ptrIxEEEEPS5_m9comp_mod3IxEEE10hipError_tT0_T1_T2_jT3_P12ihipStream_tbPNSt15iterator_traitsISJ_E10value_typeEPNSP_ISK_E10value_typeEPSL_NS1_7vsmem_tEENKUlT_SJ_SK_SL_E_clIPxSE_SF_SF_EESI_SY_SJ_SK_SL_EUlSY_E_NS1_11comp_targetILNS1_3genE2ELNS1_11target_archE906ELNS1_3gpuE6ELNS1_3repE0EEENS1_48merge_mergepath_partition_config_static_selectorELNS0_4arch9wavefront6targetE0EEEvSK_
                                        ; -- End function
	.set _ZN7rocprim17ROCPRIM_400000_NS6detail17trampoline_kernelINS0_14default_configENS1_38merge_sort_block_merge_config_selectorIxNS0_10empty_typeEEEZZNS1_27merge_sort_block_merge_implIS3_N6thrust23THRUST_200600_302600_NS6detail15normal_iteratorINS9_10device_ptrIxEEEEPS5_m9comp_mod3IxEEE10hipError_tT0_T1_T2_jT3_P12ihipStream_tbPNSt15iterator_traitsISJ_E10value_typeEPNSP_ISK_E10value_typeEPSL_NS1_7vsmem_tEENKUlT_SJ_SK_SL_E_clIPxSE_SF_SF_EESI_SY_SJ_SK_SL_EUlSY_E_NS1_11comp_targetILNS1_3genE2ELNS1_11target_archE906ELNS1_3gpuE6ELNS1_3repE0EEENS1_48merge_mergepath_partition_config_static_selectorELNS0_4arch9wavefront6targetE0EEEvSK_.num_vgpr, 0
	.set _ZN7rocprim17ROCPRIM_400000_NS6detail17trampoline_kernelINS0_14default_configENS1_38merge_sort_block_merge_config_selectorIxNS0_10empty_typeEEEZZNS1_27merge_sort_block_merge_implIS3_N6thrust23THRUST_200600_302600_NS6detail15normal_iteratorINS9_10device_ptrIxEEEEPS5_m9comp_mod3IxEEE10hipError_tT0_T1_T2_jT3_P12ihipStream_tbPNSt15iterator_traitsISJ_E10value_typeEPNSP_ISK_E10value_typeEPSL_NS1_7vsmem_tEENKUlT_SJ_SK_SL_E_clIPxSE_SF_SF_EESI_SY_SJ_SK_SL_EUlSY_E_NS1_11comp_targetILNS1_3genE2ELNS1_11target_archE906ELNS1_3gpuE6ELNS1_3repE0EEENS1_48merge_mergepath_partition_config_static_selectorELNS0_4arch9wavefront6targetE0EEEvSK_.num_agpr, 0
	.set _ZN7rocprim17ROCPRIM_400000_NS6detail17trampoline_kernelINS0_14default_configENS1_38merge_sort_block_merge_config_selectorIxNS0_10empty_typeEEEZZNS1_27merge_sort_block_merge_implIS3_N6thrust23THRUST_200600_302600_NS6detail15normal_iteratorINS9_10device_ptrIxEEEEPS5_m9comp_mod3IxEEE10hipError_tT0_T1_T2_jT3_P12ihipStream_tbPNSt15iterator_traitsISJ_E10value_typeEPNSP_ISK_E10value_typeEPSL_NS1_7vsmem_tEENKUlT_SJ_SK_SL_E_clIPxSE_SF_SF_EESI_SY_SJ_SK_SL_EUlSY_E_NS1_11comp_targetILNS1_3genE2ELNS1_11target_archE906ELNS1_3gpuE6ELNS1_3repE0EEENS1_48merge_mergepath_partition_config_static_selectorELNS0_4arch9wavefront6targetE0EEEvSK_.numbered_sgpr, 0
	.set _ZN7rocprim17ROCPRIM_400000_NS6detail17trampoline_kernelINS0_14default_configENS1_38merge_sort_block_merge_config_selectorIxNS0_10empty_typeEEEZZNS1_27merge_sort_block_merge_implIS3_N6thrust23THRUST_200600_302600_NS6detail15normal_iteratorINS9_10device_ptrIxEEEEPS5_m9comp_mod3IxEEE10hipError_tT0_T1_T2_jT3_P12ihipStream_tbPNSt15iterator_traitsISJ_E10value_typeEPNSP_ISK_E10value_typeEPSL_NS1_7vsmem_tEENKUlT_SJ_SK_SL_E_clIPxSE_SF_SF_EESI_SY_SJ_SK_SL_EUlSY_E_NS1_11comp_targetILNS1_3genE2ELNS1_11target_archE906ELNS1_3gpuE6ELNS1_3repE0EEENS1_48merge_mergepath_partition_config_static_selectorELNS0_4arch9wavefront6targetE0EEEvSK_.num_named_barrier, 0
	.set _ZN7rocprim17ROCPRIM_400000_NS6detail17trampoline_kernelINS0_14default_configENS1_38merge_sort_block_merge_config_selectorIxNS0_10empty_typeEEEZZNS1_27merge_sort_block_merge_implIS3_N6thrust23THRUST_200600_302600_NS6detail15normal_iteratorINS9_10device_ptrIxEEEEPS5_m9comp_mod3IxEEE10hipError_tT0_T1_T2_jT3_P12ihipStream_tbPNSt15iterator_traitsISJ_E10value_typeEPNSP_ISK_E10value_typeEPSL_NS1_7vsmem_tEENKUlT_SJ_SK_SL_E_clIPxSE_SF_SF_EESI_SY_SJ_SK_SL_EUlSY_E_NS1_11comp_targetILNS1_3genE2ELNS1_11target_archE906ELNS1_3gpuE6ELNS1_3repE0EEENS1_48merge_mergepath_partition_config_static_selectorELNS0_4arch9wavefront6targetE0EEEvSK_.private_seg_size, 0
	.set _ZN7rocprim17ROCPRIM_400000_NS6detail17trampoline_kernelINS0_14default_configENS1_38merge_sort_block_merge_config_selectorIxNS0_10empty_typeEEEZZNS1_27merge_sort_block_merge_implIS3_N6thrust23THRUST_200600_302600_NS6detail15normal_iteratorINS9_10device_ptrIxEEEEPS5_m9comp_mod3IxEEE10hipError_tT0_T1_T2_jT3_P12ihipStream_tbPNSt15iterator_traitsISJ_E10value_typeEPNSP_ISK_E10value_typeEPSL_NS1_7vsmem_tEENKUlT_SJ_SK_SL_E_clIPxSE_SF_SF_EESI_SY_SJ_SK_SL_EUlSY_E_NS1_11comp_targetILNS1_3genE2ELNS1_11target_archE906ELNS1_3gpuE6ELNS1_3repE0EEENS1_48merge_mergepath_partition_config_static_selectorELNS0_4arch9wavefront6targetE0EEEvSK_.uses_vcc, 0
	.set _ZN7rocprim17ROCPRIM_400000_NS6detail17trampoline_kernelINS0_14default_configENS1_38merge_sort_block_merge_config_selectorIxNS0_10empty_typeEEEZZNS1_27merge_sort_block_merge_implIS3_N6thrust23THRUST_200600_302600_NS6detail15normal_iteratorINS9_10device_ptrIxEEEEPS5_m9comp_mod3IxEEE10hipError_tT0_T1_T2_jT3_P12ihipStream_tbPNSt15iterator_traitsISJ_E10value_typeEPNSP_ISK_E10value_typeEPSL_NS1_7vsmem_tEENKUlT_SJ_SK_SL_E_clIPxSE_SF_SF_EESI_SY_SJ_SK_SL_EUlSY_E_NS1_11comp_targetILNS1_3genE2ELNS1_11target_archE906ELNS1_3gpuE6ELNS1_3repE0EEENS1_48merge_mergepath_partition_config_static_selectorELNS0_4arch9wavefront6targetE0EEEvSK_.uses_flat_scratch, 0
	.set _ZN7rocprim17ROCPRIM_400000_NS6detail17trampoline_kernelINS0_14default_configENS1_38merge_sort_block_merge_config_selectorIxNS0_10empty_typeEEEZZNS1_27merge_sort_block_merge_implIS3_N6thrust23THRUST_200600_302600_NS6detail15normal_iteratorINS9_10device_ptrIxEEEEPS5_m9comp_mod3IxEEE10hipError_tT0_T1_T2_jT3_P12ihipStream_tbPNSt15iterator_traitsISJ_E10value_typeEPNSP_ISK_E10value_typeEPSL_NS1_7vsmem_tEENKUlT_SJ_SK_SL_E_clIPxSE_SF_SF_EESI_SY_SJ_SK_SL_EUlSY_E_NS1_11comp_targetILNS1_3genE2ELNS1_11target_archE906ELNS1_3gpuE6ELNS1_3repE0EEENS1_48merge_mergepath_partition_config_static_selectorELNS0_4arch9wavefront6targetE0EEEvSK_.has_dyn_sized_stack, 0
	.set _ZN7rocprim17ROCPRIM_400000_NS6detail17trampoline_kernelINS0_14default_configENS1_38merge_sort_block_merge_config_selectorIxNS0_10empty_typeEEEZZNS1_27merge_sort_block_merge_implIS3_N6thrust23THRUST_200600_302600_NS6detail15normal_iteratorINS9_10device_ptrIxEEEEPS5_m9comp_mod3IxEEE10hipError_tT0_T1_T2_jT3_P12ihipStream_tbPNSt15iterator_traitsISJ_E10value_typeEPNSP_ISK_E10value_typeEPSL_NS1_7vsmem_tEENKUlT_SJ_SK_SL_E_clIPxSE_SF_SF_EESI_SY_SJ_SK_SL_EUlSY_E_NS1_11comp_targetILNS1_3genE2ELNS1_11target_archE906ELNS1_3gpuE6ELNS1_3repE0EEENS1_48merge_mergepath_partition_config_static_selectorELNS0_4arch9wavefront6targetE0EEEvSK_.has_recursion, 0
	.set _ZN7rocprim17ROCPRIM_400000_NS6detail17trampoline_kernelINS0_14default_configENS1_38merge_sort_block_merge_config_selectorIxNS0_10empty_typeEEEZZNS1_27merge_sort_block_merge_implIS3_N6thrust23THRUST_200600_302600_NS6detail15normal_iteratorINS9_10device_ptrIxEEEEPS5_m9comp_mod3IxEEE10hipError_tT0_T1_T2_jT3_P12ihipStream_tbPNSt15iterator_traitsISJ_E10value_typeEPNSP_ISK_E10value_typeEPSL_NS1_7vsmem_tEENKUlT_SJ_SK_SL_E_clIPxSE_SF_SF_EESI_SY_SJ_SK_SL_EUlSY_E_NS1_11comp_targetILNS1_3genE2ELNS1_11target_archE906ELNS1_3gpuE6ELNS1_3repE0EEENS1_48merge_mergepath_partition_config_static_selectorELNS0_4arch9wavefront6targetE0EEEvSK_.has_indirect_call, 0
	.section	.AMDGPU.csdata,"",@progbits
; Kernel info:
; codeLenInByte = 0
; TotalNumSgprs: 0
; NumVgprs: 0
; ScratchSize: 0
; MemoryBound: 0
; FloatMode: 240
; IeeeMode: 1
; LDSByteSize: 0 bytes/workgroup (compile time only)
; SGPRBlocks: 0
; VGPRBlocks: 0
; NumSGPRsForWavesPerEU: 1
; NumVGPRsForWavesPerEU: 1
; Occupancy: 16
; WaveLimiterHint : 0
; COMPUTE_PGM_RSRC2:SCRATCH_EN: 0
; COMPUTE_PGM_RSRC2:USER_SGPR: 6
; COMPUTE_PGM_RSRC2:TRAP_HANDLER: 0
; COMPUTE_PGM_RSRC2:TGID_X_EN: 1
; COMPUTE_PGM_RSRC2:TGID_Y_EN: 0
; COMPUTE_PGM_RSRC2:TGID_Z_EN: 0
; COMPUTE_PGM_RSRC2:TIDIG_COMP_CNT: 0
	.section	.text._ZN7rocprim17ROCPRIM_400000_NS6detail17trampoline_kernelINS0_14default_configENS1_38merge_sort_block_merge_config_selectorIxNS0_10empty_typeEEEZZNS1_27merge_sort_block_merge_implIS3_N6thrust23THRUST_200600_302600_NS6detail15normal_iteratorINS9_10device_ptrIxEEEEPS5_m9comp_mod3IxEEE10hipError_tT0_T1_T2_jT3_P12ihipStream_tbPNSt15iterator_traitsISJ_E10value_typeEPNSP_ISK_E10value_typeEPSL_NS1_7vsmem_tEENKUlT_SJ_SK_SL_E_clIPxSE_SF_SF_EESI_SY_SJ_SK_SL_EUlSY_E_NS1_11comp_targetILNS1_3genE9ELNS1_11target_archE1100ELNS1_3gpuE3ELNS1_3repE0EEENS1_48merge_mergepath_partition_config_static_selectorELNS0_4arch9wavefront6targetE0EEEvSK_,"axG",@progbits,_ZN7rocprim17ROCPRIM_400000_NS6detail17trampoline_kernelINS0_14default_configENS1_38merge_sort_block_merge_config_selectorIxNS0_10empty_typeEEEZZNS1_27merge_sort_block_merge_implIS3_N6thrust23THRUST_200600_302600_NS6detail15normal_iteratorINS9_10device_ptrIxEEEEPS5_m9comp_mod3IxEEE10hipError_tT0_T1_T2_jT3_P12ihipStream_tbPNSt15iterator_traitsISJ_E10value_typeEPNSP_ISK_E10value_typeEPSL_NS1_7vsmem_tEENKUlT_SJ_SK_SL_E_clIPxSE_SF_SF_EESI_SY_SJ_SK_SL_EUlSY_E_NS1_11comp_targetILNS1_3genE9ELNS1_11target_archE1100ELNS1_3gpuE3ELNS1_3repE0EEENS1_48merge_mergepath_partition_config_static_selectorELNS0_4arch9wavefront6targetE0EEEvSK_,comdat
	.protected	_ZN7rocprim17ROCPRIM_400000_NS6detail17trampoline_kernelINS0_14default_configENS1_38merge_sort_block_merge_config_selectorIxNS0_10empty_typeEEEZZNS1_27merge_sort_block_merge_implIS3_N6thrust23THRUST_200600_302600_NS6detail15normal_iteratorINS9_10device_ptrIxEEEEPS5_m9comp_mod3IxEEE10hipError_tT0_T1_T2_jT3_P12ihipStream_tbPNSt15iterator_traitsISJ_E10value_typeEPNSP_ISK_E10value_typeEPSL_NS1_7vsmem_tEENKUlT_SJ_SK_SL_E_clIPxSE_SF_SF_EESI_SY_SJ_SK_SL_EUlSY_E_NS1_11comp_targetILNS1_3genE9ELNS1_11target_archE1100ELNS1_3gpuE3ELNS1_3repE0EEENS1_48merge_mergepath_partition_config_static_selectorELNS0_4arch9wavefront6targetE0EEEvSK_ ; -- Begin function _ZN7rocprim17ROCPRIM_400000_NS6detail17trampoline_kernelINS0_14default_configENS1_38merge_sort_block_merge_config_selectorIxNS0_10empty_typeEEEZZNS1_27merge_sort_block_merge_implIS3_N6thrust23THRUST_200600_302600_NS6detail15normal_iteratorINS9_10device_ptrIxEEEEPS5_m9comp_mod3IxEEE10hipError_tT0_T1_T2_jT3_P12ihipStream_tbPNSt15iterator_traitsISJ_E10value_typeEPNSP_ISK_E10value_typeEPSL_NS1_7vsmem_tEENKUlT_SJ_SK_SL_E_clIPxSE_SF_SF_EESI_SY_SJ_SK_SL_EUlSY_E_NS1_11comp_targetILNS1_3genE9ELNS1_11target_archE1100ELNS1_3gpuE3ELNS1_3repE0EEENS1_48merge_mergepath_partition_config_static_selectorELNS0_4arch9wavefront6targetE0EEEvSK_
	.globl	_ZN7rocprim17ROCPRIM_400000_NS6detail17trampoline_kernelINS0_14default_configENS1_38merge_sort_block_merge_config_selectorIxNS0_10empty_typeEEEZZNS1_27merge_sort_block_merge_implIS3_N6thrust23THRUST_200600_302600_NS6detail15normal_iteratorINS9_10device_ptrIxEEEEPS5_m9comp_mod3IxEEE10hipError_tT0_T1_T2_jT3_P12ihipStream_tbPNSt15iterator_traitsISJ_E10value_typeEPNSP_ISK_E10value_typeEPSL_NS1_7vsmem_tEENKUlT_SJ_SK_SL_E_clIPxSE_SF_SF_EESI_SY_SJ_SK_SL_EUlSY_E_NS1_11comp_targetILNS1_3genE9ELNS1_11target_archE1100ELNS1_3gpuE3ELNS1_3repE0EEENS1_48merge_mergepath_partition_config_static_selectorELNS0_4arch9wavefront6targetE0EEEvSK_
	.p2align	8
	.type	_ZN7rocprim17ROCPRIM_400000_NS6detail17trampoline_kernelINS0_14default_configENS1_38merge_sort_block_merge_config_selectorIxNS0_10empty_typeEEEZZNS1_27merge_sort_block_merge_implIS3_N6thrust23THRUST_200600_302600_NS6detail15normal_iteratorINS9_10device_ptrIxEEEEPS5_m9comp_mod3IxEEE10hipError_tT0_T1_T2_jT3_P12ihipStream_tbPNSt15iterator_traitsISJ_E10value_typeEPNSP_ISK_E10value_typeEPSL_NS1_7vsmem_tEENKUlT_SJ_SK_SL_E_clIPxSE_SF_SF_EESI_SY_SJ_SK_SL_EUlSY_E_NS1_11comp_targetILNS1_3genE9ELNS1_11target_archE1100ELNS1_3gpuE3ELNS1_3repE0EEENS1_48merge_mergepath_partition_config_static_selectorELNS0_4arch9wavefront6targetE0EEEvSK_,@function
_ZN7rocprim17ROCPRIM_400000_NS6detail17trampoline_kernelINS0_14default_configENS1_38merge_sort_block_merge_config_selectorIxNS0_10empty_typeEEEZZNS1_27merge_sort_block_merge_implIS3_N6thrust23THRUST_200600_302600_NS6detail15normal_iteratorINS9_10device_ptrIxEEEEPS5_m9comp_mod3IxEEE10hipError_tT0_T1_T2_jT3_P12ihipStream_tbPNSt15iterator_traitsISJ_E10value_typeEPNSP_ISK_E10value_typeEPSL_NS1_7vsmem_tEENKUlT_SJ_SK_SL_E_clIPxSE_SF_SF_EESI_SY_SJ_SK_SL_EUlSY_E_NS1_11comp_targetILNS1_3genE9ELNS1_11target_archE1100ELNS1_3gpuE3ELNS1_3repE0EEENS1_48merge_mergepath_partition_config_static_selectorELNS0_4arch9wavefront6targetE0EEEvSK_: ; @_ZN7rocprim17ROCPRIM_400000_NS6detail17trampoline_kernelINS0_14default_configENS1_38merge_sort_block_merge_config_selectorIxNS0_10empty_typeEEEZZNS1_27merge_sort_block_merge_implIS3_N6thrust23THRUST_200600_302600_NS6detail15normal_iteratorINS9_10device_ptrIxEEEEPS5_m9comp_mod3IxEEE10hipError_tT0_T1_T2_jT3_P12ihipStream_tbPNSt15iterator_traitsISJ_E10value_typeEPNSP_ISK_E10value_typeEPSL_NS1_7vsmem_tEENKUlT_SJ_SK_SL_E_clIPxSE_SF_SF_EESI_SY_SJ_SK_SL_EUlSY_E_NS1_11comp_targetILNS1_3genE9ELNS1_11target_archE1100ELNS1_3gpuE3ELNS1_3repE0EEENS1_48merge_mergepath_partition_config_static_selectorELNS0_4arch9wavefront6targetE0EEEvSK_
; %bb.0:
	.section	.rodata,"a",@progbits
	.p2align	6, 0x0
	.amdhsa_kernel _ZN7rocprim17ROCPRIM_400000_NS6detail17trampoline_kernelINS0_14default_configENS1_38merge_sort_block_merge_config_selectorIxNS0_10empty_typeEEEZZNS1_27merge_sort_block_merge_implIS3_N6thrust23THRUST_200600_302600_NS6detail15normal_iteratorINS9_10device_ptrIxEEEEPS5_m9comp_mod3IxEEE10hipError_tT0_T1_T2_jT3_P12ihipStream_tbPNSt15iterator_traitsISJ_E10value_typeEPNSP_ISK_E10value_typeEPSL_NS1_7vsmem_tEENKUlT_SJ_SK_SL_E_clIPxSE_SF_SF_EESI_SY_SJ_SK_SL_EUlSY_E_NS1_11comp_targetILNS1_3genE9ELNS1_11target_archE1100ELNS1_3gpuE3ELNS1_3repE0EEENS1_48merge_mergepath_partition_config_static_selectorELNS0_4arch9wavefront6targetE0EEEvSK_
		.amdhsa_group_segment_fixed_size 0
		.amdhsa_private_segment_fixed_size 0
		.amdhsa_kernarg_size 48
		.amdhsa_user_sgpr_count 6
		.amdhsa_user_sgpr_private_segment_buffer 1
		.amdhsa_user_sgpr_dispatch_ptr 0
		.amdhsa_user_sgpr_queue_ptr 0
		.amdhsa_user_sgpr_kernarg_segment_ptr 1
		.amdhsa_user_sgpr_dispatch_id 0
		.amdhsa_user_sgpr_flat_scratch_init 0
		.amdhsa_user_sgpr_private_segment_size 0
		.amdhsa_wavefront_size32 1
		.amdhsa_uses_dynamic_stack 0
		.amdhsa_system_sgpr_private_segment_wavefront_offset 0
		.amdhsa_system_sgpr_workgroup_id_x 1
		.amdhsa_system_sgpr_workgroup_id_y 0
		.amdhsa_system_sgpr_workgroup_id_z 0
		.amdhsa_system_sgpr_workgroup_info 0
		.amdhsa_system_vgpr_workitem_id 0
		.amdhsa_next_free_vgpr 1
		.amdhsa_next_free_sgpr 1
		.amdhsa_reserve_vcc 0
		.amdhsa_reserve_flat_scratch 0
		.amdhsa_float_round_mode_32 0
		.amdhsa_float_round_mode_16_64 0
		.amdhsa_float_denorm_mode_32 3
		.amdhsa_float_denorm_mode_16_64 3
		.amdhsa_dx10_clamp 1
		.amdhsa_ieee_mode 1
		.amdhsa_fp16_overflow 0
		.amdhsa_workgroup_processor_mode 1
		.amdhsa_memory_ordered 1
		.amdhsa_forward_progress 1
		.amdhsa_shared_vgpr_count 0
		.amdhsa_exception_fp_ieee_invalid_op 0
		.amdhsa_exception_fp_denorm_src 0
		.amdhsa_exception_fp_ieee_div_zero 0
		.amdhsa_exception_fp_ieee_overflow 0
		.amdhsa_exception_fp_ieee_underflow 0
		.amdhsa_exception_fp_ieee_inexact 0
		.amdhsa_exception_int_div_zero 0
	.end_amdhsa_kernel
	.section	.text._ZN7rocprim17ROCPRIM_400000_NS6detail17trampoline_kernelINS0_14default_configENS1_38merge_sort_block_merge_config_selectorIxNS0_10empty_typeEEEZZNS1_27merge_sort_block_merge_implIS3_N6thrust23THRUST_200600_302600_NS6detail15normal_iteratorINS9_10device_ptrIxEEEEPS5_m9comp_mod3IxEEE10hipError_tT0_T1_T2_jT3_P12ihipStream_tbPNSt15iterator_traitsISJ_E10value_typeEPNSP_ISK_E10value_typeEPSL_NS1_7vsmem_tEENKUlT_SJ_SK_SL_E_clIPxSE_SF_SF_EESI_SY_SJ_SK_SL_EUlSY_E_NS1_11comp_targetILNS1_3genE9ELNS1_11target_archE1100ELNS1_3gpuE3ELNS1_3repE0EEENS1_48merge_mergepath_partition_config_static_selectorELNS0_4arch9wavefront6targetE0EEEvSK_,"axG",@progbits,_ZN7rocprim17ROCPRIM_400000_NS6detail17trampoline_kernelINS0_14default_configENS1_38merge_sort_block_merge_config_selectorIxNS0_10empty_typeEEEZZNS1_27merge_sort_block_merge_implIS3_N6thrust23THRUST_200600_302600_NS6detail15normal_iteratorINS9_10device_ptrIxEEEEPS5_m9comp_mod3IxEEE10hipError_tT0_T1_T2_jT3_P12ihipStream_tbPNSt15iterator_traitsISJ_E10value_typeEPNSP_ISK_E10value_typeEPSL_NS1_7vsmem_tEENKUlT_SJ_SK_SL_E_clIPxSE_SF_SF_EESI_SY_SJ_SK_SL_EUlSY_E_NS1_11comp_targetILNS1_3genE9ELNS1_11target_archE1100ELNS1_3gpuE3ELNS1_3repE0EEENS1_48merge_mergepath_partition_config_static_selectorELNS0_4arch9wavefront6targetE0EEEvSK_,comdat
.Lfunc_end937:
	.size	_ZN7rocprim17ROCPRIM_400000_NS6detail17trampoline_kernelINS0_14default_configENS1_38merge_sort_block_merge_config_selectorIxNS0_10empty_typeEEEZZNS1_27merge_sort_block_merge_implIS3_N6thrust23THRUST_200600_302600_NS6detail15normal_iteratorINS9_10device_ptrIxEEEEPS5_m9comp_mod3IxEEE10hipError_tT0_T1_T2_jT3_P12ihipStream_tbPNSt15iterator_traitsISJ_E10value_typeEPNSP_ISK_E10value_typeEPSL_NS1_7vsmem_tEENKUlT_SJ_SK_SL_E_clIPxSE_SF_SF_EESI_SY_SJ_SK_SL_EUlSY_E_NS1_11comp_targetILNS1_3genE9ELNS1_11target_archE1100ELNS1_3gpuE3ELNS1_3repE0EEENS1_48merge_mergepath_partition_config_static_selectorELNS0_4arch9wavefront6targetE0EEEvSK_, .Lfunc_end937-_ZN7rocprim17ROCPRIM_400000_NS6detail17trampoline_kernelINS0_14default_configENS1_38merge_sort_block_merge_config_selectorIxNS0_10empty_typeEEEZZNS1_27merge_sort_block_merge_implIS3_N6thrust23THRUST_200600_302600_NS6detail15normal_iteratorINS9_10device_ptrIxEEEEPS5_m9comp_mod3IxEEE10hipError_tT0_T1_T2_jT3_P12ihipStream_tbPNSt15iterator_traitsISJ_E10value_typeEPNSP_ISK_E10value_typeEPSL_NS1_7vsmem_tEENKUlT_SJ_SK_SL_E_clIPxSE_SF_SF_EESI_SY_SJ_SK_SL_EUlSY_E_NS1_11comp_targetILNS1_3genE9ELNS1_11target_archE1100ELNS1_3gpuE3ELNS1_3repE0EEENS1_48merge_mergepath_partition_config_static_selectorELNS0_4arch9wavefront6targetE0EEEvSK_
                                        ; -- End function
	.set _ZN7rocprim17ROCPRIM_400000_NS6detail17trampoline_kernelINS0_14default_configENS1_38merge_sort_block_merge_config_selectorIxNS0_10empty_typeEEEZZNS1_27merge_sort_block_merge_implIS3_N6thrust23THRUST_200600_302600_NS6detail15normal_iteratorINS9_10device_ptrIxEEEEPS5_m9comp_mod3IxEEE10hipError_tT0_T1_T2_jT3_P12ihipStream_tbPNSt15iterator_traitsISJ_E10value_typeEPNSP_ISK_E10value_typeEPSL_NS1_7vsmem_tEENKUlT_SJ_SK_SL_E_clIPxSE_SF_SF_EESI_SY_SJ_SK_SL_EUlSY_E_NS1_11comp_targetILNS1_3genE9ELNS1_11target_archE1100ELNS1_3gpuE3ELNS1_3repE0EEENS1_48merge_mergepath_partition_config_static_selectorELNS0_4arch9wavefront6targetE0EEEvSK_.num_vgpr, 0
	.set _ZN7rocprim17ROCPRIM_400000_NS6detail17trampoline_kernelINS0_14default_configENS1_38merge_sort_block_merge_config_selectorIxNS0_10empty_typeEEEZZNS1_27merge_sort_block_merge_implIS3_N6thrust23THRUST_200600_302600_NS6detail15normal_iteratorINS9_10device_ptrIxEEEEPS5_m9comp_mod3IxEEE10hipError_tT0_T1_T2_jT3_P12ihipStream_tbPNSt15iterator_traitsISJ_E10value_typeEPNSP_ISK_E10value_typeEPSL_NS1_7vsmem_tEENKUlT_SJ_SK_SL_E_clIPxSE_SF_SF_EESI_SY_SJ_SK_SL_EUlSY_E_NS1_11comp_targetILNS1_3genE9ELNS1_11target_archE1100ELNS1_3gpuE3ELNS1_3repE0EEENS1_48merge_mergepath_partition_config_static_selectorELNS0_4arch9wavefront6targetE0EEEvSK_.num_agpr, 0
	.set _ZN7rocprim17ROCPRIM_400000_NS6detail17trampoline_kernelINS0_14default_configENS1_38merge_sort_block_merge_config_selectorIxNS0_10empty_typeEEEZZNS1_27merge_sort_block_merge_implIS3_N6thrust23THRUST_200600_302600_NS6detail15normal_iteratorINS9_10device_ptrIxEEEEPS5_m9comp_mod3IxEEE10hipError_tT0_T1_T2_jT3_P12ihipStream_tbPNSt15iterator_traitsISJ_E10value_typeEPNSP_ISK_E10value_typeEPSL_NS1_7vsmem_tEENKUlT_SJ_SK_SL_E_clIPxSE_SF_SF_EESI_SY_SJ_SK_SL_EUlSY_E_NS1_11comp_targetILNS1_3genE9ELNS1_11target_archE1100ELNS1_3gpuE3ELNS1_3repE0EEENS1_48merge_mergepath_partition_config_static_selectorELNS0_4arch9wavefront6targetE0EEEvSK_.numbered_sgpr, 0
	.set _ZN7rocprim17ROCPRIM_400000_NS6detail17trampoline_kernelINS0_14default_configENS1_38merge_sort_block_merge_config_selectorIxNS0_10empty_typeEEEZZNS1_27merge_sort_block_merge_implIS3_N6thrust23THRUST_200600_302600_NS6detail15normal_iteratorINS9_10device_ptrIxEEEEPS5_m9comp_mod3IxEEE10hipError_tT0_T1_T2_jT3_P12ihipStream_tbPNSt15iterator_traitsISJ_E10value_typeEPNSP_ISK_E10value_typeEPSL_NS1_7vsmem_tEENKUlT_SJ_SK_SL_E_clIPxSE_SF_SF_EESI_SY_SJ_SK_SL_EUlSY_E_NS1_11comp_targetILNS1_3genE9ELNS1_11target_archE1100ELNS1_3gpuE3ELNS1_3repE0EEENS1_48merge_mergepath_partition_config_static_selectorELNS0_4arch9wavefront6targetE0EEEvSK_.num_named_barrier, 0
	.set _ZN7rocprim17ROCPRIM_400000_NS6detail17trampoline_kernelINS0_14default_configENS1_38merge_sort_block_merge_config_selectorIxNS0_10empty_typeEEEZZNS1_27merge_sort_block_merge_implIS3_N6thrust23THRUST_200600_302600_NS6detail15normal_iteratorINS9_10device_ptrIxEEEEPS5_m9comp_mod3IxEEE10hipError_tT0_T1_T2_jT3_P12ihipStream_tbPNSt15iterator_traitsISJ_E10value_typeEPNSP_ISK_E10value_typeEPSL_NS1_7vsmem_tEENKUlT_SJ_SK_SL_E_clIPxSE_SF_SF_EESI_SY_SJ_SK_SL_EUlSY_E_NS1_11comp_targetILNS1_3genE9ELNS1_11target_archE1100ELNS1_3gpuE3ELNS1_3repE0EEENS1_48merge_mergepath_partition_config_static_selectorELNS0_4arch9wavefront6targetE0EEEvSK_.private_seg_size, 0
	.set _ZN7rocprim17ROCPRIM_400000_NS6detail17trampoline_kernelINS0_14default_configENS1_38merge_sort_block_merge_config_selectorIxNS0_10empty_typeEEEZZNS1_27merge_sort_block_merge_implIS3_N6thrust23THRUST_200600_302600_NS6detail15normal_iteratorINS9_10device_ptrIxEEEEPS5_m9comp_mod3IxEEE10hipError_tT0_T1_T2_jT3_P12ihipStream_tbPNSt15iterator_traitsISJ_E10value_typeEPNSP_ISK_E10value_typeEPSL_NS1_7vsmem_tEENKUlT_SJ_SK_SL_E_clIPxSE_SF_SF_EESI_SY_SJ_SK_SL_EUlSY_E_NS1_11comp_targetILNS1_3genE9ELNS1_11target_archE1100ELNS1_3gpuE3ELNS1_3repE0EEENS1_48merge_mergepath_partition_config_static_selectorELNS0_4arch9wavefront6targetE0EEEvSK_.uses_vcc, 0
	.set _ZN7rocprim17ROCPRIM_400000_NS6detail17trampoline_kernelINS0_14default_configENS1_38merge_sort_block_merge_config_selectorIxNS0_10empty_typeEEEZZNS1_27merge_sort_block_merge_implIS3_N6thrust23THRUST_200600_302600_NS6detail15normal_iteratorINS9_10device_ptrIxEEEEPS5_m9comp_mod3IxEEE10hipError_tT0_T1_T2_jT3_P12ihipStream_tbPNSt15iterator_traitsISJ_E10value_typeEPNSP_ISK_E10value_typeEPSL_NS1_7vsmem_tEENKUlT_SJ_SK_SL_E_clIPxSE_SF_SF_EESI_SY_SJ_SK_SL_EUlSY_E_NS1_11comp_targetILNS1_3genE9ELNS1_11target_archE1100ELNS1_3gpuE3ELNS1_3repE0EEENS1_48merge_mergepath_partition_config_static_selectorELNS0_4arch9wavefront6targetE0EEEvSK_.uses_flat_scratch, 0
	.set _ZN7rocprim17ROCPRIM_400000_NS6detail17trampoline_kernelINS0_14default_configENS1_38merge_sort_block_merge_config_selectorIxNS0_10empty_typeEEEZZNS1_27merge_sort_block_merge_implIS3_N6thrust23THRUST_200600_302600_NS6detail15normal_iteratorINS9_10device_ptrIxEEEEPS5_m9comp_mod3IxEEE10hipError_tT0_T1_T2_jT3_P12ihipStream_tbPNSt15iterator_traitsISJ_E10value_typeEPNSP_ISK_E10value_typeEPSL_NS1_7vsmem_tEENKUlT_SJ_SK_SL_E_clIPxSE_SF_SF_EESI_SY_SJ_SK_SL_EUlSY_E_NS1_11comp_targetILNS1_3genE9ELNS1_11target_archE1100ELNS1_3gpuE3ELNS1_3repE0EEENS1_48merge_mergepath_partition_config_static_selectorELNS0_4arch9wavefront6targetE0EEEvSK_.has_dyn_sized_stack, 0
	.set _ZN7rocprim17ROCPRIM_400000_NS6detail17trampoline_kernelINS0_14default_configENS1_38merge_sort_block_merge_config_selectorIxNS0_10empty_typeEEEZZNS1_27merge_sort_block_merge_implIS3_N6thrust23THRUST_200600_302600_NS6detail15normal_iteratorINS9_10device_ptrIxEEEEPS5_m9comp_mod3IxEEE10hipError_tT0_T1_T2_jT3_P12ihipStream_tbPNSt15iterator_traitsISJ_E10value_typeEPNSP_ISK_E10value_typeEPSL_NS1_7vsmem_tEENKUlT_SJ_SK_SL_E_clIPxSE_SF_SF_EESI_SY_SJ_SK_SL_EUlSY_E_NS1_11comp_targetILNS1_3genE9ELNS1_11target_archE1100ELNS1_3gpuE3ELNS1_3repE0EEENS1_48merge_mergepath_partition_config_static_selectorELNS0_4arch9wavefront6targetE0EEEvSK_.has_recursion, 0
	.set _ZN7rocprim17ROCPRIM_400000_NS6detail17trampoline_kernelINS0_14default_configENS1_38merge_sort_block_merge_config_selectorIxNS0_10empty_typeEEEZZNS1_27merge_sort_block_merge_implIS3_N6thrust23THRUST_200600_302600_NS6detail15normal_iteratorINS9_10device_ptrIxEEEEPS5_m9comp_mod3IxEEE10hipError_tT0_T1_T2_jT3_P12ihipStream_tbPNSt15iterator_traitsISJ_E10value_typeEPNSP_ISK_E10value_typeEPSL_NS1_7vsmem_tEENKUlT_SJ_SK_SL_E_clIPxSE_SF_SF_EESI_SY_SJ_SK_SL_EUlSY_E_NS1_11comp_targetILNS1_3genE9ELNS1_11target_archE1100ELNS1_3gpuE3ELNS1_3repE0EEENS1_48merge_mergepath_partition_config_static_selectorELNS0_4arch9wavefront6targetE0EEEvSK_.has_indirect_call, 0
	.section	.AMDGPU.csdata,"",@progbits
; Kernel info:
; codeLenInByte = 0
; TotalNumSgprs: 0
; NumVgprs: 0
; ScratchSize: 0
; MemoryBound: 0
; FloatMode: 240
; IeeeMode: 1
; LDSByteSize: 0 bytes/workgroup (compile time only)
; SGPRBlocks: 0
; VGPRBlocks: 0
; NumSGPRsForWavesPerEU: 1
; NumVGPRsForWavesPerEU: 1
; Occupancy: 16
; WaveLimiterHint : 0
; COMPUTE_PGM_RSRC2:SCRATCH_EN: 0
; COMPUTE_PGM_RSRC2:USER_SGPR: 6
; COMPUTE_PGM_RSRC2:TRAP_HANDLER: 0
; COMPUTE_PGM_RSRC2:TGID_X_EN: 1
; COMPUTE_PGM_RSRC2:TGID_Y_EN: 0
; COMPUTE_PGM_RSRC2:TGID_Z_EN: 0
; COMPUTE_PGM_RSRC2:TIDIG_COMP_CNT: 0
	.section	.text._ZN7rocprim17ROCPRIM_400000_NS6detail17trampoline_kernelINS0_14default_configENS1_38merge_sort_block_merge_config_selectorIxNS0_10empty_typeEEEZZNS1_27merge_sort_block_merge_implIS3_N6thrust23THRUST_200600_302600_NS6detail15normal_iteratorINS9_10device_ptrIxEEEEPS5_m9comp_mod3IxEEE10hipError_tT0_T1_T2_jT3_P12ihipStream_tbPNSt15iterator_traitsISJ_E10value_typeEPNSP_ISK_E10value_typeEPSL_NS1_7vsmem_tEENKUlT_SJ_SK_SL_E_clIPxSE_SF_SF_EESI_SY_SJ_SK_SL_EUlSY_E_NS1_11comp_targetILNS1_3genE8ELNS1_11target_archE1030ELNS1_3gpuE2ELNS1_3repE0EEENS1_48merge_mergepath_partition_config_static_selectorELNS0_4arch9wavefront6targetE0EEEvSK_,"axG",@progbits,_ZN7rocprim17ROCPRIM_400000_NS6detail17trampoline_kernelINS0_14default_configENS1_38merge_sort_block_merge_config_selectorIxNS0_10empty_typeEEEZZNS1_27merge_sort_block_merge_implIS3_N6thrust23THRUST_200600_302600_NS6detail15normal_iteratorINS9_10device_ptrIxEEEEPS5_m9comp_mod3IxEEE10hipError_tT0_T1_T2_jT3_P12ihipStream_tbPNSt15iterator_traitsISJ_E10value_typeEPNSP_ISK_E10value_typeEPSL_NS1_7vsmem_tEENKUlT_SJ_SK_SL_E_clIPxSE_SF_SF_EESI_SY_SJ_SK_SL_EUlSY_E_NS1_11comp_targetILNS1_3genE8ELNS1_11target_archE1030ELNS1_3gpuE2ELNS1_3repE0EEENS1_48merge_mergepath_partition_config_static_selectorELNS0_4arch9wavefront6targetE0EEEvSK_,comdat
	.protected	_ZN7rocprim17ROCPRIM_400000_NS6detail17trampoline_kernelINS0_14default_configENS1_38merge_sort_block_merge_config_selectorIxNS0_10empty_typeEEEZZNS1_27merge_sort_block_merge_implIS3_N6thrust23THRUST_200600_302600_NS6detail15normal_iteratorINS9_10device_ptrIxEEEEPS5_m9comp_mod3IxEEE10hipError_tT0_T1_T2_jT3_P12ihipStream_tbPNSt15iterator_traitsISJ_E10value_typeEPNSP_ISK_E10value_typeEPSL_NS1_7vsmem_tEENKUlT_SJ_SK_SL_E_clIPxSE_SF_SF_EESI_SY_SJ_SK_SL_EUlSY_E_NS1_11comp_targetILNS1_3genE8ELNS1_11target_archE1030ELNS1_3gpuE2ELNS1_3repE0EEENS1_48merge_mergepath_partition_config_static_selectorELNS0_4arch9wavefront6targetE0EEEvSK_ ; -- Begin function _ZN7rocprim17ROCPRIM_400000_NS6detail17trampoline_kernelINS0_14default_configENS1_38merge_sort_block_merge_config_selectorIxNS0_10empty_typeEEEZZNS1_27merge_sort_block_merge_implIS3_N6thrust23THRUST_200600_302600_NS6detail15normal_iteratorINS9_10device_ptrIxEEEEPS5_m9comp_mod3IxEEE10hipError_tT0_T1_T2_jT3_P12ihipStream_tbPNSt15iterator_traitsISJ_E10value_typeEPNSP_ISK_E10value_typeEPSL_NS1_7vsmem_tEENKUlT_SJ_SK_SL_E_clIPxSE_SF_SF_EESI_SY_SJ_SK_SL_EUlSY_E_NS1_11comp_targetILNS1_3genE8ELNS1_11target_archE1030ELNS1_3gpuE2ELNS1_3repE0EEENS1_48merge_mergepath_partition_config_static_selectorELNS0_4arch9wavefront6targetE0EEEvSK_
	.globl	_ZN7rocprim17ROCPRIM_400000_NS6detail17trampoline_kernelINS0_14default_configENS1_38merge_sort_block_merge_config_selectorIxNS0_10empty_typeEEEZZNS1_27merge_sort_block_merge_implIS3_N6thrust23THRUST_200600_302600_NS6detail15normal_iteratorINS9_10device_ptrIxEEEEPS5_m9comp_mod3IxEEE10hipError_tT0_T1_T2_jT3_P12ihipStream_tbPNSt15iterator_traitsISJ_E10value_typeEPNSP_ISK_E10value_typeEPSL_NS1_7vsmem_tEENKUlT_SJ_SK_SL_E_clIPxSE_SF_SF_EESI_SY_SJ_SK_SL_EUlSY_E_NS1_11comp_targetILNS1_3genE8ELNS1_11target_archE1030ELNS1_3gpuE2ELNS1_3repE0EEENS1_48merge_mergepath_partition_config_static_selectorELNS0_4arch9wavefront6targetE0EEEvSK_
	.p2align	8
	.type	_ZN7rocprim17ROCPRIM_400000_NS6detail17trampoline_kernelINS0_14default_configENS1_38merge_sort_block_merge_config_selectorIxNS0_10empty_typeEEEZZNS1_27merge_sort_block_merge_implIS3_N6thrust23THRUST_200600_302600_NS6detail15normal_iteratorINS9_10device_ptrIxEEEEPS5_m9comp_mod3IxEEE10hipError_tT0_T1_T2_jT3_P12ihipStream_tbPNSt15iterator_traitsISJ_E10value_typeEPNSP_ISK_E10value_typeEPSL_NS1_7vsmem_tEENKUlT_SJ_SK_SL_E_clIPxSE_SF_SF_EESI_SY_SJ_SK_SL_EUlSY_E_NS1_11comp_targetILNS1_3genE8ELNS1_11target_archE1030ELNS1_3gpuE2ELNS1_3repE0EEENS1_48merge_mergepath_partition_config_static_selectorELNS0_4arch9wavefront6targetE0EEEvSK_,@function
_ZN7rocprim17ROCPRIM_400000_NS6detail17trampoline_kernelINS0_14default_configENS1_38merge_sort_block_merge_config_selectorIxNS0_10empty_typeEEEZZNS1_27merge_sort_block_merge_implIS3_N6thrust23THRUST_200600_302600_NS6detail15normal_iteratorINS9_10device_ptrIxEEEEPS5_m9comp_mod3IxEEE10hipError_tT0_T1_T2_jT3_P12ihipStream_tbPNSt15iterator_traitsISJ_E10value_typeEPNSP_ISK_E10value_typeEPSL_NS1_7vsmem_tEENKUlT_SJ_SK_SL_E_clIPxSE_SF_SF_EESI_SY_SJ_SK_SL_EUlSY_E_NS1_11comp_targetILNS1_3genE8ELNS1_11target_archE1030ELNS1_3gpuE2ELNS1_3repE0EEENS1_48merge_mergepath_partition_config_static_selectorELNS0_4arch9wavefront6targetE0EEEvSK_: ; @_ZN7rocprim17ROCPRIM_400000_NS6detail17trampoline_kernelINS0_14default_configENS1_38merge_sort_block_merge_config_selectorIxNS0_10empty_typeEEEZZNS1_27merge_sort_block_merge_implIS3_N6thrust23THRUST_200600_302600_NS6detail15normal_iteratorINS9_10device_ptrIxEEEEPS5_m9comp_mod3IxEEE10hipError_tT0_T1_T2_jT3_P12ihipStream_tbPNSt15iterator_traitsISJ_E10value_typeEPNSP_ISK_E10value_typeEPSL_NS1_7vsmem_tEENKUlT_SJ_SK_SL_E_clIPxSE_SF_SF_EESI_SY_SJ_SK_SL_EUlSY_E_NS1_11comp_targetILNS1_3genE8ELNS1_11target_archE1030ELNS1_3gpuE2ELNS1_3repE0EEENS1_48merge_mergepath_partition_config_static_selectorELNS0_4arch9wavefront6targetE0EEEvSK_
; %bb.0:
	s_load_dword s0, s[4:5], 0x0
	v_lshl_or_b32 v0, s6, 7, v0
	s_waitcnt lgkmcnt(0)
	v_cmp_gt_u32_e32 vcc_lo, s0, v0
	s_and_saveexec_b32 s0, vcc_lo
	s_cbranch_execz .LBB938_6
; %bb.1:
	s_load_dwordx8 s[8:15], s[4:5], 0x8
	v_mov_b32_e32 v1, 0
	s_load_dwordx2 s[2:3], s[4:5], 0x28
	s_mov_b32 s4, 0
	v_mov_b32_e32 v3, v1
	v_mov_b32_e32 v8, v1
	s_waitcnt lgkmcnt(0)
	s_lshr_b64 s[0:1], s[8:9], 9
	s_and_b32 s0, s0, -2
	s_sub_i32 s1, 0, s0
	v_and_b32_e32 v2, s1, v0
	s_add_i32 s1, s0, -1
	v_and_b32_e32 v7, s1, v0
	s_mov_b32 s1, exec_lo
	v_lshlrev_b64 v[2:3], 10, v[2:3]
	v_add_co_u32 v4, vcc_lo, v2, s8
	v_add_co_ci_u32_e64 v5, null, s9, v3, vcc_lo
	v_cmp_lt_u64_e32 vcc_lo, s[10:11], v[4:5]
	v_cndmask_b32_e64 v9, v4, s10, vcc_lo
	v_cndmask_b32_e64 v10, v5, s11, vcc_lo
	v_add_co_u32 v5, vcc_lo, v9, s8
	v_add_co_ci_u32_e64 v6, null, s9, v10, vcc_lo
	v_cmp_lt_u64_e32 vcc_lo, s[10:11], v[2:3]
	v_cmp_lt_u64_e64 s0, s[10:11], v[5:6]
	v_cndmask_b32_e64 v4, v3, s11, vcc_lo
	v_cndmask_b32_e64 v3, v2, s10, vcc_lo
	v_cndmask_b32_e64 v13, v5, s10, s0
	v_cndmask_b32_e64 v2, v6, s11, s0
	v_lshlrev_b64 v[5:6], 10, v[7:8]
	v_sub_co_u32 v7, vcc_lo, v13, v3
	v_sub_co_ci_u32_e64 v8, null, v2, v4, vcc_lo
	v_cmp_lt_u64_e32 vcc_lo, v[7:8], v[5:6]
	v_cndmask_b32_e32 v12, v6, v8, vcc_lo
	v_cndmask_b32_e32 v11, v5, v7, vcc_lo
	v_sub_co_u32 v5, vcc_lo, v9, v13
	v_sub_co_ci_u32_e64 v2, null, v10, v2, vcc_lo
	v_add_co_u32 v5, vcc_lo, v11, v5
	v_add_co_ci_u32_e64 v6, null, v12, v2, vcc_lo
	v_sub_co_u32 v7, vcc_lo, v9, v3
	v_sub_co_ci_u32_e64 v8, null, v10, v4, vcc_lo
	v_cmp_gt_u64_e32 vcc_lo, v[5:6], v[11:12]
	v_cmp_lt_u64_e64 s0, v[11:12], v[7:8]
	v_cndmask_b32_e64 v6, v6, 0, vcc_lo
	v_cndmask_b32_e64 v5, v5, 0, vcc_lo
	v_cndmask_b32_e64 v8, v8, v12, s0
	v_cndmask_b32_e64 v7, v7, v11, s0
	v_cmpx_lt_u64_e64 v[5:6], v[7:8]
	s_cbranch_execz .LBB938_5
; %bb.2:
	v_lshlrev_b64 v[9:10], 3, v[9:10]
	v_lshlrev_b64 v[13:14], 3, v[3:4]
	;; [unrolled: 1-line block ×3, first 2 shown]
	v_add_co_u32 v2, vcc_lo, s12, v9
	v_add_co_ci_u32_e64 v15, null, s13, v10, vcc_lo
	v_add_co_u32 v9, vcc_lo, s12, v13
	v_add_co_ci_u32_e64 v10, null, s13, v14, vcc_lo
	;; [unrolled: 2-line block ×3, first 2 shown]
.LBB938_3:                              ; =>This Inner Loop Header: Depth=1
	v_add_co_u32 v13, vcc_lo, v7, v5
	v_add_co_ci_u32_e64 v14, null, v8, v6, vcc_lo
	v_lshrrev_b64 v[13:14], 1, v[13:14]
	v_lshlrev_b64 v[15:16], 3, v[13:14]
	v_xor_b32_e32 v2, -8, v15
	v_xor_b32_e32 v18, -1, v16
	v_add_co_u32 v17, vcc_lo, v11, v2
	v_add_co_ci_u32_e64 v18, null, v12, v18, vcc_lo
	v_add_co_u32 v15, vcc_lo, v9, v15
	v_add_co_ci_u32_e64 v16, null, v10, v16, vcc_lo
	global_load_dword v2, v[17:18], off
	s_waitcnt vmcnt(0)
	v_ashrrev_i64 v[17:18], 29, v[1:2]
	global_load_dword v2, v[15:16], off
	v_add_co_u32 v15, vcc_lo, s14, v17
	v_add_co_ci_u32_e64 v16, null, s15, v18, vcc_lo
	s_waitcnt vmcnt(0)
	v_ashrrev_i64 v[17:18], 29, v[1:2]
	v_add_co_u32 v17, vcc_lo, s14, v17
	v_add_co_ci_u32_e64 v18, null, s15, v18, vcc_lo
	s_clause 0x1
	global_load_dwordx2 v[15:16], v[15:16], off
	global_load_dwordx2 v[17:18], v[17:18], off
	v_add_co_u32 v2, vcc_lo, v13, 1
	s_waitcnt vmcnt(0)
	v_cmp_lt_i64_e64 s0, v[15:16], v[17:18]
	v_add_co_ci_u32_e64 v15, null, 0, v14, vcc_lo
	v_cndmask_b32_e64 v8, v8, v14, s0
	v_cndmask_b32_e64 v7, v7, v13, s0
	;; [unrolled: 1-line block ×4, first 2 shown]
	v_cmp_ge_u64_e32 vcc_lo, v[5:6], v[7:8]
	s_or_b32 s4, vcc_lo, s4
	s_andn2_b32 exec_lo, exec_lo, s4
	s_cbranch_execnz .LBB938_3
; %bb.4:
	s_or_b32 exec_lo, exec_lo, s4
.LBB938_5:
	s_or_b32 exec_lo, exec_lo, s1
	v_mov_b32_e32 v1, 0
	v_add_co_u32 v2, vcc_lo, v5, v3
	v_add_co_ci_u32_e64 v3, null, v6, v4, vcc_lo
	v_lshlrev_b64 v[0:1], 3, v[0:1]
	v_add_co_u32 v0, vcc_lo, s2, v0
	v_add_co_ci_u32_e64 v1, null, s3, v1, vcc_lo
	global_store_dwordx2 v[0:1], v[2:3], off
.LBB938_6:
	s_endpgm
	.section	.rodata,"a",@progbits
	.p2align	6, 0x0
	.amdhsa_kernel _ZN7rocprim17ROCPRIM_400000_NS6detail17trampoline_kernelINS0_14default_configENS1_38merge_sort_block_merge_config_selectorIxNS0_10empty_typeEEEZZNS1_27merge_sort_block_merge_implIS3_N6thrust23THRUST_200600_302600_NS6detail15normal_iteratorINS9_10device_ptrIxEEEEPS5_m9comp_mod3IxEEE10hipError_tT0_T1_T2_jT3_P12ihipStream_tbPNSt15iterator_traitsISJ_E10value_typeEPNSP_ISK_E10value_typeEPSL_NS1_7vsmem_tEENKUlT_SJ_SK_SL_E_clIPxSE_SF_SF_EESI_SY_SJ_SK_SL_EUlSY_E_NS1_11comp_targetILNS1_3genE8ELNS1_11target_archE1030ELNS1_3gpuE2ELNS1_3repE0EEENS1_48merge_mergepath_partition_config_static_selectorELNS0_4arch9wavefront6targetE0EEEvSK_
		.amdhsa_group_segment_fixed_size 0
		.amdhsa_private_segment_fixed_size 0
		.amdhsa_kernarg_size 48
		.amdhsa_user_sgpr_count 6
		.amdhsa_user_sgpr_private_segment_buffer 1
		.amdhsa_user_sgpr_dispatch_ptr 0
		.amdhsa_user_sgpr_queue_ptr 0
		.amdhsa_user_sgpr_kernarg_segment_ptr 1
		.amdhsa_user_sgpr_dispatch_id 0
		.amdhsa_user_sgpr_flat_scratch_init 0
		.amdhsa_user_sgpr_private_segment_size 0
		.amdhsa_wavefront_size32 1
		.amdhsa_uses_dynamic_stack 0
		.amdhsa_system_sgpr_private_segment_wavefront_offset 0
		.amdhsa_system_sgpr_workgroup_id_x 1
		.amdhsa_system_sgpr_workgroup_id_y 0
		.amdhsa_system_sgpr_workgroup_id_z 0
		.amdhsa_system_sgpr_workgroup_info 0
		.amdhsa_system_vgpr_workitem_id 0
		.amdhsa_next_free_vgpr 19
		.amdhsa_next_free_sgpr 16
		.amdhsa_reserve_vcc 1
		.amdhsa_reserve_flat_scratch 0
		.amdhsa_float_round_mode_32 0
		.amdhsa_float_round_mode_16_64 0
		.amdhsa_float_denorm_mode_32 3
		.amdhsa_float_denorm_mode_16_64 3
		.amdhsa_dx10_clamp 1
		.amdhsa_ieee_mode 1
		.amdhsa_fp16_overflow 0
		.amdhsa_workgroup_processor_mode 1
		.amdhsa_memory_ordered 1
		.amdhsa_forward_progress 1
		.amdhsa_shared_vgpr_count 0
		.amdhsa_exception_fp_ieee_invalid_op 0
		.amdhsa_exception_fp_denorm_src 0
		.amdhsa_exception_fp_ieee_div_zero 0
		.amdhsa_exception_fp_ieee_overflow 0
		.amdhsa_exception_fp_ieee_underflow 0
		.amdhsa_exception_fp_ieee_inexact 0
		.amdhsa_exception_int_div_zero 0
	.end_amdhsa_kernel
	.section	.text._ZN7rocprim17ROCPRIM_400000_NS6detail17trampoline_kernelINS0_14default_configENS1_38merge_sort_block_merge_config_selectorIxNS0_10empty_typeEEEZZNS1_27merge_sort_block_merge_implIS3_N6thrust23THRUST_200600_302600_NS6detail15normal_iteratorINS9_10device_ptrIxEEEEPS5_m9comp_mod3IxEEE10hipError_tT0_T1_T2_jT3_P12ihipStream_tbPNSt15iterator_traitsISJ_E10value_typeEPNSP_ISK_E10value_typeEPSL_NS1_7vsmem_tEENKUlT_SJ_SK_SL_E_clIPxSE_SF_SF_EESI_SY_SJ_SK_SL_EUlSY_E_NS1_11comp_targetILNS1_3genE8ELNS1_11target_archE1030ELNS1_3gpuE2ELNS1_3repE0EEENS1_48merge_mergepath_partition_config_static_selectorELNS0_4arch9wavefront6targetE0EEEvSK_,"axG",@progbits,_ZN7rocprim17ROCPRIM_400000_NS6detail17trampoline_kernelINS0_14default_configENS1_38merge_sort_block_merge_config_selectorIxNS0_10empty_typeEEEZZNS1_27merge_sort_block_merge_implIS3_N6thrust23THRUST_200600_302600_NS6detail15normal_iteratorINS9_10device_ptrIxEEEEPS5_m9comp_mod3IxEEE10hipError_tT0_T1_T2_jT3_P12ihipStream_tbPNSt15iterator_traitsISJ_E10value_typeEPNSP_ISK_E10value_typeEPSL_NS1_7vsmem_tEENKUlT_SJ_SK_SL_E_clIPxSE_SF_SF_EESI_SY_SJ_SK_SL_EUlSY_E_NS1_11comp_targetILNS1_3genE8ELNS1_11target_archE1030ELNS1_3gpuE2ELNS1_3repE0EEENS1_48merge_mergepath_partition_config_static_selectorELNS0_4arch9wavefront6targetE0EEEvSK_,comdat
.Lfunc_end938:
	.size	_ZN7rocprim17ROCPRIM_400000_NS6detail17trampoline_kernelINS0_14default_configENS1_38merge_sort_block_merge_config_selectorIxNS0_10empty_typeEEEZZNS1_27merge_sort_block_merge_implIS3_N6thrust23THRUST_200600_302600_NS6detail15normal_iteratorINS9_10device_ptrIxEEEEPS5_m9comp_mod3IxEEE10hipError_tT0_T1_T2_jT3_P12ihipStream_tbPNSt15iterator_traitsISJ_E10value_typeEPNSP_ISK_E10value_typeEPSL_NS1_7vsmem_tEENKUlT_SJ_SK_SL_E_clIPxSE_SF_SF_EESI_SY_SJ_SK_SL_EUlSY_E_NS1_11comp_targetILNS1_3genE8ELNS1_11target_archE1030ELNS1_3gpuE2ELNS1_3repE0EEENS1_48merge_mergepath_partition_config_static_selectorELNS0_4arch9wavefront6targetE0EEEvSK_, .Lfunc_end938-_ZN7rocprim17ROCPRIM_400000_NS6detail17trampoline_kernelINS0_14default_configENS1_38merge_sort_block_merge_config_selectorIxNS0_10empty_typeEEEZZNS1_27merge_sort_block_merge_implIS3_N6thrust23THRUST_200600_302600_NS6detail15normal_iteratorINS9_10device_ptrIxEEEEPS5_m9comp_mod3IxEEE10hipError_tT0_T1_T2_jT3_P12ihipStream_tbPNSt15iterator_traitsISJ_E10value_typeEPNSP_ISK_E10value_typeEPSL_NS1_7vsmem_tEENKUlT_SJ_SK_SL_E_clIPxSE_SF_SF_EESI_SY_SJ_SK_SL_EUlSY_E_NS1_11comp_targetILNS1_3genE8ELNS1_11target_archE1030ELNS1_3gpuE2ELNS1_3repE0EEENS1_48merge_mergepath_partition_config_static_selectorELNS0_4arch9wavefront6targetE0EEEvSK_
                                        ; -- End function
	.set _ZN7rocprim17ROCPRIM_400000_NS6detail17trampoline_kernelINS0_14default_configENS1_38merge_sort_block_merge_config_selectorIxNS0_10empty_typeEEEZZNS1_27merge_sort_block_merge_implIS3_N6thrust23THRUST_200600_302600_NS6detail15normal_iteratorINS9_10device_ptrIxEEEEPS5_m9comp_mod3IxEEE10hipError_tT0_T1_T2_jT3_P12ihipStream_tbPNSt15iterator_traitsISJ_E10value_typeEPNSP_ISK_E10value_typeEPSL_NS1_7vsmem_tEENKUlT_SJ_SK_SL_E_clIPxSE_SF_SF_EESI_SY_SJ_SK_SL_EUlSY_E_NS1_11comp_targetILNS1_3genE8ELNS1_11target_archE1030ELNS1_3gpuE2ELNS1_3repE0EEENS1_48merge_mergepath_partition_config_static_selectorELNS0_4arch9wavefront6targetE0EEEvSK_.num_vgpr, 19
	.set _ZN7rocprim17ROCPRIM_400000_NS6detail17trampoline_kernelINS0_14default_configENS1_38merge_sort_block_merge_config_selectorIxNS0_10empty_typeEEEZZNS1_27merge_sort_block_merge_implIS3_N6thrust23THRUST_200600_302600_NS6detail15normal_iteratorINS9_10device_ptrIxEEEEPS5_m9comp_mod3IxEEE10hipError_tT0_T1_T2_jT3_P12ihipStream_tbPNSt15iterator_traitsISJ_E10value_typeEPNSP_ISK_E10value_typeEPSL_NS1_7vsmem_tEENKUlT_SJ_SK_SL_E_clIPxSE_SF_SF_EESI_SY_SJ_SK_SL_EUlSY_E_NS1_11comp_targetILNS1_3genE8ELNS1_11target_archE1030ELNS1_3gpuE2ELNS1_3repE0EEENS1_48merge_mergepath_partition_config_static_selectorELNS0_4arch9wavefront6targetE0EEEvSK_.num_agpr, 0
	.set _ZN7rocprim17ROCPRIM_400000_NS6detail17trampoline_kernelINS0_14default_configENS1_38merge_sort_block_merge_config_selectorIxNS0_10empty_typeEEEZZNS1_27merge_sort_block_merge_implIS3_N6thrust23THRUST_200600_302600_NS6detail15normal_iteratorINS9_10device_ptrIxEEEEPS5_m9comp_mod3IxEEE10hipError_tT0_T1_T2_jT3_P12ihipStream_tbPNSt15iterator_traitsISJ_E10value_typeEPNSP_ISK_E10value_typeEPSL_NS1_7vsmem_tEENKUlT_SJ_SK_SL_E_clIPxSE_SF_SF_EESI_SY_SJ_SK_SL_EUlSY_E_NS1_11comp_targetILNS1_3genE8ELNS1_11target_archE1030ELNS1_3gpuE2ELNS1_3repE0EEENS1_48merge_mergepath_partition_config_static_selectorELNS0_4arch9wavefront6targetE0EEEvSK_.numbered_sgpr, 16
	.set _ZN7rocprim17ROCPRIM_400000_NS6detail17trampoline_kernelINS0_14default_configENS1_38merge_sort_block_merge_config_selectorIxNS0_10empty_typeEEEZZNS1_27merge_sort_block_merge_implIS3_N6thrust23THRUST_200600_302600_NS6detail15normal_iteratorINS9_10device_ptrIxEEEEPS5_m9comp_mod3IxEEE10hipError_tT0_T1_T2_jT3_P12ihipStream_tbPNSt15iterator_traitsISJ_E10value_typeEPNSP_ISK_E10value_typeEPSL_NS1_7vsmem_tEENKUlT_SJ_SK_SL_E_clIPxSE_SF_SF_EESI_SY_SJ_SK_SL_EUlSY_E_NS1_11comp_targetILNS1_3genE8ELNS1_11target_archE1030ELNS1_3gpuE2ELNS1_3repE0EEENS1_48merge_mergepath_partition_config_static_selectorELNS0_4arch9wavefront6targetE0EEEvSK_.num_named_barrier, 0
	.set _ZN7rocprim17ROCPRIM_400000_NS6detail17trampoline_kernelINS0_14default_configENS1_38merge_sort_block_merge_config_selectorIxNS0_10empty_typeEEEZZNS1_27merge_sort_block_merge_implIS3_N6thrust23THRUST_200600_302600_NS6detail15normal_iteratorINS9_10device_ptrIxEEEEPS5_m9comp_mod3IxEEE10hipError_tT0_T1_T2_jT3_P12ihipStream_tbPNSt15iterator_traitsISJ_E10value_typeEPNSP_ISK_E10value_typeEPSL_NS1_7vsmem_tEENKUlT_SJ_SK_SL_E_clIPxSE_SF_SF_EESI_SY_SJ_SK_SL_EUlSY_E_NS1_11comp_targetILNS1_3genE8ELNS1_11target_archE1030ELNS1_3gpuE2ELNS1_3repE0EEENS1_48merge_mergepath_partition_config_static_selectorELNS0_4arch9wavefront6targetE0EEEvSK_.private_seg_size, 0
	.set _ZN7rocprim17ROCPRIM_400000_NS6detail17trampoline_kernelINS0_14default_configENS1_38merge_sort_block_merge_config_selectorIxNS0_10empty_typeEEEZZNS1_27merge_sort_block_merge_implIS3_N6thrust23THRUST_200600_302600_NS6detail15normal_iteratorINS9_10device_ptrIxEEEEPS5_m9comp_mod3IxEEE10hipError_tT0_T1_T2_jT3_P12ihipStream_tbPNSt15iterator_traitsISJ_E10value_typeEPNSP_ISK_E10value_typeEPSL_NS1_7vsmem_tEENKUlT_SJ_SK_SL_E_clIPxSE_SF_SF_EESI_SY_SJ_SK_SL_EUlSY_E_NS1_11comp_targetILNS1_3genE8ELNS1_11target_archE1030ELNS1_3gpuE2ELNS1_3repE0EEENS1_48merge_mergepath_partition_config_static_selectorELNS0_4arch9wavefront6targetE0EEEvSK_.uses_vcc, 1
	.set _ZN7rocprim17ROCPRIM_400000_NS6detail17trampoline_kernelINS0_14default_configENS1_38merge_sort_block_merge_config_selectorIxNS0_10empty_typeEEEZZNS1_27merge_sort_block_merge_implIS3_N6thrust23THRUST_200600_302600_NS6detail15normal_iteratorINS9_10device_ptrIxEEEEPS5_m9comp_mod3IxEEE10hipError_tT0_T1_T2_jT3_P12ihipStream_tbPNSt15iterator_traitsISJ_E10value_typeEPNSP_ISK_E10value_typeEPSL_NS1_7vsmem_tEENKUlT_SJ_SK_SL_E_clIPxSE_SF_SF_EESI_SY_SJ_SK_SL_EUlSY_E_NS1_11comp_targetILNS1_3genE8ELNS1_11target_archE1030ELNS1_3gpuE2ELNS1_3repE0EEENS1_48merge_mergepath_partition_config_static_selectorELNS0_4arch9wavefront6targetE0EEEvSK_.uses_flat_scratch, 0
	.set _ZN7rocprim17ROCPRIM_400000_NS6detail17trampoline_kernelINS0_14default_configENS1_38merge_sort_block_merge_config_selectorIxNS0_10empty_typeEEEZZNS1_27merge_sort_block_merge_implIS3_N6thrust23THRUST_200600_302600_NS6detail15normal_iteratorINS9_10device_ptrIxEEEEPS5_m9comp_mod3IxEEE10hipError_tT0_T1_T2_jT3_P12ihipStream_tbPNSt15iterator_traitsISJ_E10value_typeEPNSP_ISK_E10value_typeEPSL_NS1_7vsmem_tEENKUlT_SJ_SK_SL_E_clIPxSE_SF_SF_EESI_SY_SJ_SK_SL_EUlSY_E_NS1_11comp_targetILNS1_3genE8ELNS1_11target_archE1030ELNS1_3gpuE2ELNS1_3repE0EEENS1_48merge_mergepath_partition_config_static_selectorELNS0_4arch9wavefront6targetE0EEEvSK_.has_dyn_sized_stack, 0
	.set _ZN7rocprim17ROCPRIM_400000_NS6detail17trampoline_kernelINS0_14default_configENS1_38merge_sort_block_merge_config_selectorIxNS0_10empty_typeEEEZZNS1_27merge_sort_block_merge_implIS3_N6thrust23THRUST_200600_302600_NS6detail15normal_iteratorINS9_10device_ptrIxEEEEPS5_m9comp_mod3IxEEE10hipError_tT0_T1_T2_jT3_P12ihipStream_tbPNSt15iterator_traitsISJ_E10value_typeEPNSP_ISK_E10value_typeEPSL_NS1_7vsmem_tEENKUlT_SJ_SK_SL_E_clIPxSE_SF_SF_EESI_SY_SJ_SK_SL_EUlSY_E_NS1_11comp_targetILNS1_3genE8ELNS1_11target_archE1030ELNS1_3gpuE2ELNS1_3repE0EEENS1_48merge_mergepath_partition_config_static_selectorELNS0_4arch9wavefront6targetE0EEEvSK_.has_recursion, 0
	.set _ZN7rocprim17ROCPRIM_400000_NS6detail17trampoline_kernelINS0_14default_configENS1_38merge_sort_block_merge_config_selectorIxNS0_10empty_typeEEEZZNS1_27merge_sort_block_merge_implIS3_N6thrust23THRUST_200600_302600_NS6detail15normal_iteratorINS9_10device_ptrIxEEEEPS5_m9comp_mod3IxEEE10hipError_tT0_T1_T2_jT3_P12ihipStream_tbPNSt15iterator_traitsISJ_E10value_typeEPNSP_ISK_E10value_typeEPSL_NS1_7vsmem_tEENKUlT_SJ_SK_SL_E_clIPxSE_SF_SF_EESI_SY_SJ_SK_SL_EUlSY_E_NS1_11comp_targetILNS1_3genE8ELNS1_11target_archE1030ELNS1_3gpuE2ELNS1_3repE0EEENS1_48merge_mergepath_partition_config_static_selectorELNS0_4arch9wavefront6targetE0EEEvSK_.has_indirect_call, 0
	.section	.AMDGPU.csdata,"",@progbits
; Kernel info:
; codeLenInByte = 716
; TotalNumSgprs: 18
; NumVgprs: 19
; ScratchSize: 0
; MemoryBound: 0
; FloatMode: 240
; IeeeMode: 1
; LDSByteSize: 0 bytes/workgroup (compile time only)
; SGPRBlocks: 0
; VGPRBlocks: 2
; NumSGPRsForWavesPerEU: 18
; NumVGPRsForWavesPerEU: 19
; Occupancy: 16
; WaveLimiterHint : 1
; COMPUTE_PGM_RSRC2:SCRATCH_EN: 0
; COMPUTE_PGM_RSRC2:USER_SGPR: 6
; COMPUTE_PGM_RSRC2:TRAP_HANDLER: 0
; COMPUTE_PGM_RSRC2:TGID_X_EN: 1
; COMPUTE_PGM_RSRC2:TGID_Y_EN: 0
; COMPUTE_PGM_RSRC2:TGID_Z_EN: 0
; COMPUTE_PGM_RSRC2:TIDIG_COMP_CNT: 0
	.section	.text._ZN7rocprim17ROCPRIM_400000_NS6detail17trampoline_kernelINS0_14default_configENS1_38merge_sort_block_merge_config_selectorIxNS0_10empty_typeEEEZZNS1_27merge_sort_block_merge_implIS3_N6thrust23THRUST_200600_302600_NS6detail15normal_iteratorINS9_10device_ptrIxEEEEPS5_m9comp_mod3IxEEE10hipError_tT0_T1_T2_jT3_P12ihipStream_tbPNSt15iterator_traitsISJ_E10value_typeEPNSP_ISK_E10value_typeEPSL_NS1_7vsmem_tEENKUlT_SJ_SK_SL_E_clIPxSE_SF_SF_EESI_SY_SJ_SK_SL_EUlSY_E0_NS1_11comp_targetILNS1_3genE0ELNS1_11target_archE4294967295ELNS1_3gpuE0ELNS1_3repE0EEENS1_38merge_mergepath_config_static_selectorELNS0_4arch9wavefront6targetE0EEEvSK_,"axG",@progbits,_ZN7rocprim17ROCPRIM_400000_NS6detail17trampoline_kernelINS0_14default_configENS1_38merge_sort_block_merge_config_selectorIxNS0_10empty_typeEEEZZNS1_27merge_sort_block_merge_implIS3_N6thrust23THRUST_200600_302600_NS6detail15normal_iteratorINS9_10device_ptrIxEEEEPS5_m9comp_mod3IxEEE10hipError_tT0_T1_T2_jT3_P12ihipStream_tbPNSt15iterator_traitsISJ_E10value_typeEPNSP_ISK_E10value_typeEPSL_NS1_7vsmem_tEENKUlT_SJ_SK_SL_E_clIPxSE_SF_SF_EESI_SY_SJ_SK_SL_EUlSY_E0_NS1_11comp_targetILNS1_3genE0ELNS1_11target_archE4294967295ELNS1_3gpuE0ELNS1_3repE0EEENS1_38merge_mergepath_config_static_selectorELNS0_4arch9wavefront6targetE0EEEvSK_,comdat
	.protected	_ZN7rocprim17ROCPRIM_400000_NS6detail17trampoline_kernelINS0_14default_configENS1_38merge_sort_block_merge_config_selectorIxNS0_10empty_typeEEEZZNS1_27merge_sort_block_merge_implIS3_N6thrust23THRUST_200600_302600_NS6detail15normal_iteratorINS9_10device_ptrIxEEEEPS5_m9comp_mod3IxEEE10hipError_tT0_T1_T2_jT3_P12ihipStream_tbPNSt15iterator_traitsISJ_E10value_typeEPNSP_ISK_E10value_typeEPSL_NS1_7vsmem_tEENKUlT_SJ_SK_SL_E_clIPxSE_SF_SF_EESI_SY_SJ_SK_SL_EUlSY_E0_NS1_11comp_targetILNS1_3genE0ELNS1_11target_archE4294967295ELNS1_3gpuE0ELNS1_3repE0EEENS1_38merge_mergepath_config_static_selectorELNS0_4arch9wavefront6targetE0EEEvSK_ ; -- Begin function _ZN7rocprim17ROCPRIM_400000_NS6detail17trampoline_kernelINS0_14default_configENS1_38merge_sort_block_merge_config_selectorIxNS0_10empty_typeEEEZZNS1_27merge_sort_block_merge_implIS3_N6thrust23THRUST_200600_302600_NS6detail15normal_iteratorINS9_10device_ptrIxEEEEPS5_m9comp_mod3IxEEE10hipError_tT0_T1_T2_jT3_P12ihipStream_tbPNSt15iterator_traitsISJ_E10value_typeEPNSP_ISK_E10value_typeEPSL_NS1_7vsmem_tEENKUlT_SJ_SK_SL_E_clIPxSE_SF_SF_EESI_SY_SJ_SK_SL_EUlSY_E0_NS1_11comp_targetILNS1_3genE0ELNS1_11target_archE4294967295ELNS1_3gpuE0ELNS1_3repE0EEENS1_38merge_mergepath_config_static_selectorELNS0_4arch9wavefront6targetE0EEEvSK_
	.globl	_ZN7rocprim17ROCPRIM_400000_NS6detail17trampoline_kernelINS0_14default_configENS1_38merge_sort_block_merge_config_selectorIxNS0_10empty_typeEEEZZNS1_27merge_sort_block_merge_implIS3_N6thrust23THRUST_200600_302600_NS6detail15normal_iteratorINS9_10device_ptrIxEEEEPS5_m9comp_mod3IxEEE10hipError_tT0_T1_T2_jT3_P12ihipStream_tbPNSt15iterator_traitsISJ_E10value_typeEPNSP_ISK_E10value_typeEPSL_NS1_7vsmem_tEENKUlT_SJ_SK_SL_E_clIPxSE_SF_SF_EESI_SY_SJ_SK_SL_EUlSY_E0_NS1_11comp_targetILNS1_3genE0ELNS1_11target_archE4294967295ELNS1_3gpuE0ELNS1_3repE0EEENS1_38merge_mergepath_config_static_selectorELNS0_4arch9wavefront6targetE0EEEvSK_
	.p2align	8
	.type	_ZN7rocprim17ROCPRIM_400000_NS6detail17trampoline_kernelINS0_14default_configENS1_38merge_sort_block_merge_config_selectorIxNS0_10empty_typeEEEZZNS1_27merge_sort_block_merge_implIS3_N6thrust23THRUST_200600_302600_NS6detail15normal_iteratorINS9_10device_ptrIxEEEEPS5_m9comp_mod3IxEEE10hipError_tT0_T1_T2_jT3_P12ihipStream_tbPNSt15iterator_traitsISJ_E10value_typeEPNSP_ISK_E10value_typeEPSL_NS1_7vsmem_tEENKUlT_SJ_SK_SL_E_clIPxSE_SF_SF_EESI_SY_SJ_SK_SL_EUlSY_E0_NS1_11comp_targetILNS1_3genE0ELNS1_11target_archE4294967295ELNS1_3gpuE0ELNS1_3repE0EEENS1_38merge_mergepath_config_static_selectorELNS0_4arch9wavefront6targetE0EEEvSK_,@function
_ZN7rocprim17ROCPRIM_400000_NS6detail17trampoline_kernelINS0_14default_configENS1_38merge_sort_block_merge_config_selectorIxNS0_10empty_typeEEEZZNS1_27merge_sort_block_merge_implIS3_N6thrust23THRUST_200600_302600_NS6detail15normal_iteratorINS9_10device_ptrIxEEEEPS5_m9comp_mod3IxEEE10hipError_tT0_T1_T2_jT3_P12ihipStream_tbPNSt15iterator_traitsISJ_E10value_typeEPNSP_ISK_E10value_typeEPSL_NS1_7vsmem_tEENKUlT_SJ_SK_SL_E_clIPxSE_SF_SF_EESI_SY_SJ_SK_SL_EUlSY_E0_NS1_11comp_targetILNS1_3genE0ELNS1_11target_archE4294967295ELNS1_3gpuE0ELNS1_3repE0EEENS1_38merge_mergepath_config_static_selectorELNS0_4arch9wavefront6targetE0EEEvSK_: ; @_ZN7rocprim17ROCPRIM_400000_NS6detail17trampoline_kernelINS0_14default_configENS1_38merge_sort_block_merge_config_selectorIxNS0_10empty_typeEEEZZNS1_27merge_sort_block_merge_implIS3_N6thrust23THRUST_200600_302600_NS6detail15normal_iteratorINS9_10device_ptrIxEEEEPS5_m9comp_mod3IxEEE10hipError_tT0_T1_T2_jT3_P12ihipStream_tbPNSt15iterator_traitsISJ_E10value_typeEPNSP_ISK_E10value_typeEPSL_NS1_7vsmem_tEENKUlT_SJ_SK_SL_E_clIPxSE_SF_SF_EESI_SY_SJ_SK_SL_EUlSY_E0_NS1_11comp_targetILNS1_3genE0ELNS1_11target_archE4294967295ELNS1_3gpuE0ELNS1_3repE0EEENS1_38merge_mergepath_config_static_selectorELNS0_4arch9wavefront6targetE0EEEvSK_
; %bb.0:
	.section	.rodata,"a",@progbits
	.p2align	6, 0x0
	.amdhsa_kernel _ZN7rocprim17ROCPRIM_400000_NS6detail17trampoline_kernelINS0_14default_configENS1_38merge_sort_block_merge_config_selectorIxNS0_10empty_typeEEEZZNS1_27merge_sort_block_merge_implIS3_N6thrust23THRUST_200600_302600_NS6detail15normal_iteratorINS9_10device_ptrIxEEEEPS5_m9comp_mod3IxEEE10hipError_tT0_T1_T2_jT3_P12ihipStream_tbPNSt15iterator_traitsISJ_E10value_typeEPNSP_ISK_E10value_typeEPSL_NS1_7vsmem_tEENKUlT_SJ_SK_SL_E_clIPxSE_SF_SF_EESI_SY_SJ_SK_SL_EUlSY_E0_NS1_11comp_targetILNS1_3genE0ELNS1_11target_archE4294967295ELNS1_3gpuE0ELNS1_3repE0EEENS1_38merge_mergepath_config_static_selectorELNS0_4arch9wavefront6targetE0EEEvSK_
		.amdhsa_group_segment_fixed_size 0
		.amdhsa_private_segment_fixed_size 0
		.amdhsa_kernarg_size 80
		.amdhsa_user_sgpr_count 6
		.amdhsa_user_sgpr_private_segment_buffer 1
		.amdhsa_user_sgpr_dispatch_ptr 0
		.amdhsa_user_sgpr_queue_ptr 0
		.amdhsa_user_sgpr_kernarg_segment_ptr 1
		.amdhsa_user_sgpr_dispatch_id 0
		.amdhsa_user_sgpr_flat_scratch_init 0
		.amdhsa_user_sgpr_private_segment_size 0
		.amdhsa_wavefront_size32 1
		.amdhsa_uses_dynamic_stack 0
		.amdhsa_system_sgpr_private_segment_wavefront_offset 0
		.amdhsa_system_sgpr_workgroup_id_x 1
		.amdhsa_system_sgpr_workgroup_id_y 0
		.amdhsa_system_sgpr_workgroup_id_z 0
		.amdhsa_system_sgpr_workgroup_info 0
		.amdhsa_system_vgpr_workitem_id 0
		.amdhsa_next_free_vgpr 1
		.amdhsa_next_free_sgpr 1
		.amdhsa_reserve_vcc 0
		.amdhsa_reserve_flat_scratch 0
		.amdhsa_float_round_mode_32 0
		.amdhsa_float_round_mode_16_64 0
		.amdhsa_float_denorm_mode_32 3
		.amdhsa_float_denorm_mode_16_64 3
		.amdhsa_dx10_clamp 1
		.amdhsa_ieee_mode 1
		.amdhsa_fp16_overflow 0
		.amdhsa_workgroup_processor_mode 1
		.amdhsa_memory_ordered 1
		.amdhsa_forward_progress 1
		.amdhsa_shared_vgpr_count 0
		.amdhsa_exception_fp_ieee_invalid_op 0
		.amdhsa_exception_fp_denorm_src 0
		.amdhsa_exception_fp_ieee_div_zero 0
		.amdhsa_exception_fp_ieee_overflow 0
		.amdhsa_exception_fp_ieee_underflow 0
		.amdhsa_exception_fp_ieee_inexact 0
		.amdhsa_exception_int_div_zero 0
	.end_amdhsa_kernel
	.section	.text._ZN7rocprim17ROCPRIM_400000_NS6detail17trampoline_kernelINS0_14default_configENS1_38merge_sort_block_merge_config_selectorIxNS0_10empty_typeEEEZZNS1_27merge_sort_block_merge_implIS3_N6thrust23THRUST_200600_302600_NS6detail15normal_iteratorINS9_10device_ptrIxEEEEPS5_m9comp_mod3IxEEE10hipError_tT0_T1_T2_jT3_P12ihipStream_tbPNSt15iterator_traitsISJ_E10value_typeEPNSP_ISK_E10value_typeEPSL_NS1_7vsmem_tEENKUlT_SJ_SK_SL_E_clIPxSE_SF_SF_EESI_SY_SJ_SK_SL_EUlSY_E0_NS1_11comp_targetILNS1_3genE0ELNS1_11target_archE4294967295ELNS1_3gpuE0ELNS1_3repE0EEENS1_38merge_mergepath_config_static_selectorELNS0_4arch9wavefront6targetE0EEEvSK_,"axG",@progbits,_ZN7rocprim17ROCPRIM_400000_NS6detail17trampoline_kernelINS0_14default_configENS1_38merge_sort_block_merge_config_selectorIxNS0_10empty_typeEEEZZNS1_27merge_sort_block_merge_implIS3_N6thrust23THRUST_200600_302600_NS6detail15normal_iteratorINS9_10device_ptrIxEEEEPS5_m9comp_mod3IxEEE10hipError_tT0_T1_T2_jT3_P12ihipStream_tbPNSt15iterator_traitsISJ_E10value_typeEPNSP_ISK_E10value_typeEPSL_NS1_7vsmem_tEENKUlT_SJ_SK_SL_E_clIPxSE_SF_SF_EESI_SY_SJ_SK_SL_EUlSY_E0_NS1_11comp_targetILNS1_3genE0ELNS1_11target_archE4294967295ELNS1_3gpuE0ELNS1_3repE0EEENS1_38merge_mergepath_config_static_selectorELNS0_4arch9wavefront6targetE0EEEvSK_,comdat
.Lfunc_end939:
	.size	_ZN7rocprim17ROCPRIM_400000_NS6detail17trampoline_kernelINS0_14default_configENS1_38merge_sort_block_merge_config_selectorIxNS0_10empty_typeEEEZZNS1_27merge_sort_block_merge_implIS3_N6thrust23THRUST_200600_302600_NS6detail15normal_iteratorINS9_10device_ptrIxEEEEPS5_m9comp_mod3IxEEE10hipError_tT0_T1_T2_jT3_P12ihipStream_tbPNSt15iterator_traitsISJ_E10value_typeEPNSP_ISK_E10value_typeEPSL_NS1_7vsmem_tEENKUlT_SJ_SK_SL_E_clIPxSE_SF_SF_EESI_SY_SJ_SK_SL_EUlSY_E0_NS1_11comp_targetILNS1_3genE0ELNS1_11target_archE4294967295ELNS1_3gpuE0ELNS1_3repE0EEENS1_38merge_mergepath_config_static_selectorELNS0_4arch9wavefront6targetE0EEEvSK_, .Lfunc_end939-_ZN7rocprim17ROCPRIM_400000_NS6detail17trampoline_kernelINS0_14default_configENS1_38merge_sort_block_merge_config_selectorIxNS0_10empty_typeEEEZZNS1_27merge_sort_block_merge_implIS3_N6thrust23THRUST_200600_302600_NS6detail15normal_iteratorINS9_10device_ptrIxEEEEPS5_m9comp_mod3IxEEE10hipError_tT0_T1_T2_jT3_P12ihipStream_tbPNSt15iterator_traitsISJ_E10value_typeEPNSP_ISK_E10value_typeEPSL_NS1_7vsmem_tEENKUlT_SJ_SK_SL_E_clIPxSE_SF_SF_EESI_SY_SJ_SK_SL_EUlSY_E0_NS1_11comp_targetILNS1_3genE0ELNS1_11target_archE4294967295ELNS1_3gpuE0ELNS1_3repE0EEENS1_38merge_mergepath_config_static_selectorELNS0_4arch9wavefront6targetE0EEEvSK_
                                        ; -- End function
	.set _ZN7rocprim17ROCPRIM_400000_NS6detail17trampoline_kernelINS0_14default_configENS1_38merge_sort_block_merge_config_selectorIxNS0_10empty_typeEEEZZNS1_27merge_sort_block_merge_implIS3_N6thrust23THRUST_200600_302600_NS6detail15normal_iteratorINS9_10device_ptrIxEEEEPS5_m9comp_mod3IxEEE10hipError_tT0_T1_T2_jT3_P12ihipStream_tbPNSt15iterator_traitsISJ_E10value_typeEPNSP_ISK_E10value_typeEPSL_NS1_7vsmem_tEENKUlT_SJ_SK_SL_E_clIPxSE_SF_SF_EESI_SY_SJ_SK_SL_EUlSY_E0_NS1_11comp_targetILNS1_3genE0ELNS1_11target_archE4294967295ELNS1_3gpuE0ELNS1_3repE0EEENS1_38merge_mergepath_config_static_selectorELNS0_4arch9wavefront6targetE0EEEvSK_.num_vgpr, 0
	.set _ZN7rocprim17ROCPRIM_400000_NS6detail17trampoline_kernelINS0_14default_configENS1_38merge_sort_block_merge_config_selectorIxNS0_10empty_typeEEEZZNS1_27merge_sort_block_merge_implIS3_N6thrust23THRUST_200600_302600_NS6detail15normal_iteratorINS9_10device_ptrIxEEEEPS5_m9comp_mod3IxEEE10hipError_tT0_T1_T2_jT3_P12ihipStream_tbPNSt15iterator_traitsISJ_E10value_typeEPNSP_ISK_E10value_typeEPSL_NS1_7vsmem_tEENKUlT_SJ_SK_SL_E_clIPxSE_SF_SF_EESI_SY_SJ_SK_SL_EUlSY_E0_NS1_11comp_targetILNS1_3genE0ELNS1_11target_archE4294967295ELNS1_3gpuE0ELNS1_3repE0EEENS1_38merge_mergepath_config_static_selectorELNS0_4arch9wavefront6targetE0EEEvSK_.num_agpr, 0
	.set _ZN7rocprim17ROCPRIM_400000_NS6detail17trampoline_kernelINS0_14default_configENS1_38merge_sort_block_merge_config_selectorIxNS0_10empty_typeEEEZZNS1_27merge_sort_block_merge_implIS3_N6thrust23THRUST_200600_302600_NS6detail15normal_iteratorINS9_10device_ptrIxEEEEPS5_m9comp_mod3IxEEE10hipError_tT0_T1_T2_jT3_P12ihipStream_tbPNSt15iterator_traitsISJ_E10value_typeEPNSP_ISK_E10value_typeEPSL_NS1_7vsmem_tEENKUlT_SJ_SK_SL_E_clIPxSE_SF_SF_EESI_SY_SJ_SK_SL_EUlSY_E0_NS1_11comp_targetILNS1_3genE0ELNS1_11target_archE4294967295ELNS1_3gpuE0ELNS1_3repE0EEENS1_38merge_mergepath_config_static_selectorELNS0_4arch9wavefront6targetE0EEEvSK_.numbered_sgpr, 0
	.set _ZN7rocprim17ROCPRIM_400000_NS6detail17trampoline_kernelINS0_14default_configENS1_38merge_sort_block_merge_config_selectorIxNS0_10empty_typeEEEZZNS1_27merge_sort_block_merge_implIS3_N6thrust23THRUST_200600_302600_NS6detail15normal_iteratorINS9_10device_ptrIxEEEEPS5_m9comp_mod3IxEEE10hipError_tT0_T1_T2_jT3_P12ihipStream_tbPNSt15iterator_traitsISJ_E10value_typeEPNSP_ISK_E10value_typeEPSL_NS1_7vsmem_tEENKUlT_SJ_SK_SL_E_clIPxSE_SF_SF_EESI_SY_SJ_SK_SL_EUlSY_E0_NS1_11comp_targetILNS1_3genE0ELNS1_11target_archE4294967295ELNS1_3gpuE0ELNS1_3repE0EEENS1_38merge_mergepath_config_static_selectorELNS0_4arch9wavefront6targetE0EEEvSK_.num_named_barrier, 0
	.set _ZN7rocprim17ROCPRIM_400000_NS6detail17trampoline_kernelINS0_14default_configENS1_38merge_sort_block_merge_config_selectorIxNS0_10empty_typeEEEZZNS1_27merge_sort_block_merge_implIS3_N6thrust23THRUST_200600_302600_NS6detail15normal_iteratorINS9_10device_ptrIxEEEEPS5_m9comp_mod3IxEEE10hipError_tT0_T1_T2_jT3_P12ihipStream_tbPNSt15iterator_traitsISJ_E10value_typeEPNSP_ISK_E10value_typeEPSL_NS1_7vsmem_tEENKUlT_SJ_SK_SL_E_clIPxSE_SF_SF_EESI_SY_SJ_SK_SL_EUlSY_E0_NS1_11comp_targetILNS1_3genE0ELNS1_11target_archE4294967295ELNS1_3gpuE0ELNS1_3repE0EEENS1_38merge_mergepath_config_static_selectorELNS0_4arch9wavefront6targetE0EEEvSK_.private_seg_size, 0
	.set _ZN7rocprim17ROCPRIM_400000_NS6detail17trampoline_kernelINS0_14default_configENS1_38merge_sort_block_merge_config_selectorIxNS0_10empty_typeEEEZZNS1_27merge_sort_block_merge_implIS3_N6thrust23THRUST_200600_302600_NS6detail15normal_iteratorINS9_10device_ptrIxEEEEPS5_m9comp_mod3IxEEE10hipError_tT0_T1_T2_jT3_P12ihipStream_tbPNSt15iterator_traitsISJ_E10value_typeEPNSP_ISK_E10value_typeEPSL_NS1_7vsmem_tEENKUlT_SJ_SK_SL_E_clIPxSE_SF_SF_EESI_SY_SJ_SK_SL_EUlSY_E0_NS1_11comp_targetILNS1_3genE0ELNS1_11target_archE4294967295ELNS1_3gpuE0ELNS1_3repE0EEENS1_38merge_mergepath_config_static_selectorELNS0_4arch9wavefront6targetE0EEEvSK_.uses_vcc, 0
	.set _ZN7rocprim17ROCPRIM_400000_NS6detail17trampoline_kernelINS0_14default_configENS1_38merge_sort_block_merge_config_selectorIxNS0_10empty_typeEEEZZNS1_27merge_sort_block_merge_implIS3_N6thrust23THRUST_200600_302600_NS6detail15normal_iteratorINS9_10device_ptrIxEEEEPS5_m9comp_mod3IxEEE10hipError_tT0_T1_T2_jT3_P12ihipStream_tbPNSt15iterator_traitsISJ_E10value_typeEPNSP_ISK_E10value_typeEPSL_NS1_7vsmem_tEENKUlT_SJ_SK_SL_E_clIPxSE_SF_SF_EESI_SY_SJ_SK_SL_EUlSY_E0_NS1_11comp_targetILNS1_3genE0ELNS1_11target_archE4294967295ELNS1_3gpuE0ELNS1_3repE0EEENS1_38merge_mergepath_config_static_selectorELNS0_4arch9wavefront6targetE0EEEvSK_.uses_flat_scratch, 0
	.set _ZN7rocprim17ROCPRIM_400000_NS6detail17trampoline_kernelINS0_14default_configENS1_38merge_sort_block_merge_config_selectorIxNS0_10empty_typeEEEZZNS1_27merge_sort_block_merge_implIS3_N6thrust23THRUST_200600_302600_NS6detail15normal_iteratorINS9_10device_ptrIxEEEEPS5_m9comp_mod3IxEEE10hipError_tT0_T1_T2_jT3_P12ihipStream_tbPNSt15iterator_traitsISJ_E10value_typeEPNSP_ISK_E10value_typeEPSL_NS1_7vsmem_tEENKUlT_SJ_SK_SL_E_clIPxSE_SF_SF_EESI_SY_SJ_SK_SL_EUlSY_E0_NS1_11comp_targetILNS1_3genE0ELNS1_11target_archE4294967295ELNS1_3gpuE0ELNS1_3repE0EEENS1_38merge_mergepath_config_static_selectorELNS0_4arch9wavefront6targetE0EEEvSK_.has_dyn_sized_stack, 0
	.set _ZN7rocprim17ROCPRIM_400000_NS6detail17trampoline_kernelINS0_14default_configENS1_38merge_sort_block_merge_config_selectorIxNS0_10empty_typeEEEZZNS1_27merge_sort_block_merge_implIS3_N6thrust23THRUST_200600_302600_NS6detail15normal_iteratorINS9_10device_ptrIxEEEEPS5_m9comp_mod3IxEEE10hipError_tT0_T1_T2_jT3_P12ihipStream_tbPNSt15iterator_traitsISJ_E10value_typeEPNSP_ISK_E10value_typeEPSL_NS1_7vsmem_tEENKUlT_SJ_SK_SL_E_clIPxSE_SF_SF_EESI_SY_SJ_SK_SL_EUlSY_E0_NS1_11comp_targetILNS1_3genE0ELNS1_11target_archE4294967295ELNS1_3gpuE0ELNS1_3repE0EEENS1_38merge_mergepath_config_static_selectorELNS0_4arch9wavefront6targetE0EEEvSK_.has_recursion, 0
	.set _ZN7rocprim17ROCPRIM_400000_NS6detail17trampoline_kernelINS0_14default_configENS1_38merge_sort_block_merge_config_selectorIxNS0_10empty_typeEEEZZNS1_27merge_sort_block_merge_implIS3_N6thrust23THRUST_200600_302600_NS6detail15normal_iteratorINS9_10device_ptrIxEEEEPS5_m9comp_mod3IxEEE10hipError_tT0_T1_T2_jT3_P12ihipStream_tbPNSt15iterator_traitsISJ_E10value_typeEPNSP_ISK_E10value_typeEPSL_NS1_7vsmem_tEENKUlT_SJ_SK_SL_E_clIPxSE_SF_SF_EESI_SY_SJ_SK_SL_EUlSY_E0_NS1_11comp_targetILNS1_3genE0ELNS1_11target_archE4294967295ELNS1_3gpuE0ELNS1_3repE0EEENS1_38merge_mergepath_config_static_selectorELNS0_4arch9wavefront6targetE0EEEvSK_.has_indirect_call, 0
	.section	.AMDGPU.csdata,"",@progbits
; Kernel info:
; codeLenInByte = 0
; TotalNumSgprs: 0
; NumVgprs: 0
; ScratchSize: 0
; MemoryBound: 0
; FloatMode: 240
; IeeeMode: 1
; LDSByteSize: 0 bytes/workgroup (compile time only)
; SGPRBlocks: 0
; VGPRBlocks: 0
; NumSGPRsForWavesPerEU: 1
; NumVGPRsForWavesPerEU: 1
; Occupancy: 16
; WaveLimiterHint : 0
; COMPUTE_PGM_RSRC2:SCRATCH_EN: 0
; COMPUTE_PGM_RSRC2:USER_SGPR: 6
; COMPUTE_PGM_RSRC2:TRAP_HANDLER: 0
; COMPUTE_PGM_RSRC2:TGID_X_EN: 1
; COMPUTE_PGM_RSRC2:TGID_Y_EN: 0
; COMPUTE_PGM_RSRC2:TGID_Z_EN: 0
; COMPUTE_PGM_RSRC2:TIDIG_COMP_CNT: 0
	.section	.text._ZN7rocprim17ROCPRIM_400000_NS6detail17trampoline_kernelINS0_14default_configENS1_38merge_sort_block_merge_config_selectorIxNS0_10empty_typeEEEZZNS1_27merge_sort_block_merge_implIS3_N6thrust23THRUST_200600_302600_NS6detail15normal_iteratorINS9_10device_ptrIxEEEEPS5_m9comp_mod3IxEEE10hipError_tT0_T1_T2_jT3_P12ihipStream_tbPNSt15iterator_traitsISJ_E10value_typeEPNSP_ISK_E10value_typeEPSL_NS1_7vsmem_tEENKUlT_SJ_SK_SL_E_clIPxSE_SF_SF_EESI_SY_SJ_SK_SL_EUlSY_E0_NS1_11comp_targetILNS1_3genE10ELNS1_11target_archE1201ELNS1_3gpuE5ELNS1_3repE0EEENS1_38merge_mergepath_config_static_selectorELNS0_4arch9wavefront6targetE0EEEvSK_,"axG",@progbits,_ZN7rocprim17ROCPRIM_400000_NS6detail17trampoline_kernelINS0_14default_configENS1_38merge_sort_block_merge_config_selectorIxNS0_10empty_typeEEEZZNS1_27merge_sort_block_merge_implIS3_N6thrust23THRUST_200600_302600_NS6detail15normal_iteratorINS9_10device_ptrIxEEEEPS5_m9comp_mod3IxEEE10hipError_tT0_T1_T2_jT3_P12ihipStream_tbPNSt15iterator_traitsISJ_E10value_typeEPNSP_ISK_E10value_typeEPSL_NS1_7vsmem_tEENKUlT_SJ_SK_SL_E_clIPxSE_SF_SF_EESI_SY_SJ_SK_SL_EUlSY_E0_NS1_11comp_targetILNS1_3genE10ELNS1_11target_archE1201ELNS1_3gpuE5ELNS1_3repE0EEENS1_38merge_mergepath_config_static_selectorELNS0_4arch9wavefront6targetE0EEEvSK_,comdat
	.protected	_ZN7rocprim17ROCPRIM_400000_NS6detail17trampoline_kernelINS0_14default_configENS1_38merge_sort_block_merge_config_selectorIxNS0_10empty_typeEEEZZNS1_27merge_sort_block_merge_implIS3_N6thrust23THRUST_200600_302600_NS6detail15normal_iteratorINS9_10device_ptrIxEEEEPS5_m9comp_mod3IxEEE10hipError_tT0_T1_T2_jT3_P12ihipStream_tbPNSt15iterator_traitsISJ_E10value_typeEPNSP_ISK_E10value_typeEPSL_NS1_7vsmem_tEENKUlT_SJ_SK_SL_E_clIPxSE_SF_SF_EESI_SY_SJ_SK_SL_EUlSY_E0_NS1_11comp_targetILNS1_3genE10ELNS1_11target_archE1201ELNS1_3gpuE5ELNS1_3repE0EEENS1_38merge_mergepath_config_static_selectorELNS0_4arch9wavefront6targetE0EEEvSK_ ; -- Begin function _ZN7rocprim17ROCPRIM_400000_NS6detail17trampoline_kernelINS0_14default_configENS1_38merge_sort_block_merge_config_selectorIxNS0_10empty_typeEEEZZNS1_27merge_sort_block_merge_implIS3_N6thrust23THRUST_200600_302600_NS6detail15normal_iteratorINS9_10device_ptrIxEEEEPS5_m9comp_mod3IxEEE10hipError_tT0_T1_T2_jT3_P12ihipStream_tbPNSt15iterator_traitsISJ_E10value_typeEPNSP_ISK_E10value_typeEPSL_NS1_7vsmem_tEENKUlT_SJ_SK_SL_E_clIPxSE_SF_SF_EESI_SY_SJ_SK_SL_EUlSY_E0_NS1_11comp_targetILNS1_3genE10ELNS1_11target_archE1201ELNS1_3gpuE5ELNS1_3repE0EEENS1_38merge_mergepath_config_static_selectorELNS0_4arch9wavefront6targetE0EEEvSK_
	.globl	_ZN7rocprim17ROCPRIM_400000_NS6detail17trampoline_kernelINS0_14default_configENS1_38merge_sort_block_merge_config_selectorIxNS0_10empty_typeEEEZZNS1_27merge_sort_block_merge_implIS3_N6thrust23THRUST_200600_302600_NS6detail15normal_iteratorINS9_10device_ptrIxEEEEPS5_m9comp_mod3IxEEE10hipError_tT0_T1_T2_jT3_P12ihipStream_tbPNSt15iterator_traitsISJ_E10value_typeEPNSP_ISK_E10value_typeEPSL_NS1_7vsmem_tEENKUlT_SJ_SK_SL_E_clIPxSE_SF_SF_EESI_SY_SJ_SK_SL_EUlSY_E0_NS1_11comp_targetILNS1_3genE10ELNS1_11target_archE1201ELNS1_3gpuE5ELNS1_3repE0EEENS1_38merge_mergepath_config_static_selectorELNS0_4arch9wavefront6targetE0EEEvSK_
	.p2align	8
	.type	_ZN7rocprim17ROCPRIM_400000_NS6detail17trampoline_kernelINS0_14default_configENS1_38merge_sort_block_merge_config_selectorIxNS0_10empty_typeEEEZZNS1_27merge_sort_block_merge_implIS3_N6thrust23THRUST_200600_302600_NS6detail15normal_iteratorINS9_10device_ptrIxEEEEPS5_m9comp_mod3IxEEE10hipError_tT0_T1_T2_jT3_P12ihipStream_tbPNSt15iterator_traitsISJ_E10value_typeEPNSP_ISK_E10value_typeEPSL_NS1_7vsmem_tEENKUlT_SJ_SK_SL_E_clIPxSE_SF_SF_EESI_SY_SJ_SK_SL_EUlSY_E0_NS1_11comp_targetILNS1_3genE10ELNS1_11target_archE1201ELNS1_3gpuE5ELNS1_3repE0EEENS1_38merge_mergepath_config_static_selectorELNS0_4arch9wavefront6targetE0EEEvSK_,@function
_ZN7rocprim17ROCPRIM_400000_NS6detail17trampoline_kernelINS0_14default_configENS1_38merge_sort_block_merge_config_selectorIxNS0_10empty_typeEEEZZNS1_27merge_sort_block_merge_implIS3_N6thrust23THRUST_200600_302600_NS6detail15normal_iteratorINS9_10device_ptrIxEEEEPS5_m9comp_mod3IxEEE10hipError_tT0_T1_T2_jT3_P12ihipStream_tbPNSt15iterator_traitsISJ_E10value_typeEPNSP_ISK_E10value_typeEPSL_NS1_7vsmem_tEENKUlT_SJ_SK_SL_E_clIPxSE_SF_SF_EESI_SY_SJ_SK_SL_EUlSY_E0_NS1_11comp_targetILNS1_3genE10ELNS1_11target_archE1201ELNS1_3gpuE5ELNS1_3repE0EEENS1_38merge_mergepath_config_static_selectorELNS0_4arch9wavefront6targetE0EEEvSK_: ; @_ZN7rocprim17ROCPRIM_400000_NS6detail17trampoline_kernelINS0_14default_configENS1_38merge_sort_block_merge_config_selectorIxNS0_10empty_typeEEEZZNS1_27merge_sort_block_merge_implIS3_N6thrust23THRUST_200600_302600_NS6detail15normal_iteratorINS9_10device_ptrIxEEEEPS5_m9comp_mod3IxEEE10hipError_tT0_T1_T2_jT3_P12ihipStream_tbPNSt15iterator_traitsISJ_E10value_typeEPNSP_ISK_E10value_typeEPSL_NS1_7vsmem_tEENKUlT_SJ_SK_SL_E_clIPxSE_SF_SF_EESI_SY_SJ_SK_SL_EUlSY_E0_NS1_11comp_targetILNS1_3genE10ELNS1_11target_archE1201ELNS1_3gpuE5ELNS1_3repE0EEENS1_38merge_mergepath_config_static_selectorELNS0_4arch9wavefront6targetE0EEEvSK_
; %bb.0:
	.section	.rodata,"a",@progbits
	.p2align	6, 0x0
	.amdhsa_kernel _ZN7rocprim17ROCPRIM_400000_NS6detail17trampoline_kernelINS0_14default_configENS1_38merge_sort_block_merge_config_selectorIxNS0_10empty_typeEEEZZNS1_27merge_sort_block_merge_implIS3_N6thrust23THRUST_200600_302600_NS6detail15normal_iteratorINS9_10device_ptrIxEEEEPS5_m9comp_mod3IxEEE10hipError_tT0_T1_T2_jT3_P12ihipStream_tbPNSt15iterator_traitsISJ_E10value_typeEPNSP_ISK_E10value_typeEPSL_NS1_7vsmem_tEENKUlT_SJ_SK_SL_E_clIPxSE_SF_SF_EESI_SY_SJ_SK_SL_EUlSY_E0_NS1_11comp_targetILNS1_3genE10ELNS1_11target_archE1201ELNS1_3gpuE5ELNS1_3repE0EEENS1_38merge_mergepath_config_static_selectorELNS0_4arch9wavefront6targetE0EEEvSK_
		.amdhsa_group_segment_fixed_size 0
		.amdhsa_private_segment_fixed_size 0
		.amdhsa_kernarg_size 80
		.amdhsa_user_sgpr_count 6
		.amdhsa_user_sgpr_private_segment_buffer 1
		.amdhsa_user_sgpr_dispatch_ptr 0
		.amdhsa_user_sgpr_queue_ptr 0
		.amdhsa_user_sgpr_kernarg_segment_ptr 1
		.amdhsa_user_sgpr_dispatch_id 0
		.amdhsa_user_sgpr_flat_scratch_init 0
		.amdhsa_user_sgpr_private_segment_size 0
		.amdhsa_wavefront_size32 1
		.amdhsa_uses_dynamic_stack 0
		.amdhsa_system_sgpr_private_segment_wavefront_offset 0
		.amdhsa_system_sgpr_workgroup_id_x 1
		.amdhsa_system_sgpr_workgroup_id_y 0
		.amdhsa_system_sgpr_workgroup_id_z 0
		.amdhsa_system_sgpr_workgroup_info 0
		.amdhsa_system_vgpr_workitem_id 0
		.amdhsa_next_free_vgpr 1
		.amdhsa_next_free_sgpr 1
		.amdhsa_reserve_vcc 0
		.amdhsa_reserve_flat_scratch 0
		.amdhsa_float_round_mode_32 0
		.amdhsa_float_round_mode_16_64 0
		.amdhsa_float_denorm_mode_32 3
		.amdhsa_float_denorm_mode_16_64 3
		.amdhsa_dx10_clamp 1
		.amdhsa_ieee_mode 1
		.amdhsa_fp16_overflow 0
		.amdhsa_workgroup_processor_mode 1
		.amdhsa_memory_ordered 1
		.amdhsa_forward_progress 1
		.amdhsa_shared_vgpr_count 0
		.amdhsa_exception_fp_ieee_invalid_op 0
		.amdhsa_exception_fp_denorm_src 0
		.amdhsa_exception_fp_ieee_div_zero 0
		.amdhsa_exception_fp_ieee_overflow 0
		.amdhsa_exception_fp_ieee_underflow 0
		.amdhsa_exception_fp_ieee_inexact 0
		.amdhsa_exception_int_div_zero 0
	.end_amdhsa_kernel
	.section	.text._ZN7rocprim17ROCPRIM_400000_NS6detail17trampoline_kernelINS0_14default_configENS1_38merge_sort_block_merge_config_selectorIxNS0_10empty_typeEEEZZNS1_27merge_sort_block_merge_implIS3_N6thrust23THRUST_200600_302600_NS6detail15normal_iteratorINS9_10device_ptrIxEEEEPS5_m9comp_mod3IxEEE10hipError_tT0_T1_T2_jT3_P12ihipStream_tbPNSt15iterator_traitsISJ_E10value_typeEPNSP_ISK_E10value_typeEPSL_NS1_7vsmem_tEENKUlT_SJ_SK_SL_E_clIPxSE_SF_SF_EESI_SY_SJ_SK_SL_EUlSY_E0_NS1_11comp_targetILNS1_3genE10ELNS1_11target_archE1201ELNS1_3gpuE5ELNS1_3repE0EEENS1_38merge_mergepath_config_static_selectorELNS0_4arch9wavefront6targetE0EEEvSK_,"axG",@progbits,_ZN7rocprim17ROCPRIM_400000_NS6detail17trampoline_kernelINS0_14default_configENS1_38merge_sort_block_merge_config_selectorIxNS0_10empty_typeEEEZZNS1_27merge_sort_block_merge_implIS3_N6thrust23THRUST_200600_302600_NS6detail15normal_iteratorINS9_10device_ptrIxEEEEPS5_m9comp_mod3IxEEE10hipError_tT0_T1_T2_jT3_P12ihipStream_tbPNSt15iterator_traitsISJ_E10value_typeEPNSP_ISK_E10value_typeEPSL_NS1_7vsmem_tEENKUlT_SJ_SK_SL_E_clIPxSE_SF_SF_EESI_SY_SJ_SK_SL_EUlSY_E0_NS1_11comp_targetILNS1_3genE10ELNS1_11target_archE1201ELNS1_3gpuE5ELNS1_3repE0EEENS1_38merge_mergepath_config_static_selectorELNS0_4arch9wavefront6targetE0EEEvSK_,comdat
.Lfunc_end940:
	.size	_ZN7rocprim17ROCPRIM_400000_NS6detail17trampoline_kernelINS0_14default_configENS1_38merge_sort_block_merge_config_selectorIxNS0_10empty_typeEEEZZNS1_27merge_sort_block_merge_implIS3_N6thrust23THRUST_200600_302600_NS6detail15normal_iteratorINS9_10device_ptrIxEEEEPS5_m9comp_mod3IxEEE10hipError_tT0_T1_T2_jT3_P12ihipStream_tbPNSt15iterator_traitsISJ_E10value_typeEPNSP_ISK_E10value_typeEPSL_NS1_7vsmem_tEENKUlT_SJ_SK_SL_E_clIPxSE_SF_SF_EESI_SY_SJ_SK_SL_EUlSY_E0_NS1_11comp_targetILNS1_3genE10ELNS1_11target_archE1201ELNS1_3gpuE5ELNS1_3repE0EEENS1_38merge_mergepath_config_static_selectorELNS0_4arch9wavefront6targetE0EEEvSK_, .Lfunc_end940-_ZN7rocprim17ROCPRIM_400000_NS6detail17trampoline_kernelINS0_14default_configENS1_38merge_sort_block_merge_config_selectorIxNS0_10empty_typeEEEZZNS1_27merge_sort_block_merge_implIS3_N6thrust23THRUST_200600_302600_NS6detail15normal_iteratorINS9_10device_ptrIxEEEEPS5_m9comp_mod3IxEEE10hipError_tT0_T1_T2_jT3_P12ihipStream_tbPNSt15iterator_traitsISJ_E10value_typeEPNSP_ISK_E10value_typeEPSL_NS1_7vsmem_tEENKUlT_SJ_SK_SL_E_clIPxSE_SF_SF_EESI_SY_SJ_SK_SL_EUlSY_E0_NS1_11comp_targetILNS1_3genE10ELNS1_11target_archE1201ELNS1_3gpuE5ELNS1_3repE0EEENS1_38merge_mergepath_config_static_selectorELNS0_4arch9wavefront6targetE0EEEvSK_
                                        ; -- End function
	.set _ZN7rocprim17ROCPRIM_400000_NS6detail17trampoline_kernelINS0_14default_configENS1_38merge_sort_block_merge_config_selectorIxNS0_10empty_typeEEEZZNS1_27merge_sort_block_merge_implIS3_N6thrust23THRUST_200600_302600_NS6detail15normal_iteratorINS9_10device_ptrIxEEEEPS5_m9comp_mod3IxEEE10hipError_tT0_T1_T2_jT3_P12ihipStream_tbPNSt15iterator_traitsISJ_E10value_typeEPNSP_ISK_E10value_typeEPSL_NS1_7vsmem_tEENKUlT_SJ_SK_SL_E_clIPxSE_SF_SF_EESI_SY_SJ_SK_SL_EUlSY_E0_NS1_11comp_targetILNS1_3genE10ELNS1_11target_archE1201ELNS1_3gpuE5ELNS1_3repE0EEENS1_38merge_mergepath_config_static_selectorELNS0_4arch9wavefront6targetE0EEEvSK_.num_vgpr, 0
	.set _ZN7rocprim17ROCPRIM_400000_NS6detail17trampoline_kernelINS0_14default_configENS1_38merge_sort_block_merge_config_selectorIxNS0_10empty_typeEEEZZNS1_27merge_sort_block_merge_implIS3_N6thrust23THRUST_200600_302600_NS6detail15normal_iteratorINS9_10device_ptrIxEEEEPS5_m9comp_mod3IxEEE10hipError_tT0_T1_T2_jT3_P12ihipStream_tbPNSt15iterator_traitsISJ_E10value_typeEPNSP_ISK_E10value_typeEPSL_NS1_7vsmem_tEENKUlT_SJ_SK_SL_E_clIPxSE_SF_SF_EESI_SY_SJ_SK_SL_EUlSY_E0_NS1_11comp_targetILNS1_3genE10ELNS1_11target_archE1201ELNS1_3gpuE5ELNS1_3repE0EEENS1_38merge_mergepath_config_static_selectorELNS0_4arch9wavefront6targetE0EEEvSK_.num_agpr, 0
	.set _ZN7rocprim17ROCPRIM_400000_NS6detail17trampoline_kernelINS0_14default_configENS1_38merge_sort_block_merge_config_selectorIxNS0_10empty_typeEEEZZNS1_27merge_sort_block_merge_implIS3_N6thrust23THRUST_200600_302600_NS6detail15normal_iteratorINS9_10device_ptrIxEEEEPS5_m9comp_mod3IxEEE10hipError_tT0_T1_T2_jT3_P12ihipStream_tbPNSt15iterator_traitsISJ_E10value_typeEPNSP_ISK_E10value_typeEPSL_NS1_7vsmem_tEENKUlT_SJ_SK_SL_E_clIPxSE_SF_SF_EESI_SY_SJ_SK_SL_EUlSY_E0_NS1_11comp_targetILNS1_3genE10ELNS1_11target_archE1201ELNS1_3gpuE5ELNS1_3repE0EEENS1_38merge_mergepath_config_static_selectorELNS0_4arch9wavefront6targetE0EEEvSK_.numbered_sgpr, 0
	.set _ZN7rocprim17ROCPRIM_400000_NS6detail17trampoline_kernelINS0_14default_configENS1_38merge_sort_block_merge_config_selectorIxNS0_10empty_typeEEEZZNS1_27merge_sort_block_merge_implIS3_N6thrust23THRUST_200600_302600_NS6detail15normal_iteratorINS9_10device_ptrIxEEEEPS5_m9comp_mod3IxEEE10hipError_tT0_T1_T2_jT3_P12ihipStream_tbPNSt15iterator_traitsISJ_E10value_typeEPNSP_ISK_E10value_typeEPSL_NS1_7vsmem_tEENKUlT_SJ_SK_SL_E_clIPxSE_SF_SF_EESI_SY_SJ_SK_SL_EUlSY_E0_NS1_11comp_targetILNS1_3genE10ELNS1_11target_archE1201ELNS1_3gpuE5ELNS1_3repE0EEENS1_38merge_mergepath_config_static_selectorELNS0_4arch9wavefront6targetE0EEEvSK_.num_named_barrier, 0
	.set _ZN7rocprim17ROCPRIM_400000_NS6detail17trampoline_kernelINS0_14default_configENS1_38merge_sort_block_merge_config_selectorIxNS0_10empty_typeEEEZZNS1_27merge_sort_block_merge_implIS3_N6thrust23THRUST_200600_302600_NS6detail15normal_iteratorINS9_10device_ptrIxEEEEPS5_m9comp_mod3IxEEE10hipError_tT0_T1_T2_jT3_P12ihipStream_tbPNSt15iterator_traitsISJ_E10value_typeEPNSP_ISK_E10value_typeEPSL_NS1_7vsmem_tEENKUlT_SJ_SK_SL_E_clIPxSE_SF_SF_EESI_SY_SJ_SK_SL_EUlSY_E0_NS1_11comp_targetILNS1_3genE10ELNS1_11target_archE1201ELNS1_3gpuE5ELNS1_3repE0EEENS1_38merge_mergepath_config_static_selectorELNS0_4arch9wavefront6targetE0EEEvSK_.private_seg_size, 0
	.set _ZN7rocprim17ROCPRIM_400000_NS6detail17trampoline_kernelINS0_14default_configENS1_38merge_sort_block_merge_config_selectorIxNS0_10empty_typeEEEZZNS1_27merge_sort_block_merge_implIS3_N6thrust23THRUST_200600_302600_NS6detail15normal_iteratorINS9_10device_ptrIxEEEEPS5_m9comp_mod3IxEEE10hipError_tT0_T1_T2_jT3_P12ihipStream_tbPNSt15iterator_traitsISJ_E10value_typeEPNSP_ISK_E10value_typeEPSL_NS1_7vsmem_tEENKUlT_SJ_SK_SL_E_clIPxSE_SF_SF_EESI_SY_SJ_SK_SL_EUlSY_E0_NS1_11comp_targetILNS1_3genE10ELNS1_11target_archE1201ELNS1_3gpuE5ELNS1_3repE0EEENS1_38merge_mergepath_config_static_selectorELNS0_4arch9wavefront6targetE0EEEvSK_.uses_vcc, 0
	.set _ZN7rocprim17ROCPRIM_400000_NS6detail17trampoline_kernelINS0_14default_configENS1_38merge_sort_block_merge_config_selectorIxNS0_10empty_typeEEEZZNS1_27merge_sort_block_merge_implIS3_N6thrust23THRUST_200600_302600_NS6detail15normal_iteratorINS9_10device_ptrIxEEEEPS5_m9comp_mod3IxEEE10hipError_tT0_T1_T2_jT3_P12ihipStream_tbPNSt15iterator_traitsISJ_E10value_typeEPNSP_ISK_E10value_typeEPSL_NS1_7vsmem_tEENKUlT_SJ_SK_SL_E_clIPxSE_SF_SF_EESI_SY_SJ_SK_SL_EUlSY_E0_NS1_11comp_targetILNS1_3genE10ELNS1_11target_archE1201ELNS1_3gpuE5ELNS1_3repE0EEENS1_38merge_mergepath_config_static_selectorELNS0_4arch9wavefront6targetE0EEEvSK_.uses_flat_scratch, 0
	.set _ZN7rocprim17ROCPRIM_400000_NS6detail17trampoline_kernelINS0_14default_configENS1_38merge_sort_block_merge_config_selectorIxNS0_10empty_typeEEEZZNS1_27merge_sort_block_merge_implIS3_N6thrust23THRUST_200600_302600_NS6detail15normal_iteratorINS9_10device_ptrIxEEEEPS5_m9comp_mod3IxEEE10hipError_tT0_T1_T2_jT3_P12ihipStream_tbPNSt15iterator_traitsISJ_E10value_typeEPNSP_ISK_E10value_typeEPSL_NS1_7vsmem_tEENKUlT_SJ_SK_SL_E_clIPxSE_SF_SF_EESI_SY_SJ_SK_SL_EUlSY_E0_NS1_11comp_targetILNS1_3genE10ELNS1_11target_archE1201ELNS1_3gpuE5ELNS1_3repE0EEENS1_38merge_mergepath_config_static_selectorELNS0_4arch9wavefront6targetE0EEEvSK_.has_dyn_sized_stack, 0
	.set _ZN7rocprim17ROCPRIM_400000_NS6detail17trampoline_kernelINS0_14default_configENS1_38merge_sort_block_merge_config_selectorIxNS0_10empty_typeEEEZZNS1_27merge_sort_block_merge_implIS3_N6thrust23THRUST_200600_302600_NS6detail15normal_iteratorINS9_10device_ptrIxEEEEPS5_m9comp_mod3IxEEE10hipError_tT0_T1_T2_jT3_P12ihipStream_tbPNSt15iterator_traitsISJ_E10value_typeEPNSP_ISK_E10value_typeEPSL_NS1_7vsmem_tEENKUlT_SJ_SK_SL_E_clIPxSE_SF_SF_EESI_SY_SJ_SK_SL_EUlSY_E0_NS1_11comp_targetILNS1_3genE10ELNS1_11target_archE1201ELNS1_3gpuE5ELNS1_3repE0EEENS1_38merge_mergepath_config_static_selectorELNS0_4arch9wavefront6targetE0EEEvSK_.has_recursion, 0
	.set _ZN7rocprim17ROCPRIM_400000_NS6detail17trampoline_kernelINS0_14default_configENS1_38merge_sort_block_merge_config_selectorIxNS0_10empty_typeEEEZZNS1_27merge_sort_block_merge_implIS3_N6thrust23THRUST_200600_302600_NS6detail15normal_iteratorINS9_10device_ptrIxEEEEPS5_m9comp_mod3IxEEE10hipError_tT0_T1_T2_jT3_P12ihipStream_tbPNSt15iterator_traitsISJ_E10value_typeEPNSP_ISK_E10value_typeEPSL_NS1_7vsmem_tEENKUlT_SJ_SK_SL_E_clIPxSE_SF_SF_EESI_SY_SJ_SK_SL_EUlSY_E0_NS1_11comp_targetILNS1_3genE10ELNS1_11target_archE1201ELNS1_3gpuE5ELNS1_3repE0EEENS1_38merge_mergepath_config_static_selectorELNS0_4arch9wavefront6targetE0EEEvSK_.has_indirect_call, 0
	.section	.AMDGPU.csdata,"",@progbits
; Kernel info:
; codeLenInByte = 0
; TotalNumSgprs: 0
; NumVgprs: 0
; ScratchSize: 0
; MemoryBound: 0
; FloatMode: 240
; IeeeMode: 1
; LDSByteSize: 0 bytes/workgroup (compile time only)
; SGPRBlocks: 0
; VGPRBlocks: 0
; NumSGPRsForWavesPerEU: 1
; NumVGPRsForWavesPerEU: 1
; Occupancy: 16
; WaveLimiterHint : 0
; COMPUTE_PGM_RSRC2:SCRATCH_EN: 0
; COMPUTE_PGM_RSRC2:USER_SGPR: 6
; COMPUTE_PGM_RSRC2:TRAP_HANDLER: 0
; COMPUTE_PGM_RSRC2:TGID_X_EN: 1
; COMPUTE_PGM_RSRC2:TGID_Y_EN: 0
; COMPUTE_PGM_RSRC2:TGID_Z_EN: 0
; COMPUTE_PGM_RSRC2:TIDIG_COMP_CNT: 0
	.section	.text._ZN7rocprim17ROCPRIM_400000_NS6detail17trampoline_kernelINS0_14default_configENS1_38merge_sort_block_merge_config_selectorIxNS0_10empty_typeEEEZZNS1_27merge_sort_block_merge_implIS3_N6thrust23THRUST_200600_302600_NS6detail15normal_iteratorINS9_10device_ptrIxEEEEPS5_m9comp_mod3IxEEE10hipError_tT0_T1_T2_jT3_P12ihipStream_tbPNSt15iterator_traitsISJ_E10value_typeEPNSP_ISK_E10value_typeEPSL_NS1_7vsmem_tEENKUlT_SJ_SK_SL_E_clIPxSE_SF_SF_EESI_SY_SJ_SK_SL_EUlSY_E0_NS1_11comp_targetILNS1_3genE5ELNS1_11target_archE942ELNS1_3gpuE9ELNS1_3repE0EEENS1_38merge_mergepath_config_static_selectorELNS0_4arch9wavefront6targetE0EEEvSK_,"axG",@progbits,_ZN7rocprim17ROCPRIM_400000_NS6detail17trampoline_kernelINS0_14default_configENS1_38merge_sort_block_merge_config_selectorIxNS0_10empty_typeEEEZZNS1_27merge_sort_block_merge_implIS3_N6thrust23THRUST_200600_302600_NS6detail15normal_iteratorINS9_10device_ptrIxEEEEPS5_m9comp_mod3IxEEE10hipError_tT0_T1_T2_jT3_P12ihipStream_tbPNSt15iterator_traitsISJ_E10value_typeEPNSP_ISK_E10value_typeEPSL_NS1_7vsmem_tEENKUlT_SJ_SK_SL_E_clIPxSE_SF_SF_EESI_SY_SJ_SK_SL_EUlSY_E0_NS1_11comp_targetILNS1_3genE5ELNS1_11target_archE942ELNS1_3gpuE9ELNS1_3repE0EEENS1_38merge_mergepath_config_static_selectorELNS0_4arch9wavefront6targetE0EEEvSK_,comdat
	.protected	_ZN7rocprim17ROCPRIM_400000_NS6detail17trampoline_kernelINS0_14default_configENS1_38merge_sort_block_merge_config_selectorIxNS0_10empty_typeEEEZZNS1_27merge_sort_block_merge_implIS3_N6thrust23THRUST_200600_302600_NS6detail15normal_iteratorINS9_10device_ptrIxEEEEPS5_m9comp_mod3IxEEE10hipError_tT0_T1_T2_jT3_P12ihipStream_tbPNSt15iterator_traitsISJ_E10value_typeEPNSP_ISK_E10value_typeEPSL_NS1_7vsmem_tEENKUlT_SJ_SK_SL_E_clIPxSE_SF_SF_EESI_SY_SJ_SK_SL_EUlSY_E0_NS1_11comp_targetILNS1_3genE5ELNS1_11target_archE942ELNS1_3gpuE9ELNS1_3repE0EEENS1_38merge_mergepath_config_static_selectorELNS0_4arch9wavefront6targetE0EEEvSK_ ; -- Begin function _ZN7rocprim17ROCPRIM_400000_NS6detail17trampoline_kernelINS0_14default_configENS1_38merge_sort_block_merge_config_selectorIxNS0_10empty_typeEEEZZNS1_27merge_sort_block_merge_implIS3_N6thrust23THRUST_200600_302600_NS6detail15normal_iteratorINS9_10device_ptrIxEEEEPS5_m9comp_mod3IxEEE10hipError_tT0_T1_T2_jT3_P12ihipStream_tbPNSt15iterator_traitsISJ_E10value_typeEPNSP_ISK_E10value_typeEPSL_NS1_7vsmem_tEENKUlT_SJ_SK_SL_E_clIPxSE_SF_SF_EESI_SY_SJ_SK_SL_EUlSY_E0_NS1_11comp_targetILNS1_3genE5ELNS1_11target_archE942ELNS1_3gpuE9ELNS1_3repE0EEENS1_38merge_mergepath_config_static_selectorELNS0_4arch9wavefront6targetE0EEEvSK_
	.globl	_ZN7rocprim17ROCPRIM_400000_NS6detail17trampoline_kernelINS0_14default_configENS1_38merge_sort_block_merge_config_selectorIxNS0_10empty_typeEEEZZNS1_27merge_sort_block_merge_implIS3_N6thrust23THRUST_200600_302600_NS6detail15normal_iteratorINS9_10device_ptrIxEEEEPS5_m9comp_mod3IxEEE10hipError_tT0_T1_T2_jT3_P12ihipStream_tbPNSt15iterator_traitsISJ_E10value_typeEPNSP_ISK_E10value_typeEPSL_NS1_7vsmem_tEENKUlT_SJ_SK_SL_E_clIPxSE_SF_SF_EESI_SY_SJ_SK_SL_EUlSY_E0_NS1_11comp_targetILNS1_3genE5ELNS1_11target_archE942ELNS1_3gpuE9ELNS1_3repE0EEENS1_38merge_mergepath_config_static_selectorELNS0_4arch9wavefront6targetE0EEEvSK_
	.p2align	8
	.type	_ZN7rocprim17ROCPRIM_400000_NS6detail17trampoline_kernelINS0_14default_configENS1_38merge_sort_block_merge_config_selectorIxNS0_10empty_typeEEEZZNS1_27merge_sort_block_merge_implIS3_N6thrust23THRUST_200600_302600_NS6detail15normal_iteratorINS9_10device_ptrIxEEEEPS5_m9comp_mod3IxEEE10hipError_tT0_T1_T2_jT3_P12ihipStream_tbPNSt15iterator_traitsISJ_E10value_typeEPNSP_ISK_E10value_typeEPSL_NS1_7vsmem_tEENKUlT_SJ_SK_SL_E_clIPxSE_SF_SF_EESI_SY_SJ_SK_SL_EUlSY_E0_NS1_11comp_targetILNS1_3genE5ELNS1_11target_archE942ELNS1_3gpuE9ELNS1_3repE0EEENS1_38merge_mergepath_config_static_selectorELNS0_4arch9wavefront6targetE0EEEvSK_,@function
_ZN7rocprim17ROCPRIM_400000_NS6detail17trampoline_kernelINS0_14default_configENS1_38merge_sort_block_merge_config_selectorIxNS0_10empty_typeEEEZZNS1_27merge_sort_block_merge_implIS3_N6thrust23THRUST_200600_302600_NS6detail15normal_iteratorINS9_10device_ptrIxEEEEPS5_m9comp_mod3IxEEE10hipError_tT0_T1_T2_jT3_P12ihipStream_tbPNSt15iterator_traitsISJ_E10value_typeEPNSP_ISK_E10value_typeEPSL_NS1_7vsmem_tEENKUlT_SJ_SK_SL_E_clIPxSE_SF_SF_EESI_SY_SJ_SK_SL_EUlSY_E0_NS1_11comp_targetILNS1_3genE5ELNS1_11target_archE942ELNS1_3gpuE9ELNS1_3repE0EEENS1_38merge_mergepath_config_static_selectorELNS0_4arch9wavefront6targetE0EEEvSK_: ; @_ZN7rocprim17ROCPRIM_400000_NS6detail17trampoline_kernelINS0_14default_configENS1_38merge_sort_block_merge_config_selectorIxNS0_10empty_typeEEEZZNS1_27merge_sort_block_merge_implIS3_N6thrust23THRUST_200600_302600_NS6detail15normal_iteratorINS9_10device_ptrIxEEEEPS5_m9comp_mod3IxEEE10hipError_tT0_T1_T2_jT3_P12ihipStream_tbPNSt15iterator_traitsISJ_E10value_typeEPNSP_ISK_E10value_typeEPSL_NS1_7vsmem_tEENKUlT_SJ_SK_SL_E_clIPxSE_SF_SF_EESI_SY_SJ_SK_SL_EUlSY_E0_NS1_11comp_targetILNS1_3genE5ELNS1_11target_archE942ELNS1_3gpuE9ELNS1_3repE0EEENS1_38merge_mergepath_config_static_selectorELNS0_4arch9wavefront6targetE0EEEvSK_
; %bb.0:
	.section	.rodata,"a",@progbits
	.p2align	6, 0x0
	.amdhsa_kernel _ZN7rocprim17ROCPRIM_400000_NS6detail17trampoline_kernelINS0_14default_configENS1_38merge_sort_block_merge_config_selectorIxNS0_10empty_typeEEEZZNS1_27merge_sort_block_merge_implIS3_N6thrust23THRUST_200600_302600_NS6detail15normal_iteratorINS9_10device_ptrIxEEEEPS5_m9comp_mod3IxEEE10hipError_tT0_T1_T2_jT3_P12ihipStream_tbPNSt15iterator_traitsISJ_E10value_typeEPNSP_ISK_E10value_typeEPSL_NS1_7vsmem_tEENKUlT_SJ_SK_SL_E_clIPxSE_SF_SF_EESI_SY_SJ_SK_SL_EUlSY_E0_NS1_11comp_targetILNS1_3genE5ELNS1_11target_archE942ELNS1_3gpuE9ELNS1_3repE0EEENS1_38merge_mergepath_config_static_selectorELNS0_4arch9wavefront6targetE0EEEvSK_
		.amdhsa_group_segment_fixed_size 0
		.amdhsa_private_segment_fixed_size 0
		.amdhsa_kernarg_size 80
		.amdhsa_user_sgpr_count 6
		.amdhsa_user_sgpr_private_segment_buffer 1
		.amdhsa_user_sgpr_dispatch_ptr 0
		.amdhsa_user_sgpr_queue_ptr 0
		.amdhsa_user_sgpr_kernarg_segment_ptr 1
		.amdhsa_user_sgpr_dispatch_id 0
		.amdhsa_user_sgpr_flat_scratch_init 0
		.amdhsa_user_sgpr_private_segment_size 0
		.amdhsa_wavefront_size32 1
		.amdhsa_uses_dynamic_stack 0
		.amdhsa_system_sgpr_private_segment_wavefront_offset 0
		.amdhsa_system_sgpr_workgroup_id_x 1
		.amdhsa_system_sgpr_workgroup_id_y 0
		.amdhsa_system_sgpr_workgroup_id_z 0
		.amdhsa_system_sgpr_workgroup_info 0
		.amdhsa_system_vgpr_workitem_id 0
		.amdhsa_next_free_vgpr 1
		.amdhsa_next_free_sgpr 1
		.amdhsa_reserve_vcc 0
		.amdhsa_reserve_flat_scratch 0
		.amdhsa_float_round_mode_32 0
		.amdhsa_float_round_mode_16_64 0
		.amdhsa_float_denorm_mode_32 3
		.amdhsa_float_denorm_mode_16_64 3
		.amdhsa_dx10_clamp 1
		.amdhsa_ieee_mode 1
		.amdhsa_fp16_overflow 0
		.amdhsa_workgroup_processor_mode 1
		.amdhsa_memory_ordered 1
		.amdhsa_forward_progress 1
		.amdhsa_shared_vgpr_count 0
		.amdhsa_exception_fp_ieee_invalid_op 0
		.amdhsa_exception_fp_denorm_src 0
		.amdhsa_exception_fp_ieee_div_zero 0
		.amdhsa_exception_fp_ieee_overflow 0
		.amdhsa_exception_fp_ieee_underflow 0
		.amdhsa_exception_fp_ieee_inexact 0
		.amdhsa_exception_int_div_zero 0
	.end_amdhsa_kernel
	.section	.text._ZN7rocprim17ROCPRIM_400000_NS6detail17trampoline_kernelINS0_14default_configENS1_38merge_sort_block_merge_config_selectorIxNS0_10empty_typeEEEZZNS1_27merge_sort_block_merge_implIS3_N6thrust23THRUST_200600_302600_NS6detail15normal_iteratorINS9_10device_ptrIxEEEEPS5_m9comp_mod3IxEEE10hipError_tT0_T1_T2_jT3_P12ihipStream_tbPNSt15iterator_traitsISJ_E10value_typeEPNSP_ISK_E10value_typeEPSL_NS1_7vsmem_tEENKUlT_SJ_SK_SL_E_clIPxSE_SF_SF_EESI_SY_SJ_SK_SL_EUlSY_E0_NS1_11comp_targetILNS1_3genE5ELNS1_11target_archE942ELNS1_3gpuE9ELNS1_3repE0EEENS1_38merge_mergepath_config_static_selectorELNS0_4arch9wavefront6targetE0EEEvSK_,"axG",@progbits,_ZN7rocprim17ROCPRIM_400000_NS6detail17trampoline_kernelINS0_14default_configENS1_38merge_sort_block_merge_config_selectorIxNS0_10empty_typeEEEZZNS1_27merge_sort_block_merge_implIS3_N6thrust23THRUST_200600_302600_NS6detail15normal_iteratorINS9_10device_ptrIxEEEEPS5_m9comp_mod3IxEEE10hipError_tT0_T1_T2_jT3_P12ihipStream_tbPNSt15iterator_traitsISJ_E10value_typeEPNSP_ISK_E10value_typeEPSL_NS1_7vsmem_tEENKUlT_SJ_SK_SL_E_clIPxSE_SF_SF_EESI_SY_SJ_SK_SL_EUlSY_E0_NS1_11comp_targetILNS1_3genE5ELNS1_11target_archE942ELNS1_3gpuE9ELNS1_3repE0EEENS1_38merge_mergepath_config_static_selectorELNS0_4arch9wavefront6targetE0EEEvSK_,comdat
.Lfunc_end941:
	.size	_ZN7rocprim17ROCPRIM_400000_NS6detail17trampoline_kernelINS0_14default_configENS1_38merge_sort_block_merge_config_selectorIxNS0_10empty_typeEEEZZNS1_27merge_sort_block_merge_implIS3_N6thrust23THRUST_200600_302600_NS6detail15normal_iteratorINS9_10device_ptrIxEEEEPS5_m9comp_mod3IxEEE10hipError_tT0_T1_T2_jT3_P12ihipStream_tbPNSt15iterator_traitsISJ_E10value_typeEPNSP_ISK_E10value_typeEPSL_NS1_7vsmem_tEENKUlT_SJ_SK_SL_E_clIPxSE_SF_SF_EESI_SY_SJ_SK_SL_EUlSY_E0_NS1_11comp_targetILNS1_3genE5ELNS1_11target_archE942ELNS1_3gpuE9ELNS1_3repE0EEENS1_38merge_mergepath_config_static_selectorELNS0_4arch9wavefront6targetE0EEEvSK_, .Lfunc_end941-_ZN7rocprim17ROCPRIM_400000_NS6detail17trampoline_kernelINS0_14default_configENS1_38merge_sort_block_merge_config_selectorIxNS0_10empty_typeEEEZZNS1_27merge_sort_block_merge_implIS3_N6thrust23THRUST_200600_302600_NS6detail15normal_iteratorINS9_10device_ptrIxEEEEPS5_m9comp_mod3IxEEE10hipError_tT0_T1_T2_jT3_P12ihipStream_tbPNSt15iterator_traitsISJ_E10value_typeEPNSP_ISK_E10value_typeEPSL_NS1_7vsmem_tEENKUlT_SJ_SK_SL_E_clIPxSE_SF_SF_EESI_SY_SJ_SK_SL_EUlSY_E0_NS1_11comp_targetILNS1_3genE5ELNS1_11target_archE942ELNS1_3gpuE9ELNS1_3repE0EEENS1_38merge_mergepath_config_static_selectorELNS0_4arch9wavefront6targetE0EEEvSK_
                                        ; -- End function
	.set _ZN7rocprim17ROCPRIM_400000_NS6detail17trampoline_kernelINS0_14default_configENS1_38merge_sort_block_merge_config_selectorIxNS0_10empty_typeEEEZZNS1_27merge_sort_block_merge_implIS3_N6thrust23THRUST_200600_302600_NS6detail15normal_iteratorINS9_10device_ptrIxEEEEPS5_m9comp_mod3IxEEE10hipError_tT0_T1_T2_jT3_P12ihipStream_tbPNSt15iterator_traitsISJ_E10value_typeEPNSP_ISK_E10value_typeEPSL_NS1_7vsmem_tEENKUlT_SJ_SK_SL_E_clIPxSE_SF_SF_EESI_SY_SJ_SK_SL_EUlSY_E0_NS1_11comp_targetILNS1_3genE5ELNS1_11target_archE942ELNS1_3gpuE9ELNS1_3repE0EEENS1_38merge_mergepath_config_static_selectorELNS0_4arch9wavefront6targetE0EEEvSK_.num_vgpr, 0
	.set _ZN7rocprim17ROCPRIM_400000_NS6detail17trampoline_kernelINS0_14default_configENS1_38merge_sort_block_merge_config_selectorIxNS0_10empty_typeEEEZZNS1_27merge_sort_block_merge_implIS3_N6thrust23THRUST_200600_302600_NS6detail15normal_iteratorINS9_10device_ptrIxEEEEPS5_m9comp_mod3IxEEE10hipError_tT0_T1_T2_jT3_P12ihipStream_tbPNSt15iterator_traitsISJ_E10value_typeEPNSP_ISK_E10value_typeEPSL_NS1_7vsmem_tEENKUlT_SJ_SK_SL_E_clIPxSE_SF_SF_EESI_SY_SJ_SK_SL_EUlSY_E0_NS1_11comp_targetILNS1_3genE5ELNS1_11target_archE942ELNS1_3gpuE9ELNS1_3repE0EEENS1_38merge_mergepath_config_static_selectorELNS0_4arch9wavefront6targetE0EEEvSK_.num_agpr, 0
	.set _ZN7rocprim17ROCPRIM_400000_NS6detail17trampoline_kernelINS0_14default_configENS1_38merge_sort_block_merge_config_selectorIxNS0_10empty_typeEEEZZNS1_27merge_sort_block_merge_implIS3_N6thrust23THRUST_200600_302600_NS6detail15normal_iteratorINS9_10device_ptrIxEEEEPS5_m9comp_mod3IxEEE10hipError_tT0_T1_T2_jT3_P12ihipStream_tbPNSt15iterator_traitsISJ_E10value_typeEPNSP_ISK_E10value_typeEPSL_NS1_7vsmem_tEENKUlT_SJ_SK_SL_E_clIPxSE_SF_SF_EESI_SY_SJ_SK_SL_EUlSY_E0_NS1_11comp_targetILNS1_3genE5ELNS1_11target_archE942ELNS1_3gpuE9ELNS1_3repE0EEENS1_38merge_mergepath_config_static_selectorELNS0_4arch9wavefront6targetE0EEEvSK_.numbered_sgpr, 0
	.set _ZN7rocprim17ROCPRIM_400000_NS6detail17trampoline_kernelINS0_14default_configENS1_38merge_sort_block_merge_config_selectorIxNS0_10empty_typeEEEZZNS1_27merge_sort_block_merge_implIS3_N6thrust23THRUST_200600_302600_NS6detail15normal_iteratorINS9_10device_ptrIxEEEEPS5_m9comp_mod3IxEEE10hipError_tT0_T1_T2_jT3_P12ihipStream_tbPNSt15iterator_traitsISJ_E10value_typeEPNSP_ISK_E10value_typeEPSL_NS1_7vsmem_tEENKUlT_SJ_SK_SL_E_clIPxSE_SF_SF_EESI_SY_SJ_SK_SL_EUlSY_E0_NS1_11comp_targetILNS1_3genE5ELNS1_11target_archE942ELNS1_3gpuE9ELNS1_3repE0EEENS1_38merge_mergepath_config_static_selectorELNS0_4arch9wavefront6targetE0EEEvSK_.num_named_barrier, 0
	.set _ZN7rocprim17ROCPRIM_400000_NS6detail17trampoline_kernelINS0_14default_configENS1_38merge_sort_block_merge_config_selectorIxNS0_10empty_typeEEEZZNS1_27merge_sort_block_merge_implIS3_N6thrust23THRUST_200600_302600_NS6detail15normal_iteratorINS9_10device_ptrIxEEEEPS5_m9comp_mod3IxEEE10hipError_tT0_T1_T2_jT3_P12ihipStream_tbPNSt15iterator_traitsISJ_E10value_typeEPNSP_ISK_E10value_typeEPSL_NS1_7vsmem_tEENKUlT_SJ_SK_SL_E_clIPxSE_SF_SF_EESI_SY_SJ_SK_SL_EUlSY_E0_NS1_11comp_targetILNS1_3genE5ELNS1_11target_archE942ELNS1_3gpuE9ELNS1_3repE0EEENS1_38merge_mergepath_config_static_selectorELNS0_4arch9wavefront6targetE0EEEvSK_.private_seg_size, 0
	.set _ZN7rocprim17ROCPRIM_400000_NS6detail17trampoline_kernelINS0_14default_configENS1_38merge_sort_block_merge_config_selectorIxNS0_10empty_typeEEEZZNS1_27merge_sort_block_merge_implIS3_N6thrust23THRUST_200600_302600_NS6detail15normal_iteratorINS9_10device_ptrIxEEEEPS5_m9comp_mod3IxEEE10hipError_tT0_T1_T2_jT3_P12ihipStream_tbPNSt15iterator_traitsISJ_E10value_typeEPNSP_ISK_E10value_typeEPSL_NS1_7vsmem_tEENKUlT_SJ_SK_SL_E_clIPxSE_SF_SF_EESI_SY_SJ_SK_SL_EUlSY_E0_NS1_11comp_targetILNS1_3genE5ELNS1_11target_archE942ELNS1_3gpuE9ELNS1_3repE0EEENS1_38merge_mergepath_config_static_selectorELNS0_4arch9wavefront6targetE0EEEvSK_.uses_vcc, 0
	.set _ZN7rocprim17ROCPRIM_400000_NS6detail17trampoline_kernelINS0_14default_configENS1_38merge_sort_block_merge_config_selectorIxNS0_10empty_typeEEEZZNS1_27merge_sort_block_merge_implIS3_N6thrust23THRUST_200600_302600_NS6detail15normal_iteratorINS9_10device_ptrIxEEEEPS5_m9comp_mod3IxEEE10hipError_tT0_T1_T2_jT3_P12ihipStream_tbPNSt15iterator_traitsISJ_E10value_typeEPNSP_ISK_E10value_typeEPSL_NS1_7vsmem_tEENKUlT_SJ_SK_SL_E_clIPxSE_SF_SF_EESI_SY_SJ_SK_SL_EUlSY_E0_NS1_11comp_targetILNS1_3genE5ELNS1_11target_archE942ELNS1_3gpuE9ELNS1_3repE0EEENS1_38merge_mergepath_config_static_selectorELNS0_4arch9wavefront6targetE0EEEvSK_.uses_flat_scratch, 0
	.set _ZN7rocprim17ROCPRIM_400000_NS6detail17trampoline_kernelINS0_14default_configENS1_38merge_sort_block_merge_config_selectorIxNS0_10empty_typeEEEZZNS1_27merge_sort_block_merge_implIS3_N6thrust23THRUST_200600_302600_NS6detail15normal_iteratorINS9_10device_ptrIxEEEEPS5_m9comp_mod3IxEEE10hipError_tT0_T1_T2_jT3_P12ihipStream_tbPNSt15iterator_traitsISJ_E10value_typeEPNSP_ISK_E10value_typeEPSL_NS1_7vsmem_tEENKUlT_SJ_SK_SL_E_clIPxSE_SF_SF_EESI_SY_SJ_SK_SL_EUlSY_E0_NS1_11comp_targetILNS1_3genE5ELNS1_11target_archE942ELNS1_3gpuE9ELNS1_3repE0EEENS1_38merge_mergepath_config_static_selectorELNS0_4arch9wavefront6targetE0EEEvSK_.has_dyn_sized_stack, 0
	.set _ZN7rocprim17ROCPRIM_400000_NS6detail17trampoline_kernelINS0_14default_configENS1_38merge_sort_block_merge_config_selectorIxNS0_10empty_typeEEEZZNS1_27merge_sort_block_merge_implIS3_N6thrust23THRUST_200600_302600_NS6detail15normal_iteratorINS9_10device_ptrIxEEEEPS5_m9comp_mod3IxEEE10hipError_tT0_T1_T2_jT3_P12ihipStream_tbPNSt15iterator_traitsISJ_E10value_typeEPNSP_ISK_E10value_typeEPSL_NS1_7vsmem_tEENKUlT_SJ_SK_SL_E_clIPxSE_SF_SF_EESI_SY_SJ_SK_SL_EUlSY_E0_NS1_11comp_targetILNS1_3genE5ELNS1_11target_archE942ELNS1_3gpuE9ELNS1_3repE0EEENS1_38merge_mergepath_config_static_selectorELNS0_4arch9wavefront6targetE0EEEvSK_.has_recursion, 0
	.set _ZN7rocprim17ROCPRIM_400000_NS6detail17trampoline_kernelINS0_14default_configENS1_38merge_sort_block_merge_config_selectorIxNS0_10empty_typeEEEZZNS1_27merge_sort_block_merge_implIS3_N6thrust23THRUST_200600_302600_NS6detail15normal_iteratorINS9_10device_ptrIxEEEEPS5_m9comp_mod3IxEEE10hipError_tT0_T1_T2_jT3_P12ihipStream_tbPNSt15iterator_traitsISJ_E10value_typeEPNSP_ISK_E10value_typeEPSL_NS1_7vsmem_tEENKUlT_SJ_SK_SL_E_clIPxSE_SF_SF_EESI_SY_SJ_SK_SL_EUlSY_E0_NS1_11comp_targetILNS1_3genE5ELNS1_11target_archE942ELNS1_3gpuE9ELNS1_3repE0EEENS1_38merge_mergepath_config_static_selectorELNS0_4arch9wavefront6targetE0EEEvSK_.has_indirect_call, 0
	.section	.AMDGPU.csdata,"",@progbits
; Kernel info:
; codeLenInByte = 0
; TotalNumSgprs: 0
; NumVgprs: 0
; ScratchSize: 0
; MemoryBound: 0
; FloatMode: 240
; IeeeMode: 1
; LDSByteSize: 0 bytes/workgroup (compile time only)
; SGPRBlocks: 0
; VGPRBlocks: 0
; NumSGPRsForWavesPerEU: 1
; NumVGPRsForWavesPerEU: 1
; Occupancy: 16
; WaveLimiterHint : 0
; COMPUTE_PGM_RSRC2:SCRATCH_EN: 0
; COMPUTE_PGM_RSRC2:USER_SGPR: 6
; COMPUTE_PGM_RSRC2:TRAP_HANDLER: 0
; COMPUTE_PGM_RSRC2:TGID_X_EN: 1
; COMPUTE_PGM_RSRC2:TGID_Y_EN: 0
; COMPUTE_PGM_RSRC2:TGID_Z_EN: 0
; COMPUTE_PGM_RSRC2:TIDIG_COMP_CNT: 0
	.section	.text._ZN7rocprim17ROCPRIM_400000_NS6detail17trampoline_kernelINS0_14default_configENS1_38merge_sort_block_merge_config_selectorIxNS0_10empty_typeEEEZZNS1_27merge_sort_block_merge_implIS3_N6thrust23THRUST_200600_302600_NS6detail15normal_iteratorINS9_10device_ptrIxEEEEPS5_m9comp_mod3IxEEE10hipError_tT0_T1_T2_jT3_P12ihipStream_tbPNSt15iterator_traitsISJ_E10value_typeEPNSP_ISK_E10value_typeEPSL_NS1_7vsmem_tEENKUlT_SJ_SK_SL_E_clIPxSE_SF_SF_EESI_SY_SJ_SK_SL_EUlSY_E0_NS1_11comp_targetILNS1_3genE4ELNS1_11target_archE910ELNS1_3gpuE8ELNS1_3repE0EEENS1_38merge_mergepath_config_static_selectorELNS0_4arch9wavefront6targetE0EEEvSK_,"axG",@progbits,_ZN7rocprim17ROCPRIM_400000_NS6detail17trampoline_kernelINS0_14default_configENS1_38merge_sort_block_merge_config_selectorIxNS0_10empty_typeEEEZZNS1_27merge_sort_block_merge_implIS3_N6thrust23THRUST_200600_302600_NS6detail15normal_iteratorINS9_10device_ptrIxEEEEPS5_m9comp_mod3IxEEE10hipError_tT0_T1_T2_jT3_P12ihipStream_tbPNSt15iterator_traitsISJ_E10value_typeEPNSP_ISK_E10value_typeEPSL_NS1_7vsmem_tEENKUlT_SJ_SK_SL_E_clIPxSE_SF_SF_EESI_SY_SJ_SK_SL_EUlSY_E0_NS1_11comp_targetILNS1_3genE4ELNS1_11target_archE910ELNS1_3gpuE8ELNS1_3repE0EEENS1_38merge_mergepath_config_static_selectorELNS0_4arch9wavefront6targetE0EEEvSK_,comdat
	.protected	_ZN7rocprim17ROCPRIM_400000_NS6detail17trampoline_kernelINS0_14default_configENS1_38merge_sort_block_merge_config_selectorIxNS0_10empty_typeEEEZZNS1_27merge_sort_block_merge_implIS3_N6thrust23THRUST_200600_302600_NS6detail15normal_iteratorINS9_10device_ptrIxEEEEPS5_m9comp_mod3IxEEE10hipError_tT0_T1_T2_jT3_P12ihipStream_tbPNSt15iterator_traitsISJ_E10value_typeEPNSP_ISK_E10value_typeEPSL_NS1_7vsmem_tEENKUlT_SJ_SK_SL_E_clIPxSE_SF_SF_EESI_SY_SJ_SK_SL_EUlSY_E0_NS1_11comp_targetILNS1_3genE4ELNS1_11target_archE910ELNS1_3gpuE8ELNS1_3repE0EEENS1_38merge_mergepath_config_static_selectorELNS0_4arch9wavefront6targetE0EEEvSK_ ; -- Begin function _ZN7rocprim17ROCPRIM_400000_NS6detail17trampoline_kernelINS0_14default_configENS1_38merge_sort_block_merge_config_selectorIxNS0_10empty_typeEEEZZNS1_27merge_sort_block_merge_implIS3_N6thrust23THRUST_200600_302600_NS6detail15normal_iteratorINS9_10device_ptrIxEEEEPS5_m9comp_mod3IxEEE10hipError_tT0_T1_T2_jT3_P12ihipStream_tbPNSt15iterator_traitsISJ_E10value_typeEPNSP_ISK_E10value_typeEPSL_NS1_7vsmem_tEENKUlT_SJ_SK_SL_E_clIPxSE_SF_SF_EESI_SY_SJ_SK_SL_EUlSY_E0_NS1_11comp_targetILNS1_3genE4ELNS1_11target_archE910ELNS1_3gpuE8ELNS1_3repE0EEENS1_38merge_mergepath_config_static_selectorELNS0_4arch9wavefront6targetE0EEEvSK_
	.globl	_ZN7rocprim17ROCPRIM_400000_NS6detail17trampoline_kernelINS0_14default_configENS1_38merge_sort_block_merge_config_selectorIxNS0_10empty_typeEEEZZNS1_27merge_sort_block_merge_implIS3_N6thrust23THRUST_200600_302600_NS6detail15normal_iteratorINS9_10device_ptrIxEEEEPS5_m9comp_mod3IxEEE10hipError_tT0_T1_T2_jT3_P12ihipStream_tbPNSt15iterator_traitsISJ_E10value_typeEPNSP_ISK_E10value_typeEPSL_NS1_7vsmem_tEENKUlT_SJ_SK_SL_E_clIPxSE_SF_SF_EESI_SY_SJ_SK_SL_EUlSY_E0_NS1_11comp_targetILNS1_3genE4ELNS1_11target_archE910ELNS1_3gpuE8ELNS1_3repE0EEENS1_38merge_mergepath_config_static_selectorELNS0_4arch9wavefront6targetE0EEEvSK_
	.p2align	8
	.type	_ZN7rocprim17ROCPRIM_400000_NS6detail17trampoline_kernelINS0_14default_configENS1_38merge_sort_block_merge_config_selectorIxNS0_10empty_typeEEEZZNS1_27merge_sort_block_merge_implIS3_N6thrust23THRUST_200600_302600_NS6detail15normal_iteratorINS9_10device_ptrIxEEEEPS5_m9comp_mod3IxEEE10hipError_tT0_T1_T2_jT3_P12ihipStream_tbPNSt15iterator_traitsISJ_E10value_typeEPNSP_ISK_E10value_typeEPSL_NS1_7vsmem_tEENKUlT_SJ_SK_SL_E_clIPxSE_SF_SF_EESI_SY_SJ_SK_SL_EUlSY_E0_NS1_11comp_targetILNS1_3genE4ELNS1_11target_archE910ELNS1_3gpuE8ELNS1_3repE0EEENS1_38merge_mergepath_config_static_selectorELNS0_4arch9wavefront6targetE0EEEvSK_,@function
_ZN7rocprim17ROCPRIM_400000_NS6detail17trampoline_kernelINS0_14default_configENS1_38merge_sort_block_merge_config_selectorIxNS0_10empty_typeEEEZZNS1_27merge_sort_block_merge_implIS3_N6thrust23THRUST_200600_302600_NS6detail15normal_iteratorINS9_10device_ptrIxEEEEPS5_m9comp_mod3IxEEE10hipError_tT0_T1_T2_jT3_P12ihipStream_tbPNSt15iterator_traitsISJ_E10value_typeEPNSP_ISK_E10value_typeEPSL_NS1_7vsmem_tEENKUlT_SJ_SK_SL_E_clIPxSE_SF_SF_EESI_SY_SJ_SK_SL_EUlSY_E0_NS1_11comp_targetILNS1_3genE4ELNS1_11target_archE910ELNS1_3gpuE8ELNS1_3repE0EEENS1_38merge_mergepath_config_static_selectorELNS0_4arch9wavefront6targetE0EEEvSK_: ; @_ZN7rocprim17ROCPRIM_400000_NS6detail17trampoline_kernelINS0_14default_configENS1_38merge_sort_block_merge_config_selectorIxNS0_10empty_typeEEEZZNS1_27merge_sort_block_merge_implIS3_N6thrust23THRUST_200600_302600_NS6detail15normal_iteratorINS9_10device_ptrIxEEEEPS5_m9comp_mod3IxEEE10hipError_tT0_T1_T2_jT3_P12ihipStream_tbPNSt15iterator_traitsISJ_E10value_typeEPNSP_ISK_E10value_typeEPSL_NS1_7vsmem_tEENKUlT_SJ_SK_SL_E_clIPxSE_SF_SF_EESI_SY_SJ_SK_SL_EUlSY_E0_NS1_11comp_targetILNS1_3genE4ELNS1_11target_archE910ELNS1_3gpuE8ELNS1_3repE0EEENS1_38merge_mergepath_config_static_selectorELNS0_4arch9wavefront6targetE0EEEvSK_
; %bb.0:
	.section	.rodata,"a",@progbits
	.p2align	6, 0x0
	.amdhsa_kernel _ZN7rocprim17ROCPRIM_400000_NS6detail17trampoline_kernelINS0_14default_configENS1_38merge_sort_block_merge_config_selectorIxNS0_10empty_typeEEEZZNS1_27merge_sort_block_merge_implIS3_N6thrust23THRUST_200600_302600_NS6detail15normal_iteratorINS9_10device_ptrIxEEEEPS5_m9comp_mod3IxEEE10hipError_tT0_T1_T2_jT3_P12ihipStream_tbPNSt15iterator_traitsISJ_E10value_typeEPNSP_ISK_E10value_typeEPSL_NS1_7vsmem_tEENKUlT_SJ_SK_SL_E_clIPxSE_SF_SF_EESI_SY_SJ_SK_SL_EUlSY_E0_NS1_11comp_targetILNS1_3genE4ELNS1_11target_archE910ELNS1_3gpuE8ELNS1_3repE0EEENS1_38merge_mergepath_config_static_selectorELNS0_4arch9wavefront6targetE0EEEvSK_
		.amdhsa_group_segment_fixed_size 0
		.amdhsa_private_segment_fixed_size 0
		.amdhsa_kernarg_size 80
		.amdhsa_user_sgpr_count 6
		.amdhsa_user_sgpr_private_segment_buffer 1
		.amdhsa_user_sgpr_dispatch_ptr 0
		.amdhsa_user_sgpr_queue_ptr 0
		.amdhsa_user_sgpr_kernarg_segment_ptr 1
		.amdhsa_user_sgpr_dispatch_id 0
		.amdhsa_user_sgpr_flat_scratch_init 0
		.amdhsa_user_sgpr_private_segment_size 0
		.amdhsa_wavefront_size32 1
		.amdhsa_uses_dynamic_stack 0
		.amdhsa_system_sgpr_private_segment_wavefront_offset 0
		.amdhsa_system_sgpr_workgroup_id_x 1
		.amdhsa_system_sgpr_workgroup_id_y 0
		.amdhsa_system_sgpr_workgroup_id_z 0
		.amdhsa_system_sgpr_workgroup_info 0
		.amdhsa_system_vgpr_workitem_id 0
		.amdhsa_next_free_vgpr 1
		.amdhsa_next_free_sgpr 1
		.amdhsa_reserve_vcc 0
		.amdhsa_reserve_flat_scratch 0
		.amdhsa_float_round_mode_32 0
		.amdhsa_float_round_mode_16_64 0
		.amdhsa_float_denorm_mode_32 3
		.amdhsa_float_denorm_mode_16_64 3
		.amdhsa_dx10_clamp 1
		.amdhsa_ieee_mode 1
		.amdhsa_fp16_overflow 0
		.amdhsa_workgroup_processor_mode 1
		.amdhsa_memory_ordered 1
		.amdhsa_forward_progress 1
		.amdhsa_shared_vgpr_count 0
		.amdhsa_exception_fp_ieee_invalid_op 0
		.amdhsa_exception_fp_denorm_src 0
		.amdhsa_exception_fp_ieee_div_zero 0
		.amdhsa_exception_fp_ieee_overflow 0
		.amdhsa_exception_fp_ieee_underflow 0
		.amdhsa_exception_fp_ieee_inexact 0
		.amdhsa_exception_int_div_zero 0
	.end_amdhsa_kernel
	.section	.text._ZN7rocprim17ROCPRIM_400000_NS6detail17trampoline_kernelINS0_14default_configENS1_38merge_sort_block_merge_config_selectorIxNS0_10empty_typeEEEZZNS1_27merge_sort_block_merge_implIS3_N6thrust23THRUST_200600_302600_NS6detail15normal_iteratorINS9_10device_ptrIxEEEEPS5_m9comp_mod3IxEEE10hipError_tT0_T1_T2_jT3_P12ihipStream_tbPNSt15iterator_traitsISJ_E10value_typeEPNSP_ISK_E10value_typeEPSL_NS1_7vsmem_tEENKUlT_SJ_SK_SL_E_clIPxSE_SF_SF_EESI_SY_SJ_SK_SL_EUlSY_E0_NS1_11comp_targetILNS1_3genE4ELNS1_11target_archE910ELNS1_3gpuE8ELNS1_3repE0EEENS1_38merge_mergepath_config_static_selectorELNS0_4arch9wavefront6targetE0EEEvSK_,"axG",@progbits,_ZN7rocprim17ROCPRIM_400000_NS6detail17trampoline_kernelINS0_14default_configENS1_38merge_sort_block_merge_config_selectorIxNS0_10empty_typeEEEZZNS1_27merge_sort_block_merge_implIS3_N6thrust23THRUST_200600_302600_NS6detail15normal_iteratorINS9_10device_ptrIxEEEEPS5_m9comp_mod3IxEEE10hipError_tT0_T1_T2_jT3_P12ihipStream_tbPNSt15iterator_traitsISJ_E10value_typeEPNSP_ISK_E10value_typeEPSL_NS1_7vsmem_tEENKUlT_SJ_SK_SL_E_clIPxSE_SF_SF_EESI_SY_SJ_SK_SL_EUlSY_E0_NS1_11comp_targetILNS1_3genE4ELNS1_11target_archE910ELNS1_3gpuE8ELNS1_3repE0EEENS1_38merge_mergepath_config_static_selectorELNS0_4arch9wavefront6targetE0EEEvSK_,comdat
.Lfunc_end942:
	.size	_ZN7rocprim17ROCPRIM_400000_NS6detail17trampoline_kernelINS0_14default_configENS1_38merge_sort_block_merge_config_selectorIxNS0_10empty_typeEEEZZNS1_27merge_sort_block_merge_implIS3_N6thrust23THRUST_200600_302600_NS6detail15normal_iteratorINS9_10device_ptrIxEEEEPS5_m9comp_mod3IxEEE10hipError_tT0_T1_T2_jT3_P12ihipStream_tbPNSt15iterator_traitsISJ_E10value_typeEPNSP_ISK_E10value_typeEPSL_NS1_7vsmem_tEENKUlT_SJ_SK_SL_E_clIPxSE_SF_SF_EESI_SY_SJ_SK_SL_EUlSY_E0_NS1_11comp_targetILNS1_3genE4ELNS1_11target_archE910ELNS1_3gpuE8ELNS1_3repE0EEENS1_38merge_mergepath_config_static_selectorELNS0_4arch9wavefront6targetE0EEEvSK_, .Lfunc_end942-_ZN7rocprim17ROCPRIM_400000_NS6detail17trampoline_kernelINS0_14default_configENS1_38merge_sort_block_merge_config_selectorIxNS0_10empty_typeEEEZZNS1_27merge_sort_block_merge_implIS3_N6thrust23THRUST_200600_302600_NS6detail15normal_iteratorINS9_10device_ptrIxEEEEPS5_m9comp_mod3IxEEE10hipError_tT0_T1_T2_jT3_P12ihipStream_tbPNSt15iterator_traitsISJ_E10value_typeEPNSP_ISK_E10value_typeEPSL_NS1_7vsmem_tEENKUlT_SJ_SK_SL_E_clIPxSE_SF_SF_EESI_SY_SJ_SK_SL_EUlSY_E0_NS1_11comp_targetILNS1_3genE4ELNS1_11target_archE910ELNS1_3gpuE8ELNS1_3repE0EEENS1_38merge_mergepath_config_static_selectorELNS0_4arch9wavefront6targetE0EEEvSK_
                                        ; -- End function
	.set _ZN7rocprim17ROCPRIM_400000_NS6detail17trampoline_kernelINS0_14default_configENS1_38merge_sort_block_merge_config_selectorIxNS0_10empty_typeEEEZZNS1_27merge_sort_block_merge_implIS3_N6thrust23THRUST_200600_302600_NS6detail15normal_iteratorINS9_10device_ptrIxEEEEPS5_m9comp_mod3IxEEE10hipError_tT0_T1_T2_jT3_P12ihipStream_tbPNSt15iterator_traitsISJ_E10value_typeEPNSP_ISK_E10value_typeEPSL_NS1_7vsmem_tEENKUlT_SJ_SK_SL_E_clIPxSE_SF_SF_EESI_SY_SJ_SK_SL_EUlSY_E0_NS1_11comp_targetILNS1_3genE4ELNS1_11target_archE910ELNS1_3gpuE8ELNS1_3repE0EEENS1_38merge_mergepath_config_static_selectorELNS0_4arch9wavefront6targetE0EEEvSK_.num_vgpr, 0
	.set _ZN7rocprim17ROCPRIM_400000_NS6detail17trampoline_kernelINS0_14default_configENS1_38merge_sort_block_merge_config_selectorIxNS0_10empty_typeEEEZZNS1_27merge_sort_block_merge_implIS3_N6thrust23THRUST_200600_302600_NS6detail15normal_iteratorINS9_10device_ptrIxEEEEPS5_m9comp_mod3IxEEE10hipError_tT0_T1_T2_jT3_P12ihipStream_tbPNSt15iterator_traitsISJ_E10value_typeEPNSP_ISK_E10value_typeEPSL_NS1_7vsmem_tEENKUlT_SJ_SK_SL_E_clIPxSE_SF_SF_EESI_SY_SJ_SK_SL_EUlSY_E0_NS1_11comp_targetILNS1_3genE4ELNS1_11target_archE910ELNS1_3gpuE8ELNS1_3repE0EEENS1_38merge_mergepath_config_static_selectorELNS0_4arch9wavefront6targetE0EEEvSK_.num_agpr, 0
	.set _ZN7rocprim17ROCPRIM_400000_NS6detail17trampoline_kernelINS0_14default_configENS1_38merge_sort_block_merge_config_selectorIxNS0_10empty_typeEEEZZNS1_27merge_sort_block_merge_implIS3_N6thrust23THRUST_200600_302600_NS6detail15normal_iteratorINS9_10device_ptrIxEEEEPS5_m9comp_mod3IxEEE10hipError_tT0_T1_T2_jT3_P12ihipStream_tbPNSt15iterator_traitsISJ_E10value_typeEPNSP_ISK_E10value_typeEPSL_NS1_7vsmem_tEENKUlT_SJ_SK_SL_E_clIPxSE_SF_SF_EESI_SY_SJ_SK_SL_EUlSY_E0_NS1_11comp_targetILNS1_3genE4ELNS1_11target_archE910ELNS1_3gpuE8ELNS1_3repE0EEENS1_38merge_mergepath_config_static_selectorELNS0_4arch9wavefront6targetE0EEEvSK_.numbered_sgpr, 0
	.set _ZN7rocprim17ROCPRIM_400000_NS6detail17trampoline_kernelINS0_14default_configENS1_38merge_sort_block_merge_config_selectorIxNS0_10empty_typeEEEZZNS1_27merge_sort_block_merge_implIS3_N6thrust23THRUST_200600_302600_NS6detail15normal_iteratorINS9_10device_ptrIxEEEEPS5_m9comp_mod3IxEEE10hipError_tT0_T1_T2_jT3_P12ihipStream_tbPNSt15iterator_traitsISJ_E10value_typeEPNSP_ISK_E10value_typeEPSL_NS1_7vsmem_tEENKUlT_SJ_SK_SL_E_clIPxSE_SF_SF_EESI_SY_SJ_SK_SL_EUlSY_E0_NS1_11comp_targetILNS1_3genE4ELNS1_11target_archE910ELNS1_3gpuE8ELNS1_3repE0EEENS1_38merge_mergepath_config_static_selectorELNS0_4arch9wavefront6targetE0EEEvSK_.num_named_barrier, 0
	.set _ZN7rocprim17ROCPRIM_400000_NS6detail17trampoline_kernelINS0_14default_configENS1_38merge_sort_block_merge_config_selectorIxNS0_10empty_typeEEEZZNS1_27merge_sort_block_merge_implIS3_N6thrust23THRUST_200600_302600_NS6detail15normal_iteratorINS9_10device_ptrIxEEEEPS5_m9comp_mod3IxEEE10hipError_tT0_T1_T2_jT3_P12ihipStream_tbPNSt15iterator_traitsISJ_E10value_typeEPNSP_ISK_E10value_typeEPSL_NS1_7vsmem_tEENKUlT_SJ_SK_SL_E_clIPxSE_SF_SF_EESI_SY_SJ_SK_SL_EUlSY_E0_NS1_11comp_targetILNS1_3genE4ELNS1_11target_archE910ELNS1_3gpuE8ELNS1_3repE0EEENS1_38merge_mergepath_config_static_selectorELNS0_4arch9wavefront6targetE0EEEvSK_.private_seg_size, 0
	.set _ZN7rocprim17ROCPRIM_400000_NS6detail17trampoline_kernelINS0_14default_configENS1_38merge_sort_block_merge_config_selectorIxNS0_10empty_typeEEEZZNS1_27merge_sort_block_merge_implIS3_N6thrust23THRUST_200600_302600_NS6detail15normal_iteratorINS9_10device_ptrIxEEEEPS5_m9comp_mod3IxEEE10hipError_tT0_T1_T2_jT3_P12ihipStream_tbPNSt15iterator_traitsISJ_E10value_typeEPNSP_ISK_E10value_typeEPSL_NS1_7vsmem_tEENKUlT_SJ_SK_SL_E_clIPxSE_SF_SF_EESI_SY_SJ_SK_SL_EUlSY_E0_NS1_11comp_targetILNS1_3genE4ELNS1_11target_archE910ELNS1_3gpuE8ELNS1_3repE0EEENS1_38merge_mergepath_config_static_selectorELNS0_4arch9wavefront6targetE0EEEvSK_.uses_vcc, 0
	.set _ZN7rocprim17ROCPRIM_400000_NS6detail17trampoline_kernelINS0_14default_configENS1_38merge_sort_block_merge_config_selectorIxNS0_10empty_typeEEEZZNS1_27merge_sort_block_merge_implIS3_N6thrust23THRUST_200600_302600_NS6detail15normal_iteratorINS9_10device_ptrIxEEEEPS5_m9comp_mod3IxEEE10hipError_tT0_T1_T2_jT3_P12ihipStream_tbPNSt15iterator_traitsISJ_E10value_typeEPNSP_ISK_E10value_typeEPSL_NS1_7vsmem_tEENKUlT_SJ_SK_SL_E_clIPxSE_SF_SF_EESI_SY_SJ_SK_SL_EUlSY_E0_NS1_11comp_targetILNS1_3genE4ELNS1_11target_archE910ELNS1_3gpuE8ELNS1_3repE0EEENS1_38merge_mergepath_config_static_selectorELNS0_4arch9wavefront6targetE0EEEvSK_.uses_flat_scratch, 0
	.set _ZN7rocprim17ROCPRIM_400000_NS6detail17trampoline_kernelINS0_14default_configENS1_38merge_sort_block_merge_config_selectorIxNS0_10empty_typeEEEZZNS1_27merge_sort_block_merge_implIS3_N6thrust23THRUST_200600_302600_NS6detail15normal_iteratorINS9_10device_ptrIxEEEEPS5_m9comp_mod3IxEEE10hipError_tT0_T1_T2_jT3_P12ihipStream_tbPNSt15iterator_traitsISJ_E10value_typeEPNSP_ISK_E10value_typeEPSL_NS1_7vsmem_tEENKUlT_SJ_SK_SL_E_clIPxSE_SF_SF_EESI_SY_SJ_SK_SL_EUlSY_E0_NS1_11comp_targetILNS1_3genE4ELNS1_11target_archE910ELNS1_3gpuE8ELNS1_3repE0EEENS1_38merge_mergepath_config_static_selectorELNS0_4arch9wavefront6targetE0EEEvSK_.has_dyn_sized_stack, 0
	.set _ZN7rocprim17ROCPRIM_400000_NS6detail17trampoline_kernelINS0_14default_configENS1_38merge_sort_block_merge_config_selectorIxNS0_10empty_typeEEEZZNS1_27merge_sort_block_merge_implIS3_N6thrust23THRUST_200600_302600_NS6detail15normal_iteratorINS9_10device_ptrIxEEEEPS5_m9comp_mod3IxEEE10hipError_tT0_T1_T2_jT3_P12ihipStream_tbPNSt15iterator_traitsISJ_E10value_typeEPNSP_ISK_E10value_typeEPSL_NS1_7vsmem_tEENKUlT_SJ_SK_SL_E_clIPxSE_SF_SF_EESI_SY_SJ_SK_SL_EUlSY_E0_NS1_11comp_targetILNS1_3genE4ELNS1_11target_archE910ELNS1_3gpuE8ELNS1_3repE0EEENS1_38merge_mergepath_config_static_selectorELNS0_4arch9wavefront6targetE0EEEvSK_.has_recursion, 0
	.set _ZN7rocprim17ROCPRIM_400000_NS6detail17trampoline_kernelINS0_14default_configENS1_38merge_sort_block_merge_config_selectorIxNS0_10empty_typeEEEZZNS1_27merge_sort_block_merge_implIS3_N6thrust23THRUST_200600_302600_NS6detail15normal_iteratorINS9_10device_ptrIxEEEEPS5_m9comp_mod3IxEEE10hipError_tT0_T1_T2_jT3_P12ihipStream_tbPNSt15iterator_traitsISJ_E10value_typeEPNSP_ISK_E10value_typeEPSL_NS1_7vsmem_tEENKUlT_SJ_SK_SL_E_clIPxSE_SF_SF_EESI_SY_SJ_SK_SL_EUlSY_E0_NS1_11comp_targetILNS1_3genE4ELNS1_11target_archE910ELNS1_3gpuE8ELNS1_3repE0EEENS1_38merge_mergepath_config_static_selectorELNS0_4arch9wavefront6targetE0EEEvSK_.has_indirect_call, 0
	.section	.AMDGPU.csdata,"",@progbits
; Kernel info:
; codeLenInByte = 0
; TotalNumSgprs: 0
; NumVgprs: 0
; ScratchSize: 0
; MemoryBound: 0
; FloatMode: 240
; IeeeMode: 1
; LDSByteSize: 0 bytes/workgroup (compile time only)
; SGPRBlocks: 0
; VGPRBlocks: 0
; NumSGPRsForWavesPerEU: 1
; NumVGPRsForWavesPerEU: 1
; Occupancy: 16
; WaveLimiterHint : 0
; COMPUTE_PGM_RSRC2:SCRATCH_EN: 0
; COMPUTE_PGM_RSRC2:USER_SGPR: 6
; COMPUTE_PGM_RSRC2:TRAP_HANDLER: 0
; COMPUTE_PGM_RSRC2:TGID_X_EN: 1
; COMPUTE_PGM_RSRC2:TGID_Y_EN: 0
; COMPUTE_PGM_RSRC2:TGID_Z_EN: 0
; COMPUTE_PGM_RSRC2:TIDIG_COMP_CNT: 0
	.section	.text._ZN7rocprim17ROCPRIM_400000_NS6detail17trampoline_kernelINS0_14default_configENS1_38merge_sort_block_merge_config_selectorIxNS0_10empty_typeEEEZZNS1_27merge_sort_block_merge_implIS3_N6thrust23THRUST_200600_302600_NS6detail15normal_iteratorINS9_10device_ptrIxEEEEPS5_m9comp_mod3IxEEE10hipError_tT0_T1_T2_jT3_P12ihipStream_tbPNSt15iterator_traitsISJ_E10value_typeEPNSP_ISK_E10value_typeEPSL_NS1_7vsmem_tEENKUlT_SJ_SK_SL_E_clIPxSE_SF_SF_EESI_SY_SJ_SK_SL_EUlSY_E0_NS1_11comp_targetILNS1_3genE3ELNS1_11target_archE908ELNS1_3gpuE7ELNS1_3repE0EEENS1_38merge_mergepath_config_static_selectorELNS0_4arch9wavefront6targetE0EEEvSK_,"axG",@progbits,_ZN7rocprim17ROCPRIM_400000_NS6detail17trampoline_kernelINS0_14default_configENS1_38merge_sort_block_merge_config_selectorIxNS0_10empty_typeEEEZZNS1_27merge_sort_block_merge_implIS3_N6thrust23THRUST_200600_302600_NS6detail15normal_iteratorINS9_10device_ptrIxEEEEPS5_m9comp_mod3IxEEE10hipError_tT0_T1_T2_jT3_P12ihipStream_tbPNSt15iterator_traitsISJ_E10value_typeEPNSP_ISK_E10value_typeEPSL_NS1_7vsmem_tEENKUlT_SJ_SK_SL_E_clIPxSE_SF_SF_EESI_SY_SJ_SK_SL_EUlSY_E0_NS1_11comp_targetILNS1_3genE3ELNS1_11target_archE908ELNS1_3gpuE7ELNS1_3repE0EEENS1_38merge_mergepath_config_static_selectorELNS0_4arch9wavefront6targetE0EEEvSK_,comdat
	.protected	_ZN7rocprim17ROCPRIM_400000_NS6detail17trampoline_kernelINS0_14default_configENS1_38merge_sort_block_merge_config_selectorIxNS0_10empty_typeEEEZZNS1_27merge_sort_block_merge_implIS3_N6thrust23THRUST_200600_302600_NS6detail15normal_iteratorINS9_10device_ptrIxEEEEPS5_m9comp_mod3IxEEE10hipError_tT0_T1_T2_jT3_P12ihipStream_tbPNSt15iterator_traitsISJ_E10value_typeEPNSP_ISK_E10value_typeEPSL_NS1_7vsmem_tEENKUlT_SJ_SK_SL_E_clIPxSE_SF_SF_EESI_SY_SJ_SK_SL_EUlSY_E0_NS1_11comp_targetILNS1_3genE3ELNS1_11target_archE908ELNS1_3gpuE7ELNS1_3repE0EEENS1_38merge_mergepath_config_static_selectorELNS0_4arch9wavefront6targetE0EEEvSK_ ; -- Begin function _ZN7rocprim17ROCPRIM_400000_NS6detail17trampoline_kernelINS0_14default_configENS1_38merge_sort_block_merge_config_selectorIxNS0_10empty_typeEEEZZNS1_27merge_sort_block_merge_implIS3_N6thrust23THRUST_200600_302600_NS6detail15normal_iteratorINS9_10device_ptrIxEEEEPS5_m9comp_mod3IxEEE10hipError_tT0_T1_T2_jT3_P12ihipStream_tbPNSt15iterator_traitsISJ_E10value_typeEPNSP_ISK_E10value_typeEPSL_NS1_7vsmem_tEENKUlT_SJ_SK_SL_E_clIPxSE_SF_SF_EESI_SY_SJ_SK_SL_EUlSY_E0_NS1_11comp_targetILNS1_3genE3ELNS1_11target_archE908ELNS1_3gpuE7ELNS1_3repE0EEENS1_38merge_mergepath_config_static_selectorELNS0_4arch9wavefront6targetE0EEEvSK_
	.globl	_ZN7rocprim17ROCPRIM_400000_NS6detail17trampoline_kernelINS0_14default_configENS1_38merge_sort_block_merge_config_selectorIxNS0_10empty_typeEEEZZNS1_27merge_sort_block_merge_implIS3_N6thrust23THRUST_200600_302600_NS6detail15normal_iteratorINS9_10device_ptrIxEEEEPS5_m9comp_mod3IxEEE10hipError_tT0_T1_T2_jT3_P12ihipStream_tbPNSt15iterator_traitsISJ_E10value_typeEPNSP_ISK_E10value_typeEPSL_NS1_7vsmem_tEENKUlT_SJ_SK_SL_E_clIPxSE_SF_SF_EESI_SY_SJ_SK_SL_EUlSY_E0_NS1_11comp_targetILNS1_3genE3ELNS1_11target_archE908ELNS1_3gpuE7ELNS1_3repE0EEENS1_38merge_mergepath_config_static_selectorELNS0_4arch9wavefront6targetE0EEEvSK_
	.p2align	8
	.type	_ZN7rocprim17ROCPRIM_400000_NS6detail17trampoline_kernelINS0_14default_configENS1_38merge_sort_block_merge_config_selectorIxNS0_10empty_typeEEEZZNS1_27merge_sort_block_merge_implIS3_N6thrust23THRUST_200600_302600_NS6detail15normal_iteratorINS9_10device_ptrIxEEEEPS5_m9comp_mod3IxEEE10hipError_tT0_T1_T2_jT3_P12ihipStream_tbPNSt15iterator_traitsISJ_E10value_typeEPNSP_ISK_E10value_typeEPSL_NS1_7vsmem_tEENKUlT_SJ_SK_SL_E_clIPxSE_SF_SF_EESI_SY_SJ_SK_SL_EUlSY_E0_NS1_11comp_targetILNS1_3genE3ELNS1_11target_archE908ELNS1_3gpuE7ELNS1_3repE0EEENS1_38merge_mergepath_config_static_selectorELNS0_4arch9wavefront6targetE0EEEvSK_,@function
_ZN7rocprim17ROCPRIM_400000_NS6detail17trampoline_kernelINS0_14default_configENS1_38merge_sort_block_merge_config_selectorIxNS0_10empty_typeEEEZZNS1_27merge_sort_block_merge_implIS3_N6thrust23THRUST_200600_302600_NS6detail15normal_iteratorINS9_10device_ptrIxEEEEPS5_m9comp_mod3IxEEE10hipError_tT0_T1_T2_jT3_P12ihipStream_tbPNSt15iterator_traitsISJ_E10value_typeEPNSP_ISK_E10value_typeEPSL_NS1_7vsmem_tEENKUlT_SJ_SK_SL_E_clIPxSE_SF_SF_EESI_SY_SJ_SK_SL_EUlSY_E0_NS1_11comp_targetILNS1_3genE3ELNS1_11target_archE908ELNS1_3gpuE7ELNS1_3repE0EEENS1_38merge_mergepath_config_static_selectorELNS0_4arch9wavefront6targetE0EEEvSK_: ; @_ZN7rocprim17ROCPRIM_400000_NS6detail17trampoline_kernelINS0_14default_configENS1_38merge_sort_block_merge_config_selectorIxNS0_10empty_typeEEEZZNS1_27merge_sort_block_merge_implIS3_N6thrust23THRUST_200600_302600_NS6detail15normal_iteratorINS9_10device_ptrIxEEEEPS5_m9comp_mod3IxEEE10hipError_tT0_T1_T2_jT3_P12ihipStream_tbPNSt15iterator_traitsISJ_E10value_typeEPNSP_ISK_E10value_typeEPSL_NS1_7vsmem_tEENKUlT_SJ_SK_SL_E_clIPxSE_SF_SF_EESI_SY_SJ_SK_SL_EUlSY_E0_NS1_11comp_targetILNS1_3genE3ELNS1_11target_archE908ELNS1_3gpuE7ELNS1_3repE0EEENS1_38merge_mergepath_config_static_selectorELNS0_4arch9wavefront6targetE0EEEvSK_
; %bb.0:
	.section	.rodata,"a",@progbits
	.p2align	6, 0x0
	.amdhsa_kernel _ZN7rocprim17ROCPRIM_400000_NS6detail17trampoline_kernelINS0_14default_configENS1_38merge_sort_block_merge_config_selectorIxNS0_10empty_typeEEEZZNS1_27merge_sort_block_merge_implIS3_N6thrust23THRUST_200600_302600_NS6detail15normal_iteratorINS9_10device_ptrIxEEEEPS5_m9comp_mod3IxEEE10hipError_tT0_T1_T2_jT3_P12ihipStream_tbPNSt15iterator_traitsISJ_E10value_typeEPNSP_ISK_E10value_typeEPSL_NS1_7vsmem_tEENKUlT_SJ_SK_SL_E_clIPxSE_SF_SF_EESI_SY_SJ_SK_SL_EUlSY_E0_NS1_11comp_targetILNS1_3genE3ELNS1_11target_archE908ELNS1_3gpuE7ELNS1_3repE0EEENS1_38merge_mergepath_config_static_selectorELNS0_4arch9wavefront6targetE0EEEvSK_
		.amdhsa_group_segment_fixed_size 0
		.amdhsa_private_segment_fixed_size 0
		.amdhsa_kernarg_size 80
		.amdhsa_user_sgpr_count 6
		.amdhsa_user_sgpr_private_segment_buffer 1
		.amdhsa_user_sgpr_dispatch_ptr 0
		.amdhsa_user_sgpr_queue_ptr 0
		.amdhsa_user_sgpr_kernarg_segment_ptr 1
		.amdhsa_user_sgpr_dispatch_id 0
		.amdhsa_user_sgpr_flat_scratch_init 0
		.amdhsa_user_sgpr_private_segment_size 0
		.amdhsa_wavefront_size32 1
		.amdhsa_uses_dynamic_stack 0
		.amdhsa_system_sgpr_private_segment_wavefront_offset 0
		.amdhsa_system_sgpr_workgroup_id_x 1
		.amdhsa_system_sgpr_workgroup_id_y 0
		.amdhsa_system_sgpr_workgroup_id_z 0
		.amdhsa_system_sgpr_workgroup_info 0
		.amdhsa_system_vgpr_workitem_id 0
		.amdhsa_next_free_vgpr 1
		.amdhsa_next_free_sgpr 1
		.amdhsa_reserve_vcc 0
		.amdhsa_reserve_flat_scratch 0
		.amdhsa_float_round_mode_32 0
		.amdhsa_float_round_mode_16_64 0
		.amdhsa_float_denorm_mode_32 3
		.amdhsa_float_denorm_mode_16_64 3
		.amdhsa_dx10_clamp 1
		.amdhsa_ieee_mode 1
		.amdhsa_fp16_overflow 0
		.amdhsa_workgroup_processor_mode 1
		.amdhsa_memory_ordered 1
		.amdhsa_forward_progress 1
		.amdhsa_shared_vgpr_count 0
		.amdhsa_exception_fp_ieee_invalid_op 0
		.amdhsa_exception_fp_denorm_src 0
		.amdhsa_exception_fp_ieee_div_zero 0
		.amdhsa_exception_fp_ieee_overflow 0
		.amdhsa_exception_fp_ieee_underflow 0
		.amdhsa_exception_fp_ieee_inexact 0
		.amdhsa_exception_int_div_zero 0
	.end_amdhsa_kernel
	.section	.text._ZN7rocprim17ROCPRIM_400000_NS6detail17trampoline_kernelINS0_14default_configENS1_38merge_sort_block_merge_config_selectorIxNS0_10empty_typeEEEZZNS1_27merge_sort_block_merge_implIS3_N6thrust23THRUST_200600_302600_NS6detail15normal_iteratorINS9_10device_ptrIxEEEEPS5_m9comp_mod3IxEEE10hipError_tT0_T1_T2_jT3_P12ihipStream_tbPNSt15iterator_traitsISJ_E10value_typeEPNSP_ISK_E10value_typeEPSL_NS1_7vsmem_tEENKUlT_SJ_SK_SL_E_clIPxSE_SF_SF_EESI_SY_SJ_SK_SL_EUlSY_E0_NS1_11comp_targetILNS1_3genE3ELNS1_11target_archE908ELNS1_3gpuE7ELNS1_3repE0EEENS1_38merge_mergepath_config_static_selectorELNS0_4arch9wavefront6targetE0EEEvSK_,"axG",@progbits,_ZN7rocprim17ROCPRIM_400000_NS6detail17trampoline_kernelINS0_14default_configENS1_38merge_sort_block_merge_config_selectorIxNS0_10empty_typeEEEZZNS1_27merge_sort_block_merge_implIS3_N6thrust23THRUST_200600_302600_NS6detail15normal_iteratorINS9_10device_ptrIxEEEEPS5_m9comp_mod3IxEEE10hipError_tT0_T1_T2_jT3_P12ihipStream_tbPNSt15iterator_traitsISJ_E10value_typeEPNSP_ISK_E10value_typeEPSL_NS1_7vsmem_tEENKUlT_SJ_SK_SL_E_clIPxSE_SF_SF_EESI_SY_SJ_SK_SL_EUlSY_E0_NS1_11comp_targetILNS1_3genE3ELNS1_11target_archE908ELNS1_3gpuE7ELNS1_3repE0EEENS1_38merge_mergepath_config_static_selectorELNS0_4arch9wavefront6targetE0EEEvSK_,comdat
.Lfunc_end943:
	.size	_ZN7rocprim17ROCPRIM_400000_NS6detail17trampoline_kernelINS0_14default_configENS1_38merge_sort_block_merge_config_selectorIxNS0_10empty_typeEEEZZNS1_27merge_sort_block_merge_implIS3_N6thrust23THRUST_200600_302600_NS6detail15normal_iteratorINS9_10device_ptrIxEEEEPS5_m9comp_mod3IxEEE10hipError_tT0_T1_T2_jT3_P12ihipStream_tbPNSt15iterator_traitsISJ_E10value_typeEPNSP_ISK_E10value_typeEPSL_NS1_7vsmem_tEENKUlT_SJ_SK_SL_E_clIPxSE_SF_SF_EESI_SY_SJ_SK_SL_EUlSY_E0_NS1_11comp_targetILNS1_3genE3ELNS1_11target_archE908ELNS1_3gpuE7ELNS1_3repE0EEENS1_38merge_mergepath_config_static_selectorELNS0_4arch9wavefront6targetE0EEEvSK_, .Lfunc_end943-_ZN7rocprim17ROCPRIM_400000_NS6detail17trampoline_kernelINS0_14default_configENS1_38merge_sort_block_merge_config_selectorIxNS0_10empty_typeEEEZZNS1_27merge_sort_block_merge_implIS3_N6thrust23THRUST_200600_302600_NS6detail15normal_iteratorINS9_10device_ptrIxEEEEPS5_m9comp_mod3IxEEE10hipError_tT0_T1_T2_jT3_P12ihipStream_tbPNSt15iterator_traitsISJ_E10value_typeEPNSP_ISK_E10value_typeEPSL_NS1_7vsmem_tEENKUlT_SJ_SK_SL_E_clIPxSE_SF_SF_EESI_SY_SJ_SK_SL_EUlSY_E0_NS1_11comp_targetILNS1_3genE3ELNS1_11target_archE908ELNS1_3gpuE7ELNS1_3repE0EEENS1_38merge_mergepath_config_static_selectorELNS0_4arch9wavefront6targetE0EEEvSK_
                                        ; -- End function
	.set _ZN7rocprim17ROCPRIM_400000_NS6detail17trampoline_kernelINS0_14default_configENS1_38merge_sort_block_merge_config_selectorIxNS0_10empty_typeEEEZZNS1_27merge_sort_block_merge_implIS3_N6thrust23THRUST_200600_302600_NS6detail15normal_iteratorINS9_10device_ptrIxEEEEPS5_m9comp_mod3IxEEE10hipError_tT0_T1_T2_jT3_P12ihipStream_tbPNSt15iterator_traitsISJ_E10value_typeEPNSP_ISK_E10value_typeEPSL_NS1_7vsmem_tEENKUlT_SJ_SK_SL_E_clIPxSE_SF_SF_EESI_SY_SJ_SK_SL_EUlSY_E0_NS1_11comp_targetILNS1_3genE3ELNS1_11target_archE908ELNS1_3gpuE7ELNS1_3repE0EEENS1_38merge_mergepath_config_static_selectorELNS0_4arch9wavefront6targetE0EEEvSK_.num_vgpr, 0
	.set _ZN7rocprim17ROCPRIM_400000_NS6detail17trampoline_kernelINS0_14default_configENS1_38merge_sort_block_merge_config_selectorIxNS0_10empty_typeEEEZZNS1_27merge_sort_block_merge_implIS3_N6thrust23THRUST_200600_302600_NS6detail15normal_iteratorINS9_10device_ptrIxEEEEPS5_m9comp_mod3IxEEE10hipError_tT0_T1_T2_jT3_P12ihipStream_tbPNSt15iterator_traitsISJ_E10value_typeEPNSP_ISK_E10value_typeEPSL_NS1_7vsmem_tEENKUlT_SJ_SK_SL_E_clIPxSE_SF_SF_EESI_SY_SJ_SK_SL_EUlSY_E0_NS1_11comp_targetILNS1_3genE3ELNS1_11target_archE908ELNS1_3gpuE7ELNS1_3repE0EEENS1_38merge_mergepath_config_static_selectorELNS0_4arch9wavefront6targetE0EEEvSK_.num_agpr, 0
	.set _ZN7rocprim17ROCPRIM_400000_NS6detail17trampoline_kernelINS0_14default_configENS1_38merge_sort_block_merge_config_selectorIxNS0_10empty_typeEEEZZNS1_27merge_sort_block_merge_implIS3_N6thrust23THRUST_200600_302600_NS6detail15normal_iteratorINS9_10device_ptrIxEEEEPS5_m9comp_mod3IxEEE10hipError_tT0_T1_T2_jT3_P12ihipStream_tbPNSt15iterator_traitsISJ_E10value_typeEPNSP_ISK_E10value_typeEPSL_NS1_7vsmem_tEENKUlT_SJ_SK_SL_E_clIPxSE_SF_SF_EESI_SY_SJ_SK_SL_EUlSY_E0_NS1_11comp_targetILNS1_3genE3ELNS1_11target_archE908ELNS1_3gpuE7ELNS1_3repE0EEENS1_38merge_mergepath_config_static_selectorELNS0_4arch9wavefront6targetE0EEEvSK_.numbered_sgpr, 0
	.set _ZN7rocprim17ROCPRIM_400000_NS6detail17trampoline_kernelINS0_14default_configENS1_38merge_sort_block_merge_config_selectorIxNS0_10empty_typeEEEZZNS1_27merge_sort_block_merge_implIS3_N6thrust23THRUST_200600_302600_NS6detail15normal_iteratorINS9_10device_ptrIxEEEEPS5_m9comp_mod3IxEEE10hipError_tT0_T1_T2_jT3_P12ihipStream_tbPNSt15iterator_traitsISJ_E10value_typeEPNSP_ISK_E10value_typeEPSL_NS1_7vsmem_tEENKUlT_SJ_SK_SL_E_clIPxSE_SF_SF_EESI_SY_SJ_SK_SL_EUlSY_E0_NS1_11comp_targetILNS1_3genE3ELNS1_11target_archE908ELNS1_3gpuE7ELNS1_3repE0EEENS1_38merge_mergepath_config_static_selectorELNS0_4arch9wavefront6targetE0EEEvSK_.num_named_barrier, 0
	.set _ZN7rocprim17ROCPRIM_400000_NS6detail17trampoline_kernelINS0_14default_configENS1_38merge_sort_block_merge_config_selectorIxNS0_10empty_typeEEEZZNS1_27merge_sort_block_merge_implIS3_N6thrust23THRUST_200600_302600_NS6detail15normal_iteratorINS9_10device_ptrIxEEEEPS5_m9comp_mod3IxEEE10hipError_tT0_T1_T2_jT3_P12ihipStream_tbPNSt15iterator_traitsISJ_E10value_typeEPNSP_ISK_E10value_typeEPSL_NS1_7vsmem_tEENKUlT_SJ_SK_SL_E_clIPxSE_SF_SF_EESI_SY_SJ_SK_SL_EUlSY_E0_NS1_11comp_targetILNS1_3genE3ELNS1_11target_archE908ELNS1_3gpuE7ELNS1_3repE0EEENS1_38merge_mergepath_config_static_selectorELNS0_4arch9wavefront6targetE0EEEvSK_.private_seg_size, 0
	.set _ZN7rocprim17ROCPRIM_400000_NS6detail17trampoline_kernelINS0_14default_configENS1_38merge_sort_block_merge_config_selectorIxNS0_10empty_typeEEEZZNS1_27merge_sort_block_merge_implIS3_N6thrust23THRUST_200600_302600_NS6detail15normal_iteratorINS9_10device_ptrIxEEEEPS5_m9comp_mod3IxEEE10hipError_tT0_T1_T2_jT3_P12ihipStream_tbPNSt15iterator_traitsISJ_E10value_typeEPNSP_ISK_E10value_typeEPSL_NS1_7vsmem_tEENKUlT_SJ_SK_SL_E_clIPxSE_SF_SF_EESI_SY_SJ_SK_SL_EUlSY_E0_NS1_11comp_targetILNS1_3genE3ELNS1_11target_archE908ELNS1_3gpuE7ELNS1_3repE0EEENS1_38merge_mergepath_config_static_selectorELNS0_4arch9wavefront6targetE0EEEvSK_.uses_vcc, 0
	.set _ZN7rocprim17ROCPRIM_400000_NS6detail17trampoline_kernelINS0_14default_configENS1_38merge_sort_block_merge_config_selectorIxNS0_10empty_typeEEEZZNS1_27merge_sort_block_merge_implIS3_N6thrust23THRUST_200600_302600_NS6detail15normal_iteratorINS9_10device_ptrIxEEEEPS5_m9comp_mod3IxEEE10hipError_tT0_T1_T2_jT3_P12ihipStream_tbPNSt15iterator_traitsISJ_E10value_typeEPNSP_ISK_E10value_typeEPSL_NS1_7vsmem_tEENKUlT_SJ_SK_SL_E_clIPxSE_SF_SF_EESI_SY_SJ_SK_SL_EUlSY_E0_NS1_11comp_targetILNS1_3genE3ELNS1_11target_archE908ELNS1_3gpuE7ELNS1_3repE0EEENS1_38merge_mergepath_config_static_selectorELNS0_4arch9wavefront6targetE0EEEvSK_.uses_flat_scratch, 0
	.set _ZN7rocprim17ROCPRIM_400000_NS6detail17trampoline_kernelINS0_14default_configENS1_38merge_sort_block_merge_config_selectorIxNS0_10empty_typeEEEZZNS1_27merge_sort_block_merge_implIS3_N6thrust23THRUST_200600_302600_NS6detail15normal_iteratorINS9_10device_ptrIxEEEEPS5_m9comp_mod3IxEEE10hipError_tT0_T1_T2_jT3_P12ihipStream_tbPNSt15iterator_traitsISJ_E10value_typeEPNSP_ISK_E10value_typeEPSL_NS1_7vsmem_tEENKUlT_SJ_SK_SL_E_clIPxSE_SF_SF_EESI_SY_SJ_SK_SL_EUlSY_E0_NS1_11comp_targetILNS1_3genE3ELNS1_11target_archE908ELNS1_3gpuE7ELNS1_3repE0EEENS1_38merge_mergepath_config_static_selectorELNS0_4arch9wavefront6targetE0EEEvSK_.has_dyn_sized_stack, 0
	.set _ZN7rocprim17ROCPRIM_400000_NS6detail17trampoline_kernelINS0_14default_configENS1_38merge_sort_block_merge_config_selectorIxNS0_10empty_typeEEEZZNS1_27merge_sort_block_merge_implIS3_N6thrust23THRUST_200600_302600_NS6detail15normal_iteratorINS9_10device_ptrIxEEEEPS5_m9comp_mod3IxEEE10hipError_tT0_T1_T2_jT3_P12ihipStream_tbPNSt15iterator_traitsISJ_E10value_typeEPNSP_ISK_E10value_typeEPSL_NS1_7vsmem_tEENKUlT_SJ_SK_SL_E_clIPxSE_SF_SF_EESI_SY_SJ_SK_SL_EUlSY_E0_NS1_11comp_targetILNS1_3genE3ELNS1_11target_archE908ELNS1_3gpuE7ELNS1_3repE0EEENS1_38merge_mergepath_config_static_selectorELNS0_4arch9wavefront6targetE0EEEvSK_.has_recursion, 0
	.set _ZN7rocprim17ROCPRIM_400000_NS6detail17trampoline_kernelINS0_14default_configENS1_38merge_sort_block_merge_config_selectorIxNS0_10empty_typeEEEZZNS1_27merge_sort_block_merge_implIS3_N6thrust23THRUST_200600_302600_NS6detail15normal_iteratorINS9_10device_ptrIxEEEEPS5_m9comp_mod3IxEEE10hipError_tT0_T1_T2_jT3_P12ihipStream_tbPNSt15iterator_traitsISJ_E10value_typeEPNSP_ISK_E10value_typeEPSL_NS1_7vsmem_tEENKUlT_SJ_SK_SL_E_clIPxSE_SF_SF_EESI_SY_SJ_SK_SL_EUlSY_E0_NS1_11comp_targetILNS1_3genE3ELNS1_11target_archE908ELNS1_3gpuE7ELNS1_3repE0EEENS1_38merge_mergepath_config_static_selectorELNS0_4arch9wavefront6targetE0EEEvSK_.has_indirect_call, 0
	.section	.AMDGPU.csdata,"",@progbits
; Kernel info:
; codeLenInByte = 0
; TotalNumSgprs: 0
; NumVgprs: 0
; ScratchSize: 0
; MemoryBound: 0
; FloatMode: 240
; IeeeMode: 1
; LDSByteSize: 0 bytes/workgroup (compile time only)
; SGPRBlocks: 0
; VGPRBlocks: 0
; NumSGPRsForWavesPerEU: 1
; NumVGPRsForWavesPerEU: 1
; Occupancy: 16
; WaveLimiterHint : 0
; COMPUTE_PGM_RSRC2:SCRATCH_EN: 0
; COMPUTE_PGM_RSRC2:USER_SGPR: 6
; COMPUTE_PGM_RSRC2:TRAP_HANDLER: 0
; COMPUTE_PGM_RSRC2:TGID_X_EN: 1
; COMPUTE_PGM_RSRC2:TGID_Y_EN: 0
; COMPUTE_PGM_RSRC2:TGID_Z_EN: 0
; COMPUTE_PGM_RSRC2:TIDIG_COMP_CNT: 0
	.section	.text._ZN7rocprim17ROCPRIM_400000_NS6detail17trampoline_kernelINS0_14default_configENS1_38merge_sort_block_merge_config_selectorIxNS0_10empty_typeEEEZZNS1_27merge_sort_block_merge_implIS3_N6thrust23THRUST_200600_302600_NS6detail15normal_iteratorINS9_10device_ptrIxEEEEPS5_m9comp_mod3IxEEE10hipError_tT0_T1_T2_jT3_P12ihipStream_tbPNSt15iterator_traitsISJ_E10value_typeEPNSP_ISK_E10value_typeEPSL_NS1_7vsmem_tEENKUlT_SJ_SK_SL_E_clIPxSE_SF_SF_EESI_SY_SJ_SK_SL_EUlSY_E0_NS1_11comp_targetILNS1_3genE2ELNS1_11target_archE906ELNS1_3gpuE6ELNS1_3repE0EEENS1_38merge_mergepath_config_static_selectorELNS0_4arch9wavefront6targetE0EEEvSK_,"axG",@progbits,_ZN7rocprim17ROCPRIM_400000_NS6detail17trampoline_kernelINS0_14default_configENS1_38merge_sort_block_merge_config_selectorIxNS0_10empty_typeEEEZZNS1_27merge_sort_block_merge_implIS3_N6thrust23THRUST_200600_302600_NS6detail15normal_iteratorINS9_10device_ptrIxEEEEPS5_m9comp_mod3IxEEE10hipError_tT0_T1_T2_jT3_P12ihipStream_tbPNSt15iterator_traitsISJ_E10value_typeEPNSP_ISK_E10value_typeEPSL_NS1_7vsmem_tEENKUlT_SJ_SK_SL_E_clIPxSE_SF_SF_EESI_SY_SJ_SK_SL_EUlSY_E0_NS1_11comp_targetILNS1_3genE2ELNS1_11target_archE906ELNS1_3gpuE6ELNS1_3repE0EEENS1_38merge_mergepath_config_static_selectorELNS0_4arch9wavefront6targetE0EEEvSK_,comdat
	.protected	_ZN7rocprim17ROCPRIM_400000_NS6detail17trampoline_kernelINS0_14default_configENS1_38merge_sort_block_merge_config_selectorIxNS0_10empty_typeEEEZZNS1_27merge_sort_block_merge_implIS3_N6thrust23THRUST_200600_302600_NS6detail15normal_iteratorINS9_10device_ptrIxEEEEPS5_m9comp_mod3IxEEE10hipError_tT0_T1_T2_jT3_P12ihipStream_tbPNSt15iterator_traitsISJ_E10value_typeEPNSP_ISK_E10value_typeEPSL_NS1_7vsmem_tEENKUlT_SJ_SK_SL_E_clIPxSE_SF_SF_EESI_SY_SJ_SK_SL_EUlSY_E0_NS1_11comp_targetILNS1_3genE2ELNS1_11target_archE906ELNS1_3gpuE6ELNS1_3repE0EEENS1_38merge_mergepath_config_static_selectorELNS0_4arch9wavefront6targetE0EEEvSK_ ; -- Begin function _ZN7rocprim17ROCPRIM_400000_NS6detail17trampoline_kernelINS0_14default_configENS1_38merge_sort_block_merge_config_selectorIxNS0_10empty_typeEEEZZNS1_27merge_sort_block_merge_implIS3_N6thrust23THRUST_200600_302600_NS6detail15normal_iteratorINS9_10device_ptrIxEEEEPS5_m9comp_mod3IxEEE10hipError_tT0_T1_T2_jT3_P12ihipStream_tbPNSt15iterator_traitsISJ_E10value_typeEPNSP_ISK_E10value_typeEPSL_NS1_7vsmem_tEENKUlT_SJ_SK_SL_E_clIPxSE_SF_SF_EESI_SY_SJ_SK_SL_EUlSY_E0_NS1_11comp_targetILNS1_3genE2ELNS1_11target_archE906ELNS1_3gpuE6ELNS1_3repE0EEENS1_38merge_mergepath_config_static_selectorELNS0_4arch9wavefront6targetE0EEEvSK_
	.globl	_ZN7rocprim17ROCPRIM_400000_NS6detail17trampoline_kernelINS0_14default_configENS1_38merge_sort_block_merge_config_selectorIxNS0_10empty_typeEEEZZNS1_27merge_sort_block_merge_implIS3_N6thrust23THRUST_200600_302600_NS6detail15normal_iteratorINS9_10device_ptrIxEEEEPS5_m9comp_mod3IxEEE10hipError_tT0_T1_T2_jT3_P12ihipStream_tbPNSt15iterator_traitsISJ_E10value_typeEPNSP_ISK_E10value_typeEPSL_NS1_7vsmem_tEENKUlT_SJ_SK_SL_E_clIPxSE_SF_SF_EESI_SY_SJ_SK_SL_EUlSY_E0_NS1_11comp_targetILNS1_3genE2ELNS1_11target_archE906ELNS1_3gpuE6ELNS1_3repE0EEENS1_38merge_mergepath_config_static_selectorELNS0_4arch9wavefront6targetE0EEEvSK_
	.p2align	8
	.type	_ZN7rocprim17ROCPRIM_400000_NS6detail17trampoline_kernelINS0_14default_configENS1_38merge_sort_block_merge_config_selectorIxNS0_10empty_typeEEEZZNS1_27merge_sort_block_merge_implIS3_N6thrust23THRUST_200600_302600_NS6detail15normal_iteratorINS9_10device_ptrIxEEEEPS5_m9comp_mod3IxEEE10hipError_tT0_T1_T2_jT3_P12ihipStream_tbPNSt15iterator_traitsISJ_E10value_typeEPNSP_ISK_E10value_typeEPSL_NS1_7vsmem_tEENKUlT_SJ_SK_SL_E_clIPxSE_SF_SF_EESI_SY_SJ_SK_SL_EUlSY_E0_NS1_11comp_targetILNS1_3genE2ELNS1_11target_archE906ELNS1_3gpuE6ELNS1_3repE0EEENS1_38merge_mergepath_config_static_selectorELNS0_4arch9wavefront6targetE0EEEvSK_,@function
_ZN7rocprim17ROCPRIM_400000_NS6detail17trampoline_kernelINS0_14default_configENS1_38merge_sort_block_merge_config_selectorIxNS0_10empty_typeEEEZZNS1_27merge_sort_block_merge_implIS3_N6thrust23THRUST_200600_302600_NS6detail15normal_iteratorINS9_10device_ptrIxEEEEPS5_m9comp_mod3IxEEE10hipError_tT0_T1_T2_jT3_P12ihipStream_tbPNSt15iterator_traitsISJ_E10value_typeEPNSP_ISK_E10value_typeEPSL_NS1_7vsmem_tEENKUlT_SJ_SK_SL_E_clIPxSE_SF_SF_EESI_SY_SJ_SK_SL_EUlSY_E0_NS1_11comp_targetILNS1_3genE2ELNS1_11target_archE906ELNS1_3gpuE6ELNS1_3repE0EEENS1_38merge_mergepath_config_static_selectorELNS0_4arch9wavefront6targetE0EEEvSK_: ; @_ZN7rocprim17ROCPRIM_400000_NS6detail17trampoline_kernelINS0_14default_configENS1_38merge_sort_block_merge_config_selectorIxNS0_10empty_typeEEEZZNS1_27merge_sort_block_merge_implIS3_N6thrust23THRUST_200600_302600_NS6detail15normal_iteratorINS9_10device_ptrIxEEEEPS5_m9comp_mod3IxEEE10hipError_tT0_T1_T2_jT3_P12ihipStream_tbPNSt15iterator_traitsISJ_E10value_typeEPNSP_ISK_E10value_typeEPSL_NS1_7vsmem_tEENKUlT_SJ_SK_SL_E_clIPxSE_SF_SF_EESI_SY_SJ_SK_SL_EUlSY_E0_NS1_11comp_targetILNS1_3genE2ELNS1_11target_archE906ELNS1_3gpuE6ELNS1_3repE0EEENS1_38merge_mergepath_config_static_selectorELNS0_4arch9wavefront6targetE0EEEvSK_
; %bb.0:
	.section	.rodata,"a",@progbits
	.p2align	6, 0x0
	.amdhsa_kernel _ZN7rocprim17ROCPRIM_400000_NS6detail17trampoline_kernelINS0_14default_configENS1_38merge_sort_block_merge_config_selectorIxNS0_10empty_typeEEEZZNS1_27merge_sort_block_merge_implIS3_N6thrust23THRUST_200600_302600_NS6detail15normal_iteratorINS9_10device_ptrIxEEEEPS5_m9comp_mod3IxEEE10hipError_tT0_T1_T2_jT3_P12ihipStream_tbPNSt15iterator_traitsISJ_E10value_typeEPNSP_ISK_E10value_typeEPSL_NS1_7vsmem_tEENKUlT_SJ_SK_SL_E_clIPxSE_SF_SF_EESI_SY_SJ_SK_SL_EUlSY_E0_NS1_11comp_targetILNS1_3genE2ELNS1_11target_archE906ELNS1_3gpuE6ELNS1_3repE0EEENS1_38merge_mergepath_config_static_selectorELNS0_4arch9wavefront6targetE0EEEvSK_
		.amdhsa_group_segment_fixed_size 0
		.amdhsa_private_segment_fixed_size 0
		.amdhsa_kernarg_size 80
		.amdhsa_user_sgpr_count 6
		.amdhsa_user_sgpr_private_segment_buffer 1
		.amdhsa_user_sgpr_dispatch_ptr 0
		.amdhsa_user_sgpr_queue_ptr 0
		.amdhsa_user_sgpr_kernarg_segment_ptr 1
		.amdhsa_user_sgpr_dispatch_id 0
		.amdhsa_user_sgpr_flat_scratch_init 0
		.amdhsa_user_sgpr_private_segment_size 0
		.amdhsa_wavefront_size32 1
		.amdhsa_uses_dynamic_stack 0
		.amdhsa_system_sgpr_private_segment_wavefront_offset 0
		.amdhsa_system_sgpr_workgroup_id_x 1
		.amdhsa_system_sgpr_workgroup_id_y 0
		.amdhsa_system_sgpr_workgroup_id_z 0
		.amdhsa_system_sgpr_workgroup_info 0
		.amdhsa_system_vgpr_workitem_id 0
		.amdhsa_next_free_vgpr 1
		.amdhsa_next_free_sgpr 1
		.amdhsa_reserve_vcc 0
		.amdhsa_reserve_flat_scratch 0
		.amdhsa_float_round_mode_32 0
		.amdhsa_float_round_mode_16_64 0
		.amdhsa_float_denorm_mode_32 3
		.amdhsa_float_denorm_mode_16_64 3
		.amdhsa_dx10_clamp 1
		.amdhsa_ieee_mode 1
		.amdhsa_fp16_overflow 0
		.amdhsa_workgroup_processor_mode 1
		.amdhsa_memory_ordered 1
		.amdhsa_forward_progress 1
		.amdhsa_shared_vgpr_count 0
		.amdhsa_exception_fp_ieee_invalid_op 0
		.amdhsa_exception_fp_denorm_src 0
		.amdhsa_exception_fp_ieee_div_zero 0
		.amdhsa_exception_fp_ieee_overflow 0
		.amdhsa_exception_fp_ieee_underflow 0
		.amdhsa_exception_fp_ieee_inexact 0
		.amdhsa_exception_int_div_zero 0
	.end_amdhsa_kernel
	.section	.text._ZN7rocprim17ROCPRIM_400000_NS6detail17trampoline_kernelINS0_14default_configENS1_38merge_sort_block_merge_config_selectorIxNS0_10empty_typeEEEZZNS1_27merge_sort_block_merge_implIS3_N6thrust23THRUST_200600_302600_NS6detail15normal_iteratorINS9_10device_ptrIxEEEEPS5_m9comp_mod3IxEEE10hipError_tT0_T1_T2_jT3_P12ihipStream_tbPNSt15iterator_traitsISJ_E10value_typeEPNSP_ISK_E10value_typeEPSL_NS1_7vsmem_tEENKUlT_SJ_SK_SL_E_clIPxSE_SF_SF_EESI_SY_SJ_SK_SL_EUlSY_E0_NS1_11comp_targetILNS1_3genE2ELNS1_11target_archE906ELNS1_3gpuE6ELNS1_3repE0EEENS1_38merge_mergepath_config_static_selectorELNS0_4arch9wavefront6targetE0EEEvSK_,"axG",@progbits,_ZN7rocprim17ROCPRIM_400000_NS6detail17trampoline_kernelINS0_14default_configENS1_38merge_sort_block_merge_config_selectorIxNS0_10empty_typeEEEZZNS1_27merge_sort_block_merge_implIS3_N6thrust23THRUST_200600_302600_NS6detail15normal_iteratorINS9_10device_ptrIxEEEEPS5_m9comp_mod3IxEEE10hipError_tT0_T1_T2_jT3_P12ihipStream_tbPNSt15iterator_traitsISJ_E10value_typeEPNSP_ISK_E10value_typeEPSL_NS1_7vsmem_tEENKUlT_SJ_SK_SL_E_clIPxSE_SF_SF_EESI_SY_SJ_SK_SL_EUlSY_E0_NS1_11comp_targetILNS1_3genE2ELNS1_11target_archE906ELNS1_3gpuE6ELNS1_3repE0EEENS1_38merge_mergepath_config_static_selectorELNS0_4arch9wavefront6targetE0EEEvSK_,comdat
.Lfunc_end944:
	.size	_ZN7rocprim17ROCPRIM_400000_NS6detail17trampoline_kernelINS0_14default_configENS1_38merge_sort_block_merge_config_selectorIxNS0_10empty_typeEEEZZNS1_27merge_sort_block_merge_implIS3_N6thrust23THRUST_200600_302600_NS6detail15normal_iteratorINS9_10device_ptrIxEEEEPS5_m9comp_mod3IxEEE10hipError_tT0_T1_T2_jT3_P12ihipStream_tbPNSt15iterator_traitsISJ_E10value_typeEPNSP_ISK_E10value_typeEPSL_NS1_7vsmem_tEENKUlT_SJ_SK_SL_E_clIPxSE_SF_SF_EESI_SY_SJ_SK_SL_EUlSY_E0_NS1_11comp_targetILNS1_3genE2ELNS1_11target_archE906ELNS1_3gpuE6ELNS1_3repE0EEENS1_38merge_mergepath_config_static_selectorELNS0_4arch9wavefront6targetE0EEEvSK_, .Lfunc_end944-_ZN7rocprim17ROCPRIM_400000_NS6detail17trampoline_kernelINS0_14default_configENS1_38merge_sort_block_merge_config_selectorIxNS0_10empty_typeEEEZZNS1_27merge_sort_block_merge_implIS3_N6thrust23THRUST_200600_302600_NS6detail15normal_iteratorINS9_10device_ptrIxEEEEPS5_m9comp_mod3IxEEE10hipError_tT0_T1_T2_jT3_P12ihipStream_tbPNSt15iterator_traitsISJ_E10value_typeEPNSP_ISK_E10value_typeEPSL_NS1_7vsmem_tEENKUlT_SJ_SK_SL_E_clIPxSE_SF_SF_EESI_SY_SJ_SK_SL_EUlSY_E0_NS1_11comp_targetILNS1_3genE2ELNS1_11target_archE906ELNS1_3gpuE6ELNS1_3repE0EEENS1_38merge_mergepath_config_static_selectorELNS0_4arch9wavefront6targetE0EEEvSK_
                                        ; -- End function
	.set _ZN7rocprim17ROCPRIM_400000_NS6detail17trampoline_kernelINS0_14default_configENS1_38merge_sort_block_merge_config_selectorIxNS0_10empty_typeEEEZZNS1_27merge_sort_block_merge_implIS3_N6thrust23THRUST_200600_302600_NS6detail15normal_iteratorINS9_10device_ptrIxEEEEPS5_m9comp_mod3IxEEE10hipError_tT0_T1_T2_jT3_P12ihipStream_tbPNSt15iterator_traitsISJ_E10value_typeEPNSP_ISK_E10value_typeEPSL_NS1_7vsmem_tEENKUlT_SJ_SK_SL_E_clIPxSE_SF_SF_EESI_SY_SJ_SK_SL_EUlSY_E0_NS1_11comp_targetILNS1_3genE2ELNS1_11target_archE906ELNS1_3gpuE6ELNS1_3repE0EEENS1_38merge_mergepath_config_static_selectorELNS0_4arch9wavefront6targetE0EEEvSK_.num_vgpr, 0
	.set _ZN7rocprim17ROCPRIM_400000_NS6detail17trampoline_kernelINS0_14default_configENS1_38merge_sort_block_merge_config_selectorIxNS0_10empty_typeEEEZZNS1_27merge_sort_block_merge_implIS3_N6thrust23THRUST_200600_302600_NS6detail15normal_iteratorINS9_10device_ptrIxEEEEPS5_m9comp_mod3IxEEE10hipError_tT0_T1_T2_jT3_P12ihipStream_tbPNSt15iterator_traitsISJ_E10value_typeEPNSP_ISK_E10value_typeEPSL_NS1_7vsmem_tEENKUlT_SJ_SK_SL_E_clIPxSE_SF_SF_EESI_SY_SJ_SK_SL_EUlSY_E0_NS1_11comp_targetILNS1_3genE2ELNS1_11target_archE906ELNS1_3gpuE6ELNS1_3repE0EEENS1_38merge_mergepath_config_static_selectorELNS0_4arch9wavefront6targetE0EEEvSK_.num_agpr, 0
	.set _ZN7rocprim17ROCPRIM_400000_NS6detail17trampoline_kernelINS0_14default_configENS1_38merge_sort_block_merge_config_selectorIxNS0_10empty_typeEEEZZNS1_27merge_sort_block_merge_implIS3_N6thrust23THRUST_200600_302600_NS6detail15normal_iteratorINS9_10device_ptrIxEEEEPS5_m9comp_mod3IxEEE10hipError_tT0_T1_T2_jT3_P12ihipStream_tbPNSt15iterator_traitsISJ_E10value_typeEPNSP_ISK_E10value_typeEPSL_NS1_7vsmem_tEENKUlT_SJ_SK_SL_E_clIPxSE_SF_SF_EESI_SY_SJ_SK_SL_EUlSY_E0_NS1_11comp_targetILNS1_3genE2ELNS1_11target_archE906ELNS1_3gpuE6ELNS1_3repE0EEENS1_38merge_mergepath_config_static_selectorELNS0_4arch9wavefront6targetE0EEEvSK_.numbered_sgpr, 0
	.set _ZN7rocprim17ROCPRIM_400000_NS6detail17trampoline_kernelINS0_14default_configENS1_38merge_sort_block_merge_config_selectorIxNS0_10empty_typeEEEZZNS1_27merge_sort_block_merge_implIS3_N6thrust23THRUST_200600_302600_NS6detail15normal_iteratorINS9_10device_ptrIxEEEEPS5_m9comp_mod3IxEEE10hipError_tT0_T1_T2_jT3_P12ihipStream_tbPNSt15iterator_traitsISJ_E10value_typeEPNSP_ISK_E10value_typeEPSL_NS1_7vsmem_tEENKUlT_SJ_SK_SL_E_clIPxSE_SF_SF_EESI_SY_SJ_SK_SL_EUlSY_E0_NS1_11comp_targetILNS1_3genE2ELNS1_11target_archE906ELNS1_3gpuE6ELNS1_3repE0EEENS1_38merge_mergepath_config_static_selectorELNS0_4arch9wavefront6targetE0EEEvSK_.num_named_barrier, 0
	.set _ZN7rocprim17ROCPRIM_400000_NS6detail17trampoline_kernelINS0_14default_configENS1_38merge_sort_block_merge_config_selectorIxNS0_10empty_typeEEEZZNS1_27merge_sort_block_merge_implIS3_N6thrust23THRUST_200600_302600_NS6detail15normal_iteratorINS9_10device_ptrIxEEEEPS5_m9comp_mod3IxEEE10hipError_tT0_T1_T2_jT3_P12ihipStream_tbPNSt15iterator_traitsISJ_E10value_typeEPNSP_ISK_E10value_typeEPSL_NS1_7vsmem_tEENKUlT_SJ_SK_SL_E_clIPxSE_SF_SF_EESI_SY_SJ_SK_SL_EUlSY_E0_NS1_11comp_targetILNS1_3genE2ELNS1_11target_archE906ELNS1_3gpuE6ELNS1_3repE0EEENS1_38merge_mergepath_config_static_selectorELNS0_4arch9wavefront6targetE0EEEvSK_.private_seg_size, 0
	.set _ZN7rocprim17ROCPRIM_400000_NS6detail17trampoline_kernelINS0_14default_configENS1_38merge_sort_block_merge_config_selectorIxNS0_10empty_typeEEEZZNS1_27merge_sort_block_merge_implIS3_N6thrust23THRUST_200600_302600_NS6detail15normal_iteratorINS9_10device_ptrIxEEEEPS5_m9comp_mod3IxEEE10hipError_tT0_T1_T2_jT3_P12ihipStream_tbPNSt15iterator_traitsISJ_E10value_typeEPNSP_ISK_E10value_typeEPSL_NS1_7vsmem_tEENKUlT_SJ_SK_SL_E_clIPxSE_SF_SF_EESI_SY_SJ_SK_SL_EUlSY_E0_NS1_11comp_targetILNS1_3genE2ELNS1_11target_archE906ELNS1_3gpuE6ELNS1_3repE0EEENS1_38merge_mergepath_config_static_selectorELNS0_4arch9wavefront6targetE0EEEvSK_.uses_vcc, 0
	.set _ZN7rocprim17ROCPRIM_400000_NS6detail17trampoline_kernelINS0_14default_configENS1_38merge_sort_block_merge_config_selectorIxNS0_10empty_typeEEEZZNS1_27merge_sort_block_merge_implIS3_N6thrust23THRUST_200600_302600_NS6detail15normal_iteratorINS9_10device_ptrIxEEEEPS5_m9comp_mod3IxEEE10hipError_tT0_T1_T2_jT3_P12ihipStream_tbPNSt15iterator_traitsISJ_E10value_typeEPNSP_ISK_E10value_typeEPSL_NS1_7vsmem_tEENKUlT_SJ_SK_SL_E_clIPxSE_SF_SF_EESI_SY_SJ_SK_SL_EUlSY_E0_NS1_11comp_targetILNS1_3genE2ELNS1_11target_archE906ELNS1_3gpuE6ELNS1_3repE0EEENS1_38merge_mergepath_config_static_selectorELNS0_4arch9wavefront6targetE0EEEvSK_.uses_flat_scratch, 0
	.set _ZN7rocprim17ROCPRIM_400000_NS6detail17trampoline_kernelINS0_14default_configENS1_38merge_sort_block_merge_config_selectorIxNS0_10empty_typeEEEZZNS1_27merge_sort_block_merge_implIS3_N6thrust23THRUST_200600_302600_NS6detail15normal_iteratorINS9_10device_ptrIxEEEEPS5_m9comp_mod3IxEEE10hipError_tT0_T1_T2_jT3_P12ihipStream_tbPNSt15iterator_traitsISJ_E10value_typeEPNSP_ISK_E10value_typeEPSL_NS1_7vsmem_tEENKUlT_SJ_SK_SL_E_clIPxSE_SF_SF_EESI_SY_SJ_SK_SL_EUlSY_E0_NS1_11comp_targetILNS1_3genE2ELNS1_11target_archE906ELNS1_3gpuE6ELNS1_3repE0EEENS1_38merge_mergepath_config_static_selectorELNS0_4arch9wavefront6targetE0EEEvSK_.has_dyn_sized_stack, 0
	.set _ZN7rocprim17ROCPRIM_400000_NS6detail17trampoline_kernelINS0_14default_configENS1_38merge_sort_block_merge_config_selectorIxNS0_10empty_typeEEEZZNS1_27merge_sort_block_merge_implIS3_N6thrust23THRUST_200600_302600_NS6detail15normal_iteratorINS9_10device_ptrIxEEEEPS5_m9comp_mod3IxEEE10hipError_tT0_T1_T2_jT3_P12ihipStream_tbPNSt15iterator_traitsISJ_E10value_typeEPNSP_ISK_E10value_typeEPSL_NS1_7vsmem_tEENKUlT_SJ_SK_SL_E_clIPxSE_SF_SF_EESI_SY_SJ_SK_SL_EUlSY_E0_NS1_11comp_targetILNS1_3genE2ELNS1_11target_archE906ELNS1_3gpuE6ELNS1_3repE0EEENS1_38merge_mergepath_config_static_selectorELNS0_4arch9wavefront6targetE0EEEvSK_.has_recursion, 0
	.set _ZN7rocprim17ROCPRIM_400000_NS6detail17trampoline_kernelINS0_14default_configENS1_38merge_sort_block_merge_config_selectorIxNS0_10empty_typeEEEZZNS1_27merge_sort_block_merge_implIS3_N6thrust23THRUST_200600_302600_NS6detail15normal_iteratorINS9_10device_ptrIxEEEEPS5_m9comp_mod3IxEEE10hipError_tT0_T1_T2_jT3_P12ihipStream_tbPNSt15iterator_traitsISJ_E10value_typeEPNSP_ISK_E10value_typeEPSL_NS1_7vsmem_tEENKUlT_SJ_SK_SL_E_clIPxSE_SF_SF_EESI_SY_SJ_SK_SL_EUlSY_E0_NS1_11comp_targetILNS1_3genE2ELNS1_11target_archE906ELNS1_3gpuE6ELNS1_3repE0EEENS1_38merge_mergepath_config_static_selectorELNS0_4arch9wavefront6targetE0EEEvSK_.has_indirect_call, 0
	.section	.AMDGPU.csdata,"",@progbits
; Kernel info:
; codeLenInByte = 0
; TotalNumSgprs: 0
; NumVgprs: 0
; ScratchSize: 0
; MemoryBound: 0
; FloatMode: 240
; IeeeMode: 1
; LDSByteSize: 0 bytes/workgroup (compile time only)
; SGPRBlocks: 0
; VGPRBlocks: 0
; NumSGPRsForWavesPerEU: 1
; NumVGPRsForWavesPerEU: 1
; Occupancy: 16
; WaveLimiterHint : 0
; COMPUTE_PGM_RSRC2:SCRATCH_EN: 0
; COMPUTE_PGM_RSRC2:USER_SGPR: 6
; COMPUTE_PGM_RSRC2:TRAP_HANDLER: 0
; COMPUTE_PGM_RSRC2:TGID_X_EN: 1
; COMPUTE_PGM_RSRC2:TGID_Y_EN: 0
; COMPUTE_PGM_RSRC2:TGID_Z_EN: 0
; COMPUTE_PGM_RSRC2:TIDIG_COMP_CNT: 0
	.section	.text._ZN7rocprim17ROCPRIM_400000_NS6detail17trampoline_kernelINS0_14default_configENS1_38merge_sort_block_merge_config_selectorIxNS0_10empty_typeEEEZZNS1_27merge_sort_block_merge_implIS3_N6thrust23THRUST_200600_302600_NS6detail15normal_iteratorINS9_10device_ptrIxEEEEPS5_m9comp_mod3IxEEE10hipError_tT0_T1_T2_jT3_P12ihipStream_tbPNSt15iterator_traitsISJ_E10value_typeEPNSP_ISK_E10value_typeEPSL_NS1_7vsmem_tEENKUlT_SJ_SK_SL_E_clIPxSE_SF_SF_EESI_SY_SJ_SK_SL_EUlSY_E0_NS1_11comp_targetILNS1_3genE9ELNS1_11target_archE1100ELNS1_3gpuE3ELNS1_3repE0EEENS1_38merge_mergepath_config_static_selectorELNS0_4arch9wavefront6targetE0EEEvSK_,"axG",@progbits,_ZN7rocprim17ROCPRIM_400000_NS6detail17trampoline_kernelINS0_14default_configENS1_38merge_sort_block_merge_config_selectorIxNS0_10empty_typeEEEZZNS1_27merge_sort_block_merge_implIS3_N6thrust23THRUST_200600_302600_NS6detail15normal_iteratorINS9_10device_ptrIxEEEEPS5_m9comp_mod3IxEEE10hipError_tT0_T1_T2_jT3_P12ihipStream_tbPNSt15iterator_traitsISJ_E10value_typeEPNSP_ISK_E10value_typeEPSL_NS1_7vsmem_tEENKUlT_SJ_SK_SL_E_clIPxSE_SF_SF_EESI_SY_SJ_SK_SL_EUlSY_E0_NS1_11comp_targetILNS1_3genE9ELNS1_11target_archE1100ELNS1_3gpuE3ELNS1_3repE0EEENS1_38merge_mergepath_config_static_selectorELNS0_4arch9wavefront6targetE0EEEvSK_,comdat
	.protected	_ZN7rocprim17ROCPRIM_400000_NS6detail17trampoline_kernelINS0_14default_configENS1_38merge_sort_block_merge_config_selectorIxNS0_10empty_typeEEEZZNS1_27merge_sort_block_merge_implIS3_N6thrust23THRUST_200600_302600_NS6detail15normal_iteratorINS9_10device_ptrIxEEEEPS5_m9comp_mod3IxEEE10hipError_tT0_T1_T2_jT3_P12ihipStream_tbPNSt15iterator_traitsISJ_E10value_typeEPNSP_ISK_E10value_typeEPSL_NS1_7vsmem_tEENKUlT_SJ_SK_SL_E_clIPxSE_SF_SF_EESI_SY_SJ_SK_SL_EUlSY_E0_NS1_11comp_targetILNS1_3genE9ELNS1_11target_archE1100ELNS1_3gpuE3ELNS1_3repE0EEENS1_38merge_mergepath_config_static_selectorELNS0_4arch9wavefront6targetE0EEEvSK_ ; -- Begin function _ZN7rocprim17ROCPRIM_400000_NS6detail17trampoline_kernelINS0_14default_configENS1_38merge_sort_block_merge_config_selectorIxNS0_10empty_typeEEEZZNS1_27merge_sort_block_merge_implIS3_N6thrust23THRUST_200600_302600_NS6detail15normal_iteratorINS9_10device_ptrIxEEEEPS5_m9comp_mod3IxEEE10hipError_tT0_T1_T2_jT3_P12ihipStream_tbPNSt15iterator_traitsISJ_E10value_typeEPNSP_ISK_E10value_typeEPSL_NS1_7vsmem_tEENKUlT_SJ_SK_SL_E_clIPxSE_SF_SF_EESI_SY_SJ_SK_SL_EUlSY_E0_NS1_11comp_targetILNS1_3genE9ELNS1_11target_archE1100ELNS1_3gpuE3ELNS1_3repE0EEENS1_38merge_mergepath_config_static_selectorELNS0_4arch9wavefront6targetE0EEEvSK_
	.globl	_ZN7rocprim17ROCPRIM_400000_NS6detail17trampoline_kernelINS0_14default_configENS1_38merge_sort_block_merge_config_selectorIxNS0_10empty_typeEEEZZNS1_27merge_sort_block_merge_implIS3_N6thrust23THRUST_200600_302600_NS6detail15normal_iteratorINS9_10device_ptrIxEEEEPS5_m9comp_mod3IxEEE10hipError_tT0_T1_T2_jT3_P12ihipStream_tbPNSt15iterator_traitsISJ_E10value_typeEPNSP_ISK_E10value_typeEPSL_NS1_7vsmem_tEENKUlT_SJ_SK_SL_E_clIPxSE_SF_SF_EESI_SY_SJ_SK_SL_EUlSY_E0_NS1_11comp_targetILNS1_3genE9ELNS1_11target_archE1100ELNS1_3gpuE3ELNS1_3repE0EEENS1_38merge_mergepath_config_static_selectorELNS0_4arch9wavefront6targetE0EEEvSK_
	.p2align	8
	.type	_ZN7rocprim17ROCPRIM_400000_NS6detail17trampoline_kernelINS0_14default_configENS1_38merge_sort_block_merge_config_selectorIxNS0_10empty_typeEEEZZNS1_27merge_sort_block_merge_implIS3_N6thrust23THRUST_200600_302600_NS6detail15normal_iteratorINS9_10device_ptrIxEEEEPS5_m9comp_mod3IxEEE10hipError_tT0_T1_T2_jT3_P12ihipStream_tbPNSt15iterator_traitsISJ_E10value_typeEPNSP_ISK_E10value_typeEPSL_NS1_7vsmem_tEENKUlT_SJ_SK_SL_E_clIPxSE_SF_SF_EESI_SY_SJ_SK_SL_EUlSY_E0_NS1_11comp_targetILNS1_3genE9ELNS1_11target_archE1100ELNS1_3gpuE3ELNS1_3repE0EEENS1_38merge_mergepath_config_static_selectorELNS0_4arch9wavefront6targetE0EEEvSK_,@function
_ZN7rocprim17ROCPRIM_400000_NS6detail17trampoline_kernelINS0_14default_configENS1_38merge_sort_block_merge_config_selectorIxNS0_10empty_typeEEEZZNS1_27merge_sort_block_merge_implIS3_N6thrust23THRUST_200600_302600_NS6detail15normal_iteratorINS9_10device_ptrIxEEEEPS5_m9comp_mod3IxEEE10hipError_tT0_T1_T2_jT3_P12ihipStream_tbPNSt15iterator_traitsISJ_E10value_typeEPNSP_ISK_E10value_typeEPSL_NS1_7vsmem_tEENKUlT_SJ_SK_SL_E_clIPxSE_SF_SF_EESI_SY_SJ_SK_SL_EUlSY_E0_NS1_11comp_targetILNS1_3genE9ELNS1_11target_archE1100ELNS1_3gpuE3ELNS1_3repE0EEENS1_38merge_mergepath_config_static_selectorELNS0_4arch9wavefront6targetE0EEEvSK_: ; @_ZN7rocprim17ROCPRIM_400000_NS6detail17trampoline_kernelINS0_14default_configENS1_38merge_sort_block_merge_config_selectorIxNS0_10empty_typeEEEZZNS1_27merge_sort_block_merge_implIS3_N6thrust23THRUST_200600_302600_NS6detail15normal_iteratorINS9_10device_ptrIxEEEEPS5_m9comp_mod3IxEEE10hipError_tT0_T1_T2_jT3_P12ihipStream_tbPNSt15iterator_traitsISJ_E10value_typeEPNSP_ISK_E10value_typeEPSL_NS1_7vsmem_tEENKUlT_SJ_SK_SL_E_clIPxSE_SF_SF_EESI_SY_SJ_SK_SL_EUlSY_E0_NS1_11comp_targetILNS1_3genE9ELNS1_11target_archE1100ELNS1_3gpuE3ELNS1_3repE0EEENS1_38merge_mergepath_config_static_selectorELNS0_4arch9wavefront6targetE0EEEvSK_
; %bb.0:
	.section	.rodata,"a",@progbits
	.p2align	6, 0x0
	.amdhsa_kernel _ZN7rocprim17ROCPRIM_400000_NS6detail17trampoline_kernelINS0_14default_configENS1_38merge_sort_block_merge_config_selectorIxNS0_10empty_typeEEEZZNS1_27merge_sort_block_merge_implIS3_N6thrust23THRUST_200600_302600_NS6detail15normal_iteratorINS9_10device_ptrIxEEEEPS5_m9comp_mod3IxEEE10hipError_tT0_T1_T2_jT3_P12ihipStream_tbPNSt15iterator_traitsISJ_E10value_typeEPNSP_ISK_E10value_typeEPSL_NS1_7vsmem_tEENKUlT_SJ_SK_SL_E_clIPxSE_SF_SF_EESI_SY_SJ_SK_SL_EUlSY_E0_NS1_11comp_targetILNS1_3genE9ELNS1_11target_archE1100ELNS1_3gpuE3ELNS1_3repE0EEENS1_38merge_mergepath_config_static_selectorELNS0_4arch9wavefront6targetE0EEEvSK_
		.amdhsa_group_segment_fixed_size 0
		.amdhsa_private_segment_fixed_size 0
		.amdhsa_kernarg_size 80
		.amdhsa_user_sgpr_count 6
		.amdhsa_user_sgpr_private_segment_buffer 1
		.amdhsa_user_sgpr_dispatch_ptr 0
		.amdhsa_user_sgpr_queue_ptr 0
		.amdhsa_user_sgpr_kernarg_segment_ptr 1
		.amdhsa_user_sgpr_dispatch_id 0
		.amdhsa_user_sgpr_flat_scratch_init 0
		.amdhsa_user_sgpr_private_segment_size 0
		.amdhsa_wavefront_size32 1
		.amdhsa_uses_dynamic_stack 0
		.amdhsa_system_sgpr_private_segment_wavefront_offset 0
		.amdhsa_system_sgpr_workgroup_id_x 1
		.amdhsa_system_sgpr_workgroup_id_y 0
		.amdhsa_system_sgpr_workgroup_id_z 0
		.amdhsa_system_sgpr_workgroup_info 0
		.amdhsa_system_vgpr_workitem_id 0
		.amdhsa_next_free_vgpr 1
		.amdhsa_next_free_sgpr 1
		.amdhsa_reserve_vcc 0
		.amdhsa_reserve_flat_scratch 0
		.amdhsa_float_round_mode_32 0
		.amdhsa_float_round_mode_16_64 0
		.amdhsa_float_denorm_mode_32 3
		.amdhsa_float_denorm_mode_16_64 3
		.amdhsa_dx10_clamp 1
		.amdhsa_ieee_mode 1
		.amdhsa_fp16_overflow 0
		.amdhsa_workgroup_processor_mode 1
		.amdhsa_memory_ordered 1
		.amdhsa_forward_progress 1
		.amdhsa_shared_vgpr_count 0
		.amdhsa_exception_fp_ieee_invalid_op 0
		.amdhsa_exception_fp_denorm_src 0
		.amdhsa_exception_fp_ieee_div_zero 0
		.amdhsa_exception_fp_ieee_overflow 0
		.amdhsa_exception_fp_ieee_underflow 0
		.amdhsa_exception_fp_ieee_inexact 0
		.amdhsa_exception_int_div_zero 0
	.end_amdhsa_kernel
	.section	.text._ZN7rocprim17ROCPRIM_400000_NS6detail17trampoline_kernelINS0_14default_configENS1_38merge_sort_block_merge_config_selectorIxNS0_10empty_typeEEEZZNS1_27merge_sort_block_merge_implIS3_N6thrust23THRUST_200600_302600_NS6detail15normal_iteratorINS9_10device_ptrIxEEEEPS5_m9comp_mod3IxEEE10hipError_tT0_T1_T2_jT3_P12ihipStream_tbPNSt15iterator_traitsISJ_E10value_typeEPNSP_ISK_E10value_typeEPSL_NS1_7vsmem_tEENKUlT_SJ_SK_SL_E_clIPxSE_SF_SF_EESI_SY_SJ_SK_SL_EUlSY_E0_NS1_11comp_targetILNS1_3genE9ELNS1_11target_archE1100ELNS1_3gpuE3ELNS1_3repE0EEENS1_38merge_mergepath_config_static_selectorELNS0_4arch9wavefront6targetE0EEEvSK_,"axG",@progbits,_ZN7rocprim17ROCPRIM_400000_NS6detail17trampoline_kernelINS0_14default_configENS1_38merge_sort_block_merge_config_selectorIxNS0_10empty_typeEEEZZNS1_27merge_sort_block_merge_implIS3_N6thrust23THRUST_200600_302600_NS6detail15normal_iteratorINS9_10device_ptrIxEEEEPS5_m9comp_mod3IxEEE10hipError_tT0_T1_T2_jT3_P12ihipStream_tbPNSt15iterator_traitsISJ_E10value_typeEPNSP_ISK_E10value_typeEPSL_NS1_7vsmem_tEENKUlT_SJ_SK_SL_E_clIPxSE_SF_SF_EESI_SY_SJ_SK_SL_EUlSY_E0_NS1_11comp_targetILNS1_3genE9ELNS1_11target_archE1100ELNS1_3gpuE3ELNS1_3repE0EEENS1_38merge_mergepath_config_static_selectorELNS0_4arch9wavefront6targetE0EEEvSK_,comdat
.Lfunc_end945:
	.size	_ZN7rocprim17ROCPRIM_400000_NS6detail17trampoline_kernelINS0_14default_configENS1_38merge_sort_block_merge_config_selectorIxNS0_10empty_typeEEEZZNS1_27merge_sort_block_merge_implIS3_N6thrust23THRUST_200600_302600_NS6detail15normal_iteratorINS9_10device_ptrIxEEEEPS5_m9comp_mod3IxEEE10hipError_tT0_T1_T2_jT3_P12ihipStream_tbPNSt15iterator_traitsISJ_E10value_typeEPNSP_ISK_E10value_typeEPSL_NS1_7vsmem_tEENKUlT_SJ_SK_SL_E_clIPxSE_SF_SF_EESI_SY_SJ_SK_SL_EUlSY_E0_NS1_11comp_targetILNS1_3genE9ELNS1_11target_archE1100ELNS1_3gpuE3ELNS1_3repE0EEENS1_38merge_mergepath_config_static_selectorELNS0_4arch9wavefront6targetE0EEEvSK_, .Lfunc_end945-_ZN7rocprim17ROCPRIM_400000_NS6detail17trampoline_kernelINS0_14default_configENS1_38merge_sort_block_merge_config_selectorIxNS0_10empty_typeEEEZZNS1_27merge_sort_block_merge_implIS3_N6thrust23THRUST_200600_302600_NS6detail15normal_iteratorINS9_10device_ptrIxEEEEPS5_m9comp_mod3IxEEE10hipError_tT0_T1_T2_jT3_P12ihipStream_tbPNSt15iterator_traitsISJ_E10value_typeEPNSP_ISK_E10value_typeEPSL_NS1_7vsmem_tEENKUlT_SJ_SK_SL_E_clIPxSE_SF_SF_EESI_SY_SJ_SK_SL_EUlSY_E0_NS1_11comp_targetILNS1_3genE9ELNS1_11target_archE1100ELNS1_3gpuE3ELNS1_3repE0EEENS1_38merge_mergepath_config_static_selectorELNS0_4arch9wavefront6targetE0EEEvSK_
                                        ; -- End function
	.set _ZN7rocprim17ROCPRIM_400000_NS6detail17trampoline_kernelINS0_14default_configENS1_38merge_sort_block_merge_config_selectorIxNS0_10empty_typeEEEZZNS1_27merge_sort_block_merge_implIS3_N6thrust23THRUST_200600_302600_NS6detail15normal_iteratorINS9_10device_ptrIxEEEEPS5_m9comp_mod3IxEEE10hipError_tT0_T1_T2_jT3_P12ihipStream_tbPNSt15iterator_traitsISJ_E10value_typeEPNSP_ISK_E10value_typeEPSL_NS1_7vsmem_tEENKUlT_SJ_SK_SL_E_clIPxSE_SF_SF_EESI_SY_SJ_SK_SL_EUlSY_E0_NS1_11comp_targetILNS1_3genE9ELNS1_11target_archE1100ELNS1_3gpuE3ELNS1_3repE0EEENS1_38merge_mergepath_config_static_selectorELNS0_4arch9wavefront6targetE0EEEvSK_.num_vgpr, 0
	.set _ZN7rocprim17ROCPRIM_400000_NS6detail17trampoline_kernelINS0_14default_configENS1_38merge_sort_block_merge_config_selectorIxNS0_10empty_typeEEEZZNS1_27merge_sort_block_merge_implIS3_N6thrust23THRUST_200600_302600_NS6detail15normal_iteratorINS9_10device_ptrIxEEEEPS5_m9comp_mod3IxEEE10hipError_tT0_T1_T2_jT3_P12ihipStream_tbPNSt15iterator_traitsISJ_E10value_typeEPNSP_ISK_E10value_typeEPSL_NS1_7vsmem_tEENKUlT_SJ_SK_SL_E_clIPxSE_SF_SF_EESI_SY_SJ_SK_SL_EUlSY_E0_NS1_11comp_targetILNS1_3genE9ELNS1_11target_archE1100ELNS1_3gpuE3ELNS1_3repE0EEENS1_38merge_mergepath_config_static_selectorELNS0_4arch9wavefront6targetE0EEEvSK_.num_agpr, 0
	.set _ZN7rocprim17ROCPRIM_400000_NS6detail17trampoline_kernelINS0_14default_configENS1_38merge_sort_block_merge_config_selectorIxNS0_10empty_typeEEEZZNS1_27merge_sort_block_merge_implIS3_N6thrust23THRUST_200600_302600_NS6detail15normal_iteratorINS9_10device_ptrIxEEEEPS5_m9comp_mod3IxEEE10hipError_tT0_T1_T2_jT3_P12ihipStream_tbPNSt15iterator_traitsISJ_E10value_typeEPNSP_ISK_E10value_typeEPSL_NS1_7vsmem_tEENKUlT_SJ_SK_SL_E_clIPxSE_SF_SF_EESI_SY_SJ_SK_SL_EUlSY_E0_NS1_11comp_targetILNS1_3genE9ELNS1_11target_archE1100ELNS1_3gpuE3ELNS1_3repE0EEENS1_38merge_mergepath_config_static_selectorELNS0_4arch9wavefront6targetE0EEEvSK_.numbered_sgpr, 0
	.set _ZN7rocprim17ROCPRIM_400000_NS6detail17trampoline_kernelINS0_14default_configENS1_38merge_sort_block_merge_config_selectorIxNS0_10empty_typeEEEZZNS1_27merge_sort_block_merge_implIS3_N6thrust23THRUST_200600_302600_NS6detail15normal_iteratorINS9_10device_ptrIxEEEEPS5_m9comp_mod3IxEEE10hipError_tT0_T1_T2_jT3_P12ihipStream_tbPNSt15iterator_traitsISJ_E10value_typeEPNSP_ISK_E10value_typeEPSL_NS1_7vsmem_tEENKUlT_SJ_SK_SL_E_clIPxSE_SF_SF_EESI_SY_SJ_SK_SL_EUlSY_E0_NS1_11comp_targetILNS1_3genE9ELNS1_11target_archE1100ELNS1_3gpuE3ELNS1_3repE0EEENS1_38merge_mergepath_config_static_selectorELNS0_4arch9wavefront6targetE0EEEvSK_.num_named_barrier, 0
	.set _ZN7rocprim17ROCPRIM_400000_NS6detail17trampoline_kernelINS0_14default_configENS1_38merge_sort_block_merge_config_selectorIxNS0_10empty_typeEEEZZNS1_27merge_sort_block_merge_implIS3_N6thrust23THRUST_200600_302600_NS6detail15normal_iteratorINS9_10device_ptrIxEEEEPS5_m9comp_mod3IxEEE10hipError_tT0_T1_T2_jT3_P12ihipStream_tbPNSt15iterator_traitsISJ_E10value_typeEPNSP_ISK_E10value_typeEPSL_NS1_7vsmem_tEENKUlT_SJ_SK_SL_E_clIPxSE_SF_SF_EESI_SY_SJ_SK_SL_EUlSY_E0_NS1_11comp_targetILNS1_3genE9ELNS1_11target_archE1100ELNS1_3gpuE3ELNS1_3repE0EEENS1_38merge_mergepath_config_static_selectorELNS0_4arch9wavefront6targetE0EEEvSK_.private_seg_size, 0
	.set _ZN7rocprim17ROCPRIM_400000_NS6detail17trampoline_kernelINS0_14default_configENS1_38merge_sort_block_merge_config_selectorIxNS0_10empty_typeEEEZZNS1_27merge_sort_block_merge_implIS3_N6thrust23THRUST_200600_302600_NS6detail15normal_iteratorINS9_10device_ptrIxEEEEPS5_m9comp_mod3IxEEE10hipError_tT0_T1_T2_jT3_P12ihipStream_tbPNSt15iterator_traitsISJ_E10value_typeEPNSP_ISK_E10value_typeEPSL_NS1_7vsmem_tEENKUlT_SJ_SK_SL_E_clIPxSE_SF_SF_EESI_SY_SJ_SK_SL_EUlSY_E0_NS1_11comp_targetILNS1_3genE9ELNS1_11target_archE1100ELNS1_3gpuE3ELNS1_3repE0EEENS1_38merge_mergepath_config_static_selectorELNS0_4arch9wavefront6targetE0EEEvSK_.uses_vcc, 0
	.set _ZN7rocprim17ROCPRIM_400000_NS6detail17trampoline_kernelINS0_14default_configENS1_38merge_sort_block_merge_config_selectorIxNS0_10empty_typeEEEZZNS1_27merge_sort_block_merge_implIS3_N6thrust23THRUST_200600_302600_NS6detail15normal_iteratorINS9_10device_ptrIxEEEEPS5_m9comp_mod3IxEEE10hipError_tT0_T1_T2_jT3_P12ihipStream_tbPNSt15iterator_traitsISJ_E10value_typeEPNSP_ISK_E10value_typeEPSL_NS1_7vsmem_tEENKUlT_SJ_SK_SL_E_clIPxSE_SF_SF_EESI_SY_SJ_SK_SL_EUlSY_E0_NS1_11comp_targetILNS1_3genE9ELNS1_11target_archE1100ELNS1_3gpuE3ELNS1_3repE0EEENS1_38merge_mergepath_config_static_selectorELNS0_4arch9wavefront6targetE0EEEvSK_.uses_flat_scratch, 0
	.set _ZN7rocprim17ROCPRIM_400000_NS6detail17trampoline_kernelINS0_14default_configENS1_38merge_sort_block_merge_config_selectorIxNS0_10empty_typeEEEZZNS1_27merge_sort_block_merge_implIS3_N6thrust23THRUST_200600_302600_NS6detail15normal_iteratorINS9_10device_ptrIxEEEEPS5_m9comp_mod3IxEEE10hipError_tT0_T1_T2_jT3_P12ihipStream_tbPNSt15iterator_traitsISJ_E10value_typeEPNSP_ISK_E10value_typeEPSL_NS1_7vsmem_tEENKUlT_SJ_SK_SL_E_clIPxSE_SF_SF_EESI_SY_SJ_SK_SL_EUlSY_E0_NS1_11comp_targetILNS1_3genE9ELNS1_11target_archE1100ELNS1_3gpuE3ELNS1_3repE0EEENS1_38merge_mergepath_config_static_selectorELNS0_4arch9wavefront6targetE0EEEvSK_.has_dyn_sized_stack, 0
	.set _ZN7rocprim17ROCPRIM_400000_NS6detail17trampoline_kernelINS0_14default_configENS1_38merge_sort_block_merge_config_selectorIxNS0_10empty_typeEEEZZNS1_27merge_sort_block_merge_implIS3_N6thrust23THRUST_200600_302600_NS6detail15normal_iteratorINS9_10device_ptrIxEEEEPS5_m9comp_mod3IxEEE10hipError_tT0_T1_T2_jT3_P12ihipStream_tbPNSt15iterator_traitsISJ_E10value_typeEPNSP_ISK_E10value_typeEPSL_NS1_7vsmem_tEENKUlT_SJ_SK_SL_E_clIPxSE_SF_SF_EESI_SY_SJ_SK_SL_EUlSY_E0_NS1_11comp_targetILNS1_3genE9ELNS1_11target_archE1100ELNS1_3gpuE3ELNS1_3repE0EEENS1_38merge_mergepath_config_static_selectorELNS0_4arch9wavefront6targetE0EEEvSK_.has_recursion, 0
	.set _ZN7rocprim17ROCPRIM_400000_NS6detail17trampoline_kernelINS0_14default_configENS1_38merge_sort_block_merge_config_selectorIxNS0_10empty_typeEEEZZNS1_27merge_sort_block_merge_implIS3_N6thrust23THRUST_200600_302600_NS6detail15normal_iteratorINS9_10device_ptrIxEEEEPS5_m9comp_mod3IxEEE10hipError_tT0_T1_T2_jT3_P12ihipStream_tbPNSt15iterator_traitsISJ_E10value_typeEPNSP_ISK_E10value_typeEPSL_NS1_7vsmem_tEENKUlT_SJ_SK_SL_E_clIPxSE_SF_SF_EESI_SY_SJ_SK_SL_EUlSY_E0_NS1_11comp_targetILNS1_3genE9ELNS1_11target_archE1100ELNS1_3gpuE3ELNS1_3repE0EEENS1_38merge_mergepath_config_static_selectorELNS0_4arch9wavefront6targetE0EEEvSK_.has_indirect_call, 0
	.section	.AMDGPU.csdata,"",@progbits
; Kernel info:
; codeLenInByte = 0
; TotalNumSgprs: 0
; NumVgprs: 0
; ScratchSize: 0
; MemoryBound: 0
; FloatMode: 240
; IeeeMode: 1
; LDSByteSize: 0 bytes/workgroup (compile time only)
; SGPRBlocks: 0
; VGPRBlocks: 0
; NumSGPRsForWavesPerEU: 1
; NumVGPRsForWavesPerEU: 1
; Occupancy: 16
; WaveLimiterHint : 0
; COMPUTE_PGM_RSRC2:SCRATCH_EN: 0
; COMPUTE_PGM_RSRC2:USER_SGPR: 6
; COMPUTE_PGM_RSRC2:TRAP_HANDLER: 0
; COMPUTE_PGM_RSRC2:TGID_X_EN: 1
; COMPUTE_PGM_RSRC2:TGID_Y_EN: 0
; COMPUTE_PGM_RSRC2:TGID_Z_EN: 0
; COMPUTE_PGM_RSRC2:TIDIG_COMP_CNT: 0
	.section	.text._ZN7rocprim17ROCPRIM_400000_NS6detail17trampoline_kernelINS0_14default_configENS1_38merge_sort_block_merge_config_selectorIxNS0_10empty_typeEEEZZNS1_27merge_sort_block_merge_implIS3_N6thrust23THRUST_200600_302600_NS6detail15normal_iteratorINS9_10device_ptrIxEEEEPS5_m9comp_mod3IxEEE10hipError_tT0_T1_T2_jT3_P12ihipStream_tbPNSt15iterator_traitsISJ_E10value_typeEPNSP_ISK_E10value_typeEPSL_NS1_7vsmem_tEENKUlT_SJ_SK_SL_E_clIPxSE_SF_SF_EESI_SY_SJ_SK_SL_EUlSY_E0_NS1_11comp_targetILNS1_3genE8ELNS1_11target_archE1030ELNS1_3gpuE2ELNS1_3repE0EEENS1_38merge_mergepath_config_static_selectorELNS0_4arch9wavefront6targetE0EEEvSK_,"axG",@progbits,_ZN7rocprim17ROCPRIM_400000_NS6detail17trampoline_kernelINS0_14default_configENS1_38merge_sort_block_merge_config_selectorIxNS0_10empty_typeEEEZZNS1_27merge_sort_block_merge_implIS3_N6thrust23THRUST_200600_302600_NS6detail15normal_iteratorINS9_10device_ptrIxEEEEPS5_m9comp_mod3IxEEE10hipError_tT0_T1_T2_jT3_P12ihipStream_tbPNSt15iterator_traitsISJ_E10value_typeEPNSP_ISK_E10value_typeEPSL_NS1_7vsmem_tEENKUlT_SJ_SK_SL_E_clIPxSE_SF_SF_EESI_SY_SJ_SK_SL_EUlSY_E0_NS1_11comp_targetILNS1_3genE8ELNS1_11target_archE1030ELNS1_3gpuE2ELNS1_3repE0EEENS1_38merge_mergepath_config_static_selectorELNS0_4arch9wavefront6targetE0EEEvSK_,comdat
	.protected	_ZN7rocprim17ROCPRIM_400000_NS6detail17trampoline_kernelINS0_14default_configENS1_38merge_sort_block_merge_config_selectorIxNS0_10empty_typeEEEZZNS1_27merge_sort_block_merge_implIS3_N6thrust23THRUST_200600_302600_NS6detail15normal_iteratorINS9_10device_ptrIxEEEEPS5_m9comp_mod3IxEEE10hipError_tT0_T1_T2_jT3_P12ihipStream_tbPNSt15iterator_traitsISJ_E10value_typeEPNSP_ISK_E10value_typeEPSL_NS1_7vsmem_tEENKUlT_SJ_SK_SL_E_clIPxSE_SF_SF_EESI_SY_SJ_SK_SL_EUlSY_E0_NS1_11comp_targetILNS1_3genE8ELNS1_11target_archE1030ELNS1_3gpuE2ELNS1_3repE0EEENS1_38merge_mergepath_config_static_selectorELNS0_4arch9wavefront6targetE0EEEvSK_ ; -- Begin function _ZN7rocprim17ROCPRIM_400000_NS6detail17trampoline_kernelINS0_14default_configENS1_38merge_sort_block_merge_config_selectorIxNS0_10empty_typeEEEZZNS1_27merge_sort_block_merge_implIS3_N6thrust23THRUST_200600_302600_NS6detail15normal_iteratorINS9_10device_ptrIxEEEEPS5_m9comp_mod3IxEEE10hipError_tT0_T1_T2_jT3_P12ihipStream_tbPNSt15iterator_traitsISJ_E10value_typeEPNSP_ISK_E10value_typeEPSL_NS1_7vsmem_tEENKUlT_SJ_SK_SL_E_clIPxSE_SF_SF_EESI_SY_SJ_SK_SL_EUlSY_E0_NS1_11comp_targetILNS1_3genE8ELNS1_11target_archE1030ELNS1_3gpuE2ELNS1_3repE0EEENS1_38merge_mergepath_config_static_selectorELNS0_4arch9wavefront6targetE0EEEvSK_
	.globl	_ZN7rocprim17ROCPRIM_400000_NS6detail17trampoline_kernelINS0_14default_configENS1_38merge_sort_block_merge_config_selectorIxNS0_10empty_typeEEEZZNS1_27merge_sort_block_merge_implIS3_N6thrust23THRUST_200600_302600_NS6detail15normal_iteratorINS9_10device_ptrIxEEEEPS5_m9comp_mod3IxEEE10hipError_tT0_T1_T2_jT3_P12ihipStream_tbPNSt15iterator_traitsISJ_E10value_typeEPNSP_ISK_E10value_typeEPSL_NS1_7vsmem_tEENKUlT_SJ_SK_SL_E_clIPxSE_SF_SF_EESI_SY_SJ_SK_SL_EUlSY_E0_NS1_11comp_targetILNS1_3genE8ELNS1_11target_archE1030ELNS1_3gpuE2ELNS1_3repE0EEENS1_38merge_mergepath_config_static_selectorELNS0_4arch9wavefront6targetE0EEEvSK_
	.p2align	8
	.type	_ZN7rocprim17ROCPRIM_400000_NS6detail17trampoline_kernelINS0_14default_configENS1_38merge_sort_block_merge_config_selectorIxNS0_10empty_typeEEEZZNS1_27merge_sort_block_merge_implIS3_N6thrust23THRUST_200600_302600_NS6detail15normal_iteratorINS9_10device_ptrIxEEEEPS5_m9comp_mod3IxEEE10hipError_tT0_T1_T2_jT3_P12ihipStream_tbPNSt15iterator_traitsISJ_E10value_typeEPNSP_ISK_E10value_typeEPSL_NS1_7vsmem_tEENKUlT_SJ_SK_SL_E_clIPxSE_SF_SF_EESI_SY_SJ_SK_SL_EUlSY_E0_NS1_11comp_targetILNS1_3genE8ELNS1_11target_archE1030ELNS1_3gpuE2ELNS1_3repE0EEENS1_38merge_mergepath_config_static_selectorELNS0_4arch9wavefront6targetE0EEEvSK_,@function
_ZN7rocprim17ROCPRIM_400000_NS6detail17trampoline_kernelINS0_14default_configENS1_38merge_sort_block_merge_config_selectorIxNS0_10empty_typeEEEZZNS1_27merge_sort_block_merge_implIS3_N6thrust23THRUST_200600_302600_NS6detail15normal_iteratorINS9_10device_ptrIxEEEEPS5_m9comp_mod3IxEEE10hipError_tT0_T1_T2_jT3_P12ihipStream_tbPNSt15iterator_traitsISJ_E10value_typeEPNSP_ISK_E10value_typeEPSL_NS1_7vsmem_tEENKUlT_SJ_SK_SL_E_clIPxSE_SF_SF_EESI_SY_SJ_SK_SL_EUlSY_E0_NS1_11comp_targetILNS1_3genE8ELNS1_11target_archE1030ELNS1_3gpuE2ELNS1_3repE0EEENS1_38merge_mergepath_config_static_selectorELNS0_4arch9wavefront6targetE0EEEvSK_: ; @_ZN7rocprim17ROCPRIM_400000_NS6detail17trampoline_kernelINS0_14default_configENS1_38merge_sort_block_merge_config_selectorIxNS0_10empty_typeEEEZZNS1_27merge_sort_block_merge_implIS3_N6thrust23THRUST_200600_302600_NS6detail15normal_iteratorINS9_10device_ptrIxEEEEPS5_m9comp_mod3IxEEE10hipError_tT0_T1_T2_jT3_P12ihipStream_tbPNSt15iterator_traitsISJ_E10value_typeEPNSP_ISK_E10value_typeEPSL_NS1_7vsmem_tEENKUlT_SJ_SK_SL_E_clIPxSE_SF_SF_EESI_SY_SJ_SK_SL_EUlSY_E0_NS1_11comp_targetILNS1_3genE8ELNS1_11target_archE1030ELNS1_3gpuE2ELNS1_3repE0EEENS1_38merge_mergepath_config_static_selectorELNS0_4arch9wavefront6targetE0EEEvSK_
; %bb.0:
	s_clause 0x1
	s_load_dwordx2 s[0:1], s[4:5], 0x50
	s_load_dword s2, s[4:5], 0x38
	s_waitcnt lgkmcnt(0)
	s_mul_i32 s1, s1, s8
	s_add_i32 s1, s1, s7
	s_mul_i32 s0, s1, s0
	s_add_i32 s0, s0, s6
	s_cmp_ge_u32 s0, s2
	s_cbranch_scc1 .LBB946_24
; %bb.1:
	s_clause 0x1
	s_load_dwordx2 s[2:3], s[4:5], 0x48
	s_load_dwordx4 s[8:11], s[4:5], 0x28
	s_mov_b32 s1, 0
	s_lshl_b64 s[6:7], s[0:1], 3
	s_mov_b32 s17, s1
	s_waitcnt lgkmcnt(0)
	s_add_u32 s2, s2, s6
	s_addc_u32 s3, s3, s7
	s_lshl_b64 s[6:7], s[0:1], 10
	s_load_dwordx4 s[12:15], s[2:3], 0x0
	s_lshr_b64 s[2:3], s[10:11], 9
	s_and_b32 s2, s2, -2
	s_sub_i32 s21, 0, s2
	s_and_b32 s16, s0, s21
	s_lshl_b64 s[2:3], s[16:17], 10
	s_sub_u32 s18, s6, s2
	s_subb_u32 s22, s7, s3
	s_lshl_b64 s[16:17], s[16:17], 11
	s_add_u32 s19, s16, s10
	s_addc_u32 s20, s17, s11
	s_add_u32 s16, s19, s18
	s_addc_u32 s17, s20, s22
	s_waitcnt lgkmcnt(0)
	s_sub_u32 s18, s16, s14
	s_subb_u32 s15, s17, s15
	s_add_u32 s22, s18, 0x400
	s_addc_u32 s23, s15, 0
	v_cmp_lt_u64_e64 s15, s[8:9], s[22:23]
	s_and_b32 s15, s15, exec_lo
	s_cselect_b32 s18, s8, s22
	s_or_b32 s15, s0, s21
	s_cmp_lg_u32 s15, -1
	s_cbranch_scc1 .LBB946_3
; %bb.2:
	s_sub_u32 s2, s19, s2
	s_subb_u32 s3, s20, s3
	v_cmp_lt_u64_e64 s14, s[8:9], s[2:3]
	s_and_b32 s14, s14, exec_lo
	s_cselect_b32 s14, s8, s2
	s_add_u32 s2, s2, s10
	s_addc_u32 s3, s3, s11
	v_cmp_lt_u64_e64 s3, s[8:9], s[2:3]
	s_and_b32 s3, s3, exec_lo
	s_cselect_b32 s18, s8, s2
.LBB946_3:
	s_lshr_b64 s[2:3], s[8:9], 10
	v_mov_b32_e32 v3, 0
	s_cmp_lg_u64 s[2:3], s[0:1]
	s_load_dwordx4 s[0:3], s[4:5], 0x8
	s_cselect_b32 s15, -1, 0
	s_sub_u32 s10, s16, s12
	s_subb_u32 s11, s17, s13
                                        ; implicit-def: $vgpr1_vgpr2
	v_cmp_lt_u64_e64 s16, s[8:9], s[10:11]
	s_and_b32 s16, s16, exec_lo
	s_cselect_b32 s10, s8, s10
	s_cselect_b32 s11, s9, s11
	s_sub_i32 s14, s14, s12
	s_sub_i32 s16, s18, s10
	s_add_i32 s9, s14, s16
	v_cmp_gt_u32_e32 vcc_lo, s9, v0
	s_or_b32 s17, s15, vcc_lo
	s_and_saveexec_b32 s18, s17
	s_xor_b32 s17, exec_lo, s18
	s_cbranch_execz .LBB946_5
; %bb.4:
	v_lshlrev_b32_e32 v1, 3, v0
	v_sub_co_u32 v2, vcc_lo, v0, s14
	s_lshl_b64 s[12:13], s[12:13], 3
	s_waitcnt lgkmcnt(0)
	s_add_u32 s12, s0, s12
	s_addc_u32 s13, s1, s13
	v_add_co_u32 v4, s12, s12, v1
	v_lshlrev_b64 v[1:2], 3, v[2:3]
	s_lshl_b64 s[10:11], s[10:11], 3
	v_add_co_ci_u32_e64 v5, null, s13, 0, s12
	s_add_u32 s0, s0, s10
	s_addc_u32 s1, s1, s11
	v_add_co_u32 v1, s0, s0, v1
	v_add_co_ci_u32_e64 v2, null, s1, v2, s0
	v_cndmask_b32_e32 v1, v1, v4, vcc_lo
	v_cndmask_b32_e32 v2, v2, v5, vcc_lo
	global_load_dwordx2 v[1:2], v[1:2], off
.LBB946_5:
	s_waitcnt lgkmcnt(0)
	s_or_saveexec_b32 s0, s17
	s_load_dwordx2 s[4:5], s[4:5], 0x40
	s_xor_b32 exec_lo, exec_lo, s0
; %bb.6:
                                        ; implicit-def: $vgpr1_vgpr2
; %bb.7:
	s_or_b32 exec_lo, exec_lo, s0
	v_min_u32_e32 v7, s9, v0
	v_lshlrev_b32_e32 v5, 3, v0
	s_mov_b32 s0, exec_lo
	v_sub_nc_u32_e64 v6, v7, s16 clamp
	v_min_u32_e32 v8, s14, v7
	s_waitcnt vmcnt(0)
	ds_write_b64 v5, v[1:2]
	s_waitcnt lgkmcnt(0)
	s_barrier
	buffer_gl0_inv
	v_cmpx_lt_u32_e64 v6, v8
	s_cbranch_execz .LBB946_11
; %bb.8:
	v_lshlrev_b32_e32 v3, 3, v7
	s_mov_b32 s1, 0
	v_lshl_add_u32 v9, s14, 3, v3
	v_mov_b32_e32 v3, 0
	s_inst_prefetch 0x1
	.p2align	6
.LBB946_9:                              ; =>This Inner Loop Header: Depth=1
	v_add_nc_u32_e32 v4, v8, v6
	v_lshrrev_b32_e32 v14, 1, v4
	v_not_b32_e32 v4, v14
	v_lshlrev_b32_e32 v12, 3, v14
	v_lshl_add_u32 v4, v4, 3, v9
	ds_read_b32 v4, v4
	s_waitcnt lgkmcnt(0)
	v_ashrrev_i64 v[10:11], 29, v[3:4]
	ds_read_b32 v4, v12
	v_add_co_u32 v10, vcc_lo, s4, v10
	v_add_co_ci_u32_e64 v11, null, s5, v11, vcc_lo
	s_waitcnt lgkmcnt(0)
	v_ashrrev_i64 v[12:13], 29, v[3:4]
	v_add_nc_u32_e32 v4, 1, v14
	v_add_co_u32 v12, vcc_lo, s4, v12
	v_add_co_ci_u32_e64 v13, null, s5, v13, vcc_lo
	s_clause 0x1
	global_load_dwordx2 v[10:11], v[10:11], off
	global_load_dwordx2 v[12:13], v[12:13], off
	s_waitcnt vmcnt(0)
	v_cmp_lt_i64_e32 vcc_lo, v[10:11], v[12:13]
	v_cndmask_b32_e32 v8, v8, v14, vcc_lo
	v_cndmask_b32_e32 v6, v4, v6, vcc_lo
	v_cmp_ge_u32_e32 vcc_lo, v6, v8
	s_or_b32 s1, vcc_lo, s1
	s_andn2_b32 exec_lo, exec_lo, s1
	s_cbranch_execnz .LBB946_9
; %bb.10:
	s_inst_prefetch 0x2
	s_or_b32 exec_lo, exec_lo, s1
.LBB946_11:
	s_or_b32 exec_lo, exec_lo, s0
	v_sub_nc_u32_e32 v3, v7, v6
	v_cmp_ge_u32_e32 vcc_lo, s14, v6
	v_add_nc_u32_e32 v7, s14, v3
	v_cmp_ge_u32_e64 s0, s9, v7
	s_or_b32 s0, vcc_lo, s0
	s_and_saveexec_b32 s1, s0
	s_cbranch_execz .LBB946_19
; %bb.12:
	s_mov_b32 s10, exec_lo
	v_cmp_le_u32_e32 vcc_lo, s14, v6
                                        ; implicit-def: $vgpr1_vgpr2
	v_cmpx_gt_u32_e64 s14, v6
; %bb.13:
	v_lshlrev_b32_e32 v1, 3, v6
	ds_read_b64 v[1:2], v1
; %bb.14:
	s_or_b32 exec_lo, exec_lo, s10
	v_cmp_le_u32_e64 s10, s9, v7
	v_cmp_gt_u32_e64 s0, s9, v7
                                        ; implicit-def: $vgpr3_vgpr4
	s_and_saveexec_b32 s9, s0
; %bb.15:
	v_lshlrev_b32_e32 v3, 3, v7
	ds_read_b64 v[3:4], v3
; %bb.16:
	s_or_b32 exec_lo, exec_lo, s9
	s_nor_b32 s9, vcc_lo, s10
	s_and_saveexec_b32 s0, s9
	s_cbranch_execz .LBB946_18
; %bb.17:
	v_mov_b32_e32 v6, 0
	s_waitcnt lgkmcnt(0)
	v_mov_b32_e32 v7, v3
	v_ashrrev_i64 v[8:9], 29, v[6:7]
	v_mov_b32_e32 v7, v1
	v_ashrrev_i64 v[6:7], 29, v[6:7]
	v_add_co_u32 v8, vcc_lo, s4, v8
	v_add_co_ci_u32_e64 v9, null, s5, v9, vcc_lo
	v_add_co_u32 v6, vcc_lo, s4, v6
	v_add_co_ci_u32_e64 v7, null, s5, v7, vcc_lo
	s_clause 0x1
	global_load_dwordx2 v[8:9], v[8:9], off
	global_load_dwordx2 v[6:7], v[6:7], off
	s_andn2_b32 s4, s10, exec_lo
	s_waitcnt vmcnt(0)
	v_cmp_ge_i64_e32 vcc_lo, v[8:9], v[6:7]
	s_and_b32 s5, vcc_lo, exec_lo
	s_or_b32 s10, s4, s5
.LBB946_18:
	s_or_b32 exec_lo, exec_lo, s0
	s_waitcnt lgkmcnt(0)
	v_cndmask_b32_e64 v2, v4, v2, s10
	v_cndmask_b32_e64 v1, v3, v1, s10
.LBB946_19:
	s_or_b32 exec_lo, exec_lo, s1
	s_and_b32 vcc_lo, exec_lo, s15
	s_mov_b32 s0, -1
	s_barrier
	buffer_gl0_inv
	s_barrier
	buffer_gl0_inv
	s_cbranch_vccz .LBB946_21
; %bb.20:
	ds_write_b64 v5, v[1:2]
	s_waitcnt lgkmcnt(0)
	s_barrier
	buffer_gl0_inv
	ds_read_b64 v[3:4], v5
	s_lshl_b64 s[0:1], s[6:7], 3
	s_add_u32 s4, s2, s0
	s_addc_u32 s5, s3, s1
	s_mov_b32 s0, 0
	s_waitcnt lgkmcnt(0)
	global_store_dwordx2 v5, v[3:4], s[4:5]
.LBB946_21:
	s_andn2_b32 vcc_lo, exec_lo, s0
	s_cbranch_vccnz .LBB946_24
; %bb.22:
	s_sub_i32 s0, s8, s6
	ds_write_b64 v5, v[1:2]
	v_cmp_gt_u32_e32 vcc_lo, s0, v0
	s_waitcnt lgkmcnt(0)
	s_waitcnt_vscnt null, 0x0
	s_barrier
	buffer_gl0_inv
	s_and_saveexec_b32 s0, vcc_lo
	s_cbranch_execz .LBB946_24
; %bb.23:
	ds_read_b64 v[0:1], v5
	s_lshl_b64 s[0:1], s[6:7], 3
	s_add_u32 s0, s2, s0
	s_addc_u32 s1, s3, s1
	s_waitcnt lgkmcnt(0)
	global_store_dwordx2 v5, v[0:1], s[0:1]
.LBB946_24:
	s_endpgm
	.section	.rodata,"a",@progbits
	.p2align	6, 0x0
	.amdhsa_kernel _ZN7rocprim17ROCPRIM_400000_NS6detail17trampoline_kernelINS0_14default_configENS1_38merge_sort_block_merge_config_selectorIxNS0_10empty_typeEEEZZNS1_27merge_sort_block_merge_implIS3_N6thrust23THRUST_200600_302600_NS6detail15normal_iteratorINS9_10device_ptrIxEEEEPS5_m9comp_mod3IxEEE10hipError_tT0_T1_T2_jT3_P12ihipStream_tbPNSt15iterator_traitsISJ_E10value_typeEPNSP_ISK_E10value_typeEPSL_NS1_7vsmem_tEENKUlT_SJ_SK_SL_E_clIPxSE_SF_SF_EESI_SY_SJ_SK_SL_EUlSY_E0_NS1_11comp_targetILNS1_3genE8ELNS1_11target_archE1030ELNS1_3gpuE2ELNS1_3repE0EEENS1_38merge_mergepath_config_static_selectorELNS0_4arch9wavefront6targetE0EEEvSK_
		.amdhsa_group_segment_fixed_size 8208
		.amdhsa_private_segment_fixed_size 0
		.amdhsa_kernarg_size 336
		.amdhsa_user_sgpr_count 6
		.amdhsa_user_sgpr_private_segment_buffer 1
		.amdhsa_user_sgpr_dispatch_ptr 0
		.amdhsa_user_sgpr_queue_ptr 0
		.amdhsa_user_sgpr_kernarg_segment_ptr 1
		.amdhsa_user_sgpr_dispatch_id 0
		.amdhsa_user_sgpr_flat_scratch_init 0
		.amdhsa_user_sgpr_private_segment_size 0
		.amdhsa_wavefront_size32 1
		.amdhsa_uses_dynamic_stack 0
		.amdhsa_system_sgpr_private_segment_wavefront_offset 0
		.amdhsa_system_sgpr_workgroup_id_x 1
		.amdhsa_system_sgpr_workgroup_id_y 1
		.amdhsa_system_sgpr_workgroup_id_z 1
		.amdhsa_system_sgpr_workgroup_info 0
		.amdhsa_system_vgpr_workitem_id 0
		.amdhsa_next_free_vgpr 15
		.amdhsa_next_free_sgpr 24
		.amdhsa_reserve_vcc 1
		.amdhsa_reserve_flat_scratch 0
		.amdhsa_float_round_mode_32 0
		.amdhsa_float_round_mode_16_64 0
		.amdhsa_float_denorm_mode_32 3
		.amdhsa_float_denorm_mode_16_64 3
		.amdhsa_dx10_clamp 1
		.amdhsa_ieee_mode 1
		.amdhsa_fp16_overflow 0
		.amdhsa_workgroup_processor_mode 1
		.amdhsa_memory_ordered 1
		.amdhsa_forward_progress 1
		.amdhsa_shared_vgpr_count 0
		.amdhsa_exception_fp_ieee_invalid_op 0
		.amdhsa_exception_fp_denorm_src 0
		.amdhsa_exception_fp_ieee_div_zero 0
		.amdhsa_exception_fp_ieee_overflow 0
		.amdhsa_exception_fp_ieee_underflow 0
		.amdhsa_exception_fp_ieee_inexact 0
		.amdhsa_exception_int_div_zero 0
	.end_amdhsa_kernel
	.section	.text._ZN7rocprim17ROCPRIM_400000_NS6detail17trampoline_kernelINS0_14default_configENS1_38merge_sort_block_merge_config_selectorIxNS0_10empty_typeEEEZZNS1_27merge_sort_block_merge_implIS3_N6thrust23THRUST_200600_302600_NS6detail15normal_iteratorINS9_10device_ptrIxEEEEPS5_m9comp_mod3IxEEE10hipError_tT0_T1_T2_jT3_P12ihipStream_tbPNSt15iterator_traitsISJ_E10value_typeEPNSP_ISK_E10value_typeEPSL_NS1_7vsmem_tEENKUlT_SJ_SK_SL_E_clIPxSE_SF_SF_EESI_SY_SJ_SK_SL_EUlSY_E0_NS1_11comp_targetILNS1_3genE8ELNS1_11target_archE1030ELNS1_3gpuE2ELNS1_3repE0EEENS1_38merge_mergepath_config_static_selectorELNS0_4arch9wavefront6targetE0EEEvSK_,"axG",@progbits,_ZN7rocprim17ROCPRIM_400000_NS6detail17trampoline_kernelINS0_14default_configENS1_38merge_sort_block_merge_config_selectorIxNS0_10empty_typeEEEZZNS1_27merge_sort_block_merge_implIS3_N6thrust23THRUST_200600_302600_NS6detail15normal_iteratorINS9_10device_ptrIxEEEEPS5_m9comp_mod3IxEEE10hipError_tT0_T1_T2_jT3_P12ihipStream_tbPNSt15iterator_traitsISJ_E10value_typeEPNSP_ISK_E10value_typeEPSL_NS1_7vsmem_tEENKUlT_SJ_SK_SL_E_clIPxSE_SF_SF_EESI_SY_SJ_SK_SL_EUlSY_E0_NS1_11comp_targetILNS1_3genE8ELNS1_11target_archE1030ELNS1_3gpuE2ELNS1_3repE0EEENS1_38merge_mergepath_config_static_selectorELNS0_4arch9wavefront6targetE0EEEvSK_,comdat
.Lfunc_end946:
	.size	_ZN7rocprim17ROCPRIM_400000_NS6detail17trampoline_kernelINS0_14default_configENS1_38merge_sort_block_merge_config_selectorIxNS0_10empty_typeEEEZZNS1_27merge_sort_block_merge_implIS3_N6thrust23THRUST_200600_302600_NS6detail15normal_iteratorINS9_10device_ptrIxEEEEPS5_m9comp_mod3IxEEE10hipError_tT0_T1_T2_jT3_P12ihipStream_tbPNSt15iterator_traitsISJ_E10value_typeEPNSP_ISK_E10value_typeEPSL_NS1_7vsmem_tEENKUlT_SJ_SK_SL_E_clIPxSE_SF_SF_EESI_SY_SJ_SK_SL_EUlSY_E0_NS1_11comp_targetILNS1_3genE8ELNS1_11target_archE1030ELNS1_3gpuE2ELNS1_3repE0EEENS1_38merge_mergepath_config_static_selectorELNS0_4arch9wavefront6targetE0EEEvSK_, .Lfunc_end946-_ZN7rocprim17ROCPRIM_400000_NS6detail17trampoline_kernelINS0_14default_configENS1_38merge_sort_block_merge_config_selectorIxNS0_10empty_typeEEEZZNS1_27merge_sort_block_merge_implIS3_N6thrust23THRUST_200600_302600_NS6detail15normal_iteratorINS9_10device_ptrIxEEEEPS5_m9comp_mod3IxEEE10hipError_tT0_T1_T2_jT3_P12ihipStream_tbPNSt15iterator_traitsISJ_E10value_typeEPNSP_ISK_E10value_typeEPSL_NS1_7vsmem_tEENKUlT_SJ_SK_SL_E_clIPxSE_SF_SF_EESI_SY_SJ_SK_SL_EUlSY_E0_NS1_11comp_targetILNS1_3genE8ELNS1_11target_archE1030ELNS1_3gpuE2ELNS1_3repE0EEENS1_38merge_mergepath_config_static_selectorELNS0_4arch9wavefront6targetE0EEEvSK_
                                        ; -- End function
	.set _ZN7rocprim17ROCPRIM_400000_NS6detail17trampoline_kernelINS0_14default_configENS1_38merge_sort_block_merge_config_selectorIxNS0_10empty_typeEEEZZNS1_27merge_sort_block_merge_implIS3_N6thrust23THRUST_200600_302600_NS6detail15normal_iteratorINS9_10device_ptrIxEEEEPS5_m9comp_mod3IxEEE10hipError_tT0_T1_T2_jT3_P12ihipStream_tbPNSt15iterator_traitsISJ_E10value_typeEPNSP_ISK_E10value_typeEPSL_NS1_7vsmem_tEENKUlT_SJ_SK_SL_E_clIPxSE_SF_SF_EESI_SY_SJ_SK_SL_EUlSY_E0_NS1_11comp_targetILNS1_3genE8ELNS1_11target_archE1030ELNS1_3gpuE2ELNS1_3repE0EEENS1_38merge_mergepath_config_static_selectorELNS0_4arch9wavefront6targetE0EEEvSK_.num_vgpr, 15
	.set _ZN7rocprim17ROCPRIM_400000_NS6detail17trampoline_kernelINS0_14default_configENS1_38merge_sort_block_merge_config_selectorIxNS0_10empty_typeEEEZZNS1_27merge_sort_block_merge_implIS3_N6thrust23THRUST_200600_302600_NS6detail15normal_iteratorINS9_10device_ptrIxEEEEPS5_m9comp_mod3IxEEE10hipError_tT0_T1_T2_jT3_P12ihipStream_tbPNSt15iterator_traitsISJ_E10value_typeEPNSP_ISK_E10value_typeEPSL_NS1_7vsmem_tEENKUlT_SJ_SK_SL_E_clIPxSE_SF_SF_EESI_SY_SJ_SK_SL_EUlSY_E0_NS1_11comp_targetILNS1_3genE8ELNS1_11target_archE1030ELNS1_3gpuE2ELNS1_3repE0EEENS1_38merge_mergepath_config_static_selectorELNS0_4arch9wavefront6targetE0EEEvSK_.num_agpr, 0
	.set _ZN7rocprim17ROCPRIM_400000_NS6detail17trampoline_kernelINS0_14default_configENS1_38merge_sort_block_merge_config_selectorIxNS0_10empty_typeEEEZZNS1_27merge_sort_block_merge_implIS3_N6thrust23THRUST_200600_302600_NS6detail15normal_iteratorINS9_10device_ptrIxEEEEPS5_m9comp_mod3IxEEE10hipError_tT0_T1_T2_jT3_P12ihipStream_tbPNSt15iterator_traitsISJ_E10value_typeEPNSP_ISK_E10value_typeEPSL_NS1_7vsmem_tEENKUlT_SJ_SK_SL_E_clIPxSE_SF_SF_EESI_SY_SJ_SK_SL_EUlSY_E0_NS1_11comp_targetILNS1_3genE8ELNS1_11target_archE1030ELNS1_3gpuE2ELNS1_3repE0EEENS1_38merge_mergepath_config_static_selectorELNS0_4arch9wavefront6targetE0EEEvSK_.numbered_sgpr, 24
	.set _ZN7rocprim17ROCPRIM_400000_NS6detail17trampoline_kernelINS0_14default_configENS1_38merge_sort_block_merge_config_selectorIxNS0_10empty_typeEEEZZNS1_27merge_sort_block_merge_implIS3_N6thrust23THRUST_200600_302600_NS6detail15normal_iteratorINS9_10device_ptrIxEEEEPS5_m9comp_mod3IxEEE10hipError_tT0_T1_T2_jT3_P12ihipStream_tbPNSt15iterator_traitsISJ_E10value_typeEPNSP_ISK_E10value_typeEPSL_NS1_7vsmem_tEENKUlT_SJ_SK_SL_E_clIPxSE_SF_SF_EESI_SY_SJ_SK_SL_EUlSY_E0_NS1_11comp_targetILNS1_3genE8ELNS1_11target_archE1030ELNS1_3gpuE2ELNS1_3repE0EEENS1_38merge_mergepath_config_static_selectorELNS0_4arch9wavefront6targetE0EEEvSK_.num_named_barrier, 0
	.set _ZN7rocprim17ROCPRIM_400000_NS6detail17trampoline_kernelINS0_14default_configENS1_38merge_sort_block_merge_config_selectorIxNS0_10empty_typeEEEZZNS1_27merge_sort_block_merge_implIS3_N6thrust23THRUST_200600_302600_NS6detail15normal_iteratorINS9_10device_ptrIxEEEEPS5_m9comp_mod3IxEEE10hipError_tT0_T1_T2_jT3_P12ihipStream_tbPNSt15iterator_traitsISJ_E10value_typeEPNSP_ISK_E10value_typeEPSL_NS1_7vsmem_tEENKUlT_SJ_SK_SL_E_clIPxSE_SF_SF_EESI_SY_SJ_SK_SL_EUlSY_E0_NS1_11comp_targetILNS1_3genE8ELNS1_11target_archE1030ELNS1_3gpuE2ELNS1_3repE0EEENS1_38merge_mergepath_config_static_selectorELNS0_4arch9wavefront6targetE0EEEvSK_.private_seg_size, 0
	.set _ZN7rocprim17ROCPRIM_400000_NS6detail17trampoline_kernelINS0_14default_configENS1_38merge_sort_block_merge_config_selectorIxNS0_10empty_typeEEEZZNS1_27merge_sort_block_merge_implIS3_N6thrust23THRUST_200600_302600_NS6detail15normal_iteratorINS9_10device_ptrIxEEEEPS5_m9comp_mod3IxEEE10hipError_tT0_T1_T2_jT3_P12ihipStream_tbPNSt15iterator_traitsISJ_E10value_typeEPNSP_ISK_E10value_typeEPSL_NS1_7vsmem_tEENKUlT_SJ_SK_SL_E_clIPxSE_SF_SF_EESI_SY_SJ_SK_SL_EUlSY_E0_NS1_11comp_targetILNS1_3genE8ELNS1_11target_archE1030ELNS1_3gpuE2ELNS1_3repE0EEENS1_38merge_mergepath_config_static_selectorELNS0_4arch9wavefront6targetE0EEEvSK_.uses_vcc, 1
	.set _ZN7rocprim17ROCPRIM_400000_NS6detail17trampoline_kernelINS0_14default_configENS1_38merge_sort_block_merge_config_selectorIxNS0_10empty_typeEEEZZNS1_27merge_sort_block_merge_implIS3_N6thrust23THRUST_200600_302600_NS6detail15normal_iteratorINS9_10device_ptrIxEEEEPS5_m9comp_mod3IxEEE10hipError_tT0_T1_T2_jT3_P12ihipStream_tbPNSt15iterator_traitsISJ_E10value_typeEPNSP_ISK_E10value_typeEPSL_NS1_7vsmem_tEENKUlT_SJ_SK_SL_E_clIPxSE_SF_SF_EESI_SY_SJ_SK_SL_EUlSY_E0_NS1_11comp_targetILNS1_3genE8ELNS1_11target_archE1030ELNS1_3gpuE2ELNS1_3repE0EEENS1_38merge_mergepath_config_static_selectorELNS0_4arch9wavefront6targetE0EEEvSK_.uses_flat_scratch, 0
	.set _ZN7rocprim17ROCPRIM_400000_NS6detail17trampoline_kernelINS0_14default_configENS1_38merge_sort_block_merge_config_selectorIxNS0_10empty_typeEEEZZNS1_27merge_sort_block_merge_implIS3_N6thrust23THRUST_200600_302600_NS6detail15normal_iteratorINS9_10device_ptrIxEEEEPS5_m9comp_mod3IxEEE10hipError_tT0_T1_T2_jT3_P12ihipStream_tbPNSt15iterator_traitsISJ_E10value_typeEPNSP_ISK_E10value_typeEPSL_NS1_7vsmem_tEENKUlT_SJ_SK_SL_E_clIPxSE_SF_SF_EESI_SY_SJ_SK_SL_EUlSY_E0_NS1_11comp_targetILNS1_3genE8ELNS1_11target_archE1030ELNS1_3gpuE2ELNS1_3repE0EEENS1_38merge_mergepath_config_static_selectorELNS0_4arch9wavefront6targetE0EEEvSK_.has_dyn_sized_stack, 0
	.set _ZN7rocprim17ROCPRIM_400000_NS6detail17trampoline_kernelINS0_14default_configENS1_38merge_sort_block_merge_config_selectorIxNS0_10empty_typeEEEZZNS1_27merge_sort_block_merge_implIS3_N6thrust23THRUST_200600_302600_NS6detail15normal_iteratorINS9_10device_ptrIxEEEEPS5_m9comp_mod3IxEEE10hipError_tT0_T1_T2_jT3_P12ihipStream_tbPNSt15iterator_traitsISJ_E10value_typeEPNSP_ISK_E10value_typeEPSL_NS1_7vsmem_tEENKUlT_SJ_SK_SL_E_clIPxSE_SF_SF_EESI_SY_SJ_SK_SL_EUlSY_E0_NS1_11comp_targetILNS1_3genE8ELNS1_11target_archE1030ELNS1_3gpuE2ELNS1_3repE0EEENS1_38merge_mergepath_config_static_selectorELNS0_4arch9wavefront6targetE0EEEvSK_.has_recursion, 0
	.set _ZN7rocprim17ROCPRIM_400000_NS6detail17trampoline_kernelINS0_14default_configENS1_38merge_sort_block_merge_config_selectorIxNS0_10empty_typeEEEZZNS1_27merge_sort_block_merge_implIS3_N6thrust23THRUST_200600_302600_NS6detail15normal_iteratorINS9_10device_ptrIxEEEEPS5_m9comp_mod3IxEEE10hipError_tT0_T1_T2_jT3_P12ihipStream_tbPNSt15iterator_traitsISJ_E10value_typeEPNSP_ISK_E10value_typeEPSL_NS1_7vsmem_tEENKUlT_SJ_SK_SL_E_clIPxSE_SF_SF_EESI_SY_SJ_SK_SL_EUlSY_E0_NS1_11comp_targetILNS1_3genE8ELNS1_11target_archE1030ELNS1_3gpuE2ELNS1_3repE0EEENS1_38merge_mergepath_config_static_selectorELNS0_4arch9wavefront6targetE0EEEvSK_.has_indirect_call, 0
	.section	.AMDGPU.csdata,"",@progbits
; Kernel info:
; codeLenInByte = 1168
; TotalNumSgprs: 26
; NumVgprs: 15
; ScratchSize: 0
; MemoryBound: 0
; FloatMode: 240
; IeeeMode: 1
; LDSByteSize: 8208 bytes/workgroup (compile time only)
; SGPRBlocks: 0
; VGPRBlocks: 1
; NumSGPRsForWavesPerEU: 26
; NumVGPRsForWavesPerEU: 15
; Occupancy: 16
; WaveLimiterHint : 1
; COMPUTE_PGM_RSRC2:SCRATCH_EN: 0
; COMPUTE_PGM_RSRC2:USER_SGPR: 6
; COMPUTE_PGM_RSRC2:TRAP_HANDLER: 0
; COMPUTE_PGM_RSRC2:TGID_X_EN: 1
; COMPUTE_PGM_RSRC2:TGID_Y_EN: 1
; COMPUTE_PGM_RSRC2:TGID_Z_EN: 1
; COMPUTE_PGM_RSRC2:TIDIG_COMP_CNT: 0
	.section	.text._ZN7rocprim17ROCPRIM_400000_NS6detail17trampoline_kernelINS0_14default_configENS1_38merge_sort_block_merge_config_selectorIxNS0_10empty_typeEEEZZNS1_27merge_sort_block_merge_implIS3_N6thrust23THRUST_200600_302600_NS6detail15normal_iteratorINS9_10device_ptrIxEEEEPS5_m9comp_mod3IxEEE10hipError_tT0_T1_T2_jT3_P12ihipStream_tbPNSt15iterator_traitsISJ_E10value_typeEPNSP_ISK_E10value_typeEPSL_NS1_7vsmem_tEENKUlT_SJ_SK_SL_E_clIPxSE_SF_SF_EESI_SY_SJ_SK_SL_EUlSY_E1_NS1_11comp_targetILNS1_3genE0ELNS1_11target_archE4294967295ELNS1_3gpuE0ELNS1_3repE0EEENS1_36merge_oddeven_config_static_selectorELNS0_4arch9wavefront6targetE0EEEvSK_,"axG",@progbits,_ZN7rocprim17ROCPRIM_400000_NS6detail17trampoline_kernelINS0_14default_configENS1_38merge_sort_block_merge_config_selectorIxNS0_10empty_typeEEEZZNS1_27merge_sort_block_merge_implIS3_N6thrust23THRUST_200600_302600_NS6detail15normal_iteratorINS9_10device_ptrIxEEEEPS5_m9comp_mod3IxEEE10hipError_tT0_T1_T2_jT3_P12ihipStream_tbPNSt15iterator_traitsISJ_E10value_typeEPNSP_ISK_E10value_typeEPSL_NS1_7vsmem_tEENKUlT_SJ_SK_SL_E_clIPxSE_SF_SF_EESI_SY_SJ_SK_SL_EUlSY_E1_NS1_11comp_targetILNS1_3genE0ELNS1_11target_archE4294967295ELNS1_3gpuE0ELNS1_3repE0EEENS1_36merge_oddeven_config_static_selectorELNS0_4arch9wavefront6targetE0EEEvSK_,comdat
	.protected	_ZN7rocprim17ROCPRIM_400000_NS6detail17trampoline_kernelINS0_14default_configENS1_38merge_sort_block_merge_config_selectorIxNS0_10empty_typeEEEZZNS1_27merge_sort_block_merge_implIS3_N6thrust23THRUST_200600_302600_NS6detail15normal_iteratorINS9_10device_ptrIxEEEEPS5_m9comp_mod3IxEEE10hipError_tT0_T1_T2_jT3_P12ihipStream_tbPNSt15iterator_traitsISJ_E10value_typeEPNSP_ISK_E10value_typeEPSL_NS1_7vsmem_tEENKUlT_SJ_SK_SL_E_clIPxSE_SF_SF_EESI_SY_SJ_SK_SL_EUlSY_E1_NS1_11comp_targetILNS1_3genE0ELNS1_11target_archE4294967295ELNS1_3gpuE0ELNS1_3repE0EEENS1_36merge_oddeven_config_static_selectorELNS0_4arch9wavefront6targetE0EEEvSK_ ; -- Begin function _ZN7rocprim17ROCPRIM_400000_NS6detail17trampoline_kernelINS0_14default_configENS1_38merge_sort_block_merge_config_selectorIxNS0_10empty_typeEEEZZNS1_27merge_sort_block_merge_implIS3_N6thrust23THRUST_200600_302600_NS6detail15normal_iteratorINS9_10device_ptrIxEEEEPS5_m9comp_mod3IxEEE10hipError_tT0_T1_T2_jT3_P12ihipStream_tbPNSt15iterator_traitsISJ_E10value_typeEPNSP_ISK_E10value_typeEPSL_NS1_7vsmem_tEENKUlT_SJ_SK_SL_E_clIPxSE_SF_SF_EESI_SY_SJ_SK_SL_EUlSY_E1_NS1_11comp_targetILNS1_3genE0ELNS1_11target_archE4294967295ELNS1_3gpuE0ELNS1_3repE0EEENS1_36merge_oddeven_config_static_selectorELNS0_4arch9wavefront6targetE0EEEvSK_
	.globl	_ZN7rocprim17ROCPRIM_400000_NS6detail17trampoline_kernelINS0_14default_configENS1_38merge_sort_block_merge_config_selectorIxNS0_10empty_typeEEEZZNS1_27merge_sort_block_merge_implIS3_N6thrust23THRUST_200600_302600_NS6detail15normal_iteratorINS9_10device_ptrIxEEEEPS5_m9comp_mod3IxEEE10hipError_tT0_T1_T2_jT3_P12ihipStream_tbPNSt15iterator_traitsISJ_E10value_typeEPNSP_ISK_E10value_typeEPSL_NS1_7vsmem_tEENKUlT_SJ_SK_SL_E_clIPxSE_SF_SF_EESI_SY_SJ_SK_SL_EUlSY_E1_NS1_11comp_targetILNS1_3genE0ELNS1_11target_archE4294967295ELNS1_3gpuE0ELNS1_3repE0EEENS1_36merge_oddeven_config_static_selectorELNS0_4arch9wavefront6targetE0EEEvSK_
	.p2align	8
	.type	_ZN7rocprim17ROCPRIM_400000_NS6detail17trampoline_kernelINS0_14default_configENS1_38merge_sort_block_merge_config_selectorIxNS0_10empty_typeEEEZZNS1_27merge_sort_block_merge_implIS3_N6thrust23THRUST_200600_302600_NS6detail15normal_iteratorINS9_10device_ptrIxEEEEPS5_m9comp_mod3IxEEE10hipError_tT0_T1_T2_jT3_P12ihipStream_tbPNSt15iterator_traitsISJ_E10value_typeEPNSP_ISK_E10value_typeEPSL_NS1_7vsmem_tEENKUlT_SJ_SK_SL_E_clIPxSE_SF_SF_EESI_SY_SJ_SK_SL_EUlSY_E1_NS1_11comp_targetILNS1_3genE0ELNS1_11target_archE4294967295ELNS1_3gpuE0ELNS1_3repE0EEENS1_36merge_oddeven_config_static_selectorELNS0_4arch9wavefront6targetE0EEEvSK_,@function
_ZN7rocprim17ROCPRIM_400000_NS6detail17trampoline_kernelINS0_14default_configENS1_38merge_sort_block_merge_config_selectorIxNS0_10empty_typeEEEZZNS1_27merge_sort_block_merge_implIS3_N6thrust23THRUST_200600_302600_NS6detail15normal_iteratorINS9_10device_ptrIxEEEEPS5_m9comp_mod3IxEEE10hipError_tT0_T1_T2_jT3_P12ihipStream_tbPNSt15iterator_traitsISJ_E10value_typeEPNSP_ISK_E10value_typeEPSL_NS1_7vsmem_tEENKUlT_SJ_SK_SL_E_clIPxSE_SF_SF_EESI_SY_SJ_SK_SL_EUlSY_E1_NS1_11comp_targetILNS1_3genE0ELNS1_11target_archE4294967295ELNS1_3gpuE0ELNS1_3repE0EEENS1_36merge_oddeven_config_static_selectorELNS0_4arch9wavefront6targetE0EEEvSK_: ; @_ZN7rocprim17ROCPRIM_400000_NS6detail17trampoline_kernelINS0_14default_configENS1_38merge_sort_block_merge_config_selectorIxNS0_10empty_typeEEEZZNS1_27merge_sort_block_merge_implIS3_N6thrust23THRUST_200600_302600_NS6detail15normal_iteratorINS9_10device_ptrIxEEEEPS5_m9comp_mod3IxEEE10hipError_tT0_T1_T2_jT3_P12ihipStream_tbPNSt15iterator_traitsISJ_E10value_typeEPNSP_ISK_E10value_typeEPSL_NS1_7vsmem_tEENKUlT_SJ_SK_SL_E_clIPxSE_SF_SF_EESI_SY_SJ_SK_SL_EUlSY_E1_NS1_11comp_targetILNS1_3genE0ELNS1_11target_archE4294967295ELNS1_3gpuE0ELNS1_3repE0EEENS1_36merge_oddeven_config_static_selectorELNS0_4arch9wavefront6targetE0EEEvSK_
; %bb.0:
	.section	.rodata,"a",@progbits
	.p2align	6, 0x0
	.amdhsa_kernel _ZN7rocprim17ROCPRIM_400000_NS6detail17trampoline_kernelINS0_14default_configENS1_38merge_sort_block_merge_config_selectorIxNS0_10empty_typeEEEZZNS1_27merge_sort_block_merge_implIS3_N6thrust23THRUST_200600_302600_NS6detail15normal_iteratorINS9_10device_ptrIxEEEEPS5_m9comp_mod3IxEEE10hipError_tT0_T1_T2_jT3_P12ihipStream_tbPNSt15iterator_traitsISJ_E10value_typeEPNSP_ISK_E10value_typeEPSL_NS1_7vsmem_tEENKUlT_SJ_SK_SL_E_clIPxSE_SF_SF_EESI_SY_SJ_SK_SL_EUlSY_E1_NS1_11comp_targetILNS1_3genE0ELNS1_11target_archE4294967295ELNS1_3gpuE0ELNS1_3repE0EEENS1_36merge_oddeven_config_static_selectorELNS0_4arch9wavefront6targetE0EEEvSK_
		.amdhsa_group_segment_fixed_size 0
		.amdhsa_private_segment_fixed_size 0
		.amdhsa_kernarg_size 56
		.amdhsa_user_sgpr_count 6
		.amdhsa_user_sgpr_private_segment_buffer 1
		.amdhsa_user_sgpr_dispatch_ptr 0
		.amdhsa_user_sgpr_queue_ptr 0
		.amdhsa_user_sgpr_kernarg_segment_ptr 1
		.amdhsa_user_sgpr_dispatch_id 0
		.amdhsa_user_sgpr_flat_scratch_init 0
		.amdhsa_user_sgpr_private_segment_size 0
		.amdhsa_wavefront_size32 1
		.amdhsa_uses_dynamic_stack 0
		.amdhsa_system_sgpr_private_segment_wavefront_offset 0
		.amdhsa_system_sgpr_workgroup_id_x 1
		.amdhsa_system_sgpr_workgroup_id_y 0
		.amdhsa_system_sgpr_workgroup_id_z 0
		.amdhsa_system_sgpr_workgroup_info 0
		.amdhsa_system_vgpr_workitem_id 0
		.amdhsa_next_free_vgpr 1
		.amdhsa_next_free_sgpr 1
		.amdhsa_reserve_vcc 0
		.amdhsa_reserve_flat_scratch 0
		.amdhsa_float_round_mode_32 0
		.amdhsa_float_round_mode_16_64 0
		.amdhsa_float_denorm_mode_32 3
		.amdhsa_float_denorm_mode_16_64 3
		.amdhsa_dx10_clamp 1
		.amdhsa_ieee_mode 1
		.amdhsa_fp16_overflow 0
		.amdhsa_workgroup_processor_mode 1
		.amdhsa_memory_ordered 1
		.amdhsa_forward_progress 1
		.amdhsa_shared_vgpr_count 0
		.amdhsa_exception_fp_ieee_invalid_op 0
		.amdhsa_exception_fp_denorm_src 0
		.amdhsa_exception_fp_ieee_div_zero 0
		.amdhsa_exception_fp_ieee_overflow 0
		.amdhsa_exception_fp_ieee_underflow 0
		.amdhsa_exception_fp_ieee_inexact 0
		.amdhsa_exception_int_div_zero 0
	.end_amdhsa_kernel
	.section	.text._ZN7rocprim17ROCPRIM_400000_NS6detail17trampoline_kernelINS0_14default_configENS1_38merge_sort_block_merge_config_selectorIxNS0_10empty_typeEEEZZNS1_27merge_sort_block_merge_implIS3_N6thrust23THRUST_200600_302600_NS6detail15normal_iteratorINS9_10device_ptrIxEEEEPS5_m9comp_mod3IxEEE10hipError_tT0_T1_T2_jT3_P12ihipStream_tbPNSt15iterator_traitsISJ_E10value_typeEPNSP_ISK_E10value_typeEPSL_NS1_7vsmem_tEENKUlT_SJ_SK_SL_E_clIPxSE_SF_SF_EESI_SY_SJ_SK_SL_EUlSY_E1_NS1_11comp_targetILNS1_3genE0ELNS1_11target_archE4294967295ELNS1_3gpuE0ELNS1_3repE0EEENS1_36merge_oddeven_config_static_selectorELNS0_4arch9wavefront6targetE0EEEvSK_,"axG",@progbits,_ZN7rocprim17ROCPRIM_400000_NS6detail17trampoline_kernelINS0_14default_configENS1_38merge_sort_block_merge_config_selectorIxNS0_10empty_typeEEEZZNS1_27merge_sort_block_merge_implIS3_N6thrust23THRUST_200600_302600_NS6detail15normal_iteratorINS9_10device_ptrIxEEEEPS5_m9comp_mod3IxEEE10hipError_tT0_T1_T2_jT3_P12ihipStream_tbPNSt15iterator_traitsISJ_E10value_typeEPNSP_ISK_E10value_typeEPSL_NS1_7vsmem_tEENKUlT_SJ_SK_SL_E_clIPxSE_SF_SF_EESI_SY_SJ_SK_SL_EUlSY_E1_NS1_11comp_targetILNS1_3genE0ELNS1_11target_archE4294967295ELNS1_3gpuE0ELNS1_3repE0EEENS1_36merge_oddeven_config_static_selectorELNS0_4arch9wavefront6targetE0EEEvSK_,comdat
.Lfunc_end947:
	.size	_ZN7rocprim17ROCPRIM_400000_NS6detail17trampoline_kernelINS0_14default_configENS1_38merge_sort_block_merge_config_selectorIxNS0_10empty_typeEEEZZNS1_27merge_sort_block_merge_implIS3_N6thrust23THRUST_200600_302600_NS6detail15normal_iteratorINS9_10device_ptrIxEEEEPS5_m9comp_mod3IxEEE10hipError_tT0_T1_T2_jT3_P12ihipStream_tbPNSt15iterator_traitsISJ_E10value_typeEPNSP_ISK_E10value_typeEPSL_NS1_7vsmem_tEENKUlT_SJ_SK_SL_E_clIPxSE_SF_SF_EESI_SY_SJ_SK_SL_EUlSY_E1_NS1_11comp_targetILNS1_3genE0ELNS1_11target_archE4294967295ELNS1_3gpuE0ELNS1_3repE0EEENS1_36merge_oddeven_config_static_selectorELNS0_4arch9wavefront6targetE0EEEvSK_, .Lfunc_end947-_ZN7rocprim17ROCPRIM_400000_NS6detail17trampoline_kernelINS0_14default_configENS1_38merge_sort_block_merge_config_selectorIxNS0_10empty_typeEEEZZNS1_27merge_sort_block_merge_implIS3_N6thrust23THRUST_200600_302600_NS6detail15normal_iteratorINS9_10device_ptrIxEEEEPS5_m9comp_mod3IxEEE10hipError_tT0_T1_T2_jT3_P12ihipStream_tbPNSt15iterator_traitsISJ_E10value_typeEPNSP_ISK_E10value_typeEPSL_NS1_7vsmem_tEENKUlT_SJ_SK_SL_E_clIPxSE_SF_SF_EESI_SY_SJ_SK_SL_EUlSY_E1_NS1_11comp_targetILNS1_3genE0ELNS1_11target_archE4294967295ELNS1_3gpuE0ELNS1_3repE0EEENS1_36merge_oddeven_config_static_selectorELNS0_4arch9wavefront6targetE0EEEvSK_
                                        ; -- End function
	.set _ZN7rocprim17ROCPRIM_400000_NS6detail17trampoline_kernelINS0_14default_configENS1_38merge_sort_block_merge_config_selectorIxNS0_10empty_typeEEEZZNS1_27merge_sort_block_merge_implIS3_N6thrust23THRUST_200600_302600_NS6detail15normal_iteratorINS9_10device_ptrIxEEEEPS5_m9comp_mod3IxEEE10hipError_tT0_T1_T2_jT3_P12ihipStream_tbPNSt15iterator_traitsISJ_E10value_typeEPNSP_ISK_E10value_typeEPSL_NS1_7vsmem_tEENKUlT_SJ_SK_SL_E_clIPxSE_SF_SF_EESI_SY_SJ_SK_SL_EUlSY_E1_NS1_11comp_targetILNS1_3genE0ELNS1_11target_archE4294967295ELNS1_3gpuE0ELNS1_3repE0EEENS1_36merge_oddeven_config_static_selectorELNS0_4arch9wavefront6targetE0EEEvSK_.num_vgpr, 0
	.set _ZN7rocprim17ROCPRIM_400000_NS6detail17trampoline_kernelINS0_14default_configENS1_38merge_sort_block_merge_config_selectorIxNS0_10empty_typeEEEZZNS1_27merge_sort_block_merge_implIS3_N6thrust23THRUST_200600_302600_NS6detail15normal_iteratorINS9_10device_ptrIxEEEEPS5_m9comp_mod3IxEEE10hipError_tT0_T1_T2_jT3_P12ihipStream_tbPNSt15iterator_traitsISJ_E10value_typeEPNSP_ISK_E10value_typeEPSL_NS1_7vsmem_tEENKUlT_SJ_SK_SL_E_clIPxSE_SF_SF_EESI_SY_SJ_SK_SL_EUlSY_E1_NS1_11comp_targetILNS1_3genE0ELNS1_11target_archE4294967295ELNS1_3gpuE0ELNS1_3repE0EEENS1_36merge_oddeven_config_static_selectorELNS0_4arch9wavefront6targetE0EEEvSK_.num_agpr, 0
	.set _ZN7rocprim17ROCPRIM_400000_NS6detail17trampoline_kernelINS0_14default_configENS1_38merge_sort_block_merge_config_selectorIxNS0_10empty_typeEEEZZNS1_27merge_sort_block_merge_implIS3_N6thrust23THRUST_200600_302600_NS6detail15normal_iteratorINS9_10device_ptrIxEEEEPS5_m9comp_mod3IxEEE10hipError_tT0_T1_T2_jT3_P12ihipStream_tbPNSt15iterator_traitsISJ_E10value_typeEPNSP_ISK_E10value_typeEPSL_NS1_7vsmem_tEENKUlT_SJ_SK_SL_E_clIPxSE_SF_SF_EESI_SY_SJ_SK_SL_EUlSY_E1_NS1_11comp_targetILNS1_3genE0ELNS1_11target_archE4294967295ELNS1_3gpuE0ELNS1_3repE0EEENS1_36merge_oddeven_config_static_selectorELNS0_4arch9wavefront6targetE0EEEvSK_.numbered_sgpr, 0
	.set _ZN7rocprim17ROCPRIM_400000_NS6detail17trampoline_kernelINS0_14default_configENS1_38merge_sort_block_merge_config_selectorIxNS0_10empty_typeEEEZZNS1_27merge_sort_block_merge_implIS3_N6thrust23THRUST_200600_302600_NS6detail15normal_iteratorINS9_10device_ptrIxEEEEPS5_m9comp_mod3IxEEE10hipError_tT0_T1_T2_jT3_P12ihipStream_tbPNSt15iterator_traitsISJ_E10value_typeEPNSP_ISK_E10value_typeEPSL_NS1_7vsmem_tEENKUlT_SJ_SK_SL_E_clIPxSE_SF_SF_EESI_SY_SJ_SK_SL_EUlSY_E1_NS1_11comp_targetILNS1_3genE0ELNS1_11target_archE4294967295ELNS1_3gpuE0ELNS1_3repE0EEENS1_36merge_oddeven_config_static_selectorELNS0_4arch9wavefront6targetE0EEEvSK_.num_named_barrier, 0
	.set _ZN7rocprim17ROCPRIM_400000_NS6detail17trampoline_kernelINS0_14default_configENS1_38merge_sort_block_merge_config_selectorIxNS0_10empty_typeEEEZZNS1_27merge_sort_block_merge_implIS3_N6thrust23THRUST_200600_302600_NS6detail15normal_iteratorINS9_10device_ptrIxEEEEPS5_m9comp_mod3IxEEE10hipError_tT0_T1_T2_jT3_P12ihipStream_tbPNSt15iterator_traitsISJ_E10value_typeEPNSP_ISK_E10value_typeEPSL_NS1_7vsmem_tEENKUlT_SJ_SK_SL_E_clIPxSE_SF_SF_EESI_SY_SJ_SK_SL_EUlSY_E1_NS1_11comp_targetILNS1_3genE0ELNS1_11target_archE4294967295ELNS1_3gpuE0ELNS1_3repE0EEENS1_36merge_oddeven_config_static_selectorELNS0_4arch9wavefront6targetE0EEEvSK_.private_seg_size, 0
	.set _ZN7rocprim17ROCPRIM_400000_NS6detail17trampoline_kernelINS0_14default_configENS1_38merge_sort_block_merge_config_selectorIxNS0_10empty_typeEEEZZNS1_27merge_sort_block_merge_implIS3_N6thrust23THRUST_200600_302600_NS6detail15normal_iteratorINS9_10device_ptrIxEEEEPS5_m9comp_mod3IxEEE10hipError_tT0_T1_T2_jT3_P12ihipStream_tbPNSt15iterator_traitsISJ_E10value_typeEPNSP_ISK_E10value_typeEPSL_NS1_7vsmem_tEENKUlT_SJ_SK_SL_E_clIPxSE_SF_SF_EESI_SY_SJ_SK_SL_EUlSY_E1_NS1_11comp_targetILNS1_3genE0ELNS1_11target_archE4294967295ELNS1_3gpuE0ELNS1_3repE0EEENS1_36merge_oddeven_config_static_selectorELNS0_4arch9wavefront6targetE0EEEvSK_.uses_vcc, 0
	.set _ZN7rocprim17ROCPRIM_400000_NS6detail17trampoline_kernelINS0_14default_configENS1_38merge_sort_block_merge_config_selectorIxNS0_10empty_typeEEEZZNS1_27merge_sort_block_merge_implIS3_N6thrust23THRUST_200600_302600_NS6detail15normal_iteratorINS9_10device_ptrIxEEEEPS5_m9comp_mod3IxEEE10hipError_tT0_T1_T2_jT3_P12ihipStream_tbPNSt15iterator_traitsISJ_E10value_typeEPNSP_ISK_E10value_typeEPSL_NS1_7vsmem_tEENKUlT_SJ_SK_SL_E_clIPxSE_SF_SF_EESI_SY_SJ_SK_SL_EUlSY_E1_NS1_11comp_targetILNS1_3genE0ELNS1_11target_archE4294967295ELNS1_3gpuE0ELNS1_3repE0EEENS1_36merge_oddeven_config_static_selectorELNS0_4arch9wavefront6targetE0EEEvSK_.uses_flat_scratch, 0
	.set _ZN7rocprim17ROCPRIM_400000_NS6detail17trampoline_kernelINS0_14default_configENS1_38merge_sort_block_merge_config_selectorIxNS0_10empty_typeEEEZZNS1_27merge_sort_block_merge_implIS3_N6thrust23THRUST_200600_302600_NS6detail15normal_iteratorINS9_10device_ptrIxEEEEPS5_m9comp_mod3IxEEE10hipError_tT0_T1_T2_jT3_P12ihipStream_tbPNSt15iterator_traitsISJ_E10value_typeEPNSP_ISK_E10value_typeEPSL_NS1_7vsmem_tEENKUlT_SJ_SK_SL_E_clIPxSE_SF_SF_EESI_SY_SJ_SK_SL_EUlSY_E1_NS1_11comp_targetILNS1_3genE0ELNS1_11target_archE4294967295ELNS1_3gpuE0ELNS1_3repE0EEENS1_36merge_oddeven_config_static_selectorELNS0_4arch9wavefront6targetE0EEEvSK_.has_dyn_sized_stack, 0
	.set _ZN7rocprim17ROCPRIM_400000_NS6detail17trampoline_kernelINS0_14default_configENS1_38merge_sort_block_merge_config_selectorIxNS0_10empty_typeEEEZZNS1_27merge_sort_block_merge_implIS3_N6thrust23THRUST_200600_302600_NS6detail15normal_iteratorINS9_10device_ptrIxEEEEPS5_m9comp_mod3IxEEE10hipError_tT0_T1_T2_jT3_P12ihipStream_tbPNSt15iterator_traitsISJ_E10value_typeEPNSP_ISK_E10value_typeEPSL_NS1_7vsmem_tEENKUlT_SJ_SK_SL_E_clIPxSE_SF_SF_EESI_SY_SJ_SK_SL_EUlSY_E1_NS1_11comp_targetILNS1_3genE0ELNS1_11target_archE4294967295ELNS1_3gpuE0ELNS1_3repE0EEENS1_36merge_oddeven_config_static_selectorELNS0_4arch9wavefront6targetE0EEEvSK_.has_recursion, 0
	.set _ZN7rocprim17ROCPRIM_400000_NS6detail17trampoline_kernelINS0_14default_configENS1_38merge_sort_block_merge_config_selectorIxNS0_10empty_typeEEEZZNS1_27merge_sort_block_merge_implIS3_N6thrust23THRUST_200600_302600_NS6detail15normal_iteratorINS9_10device_ptrIxEEEEPS5_m9comp_mod3IxEEE10hipError_tT0_T1_T2_jT3_P12ihipStream_tbPNSt15iterator_traitsISJ_E10value_typeEPNSP_ISK_E10value_typeEPSL_NS1_7vsmem_tEENKUlT_SJ_SK_SL_E_clIPxSE_SF_SF_EESI_SY_SJ_SK_SL_EUlSY_E1_NS1_11comp_targetILNS1_3genE0ELNS1_11target_archE4294967295ELNS1_3gpuE0ELNS1_3repE0EEENS1_36merge_oddeven_config_static_selectorELNS0_4arch9wavefront6targetE0EEEvSK_.has_indirect_call, 0
	.section	.AMDGPU.csdata,"",@progbits
; Kernel info:
; codeLenInByte = 0
; TotalNumSgprs: 0
; NumVgprs: 0
; ScratchSize: 0
; MemoryBound: 0
; FloatMode: 240
; IeeeMode: 1
; LDSByteSize: 0 bytes/workgroup (compile time only)
; SGPRBlocks: 0
; VGPRBlocks: 0
; NumSGPRsForWavesPerEU: 1
; NumVGPRsForWavesPerEU: 1
; Occupancy: 16
; WaveLimiterHint : 0
; COMPUTE_PGM_RSRC2:SCRATCH_EN: 0
; COMPUTE_PGM_RSRC2:USER_SGPR: 6
; COMPUTE_PGM_RSRC2:TRAP_HANDLER: 0
; COMPUTE_PGM_RSRC2:TGID_X_EN: 1
; COMPUTE_PGM_RSRC2:TGID_Y_EN: 0
; COMPUTE_PGM_RSRC2:TGID_Z_EN: 0
; COMPUTE_PGM_RSRC2:TIDIG_COMP_CNT: 0
	.section	.text._ZN7rocprim17ROCPRIM_400000_NS6detail17trampoline_kernelINS0_14default_configENS1_38merge_sort_block_merge_config_selectorIxNS0_10empty_typeEEEZZNS1_27merge_sort_block_merge_implIS3_N6thrust23THRUST_200600_302600_NS6detail15normal_iteratorINS9_10device_ptrIxEEEEPS5_m9comp_mod3IxEEE10hipError_tT0_T1_T2_jT3_P12ihipStream_tbPNSt15iterator_traitsISJ_E10value_typeEPNSP_ISK_E10value_typeEPSL_NS1_7vsmem_tEENKUlT_SJ_SK_SL_E_clIPxSE_SF_SF_EESI_SY_SJ_SK_SL_EUlSY_E1_NS1_11comp_targetILNS1_3genE10ELNS1_11target_archE1201ELNS1_3gpuE5ELNS1_3repE0EEENS1_36merge_oddeven_config_static_selectorELNS0_4arch9wavefront6targetE0EEEvSK_,"axG",@progbits,_ZN7rocprim17ROCPRIM_400000_NS6detail17trampoline_kernelINS0_14default_configENS1_38merge_sort_block_merge_config_selectorIxNS0_10empty_typeEEEZZNS1_27merge_sort_block_merge_implIS3_N6thrust23THRUST_200600_302600_NS6detail15normal_iteratorINS9_10device_ptrIxEEEEPS5_m9comp_mod3IxEEE10hipError_tT0_T1_T2_jT3_P12ihipStream_tbPNSt15iterator_traitsISJ_E10value_typeEPNSP_ISK_E10value_typeEPSL_NS1_7vsmem_tEENKUlT_SJ_SK_SL_E_clIPxSE_SF_SF_EESI_SY_SJ_SK_SL_EUlSY_E1_NS1_11comp_targetILNS1_3genE10ELNS1_11target_archE1201ELNS1_3gpuE5ELNS1_3repE0EEENS1_36merge_oddeven_config_static_selectorELNS0_4arch9wavefront6targetE0EEEvSK_,comdat
	.protected	_ZN7rocprim17ROCPRIM_400000_NS6detail17trampoline_kernelINS0_14default_configENS1_38merge_sort_block_merge_config_selectorIxNS0_10empty_typeEEEZZNS1_27merge_sort_block_merge_implIS3_N6thrust23THRUST_200600_302600_NS6detail15normal_iteratorINS9_10device_ptrIxEEEEPS5_m9comp_mod3IxEEE10hipError_tT0_T1_T2_jT3_P12ihipStream_tbPNSt15iterator_traitsISJ_E10value_typeEPNSP_ISK_E10value_typeEPSL_NS1_7vsmem_tEENKUlT_SJ_SK_SL_E_clIPxSE_SF_SF_EESI_SY_SJ_SK_SL_EUlSY_E1_NS1_11comp_targetILNS1_3genE10ELNS1_11target_archE1201ELNS1_3gpuE5ELNS1_3repE0EEENS1_36merge_oddeven_config_static_selectorELNS0_4arch9wavefront6targetE0EEEvSK_ ; -- Begin function _ZN7rocprim17ROCPRIM_400000_NS6detail17trampoline_kernelINS0_14default_configENS1_38merge_sort_block_merge_config_selectorIxNS0_10empty_typeEEEZZNS1_27merge_sort_block_merge_implIS3_N6thrust23THRUST_200600_302600_NS6detail15normal_iteratorINS9_10device_ptrIxEEEEPS5_m9comp_mod3IxEEE10hipError_tT0_T1_T2_jT3_P12ihipStream_tbPNSt15iterator_traitsISJ_E10value_typeEPNSP_ISK_E10value_typeEPSL_NS1_7vsmem_tEENKUlT_SJ_SK_SL_E_clIPxSE_SF_SF_EESI_SY_SJ_SK_SL_EUlSY_E1_NS1_11comp_targetILNS1_3genE10ELNS1_11target_archE1201ELNS1_3gpuE5ELNS1_3repE0EEENS1_36merge_oddeven_config_static_selectorELNS0_4arch9wavefront6targetE0EEEvSK_
	.globl	_ZN7rocprim17ROCPRIM_400000_NS6detail17trampoline_kernelINS0_14default_configENS1_38merge_sort_block_merge_config_selectorIxNS0_10empty_typeEEEZZNS1_27merge_sort_block_merge_implIS3_N6thrust23THRUST_200600_302600_NS6detail15normal_iteratorINS9_10device_ptrIxEEEEPS5_m9comp_mod3IxEEE10hipError_tT0_T1_T2_jT3_P12ihipStream_tbPNSt15iterator_traitsISJ_E10value_typeEPNSP_ISK_E10value_typeEPSL_NS1_7vsmem_tEENKUlT_SJ_SK_SL_E_clIPxSE_SF_SF_EESI_SY_SJ_SK_SL_EUlSY_E1_NS1_11comp_targetILNS1_3genE10ELNS1_11target_archE1201ELNS1_3gpuE5ELNS1_3repE0EEENS1_36merge_oddeven_config_static_selectorELNS0_4arch9wavefront6targetE0EEEvSK_
	.p2align	8
	.type	_ZN7rocprim17ROCPRIM_400000_NS6detail17trampoline_kernelINS0_14default_configENS1_38merge_sort_block_merge_config_selectorIxNS0_10empty_typeEEEZZNS1_27merge_sort_block_merge_implIS3_N6thrust23THRUST_200600_302600_NS6detail15normal_iteratorINS9_10device_ptrIxEEEEPS5_m9comp_mod3IxEEE10hipError_tT0_T1_T2_jT3_P12ihipStream_tbPNSt15iterator_traitsISJ_E10value_typeEPNSP_ISK_E10value_typeEPSL_NS1_7vsmem_tEENKUlT_SJ_SK_SL_E_clIPxSE_SF_SF_EESI_SY_SJ_SK_SL_EUlSY_E1_NS1_11comp_targetILNS1_3genE10ELNS1_11target_archE1201ELNS1_3gpuE5ELNS1_3repE0EEENS1_36merge_oddeven_config_static_selectorELNS0_4arch9wavefront6targetE0EEEvSK_,@function
_ZN7rocprim17ROCPRIM_400000_NS6detail17trampoline_kernelINS0_14default_configENS1_38merge_sort_block_merge_config_selectorIxNS0_10empty_typeEEEZZNS1_27merge_sort_block_merge_implIS3_N6thrust23THRUST_200600_302600_NS6detail15normal_iteratorINS9_10device_ptrIxEEEEPS5_m9comp_mod3IxEEE10hipError_tT0_T1_T2_jT3_P12ihipStream_tbPNSt15iterator_traitsISJ_E10value_typeEPNSP_ISK_E10value_typeEPSL_NS1_7vsmem_tEENKUlT_SJ_SK_SL_E_clIPxSE_SF_SF_EESI_SY_SJ_SK_SL_EUlSY_E1_NS1_11comp_targetILNS1_3genE10ELNS1_11target_archE1201ELNS1_3gpuE5ELNS1_3repE0EEENS1_36merge_oddeven_config_static_selectorELNS0_4arch9wavefront6targetE0EEEvSK_: ; @_ZN7rocprim17ROCPRIM_400000_NS6detail17trampoline_kernelINS0_14default_configENS1_38merge_sort_block_merge_config_selectorIxNS0_10empty_typeEEEZZNS1_27merge_sort_block_merge_implIS3_N6thrust23THRUST_200600_302600_NS6detail15normal_iteratorINS9_10device_ptrIxEEEEPS5_m9comp_mod3IxEEE10hipError_tT0_T1_T2_jT3_P12ihipStream_tbPNSt15iterator_traitsISJ_E10value_typeEPNSP_ISK_E10value_typeEPSL_NS1_7vsmem_tEENKUlT_SJ_SK_SL_E_clIPxSE_SF_SF_EESI_SY_SJ_SK_SL_EUlSY_E1_NS1_11comp_targetILNS1_3genE10ELNS1_11target_archE1201ELNS1_3gpuE5ELNS1_3repE0EEENS1_36merge_oddeven_config_static_selectorELNS0_4arch9wavefront6targetE0EEEvSK_
; %bb.0:
	.section	.rodata,"a",@progbits
	.p2align	6, 0x0
	.amdhsa_kernel _ZN7rocprim17ROCPRIM_400000_NS6detail17trampoline_kernelINS0_14default_configENS1_38merge_sort_block_merge_config_selectorIxNS0_10empty_typeEEEZZNS1_27merge_sort_block_merge_implIS3_N6thrust23THRUST_200600_302600_NS6detail15normal_iteratorINS9_10device_ptrIxEEEEPS5_m9comp_mod3IxEEE10hipError_tT0_T1_T2_jT3_P12ihipStream_tbPNSt15iterator_traitsISJ_E10value_typeEPNSP_ISK_E10value_typeEPSL_NS1_7vsmem_tEENKUlT_SJ_SK_SL_E_clIPxSE_SF_SF_EESI_SY_SJ_SK_SL_EUlSY_E1_NS1_11comp_targetILNS1_3genE10ELNS1_11target_archE1201ELNS1_3gpuE5ELNS1_3repE0EEENS1_36merge_oddeven_config_static_selectorELNS0_4arch9wavefront6targetE0EEEvSK_
		.amdhsa_group_segment_fixed_size 0
		.amdhsa_private_segment_fixed_size 0
		.amdhsa_kernarg_size 56
		.amdhsa_user_sgpr_count 6
		.amdhsa_user_sgpr_private_segment_buffer 1
		.amdhsa_user_sgpr_dispatch_ptr 0
		.amdhsa_user_sgpr_queue_ptr 0
		.amdhsa_user_sgpr_kernarg_segment_ptr 1
		.amdhsa_user_sgpr_dispatch_id 0
		.amdhsa_user_sgpr_flat_scratch_init 0
		.amdhsa_user_sgpr_private_segment_size 0
		.amdhsa_wavefront_size32 1
		.amdhsa_uses_dynamic_stack 0
		.amdhsa_system_sgpr_private_segment_wavefront_offset 0
		.amdhsa_system_sgpr_workgroup_id_x 1
		.amdhsa_system_sgpr_workgroup_id_y 0
		.amdhsa_system_sgpr_workgroup_id_z 0
		.amdhsa_system_sgpr_workgroup_info 0
		.amdhsa_system_vgpr_workitem_id 0
		.amdhsa_next_free_vgpr 1
		.amdhsa_next_free_sgpr 1
		.amdhsa_reserve_vcc 0
		.amdhsa_reserve_flat_scratch 0
		.amdhsa_float_round_mode_32 0
		.amdhsa_float_round_mode_16_64 0
		.amdhsa_float_denorm_mode_32 3
		.amdhsa_float_denorm_mode_16_64 3
		.amdhsa_dx10_clamp 1
		.amdhsa_ieee_mode 1
		.amdhsa_fp16_overflow 0
		.amdhsa_workgroup_processor_mode 1
		.amdhsa_memory_ordered 1
		.amdhsa_forward_progress 1
		.amdhsa_shared_vgpr_count 0
		.amdhsa_exception_fp_ieee_invalid_op 0
		.amdhsa_exception_fp_denorm_src 0
		.amdhsa_exception_fp_ieee_div_zero 0
		.amdhsa_exception_fp_ieee_overflow 0
		.amdhsa_exception_fp_ieee_underflow 0
		.amdhsa_exception_fp_ieee_inexact 0
		.amdhsa_exception_int_div_zero 0
	.end_amdhsa_kernel
	.section	.text._ZN7rocprim17ROCPRIM_400000_NS6detail17trampoline_kernelINS0_14default_configENS1_38merge_sort_block_merge_config_selectorIxNS0_10empty_typeEEEZZNS1_27merge_sort_block_merge_implIS3_N6thrust23THRUST_200600_302600_NS6detail15normal_iteratorINS9_10device_ptrIxEEEEPS5_m9comp_mod3IxEEE10hipError_tT0_T1_T2_jT3_P12ihipStream_tbPNSt15iterator_traitsISJ_E10value_typeEPNSP_ISK_E10value_typeEPSL_NS1_7vsmem_tEENKUlT_SJ_SK_SL_E_clIPxSE_SF_SF_EESI_SY_SJ_SK_SL_EUlSY_E1_NS1_11comp_targetILNS1_3genE10ELNS1_11target_archE1201ELNS1_3gpuE5ELNS1_3repE0EEENS1_36merge_oddeven_config_static_selectorELNS0_4arch9wavefront6targetE0EEEvSK_,"axG",@progbits,_ZN7rocprim17ROCPRIM_400000_NS6detail17trampoline_kernelINS0_14default_configENS1_38merge_sort_block_merge_config_selectorIxNS0_10empty_typeEEEZZNS1_27merge_sort_block_merge_implIS3_N6thrust23THRUST_200600_302600_NS6detail15normal_iteratorINS9_10device_ptrIxEEEEPS5_m9comp_mod3IxEEE10hipError_tT0_T1_T2_jT3_P12ihipStream_tbPNSt15iterator_traitsISJ_E10value_typeEPNSP_ISK_E10value_typeEPSL_NS1_7vsmem_tEENKUlT_SJ_SK_SL_E_clIPxSE_SF_SF_EESI_SY_SJ_SK_SL_EUlSY_E1_NS1_11comp_targetILNS1_3genE10ELNS1_11target_archE1201ELNS1_3gpuE5ELNS1_3repE0EEENS1_36merge_oddeven_config_static_selectorELNS0_4arch9wavefront6targetE0EEEvSK_,comdat
.Lfunc_end948:
	.size	_ZN7rocprim17ROCPRIM_400000_NS6detail17trampoline_kernelINS0_14default_configENS1_38merge_sort_block_merge_config_selectorIxNS0_10empty_typeEEEZZNS1_27merge_sort_block_merge_implIS3_N6thrust23THRUST_200600_302600_NS6detail15normal_iteratorINS9_10device_ptrIxEEEEPS5_m9comp_mod3IxEEE10hipError_tT0_T1_T2_jT3_P12ihipStream_tbPNSt15iterator_traitsISJ_E10value_typeEPNSP_ISK_E10value_typeEPSL_NS1_7vsmem_tEENKUlT_SJ_SK_SL_E_clIPxSE_SF_SF_EESI_SY_SJ_SK_SL_EUlSY_E1_NS1_11comp_targetILNS1_3genE10ELNS1_11target_archE1201ELNS1_3gpuE5ELNS1_3repE0EEENS1_36merge_oddeven_config_static_selectorELNS0_4arch9wavefront6targetE0EEEvSK_, .Lfunc_end948-_ZN7rocprim17ROCPRIM_400000_NS6detail17trampoline_kernelINS0_14default_configENS1_38merge_sort_block_merge_config_selectorIxNS0_10empty_typeEEEZZNS1_27merge_sort_block_merge_implIS3_N6thrust23THRUST_200600_302600_NS6detail15normal_iteratorINS9_10device_ptrIxEEEEPS5_m9comp_mod3IxEEE10hipError_tT0_T1_T2_jT3_P12ihipStream_tbPNSt15iterator_traitsISJ_E10value_typeEPNSP_ISK_E10value_typeEPSL_NS1_7vsmem_tEENKUlT_SJ_SK_SL_E_clIPxSE_SF_SF_EESI_SY_SJ_SK_SL_EUlSY_E1_NS1_11comp_targetILNS1_3genE10ELNS1_11target_archE1201ELNS1_3gpuE5ELNS1_3repE0EEENS1_36merge_oddeven_config_static_selectorELNS0_4arch9wavefront6targetE0EEEvSK_
                                        ; -- End function
	.set _ZN7rocprim17ROCPRIM_400000_NS6detail17trampoline_kernelINS0_14default_configENS1_38merge_sort_block_merge_config_selectorIxNS0_10empty_typeEEEZZNS1_27merge_sort_block_merge_implIS3_N6thrust23THRUST_200600_302600_NS6detail15normal_iteratorINS9_10device_ptrIxEEEEPS5_m9comp_mod3IxEEE10hipError_tT0_T1_T2_jT3_P12ihipStream_tbPNSt15iterator_traitsISJ_E10value_typeEPNSP_ISK_E10value_typeEPSL_NS1_7vsmem_tEENKUlT_SJ_SK_SL_E_clIPxSE_SF_SF_EESI_SY_SJ_SK_SL_EUlSY_E1_NS1_11comp_targetILNS1_3genE10ELNS1_11target_archE1201ELNS1_3gpuE5ELNS1_3repE0EEENS1_36merge_oddeven_config_static_selectorELNS0_4arch9wavefront6targetE0EEEvSK_.num_vgpr, 0
	.set _ZN7rocprim17ROCPRIM_400000_NS6detail17trampoline_kernelINS0_14default_configENS1_38merge_sort_block_merge_config_selectorIxNS0_10empty_typeEEEZZNS1_27merge_sort_block_merge_implIS3_N6thrust23THRUST_200600_302600_NS6detail15normal_iteratorINS9_10device_ptrIxEEEEPS5_m9comp_mod3IxEEE10hipError_tT0_T1_T2_jT3_P12ihipStream_tbPNSt15iterator_traitsISJ_E10value_typeEPNSP_ISK_E10value_typeEPSL_NS1_7vsmem_tEENKUlT_SJ_SK_SL_E_clIPxSE_SF_SF_EESI_SY_SJ_SK_SL_EUlSY_E1_NS1_11comp_targetILNS1_3genE10ELNS1_11target_archE1201ELNS1_3gpuE5ELNS1_3repE0EEENS1_36merge_oddeven_config_static_selectorELNS0_4arch9wavefront6targetE0EEEvSK_.num_agpr, 0
	.set _ZN7rocprim17ROCPRIM_400000_NS6detail17trampoline_kernelINS0_14default_configENS1_38merge_sort_block_merge_config_selectorIxNS0_10empty_typeEEEZZNS1_27merge_sort_block_merge_implIS3_N6thrust23THRUST_200600_302600_NS6detail15normal_iteratorINS9_10device_ptrIxEEEEPS5_m9comp_mod3IxEEE10hipError_tT0_T1_T2_jT3_P12ihipStream_tbPNSt15iterator_traitsISJ_E10value_typeEPNSP_ISK_E10value_typeEPSL_NS1_7vsmem_tEENKUlT_SJ_SK_SL_E_clIPxSE_SF_SF_EESI_SY_SJ_SK_SL_EUlSY_E1_NS1_11comp_targetILNS1_3genE10ELNS1_11target_archE1201ELNS1_3gpuE5ELNS1_3repE0EEENS1_36merge_oddeven_config_static_selectorELNS0_4arch9wavefront6targetE0EEEvSK_.numbered_sgpr, 0
	.set _ZN7rocprim17ROCPRIM_400000_NS6detail17trampoline_kernelINS0_14default_configENS1_38merge_sort_block_merge_config_selectorIxNS0_10empty_typeEEEZZNS1_27merge_sort_block_merge_implIS3_N6thrust23THRUST_200600_302600_NS6detail15normal_iteratorINS9_10device_ptrIxEEEEPS5_m9comp_mod3IxEEE10hipError_tT0_T1_T2_jT3_P12ihipStream_tbPNSt15iterator_traitsISJ_E10value_typeEPNSP_ISK_E10value_typeEPSL_NS1_7vsmem_tEENKUlT_SJ_SK_SL_E_clIPxSE_SF_SF_EESI_SY_SJ_SK_SL_EUlSY_E1_NS1_11comp_targetILNS1_3genE10ELNS1_11target_archE1201ELNS1_3gpuE5ELNS1_3repE0EEENS1_36merge_oddeven_config_static_selectorELNS0_4arch9wavefront6targetE0EEEvSK_.num_named_barrier, 0
	.set _ZN7rocprim17ROCPRIM_400000_NS6detail17trampoline_kernelINS0_14default_configENS1_38merge_sort_block_merge_config_selectorIxNS0_10empty_typeEEEZZNS1_27merge_sort_block_merge_implIS3_N6thrust23THRUST_200600_302600_NS6detail15normal_iteratorINS9_10device_ptrIxEEEEPS5_m9comp_mod3IxEEE10hipError_tT0_T1_T2_jT3_P12ihipStream_tbPNSt15iterator_traitsISJ_E10value_typeEPNSP_ISK_E10value_typeEPSL_NS1_7vsmem_tEENKUlT_SJ_SK_SL_E_clIPxSE_SF_SF_EESI_SY_SJ_SK_SL_EUlSY_E1_NS1_11comp_targetILNS1_3genE10ELNS1_11target_archE1201ELNS1_3gpuE5ELNS1_3repE0EEENS1_36merge_oddeven_config_static_selectorELNS0_4arch9wavefront6targetE0EEEvSK_.private_seg_size, 0
	.set _ZN7rocprim17ROCPRIM_400000_NS6detail17trampoline_kernelINS0_14default_configENS1_38merge_sort_block_merge_config_selectorIxNS0_10empty_typeEEEZZNS1_27merge_sort_block_merge_implIS3_N6thrust23THRUST_200600_302600_NS6detail15normal_iteratorINS9_10device_ptrIxEEEEPS5_m9comp_mod3IxEEE10hipError_tT0_T1_T2_jT3_P12ihipStream_tbPNSt15iterator_traitsISJ_E10value_typeEPNSP_ISK_E10value_typeEPSL_NS1_7vsmem_tEENKUlT_SJ_SK_SL_E_clIPxSE_SF_SF_EESI_SY_SJ_SK_SL_EUlSY_E1_NS1_11comp_targetILNS1_3genE10ELNS1_11target_archE1201ELNS1_3gpuE5ELNS1_3repE0EEENS1_36merge_oddeven_config_static_selectorELNS0_4arch9wavefront6targetE0EEEvSK_.uses_vcc, 0
	.set _ZN7rocprim17ROCPRIM_400000_NS6detail17trampoline_kernelINS0_14default_configENS1_38merge_sort_block_merge_config_selectorIxNS0_10empty_typeEEEZZNS1_27merge_sort_block_merge_implIS3_N6thrust23THRUST_200600_302600_NS6detail15normal_iteratorINS9_10device_ptrIxEEEEPS5_m9comp_mod3IxEEE10hipError_tT0_T1_T2_jT3_P12ihipStream_tbPNSt15iterator_traitsISJ_E10value_typeEPNSP_ISK_E10value_typeEPSL_NS1_7vsmem_tEENKUlT_SJ_SK_SL_E_clIPxSE_SF_SF_EESI_SY_SJ_SK_SL_EUlSY_E1_NS1_11comp_targetILNS1_3genE10ELNS1_11target_archE1201ELNS1_3gpuE5ELNS1_3repE0EEENS1_36merge_oddeven_config_static_selectorELNS0_4arch9wavefront6targetE0EEEvSK_.uses_flat_scratch, 0
	.set _ZN7rocprim17ROCPRIM_400000_NS6detail17trampoline_kernelINS0_14default_configENS1_38merge_sort_block_merge_config_selectorIxNS0_10empty_typeEEEZZNS1_27merge_sort_block_merge_implIS3_N6thrust23THRUST_200600_302600_NS6detail15normal_iteratorINS9_10device_ptrIxEEEEPS5_m9comp_mod3IxEEE10hipError_tT0_T1_T2_jT3_P12ihipStream_tbPNSt15iterator_traitsISJ_E10value_typeEPNSP_ISK_E10value_typeEPSL_NS1_7vsmem_tEENKUlT_SJ_SK_SL_E_clIPxSE_SF_SF_EESI_SY_SJ_SK_SL_EUlSY_E1_NS1_11comp_targetILNS1_3genE10ELNS1_11target_archE1201ELNS1_3gpuE5ELNS1_3repE0EEENS1_36merge_oddeven_config_static_selectorELNS0_4arch9wavefront6targetE0EEEvSK_.has_dyn_sized_stack, 0
	.set _ZN7rocprim17ROCPRIM_400000_NS6detail17trampoline_kernelINS0_14default_configENS1_38merge_sort_block_merge_config_selectorIxNS0_10empty_typeEEEZZNS1_27merge_sort_block_merge_implIS3_N6thrust23THRUST_200600_302600_NS6detail15normal_iteratorINS9_10device_ptrIxEEEEPS5_m9comp_mod3IxEEE10hipError_tT0_T1_T2_jT3_P12ihipStream_tbPNSt15iterator_traitsISJ_E10value_typeEPNSP_ISK_E10value_typeEPSL_NS1_7vsmem_tEENKUlT_SJ_SK_SL_E_clIPxSE_SF_SF_EESI_SY_SJ_SK_SL_EUlSY_E1_NS1_11comp_targetILNS1_3genE10ELNS1_11target_archE1201ELNS1_3gpuE5ELNS1_3repE0EEENS1_36merge_oddeven_config_static_selectorELNS0_4arch9wavefront6targetE0EEEvSK_.has_recursion, 0
	.set _ZN7rocprim17ROCPRIM_400000_NS6detail17trampoline_kernelINS0_14default_configENS1_38merge_sort_block_merge_config_selectorIxNS0_10empty_typeEEEZZNS1_27merge_sort_block_merge_implIS3_N6thrust23THRUST_200600_302600_NS6detail15normal_iteratorINS9_10device_ptrIxEEEEPS5_m9comp_mod3IxEEE10hipError_tT0_T1_T2_jT3_P12ihipStream_tbPNSt15iterator_traitsISJ_E10value_typeEPNSP_ISK_E10value_typeEPSL_NS1_7vsmem_tEENKUlT_SJ_SK_SL_E_clIPxSE_SF_SF_EESI_SY_SJ_SK_SL_EUlSY_E1_NS1_11comp_targetILNS1_3genE10ELNS1_11target_archE1201ELNS1_3gpuE5ELNS1_3repE0EEENS1_36merge_oddeven_config_static_selectorELNS0_4arch9wavefront6targetE0EEEvSK_.has_indirect_call, 0
	.section	.AMDGPU.csdata,"",@progbits
; Kernel info:
; codeLenInByte = 0
; TotalNumSgprs: 0
; NumVgprs: 0
; ScratchSize: 0
; MemoryBound: 0
; FloatMode: 240
; IeeeMode: 1
; LDSByteSize: 0 bytes/workgroup (compile time only)
; SGPRBlocks: 0
; VGPRBlocks: 0
; NumSGPRsForWavesPerEU: 1
; NumVGPRsForWavesPerEU: 1
; Occupancy: 16
; WaveLimiterHint : 0
; COMPUTE_PGM_RSRC2:SCRATCH_EN: 0
; COMPUTE_PGM_RSRC2:USER_SGPR: 6
; COMPUTE_PGM_RSRC2:TRAP_HANDLER: 0
; COMPUTE_PGM_RSRC2:TGID_X_EN: 1
; COMPUTE_PGM_RSRC2:TGID_Y_EN: 0
; COMPUTE_PGM_RSRC2:TGID_Z_EN: 0
; COMPUTE_PGM_RSRC2:TIDIG_COMP_CNT: 0
	.section	.text._ZN7rocprim17ROCPRIM_400000_NS6detail17trampoline_kernelINS0_14default_configENS1_38merge_sort_block_merge_config_selectorIxNS0_10empty_typeEEEZZNS1_27merge_sort_block_merge_implIS3_N6thrust23THRUST_200600_302600_NS6detail15normal_iteratorINS9_10device_ptrIxEEEEPS5_m9comp_mod3IxEEE10hipError_tT0_T1_T2_jT3_P12ihipStream_tbPNSt15iterator_traitsISJ_E10value_typeEPNSP_ISK_E10value_typeEPSL_NS1_7vsmem_tEENKUlT_SJ_SK_SL_E_clIPxSE_SF_SF_EESI_SY_SJ_SK_SL_EUlSY_E1_NS1_11comp_targetILNS1_3genE5ELNS1_11target_archE942ELNS1_3gpuE9ELNS1_3repE0EEENS1_36merge_oddeven_config_static_selectorELNS0_4arch9wavefront6targetE0EEEvSK_,"axG",@progbits,_ZN7rocprim17ROCPRIM_400000_NS6detail17trampoline_kernelINS0_14default_configENS1_38merge_sort_block_merge_config_selectorIxNS0_10empty_typeEEEZZNS1_27merge_sort_block_merge_implIS3_N6thrust23THRUST_200600_302600_NS6detail15normal_iteratorINS9_10device_ptrIxEEEEPS5_m9comp_mod3IxEEE10hipError_tT0_T1_T2_jT3_P12ihipStream_tbPNSt15iterator_traitsISJ_E10value_typeEPNSP_ISK_E10value_typeEPSL_NS1_7vsmem_tEENKUlT_SJ_SK_SL_E_clIPxSE_SF_SF_EESI_SY_SJ_SK_SL_EUlSY_E1_NS1_11comp_targetILNS1_3genE5ELNS1_11target_archE942ELNS1_3gpuE9ELNS1_3repE0EEENS1_36merge_oddeven_config_static_selectorELNS0_4arch9wavefront6targetE0EEEvSK_,comdat
	.protected	_ZN7rocprim17ROCPRIM_400000_NS6detail17trampoline_kernelINS0_14default_configENS1_38merge_sort_block_merge_config_selectorIxNS0_10empty_typeEEEZZNS1_27merge_sort_block_merge_implIS3_N6thrust23THRUST_200600_302600_NS6detail15normal_iteratorINS9_10device_ptrIxEEEEPS5_m9comp_mod3IxEEE10hipError_tT0_T1_T2_jT3_P12ihipStream_tbPNSt15iterator_traitsISJ_E10value_typeEPNSP_ISK_E10value_typeEPSL_NS1_7vsmem_tEENKUlT_SJ_SK_SL_E_clIPxSE_SF_SF_EESI_SY_SJ_SK_SL_EUlSY_E1_NS1_11comp_targetILNS1_3genE5ELNS1_11target_archE942ELNS1_3gpuE9ELNS1_3repE0EEENS1_36merge_oddeven_config_static_selectorELNS0_4arch9wavefront6targetE0EEEvSK_ ; -- Begin function _ZN7rocprim17ROCPRIM_400000_NS6detail17trampoline_kernelINS0_14default_configENS1_38merge_sort_block_merge_config_selectorIxNS0_10empty_typeEEEZZNS1_27merge_sort_block_merge_implIS3_N6thrust23THRUST_200600_302600_NS6detail15normal_iteratorINS9_10device_ptrIxEEEEPS5_m9comp_mod3IxEEE10hipError_tT0_T1_T2_jT3_P12ihipStream_tbPNSt15iterator_traitsISJ_E10value_typeEPNSP_ISK_E10value_typeEPSL_NS1_7vsmem_tEENKUlT_SJ_SK_SL_E_clIPxSE_SF_SF_EESI_SY_SJ_SK_SL_EUlSY_E1_NS1_11comp_targetILNS1_3genE5ELNS1_11target_archE942ELNS1_3gpuE9ELNS1_3repE0EEENS1_36merge_oddeven_config_static_selectorELNS0_4arch9wavefront6targetE0EEEvSK_
	.globl	_ZN7rocprim17ROCPRIM_400000_NS6detail17trampoline_kernelINS0_14default_configENS1_38merge_sort_block_merge_config_selectorIxNS0_10empty_typeEEEZZNS1_27merge_sort_block_merge_implIS3_N6thrust23THRUST_200600_302600_NS6detail15normal_iteratorINS9_10device_ptrIxEEEEPS5_m9comp_mod3IxEEE10hipError_tT0_T1_T2_jT3_P12ihipStream_tbPNSt15iterator_traitsISJ_E10value_typeEPNSP_ISK_E10value_typeEPSL_NS1_7vsmem_tEENKUlT_SJ_SK_SL_E_clIPxSE_SF_SF_EESI_SY_SJ_SK_SL_EUlSY_E1_NS1_11comp_targetILNS1_3genE5ELNS1_11target_archE942ELNS1_3gpuE9ELNS1_3repE0EEENS1_36merge_oddeven_config_static_selectorELNS0_4arch9wavefront6targetE0EEEvSK_
	.p2align	8
	.type	_ZN7rocprim17ROCPRIM_400000_NS6detail17trampoline_kernelINS0_14default_configENS1_38merge_sort_block_merge_config_selectorIxNS0_10empty_typeEEEZZNS1_27merge_sort_block_merge_implIS3_N6thrust23THRUST_200600_302600_NS6detail15normal_iteratorINS9_10device_ptrIxEEEEPS5_m9comp_mod3IxEEE10hipError_tT0_T1_T2_jT3_P12ihipStream_tbPNSt15iterator_traitsISJ_E10value_typeEPNSP_ISK_E10value_typeEPSL_NS1_7vsmem_tEENKUlT_SJ_SK_SL_E_clIPxSE_SF_SF_EESI_SY_SJ_SK_SL_EUlSY_E1_NS1_11comp_targetILNS1_3genE5ELNS1_11target_archE942ELNS1_3gpuE9ELNS1_3repE0EEENS1_36merge_oddeven_config_static_selectorELNS0_4arch9wavefront6targetE0EEEvSK_,@function
_ZN7rocprim17ROCPRIM_400000_NS6detail17trampoline_kernelINS0_14default_configENS1_38merge_sort_block_merge_config_selectorIxNS0_10empty_typeEEEZZNS1_27merge_sort_block_merge_implIS3_N6thrust23THRUST_200600_302600_NS6detail15normal_iteratorINS9_10device_ptrIxEEEEPS5_m9comp_mod3IxEEE10hipError_tT0_T1_T2_jT3_P12ihipStream_tbPNSt15iterator_traitsISJ_E10value_typeEPNSP_ISK_E10value_typeEPSL_NS1_7vsmem_tEENKUlT_SJ_SK_SL_E_clIPxSE_SF_SF_EESI_SY_SJ_SK_SL_EUlSY_E1_NS1_11comp_targetILNS1_3genE5ELNS1_11target_archE942ELNS1_3gpuE9ELNS1_3repE0EEENS1_36merge_oddeven_config_static_selectorELNS0_4arch9wavefront6targetE0EEEvSK_: ; @_ZN7rocprim17ROCPRIM_400000_NS6detail17trampoline_kernelINS0_14default_configENS1_38merge_sort_block_merge_config_selectorIxNS0_10empty_typeEEEZZNS1_27merge_sort_block_merge_implIS3_N6thrust23THRUST_200600_302600_NS6detail15normal_iteratorINS9_10device_ptrIxEEEEPS5_m9comp_mod3IxEEE10hipError_tT0_T1_T2_jT3_P12ihipStream_tbPNSt15iterator_traitsISJ_E10value_typeEPNSP_ISK_E10value_typeEPSL_NS1_7vsmem_tEENKUlT_SJ_SK_SL_E_clIPxSE_SF_SF_EESI_SY_SJ_SK_SL_EUlSY_E1_NS1_11comp_targetILNS1_3genE5ELNS1_11target_archE942ELNS1_3gpuE9ELNS1_3repE0EEENS1_36merge_oddeven_config_static_selectorELNS0_4arch9wavefront6targetE0EEEvSK_
; %bb.0:
	.section	.rodata,"a",@progbits
	.p2align	6, 0x0
	.amdhsa_kernel _ZN7rocprim17ROCPRIM_400000_NS6detail17trampoline_kernelINS0_14default_configENS1_38merge_sort_block_merge_config_selectorIxNS0_10empty_typeEEEZZNS1_27merge_sort_block_merge_implIS3_N6thrust23THRUST_200600_302600_NS6detail15normal_iteratorINS9_10device_ptrIxEEEEPS5_m9comp_mod3IxEEE10hipError_tT0_T1_T2_jT3_P12ihipStream_tbPNSt15iterator_traitsISJ_E10value_typeEPNSP_ISK_E10value_typeEPSL_NS1_7vsmem_tEENKUlT_SJ_SK_SL_E_clIPxSE_SF_SF_EESI_SY_SJ_SK_SL_EUlSY_E1_NS1_11comp_targetILNS1_3genE5ELNS1_11target_archE942ELNS1_3gpuE9ELNS1_3repE0EEENS1_36merge_oddeven_config_static_selectorELNS0_4arch9wavefront6targetE0EEEvSK_
		.amdhsa_group_segment_fixed_size 0
		.amdhsa_private_segment_fixed_size 0
		.amdhsa_kernarg_size 56
		.amdhsa_user_sgpr_count 6
		.amdhsa_user_sgpr_private_segment_buffer 1
		.amdhsa_user_sgpr_dispatch_ptr 0
		.amdhsa_user_sgpr_queue_ptr 0
		.amdhsa_user_sgpr_kernarg_segment_ptr 1
		.amdhsa_user_sgpr_dispatch_id 0
		.amdhsa_user_sgpr_flat_scratch_init 0
		.amdhsa_user_sgpr_private_segment_size 0
		.amdhsa_wavefront_size32 1
		.amdhsa_uses_dynamic_stack 0
		.amdhsa_system_sgpr_private_segment_wavefront_offset 0
		.amdhsa_system_sgpr_workgroup_id_x 1
		.amdhsa_system_sgpr_workgroup_id_y 0
		.amdhsa_system_sgpr_workgroup_id_z 0
		.amdhsa_system_sgpr_workgroup_info 0
		.amdhsa_system_vgpr_workitem_id 0
		.amdhsa_next_free_vgpr 1
		.amdhsa_next_free_sgpr 1
		.amdhsa_reserve_vcc 0
		.amdhsa_reserve_flat_scratch 0
		.amdhsa_float_round_mode_32 0
		.amdhsa_float_round_mode_16_64 0
		.amdhsa_float_denorm_mode_32 3
		.amdhsa_float_denorm_mode_16_64 3
		.amdhsa_dx10_clamp 1
		.amdhsa_ieee_mode 1
		.amdhsa_fp16_overflow 0
		.amdhsa_workgroup_processor_mode 1
		.amdhsa_memory_ordered 1
		.amdhsa_forward_progress 1
		.amdhsa_shared_vgpr_count 0
		.amdhsa_exception_fp_ieee_invalid_op 0
		.amdhsa_exception_fp_denorm_src 0
		.amdhsa_exception_fp_ieee_div_zero 0
		.amdhsa_exception_fp_ieee_overflow 0
		.amdhsa_exception_fp_ieee_underflow 0
		.amdhsa_exception_fp_ieee_inexact 0
		.amdhsa_exception_int_div_zero 0
	.end_amdhsa_kernel
	.section	.text._ZN7rocprim17ROCPRIM_400000_NS6detail17trampoline_kernelINS0_14default_configENS1_38merge_sort_block_merge_config_selectorIxNS0_10empty_typeEEEZZNS1_27merge_sort_block_merge_implIS3_N6thrust23THRUST_200600_302600_NS6detail15normal_iteratorINS9_10device_ptrIxEEEEPS5_m9comp_mod3IxEEE10hipError_tT0_T1_T2_jT3_P12ihipStream_tbPNSt15iterator_traitsISJ_E10value_typeEPNSP_ISK_E10value_typeEPSL_NS1_7vsmem_tEENKUlT_SJ_SK_SL_E_clIPxSE_SF_SF_EESI_SY_SJ_SK_SL_EUlSY_E1_NS1_11comp_targetILNS1_3genE5ELNS1_11target_archE942ELNS1_3gpuE9ELNS1_3repE0EEENS1_36merge_oddeven_config_static_selectorELNS0_4arch9wavefront6targetE0EEEvSK_,"axG",@progbits,_ZN7rocprim17ROCPRIM_400000_NS6detail17trampoline_kernelINS0_14default_configENS1_38merge_sort_block_merge_config_selectorIxNS0_10empty_typeEEEZZNS1_27merge_sort_block_merge_implIS3_N6thrust23THRUST_200600_302600_NS6detail15normal_iteratorINS9_10device_ptrIxEEEEPS5_m9comp_mod3IxEEE10hipError_tT0_T1_T2_jT3_P12ihipStream_tbPNSt15iterator_traitsISJ_E10value_typeEPNSP_ISK_E10value_typeEPSL_NS1_7vsmem_tEENKUlT_SJ_SK_SL_E_clIPxSE_SF_SF_EESI_SY_SJ_SK_SL_EUlSY_E1_NS1_11comp_targetILNS1_3genE5ELNS1_11target_archE942ELNS1_3gpuE9ELNS1_3repE0EEENS1_36merge_oddeven_config_static_selectorELNS0_4arch9wavefront6targetE0EEEvSK_,comdat
.Lfunc_end949:
	.size	_ZN7rocprim17ROCPRIM_400000_NS6detail17trampoline_kernelINS0_14default_configENS1_38merge_sort_block_merge_config_selectorIxNS0_10empty_typeEEEZZNS1_27merge_sort_block_merge_implIS3_N6thrust23THRUST_200600_302600_NS6detail15normal_iteratorINS9_10device_ptrIxEEEEPS5_m9comp_mod3IxEEE10hipError_tT0_T1_T2_jT3_P12ihipStream_tbPNSt15iterator_traitsISJ_E10value_typeEPNSP_ISK_E10value_typeEPSL_NS1_7vsmem_tEENKUlT_SJ_SK_SL_E_clIPxSE_SF_SF_EESI_SY_SJ_SK_SL_EUlSY_E1_NS1_11comp_targetILNS1_3genE5ELNS1_11target_archE942ELNS1_3gpuE9ELNS1_3repE0EEENS1_36merge_oddeven_config_static_selectorELNS0_4arch9wavefront6targetE0EEEvSK_, .Lfunc_end949-_ZN7rocprim17ROCPRIM_400000_NS6detail17trampoline_kernelINS0_14default_configENS1_38merge_sort_block_merge_config_selectorIxNS0_10empty_typeEEEZZNS1_27merge_sort_block_merge_implIS3_N6thrust23THRUST_200600_302600_NS6detail15normal_iteratorINS9_10device_ptrIxEEEEPS5_m9comp_mod3IxEEE10hipError_tT0_T1_T2_jT3_P12ihipStream_tbPNSt15iterator_traitsISJ_E10value_typeEPNSP_ISK_E10value_typeEPSL_NS1_7vsmem_tEENKUlT_SJ_SK_SL_E_clIPxSE_SF_SF_EESI_SY_SJ_SK_SL_EUlSY_E1_NS1_11comp_targetILNS1_3genE5ELNS1_11target_archE942ELNS1_3gpuE9ELNS1_3repE0EEENS1_36merge_oddeven_config_static_selectorELNS0_4arch9wavefront6targetE0EEEvSK_
                                        ; -- End function
	.set _ZN7rocprim17ROCPRIM_400000_NS6detail17trampoline_kernelINS0_14default_configENS1_38merge_sort_block_merge_config_selectorIxNS0_10empty_typeEEEZZNS1_27merge_sort_block_merge_implIS3_N6thrust23THRUST_200600_302600_NS6detail15normal_iteratorINS9_10device_ptrIxEEEEPS5_m9comp_mod3IxEEE10hipError_tT0_T1_T2_jT3_P12ihipStream_tbPNSt15iterator_traitsISJ_E10value_typeEPNSP_ISK_E10value_typeEPSL_NS1_7vsmem_tEENKUlT_SJ_SK_SL_E_clIPxSE_SF_SF_EESI_SY_SJ_SK_SL_EUlSY_E1_NS1_11comp_targetILNS1_3genE5ELNS1_11target_archE942ELNS1_3gpuE9ELNS1_3repE0EEENS1_36merge_oddeven_config_static_selectorELNS0_4arch9wavefront6targetE0EEEvSK_.num_vgpr, 0
	.set _ZN7rocprim17ROCPRIM_400000_NS6detail17trampoline_kernelINS0_14default_configENS1_38merge_sort_block_merge_config_selectorIxNS0_10empty_typeEEEZZNS1_27merge_sort_block_merge_implIS3_N6thrust23THRUST_200600_302600_NS6detail15normal_iteratorINS9_10device_ptrIxEEEEPS5_m9comp_mod3IxEEE10hipError_tT0_T1_T2_jT3_P12ihipStream_tbPNSt15iterator_traitsISJ_E10value_typeEPNSP_ISK_E10value_typeEPSL_NS1_7vsmem_tEENKUlT_SJ_SK_SL_E_clIPxSE_SF_SF_EESI_SY_SJ_SK_SL_EUlSY_E1_NS1_11comp_targetILNS1_3genE5ELNS1_11target_archE942ELNS1_3gpuE9ELNS1_3repE0EEENS1_36merge_oddeven_config_static_selectorELNS0_4arch9wavefront6targetE0EEEvSK_.num_agpr, 0
	.set _ZN7rocprim17ROCPRIM_400000_NS6detail17trampoline_kernelINS0_14default_configENS1_38merge_sort_block_merge_config_selectorIxNS0_10empty_typeEEEZZNS1_27merge_sort_block_merge_implIS3_N6thrust23THRUST_200600_302600_NS6detail15normal_iteratorINS9_10device_ptrIxEEEEPS5_m9comp_mod3IxEEE10hipError_tT0_T1_T2_jT3_P12ihipStream_tbPNSt15iterator_traitsISJ_E10value_typeEPNSP_ISK_E10value_typeEPSL_NS1_7vsmem_tEENKUlT_SJ_SK_SL_E_clIPxSE_SF_SF_EESI_SY_SJ_SK_SL_EUlSY_E1_NS1_11comp_targetILNS1_3genE5ELNS1_11target_archE942ELNS1_3gpuE9ELNS1_3repE0EEENS1_36merge_oddeven_config_static_selectorELNS0_4arch9wavefront6targetE0EEEvSK_.numbered_sgpr, 0
	.set _ZN7rocprim17ROCPRIM_400000_NS6detail17trampoline_kernelINS0_14default_configENS1_38merge_sort_block_merge_config_selectorIxNS0_10empty_typeEEEZZNS1_27merge_sort_block_merge_implIS3_N6thrust23THRUST_200600_302600_NS6detail15normal_iteratorINS9_10device_ptrIxEEEEPS5_m9comp_mod3IxEEE10hipError_tT0_T1_T2_jT3_P12ihipStream_tbPNSt15iterator_traitsISJ_E10value_typeEPNSP_ISK_E10value_typeEPSL_NS1_7vsmem_tEENKUlT_SJ_SK_SL_E_clIPxSE_SF_SF_EESI_SY_SJ_SK_SL_EUlSY_E1_NS1_11comp_targetILNS1_3genE5ELNS1_11target_archE942ELNS1_3gpuE9ELNS1_3repE0EEENS1_36merge_oddeven_config_static_selectorELNS0_4arch9wavefront6targetE0EEEvSK_.num_named_barrier, 0
	.set _ZN7rocprim17ROCPRIM_400000_NS6detail17trampoline_kernelINS0_14default_configENS1_38merge_sort_block_merge_config_selectorIxNS0_10empty_typeEEEZZNS1_27merge_sort_block_merge_implIS3_N6thrust23THRUST_200600_302600_NS6detail15normal_iteratorINS9_10device_ptrIxEEEEPS5_m9comp_mod3IxEEE10hipError_tT0_T1_T2_jT3_P12ihipStream_tbPNSt15iterator_traitsISJ_E10value_typeEPNSP_ISK_E10value_typeEPSL_NS1_7vsmem_tEENKUlT_SJ_SK_SL_E_clIPxSE_SF_SF_EESI_SY_SJ_SK_SL_EUlSY_E1_NS1_11comp_targetILNS1_3genE5ELNS1_11target_archE942ELNS1_3gpuE9ELNS1_3repE0EEENS1_36merge_oddeven_config_static_selectorELNS0_4arch9wavefront6targetE0EEEvSK_.private_seg_size, 0
	.set _ZN7rocprim17ROCPRIM_400000_NS6detail17trampoline_kernelINS0_14default_configENS1_38merge_sort_block_merge_config_selectorIxNS0_10empty_typeEEEZZNS1_27merge_sort_block_merge_implIS3_N6thrust23THRUST_200600_302600_NS6detail15normal_iteratorINS9_10device_ptrIxEEEEPS5_m9comp_mod3IxEEE10hipError_tT0_T1_T2_jT3_P12ihipStream_tbPNSt15iterator_traitsISJ_E10value_typeEPNSP_ISK_E10value_typeEPSL_NS1_7vsmem_tEENKUlT_SJ_SK_SL_E_clIPxSE_SF_SF_EESI_SY_SJ_SK_SL_EUlSY_E1_NS1_11comp_targetILNS1_3genE5ELNS1_11target_archE942ELNS1_3gpuE9ELNS1_3repE0EEENS1_36merge_oddeven_config_static_selectorELNS0_4arch9wavefront6targetE0EEEvSK_.uses_vcc, 0
	.set _ZN7rocprim17ROCPRIM_400000_NS6detail17trampoline_kernelINS0_14default_configENS1_38merge_sort_block_merge_config_selectorIxNS0_10empty_typeEEEZZNS1_27merge_sort_block_merge_implIS3_N6thrust23THRUST_200600_302600_NS6detail15normal_iteratorINS9_10device_ptrIxEEEEPS5_m9comp_mod3IxEEE10hipError_tT0_T1_T2_jT3_P12ihipStream_tbPNSt15iterator_traitsISJ_E10value_typeEPNSP_ISK_E10value_typeEPSL_NS1_7vsmem_tEENKUlT_SJ_SK_SL_E_clIPxSE_SF_SF_EESI_SY_SJ_SK_SL_EUlSY_E1_NS1_11comp_targetILNS1_3genE5ELNS1_11target_archE942ELNS1_3gpuE9ELNS1_3repE0EEENS1_36merge_oddeven_config_static_selectorELNS0_4arch9wavefront6targetE0EEEvSK_.uses_flat_scratch, 0
	.set _ZN7rocprim17ROCPRIM_400000_NS6detail17trampoline_kernelINS0_14default_configENS1_38merge_sort_block_merge_config_selectorIxNS0_10empty_typeEEEZZNS1_27merge_sort_block_merge_implIS3_N6thrust23THRUST_200600_302600_NS6detail15normal_iteratorINS9_10device_ptrIxEEEEPS5_m9comp_mod3IxEEE10hipError_tT0_T1_T2_jT3_P12ihipStream_tbPNSt15iterator_traitsISJ_E10value_typeEPNSP_ISK_E10value_typeEPSL_NS1_7vsmem_tEENKUlT_SJ_SK_SL_E_clIPxSE_SF_SF_EESI_SY_SJ_SK_SL_EUlSY_E1_NS1_11comp_targetILNS1_3genE5ELNS1_11target_archE942ELNS1_3gpuE9ELNS1_3repE0EEENS1_36merge_oddeven_config_static_selectorELNS0_4arch9wavefront6targetE0EEEvSK_.has_dyn_sized_stack, 0
	.set _ZN7rocprim17ROCPRIM_400000_NS6detail17trampoline_kernelINS0_14default_configENS1_38merge_sort_block_merge_config_selectorIxNS0_10empty_typeEEEZZNS1_27merge_sort_block_merge_implIS3_N6thrust23THRUST_200600_302600_NS6detail15normal_iteratorINS9_10device_ptrIxEEEEPS5_m9comp_mod3IxEEE10hipError_tT0_T1_T2_jT3_P12ihipStream_tbPNSt15iterator_traitsISJ_E10value_typeEPNSP_ISK_E10value_typeEPSL_NS1_7vsmem_tEENKUlT_SJ_SK_SL_E_clIPxSE_SF_SF_EESI_SY_SJ_SK_SL_EUlSY_E1_NS1_11comp_targetILNS1_3genE5ELNS1_11target_archE942ELNS1_3gpuE9ELNS1_3repE0EEENS1_36merge_oddeven_config_static_selectorELNS0_4arch9wavefront6targetE0EEEvSK_.has_recursion, 0
	.set _ZN7rocprim17ROCPRIM_400000_NS6detail17trampoline_kernelINS0_14default_configENS1_38merge_sort_block_merge_config_selectorIxNS0_10empty_typeEEEZZNS1_27merge_sort_block_merge_implIS3_N6thrust23THRUST_200600_302600_NS6detail15normal_iteratorINS9_10device_ptrIxEEEEPS5_m9comp_mod3IxEEE10hipError_tT0_T1_T2_jT3_P12ihipStream_tbPNSt15iterator_traitsISJ_E10value_typeEPNSP_ISK_E10value_typeEPSL_NS1_7vsmem_tEENKUlT_SJ_SK_SL_E_clIPxSE_SF_SF_EESI_SY_SJ_SK_SL_EUlSY_E1_NS1_11comp_targetILNS1_3genE5ELNS1_11target_archE942ELNS1_3gpuE9ELNS1_3repE0EEENS1_36merge_oddeven_config_static_selectorELNS0_4arch9wavefront6targetE0EEEvSK_.has_indirect_call, 0
	.section	.AMDGPU.csdata,"",@progbits
; Kernel info:
; codeLenInByte = 0
; TotalNumSgprs: 0
; NumVgprs: 0
; ScratchSize: 0
; MemoryBound: 0
; FloatMode: 240
; IeeeMode: 1
; LDSByteSize: 0 bytes/workgroup (compile time only)
; SGPRBlocks: 0
; VGPRBlocks: 0
; NumSGPRsForWavesPerEU: 1
; NumVGPRsForWavesPerEU: 1
; Occupancy: 16
; WaveLimiterHint : 0
; COMPUTE_PGM_RSRC2:SCRATCH_EN: 0
; COMPUTE_PGM_RSRC2:USER_SGPR: 6
; COMPUTE_PGM_RSRC2:TRAP_HANDLER: 0
; COMPUTE_PGM_RSRC2:TGID_X_EN: 1
; COMPUTE_PGM_RSRC2:TGID_Y_EN: 0
; COMPUTE_PGM_RSRC2:TGID_Z_EN: 0
; COMPUTE_PGM_RSRC2:TIDIG_COMP_CNT: 0
	.section	.text._ZN7rocprim17ROCPRIM_400000_NS6detail17trampoline_kernelINS0_14default_configENS1_38merge_sort_block_merge_config_selectorIxNS0_10empty_typeEEEZZNS1_27merge_sort_block_merge_implIS3_N6thrust23THRUST_200600_302600_NS6detail15normal_iteratorINS9_10device_ptrIxEEEEPS5_m9comp_mod3IxEEE10hipError_tT0_T1_T2_jT3_P12ihipStream_tbPNSt15iterator_traitsISJ_E10value_typeEPNSP_ISK_E10value_typeEPSL_NS1_7vsmem_tEENKUlT_SJ_SK_SL_E_clIPxSE_SF_SF_EESI_SY_SJ_SK_SL_EUlSY_E1_NS1_11comp_targetILNS1_3genE4ELNS1_11target_archE910ELNS1_3gpuE8ELNS1_3repE0EEENS1_36merge_oddeven_config_static_selectorELNS0_4arch9wavefront6targetE0EEEvSK_,"axG",@progbits,_ZN7rocprim17ROCPRIM_400000_NS6detail17trampoline_kernelINS0_14default_configENS1_38merge_sort_block_merge_config_selectorIxNS0_10empty_typeEEEZZNS1_27merge_sort_block_merge_implIS3_N6thrust23THRUST_200600_302600_NS6detail15normal_iteratorINS9_10device_ptrIxEEEEPS5_m9comp_mod3IxEEE10hipError_tT0_T1_T2_jT3_P12ihipStream_tbPNSt15iterator_traitsISJ_E10value_typeEPNSP_ISK_E10value_typeEPSL_NS1_7vsmem_tEENKUlT_SJ_SK_SL_E_clIPxSE_SF_SF_EESI_SY_SJ_SK_SL_EUlSY_E1_NS1_11comp_targetILNS1_3genE4ELNS1_11target_archE910ELNS1_3gpuE8ELNS1_3repE0EEENS1_36merge_oddeven_config_static_selectorELNS0_4arch9wavefront6targetE0EEEvSK_,comdat
	.protected	_ZN7rocprim17ROCPRIM_400000_NS6detail17trampoline_kernelINS0_14default_configENS1_38merge_sort_block_merge_config_selectorIxNS0_10empty_typeEEEZZNS1_27merge_sort_block_merge_implIS3_N6thrust23THRUST_200600_302600_NS6detail15normal_iteratorINS9_10device_ptrIxEEEEPS5_m9comp_mod3IxEEE10hipError_tT0_T1_T2_jT3_P12ihipStream_tbPNSt15iterator_traitsISJ_E10value_typeEPNSP_ISK_E10value_typeEPSL_NS1_7vsmem_tEENKUlT_SJ_SK_SL_E_clIPxSE_SF_SF_EESI_SY_SJ_SK_SL_EUlSY_E1_NS1_11comp_targetILNS1_3genE4ELNS1_11target_archE910ELNS1_3gpuE8ELNS1_3repE0EEENS1_36merge_oddeven_config_static_selectorELNS0_4arch9wavefront6targetE0EEEvSK_ ; -- Begin function _ZN7rocprim17ROCPRIM_400000_NS6detail17trampoline_kernelINS0_14default_configENS1_38merge_sort_block_merge_config_selectorIxNS0_10empty_typeEEEZZNS1_27merge_sort_block_merge_implIS3_N6thrust23THRUST_200600_302600_NS6detail15normal_iteratorINS9_10device_ptrIxEEEEPS5_m9comp_mod3IxEEE10hipError_tT0_T1_T2_jT3_P12ihipStream_tbPNSt15iterator_traitsISJ_E10value_typeEPNSP_ISK_E10value_typeEPSL_NS1_7vsmem_tEENKUlT_SJ_SK_SL_E_clIPxSE_SF_SF_EESI_SY_SJ_SK_SL_EUlSY_E1_NS1_11comp_targetILNS1_3genE4ELNS1_11target_archE910ELNS1_3gpuE8ELNS1_3repE0EEENS1_36merge_oddeven_config_static_selectorELNS0_4arch9wavefront6targetE0EEEvSK_
	.globl	_ZN7rocprim17ROCPRIM_400000_NS6detail17trampoline_kernelINS0_14default_configENS1_38merge_sort_block_merge_config_selectorIxNS0_10empty_typeEEEZZNS1_27merge_sort_block_merge_implIS3_N6thrust23THRUST_200600_302600_NS6detail15normal_iteratorINS9_10device_ptrIxEEEEPS5_m9comp_mod3IxEEE10hipError_tT0_T1_T2_jT3_P12ihipStream_tbPNSt15iterator_traitsISJ_E10value_typeEPNSP_ISK_E10value_typeEPSL_NS1_7vsmem_tEENKUlT_SJ_SK_SL_E_clIPxSE_SF_SF_EESI_SY_SJ_SK_SL_EUlSY_E1_NS1_11comp_targetILNS1_3genE4ELNS1_11target_archE910ELNS1_3gpuE8ELNS1_3repE0EEENS1_36merge_oddeven_config_static_selectorELNS0_4arch9wavefront6targetE0EEEvSK_
	.p2align	8
	.type	_ZN7rocprim17ROCPRIM_400000_NS6detail17trampoline_kernelINS0_14default_configENS1_38merge_sort_block_merge_config_selectorIxNS0_10empty_typeEEEZZNS1_27merge_sort_block_merge_implIS3_N6thrust23THRUST_200600_302600_NS6detail15normal_iteratorINS9_10device_ptrIxEEEEPS5_m9comp_mod3IxEEE10hipError_tT0_T1_T2_jT3_P12ihipStream_tbPNSt15iterator_traitsISJ_E10value_typeEPNSP_ISK_E10value_typeEPSL_NS1_7vsmem_tEENKUlT_SJ_SK_SL_E_clIPxSE_SF_SF_EESI_SY_SJ_SK_SL_EUlSY_E1_NS1_11comp_targetILNS1_3genE4ELNS1_11target_archE910ELNS1_3gpuE8ELNS1_3repE0EEENS1_36merge_oddeven_config_static_selectorELNS0_4arch9wavefront6targetE0EEEvSK_,@function
_ZN7rocprim17ROCPRIM_400000_NS6detail17trampoline_kernelINS0_14default_configENS1_38merge_sort_block_merge_config_selectorIxNS0_10empty_typeEEEZZNS1_27merge_sort_block_merge_implIS3_N6thrust23THRUST_200600_302600_NS6detail15normal_iteratorINS9_10device_ptrIxEEEEPS5_m9comp_mod3IxEEE10hipError_tT0_T1_T2_jT3_P12ihipStream_tbPNSt15iterator_traitsISJ_E10value_typeEPNSP_ISK_E10value_typeEPSL_NS1_7vsmem_tEENKUlT_SJ_SK_SL_E_clIPxSE_SF_SF_EESI_SY_SJ_SK_SL_EUlSY_E1_NS1_11comp_targetILNS1_3genE4ELNS1_11target_archE910ELNS1_3gpuE8ELNS1_3repE0EEENS1_36merge_oddeven_config_static_selectorELNS0_4arch9wavefront6targetE0EEEvSK_: ; @_ZN7rocprim17ROCPRIM_400000_NS6detail17trampoline_kernelINS0_14default_configENS1_38merge_sort_block_merge_config_selectorIxNS0_10empty_typeEEEZZNS1_27merge_sort_block_merge_implIS3_N6thrust23THRUST_200600_302600_NS6detail15normal_iteratorINS9_10device_ptrIxEEEEPS5_m9comp_mod3IxEEE10hipError_tT0_T1_T2_jT3_P12ihipStream_tbPNSt15iterator_traitsISJ_E10value_typeEPNSP_ISK_E10value_typeEPSL_NS1_7vsmem_tEENKUlT_SJ_SK_SL_E_clIPxSE_SF_SF_EESI_SY_SJ_SK_SL_EUlSY_E1_NS1_11comp_targetILNS1_3genE4ELNS1_11target_archE910ELNS1_3gpuE8ELNS1_3repE0EEENS1_36merge_oddeven_config_static_selectorELNS0_4arch9wavefront6targetE0EEEvSK_
; %bb.0:
	.section	.rodata,"a",@progbits
	.p2align	6, 0x0
	.amdhsa_kernel _ZN7rocprim17ROCPRIM_400000_NS6detail17trampoline_kernelINS0_14default_configENS1_38merge_sort_block_merge_config_selectorIxNS0_10empty_typeEEEZZNS1_27merge_sort_block_merge_implIS3_N6thrust23THRUST_200600_302600_NS6detail15normal_iteratorINS9_10device_ptrIxEEEEPS5_m9comp_mod3IxEEE10hipError_tT0_T1_T2_jT3_P12ihipStream_tbPNSt15iterator_traitsISJ_E10value_typeEPNSP_ISK_E10value_typeEPSL_NS1_7vsmem_tEENKUlT_SJ_SK_SL_E_clIPxSE_SF_SF_EESI_SY_SJ_SK_SL_EUlSY_E1_NS1_11comp_targetILNS1_3genE4ELNS1_11target_archE910ELNS1_3gpuE8ELNS1_3repE0EEENS1_36merge_oddeven_config_static_selectorELNS0_4arch9wavefront6targetE0EEEvSK_
		.amdhsa_group_segment_fixed_size 0
		.amdhsa_private_segment_fixed_size 0
		.amdhsa_kernarg_size 56
		.amdhsa_user_sgpr_count 6
		.amdhsa_user_sgpr_private_segment_buffer 1
		.amdhsa_user_sgpr_dispatch_ptr 0
		.amdhsa_user_sgpr_queue_ptr 0
		.amdhsa_user_sgpr_kernarg_segment_ptr 1
		.amdhsa_user_sgpr_dispatch_id 0
		.amdhsa_user_sgpr_flat_scratch_init 0
		.amdhsa_user_sgpr_private_segment_size 0
		.amdhsa_wavefront_size32 1
		.amdhsa_uses_dynamic_stack 0
		.amdhsa_system_sgpr_private_segment_wavefront_offset 0
		.amdhsa_system_sgpr_workgroup_id_x 1
		.amdhsa_system_sgpr_workgroup_id_y 0
		.amdhsa_system_sgpr_workgroup_id_z 0
		.amdhsa_system_sgpr_workgroup_info 0
		.amdhsa_system_vgpr_workitem_id 0
		.amdhsa_next_free_vgpr 1
		.amdhsa_next_free_sgpr 1
		.amdhsa_reserve_vcc 0
		.amdhsa_reserve_flat_scratch 0
		.amdhsa_float_round_mode_32 0
		.amdhsa_float_round_mode_16_64 0
		.amdhsa_float_denorm_mode_32 3
		.amdhsa_float_denorm_mode_16_64 3
		.amdhsa_dx10_clamp 1
		.amdhsa_ieee_mode 1
		.amdhsa_fp16_overflow 0
		.amdhsa_workgroup_processor_mode 1
		.amdhsa_memory_ordered 1
		.amdhsa_forward_progress 1
		.amdhsa_shared_vgpr_count 0
		.amdhsa_exception_fp_ieee_invalid_op 0
		.amdhsa_exception_fp_denorm_src 0
		.amdhsa_exception_fp_ieee_div_zero 0
		.amdhsa_exception_fp_ieee_overflow 0
		.amdhsa_exception_fp_ieee_underflow 0
		.amdhsa_exception_fp_ieee_inexact 0
		.amdhsa_exception_int_div_zero 0
	.end_amdhsa_kernel
	.section	.text._ZN7rocprim17ROCPRIM_400000_NS6detail17trampoline_kernelINS0_14default_configENS1_38merge_sort_block_merge_config_selectorIxNS0_10empty_typeEEEZZNS1_27merge_sort_block_merge_implIS3_N6thrust23THRUST_200600_302600_NS6detail15normal_iteratorINS9_10device_ptrIxEEEEPS5_m9comp_mod3IxEEE10hipError_tT0_T1_T2_jT3_P12ihipStream_tbPNSt15iterator_traitsISJ_E10value_typeEPNSP_ISK_E10value_typeEPSL_NS1_7vsmem_tEENKUlT_SJ_SK_SL_E_clIPxSE_SF_SF_EESI_SY_SJ_SK_SL_EUlSY_E1_NS1_11comp_targetILNS1_3genE4ELNS1_11target_archE910ELNS1_3gpuE8ELNS1_3repE0EEENS1_36merge_oddeven_config_static_selectorELNS0_4arch9wavefront6targetE0EEEvSK_,"axG",@progbits,_ZN7rocprim17ROCPRIM_400000_NS6detail17trampoline_kernelINS0_14default_configENS1_38merge_sort_block_merge_config_selectorIxNS0_10empty_typeEEEZZNS1_27merge_sort_block_merge_implIS3_N6thrust23THRUST_200600_302600_NS6detail15normal_iteratorINS9_10device_ptrIxEEEEPS5_m9comp_mod3IxEEE10hipError_tT0_T1_T2_jT3_P12ihipStream_tbPNSt15iterator_traitsISJ_E10value_typeEPNSP_ISK_E10value_typeEPSL_NS1_7vsmem_tEENKUlT_SJ_SK_SL_E_clIPxSE_SF_SF_EESI_SY_SJ_SK_SL_EUlSY_E1_NS1_11comp_targetILNS1_3genE4ELNS1_11target_archE910ELNS1_3gpuE8ELNS1_3repE0EEENS1_36merge_oddeven_config_static_selectorELNS0_4arch9wavefront6targetE0EEEvSK_,comdat
.Lfunc_end950:
	.size	_ZN7rocprim17ROCPRIM_400000_NS6detail17trampoline_kernelINS0_14default_configENS1_38merge_sort_block_merge_config_selectorIxNS0_10empty_typeEEEZZNS1_27merge_sort_block_merge_implIS3_N6thrust23THRUST_200600_302600_NS6detail15normal_iteratorINS9_10device_ptrIxEEEEPS5_m9comp_mod3IxEEE10hipError_tT0_T1_T2_jT3_P12ihipStream_tbPNSt15iterator_traitsISJ_E10value_typeEPNSP_ISK_E10value_typeEPSL_NS1_7vsmem_tEENKUlT_SJ_SK_SL_E_clIPxSE_SF_SF_EESI_SY_SJ_SK_SL_EUlSY_E1_NS1_11comp_targetILNS1_3genE4ELNS1_11target_archE910ELNS1_3gpuE8ELNS1_3repE0EEENS1_36merge_oddeven_config_static_selectorELNS0_4arch9wavefront6targetE0EEEvSK_, .Lfunc_end950-_ZN7rocprim17ROCPRIM_400000_NS6detail17trampoline_kernelINS0_14default_configENS1_38merge_sort_block_merge_config_selectorIxNS0_10empty_typeEEEZZNS1_27merge_sort_block_merge_implIS3_N6thrust23THRUST_200600_302600_NS6detail15normal_iteratorINS9_10device_ptrIxEEEEPS5_m9comp_mod3IxEEE10hipError_tT0_T1_T2_jT3_P12ihipStream_tbPNSt15iterator_traitsISJ_E10value_typeEPNSP_ISK_E10value_typeEPSL_NS1_7vsmem_tEENKUlT_SJ_SK_SL_E_clIPxSE_SF_SF_EESI_SY_SJ_SK_SL_EUlSY_E1_NS1_11comp_targetILNS1_3genE4ELNS1_11target_archE910ELNS1_3gpuE8ELNS1_3repE0EEENS1_36merge_oddeven_config_static_selectorELNS0_4arch9wavefront6targetE0EEEvSK_
                                        ; -- End function
	.set _ZN7rocprim17ROCPRIM_400000_NS6detail17trampoline_kernelINS0_14default_configENS1_38merge_sort_block_merge_config_selectorIxNS0_10empty_typeEEEZZNS1_27merge_sort_block_merge_implIS3_N6thrust23THRUST_200600_302600_NS6detail15normal_iteratorINS9_10device_ptrIxEEEEPS5_m9comp_mod3IxEEE10hipError_tT0_T1_T2_jT3_P12ihipStream_tbPNSt15iterator_traitsISJ_E10value_typeEPNSP_ISK_E10value_typeEPSL_NS1_7vsmem_tEENKUlT_SJ_SK_SL_E_clIPxSE_SF_SF_EESI_SY_SJ_SK_SL_EUlSY_E1_NS1_11comp_targetILNS1_3genE4ELNS1_11target_archE910ELNS1_3gpuE8ELNS1_3repE0EEENS1_36merge_oddeven_config_static_selectorELNS0_4arch9wavefront6targetE0EEEvSK_.num_vgpr, 0
	.set _ZN7rocprim17ROCPRIM_400000_NS6detail17trampoline_kernelINS0_14default_configENS1_38merge_sort_block_merge_config_selectorIxNS0_10empty_typeEEEZZNS1_27merge_sort_block_merge_implIS3_N6thrust23THRUST_200600_302600_NS6detail15normal_iteratorINS9_10device_ptrIxEEEEPS5_m9comp_mod3IxEEE10hipError_tT0_T1_T2_jT3_P12ihipStream_tbPNSt15iterator_traitsISJ_E10value_typeEPNSP_ISK_E10value_typeEPSL_NS1_7vsmem_tEENKUlT_SJ_SK_SL_E_clIPxSE_SF_SF_EESI_SY_SJ_SK_SL_EUlSY_E1_NS1_11comp_targetILNS1_3genE4ELNS1_11target_archE910ELNS1_3gpuE8ELNS1_3repE0EEENS1_36merge_oddeven_config_static_selectorELNS0_4arch9wavefront6targetE0EEEvSK_.num_agpr, 0
	.set _ZN7rocprim17ROCPRIM_400000_NS6detail17trampoline_kernelINS0_14default_configENS1_38merge_sort_block_merge_config_selectorIxNS0_10empty_typeEEEZZNS1_27merge_sort_block_merge_implIS3_N6thrust23THRUST_200600_302600_NS6detail15normal_iteratorINS9_10device_ptrIxEEEEPS5_m9comp_mod3IxEEE10hipError_tT0_T1_T2_jT3_P12ihipStream_tbPNSt15iterator_traitsISJ_E10value_typeEPNSP_ISK_E10value_typeEPSL_NS1_7vsmem_tEENKUlT_SJ_SK_SL_E_clIPxSE_SF_SF_EESI_SY_SJ_SK_SL_EUlSY_E1_NS1_11comp_targetILNS1_3genE4ELNS1_11target_archE910ELNS1_3gpuE8ELNS1_3repE0EEENS1_36merge_oddeven_config_static_selectorELNS0_4arch9wavefront6targetE0EEEvSK_.numbered_sgpr, 0
	.set _ZN7rocprim17ROCPRIM_400000_NS6detail17trampoline_kernelINS0_14default_configENS1_38merge_sort_block_merge_config_selectorIxNS0_10empty_typeEEEZZNS1_27merge_sort_block_merge_implIS3_N6thrust23THRUST_200600_302600_NS6detail15normal_iteratorINS9_10device_ptrIxEEEEPS5_m9comp_mod3IxEEE10hipError_tT0_T1_T2_jT3_P12ihipStream_tbPNSt15iterator_traitsISJ_E10value_typeEPNSP_ISK_E10value_typeEPSL_NS1_7vsmem_tEENKUlT_SJ_SK_SL_E_clIPxSE_SF_SF_EESI_SY_SJ_SK_SL_EUlSY_E1_NS1_11comp_targetILNS1_3genE4ELNS1_11target_archE910ELNS1_3gpuE8ELNS1_3repE0EEENS1_36merge_oddeven_config_static_selectorELNS0_4arch9wavefront6targetE0EEEvSK_.num_named_barrier, 0
	.set _ZN7rocprim17ROCPRIM_400000_NS6detail17trampoline_kernelINS0_14default_configENS1_38merge_sort_block_merge_config_selectorIxNS0_10empty_typeEEEZZNS1_27merge_sort_block_merge_implIS3_N6thrust23THRUST_200600_302600_NS6detail15normal_iteratorINS9_10device_ptrIxEEEEPS5_m9comp_mod3IxEEE10hipError_tT0_T1_T2_jT3_P12ihipStream_tbPNSt15iterator_traitsISJ_E10value_typeEPNSP_ISK_E10value_typeEPSL_NS1_7vsmem_tEENKUlT_SJ_SK_SL_E_clIPxSE_SF_SF_EESI_SY_SJ_SK_SL_EUlSY_E1_NS1_11comp_targetILNS1_3genE4ELNS1_11target_archE910ELNS1_3gpuE8ELNS1_3repE0EEENS1_36merge_oddeven_config_static_selectorELNS0_4arch9wavefront6targetE0EEEvSK_.private_seg_size, 0
	.set _ZN7rocprim17ROCPRIM_400000_NS6detail17trampoline_kernelINS0_14default_configENS1_38merge_sort_block_merge_config_selectorIxNS0_10empty_typeEEEZZNS1_27merge_sort_block_merge_implIS3_N6thrust23THRUST_200600_302600_NS6detail15normal_iteratorINS9_10device_ptrIxEEEEPS5_m9comp_mod3IxEEE10hipError_tT0_T1_T2_jT3_P12ihipStream_tbPNSt15iterator_traitsISJ_E10value_typeEPNSP_ISK_E10value_typeEPSL_NS1_7vsmem_tEENKUlT_SJ_SK_SL_E_clIPxSE_SF_SF_EESI_SY_SJ_SK_SL_EUlSY_E1_NS1_11comp_targetILNS1_3genE4ELNS1_11target_archE910ELNS1_3gpuE8ELNS1_3repE0EEENS1_36merge_oddeven_config_static_selectorELNS0_4arch9wavefront6targetE0EEEvSK_.uses_vcc, 0
	.set _ZN7rocprim17ROCPRIM_400000_NS6detail17trampoline_kernelINS0_14default_configENS1_38merge_sort_block_merge_config_selectorIxNS0_10empty_typeEEEZZNS1_27merge_sort_block_merge_implIS3_N6thrust23THRUST_200600_302600_NS6detail15normal_iteratorINS9_10device_ptrIxEEEEPS5_m9comp_mod3IxEEE10hipError_tT0_T1_T2_jT3_P12ihipStream_tbPNSt15iterator_traitsISJ_E10value_typeEPNSP_ISK_E10value_typeEPSL_NS1_7vsmem_tEENKUlT_SJ_SK_SL_E_clIPxSE_SF_SF_EESI_SY_SJ_SK_SL_EUlSY_E1_NS1_11comp_targetILNS1_3genE4ELNS1_11target_archE910ELNS1_3gpuE8ELNS1_3repE0EEENS1_36merge_oddeven_config_static_selectorELNS0_4arch9wavefront6targetE0EEEvSK_.uses_flat_scratch, 0
	.set _ZN7rocprim17ROCPRIM_400000_NS6detail17trampoline_kernelINS0_14default_configENS1_38merge_sort_block_merge_config_selectorIxNS0_10empty_typeEEEZZNS1_27merge_sort_block_merge_implIS3_N6thrust23THRUST_200600_302600_NS6detail15normal_iteratorINS9_10device_ptrIxEEEEPS5_m9comp_mod3IxEEE10hipError_tT0_T1_T2_jT3_P12ihipStream_tbPNSt15iterator_traitsISJ_E10value_typeEPNSP_ISK_E10value_typeEPSL_NS1_7vsmem_tEENKUlT_SJ_SK_SL_E_clIPxSE_SF_SF_EESI_SY_SJ_SK_SL_EUlSY_E1_NS1_11comp_targetILNS1_3genE4ELNS1_11target_archE910ELNS1_3gpuE8ELNS1_3repE0EEENS1_36merge_oddeven_config_static_selectorELNS0_4arch9wavefront6targetE0EEEvSK_.has_dyn_sized_stack, 0
	.set _ZN7rocprim17ROCPRIM_400000_NS6detail17trampoline_kernelINS0_14default_configENS1_38merge_sort_block_merge_config_selectorIxNS0_10empty_typeEEEZZNS1_27merge_sort_block_merge_implIS3_N6thrust23THRUST_200600_302600_NS6detail15normal_iteratorINS9_10device_ptrIxEEEEPS5_m9comp_mod3IxEEE10hipError_tT0_T1_T2_jT3_P12ihipStream_tbPNSt15iterator_traitsISJ_E10value_typeEPNSP_ISK_E10value_typeEPSL_NS1_7vsmem_tEENKUlT_SJ_SK_SL_E_clIPxSE_SF_SF_EESI_SY_SJ_SK_SL_EUlSY_E1_NS1_11comp_targetILNS1_3genE4ELNS1_11target_archE910ELNS1_3gpuE8ELNS1_3repE0EEENS1_36merge_oddeven_config_static_selectorELNS0_4arch9wavefront6targetE0EEEvSK_.has_recursion, 0
	.set _ZN7rocprim17ROCPRIM_400000_NS6detail17trampoline_kernelINS0_14default_configENS1_38merge_sort_block_merge_config_selectorIxNS0_10empty_typeEEEZZNS1_27merge_sort_block_merge_implIS3_N6thrust23THRUST_200600_302600_NS6detail15normal_iteratorINS9_10device_ptrIxEEEEPS5_m9comp_mod3IxEEE10hipError_tT0_T1_T2_jT3_P12ihipStream_tbPNSt15iterator_traitsISJ_E10value_typeEPNSP_ISK_E10value_typeEPSL_NS1_7vsmem_tEENKUlT_SJ_SK_SL_E_clIPxSE_SF_SF_EESI_SY_SJ_SK_SL_EUlSY_E1_NS1_11comp_targetILNS1_3genE4ELNS1_11target_archE910ELNS1_3gpuE8ELNS1_3repE0EEENS1_36merge_oddeven_config_static_selectorELNS0_4arch9wavefront6targetE0EEEvSK_.has_indirect_call, 0
	.section	.AMDGPU.csdata,"",@progbits
; Kernel info:
; codeLenInByte = 0
; TotalNumSgprs: 0
; NumVgprs: 0
; ScratchSize: 0
; MemoryBound: 0
; FloatMode: 240
; IeeeMode: 1
; LDSByteSize: 0 bytes/workgroup (compile time only)
; SGPRBlocks: 0
; VGPRBlocks: 0
; NumSGPRsForWavesPerEU: 1
; NumVGPRsForWavesPerEU: 1
; Occupancy: 16
; WaveLimiterHint : 0
; COMPUTE_PGM_RSRC2:SCRATCH_EN: 0
; COMPUTE_PGM_RSRC2:USER_SGPR: 6
; COMPUTE_PGM_RSRC2:TRAP_HANDLER: 0
; COMPUTE_PGM_RSRC2:TGID_X_EN: 1
; COMPUTE_PGM_RSRC2:TGID_Y_EN: 0
; COMPUTE_PGM_RSRC2:TGID_Z_EN: 0
; COMPUTE_PGM_RSRC2:TIDIG_COMP_CNT: 0
	.section	.text._ZN7rocprim17ROCPRIM_400000_NS6detail17trampoline_kernelINS0_14default_configENS1_38merge_sort_block_merge_config_selectorIxNS0_10empty_typeEEEZZNS1_27merge_sort_block_merge_implIS3_N6thrust23THRUST_200600_302600_NS6detail15normal_iteratorINS9_10device_ptrIxEEEEPS5_m9comp_mod3IxEEE10hipError_tT0_T1_T2_jT3_P12ihipStream_tbPNSt15iterator_traitsISJ_E10value_typeEPNSP_ISK_E10value_typeEPSL_NS1_7vsmem_tEENKUlT_SJ_SK_SL_E_clIPxSE_SF_SF_EESI_SY_SJ_SK_SL_EUlSY_E1_NS1_11comp_targetILNS1_3genE3ELNS1_11target_archE908ELNS1_3gpuE7ELNS1_3repE0EEENS1_36merge_oddeven_config_static_selectorELNS0_4arch9wavefront6targetE0EEEvSK_,"axG",@progbits,_ZN7rocprim17ROCPRIM_400000_NS6detail17trampoline_kernelINS0_14default_configENS1_38merge_sort_block_merge_config_selectorIxNS0_10empty_typeEEEZZNS1_27merge_sort_block_merge_implIS3_N6thrust23THRUST_200600_302600_NS6detail15normal_iteratorINS9_10device_ptrIxEEEEPS5_m9comp_mod3IxEEE10hipError_tT0_T1_T2_jT3_P12ihipStream_tbPNSt15iterator_traitsISJ_E10value_typeEPNSP_ISK_E10value_typeEPSL_NS1_7vsmem_tEENKUlT_SJ_SK_SL_E_clIPxSE_SF_SF_EESI_SY_SJ_SK_SL_EUlSY_E1_NS1_11comp_targetILNS1_3genE3ELNS1_11target_archE908ELNS1_3gpuE7ELNS1_3repE0EEENS1_36merge_oddeven_config_static_selectorELNS0_4arch9wavefront6targetE0EEEvSK_,comdat
	.protected	_ZN7rocprim17ROCPRIM_400000_NS6detail17trampoline_kernelINS0_14default_configENS1_38merge_sort_block_merge_config_selectorIxNS0_10empty_typeEEEZZNS1_27merge_sort_block_merge_implIS3_N6thrust23THRUST_200600_302600_NS6detail15normal_iteratorINS9_10device_ptrIxEEEEPS5_m9comp_mod3IxEEE10hipError_tT0_T1_T2_jT3_P12ihipStream_tbPNSt15iterator_traitsISJ_E10value_typeEPNSP_ISK_E10value_typeEPSL_NS1_7vsmem_tEENKUlT_SJ_SK_SL_E_clIPxSE_SF_SF_EESI_SY_SJ_SK_SL_EUlSY_E1_NS1_11comp_targetILNS1_3genE3ELNS1_11target_archE908ELNS1_3gpuE7ELNS1_3repE0EEENS1_36merge_oddeven_config_static_selectorELNS0_4arch9wavefront6targetE0EEEvSK_ ; -- Begin function _ZN7rocprim17ROCPRIM_400000_NS6detail17trampoline_kernelINS0_14default_configENS1_38merge_sort_block_merge_config_selectorIxNS0_10empty_typeEEEZZNS1_27merge_sort_block_merge_implIS3_N6thrust23THRUST_200600_302600_NS6detail15normal_iteratorINS9_10device_ptrIxEEEEPS5_m9comp_mod3IxEEE10hipError_tT0_T1_T2_jT3_P12ihipStream_tbPNSt15iterator_traitsISJ_E10value_typeEPNSP_ISK_E10value_typeEPSL_NS1_7vsmem_tEENKUlT_SJ_SK_SL_E_clIPxSE_SF_SF_EESI_SY_SJ_SK_SL_EUlSY_E1_NS1_11comp_targetILNS1_3genE3ELNS1_11target_archE908ELNS1_3gpuE7ELNS1_3repE0EEENS1_36merge_oddeven_config_static_selectorELNS0_4arch9wavefront6targetE0EEEvSK_
	.globl	_ZN7rocprim17ROCPRIM_400000_NS6detail17trampoline_kernelINS0_14default_configENS1_38merge_sort_block_merge_config_selectorIxNS0_10empty_typeEEEZZNS1_27merge_sort_block_merge_implIS3_N6thrust23THRUST_200600_302600_NS6detail15normal_iteratorINS9_10device_ptrIxEEEEPS5_m9comp_mod3IxEEE10hipError_tT0_T1_T2_jT3_P12ihipStream_tbPNSt15iterator_traitsISJ_E10value_typeEPNSP_ISK_E10value_typeEPSL_NS1_7vsmem_tEENKUlT_SJ_SK_SL_E_clIPxSE_SF_SF_EESI_SY_SJ_SK_SL_EUlSY_E1_NS1_11comp_targetILNS1_3genE3ELNS1_11target_archE908ELNS1_3gpuE7ELNS1_3repE0EEENS1_36merge_oddeven_config_static_selectorELNS0_4arch9wavefront6targetE0EEEvSK_
	.p2align	8
	.type	_ZN7rocprim17ROCPRIM_400000_NS6detail17trampoline_kernelINS0_14default_configENS1_38merge_sort_block_merge_config_selectorIxNS0_10empty_typeEEEZZNS1_27merge_sort_block_merge_implIS3_N6thrust23THRUST_200600_302600_NS6detail15normal_iteratorINS9_10device_ptrIxEEEEPS5_m9comp_mod3IxEEE10hipError_tT0_T1_T2_jT3_P12ihipStream_tbPNSt15iterator_traitsISJ_E10value_typeEPNSP_ISK_E10value_typeEPSL_NS1_7vsmem_tEENKUlT_SJ_SK_SL_E_clIPxSE_SF_SF_EESI_SY_SJ_SK_SL_EUlSY_E1_NS1_11comp_targetILNS1_3genE3ELNS1_11target_archE908ELNS1_3gpuE7ELNS1_3repE0EEENS1_36merge_oddeven_config_static_selectorELNS0_4arch9wavefront6targetE0EEEvSK_,@function
_ZN7rocprim17ROCPRIM_400000_NS6detail17trampoline_kernelINS0_14default_configENS1_38merge_sort_block_merge_config_selectorIxNS0_10empty_typeEEEZZNS1_27merge_sort_block_merge_implIS3_N6thrust23THRUST_200600_302600_NS6detail15normal_iteratorINS9_10device_ptrIxEEEEPS5_m9comp_mod3IxEEE10hipError_tT0_T1_T2_jT3_P12ihipStream_tbPNSt15iterator_traitsISJ_E10value_typeEPNSP_ISK_E10value_typeEPSL_NS1_7vsmem_tEENKUlT_SJ_SK_SL_E_clIPxSE_SF_SF_EESI_SY_SJ_SK_SL_EUlSY_E1_NS1_11comp_targetILNS1_3genE3ELNS1_11target_archE908ELNS1_3gpuE7ELNS1_3repE0EEENS1_36merge_oddeven_config_static_selectorELNS0_4arch9wavefront6targetE0EEEvSK_: ; @_ZN7rocprim17ROCPRIM_400000_NS6detail17trampoline_kernelINS0_14default_configENS1_38merge_sort_block_merge_config_selectorIxNS0_10empty_typeEEEZZNS1_27merge_sort_block_merge_implIS3_N6thrust23THRUST_200600_302600_NS6detail15normal_iteratorINS9_10device_ptrIxEEEEPS5_m9comp_mod3IxEEE10hipError_tT0_T1_T2_jT3_P12ihipStream_tbPNSt15iterator_traitsISJ_E10value_typeEPNSP_ISK_E10value_typeEPSL_NS1_7vsmem_tEENKUlT_SJ_SK_SL_E_clIPxSE_SF_SF_EESI_SY_SJ_SK_SL_EUlSY_E1_NS1_11comp_targetILNS1_3genE3ELNS1_11target_archE908ELNS1_3gpuE7ELNS1_3repE0EEENS1_36merge_oddeven_config_static_selectorELNS0_4arch9wavefront6targetE0EEEvSK_
; %bb.0:
	.section	.rodata,"a",@progbits
	.p2align	6, 0x0
	.amdhsa_kernel _ZN7rocprim17ROCPRIM_400000_NS6detail17trampoline_kernelINS0_14default_configENS1_38merge_sort_block_merge_config_selectorIxNS0_10empty_typeEEEZZNS1_27merge_sort_block_merge_implIS3_N6thrust23THRUST_200600_302600_NS6detail15normal_iteratorINS9_10device_ptrIxEEEEPS5_m9comp_mod3IxEEE10hipError_tT0_T1_T2_jT3_P12ihipStream_tbPNSt15iterator_traitsISJ_E10value_typeEPNSP_ISK_E10value_typeEPSL_NS1_7vsmem_tEENKUlT_SJ_SK_SL_E_clIPxSE_SF_SF_EESI_SY_SJ_SK_SL_EUlSY_E1_NS1_11comp_targetILNS1_3genE3ELNS1_11target_archE908ELNS1_3gpuE7ELNS1_3repE0EEENS1_36merge_oddeven_config_static_selectorELNS0_4arch9wavefront6targetE0EEEvSK_
		.amdhsa_group_segment_fixed_size 0
		.amdhsa_private_segment_fixed_size 0
		.amdhsa_kernarg_size 56
		.amdhsa_user_sgpr_count 6
		.amdhsa_user_sgpr_private_segment_buffer 1
		.amdhsa_user_sgpr_dispatch_ptr 0
		.amdhsa_user_sgpr_queue_ptr 0
		.amdhsa_user_sgpr_kernarg_segment_ptr 1
		.amdhsa_user_sgpr_dispatch_id 0
		.amdhsa_user_sgpr_flat_scratch_init 0
		.amdhsa_user_sgpr_private_segment_size 0
		.amdhsa_wavefront_size32 1
		.amdhsa_uses_dynamic_stack 0
		.amdhsa_system_sgpr_private_segment_wavefront_offset 0
		.amdhsa_system_sgpr_workgroup_id_x 1
		.amdhsa_system_sgpr_workgroup_id_y 0
		.amdhsa_system_sgpr_workgroup_id_z 0
		.amdhsa_system_sgpr_workgroup_info 0
		.amdhsa_system_vgpr_workitem_id 0
		.amdhsa_next_free_vgpr 1
		.amdhsa_next_free_sgpr 1
		.amdhsa_reserve_vcc 0
		.amdhsa_reserve_flat_scratch 0
		.amdhsa_float_round_mode_32 0
		.amdhsa_float_round_mode_16_64 0
		.amdhsa_float_denorm_mode_32 3
		.amdhsa_float_denorm_mode_16_64 3
		.amdhsa_dx10_clamp 1
		.amdhsa_ieee_mode 1
		.amdhsa_fp16_overflow 0
		.amdhsa_workgroup_processor_mode 1
		.amdhsa_memory_ordered 1
		.amdhsa_forward_progress 1
		.amdhsa_shared_vgpr_count 0
		.amdhsa_exception_fp_ieee_invalid_op 0
		.amdhsa_exception_fp_denorm_src 0
		.amdhsa_exception_fp_ieee_div_zero 0
		.amdhsa_exception_fp_ieee_overflow 0
		.amdhsa_exception_fp_ieee_underflow 0
		.amdhsa_exception_fp_ieee_inexact 0
		.amdhsa_exception_int_div_zero 0
	.end_amdhsa_kernel
	.section	.text._ZN7rocprim17ROCPRIM_400000_NS6detail17trampoline_kernelINS0_14default_configENS1_38merge_sort_block_merge_config_selectorIxNS0_10empty_typeEEEZZNS1_27merge_sort_block_merge_implIS3_N6thrust23THRUST_200600_302600_NS6detail15normal_iteratorINS9_10device_ptrIxEEEEPS5_m9comp_mod3IxEEE10hipError_tT0_T1_T2_jT3_P12ihipStream_tbPNSt15iterator_traitsISJ_E10value_typeEPNSP_ISK_E10value_typeEPSL_NS1_7vsmem_tEENKUlT_SJ_SK_SL_E_clIPxSE_SF_SF_EESI_SY_SJ_SK_SL_EUlSY_E1_NS1_11comp_targetILNS1_3genE3ELNS1_11target_archE908ELNS1_3gpuE7ELNS1_3repE0EEENS1_36merge_oddeven_config_static_selectorELNS0_4arch9wavefront6targetE0EEEvSK_,"axG",@progbits,_ZN7rocprim17ROCPRIM_400000_NS6detail17trampoline_kernelINS0_14default_configENS1_38merge_sort_block_merge_config_selectorIxNS0_10empty_typeEEEZZNS1_27merge_sort_block_merge_implIS3_N6thrust23THRUST_200600_302600_NS6detail15normal_iteratorINS9_10device_ptrIxEEEEPS5_m9comp_mod3IxEEE10hipError_tT0_T1_T2_jT3_P12ihipStream_tbPNSt15iterator_traitsISJ_E10value_typeEPNSP_ISK_E10value_typeEPSL_NS1_7vsmem_tEENKUlT_SJ_SK_SL_E_clIPxSE_SF_SF_EESI_SY_SJ_SK_SL_EUlSY_E1_NS1_11comp_targetILNS1_3genE3ELNS1_11target_archE908ELNS1_3gpuE7ELNS1_3repE0EEENS1_36merge_oddeven_config_static_selectorELNS0_4arch9wavefront6targetE0EEEvSK_,comdat
.Lfunc_end951:
	.size	_ZN7rocprim17ROCPRIM_400000_NS6detail17trampoline_kernelINS0_14default_configENS1_38merge_sort_block_merge_config_selectorIxNS0_10empty_typeEEEZZNS1_27merge_sort_block_merge_implIS3_N6thrust23THRUST_200600_302600_NS6detail15normal_iteratorINS9_10device_ptrIxEEEEPS5_m9comp_mod3IxEEE10hipError_tT0_T1_T2_jT3_P12ihipStream_tbPNSt15iterator_traitsISJ_E10value_typeEPNSP_ISK_E10value_typeEPSL_NS1_7vsmem_tEENKUlT_SJ_SK_SL_E_clIPxSE_SF_SF_EESI_SY_SJ_SK_SL_EUlSY_E1_NS1_11comp_targetILNS1_3genE3ELNS1_11target_archE908ELNS1_3gpuE7ELNS1_3repE0EEENS1_36merge_oddeven_config_static_selectorELNS0_4arch9wavefront6targetE0EEEvSK_, .Lfunc_end951-_ZN7rocprim17ROCPRIM_400000_NS6detail17trampoline_kernelINS0_14default_configENS1_38merge_sort_block_merge_config_selectorIxNS0_10empty_typeEEEZZNS1_27merge_sort_block_merge_implIS3_N6thrust23THRUST_200600_302600_NS6detail15normal_iteratorINS9_10device_ptrIxEEEEPS5_m9comp_mod3IxEEE10hipError_tT0_T1_T2_jT3_P12ihipStream_tbPNSt15iterator_traitsISJ_E10value_typeEPNSP_ISK_E10value_typeEPSL_NS1_7vsmem_tEENKUlT_SJ_SK_SL_E_clIPxSE_SF_SF_EESI_SY_SJ_SK_SL_EUlSY_E1_NS1_11comp_targetILNS1_3genE3ELNS1_11target_archE908ELNS1_3gpuE7ELNS1_3repE0EEENS1_36merge_oddeven_config_static_selectorELNS0_4arch9wavefront6targetE0EEEvSK_
                                        ; -- End function
	.set _ZN7rocprim17ROCPRIM_400000_NS6detail17trampoline_kernelINS0_14default_configENS1_38merge_sort_block_merge_config_selectorIxNS0_10empty_typeEEEZZNS1_27merge_sort_block_merge_implIS3_N6thrust23THRUST_200600_302600_NS6detail15normal_iteratorINS9_10device_ptrIxEEEEPS5_m9comp_mod3IxEEE10hipError_tT0_T1_T2_jT3_P12ihipStream_tbPNSt15iterator_traitsISJ_E10value_typeEPNSP_ISK_E10value_typeEPSL_NS1_7vsmem_tEENKUlT_SJ_SK_SL_E_clIPxSE_SF_SF_EESI_SY_SJ_SK_SL_EUlSY_E1_NS1_11comp_targetILNS1_3genE3ELNS1_11target_archE908ELNS1_3gpuE7ELNS1_3repE0EEENS1_36merge_oddeven_config_static_selectorELNS0_4arch9wavefront6targetE0EEEvSK_.num_vgpr, 0
	.set _ZN7rocprim17ROCPRIM_400000_NS6detail17trampoline_kernelINS0_14default_configENS1_38merge_sort_block_merge_config_selectorIxNS0_10empty_typeEEEZZNS1_27merge_sort_block_merge_implIS3_N6thrust23THRUST_200600_302600_NS6detail15normal_iteratorINS9_10device_ptrIxEEEEPS5_m9comp_mod3IxEEE10hipError_tT0_T1_T2_jT3_P12ihipStream_tbPNSt15iterator_traitsISJ_E10value_typeEPNSP_ISK_E10value_typeEPSL_NS1_7vsmem_tEENKUlT_SJ_SK_SL_E_clIPxSE_SF_SF_EESI_SY_SJ_SK_SL_EUlSY_E1_NS1_11comp_targetILNS1_3genE3ELNS1_11target_archE908ELNS1_3gpuE7ELNS1_3repE0EEENS1_36merge_oddeven_config_static_selectorELNS0_4arch9wavefront6targetE0EEEvSK_.num_agpr, 0
	.set _ZN7rocprim17ROCPRIM_400000_NS6detail17trampoline_kernelINS0_14default_configENS1_38merge_sort_block_merge_config_selectorIxNS0_10empty_typeEEEZZNS1_27merge_sort_block_merge_implIS3_N6thrust23THRUST_200600_302600_NS6detail15normal_iteratorINS9_10device_ptrIxEEEEPS5_m9comp_mod3IxEEE10hipError_tT0_T1_T2_jT3_P12ihipStream_tbPNSt15iterator_traitsISJ_E10value_typeEPNSP_ISK_E10value_typeEPSL_NS1_7vsmem_tEENKUlT_SJ_SK_SL_E_clIPxSE_SF_SF_EESI_SY_SJ_SK_SL_EUlSY_E1_NS1_11comp_targetILNS1_3genE3ELNS1_11target_archE908ELNS1_3gpuE7ELNS1_3repE0EEENS1_36merge_oddeven_config_static_selectorELNS0_4arch9wavefront6targetE0EEEvSK_.numbered_sgpr, 0
	.set _ZN7rocprim17ROCPRIM_400000_NS6detail17trampoline_kernelINS0_14default_configENS1_38merge_sort_block_merge_config_selectorIxNS0_10empty_typeEEEZZNS1_27merge_sort_block_merge_implIS3_N6thrust23THRUST_200600_302600_NS6detail15normal_iteratorINS9_10device_ptrIxEEEEPS5_m9comp_mod3IxEEE10hipError_tT0_T1_T2_jT3_P12ihipStream_tbPNSt15iterator_traitsISJ_E10value_typeEPNSP_ISK_E10value_typeEPSL_NS1_7vsmem_tEENKUlT_SJ_SK_SL_E_clIPxSE_SF_SF_EESI_SY_SJ_SK_SL_EUlSY_E1_NS1_11comp_targetILNS1_3genE3ELNS1_11target_archE908ELNS1_3gpuE7ELNS1_3repE0EEENS1_36merge_oddeven_config_static_selectorELNS0_4arch9wavefront6targetE0EEEvSK_.num_named_barrier, 0
	.set _ZN7rocprim17ROCPRIM_400000_NS6detail17trampoline_kernelINS0_14default_configENS1_38merge_sort_block_merge_config_selectorIxNS0_10empty_typeEEEZZNS1_27merge_sort_block_merge_implIS3_N6thrust23THRUST_200600_302600_NS6detail15normal_iteratorINS9_10device_ptrIxEEEEPS5_m9comp_mod3IxEEE10hipError_tT0_T1_T2_jT3_P12ihipStream_tbPNSt15iterator_traitsISJ_E10value_typeEPNSP_ISK_E10value_typeEPSL_NS1_7vsmem_tEENKUlT_SJ_SK_SL_E_clIPxSE_SF_SF_EESI_SY_SJ_SK_SL_EUlSY_E1_NS1_11comp_targetILNS1_3genE3ELNS1_11target_archE908ELNS1_3gpuE7ELNS1_3repE0EEENS1_36merge_oddeven_config_static_selectorELNS0_4arch9wavefront6targetE0EEEvSK_.private_seg_size, 0
	.set _ZN7rocprim17ROCPRIM_400000_NS6detail17trampoline_kernelINS0_14default_configENS1_38merge_sort_block_merge_config_selectorIxNS0_10empty_typeEEEZZNS1_27merge_sort_block_merge_implIS3_N6thrust23THRUST_200600_302600_NS6detail15normal_iteratorINS9_10device_ptrIxEEEEPS5_m9comp_mod3IxEEE10hipError_tT0_T1_T2_jT3_P12ihipStream_tbPNSt15iterator_traitsISJ_E10value_typeEPNSP_ISK_E10value_typeEPSL_NS1_7vsmem_tEENKUlT_SJ_SK_SL_E_clIPxSE_SF_SF_EESI_SY_SJ_SK_SL_EUlSY_E1_NS1_11comp_targetILNS1_3genE3ELNS1_11target_archE908ELNS1_3gpuE7ELNS1_3repE0EEENS1_36merge_oddeven_config_static_selectorELNS0_4arch9wavefront6targetE0EEEvSK_.uses_vcc, 0
	.set _ZN7rocprim17ROCPRIM_400000_NS6detail17trampoline_kernelINS0_14default_configENS1_38merge_sort_block_merge_config_selectorIxNS0_10empty_typeEEEZZNS1_27merge_sort_block_merge_implIS3_N6thrust23THRUST_200600_302600_NS6detail15normal_iteratorINS9_10device_ptrIxEEEEPS5_m9comp_mod3IxEEE10hipError_tT0_T1_T2_jT3_P12ihipStream_tbPNSt15iterator_traitsISJ_E10value_typeEPNSP_ISK_E10value_typeEPSL_NS1_7vsmem_tEENKUlT_SJ_SK_SL_E_clIPxSE_SF_SF_EESI_SY_SJ_SK_SL_EUlSY_E1_NS1_11comp_targetILNS1_3genE3ELNS1_11target_archE908ELNS1_3gpuE7ELNS1_3repE0EEENS1_36merge_oddeven_config_static_selectorELNS0_4arch9wavefront6targetE0EEEvSK_.uses_flat_scratch, 0
	.set _ZN7rocprim17ROCPRIM_400000_NS6detail17trampoline_kernelINS0_14default_configENS1_38merge_sort_block_merge_config_selectorIxNS0_10empty_typeEEEZZNS1_27merge_sort_block_merge_implIS3_N6thrust23THRUST_200600_302600_NS6detail15normal_iteratorINS9_10device_ptrIxEEEEPS5_m9comp_mod3IxEEE10hipError_tT0_T1_T2_jT3_P12ihipStream_tbPNSt15iterator_traitsISJ_E10value_typeEPNSP_ISK_E10value_typeEPSL_NS1_7vsmem_tEENKUlT_SJ_SK_SL_E_clIPxSE_SF_SF_EESI_SY_SJ_SK_SL_EUlSY_E1_NS1_11comp_targetILNS1_3genE3ELNS1_11target_archE908ELNS1_3gpuE7ELNS1_3repE0EEENS1_36merge_oddeven_config_static_selectorELNS0_4arch9wavefront6targetE0EEEvSK_.has_dyn_sized_stack, 0
	.set _ZN7rocprim17ROCPRIM_400000_NS6detail17trampoline_kernelINS0_14default_configENS1_38merge_sort_block_merge_config_selectorIxNS0_10empty_typeEEEZZNS1_27merge_sort_block_merge_implIS3_N6thrust23THRUST_200600_302600_NS6detail15normal_iteratorINS9_10device_ptrIxEEEEPS5_m9comp_mod3IxEEE10hipError_tT0_T1_T2_jT3_P12ihipStream_tbPNSt15iterator_traitsISJ_E10value_typeEPNSP_ISK_E10value_typeEPSL_NS1_7vsmem_tEENKUlT_SJ_SK_SL_E_clIPxSE_SF_SF_EESI_SY_SJ_SK_SL_EUlSY_E1_NS1_11comp_targetILNS1_3genE3ELNS1_11target_archE908ELNS1_3gpuE7ELNS1_3repE0EEENS1_36merge_oddeven_config_static_selectorELNS0_4arch9wavefront6targetE0EEEvSK_.has_recursion, 0
	.set _ZN7rocprim17ROCPRIM_400000_NS6detail17trampoline_kernelINS0_14default_configENS1_38merge_sort_block_merge_config_selectorIxNS0_10empty_typeEEEZZNS1_27merge_sort_block_merge_implIS3_N6thrust23THRUST_200600_302600_NS6detail15normal_iteratorINS9_10device_ptrIxEEEEPS5_m9comp_mod3IxEEE10hipError_tT0_T1_T2_jT3_P12ihipStream_tbPNSt15iterator_traitsISJ_E10value_typeEPNSP_ISK_E10value_typeEPSL_NS1_7vsmem_tEENKUlT_SJ_SK_SL_E_clIPxSE_SF_SF_EESI_SY_SJ_SK_SL_EUlSY_E1_NS1_11comp_targetILNS1_3genE3ELNS1_11target_archE908ELNS1_3gpuE7ELNS1_3repE0EEENS1_36merge_oddeven_config_static_selectorELNS0_4arch9wavefront6targetE0EEEvSK_.has_indirect_call, 0
	.section	.AMDGPU.csdata,"",@progbits
; Kernel info:
; codeLenInByte = 0
; TotalNumSgprs: 0
; NumVgprs: 0
; ScratchSize: 0
; MemoryBound: 0
; FloatMode: 240
; IeeeMode: 1
; LDSByteSize: 0 bytes/workgroup (compile time only)
; SGPRBlocks: 0
; VGPRBlocks: 0
; NumSGPRsForWavesPerEU: 1
; NumVGPRsForWavesPerEU: 1
; Occupancy: 16
; WaveLimiterHint : 0
; COMPUTE_PGM_RSRC2:SCRATCH_EN: 0
; COMPUTE_PGM_RSRC2:USER_SGPR: 6
; COMPUTE_PGM_RSRC2:TRAP_HANDLER: 0
; COMPUTE_PGM_RSRC2:TGID_X_EN: 1
; COMPUTE_PGM_RSRC2:TGID_Y_EN: 0
; COMPUTE_PGM_RSRC2:TGID_Z_EN: 0
; COMPUTE_PGM_RSRC2:TIDIG_COMP_CNT: 0
	.section	.text._ZN7rocprim17ROCPRIM_400000_NS6detail17trampoline_kernelINS0_14default_configENS1_38merge_sort_block_merge_config_selectorIxNS0_10empty_typeEEEZZNS1_27merge_sort_block_merge_implIS3_N6thrust23THRUST_200600_302600_NS6detail15normal_iteratorINS9_10device_ptrIxEEEEPS5_m9comp_mod3IxEEE10hipError_tT0_T1_T2_jT3_P12ihipStream_tbPNSt15iterator_traitsISJ_E10value_typeEPNSP_ISK_E10value_typeEPSL_NS1_7vsmem_tEENKUlT_SJ_SK_SL_E_clIPxSE_SF_SF_EESI_SY_SJ_SK_SL_EUlSY_E1_NS1_11comp_targetILNS1_3genE2ELNS1_11target_archE906ELNS1_3gpuE6ELNS1_3repE0EEENS1_36merge_oddeven_config_static_selectorELNS0_4arch9wavefront6targetE0EEEvSK_,"axG",@progbits,_ZN7rocprim17ROCPRIM_400000_NS6detail17trampoline_kernelINS0_14default_configENS1_38merge_sort_block_merge_config_selectorIxNS0_10empty_typeEEEZZNS1_27merge_sort_block_merge_implIS3_N6thrust23THRUST_200600_302600_NS6detail15normal_iteratorINS9_10device_ptrIxEEEEPS5_m9comp_mod3IxEEE10hipError_tT0_T1_T2_jT3_P12ihipStream_tbPNSt15iterator_traitsISJ_E10value_typeEPNSP_ISK_E10value_typeEPSL_NS1_7vsmem_tEENKUlT_SJ_SK_SL_E_clIPxSE_SF_SF_EESI_SY_SJ_SK_SL_EUlSY_E1_NS1_11comp_targetILNS1_3genE2ELNS1_11target_archE906ELNS1_3gpuE6ELNS1_3repE0EEENS1_36merge_oddeven_config_static_selectorELNS0_4arch9wavefront6targetE0EEEvSK_,comdat
	.protected	_ZN7rocprim17ROCPRIM_400000_NS6detail17trampoline_kernelINS0_14default_configENS1_38merge_sort_block_merge_config_selectorIxNS0_10empty_typeEEEZZNS1_27merge_sort_block_merge_implIS3_N6thrust23THRUST_200600_302600_NS6detail15normal_iteratorINS9_10device_ptrIxEEEEPS5_m9comp_mod3IxEEE10hipError_tT0_T1_T2_jT3_P12ihipStream_tbPNSt15iterator_traitsISJ_E10value_typeEPNSP_ISK_E10value_typeEPSL_NS1_7vsmem_tEENKUlT_SJ_SK_SL_E_clIPxSE_SF_SF_EESI_SY_SJ_SK_SL_EUlSY_E1_NS1_11comp_targetILNS1_3genE2ELNS1_11target_archE906ELNS1_3gpuE6ELNS1_3repE0EEENS1_36merge_oddeven_config_static_selectorELNS0_4arch9wavefront6targetE0EEEvSK_ ; -- Begin function _ZN7rocprim17ROCPRIM_400000_NS6detail17trampoline_kernelINS0_14default_configENS1_38merge_sort_block_merge_config_selectorIxNS0_10empty_typeEEEZZNS1_27merge_sort_block_merge_implIS3_N6thrust23THRUST_200600_302600_NS6detail15normal_iteratorINS9_10device_ptrIxEEEEPS5_m9comp_mod3IxEEE10hipError_tT0_T1_T2_jT3_P12ihipStream_tbPNSt15iterator_traitsISJ_E10value_typeEPNSP_ISK_E10value_typeEPSL_NS1_7vsmem_tEENKUlT_SJ_SK_SL_E_clIPxSE_SF_SF_EESI_SY_SJ_SK_SL_EUlSY_E1_NS1_11comp_targetILNS1_3genE2ELNS1_11target_archE906ELNS1_3gpuE6ELNS1_3repE0EEENS1_36merge_oddeven_config_static_selectorELNS0_4arch9wavefront6targetE0EEEvSK_
	.globl	_ZN7rocprim17ROCPRIM_400000_NS6detail17trampoline_kernelINS0_14default_configENS1_38merge_sort_block_merge_config_selectorIxNS0_10empty_typeEEEZZNS1_27merge_sort_block_merge_implIS3_N6thrust23THRUST_200600_302600_NS6detail15normal_iteratorINS9_10device_ptrIxEEEEPS5_m9comp_mod3IxEEE10hipError_tT0_T1_T2_jT3_P12ihipStream_tbPNSt15iterator_traitsISJ_E10value_typeEPNSP_ISK_E10value_typeEPSL_NS1_7vsmem_tEENKUlT_SJ_SK_SL_E_clIPxSE_SF_SF_EESI_SY_SJ_SK_SL_EUlSY_E1_NS1_11comp_targetILNS1_3genE2ELNS1_11target_archE906ELNS1_3gpuE6ELNS1_3repE0EEENS1_36merge_oddeven_config_static_selectorELNS0_4arch9wavefront6targetE0EEEvSK_
	.p2align	8
	.type	_ZN7rocprim17ROCPRIM_400000_NS6detail17trampoline_kernelINS0_14default_configENS1_38merge_sort_block_merge_config_selectorIxNS0_10empty_typeEEEZZNS1_27merge_sort_block_merge_implIS3_N6thrust23THRUST_200600_302600_NS6detail15normal_iteratorINS9_10device_ptrIxEEEEPS5_m9comp_mod3IxEEE10hipError_tT0_T1_T2_jT3_P12ihipStream_tbPNSt15iterator_traitsISJ_E10value_typeEPNSP_ISK_E10value_typeEPSL_NS1_7vsmem_tEENKUlT_SJ_SK_SL_E_clIPxSE_SF_SF_EESI_SY_SJ_SK_SL_EUlSY_E1_NS1_11comp_targetILNS1_3genE2ELNS1_11target_archE906ELNS1_3gpuE6ELNS1_3repE0EEENS1_36merge_oddeven_config_static_selectorELNS0_4arch9wavefront6targetE0EEEvSK_,@function
_ZN7rocprim17ROCPRIM_400000_NS6detail17trampoline_kernelINS0_14default_configENS1_38merge_sort_block_merge_config_selectorIxNS0_10empty_typeEEEZZNS1_27merge_sort_block_merge_implIS3_N6thrust23THRUST_200600_302600_NS6detail15normal_iteratorINS9_10device_ptrIxEEEEPS5_m9comp_mod3IxEEE10hipError_tT0_T1_T2_jT3_P12ihipStream_tbPNSt15iterator_traitsISJ_E10value_typeEPNSP_ISK_E10value_typeEPSL_NS1_7vsmem_tEENKUlT_SJ_SK_SL_E_clIPxSE_SF_SF_EESI_SY_SJ_SK_SL_EUlSY_E1_NS1_11comp_targetILNS1_3genE2ELNS1_11target_archE906ELNS1_3gpuE6ELNS1_3repE0EEENS1_36merge_oddeven_config_static_selectorELNS0_4arch9wavefront6targetE0EEEvSK_: ; @_ZN7rocprim17ROCPRIM_400000_NS6detail17trampoline_kernelINS0_14default_configENS1_38merge_sort_block_merge_config_selectorIxNS0_10empty_typeEEEZZNS1_27merge_sort_block_merge_implIS3_N6thrust23THRUST_200600_302600_NS6detail15normal_iteratorINS9_10device_ptrIxEEEEPS5_m9comp_mod3IxEEE10hipError_tT0_T1_T2_jT3_P12ihipStream_tbPNSt15iterator_traitsISJ_E10value_typeEPNSP_ISK_E10value_typeEPSL_NS1_7vsmem_tEENKUlT_SJ_SK_SL_E_clIPxSE_SF_SF_EESI_SY_SJ_SK_SL_EUlSY_E1_NS1_11comp_targetILNS1_3genE2ELNS1_11target_archE906ELNS1_3gpuE6ELNS1_3repE0EEENS1_36merge_oddeven_config_static_selectorELNS0_4arch9wavefront6targetE0EEEvSK_
; %bb.0:
	.section	.rodata,"a",@progbits
	.p2align	6, 0x0
	.amdhsa_kernel _ZN7rocprim17ROCPRIM_400000_NS6detail17trampoline_kernelINS0_14default_configENS1_38merge_sort_block_merge_config_selectorIxNS0_10empty_typeEEEZZNS1_27merge_sort_block_merge_implIS3_N6thrust23THRUST_200600_302600_NS6detail15normal_iteratorINS9_10device_ptrIxEEEEPS5_m9comp_mod3IxEEE10hipError_tT0_T1_T2_jT3_P12ihipStream_tbPNSt15iterator_traitsISJ_E10value_typeEPNSP_ISK_E10value_typeEPSL_NS1_7vsmem_tEENKUlT_SJ_SK_SL_E_clIPxSE_SF_SF_EESI_SY_SJ_SK_SL_EUlSY_E1_NS1_11comp_targetILNS1_3genE2ELNS1_11target_archE906ELNS1_3gpuE6ELNS1_3repE0EEENS1_36merge_oddeven_config_static_selectorELNS0_4arch9wavefront6targetE0EEEvSK_
		.amdhsa_group_segment_fixed_size 0
		.amdhsa_private_segment_fixed_size 0
		.amdhsa_kernarg_size 56
		.amdhsa_user_sgpr_count 6
		.amdhsa_user_sgpr_private_segment_buffer 1
		.amdhsa_user_sgpr_dispatch_ptr 0
		.amdhsa_user_sgpr_queue_ptr 0
		.amdhsa_user_sgpr_kernarg_segment_ptr 1
		.amdhsa_user_sgpr_dispatch_id 0
		.amdhsa_user_sgpr_flat_scratch_init 0
		.amdhsa_user_sgpr_private_segment_size 0
		.amdhsa_wavefront_size32 1
		.amdhsa_uses_dynamic_stack 0
		.amdhsa_system_sgpr_private_segment_wavefront_offset 0
		.amdhsa_system_sgpr_workgroup_id_x 1
		.amdhsa_system_sgpr_workgroup_id_y 0
		.amdhsa_system_sgpr_workgroup_id_z 0
		.amdhsa_system_sgpr_workgroup_info 0
		.amdhsa_system_vgpr_workitem_id 0
		.amdhsa_next_free_vgpr 1
		.amdhsa_next_free_sgpr 1
		.amdhsa_reserve_vcc 0
		.amdhsa_reserve_flat_scratch 0
		.amdhsa_float_round_mode_32 0
		.amdhsa_float_round_mode_16_64 0
		.amdhsa_float_denorm_mode_32 3
		.amdhsa_float_denorm_mode_16_64 3
		.amdhsa_dx10_clamp 1
		.amdhsa_ieee_mode 1
		.amdhsa_fp16_overflow 0
		.amdhsa_workgroup_processor_mode 1
		.amdhsa_memory_ordered 1
		.amdhsa_forward_progress 1
		.amdhsa_shared_vgpr_count 0
		.amdhsa_exception_fp_ieee_invalid_op 0
		.amdhsa_exception_fp_denorm_src 0
		.amdhsa_exception_fp_ieee_div_zero 0
		.amdhsa_exception_fp_ieee_overflow 0
		.amdhsa_exception_fp_ieee_underflow 0
		.amdhsa_exception_fp_ieee_inexact 0
		.amdhsa_exception_int_div_zero 0
	.end_amdhsa_kernel
	.section	.text._ZN7rocprim17ROCPRIM_400000_NS6detail17trampoline_kernelINS0_14default_configENS1_38merge_sort_block_merge_config_selectorIxNS0_10empty_typeEEEZZNS1_27merge_sort_block_merge_implIS3_N6thrust23THRUST_200600_302600_NS6detail15normal_iteratorINS9_10device_ptrIxEEEEPS5_m9comp_mod3IxEEE10hipError_tT0_T1_T2_jT3_P12ihipStream_tbPNSt15iterator_traitsISJ_E10value_typeEPNSP_ISK_E10value_typeEPSL_NS1_7vsmem_tEENKUlT_SJ_SK_SL_E_clIPxSE_SF_SF_EESI_SY_SJ_SK_SL_EUlSY_E1_NS1_11comp_targetILNS1_3genE2ELNS1_11target_archE906ELNS1_3gpuE6ELNS1_3repE0EEENS1_36merge_oddeven_config_static_selectorELNS0_4arch9wavefront6targetE0EEEvSK_,"axG",@progbits,_ZN7rocprim17ROCPRIM_400000_NS6detail17trampoline_kernelINS0_14default_configENS1_38merge_sort_block_merge_config_selectorIxNS0_10empty_typeEEEZZNS1_27merge_sort_block_merge_implIS3_N6thrust23THRUST_200600_302600_NS6detail15normal_iteratorINS9_10device_ptrIxEEEEPS5_m9comp_mod3IxEEE10hipError_tT0_T1_T2_jT3_P12ihipStream_tbPNSt15iterator_traitsISJ_E10value_typeEPNSP_ISK_E10value_typeEPSL_NS1_7vsmem_tEENKUlT_SJ_SK_SL_E_clIPxSE_SF_SF_EESI_SY_SJ_SK_SL_EUlSY_E1_NS1_11comp_targetILNS1_3genE2ELNS1_11target_archE906ELNS1_3gpuE6ELNS1_3repE0EEENS1_36merge_oddeven_config_static_selectorELNS0_4arch9wavefront6targetE0EEEvSK_,comdat
.Lfunc_end952:
	.size	_ZN7rocprim17ROCPRIM_400000_NS6detail17trampoline_kernelINS0_14default_configENS1_38merge_sort_block_merge_config_selectorIxNS0_10empty_typeEEEZZNS1_27merge_sort_block_merge_implIS3_N6thrust23THRUST_200600_302600_NS6detail15normal_iteratorINS9_10device_ptrIxEEEEPS5_m9comp_mod3IxEEE10hipError_tT0_T1_T2_jT3_P12ihipStream_tbPNSt15iterator_traitsISJ_E10value_typeEPNSP_ISK_E10value_typeEPSL_NS1_7vsmem_tEENKUlT_SJ_SK_SL_E_clIPxSE_SF_SF_EESI_SY_SJ_SK_SL_EUlSY_E1_NS1_11comp_targetILNS1_3genE2ELNS1_11target_archE906ELNS1_3gpuE6ELNS1_3repE0EEENS1_36merge_oddeven_config_static_selectorELNS0_4arch9wavefront6targetE0EEEvSK_, .Lfunc_end952-_ZN7rocprim17ROCPRIM_400000_NS6detail17trampoline_kernelINS0_14default_configENS1_38merge_sort_block_merge_config_selectorIxNS0_10empty_typeEEEZZNS1_27merge_sort_block_merge_implIS3_N6thrust23THRUST_200600_302600_NS6detail15normal_iteratorINS9_10device_ptrIxEEEEPS5_m9comp_mod3IxEEE10hipError_tT0_T1_T2_jT3_P12ihipStream_tbPNSt15iterator_traitsISJ_E10value_typeEPNSP_ISK_E10value_typeEPSL_NS1_7vsmem_tEENKUlT_SJ_SK_SL_E_clIPxSE_SF_SF_EESI_SY_SJ_SK_SL_EUlSY_E1_NS1_11comp_targetILNS1_3genE2ELNS1_11target_archE906ELNS1_3gpuE6ELNS1_3repE0EEENS1_36merge_oddeven_config_static_selectorELNS0_4arch9wavefront6targetE0EEEvSK_
                                        ; -- End function
	.set _ZN7rocprim17ROCPRIM_400000_NS6detail17trampoline_kernelINS0_14default_configENS1_38merge_sort_block_merge_config_selectorIxNS0_10empty_typeEEEZZNS1_27merge_sort_block_merge_implIS3_N6thrust23THRUST_200600_302600_NS6detail15normal_iteratorINS9_10device_ptrIxEEEEPS5_m9comp_mod3IxEEE10hipError_tT0_T1_T2_jT3_P12ihipStream_tbPNSt15iterator_traitsISJ_E10value_typeEPNSP_ISK_E10value_typeEPSL_NS1_7vsmem_tEENKUlT_SJ_SK_SL_E_clIPxSE_SF_SF_EESI_SY_SJ_SK_SL_EUlSY_E1_NS1_11comp_targetILNS1_3genE2ELNS1_11target_archE906ELNS1_3gpuE6ELNS1_3repE0EEENS1_36merge_oddeven_config_static_selectorELNS0_4arch9wavefront6targetE0EEEvSK_.num_vgpr, 0
	.set _ZN7rocprim17ROCPRIM_400000_NS6detail17trampoline_kernelINS0_14default_configENS1_38merge_sort_block_merge_config_selectorIxNS0_10empty_typeEEEZZNS1_27merge_sort_block_merge_implIS3_N6thrust23THRUST_200600_302600_NS6detail15normal_iteratorINS9_10device_ptrIxEEEEPS5_m9comp_mod3IxEEE10hipError_tT0_T1_T2_jT3_P12ihipStream_tbPNSt15iterator_traitsISJ_E10value_typeEPNSP_ISK_E10value_typeEPSL_NS1_7vsmem_tEENKUlT_SJ_SK_SL_E_clIPxSE_SF_SF_EESI_SY_SJ_SK_SL_EUlSY_E1_NS1_11comp_targetILNS1_3genE2ELNS1_11target_archE906ELNS1_3gpuE6ELNS1_3repE0EEENS1_36merge_oddeven_config_static_selectorELNS0_4arch9wavefront6targetE0EEEvSK_.num_agpr, 0
	.set _ZN7rocprim17ROCPRIM_400000_NS6detail17trampoline_kernelINS0_14default_configENS1_38merge_sort_block_merge_config_selectorIxNS0_10empty_typeEEEZZNS1_27merge_sort_block_merge_implIS3_N6thrust23THRUST_200600_302600_NS6detail15normal_iteratorINS9_10device_ptrIxEEEEPS5_m9comp_mod3IxEEE10hipError_tT0_T1_T2_jT3_P12ihipStream_tbPNSt15iterator_traitsISJ_E10value_typeEPNSP_ISK_E10value_typeEPSL_NS1_7vsmem_tEENKUlT_SJ_SK_SL_E_clIPxSE_SF_SF_EESI_SY_SJ_SK_SL_EUlSY_E1_NS1_11comp_targetILNS1_3genE2ELNS1_11target_archE906ELNS1_3gpuE6ELNS1_3repE0EEENS1_36merge_oddeven_config_static_selectorELNS0_4arch9wavefront6targetE0EEEvSK_.numbered_sgpr, 0
	.set _ZN7rocprim17ROCPRIM_400000_NS6detail17trampoline_kernelINS0_14default_configENS1_38merge_sort_block_merge_config_selectorIxNS0_10empty_typeEEEZZNS1_27merge_sort_block_merge_implIS3_N6thrust23THRUST_200600_302600_NS6detail15normal_iteratorINS9_10device_ptrIxEEEEPS5_m9comp_mod3IxEEE10hipError_tT0_T1_T2_jT3_P12ihipStream_tbPNSt15iterator_traitsISJ_E10value_typeEPNSP_ISK_E10value_typeEPSL_NS1_7vsmem_tEENKUlT_SJ_SK_SL_E_clIPxSE_SF_SF_EESI_SY_SJ_SK_SL_EUlSY_E1_NS1_11comp_targetILNS1_3genE2ELNS1_11target_archE906ELNS1_3gpuE6ELNS1_3repE0EEENS1_36merge_oddeven_config_static_selectorELNS0_4arch9wavefront6targetE0EEEvSK_.num_named_barrier, 0
	.set _ZN7rocprim17ROCPRIM_400000_NS6detail17trampoline_kernelINS0_14default_configENS1_38merge_sort_block_merge_config_selectorIxNS0_10empty_typeEEEZZNS1_27merge_sort_block_merge_implIS3_N6thrust23THRUST_200600_302600_NS6detail15normal_iteratorINS9_10device_ptrIxEEEEPS5_m9comp_mod3IxEEE10hipError_tT0_T1_T2_jT3_P12ihipStream_tbPNSt15iterator_traitsISJ_E10value_typeEPNSP_ISK_E10value_typeEPSL_NS1_7vsmem_tEENKUlT_SJ_SK_SL_E_clIPxSE_SF_SF_EESI_SY_SJ_SK_SL_EUlSY_E1_NS1_11comp_targetILNS1_3genE2ELNS1_11target_archE906ELNS1_3gpuE6ELNS1_3repE0EEENS1_36merge_oddeven_config_static_selectorELNS0_4arch9wavefront6targetE0EEEvSK_.private_seg_size, 0
	.set _ZN7rocprim17ROCPRIM_400000_NS6detail17trampoline_kernelINS0_14default_configENS1_38merge_sort_block_merge_config_selectorIxNS0_10empty_typeEEEZZNS1_27merge_sort_block_merge_implIS3_N6thrust23THRUST_200600_302600_NS6detail15normal_iteratorINS9_10device_ptrIxEEEEPS5_m9comp_mod3IxEEE10hipError_tT0_T1_T2_jT3_P12ihipStream_tbPNSt15iterator_traitsISJ_E10value_typeEPNSP_ISK_E10value_typeEPSL_NS1_7vsmem_tEENKUlT_SJ_SK_SL_E_clIPxSE_SF_SF_EESI_SY_SJ_SK_SL_EUlSY_E1_NS1_11comp_targetILNS1_3genE2ELNS1_11target_archE906ELNS1_3gpuE6ELNS1_3repE0EEENS1_36merge_oddeven_config_static_selectorELNS0_4arch9wavefront6targetE0EEEvSK_.uses_vcc, 0
	.set _ZN7rocprim17ROCPRIM_400000_NS6detail17trampoline_kernelINS0_14default_configENS1_38merge_sort_block_merge_config_selectorIxNS0_10empty_typeEEEZZNS1_27merge_sort_block_merge_implIS3_N6thrust23THRUST_200600_302600_NS6detail15normal_iteratorINS9_10device_ptrIxEEEEPS5_m9comp_mod3IxEEE10hipError_tT0_T1_T2_jT3_P12ihipStream_tbPNSt15iterator_traitsISJ_E10value_typeEPNSP_ISK_E10value_typeEPSL_NS1_7vsmem_tEENKUlT_SJ_SK_SL_E_clIPxSE_SF_SF_EESI_SY_SJ_SK_SL_EUlSY_E1_NS1_11comp_targetILNS1_3genE2ELNS1_11target_archE906ELNS1_3gpuE6ELNS1_3repE0EEENS1_36merge_oddeven_config_static_selectorELNS0_4arch9wavefront6targetE0EEEvSK_.uses_flat_scratch, 0
	.set _ZN7rocprim17ROCPRIM_400000_NS6detail17trampoline_kernelINS0_14default_configENS1_38merge_sort_block_merge_config_selectorIxNS0_10empty_typeEEEZZNS1_27merge_sort_block_merge_implIS3_N6thrust23THRUST_200600_302600_NS6detail15normal_iteratorINS9_10device_ptrIxEEEEPS5_m9comp_mod3IxEEE10hipError_tT0_T1_T2_jT3_P12ihipStream_tbPNSt15iterator_traitsISJ_E10value_typeEPNSP_ISK_E10value_typeEPSL_NS1_7vsmem_tEENKUlT_SJ_SK_SL_E_clIPxSE_SF_SF_EESI_SY_SJ_SK_SL_EUlSY_E1_NS1_11comp_targetILNS1_3genE2ELNS1_11target_archE906ELNS1_3gpuE6ELNS1_3repE0EEENS1_36merge_oddeven_config_static_selectorELNS0_4arch9wavefront6targetE0EEEvSK_.has_dyn_sized_stack, 0
	.set _ZN7rocprim17ROCPRIM_400000_NS6detail17trampoline_kernelINS0_14default_configENS1_38merge_sort_block_merge_config_selectorIxNS0_10empty_typeEEEZZNS1_27merge_sort_block_merge_implIS3_N6thrust23THRUST_200600_302600_NS6detail15normal_iteratorINS9_10device_ptrIxEEEEPS5_m9comp_mod3IxEEE10hipError_tT0_T1_T2_jT3_P12ihipStream_tbPNSt15iterator_traitsISJ_E10value_typeEPNSP_ISK_E10value_typeEPSL_NS1_7vsmem_tEENKUlT_SJ_SK_SL_E_clIPxSE_SF_SF_EESI_SY_SJ_SK_SL_EUlSY_E1_NS1_11comp_targetILNS1_3genE2ELNS1_11target_archE906ELNS1_3gpuE6ELNS1_3repE0EEENS1_36merge_oddeven_config_static_selectorELNS0_4arch9wavefront6targetE0EEEvSK_.has_recursion, 0
	.set _ZN7rocprim17ROCPRIM_400000_NS6detail17trampoline_kernelINS0_14default_configENS1_38merge_sort_block_merge_config_selectorIxNS0_10empty_typeEEEZZNS1_27merge_sort_block_merge_implIS3_N6thrust23THRUST_200600_302600_NS6detail15normal_iteratorINS9_10device_ptrIxEEEEPS5_m9comp_mod3IxEEE10hipError_tT0_T1_T2_jT3_P12ihipStream_tbPNSt15iterator_traitsISJ_E10value_typeEPNSP_ISK_E10value_typeEPSL_NS1_7vsmem_tEENKUlT_SJ_SK_SL_E_clIPxSE_SF_SF_EESI_SY_SJ_SK_SL_EUlSY_E1_NS1_11comp_targetILNS1_3genE2ELNS1_11target_archE906ELNS1_3gpuE6ELNS1_3repE0EEENS1_36merge_oddeven_config_static_selectorELNS0_4arch9wavefront6targetE0EEEvSK_.has_indirect_call, 0
	.section	.AMDGPU.csdata,"",@progbits
; Kernel info:
; codeLenInByte = 0
; TotalNumSgprs: 0
; NumVgprs: 0
; ScratchSize: 0
; MemoryBound: 0
; FloatMode: 240
; IeeeMode: 1
; LDSByteSize: 0 bytes/workgroup (compile time only)
; SGPRBlocks: 0
; VGPRBlocks: 0
; NumSGPRsForWavesPerEU: 1
; NumVGPRsForWavesPerEU: 1
; Occupancy: 16
; WaveLimiterHint : 0
; COMPUTE_PGM_RSRC2:SCRATCH_EN: 0
; COMPUTE_PGM_RSRC2:USER_SGPR: 6
; COMPUTE_PGM_RSRC2:TRAP_HANDLER: 0
; COMPUTE_PGM_RSRC2:TGID_X_EN: 1
; COMPUTE_PGM_RSRC2:TGID_Y_EN: 0
; COMPUTE_PGM_RSRC2:TGID_Z_EN: 0
; COMPUTE_PGM_RSRC2:TIDIG_COMP_CNT: 0
	.section	.text._ZN7rocprim17ROCPRIM_400000_NS6detail17trampoline_kernelINS0_14default_configENS1_38merge_sort_block_merge_config_selectorIxNS0_10empty_typeEEEZZNS1_27merge_sort_block_merge_implIS3_N6thrust23THRUST_200600_302600_NS6detail15normal_iteratorINS9_10device_ptrIxEEEEPS5_m9comp_mod3IxEEE10hipError_tT0_T1_T2_jT3_P12ihipStream_tbPNSt15iterator_traitsISJ_E10value_typeEPNSP_ISK_E10value_typeEPSL_NS1_7vsmem_tEENKUlT_SJ_SK_SL_E_clIPxSE_SF_SF_EESI_SY_SJ_SK_SL_EUlSY_E1_NS1_11comp_targetILNS1_3genE9ELNS1_11target_archE1100ELNS1_3gpuE3ELNS1_3repE0EEENS1_36merge_oddeven_config_static_selectorELNS0_4arch9wavefront6targetE0EEEvSK_,"axG",@progbits,_ZN7rocprim17ROCPRIM_400000_NS6detail17trampoline_kernelINS0_14default_configENS1_38merge_sort_block_merge_config_selectorIxNS0_10empty_typeEEEZZNS1_27merge_sort_block_merge_implIS3_N6thrust23THRUST_200600_302600_NS6detail15normal_iteratorINS9_10device_ptrIxEEEEPS5_m9comp_mod3IxEEE10hipError_tT0_T1_T2_jT3_P12ihipStream_tbPNSt15iterator_traitsISJ_E10value_typeEPNSP_ISK_E10value_typeEPSL_NS1_7vsmem_tEENKUlT_SJ_SK_SL_E_clIPxSE_SF_SF_EESI_SY_SJ_SK_SL_EUlSY_E1_NS1_11comp_targetILNS1_3genE9ELNS1_11target_archE1100ELNS1_3gpuE3ELNS1_3repE0EEENS1_36merge_oddeven_config_static_selectorELNS0_4arch9wavefront6targetE0EEEvSK_,comdat
	.protected	_ZN7rocprim17ROCPRIM_400000_NS6detail17trampoline_kernelINS0_14default_configENS1_38merge_sort_block_merge_config_selectorIxNS0_10empty_typeEEEZZNS1_27merge_sort_block_merge_implIS3_N6thrust23THRUST_200600_302600_NS6detail15normal_iteratorINS9_10device_ptrIxEEEEPS5_m9comp_mod3IxEEE10hipError_tT0_T1_T2_jT3_P12ihipStream_tbPNSt15iterator_traitsISJ_E10value_typeEPNSP_ISK_E10value_typeEPSL_NS1_7vsmem_tEENKUlT_SJ_SK_SL_E_clIPxSE_SF_SF_EESI_SY_SJ_SK_SL_EUlSY_E1_NS1_11comp_targetILNS1_3genE9ELNS1_11target_archE1100ELNS1_3gpuE3ELNS1_3repE0EEENS1_36merge_oddeven_config_static_selectorELNS0_4arch9wavefront6targetE0EEEvSK_ ; -- Begin function _ZN7rocprim17ROCPRIM_400000_NS6detail17trampoline_kernelINS0_14default_configENS1_38merge_sort_block_merge_config_selectorIxNS0_10empty_typeEEEZZNS1_27merge_sort_block_merge_implIS3_N6thrust23THRUST_200600_302600_NS6detail15normal_iteratorINS9_10device_ptrIxEEEEPS5_m9comp_mod3IxEEE10hipError_tT0_T1_T2_jT3_P12ihipStream_tbPNSt15iterator_traitsISJ_E10value_typeEPNSP_ISK_E10value_typeEPSL_NS1_7vsmem_tEENKUlT_SJ_SK_SL_E_clIPxSE_SF_SF_EESI_SY_SJ_SK_SL_EUlSY_E1_NS1_11comp_targetILNS1_3genE9ELNS1_11target_archE1100ELNS1_3gpuE3ELNS1_3repE0EEENS1_36merge_oddeven_config_static_selectorELNS0_4arch9wavefront6targetE0EEEvSK_
	.globl	_ZN7rocprim17ROCPRIM_400000_NS6detail17trampoline_kernelINS0_14default_configENS1_38merge_sort_block_merge_config_selectorIxNS0_10empty_typeEEEZZNS1_27merge_sort_block_merge_implIS3_N6thrust23THRUST_200600_302600_NS6detail15normal_iteratorINS9_10device_ptrIxEEEEPS5_m9comp_mod3IxEEE10hipError_tT0_T1_T2_jT3_P12ihipStream_tbPNSt15iterator_traitsISJ_E10value_typeEPNSP_ISK_E10value_typeEPSL_NS1_7vsmem_tEENKUlT_SJ_SK_SL_E_clIPxSE_SF_SF_EESI_SY_SJ_SK_SL_EUlSY_E1_NS1_11comp_targetILNS1_3genE9ELNS1_11target_archE1100ELNS1_3gpuE3ELNS1_3repE0EEENS1_36merge_oddeven_config_static_selectorELNS0_4arch9wavefront6targetE0EEEvSK_
	.p2align	8
	.type	_ZN7rocprim17ROCPRIM_400000_NS6detail17trampoline_kernelINS0_14default_configENS1_38merge_sort_block_merge_config_selectorIxNS0_10empty_typeEEEZZNS1_27merge_sort_block_merge_implIS3_N6thrust23THRUST_200600_302600_NS6detail15normal_iteratorINS9_10device_ptrIxEEEEPS5_m9comp_mod3IxEEE10hipError_tT0_T1_T2_jT3_P12ihipStream_tbPNSt15iterator_traitsISJ_E10value_typeEPNSP_ISK_E10value_typeEPSL_NS1_7vsmem_tEENKUlT_SJ_SK_SL_E_clIPxSE_SF_SF_EESI_SY_SJ_SK_SL_EUlSY_E1_NS1_11comp_targetILNS1_3genE9ELNS1_11target_archE1100ELNS1_3gpuE3ELNS1_3repE0EEENS1_36merge_oddeven_config_static_selectorELNS0_4arch9wavefront6targetE0EEEvSK_,@function
_ZN7rocprim17ROCPRIM_400000_NS6detail17trampoline_kernelINS0_14default_configENS1_38merge_sort_block_merge_config_selectorIxNS0_10empty_typeEEEZZNS1_27merge_sort_block_merge_implIS3_N6thrust23THRUST_200600_302600_NS6detail15normal_iteratorINS9_10device_ptrIxEEEEPS5_m9comp_mod3IxEEE10hipError_tT0_T1_T2_jT3_P12ihipStream_tbPNSt15iterator_traitsISJ_E10value_typeEPNSP_ISK_E10value_typeEPSL_NS1_7vsmem_tEENKUlT_SJ_SK_SL_E_clIPxSE_SF_SF_EESI_SY_SJ_SK_SL_EUlSY_E1_NS1_11comp_targetILNS1_3genE9ELNS1_11target_archE1100ELNS1_3gpuE3ELNS1_3repE0EEENS1_36merge_oddeven_config_static_selectorELNS0_4arch9wavefront6targetE0EEEvSK_: ; @_ZN7rocprim17ROCPRIM_400000_NS6detail17trampoline_kernelINS0_14default_configENS1_38merge_sort_block_merge_config_selectorIxNS0_10empty_typeEEEZZNS1_27merge_sort_block_merge_implIS3_N6thrust23THRUST_200600_302600_NS6detail15normal_iteratorINS9_10device_ptrIxEEEEPS5_m9comp_mod3IxEEE10hipError_tT0_T1_T2_jT3_P12ihipStream_tbPNSt15iterator_traitsISJ_E10value_typeEPNSP_ISK_E10value_typeEPSL_NS1_7vsmem_tEENKUlT_SJ_SK_SL_E_clIPxSE_SF_SF_EESI_SY_SJ_SK_SL_EUlSY_E1_NS1_11comp_targetILNS1_3genE9ELNS1_11target_archE1100ELNS1_3gpuE3ELNS1_3repE0EEENS1_36merge_oddeven_config_static_selectorELNS0_4arch9wavefront6targetE0EEEvSK_
; %bb.0:
	.section	.rodata,"a",@progbits
	.p2align	6, 0x0
	.amdhsa_kernel _ZN7rocprim17ROCPRIM_400000_NS6detail17trampoline_kernelINS0_14default_configENS1_38merge_sort_block_merge_config_selectorIxNS0_10empty_typeEEEZZNS1_27merge_sort_block_merge_implIS3_N6thrust23THRUST_200600_302600_NS6detail15normal_iteratorINS9_10device_ptrIxEEEEPS5_m9comp_mod3IxEEE10hipError_tT0_T1_T2_jT3_P12ihipStream_tbPNSt15iterator_traitsISJ_E10value_typeEPNSP_ISK_E10value_typeEPSL_NS1_7vsmem_tEENKUlT_SJ_SK_SL_E_clIPxSE_SF_SF_EESI_SY_SJ_SK_SL_EUlSY_E1_NS1_11comp_targetILNS1_3genE9ELNS1_11target_archE1100ELNS1_3gpuE3ELNS1_3repE0EEENS1_36merge_oddeven_config_static_selectorELNS0_4arch9wavefront6targetE0EEEvSK_
		.amdhsa_group_segment_fixed_size 0
		.amdhsa_private_segment_fixed_size 0
		.amdhsa_kernarg_size 56
		.amdhsa_user_sgpr_count 6
		.amdhsa_user_sgpr_private_segment_buffer 1
		.amdhsa_user_sgpr_dispatch_ptr 0
		.amdhsa_user_sgpr_queue_ptr 0
		.amdhsa_user_sgpr_kernarg_segment_ptr 1
		.amdhsa_user_sgpr_dispatch_id 0
		.amdhsa_user_sgpr_flat_scratch_init 0
		.amdhsa_user_sgpr_private_segment_size 0
		.amdhsa_wavefront_size32 1
		.amdhsa_uses_dynamic_stack 0
		.amdhsa_system_sgpr_private_segment_wavefront_offset 0
		.amdhsa_system_sgpr_workgroup_id_x 1
		.amdhsa_system_sgpr_workgroup_id_y 0
		.amdhsa_system_sgpr_workgroup_id_z 0
		.amdhsa_system_sgpr_workgroup_info 0
		.amdhsa_system_vgpr_workitem_id 0
		.amdhsa_next_free_vgpr 1
		.amdhsa_next_free_sgpr 1
		.amdhsa_reserve_vcc 0
		.amdhsa_reserve_flat_scratch 0
		.amdhsa_float_round_mode_32 0
		.amdhsa_float_round_mode_16_64 0
		.amdhsa_float_denorm_mode_32 3
		.amdhsa_float_denorm_mode_16_64 3
		.amdhsa_dx10_clamp 1
		.amdhsa_ieee_mode 1
		.amdhsa_fp16_overflow 0
		.amdhsa_workgroup_processor_mode 1
		.amdhsa_memory_ordered 1
		.amdhsa_forward_progress 1
		.amdhsa_shared_vgpr_count 0
		.amdhsa_exception_fp_ieee_invalid_op 0
		.amdhsa_exception_fp_denorm_src 0
		.amdhsa_exception_fp_ieee_div_zero 0
		.amdhsa_exception_fp_ieee_overflow 0
		.amdhsa_exception_fp_ieee_underflow 0
		.amdhsa_exception_fp_ieee_inexact 0
		.amdhsa_exception_int_div_zero 0
	.end_amdhsa_kernel
	.section	.text._ZN7rocprim17ROCPRIM_400000_NS6detail17trampoline_kernelINS0_14default_configENS1_38merge_sort_block_merge_config_selectorIxNS0_10empty_typeEEEZZNS1_27merge_sort_block_merge_implIS3_N6thrust23THRUST_200600_302600_NS6detail15normal_iteratorINS9_10device_ptrIxEEEEPS5_m9comp_mod3IxEEE10hipError_tT0_T1_T2_jT3_P12ihipStream_tbPNSt15iterator_traitsISJ_E10value_typeEPNSP_ISK_E10value_typeEPSL_NS1_7vsmem_tEENKUlT_SJ_SK_SL_E_clIPxSE_SF_SF_EESI_SY_SJ_SK_SL_EUlSY_E1_NS1_11comp_targetILNS1_3genE9ELNS1_11target_archE1100ELNS1_3gpuE3ELNS1_3repE0EEENS1_36merge_oddeven_config_static_selectorELNS0_4arch9wavefront6targetE0EEEvSK_,"axG",@progbits,_ZN7rocprim17ROCPRIM_400000_NS6detail17trampoline_kernelINS0_14default_configENS1_38merge_sort_block_merge_config_selectorIxNS0_10empty_typeEEEZZNS1_27merge_sort_block_merge_implIS3_N6thrust23THRUST_200600_302600_NS6detail15normal_iteratorINS9_10device_ptrIxEEEEPS5_m9comp_mod3IxEEE10hipError_tT0_T1_T2_jT3_P12ihipStream_tbPNSt15iterator_traitsISJ_E10value_typeEPNSP_ISK_E10value_typeEPSL_NS1_7vsmem_tEENKUlT_SJ_SK_SL_E_clIPxSE_SF_SF_EESI_SY_SJ_SK_SL_EUlSY_E1_NS1_11comp_targetILNS1_3genE9ELNS1_11target_archE1100ELNS1_3gpuE3ELNS1_3repE0EEENS1_36merge_oddeven_config_static_selectorELNS0_4arch9wavefront6targetE0EEEvSK_,comdat
.Lfunc_end953:
	.size	_ZN7rocprim17ROCPRIM_400000_NS6detail17trampoline_kernelINS0_14default_configENS1_38merge_sort_block_merge_config_selectorIxNS0_10empty_typeEEEZZNS1_27merge_sort_block_merge_implIS3_N6thrust23THRUST_200600_302600_NS6detail15normal_iteratorINS9_10device_ptrIxEEEEPS5_m9comp_mod3IxEEE10hipError_tT0_T1_T2_jT3_P12ihipStream_tbPNSt15iterator_traitsISJ_E10value_typeEPNSP_ISK_E10value_typeEPSL_NS1_7vsmem_tEENKUlT_SJ_SK_SL_E_clIPxSE_SF_SF_EESI_SY_SJ_SK_SL_EUlSY_E1_NS1_11comp_targetILNS1_3genE9ELNS1_11target_archE1100ELNS1_3gpuE3ELNS1_3repE0EEENS1_36merge_oddeven_config_static_selectorELNS0_4arch9wavefront6targetE0EEEvSK_, .Lfunc_end953-_ZN7rocprim17ROCPRIM_400000_NS6detail17trampoline_kernelINS0_14default_configENS1_38merge_sort_block_merge_config_selectorIxNS0_10empty_typeEEEZZNS1_27merge_sort_block_merge_implIS3_N6thrust23THRUST_200600_302600_NS6detail15normal_iteratorINS9_10device_ptrIxEEEEPS5_m9comp_mod3IxEEE10hipError_tT0_T1_T2_jT3_P12ihipStream_tbPNSt15iterator_traitsISJ_E10value_typeEPNSP_ISK_E10value_typeEPSL_NS1_7vsmem_tEENKUlT_SJ_SK_SL_E_clIPxSE_SF_SF_EESI_SY_SJ_SK_SL_EUlSY_E1_NS1_11comp_targetILNS1_3genE9ELNS1_11target_archE1100ELNS1_3gpuE3ELNS1_3repE0EEENS1_36merge_oddeven_config_static_selectorELNS0_4arch9wavefront6targetE0EEEvSK_
                                        ; -- End function
	.set _ZN7rocprim17ROCPRIM_400000_NS6detail17trampoline_kernelINS0_14default_configENS1_38merge_sort_block_merge_config_selectorIxNS0_10empty_typeEEEZZNS1_27merge_sort_block_merge_implIS3_N6thrust23THRUST_200600_302600_NS6detail15normal_iteratorINS9_10device_ptrIxEEEEPS5_m9comp_mod3IxEEE10hipError_tT0_T1_T2_jT3_P12ihipStream_tbPNSt15iterator_traitsISJ_E10value_typeEPNSP_ISK_E10value_typeEPSL_NS1_7vsmem_tEENKUlT_SJ_SK_SL_E_clIPxSE_SF_SF_EESI_SY_SJ_SK_SL_EUlSY_E1_NS1_11comp_targetILNS1_3genE9ELNS1_11target_archE1100ELNS1_3gpuE3ELNS1_3repE0EEENS1_36merge_oddeven_config_static_selectorELNS0_4arch9wavefront6targetE0EEEvSK_.num_vgpr, 0
	.set _ZN7rocprim17ROCPRIM_400000_NS6detail17trampoline_kernelINS0_14default_configENS1_38merge_sort_block_merge_config_selectorIxNS0_10empty_typeEEEZZNS1_27merge_sort_block_merge_implIS3_N6thrust23THRUST_200600_302600_NS6detail15normal_iteratorINS9_10device_ptrIxEEEEPS5_m9comp_mod3IxEEE10hipError_tT0_T1_T2_jT3_P12ihipStream_tbPNSt15iterator_traitsISJ_E10value_typeEPNSP_ISK_E10value_typeEPSL_NS1_7vsmem_tEENKUlT_SJ_SK_SL_E_clIPxSE_SF_SF_EESI_SY_SJ_SK_SL_EUlSY_E1_NS1_11comp_targetILNS1_3genE9ELNS1_11target_archE1100ELNS1_3gpuE3ELNS1_3repE0EEENS1_36merge_oddeven_config_static_selectorELNS0_4arch9wavefront6targetE0EEEvSK_.num_agpr, 0
	.set _ZN7rocprim17ROCPRIM_400000_NS6detail17trampoline_kernelINS0_14default_configENS1_38merge_sort_block_merge_config_selectorIxNS0_10empty_typeEEEZZNS1_27merge_sort_block_merge_implIS3_N6thrust23THRUST_200600_302600_NS6detail15normal_iteratorINS9_10device_ptrIxEEEEPS5_m9comp_mod3IxEEE10hipError_tT0_T1_T2_jT3_P12ihipStream_tbPNSt15iterator_traitsISJ_E10value_typeEPNSP_ISK_E10value_typeEPSL_NS1_7vsmem_tEENKUlT_SJ_SK_SL_E_clIPxSE_SF_SF_EESI_SY_SJ_SK_SL_EUlSY_E1_NS1_11comp_targetILNS1_3genE9ELNS1_11target_archE1100ELNS1_3gpuE3ELNS1_3repE0EEENS1_36merge_oddeven_config_static_selectorELNS0_4arch9wavefront6targetE0EEEvSK_.numbered_sgpr, 0
	.set _ZN7rocprim17ROCPRIM_400000_NS6detail17trampoline_kernelINS0_14default_configENS1_38merge_sort_block_merge_config_selectorIxNS0_10empty_typeEEEZZNS1_27merge_sort_block_merge_implIS3_N6thrust23THRUST_200600_302600_NS6detail15normal_iteratorINS9_10device_ptrIxEEEEPS5_m9comp_mod3IxEEE10hipError_tT0_T1_T2_jT3_P12ihipStream_tbPNSt15iterator_traitsISJ_E10value_typeEPNSP_ISK_E10value_typeEPSL_NS1_7vsmem_tEENKUlT_SJ_SK_SL_E_clIPxSE_SF_SF_EESI_SY_SJ_SK_SL_EUlSY_E1_NS1_11comp_targetILNS1_3genE9ELNS1_11target_archE1100ELNS1_3gpuE3ELNS1_3repE0EEENS1_36merge_oddeven_config_static_selectorELNS0_4arch9wavefront6targetE0EEEvSK_.num_named_barrier, 0
	.set _ZN7rocprim17ROCPRIM_400000_NS6detail17trampoline_kernelINS0_14default_configENS1_38merge_sort_block_merge_config_selectorIxNS0_10empty_typeEEEZZNS1_27merge_sort_block_merge_implIS3_N6thrust23THRUST_200600_302600_NS6detail15normal_iteratorINS9_10device_ptrIxEEEEPS5_m9comp_mod3IxEEE10hipError_tT0_T1_T2_jT3_P12ihipStream_tbPNSt15iterator_traitsISJ_E10value_typeEPNSP_ISK_E10value_typeEPSL_NS1_7vsmem_tEENKUlT_SJ_SK_SL_E_clIPxSE_SF_SF_EESI_SY_SJ_SK_SL_EUlSY_E1_NS1_11comp_targetILNS1_3genE9ELNS1_11target_archE1100ELNS1_3gpuE3ELNS1_3repE0EEENS1_36merge_oddeven_config_static_selectorELNS0_4arch9wavefront6targetE0EEEvSK_.private_seg_size, 0
	.set _ZN7rocprim17ROCPRIM_400000_NS6detail17trampoline_kernelINS0_14default_configENS1_38merge_sort_block_merge_config_selectorIxNS0_10empty_typeEEEZZNS1_27merge_sort_block_merge_implIS3_N6thrust23THRUST_200600_302600_NS6detail15normal_iteratorINS9_10device_ptrIxEEEEPS5_m9comp_mod3IxEEE10hipError_tT0_T1_T2_jT3_P12ihipStream_tbPNSt15iterator_traitsISJ_E10value_typeEPNSP_ISK_E10value_typeEPSL_NS1_7vsmem_tEENKUlT_SJ_SK_SL_E_clIPxSE_SF_SF_EESI_SY_SJ_SK_SL_EUlSY_E1_NS1_11comp_targetILNS1_3genE9ELNS1_11target_archE1100ELNS1_3gpuE3ELNS1_3repE0EEENS1_36merge_oddeven_config_static_selectorELNS0_4arch9wavefront6targetE0EEEvSK_.uses_vcc, 0
	.set _ZN7rocprim17ROCPRIM_400000_NS6detail17trampoline_kernelINS0_14default_configENS1_38merge_sort_block_merge_config_selectorIxNS0_10empty_typeEEEZZNS1_27merge_sort_block_merge_implIS3_N6thrust23THRUST_200600_302600_NS6detail15normal_iteratorINS9_10device_ptrIxEEEEPS5_m9comp_mod3IxEEE10hipError_tT0_T1_T2_jT3_P12ihipStream_tbPNSt15iterator_traitsISJ_E10value_typeEPNSP_ISK_E10value_typeEPSL_NS1_7vsmem_tEENKUlT_SJ_SK_SL_E_clIPxSE_SF_SF_EESI_SY_SJ_SK_SL_EUlSY_E1_NS1_11comp_targetILNS1_3genE9ELNS1_11target_archE1100ELNS1_3gpuE3ELNS1_3repE0EEENS1_36merge_oddeven_config_static_selectorELNS0_4arch9wavefront6targetE0EEEvSK_.uses_flat_scratch, 0
	.set _ZN7rocprim17ROCPRIM_400000_NS6detail17trampoline_kernelINS0_14default_configENS1_38merge_sort_block_merge_config_selectorIxNS0_10empty_typeEEEZZNS1_27merge_sort_block_merge_implIS3_N6thrust23THRUST_200600_302600_NS6detail15normal_iteratorINS9_10device_ptrIxEEEEPS5_m9comp_mod3IxEEE10hipError_tT0_T1_T2_jT3_P12ihipStream_tbPNSt15iterator_traitsISJ_E10value_typeEPNSP_ISK_E10value_typeEPSL_NS1_7vsmem_tEENKUlT_SJ_SK_SL_E_clIPxSE_SF_SF_EESI_SY_SJ_SK_SL_EUlSY_E1_NS1_11comp_targetILNS1_3genE9ELNS1_11target_archE1100ELNS1_3gpuE3ELNS1_3repE0EEENS1_36merge_oddeven_config_static_selectorELNS0_4arch9wavefront6targetE0EEEvSK_.has_dyn_sized_stack, 0
	.set _ZN7rocprim17ROCPRIM_400000_NS6detail17trampoline_kernelINS0_14default_configENS1_38merge_sort_block_merge_config_selectorIxNS0_10empty_typeEEEZZNS1_27merge_sort_block_merge_implIS3_N6thrust23THRUST_200600_302600_NS6detail15normal_iteratorINS9_10device_ptrIxEEEEPS5_m9comp_mod3IxEEE10hipError_tT0_T1_T2_jT3_P12ihipStream_tbPNSt15iterator_traitsISJ_E10value_typeEPNSP_ISK_E10value_typeEPSL_NS1_7vsmem_tEENKUlT_SJ_SK_SL_E_clIPxSE_SF_SF_EESI_SY_SJ_SK_SL_EUlSY_E1_NS1_11comp_targetILNS1_3genE9ELNS1_11target_archE1100ELNS1_3gpuE3ELNS1_3repE0EEENS1_36merge_oddeven_config_static_selectorELNS0_4arch9wavefront6targetE0EEEvSK_.has_recursion, 0
	.set _ZN7rocprim17ROCPRIM_400000_NS6detail17trampoline_kernelINS0_14default_configENS1_38merge_sort_block_merge_config_selectorIxNS0_10empty_typeEEEZZNS1_27merge_sort_block_merge_implIS3_N6thrust23THRUST_200600_302600_NS6detail15normal_iteratorINS9_10device_ptrIxEEEEPS5_m9comp_mod3IxEEE10hipError_tT0_T1_T2_jT3_P12ihipStream_tbPNSt15iterator_traitsISJ_E10value_typeEPNSP_ISK_E10value_typeEPSL_NS1_7vsmem_tEENKUlT_SJ_SK_SL_E_clIPxSE_SF_SF_EESI_SY_SJ_SK_SL_EUlSY_E1_NS1_11comp_targetILNS1_3genE9ELNS1_11target_archE1100ELNS1_3gpuE3ELNS1_3repE0EEENS1_36merge_oddeven_config_static_selectorELNS0_4arch9wavefront6targetE0EEEvSK_.has_indirect_call, 0
	.section	.AMDGPU.csdata,"",@progbits
; Kernel info:
; codeLenInByte = 0
; TotalNumSgprs: 0
; NumVgprs: 0
; ScratchSize: 0
; MemoryBound: 0
; FloatMode: 240
; IeeeMode: 1
; LDSByteSize: 0 bytes/workgroup (compile time only)
; SGPRBlocks: 0
; VGPRBlocks: 0
; NumSGPRsForWavesPerEU: 1
; NumVGPRsForWavesPerEU: 1
; Occupancy: 16
; WaveLimiterHint : 0
; COMPUTE_PGM_RSRC2:SCRATCH_EN: 0
; COMPUTE_PGM_RSRC2:USER_SGPR: 6
; COMPUTE_PGM_RSRC2:TRAP_HANDLER: 0
; COMPUTE_PGM_RSRC2:TGID_X_EN: 1
; COMPUTE_PGM_RSRC2:TGID_Y_EN: 0
; COMPUTE_PGM_RSRC2:TGID_Z_EN: 0
; COMPUTE_PGM_RSRC2:TIDIG_COMP_CNT: 0
	.section	.text._ZN7rocprim17ROCPRIM_400000_NS6detail17trampoline_kernelINS0_14default_configENS1_38merge_sort_block_merge_config_selectorIxNS0_10empty_typeEEEZZNS1_27merge_sort_block_merge_implIS3_N6thrust23THRUST_200600_302600_NS6detail15normal_iteratorINS9_10device_ptrIxEEEEPS5_m9comp_mod3IxEEE10hipError_tT0_T1_T2_jT3_P12ihipStream_tbPNSt15iterator_traitsISJ_E10value_typeEPNSP_ISK_E10value_typeEPSL_NS1_7vsmem_tEENKUlT_SJ_SK_SL_E_clIPxSE_SF_SF_EESI_SY_SJ_SK_SL_EUlSY_E1_NS1_11comp_targetILNS1_3genE8ELNS1_11target_archE1030ELNS1_3gpuE2ELNS1_3repE0EEENS1_36merge_oddeven_config_static_selectorELNS0_4arch9wavefront6targetE0EEEvSK_,"axG",@progbits,_ZN7rocprim17ROCPRIM_400000_NS6detail17trampoline_kernelINS0_14default_configENS1_38merge_sort_block_merge_config_selectorIxNS0_10empty_typeEEEZZNS1_27merge_sort_block_merge_implIS3_N6thrust23THRUST_200600_302600_NS6detail15normal_iteratorINS9_10device_ptrIxEEEEPS5_m9comp_mod3IxEEE10hipError_tT0_T1_T2_jT3_P12ihipStream_tbPNSt15iterator_traitsISJ_E10value_typeEPNSP_ISK_E10value_typeEPSL_NS1_7vsmem_tEENKUlT_SJ_SK_SL_E_clIPxSE_SF_SF_EESI_SY_SJ_SK_SL_EUlSY_E1_NS1_11comp_targetILNS1_3genE8ELNS1_11target_archE1030ELNS1_3gpuE2ELNS1_3repE0EEENS1_36merge_oddeven_config_static_selectorELNS0_4arch9wavefront6targetE0EEEvSK_,comdat
	.protected	_ZN7rocprim17ROCPRIM_400000_NS6detail17trampoline_kernelINS0_14default_configENS1_38merge_sort_block_merge_config_selectorIxNS0_10empty_typeEEEZZNS1_27merge_sort_block_merge_implIS3_N6thrust23THRUST_200600_302600_NS6detail15normal_iteratorINS9_10device_ptrIxEEEEPS5_m9comp_mod3IxEEE10hipError_tT0_T1_T2_jT3_P12ihipStream_tbPNSt15iterator_traitsISJ_E10value_typeEPNSP_ISK_E10value_typeEPSL_NS1_7vsmem_tEENKUlT_SJ_SK_SL_E_clIPxSE_SF_SF_EESI_SY_SJ_SK_SL_EUlSY_E1_NS1_11comp_targetILNS1_3genE8ELNS1_11target_archE1030ELNS1_3gpuE2ELNS1_3repE0EEENS1_36merge_oddeven_config_static_selectorELNS0_4arch9wavefront6targetE0EEEvSK_ ; -- Begin function _ZN7rocprim17ROCPRIM_400000_NS6detail17trampoline_kernelINS0_14default_configENS1_38merge_sort_block_merge_config_selectorIxNS0_10empty_typeEEEZZNS1_27merge_sort_block_merge_implIS3_N6thrust23THRUST_200600_302600_NS6detail15normal_iteratorINS9_10device_ptrIxEEEEPS5_m9comp_mod3IxEEE10hipError_tT0_T1_T2_jT3_P12ihipStream_tbPNSt15iterator_traitsISJ_E10value_typeEPNSP_ISK_E10value_typeEPSL_NS1_7vsmem_tEENKUlT_SJ_SK_SL_E_clIPxSE_SF_SF_EESI_SY_SJ_SK_SL_EUlSY_E1_NS1_11comp_targetILNS1_3genE8ELNS1_11target_archE1030ELNS1_3gpuE2ELNS1_3repE0EEENS1_36merge_oddeven_config_static_selectorELNS0_4arch9wavefront6targetE0EEEvSK_
	.globl	_ZN7rocprim17ROCPRIM_400000_NS6detail17trampoline_kernelINS0_14default_configENS1_38merge_sort_block_merge_config_selectorIxNS0_10empty_typeEEEZZNS1_27merge_sort_block_merge_implIS3_N6thrust23THRUST_200600_302600_NS6detail15normal_iteratorINS9_10device_ptrIxEEEEPS5_m9comp_mod3IxEEE10hipError_tT0_T1_T2_jT3_P12ihipStream_tbPNSt15iterator_traitsISJ_E10value_typeEPNSP_ISK_E10value_typeEPSL_NS1_7vsmem_tEENKUlT_SJ_SK_SL_E_clIPxSE_SF_SF_EESI_SY_SJ_SK_SL_EUlSY_E1_NS1_11comp_targetILNS1_3genE8ELNS1_11target_archE1030ELNS1_3gpuE2ELNS1_3repE0EEENS1_36merge_oddeven_config_static_selectorELNS0_4arch9wavefront6targetE0EEEvSK_
	.p2align	8
	.type	_ZN7rocprim17ROCPRIM_400000_NS6detail17trampoline_kernelINS0_14default_configENS1_38merge_sort_block_merge_config_selectorIxNS0_10empty_typeEEEZZNS1_27merge_sort_block_merge_implIS3_N6thrust23THRUST_200600_302600_NS6detail15normal_iteratorINS9_10device_ptrIxEEEEPS5_m9comp_mod3IxEEE10hipError_tT0_T1_T2_jT3_P12ihipStream_tbPNSt15iterator_traitsISJ_E10value_typeEPNSP_ISK_E10value_typeEPSL_NS1_7vsmem_tEENKUlT_SJ_SK_SL_E_clIPxSE_SF_SF_EESI_SY_SJ_SK_SL_EUlSY_E1_NS1_11comp_targetILNS1_3genE8ELNS1_11target_archE1030ELNS1_3gpuE2ELNS1_3repE0EEENS1_36merge_oddeven_config_static_selectorELNS0_4arch9wavefront6targetE0EEEvSK_,@function
_ZN7rocprim17ROCPRIM_400000_NS6detail17trampoline_kernelINS0_14default_configENS1_38merge_sort_block_merge_config_selectorIxNS0_10empty_typeEEEZZNS1_27merge_sort_block_merge_implIS3_N6thrust23THRUST_200600_302600_NS6detail15normal_iteratorINS9_10device_ptrIxEEEEPS5_m9comp_mod3IxEEE10hipError_tT0_T1_T2_jT3_P12ihipStream_tbPNSt15iterator_traitsISJ_E10value_typeEPNSP_ISK_E10value_typeEPSL_NS1_7vsmem_tEENKUlT_SJ_SK_SL_E_clIPxSE_SF_SF_EESI_SY_SJ_SK_SL_EUlSY_E1_NS1_11comp_targetILNS1_3genE8ELNS1_11target_archE1030ELNS1_3gpuE2ELNS1_3repE0EEENS1_36merge_oddeven_config_static_selectorELNS0_4arch9wavefront6targetE0EEEvSK_: ; @_ZN7rocprim17ROCPRIM_400000_NS6detail17trampoline_kernelINS0_14default_configENS1_38merge_sort_block_merge_config_selectorIxNS0_10empty_typeEEEZZNS1_27merge_sort_block_merge_implIS3_N6thrust23THRUST_200600_302600_NS6detail15normal_iteratorINS9_10device_ptrIxEEEEPS5_m9comp_mod3IxEEE10hipError_tT0_T1_T2_jT3_P12ihipStream_tbPNSt15iterator_traitsISJ_E10value_typeEPNSP_ISK_E10value_typeEPSL_NS1_7vsmem_tEENKUlT_SJ_SK_SL_E_clIPxSE_SF_SF_EESI_SY_SJ_SK_SL_EUlSY_E1_NS1_11comp_targetILNS1_3genE8ELNS1_11target_archE1030ELNS1_3gpuE2ELNS1_3repE0EEENS1_36merge_oddeven_config_static_selectorELNS0_4arch9wavefront6targetE0EEEvSK_
; %bb.0:
	s_load_dword s7, s[4:5], 0x20
	s_waitcnt lgkmcnt(0)
	s_lshr_b32 s0, s7, 8
	s_cmp_lg_u32 s6, s0
	s_cselect_b32 s2, -1, 0
	s_cmp_eq_u32 s6, s0
	s_cselect_b32 s14, -1, 0
	s_lshl_b32 s12, s6, 8
	s_sub_i32 s0, s7, s12
	v_cmp_gt_u32_e64 s0, s0, v0
	s_or_b32 s1, s2, s0
	s_and_saveexec_b32 s3, s1
	s_cbranch_execz .LBB954_28
; %bb.1:
	s_clause 0x1
	s_load_dwordx4 s[8:11], s[4:5], 0x0
	s_load_dword s15, s[4:5], 0x28
	s_mov_b32 s13, 0
	v_lshlrev_b32_e32 v1, 3, v0
	s_lshl_b64 s[16:17], s[12:13], 3
	v_add_nc_u32_e32 v5, s12, v0
	s_waitcnt lgkmcnt(0)
	s_add_u32 s16, s8, s16
	s_addc_u32 s17, s9, s17
	s_lshr_b32 s1, s15, 8
	global_load_dwordx2 v[1:2], v1, s[16:17]
	s_sub_i32 s3, 0, s1
	s_and_b32 s3, s6, s3
	s_and_b32 s6, s3, s1
	s_cmp_lg_u32 s6, 0
	s_cselect_b32 s1, -1, 0
	s_lshl_b32 s16, s3, 8
	s_sub_i32 s3, 0, s15
	s_cmp_eq_u32 s6, 0
	s_cselect_b32 s6, s15, s3
	s_add_i32 s6, s6, s16
	s_cmp_lt_u32 s6, s7
	s_cbranch_scc1 .LBB954_3
; %bb.2:
	v_cmp_gt_u32_e32 vcc_lo, s7, v5
	s_or_b32 s3, vcc_lo, s2
	s_and_b32 s13, s3, exec_lo
	s_cbranch_execz .LBB954_4
	s_branch .LBB954_26
.LBB954_3:
.LBB954_4:
	s_load_dwordx2 s[2:3], s[4:5], 0x30
	v_mov_b32_e32 v3, 0
	s_waitcnt vmcnt(0)
	v_mov_b32_e32 v4, v1
	s_min_u32 s4, s6, s7
	s_add_i32 s5, s16, s4
	s_add_i32 s12, s4, s15
	v_ashrrev_i64 v[3:4], 29, v[3:4]
	v_subrev_nc_u32_e32 v0, s5, v5
	s_min_u32 s5, s16, s4
	v_add_nc_u32_e32 v0, s5, v0
	s_min_u32 s5, s12, s7
	s_waitcnt lgkmcnt(0)
	v_add_co_u32 v3, vcc_lo, s2, v3
	v_add_co_ci_u32_e64 v4, null, s3, v4, vcc_lo
	s_and_b32 vcc_lo, exec_lo, s14
	s_cbranch_vccz .LBB954_13
; %bb.5:
                                        ; implicit-def: $vgpr5
	s_and_saveexec_b32 s7, s0
	s_cbranch_execz .LBB954_16
; %bb.6:
	v_mov_b32_e32 v9, s4
	s_cmp_ge_u32 s6, s5
	s_cbranch_scc1 .LBB954_15
; %bb.7:
	v_mov_b32_e32 v10, s5
	v_mov_b32_e32 v9, s4
	;; [unrolled: 1-line block ×3, first 2 shown]
	s_mov_b32 s0, 0
	s_branch .LBB954_9
.LBB954_8:                              ;   in Loop: Header=BB954_9 Depth=1
	s_waitcnt vmcnt(0)
	v_add_nc_u32_e32 v7, 1, v5
	v_cndmask_b32_e64 v10, v5, v10, s12
	v_cndmask_b32_e64 v9, v9, v7, s12
	v_cmp_ge_u32_e32 vcc_lo, v9, v10
	s_or_b32 s0, vcc_lo, s0
	s_andn2_b32 exec_lo, exec_lo, s0
	s_cbranch_execz .LBB954_14
.LBB954_9:                              ; =>This Inner Loop Header: Depth=1
	v_add_nc_u32_e32 v5, v9, v10
	s_mov_b32 s14, -1
                                        ; implicit-def: $sgpr12
	v_lshrrev_b32_e32 v5, 1, v5
	v_lshlrev_b64 v[7:8], 3, v[5:6]
	v_add_co_u32 v7, vcc_lo, s8, v7
	v_add_co_ci_u32_e64 v8, null, s9, v8, vcc_lo
	s_andn2_b32 vcc_lo, exec_lo, s1
	global_load_dwordx2 v[7:8], v[7:8], off
	s_cbranch_vccnz .LBB954_11
; %bb.10:                               ;   in Loop: Header=BB954_9 Depth=1
	v_mov_b32_e32 v11, v6
	s_waitcnt vmcnt(0)
	v_mov_b32_e32 v12, v7
	s_mov_b32 s14, 0
	v_ashrrev_i64 v[11:12], 29, v[11:12]
	v_add_co_u32 v11, vcc_lo, s2, v11
	v_add_co_ci_u32_e64 v12, null, s3, v12, vcc_lo
	s_clause 0x1
	global_load_dwordx2 v[13:14], v[3:4], off
	global_load_dwordx2 v[11:12], v[11:12], off
	s_waitcnt vmcnt(0)
	v_cmp_ge_i64_e64 s12, v[13:14], v[11:12]
.LBB954_11:                             ;   in Loop: Header=BB954_9 Depth=1
	s_andn2_b32 vcc_lo, exec_lo, s14
	s_cbranch_vccnz .LBB954_8
; %bb.12:                               ;   in Loop: Header=BB954_9 Depth=1
	v_mov_b32_e32 v11, v6
	s_waitcnt vmcnt(0)
	v_mov_b32_e32 v12, v7
	s_andn2_b32 s12, s12, exec_lo
	v_ashrrev_i64 v[7:8], 29, v[11:12]
	v_add_co_u32 v7, vcc_lo, s2, v7
	v_add_co_ci_u32_e64 v8, null, s3, v8, vcc_lo
	s_clause 0x1
	global_load_dwordx2 v[7:8], v[7:8], off
	global_load_dwordx2 v[11:12], v[3:4], off
	s_waitcnt vmcnt(0)
	v_cmp_lt_i64_e32 vcc_lo, v[7:8], v[11:12]
	s_and_b32 s14, vcc_lo, exec_lo
	s_or_b32 s12, s12, s14
	s_branch .LBB954_8
.LBB954_13:
                                        ; implicit-def: $vgpr5
	s_cbranch_execnz .LBB954_17
	s_branch .LBB954_26
.LBB954_14:
	s_or_b32 exec_lo, exec_lo, s0
.LBB954_15:
	v_add_nc_u32_e32 v5, v9, v0
	s_or_b32 s13, s13, exec_lo
.LBB954_16:
	s_or_b32 exec_lo, exec_lo, s7
	s_branch .LBB954_26
.LBB954_17:
	v_mov_b32_e32 v9, s4
	s_cmp_ge_u32 s6, s5
	s_cbranch_scc1 .LBB954_25
; %bb.18:
	v_mov_b32_e32 v10, s5
	v_mov_b32_e32 v9, s4
	;; [unrolled: 1-line block ×3, first 2 shown]
	s_mov_b32 s0, 0
	s_branch .LBB954_20
.LBB954_19:                             ;   in Loop: Header=BB954_20 Depth=1
	s_waitcnt vmcnt(0)
	v_add_nc_u32_e32 v7, 1, v5
	v_cndmask_b32_e64 v10, v5, v10, s4
	v_cndmask_b32_e64 v9, v9, v7, s4
	v_cmp_ge_u32_e32 vcc_lo, v9, v10
	s_or_b32 s0, vcc_lo, s0
	s_andn2_b32 exec_lo, exec_lo, s0
	s_cbranch_execz .LBB954_24
.LBB954_20:                             ; =>This Inner Loop Header: Depth=1
	v_add_nc_u32_e32 v5, v9, v10
	s_mov_b32 s5, -1
                                        ; implicit-def: $sgpr4
	v_lshrrev_b32_e32 v5, 1, v5
	v_lshlrev_b64 v[7:8], 3, v[5:6]
	v_add_co_u32 v7, vcc_lo, s8, v7
	v_add_co_ci_u32_e64 v8, null, s9, v8, vcc_lo
	s_andn2_b32 vcc_lo, exec_lo, s1
	global_load_dwordx2 v[7:8], v[7:8], off
	s_cbranch_vccnz .LBB954_22
; %bb.21:                               ;   in Loop: Header=BB954_20 Depth=1
	v_mov_b32_e32 v11, v6
	s_waitcnt vmcnt(0)
	v_mov_b32_e32 v12, v7
	s_mov_b32 s5, 0
	v_ashrrev_i64 v[11:12], 29, v[11:12]
	v_add_co_u32 v11, vcc_lo, s2, v11
	v_add_co_ci_u32_e64 v12, null, s3, v12, vcc_lo
	s_clause 0x1
	global_load_dwordx2 v[13:14], v[3:4], off
	global_load_dwordx2 v[11:12], v[11:12], off
	s_waitcnt vmcnt(0)
	v_cmp_ge_i64_e64 s4, v[13:14], v[11:12]
.LBB954_22:                             ;   in Loop: Header=BB954_20 Depth=1
	s_andn2_b32 vcc_lo, exec_lo, s5
	s_cbranch_vccnz .LBB954_19
; %bb.23:                               ;   in Loop: Header=BB954_20 Depth=1
	v_mov_b32_e32 v11, v6
	s_waitcnt vmcnt(0)
	v_mov_b32_e32 v12, v7
	s_andn2_b32 s4, s4, exec_lo
	v_ashrrev_i64 v[7:8], 29, v[11:12]
	v_add_co_u32 v7, vcc_lo, s2, v7
	v_add_co_ci_u32_e64 v8, null, s3, v8, vcc_lo
	s_clause 0x1
	global_load_dwordx2 v[7:8], v[7:8], off
	global_load_dwordx2 v[11:12], v[3:4], off
	s_waitcnt vmcnt(0)
	v_cmp_lt_i64_e32 vcc_lo, v[7:8], v[11:12]
	s_and_b32 s5, vcc_lo, exec_lo
	s_or_b32 s4, s4, s5
	s_branch .LBB954_19
.LBB954_24:
	s_or_b32 exec_lo, exec_lo, s0
.LBB954_25:
	v_add_nc_u32_e32 v5, v9, v0
	s_mov_b32 s13, -1
.LBB954_26:
	s_and_b32 exec_lo, exec_lo, s13
	s_cbranch_execz .LBB954_28
; %bb.27:
	v_mov_b32_e32 v6, 0
	v_lshlrev_b64 v[3:4], 3, v[5:6]
	v_add_co_u32 v3, vcc_lo, s10, v3
	v_add_co_ci_u32_e64 v4, null, s11, v4, vcc_lo
	s_waitcnt vmcnt(0)
	global_store_dwordx2 v[3:4], v[1:2], off
.LBB954_28:
	s_endpgm
	.section	.rodata,"a",@progbits
	.p2align	6, 0x0
	.amdhsa_kernel _ZN7rocprim17ROCPRIM_400000_NS6detail17trampoline_kernelINS0_14default_configENS1_38merge_sort_block_merge_config_selectorIxNS0_10empty_typeEEEZZNS1_27merge_sort_block_merge_implIS3_N6thrust23THRUST_200600_302600_NS6detail15normal_iteratorINS9_10device_ptrIxEEEEPS5_m9comp_mod3IxEEE10hipError_tT0_T1_T2_jT3_P12ihipStream_tbPNSt15iterator_traitsISJ_E10value_typeEPNSP_ISK_E10value_typeEPSL_NS1_7vsmem_tEENKUlT_SJ_SK_SL_E_clIPxSE_SF_SF_EESI_SY_SJ_SK_SL_EUlSY_E1_NS1_11comp_targetILNS1_3genE8ELNS1_11target_archE1030ELNS1_3gpuE2ELNS1_3repE0EEENS1_36merge_oddeven_config_static_selectorELNS0_4arch9wavefront6targetE0EEEvSK_
		.amdhsa_group_segment_fixed_size 0
		.amdhsa_private_segment_fixed_size 0
		.amdhsa_kernarg_size 56
		.amdhsa_user_sgpr_count 6
		.amdhsa_user_sgpr_private_segment_buffer 1
		.amdhsa_user_sgpr_dispatch_ptr 0
		.amdhsa_user_sgpr_queue_ptr 0
		.amdhsa_user_sgpr_kernarg_segment_ptr 1
		.amdhsa_user_sgpr_dispatch_id 0
		.amdhsa_user_sgpr_flat_scratch_init 0
		.amdhsa_user_sgpr_private_segment_size 0
		.amdhsa_wavefront_size32 1
		.amdhsa_uses_dynamic_stack 0
		.amdhsa_system_sgpr_private_segment_wavefront_offset 0
		.amdhsa_system_sgpr_workgroup_id_x 1
		.amdhsa_system_sgpr_workgroup_id_y 0
		.amdhsa_system_sgpr_workgroup_id_z 0
		.amdhsa_system_sgpr_workgroup_info 0
		.amdhsa_system_vgpr_workitem_id 0
		.amdhsa_next_free_vgpr 15
		.amdhsa_next_free_sgpr 18
		.amdhsa_reserve_vcc 1
		.amdhsa_reserve_flat_scratch 0
		.amdhsa_float_round_mode_32 0
		.amdhsa_float_round_mode_16_64 0
		.amdhsa_float_denorm_mode_32 3
		.amdhsa_float_denorm_mode_16_64 3
		.amdhsa_dx10_clamp 1
		.amdhsa_ieee_mode 1
		.amdhsa_fp16_overflow 0
		.amdhsa_workgroup_processor_mode 1
		.amdhsa_memory_ordered 1
		.amdhsa_forward_progress 1
		.amdhsa_shared_vgpr_count 0
		.amdhsa_exception_fp_ieee_invalid_op 0
		.amdhsa_exception_fp_denorm_src 0
		.amdhsa_exception_fp_ieee_div_zero 0
		.amdhsa_exception_fp_ieee_overflow 0
		.amdhsa_exception_fp_ieee_underflow 0
		.amdhsa_exception_fp_ieee_inexact 0
		.amdhsa_exception_int_div_zero 0
	.end_amdhsa_kernel
	.section	.text._ZN7rocprim17ROCPRIM_400000_NS6detail17trampoline_kernelINS0_14default_configENS1_38merge_sort_block_merge_config_selectorIxNS0_10empty_typeEEEZZNS1_27merge_sort_block_merge_implIS3_N6thrust23THRUST_200600_302600_NS6detail15normal_iteratorINS9_10device_ptrIxEEEEPS5_m9comp_mod3IxEEE10hipError_tT0_T1_T2_jT3_P12ihipStream_tbPNSt15iterator_traitsISJ_E10value_typeEPNSP_ISK_E10value_typeEPSL_NS1_7vsmem_tEENKUlT_SJ_SK_SL_E_clIPxSE_SF_SF_EESI_SY_SJ_SK_SL_EUlSY_E1_NS1_11comp_targetILNS1_3genE8ELNS1_11target_archE1030ELNS1_3gpuE2ELNS1_3repE0EEENS1_36merge_oddeven_config_static_selectorELNS0_4arch9wavefront6targetE0EEEvSK_,"axG",@progbits,_ZN7rocprim17ROCPRIM_400000_NS6detail17trampoline_kernelINS0_14default_configENS1_38merge_sort_block_merge_config_selectorIxNS0_10empty_typeEEEZZNS1_27merge_sort_block_merge_implIS3_N6thrust23THRUST_200600_302600_NS6detail15normal_iteratorINS9_10device_ptrIxEEEEPS5_m9comp_mod3IxEEE10hipError_tT0_T1_T2_jT3_P12ihipStream_tbPNSt15iterator_traitsISJ_E10value_typeEPNSP_ISK_E10value_typeEPSL_NS1_7vsmem_tEENKUlT_SJ_SK_SL_E_clIPxSE_SF_SF_EESI_SY_SJ_SK_SL_EUlSY_E1_NS1_11comp_targetILNS1_3genE8ELNS1_11target_archE1030ELNS1_3gpuE2ELNS1_3repE0EEENS1_36merge_oddeven_config_static_selectorELNS0_4arch9wavefront6targetE0EEEvSK_,comdat
.Lfunc_end954:
	.size	_ZN7rocprim17ROCPRIM_400000_NS6detail17trampoline_kernelINS0_14default_configENS1_38merge_sort_block_merge_config_selectorIxNS0_10empty_typeEEEZZNS1_27merge_sort_block_merge_implIS3_N6thrust23THRUST_200600_302600_NS6detail15normal_iteratorINS9_10device_ptrIxEEEEPS5_m9comp_mod3IxEEE10hipError_tT0_T1_T2_jT3_P12ihipStream_tbPNSt15iterator_traitsISJ_E10value_typeEPNSP_ISK_E10value_typeEPSL_NS1_7vsmem_tEENKUlT_SJ_SK_SL_E_clIPxSE_SF_SF_EESI_SY_SJ_SK_SL_EUlSY_E1_NS1_11comp_targetILNS1_3genE8ELNS1_11target_archE1030ELNS1_3gpuE2ELNS1_3repE0EEENS1_36merge_oddeven_config_static_selectorELNS0_4arch9wavefront6targetE0EEEvSK_, .Lfunc_end954-_ZN7rocprim17ROCPRIM_400000_NS6detail17trampoline_kernelINS0_14default_configENS1_38merge_sort_block_merge_config_selectorIxNS0_10empty_typeEEEZZNS1_27merge_sort_block_merge_implIS3_N6thrust23THRUST_200600_302600_NS6detail15normal_iteratorINS9_10device_ptrIxEEEEPS5_m9comp_mod3IxEEE10hipError_tT0_T1_T2_jT3_P12ihipStream_tbPNSt15iterator_traitsISJ_E10value_typeEPNSP_ISK_E10value_typeEPSL_NS1_7vsmem_tEENKUlT_SJ_SK_SL_E_clIPxSE_SF_SF_EESI_SY_SJ_SK_SL_EUlSY_E1_NS1_11comp_targetILNS1_3genE8ELNS1_11target_archE1030ELNS1_3gpuE2ELNS1_3repE0EEENS1_36merge_oddeven_config_static_selectorELNS0_4arch9wavefront6targetE0EEEvSK_
                                        ; -- End function
	.set _ZN7rocprim17ROCPRIM_400000_NS6detail17trampoline_kernelINS0_14default_configENS1_38merge_sort_block_merge_config_selectorIxNS0_10empty_typeEEEZZNS1_27merge_sort_block_merge_implIS3_N6thrust23THRUST_200600_302600_NS6detail15normal_iteratorINS9_10device_ptrIxEEEEPS5_m9comp_mod3IxEEE10hipError_tT0_T1_T2_jT3_P12ihipStream_tbPNSt15iterator_traitsISJ_E10value_typeEPNSP_ISK_E10value_typeEPSL_NS1_7vsmem_tEENKUlT_SJ_SK_SL_E_clIPxSE_SF_SF_EESI_SY_SJ_SK_SL_EUlSY_E1_NS1_11comp_targetILNS1_3genE8ELNS1_11target_archE1030ELNS1_3gpuE2ELNS1_3repE0EEENS1_36merge_oddeven_config_static_selectorELNS0_4arch9wavefront6targetE0EEEvSK_.num_vgpr, 15
	.set _ZN7rocprim17ROCPRIM_400000_NS6detail17trampoline_kernelINS0_14default_configENS1_38merge_sort_block_merge_config_selectorIxNS0_10empty_typeEEEZZNS1_27merge_sort_block_merge_implIS3_N6thrust23THRUST_200600_302600_NS6detail15normal_iteratorINS9_10device_ptrIxEEEEPS5_m9comp_mod3IxEEE10hipError_tT0_T1_T2_jT3_P12ihipStream_tbPNSt15iterator_traitsISJ_E10value_typeEPNSP_ISK_E10value_typeEPSL_NS1_7vsmem_tEENKUlT_SJ_SK_SL_E_clIPxSE_SF_SF_EESI_SY_SJ_SK_SL_EUlSY_E1_NS1_11comp_targetILNS1_3genE8ELNS1_11target_archE1030ELNS1_3gpuE2ELNS1_3repE0EEENS1_36merge_oddeven_config_static_selectorELNS0_4arch9wavefront6targetE0EEEvSK_.num_agpr, 0
	.set _ZN7rocprim17ROCPRIM_400000_NS6detail17trampoline_kernelINS0_14default_configENS1_38merge_sort_block_merge_config_selectorIxNS0_10empty_typeEEEZZNS1_27merge_sort_block_merge_implIS3_N6thrust23THRUST_200600_302600_NS6detail15normal_iteratorINS9_10device_ptrIxEEEEPS5_m9comp_mod3IxEEE10hipError_tT0_T1_T2_jT3_P12ihipStream_tbPNSt15iterator_traitsISJ_E10value_typeEPNSP_ISK_E10value_typeEPSL_NS1_7vsmem_tEENKUlT_SJ_SK_SL_E_clIPxSE_SF_SF_EESI_SY_SJ_SK_SL_EUlSY_E1_NS1_11comp_targetILNS1_3genE8ELNS1_11target_archE1030ELNS1_3gpuE2ELNS1_3repE0EEENS1_36merge_oddeven_config_static_selectorELNS0_4arch9wavefront6targetE0EEEvSK_.numbered_sgpr, 18
	.set _ZN7rocprim17ROCPRIM_400000_NS6detail17trampoline_kernelINS0_14default_configENS1_38merge_sort_block_merge_config_selectorIxNS0_10empty_typeEEEZZNS1_27merge_sort_block_merge_implIS3_N6thrust23THRUST_200600_302600_NS6detail15normal_iteratorINS9_10device_ptrIxEEEEPS5_m9comp_mod3IxEEE10hipError_tT0_T1_T2_jT3_P12ihipStream_tbPNSt15iterator_traitsISJ_E10value_typeEPNSP_ISK_E10value_typeEPSL_NS1_7vsmem_tEENKUlT_SJ_SK_SL_E_clIPxSE_SF_SF_EESI_SY_SJ_SK_SL_EUlSY_E1_NS1_11comp_targetILNS1_3genE8ELNS1_11target_archE1030ELNS1_3gpuE2ELNS1_3repE0EEENS1_36merge_oddeven_config_static_selectorELNS0_4arch9wavefront6targetE0EEEvSK_.num_named_barrier, 0
	.set _ZN7rocprim17ROCPRIM_400000_NS6detail17trampoline_kernelINS0_14default_configENS1_38merge_sort_block_merge_config_selectorIxNS0_10empty_typeEEEZZNS1_27merge_sort_block_merge_implIS3_N6thrust23THRUST_200600_302600_NS6detail15normal_iteratorINS9_10device_ptrIxEEEEPS5_m9comp_mod3IxEEE10hipError_tT0_T1_T2_jT3_P12ihipStream_tbPNSt15iterator_traitsISJ_E10value_typeEPNSP_ISK_E10value_typeEPSL_NS1_7vsmem_tEENKUlT_SJ_SK_SL_E_clIPxSE_SF_SF_EESI_SY_SJ_SK_SL_EUlSY_E1_NS1_11comp_targetILNS1_3genE8ELNS1_11target_archE1030ELNS1_3gpuE2ELNS1_3repE0EEENS1_36merge_oddeven_config_static_selectorELNS0_4arch9wavefront6targetE0EEEvSK_.private_seg_size, 0
	.set _ZN7rocprim17ROCPRIM_400000_NS6detail17trampoline_kernelINS0_14default_configENS1_38merge_sort_block_merge_config_selectorIxNS0_10empty_typeEEEZZNS1_27merge_sort_block_merge_implIS3_N6thrust23THRUST_200600_302600_NS6detail15normal_iteratorINS9_10device_ptrIxEEEEPS5_m9comp_mod3IxEEE10hipError_tT0_T1_T2_jT3_P12ihipStream_tbPNSt15iterator_traitsISJ_E10value_typeEPNSP_ISK_E10value_typeEPSL_NS1_7vsmem_tEENKUlT_SJ_SK_SL_E_clIPxSE_SF_SF_EESI_SY_SJ_SK_SL_EUlSY_E1_NS1_11comp_targetILNS1_3genE8ELNS1_11target_archE1030ELNS1_3gpuE2ELNS1_3repE0EEENS1_36merge_oddeven_config_static_selectorELNS0_4arch9wavefront6targetE0EEEvSK_.uses_vcc, 1
	.set _ZN7rocprim17ROCPRIM_400000_NS6detail17trampoline_kernelINS0_14default_configENS1_38merge_sort_block_merge_config_selectorIxNS0_10empty_typeEEEZZNS1_27merge_sort_block_merge_implIS3_N6thrust23THRUST_200600_302600_NS6detail15normal_iteratorINS9_10device_ptrIxEEEEPS5_m9comp_mod3IxEEE10hipError_tT0_T1_T2_jT3_P12ihipStream_tbPNSt15iterator_traitsISJ_E10value_typeEPNSP_ISK_E10value_typeEPSL_NS1_7vsmem_tEENKUlT_SJ_SK_SL_E_clIPxSE_SF_SF_EESI_SY_SJ_SK_SL_EUlSY_E1_NS1_11comp_targetILNS1_3genE8ELNS1_11target_archE1030ELNS1_3gpuE2ELNS1_3repE0EEENS1_36merge_oddeven_config_static_selectorELNS0_4arch9wavefront6targetE0EEEvSK_.uses_flat_scratch, 0
	.set _ZN7rocprim17ROCPRIM_400000_NS6detail17trampoline_kernelINS0_14default_configENS1_38merge_sort_block_merge_config_selectorIxNS0_10empty_typeEEEZZNS1_27merge_sort_block_merge_implIS3_N6thrust23THRUST_200600_302600_NS6detail15normal_iteratorINS9_10device_ptrIxEEEEPS5_m9comp_mod3IxEEE10hipError_tT0_T1_T2_jT3_P12ihipStream_tbPNSt15iterator_traitsISJ_E10value_typeEPNSP_ISK_E10value_typeEPSL_NS1_7vsmem_tEENKUlT_SJ_SK_SL_E_clIPxSE_SF_SF_EESI_SY_SJ_SK_SL_EUlSY_E1_NS1_11comp_targetILNS1_3genE8ELNS1_11target_archE1030ELNS1_3gpuE2ELNS1_3repE0EEENS1_36merge_oddeven_config_static_selectorELNS0_4arch9wavefront6targetE0EEEvSK_.has_dyn_sized_stack, 0
	.set _ZN7rocprim17ROCPRIM_400000_NS6detail17trampoline_kernelINS0_14default_configENS1_38merge_sort_block_merge_config_selectorIxNS0_10empty_typeEEEZZNS1_27merge_sort_block_merge_implIS3_N6thrust23THRUST_200600_302600_NS6detail15normal_iteratorINS9_10device_ptrIxEEEEPS5_m9comp_mod3IxEEE10hipError_tT0_T1_T2_jT3_P12ihipStream_tbPNSt15iterator_traitsISJ_E10value_typeEPNSP_ISK_E10value_typeEPSL_NS1_7vsmem_tEENKUlT_SJ_SK_SL_E_clIPxSE_SF_SF_EESI_SY_SJ_SK_SL_EUlSY_E1_NS1_11comp_targetILNS1_3genE8ELNS1_11target_archE1030ELNS1_3gpuE2ELNS1_3repE0EEENS1_36merge_oddeven_config_static_selectorELNS0_4arch9wavefront6targetE0EEEvSK_.has_recursion, 0
	.set _ZN7rocprim17ROCPRIM_400000_NS6detail17trampoline_kernelINS0_14default_configENS1_38merge_sort_block_merge_config_selectorIxNS0_10empty_typeEEEZZNS1_27merge_sort_block_merge_implIS3_N6thrust23THRUST_200600_302600_NS6detail15normal_iteratorINS9_10device_ptrIxEEEEPS5_m9comp_mod3IxEEE10hipError_tT0_T1_T2_jT3_P12ihipStream_tbPNSt15iterator_traitsISJ_E10value_typeEPNSP_ISK_E10value_typeEPSL_NS1_7vsmem_tEENKUlT_SJ_SK_SL_E_clIPxSE_SF_SF_EESI_SY_SJ_SK_SL_EUlSY_E1_NS1_11comp_targetILNS1_3genE8ELNS1_11target_archE1030ELNS1_3gpuE2ELNS1_3repE0EEENS1_36merge_oddeven_config_static_selectorELNS0_4arch9wavefront6targetE0EEEvSK_.has_indirect_call, 0
	.section	.AMDGPU.csdata,"",@progbits
; Kernel info:
; codeLenInByte = 940
; TotalNumSgprs: 20
; NumVgprs: 15
; ScratchSize: 0
; MemoryBound: 0
; FloatMode: 240
; IeeeMode: 1
; LDSByteSize: 0 bytes/workgroup (compile time only)
; SGPRBlocks: 0
; VGPRBlocks: 1
; NumSGPRsForWavesPerEU: 20
; NumVGPRsForWavesPerEU: 15
; Occupancy: 16
; WaveLimiterHint : 1
; COMPUTE_PGM_RSRC2:SCRATCH_EN: 0
; COMPUTE_PGM_RSRC2:USER_SGPR: 6
; COMPUTE_PGM_RSRC2:TRAP_HANDLER: 0
; COMPUTE_PGM_RSRC2:TGID_X_EN: 1
; COMPUTE_PGM_RSRC2:TGID_Y_EN: 0
; COMPUTE_PGM_RSRC2:TGID_Z_EN: 0
; COMPUTE_PGM_RSRC2:TIDIG_COMP_CNT: 0
	.section	.text._ZN7rocprim17ROCPRIM_400000_NS6detail17trampoline_kernelINS0_14default_configENS1_38merge_sort_block_merge_config_selectorIxNS0_10empty_typeEEEZZNS1_27merge_sort_block_merge_implIS3_N6thrust23THRUST_200600_302600_NS6detail15normal_iteratorINS9_10device_ptrIxEEEEPS5_m9comp_mod3IxEEE10hipError_tT0_T1_T2_jT3_P12ihipStream_tbPNSt15iterator_traitsISJ_E10value_typeEPNSP_ISK_E10value_typeEPSL_NS1_7vsmem_tEENKUlT_SJ_SK_SL_E_clISE_PxSF_SF_EESI_SY_SJ_SK_SL_EUlSY_E_NS1_11comp_targetILNS1_3genE0ELNS1_11target_archE4294967295ELNS1_3gpuE0ELNS1_3repE0EEENS1_48merge_mergepath_partition_config_static_selectorELNS0_4arch9wavefront6targetE0EEEvSK_,"axG",@progbits,_ZN7rocprim17ROCPRIM_400000_NS6detail17trampoline_kernelINS0_14default_configENS1_38merge_sort_block_merge_config_selectorIxNS0_10empty_typeEEEZZNS1_27merge_sort_block_merge_implIS3_N6thrust23THRUST_200600_302600_NS6detail15normal_iteratorINS9_10device_ptrIxEEEEPS5_m9comp_mod3IxEEE10hipError_tT0_T1_T2_jT3_P12ihipStream_tbPNSt15iterator_traitsISJ_E10value_typeEPNSP_ISK_E10value_typeEPSL_NS1_7vsmem_tEENKUlT_SJ_SK_SL_E_clISE_PxSF_SF_EESI_SY_SJ_SK_SL_EUlSY_E_NS1_11comp_targetILNS1_3genE0ELNS1_11target_archE4294967295ELNS1_3gpuE0ELNS1_3repE0EEENS1_48merge_mergepath_partition_config_static_selectorELNS0_4arch9wavefront6targetE0EEEvSK_,comdat
	.protected	_ZN7rocprim17ROCPRIM_400000_NS6detail17trampoline_kernelINS0_14default_configENS1_38merge_sort_block_merge_config_selectorIxNS0_10empty_typeEEEZZNS1_27merge_sort_block_merge_implIS3_N6thrust23THRUST_200600_302600_NS6detail15normal_iteratorINS9_10device_ptrIxEEEEPS5_m9comp_mod3IxEEE10hipError_tT0_T1_T2_jT3_P12ihipStream_tbPNSt15iterator_traitsISJ_E10value_typeEPNSP_ISK_E10value_typeEPSL_NS1_7vsmem_tEENKUlT_SJ_SK_SL_E_clISE_PxSF_SF_EESI_SY_SJ_SK_SL_EUlSY_E_NS1_11comp_targetILNS1_3genE0ELNS1_11target_archE4294967295ELNS1_3gpuE0ELNS1_3repE0EEENS1_48merge_mergepath_partition_config_static_selectorELNS0_4arch9wavefront6targetE0EEEvSK_ ; -- Begin function _ZN7rocprim17ROCPRIM_400000_NS6detail17trampoline_kernelINS0_14default_configENS1_38merge_sort_block_merge_config_selectorIxNS0_10empty_typeEEEZZNS1_27merge_sort_block_merge_implIS3_N6thrust23THRUST_200600_302600_NS6detail15normal_iteratorINS9_10device_ptrIxEEEEPS5_m9comp_mod3IxEEE10hipError_tT0_T1_T2_jT3_P12ihipStream_tbPNSt15iterator_traitsISJ_E10value_typeEPNSP_ISK_E10value_typeEPSL_NS1_7vsmem_tEENKUlT_SJ_SK_SL_E_clISE_PxSF_SF_EESI_SY_SJ_SK_SL_EUlSY_E_NS1_11comp_targetILNS1_3genE0ELNS1_11target_archE4294967295ELNS1_3gpuE0ELNS1_3repE0EEENS1_48merge_mergepath_partition_config_static_selectorELNS0_4arch9wavefront6targetE0EEEvSK_
	.globl	_ZN7rocprim17ROCPRIM_400000_NS6detail17trampoline_kernelINS0_14default_configENS1_38merge_sort_block_merge_config_selectorIxNS0_10empty_typeEEEZZNS1_27merge_sort_block_merge_implIS3_N6thrust23THRUST_200600_302600_NS6detail15normal_iteratorINS9_10device_ptrIxEEEEPS5_m9comp_mod3IxEEE10hipError_tT0_T1_T2_jT3_P12ihipStream_tbPNSt15iterator_traitsISJ_E10value_typeEPNSP_ISK_E10value_typeEPSL_NS1_7vsmem_tEENKUlT_SJ_SK_SL_E_clISE_PxSF_SF_EESI_SY_SJ_SK_SL_EUlSY_E_NS1_11comp_targetILNS1_3genE0ELNS1_11target_archE4294967295ELNS1_3gpuE0ELNS1_3repE0EEENS1_48merge_mergepath_partition_config_static_selectorELNS0_4arch9wavefront6targetE0EEEvSK_
	.p2align	8
	.type	_ZN7rocprim17ROCPRIM_400000_NS6detail17trampoline_kernelINS0_14default_configENS1_38merge_sort_block_merge_config_selectorIxNS0_10empty_typeEEEZZNS1_27merge_sort_block_merge_implIS3_N6thrust23THRUST_200600_302600_NS6detail15normal_iteratorINS9_10device_ptrIxEEEEPS5_m9comp_mod3IxEEE10hipError_tT0_T1_T2_jT3_P12ihipStream_tbPNSt15iterator_traitsISJ_E10value_typeEPNSP_ISK_E10value_typeEPSL_NS1_7vsmem_tEENKUlT_SJ_SK_SL_E_clISE_PxSF_SF_EESI_SY_SJ_SK_SL_EUlSY_E_NS1_11comp_targetILNS1_3genE0ELNS1_11target_archE4294967295ELNS1_3gpuE0ELNS1_3repE0EEENS1_48merge_mergepath_partition_config_static_selectorELNS0_4arch9wavefront6targetE0EEEvSK_,@function
_ZN7rocprim17ROCPRIM_400000_NS6detail17trampoline_kernelINS0_14default_configENS1_38merge_sort_block_merge_config_selectorIxNS0_10empty_typeEEEZZNS1_27merge_sort_block_merge_implIS3_N6thrust23THRUST_200600_302600_NS6detail15normal_iteratorINS9_10device_ptrIxEEEEPS5_m9comp_mod3IxEEE10hipError_tT0_T1_T2_jT3_P12ihipStream_tbPNSt15iterator_traitsISJ_E10value_typeEPNSP_ISK_E10value_typeEPSL_NS1_7vsmem_tEENKUlT_SJ_SK_SL_E_clISE_PxSF_SF_EESI_SY_SJ_SK_SL_EUlSY_E_NS1_11comp_targetILNS1_3genE0ELNS1_11target_archE4294967295ELNS1_3gpuE0ELNS1_3repE0EEENS1_48merge_mergepath_partition_config_static_selectorELNS0_4arch9wavefront6targetE0EEEvSK_: ; @_ZN7rocprim17ROCPRIM_400000_NS6detail17trampoline_kernelINS0_14default_configENS1_38merge_sort_block_merge_config_selectorIxNS0_10empty_typeEEEZZNS1_27merge_sort_block_merge_implIS3_N6thrust23THRUST_200600_302600_NS6detail15normal_iteratorINS9_10device_ptrIxEEEEPS5_m9comp_mod3IxEEE10hipError_tT0_T1_T2_jT3_P12ihipStream_tbPNSt15iterator_traitsISJ_E10value_typeEPNSP_ISK_E10value_typeEPSL_NS1_7vsmem_tEENKUlT_SJ_SK_SL_E_clISE_PxSF_SF_EESI_SY_SJ_SK_SL_EUlSY_E_NS1_11comp_targetILNS1_3genE0ELNS1_11target_archE4294967295ELNS1_3gpuE0ELNS1_3repE0EEENS1_48merge_mergepath_partition_config_static_selectorELNS0_4arch9wavefront6targetE0EEEvSK_
; %bb.0:
	.section	.rodata,"a",@progbits
	.p2align	6, 0x0
	.amdhsa_kernel _ZN7rocprim17ROCPRIM_400000_NS6detail17trampoline_kernelINS0_14default_configENS1_38merge_sort_block_merge_config_selectorIxNS0_10empty_typeEEEZZNS1_27merge_sort_block_merge_implIS3_N6thrust23THRUST_200600_302600_NS6detail15normal_iteratorINS9_10device_ptrIxEEEEPS5_m9comp_mod3IxEEE10hipError_tT0_T1_T2_jT3_P12ihipStream_tbPNSt15iterator_traitsISJ_E10value_typeEPNSP_ISK_E10value_typeEPSL_NS1_7vsmem_tEENKUlT_SJ_SK_SL_E_clISE_PxSF_SF_EESI_SY_SJ_SK_SL_EUlSY_E_NS1_11comp_targetILNS1_3genE0ELNS1_11target_archE4294967295ELNS1_3gpuE0ELNS1_3repE0EEENS1_48merge_mergepath_partition_config_static_selectorELNS0_4arch9wavefront6targetE0EEEvSK_
		.amdhsa_group_segment_fixed_size 0
		.amdhsa_private_segment_fixed_size 0
		.amdhsa_kernarg_size 48
		.amdhsa_user_sgpr_count 6
		.amdhsa_user_sgpr_private_segment_buffer 1
		.amdhsa_user_sgpr_dispatch_ptr 0
		.amdhsa_user_sgpr_queue_ptr 0
		.amdhsa_user_sgpr_kernarg_segment_ptr 1
		.amdhsa_user_sgpr_dispatch_id 0
		.amdhsa_user_sgpr_flat_scratch_init 0
		.amdhsa_user_sgpr_private_segment_size 0
		.amdhsa_wavefront_size32 1
		.amdhsa_uses_dynamic_stack 0
		.amdhsa_system_sgpr_private_segment_wavefront_offset 0
		.amdhsa_system_sgpr_workgroup_id_x 1
		.amdhsa_system_sgpr_workgroup_id_y 0
		.amdhsa_system_sgpr_workgroup_id_z 0
		.amdhsa_system_sgpr_workgroup_info 0
		.amdhsa_system_vgpr_workitem_id 0
		.amdhsa_next_free_vgpr 1
		.amdhsa_next_free_sgpr 1
		.amdhsa_reserve_vcc 0
		.amdhsa_reserve_flat_scratch 0
		.amdhsa_float_round_mode_32 0
		.amdhsa_float_round_mode_16_64 0
		.amdhsa_float_denorm_mode_32 3
		.amdhsa_float_denorm_mode_16_64 3
		.amdhsa_dx10_clamp 1
		.amdhsa_ieee_mode 1
		.amdhsa_fp16_overflow 0
		.amdhsa_workgroup_processor_mode 1
		.amdhsa_memory_ordered 1
		.amdhsa_forward_progress 1
		.amdhsa_shared_vgpr_count 0
		.amdhsa_exception_fp_ieee_invalid_op 0
		.amdhsa_exception_fp_denorm_src 0
		.amdhsa_exception_fp_ieee_div_zero 0
		.amdhsa_exception_fp_ieee_overflow 0
		.amdhsa_exception_fp_ieee_underflow 0
		.amdhsa_exception_fp_ieee_inexact 0
		.amdhsa_exception_int_div_zero 0
	.end_amdhsa_kernel
	.section	.text._ZN7rocprim17ROCPRIM_400000_NS6detail17trampoline_kernelINS0_14default_configENS1_38merge_sort_block_merge_config_selectorIxNS0_10empty_typeEEEZZNS1_27merge_sort_block_merge_implIS3_N6thrust23THRUST_200600_302600_NS6detail15normal_iteratorINS9_10device_ptrIxEEEEPS5_m9comp_mod3IxEEE10hipError_tT0_T1_T2_jT3_P12ihipStream_tbPNSt15iterator_traitsISJ_E10value_typeEPNSP_ISK_E10value_typeEPSL_NS1_7vsmem_tEENKUlT_SJ_SK_SL_E_clISE_PxSF_SF_EESI_SY_SJ_SK_SL_EUlSY_E_NS1_11comp_targetILNS1_3genE0ELNS1_11target_archE4294967295ELNS1_3gpuE0ELNS1_3repE0EEENS1_48merge_mergepath_partition_config_static_selectorELNS0_4arch9wavefront6targetE0EEEvSK_,"axG",@progbits,_ZN7rocprim17ROCPRIM_400000_NS6detail17trampoline_kernelINS0_14default_configENS1_38merge_sort_block_merge_config_selectorIxNS0_10empty_typeEEEZZNS1_27merge_sort_block_merge_implIS3_N6thrust23THRUST_200600_302600_NS6detail15normal_iteratorINS9_10device_ptrIxEEEEPS5_m9comp_mod3IxEEE10hipError_tT0_T1_T2_jT3_P12ihipStream_tbPNSt15iterator_traitsISJ_E10value_typeEPNSP_ISK_E10value_typeEPSL_NS1_7vsmem_tEENKUlT_SJ_SK_SL_E_clISE_PxSF_SF_EESI_SY_SJ_SK_SL_EUlSY_E_NS1_11comp_targetILNS1_3genE0ELNS1_11target_archE4294967295ELNS1_3gpuE0ELNS1_3repE0EEENS1_48merge_mergepath_partition_config_static_selectorELNS0_4arch9wavefront6targetE0EEEvSK_,comdat
.Lfunc_end955:
	.size	_ZN7rocprim17ROCPRIM_400000_NS6detail17trampoline_kernelINS0_14default_configENS1_38merge_sort_block_merge_config_selectorIxNS0_10empty_typeEEEZZNS1_27merge_sort_block_merge_implIS3_N6thrust23THRUST_200600_302600_NS6detail15normal_iteratorINS9_10device_ptrIxEEEEPS5_m9comp_mod3IxEEE10hipError_tT0_T1_T2_jT3_P12ihipStream_tbPNSt15iterator_traitsISJ_E10value_typeEPNSP_ISK_E10value_typeEPSL_NS1_7vsmem_tEENKUlT_SJ_SK_SL_E_clISE_PxSF_SF_EESI_SY_SJ_SK_SL_EUlSY_E_NS1_11comp_targetILNS1_3genE0ELNS1_11target_archE4294967295ELNS1_3gpuE0ELNS1_3repE0EEENS1_48merge_mergepath_partition_config_static_selectorELNS0_4arch9wavefront6targetE0EEEvSK_, .Lfunc_end955-_ZN7rocprim17ROCPRIM_400000_NS6detail17trampoline_kernelINS0_14default_configENS1_38merge_sort_block_merge_config_selectorIxNS0_10empty_typeEEEZZNS1_27merge_sort_block_merge_implIS3_N6thrust23THRUST_200600_302600_NS6detail15normal_iteratorINS9_10device_ptrIxEEEEPS5_m9comp_mod3IxEEE10hipError_tT0_T1_T2_jT3_P12ihipStream_tbPNSt15iterator_traitsISJ_E10value_typeEPNSP_ISK_E10value_typeEPSL_NS1_7vsmem_tEENKUlT_SJ_SK_SL_E_clISE_PxSF_SF_EESI_SY_SJ_SK_SL_EUlSY_E_NS1_11comp_targetILNS1_3genE0ELNS1_11target_archE4294967295ELNS1_3gpuE0ELNS1_3repE0EEENS1_48merge_mergepath_partition_config_static_selectorELNS0_4arch9wavefront6targetE0EEEvSK_
                                        ; -- End function
	.set _ZN7rocprim17ROCPRIM_400000_NS6detail17trampoline_kernelINS0_14default_configENS1_38merge_sort_block_merge_config_selectorIxNS0_10empty_typeEEEZZNS1_27merge_sort_block_merge_implIS3_N6thrust23THRUST_200600_302600_NS6detail15normal_iteratorINS9_10device_ptrIxEEEEPS5_m9comp_mod3IxEEE10hipError_tT0_T1_T2_jT3_P12ihipStream_tbPNSt15iterator_traitsISJ_E10value_typeEPNSP_ISK_E10value_typeEPSL_NS1_7vsmem_tEENKUlT_SJ_SK_SL_E_clISE_PxSF_SF_EESI_SY_SJ_SK_SL_EUlSY_E_NS1_11comp_targetILNS1_3genE0ELNS1_11target_archE4294967295ELNS1_3gpuE0ELNS1_3repE0EEENS1_48merge_mergepath_partition_config_static_selectorELNS0_4arch9wavefront6targetE0EEEvSK_.num_vgpr, 0
	.set _ZN7rocprim17ROCPRIM_400000_NS6detail17trampoline_kernelINS0_14default_configENS1_38merge_sort_block_merge_config_selectorIxNS0_10empty_typeEEEZZNS1_27merge_sort_block_merge_implIS3_N6thrust23THRUST_200600_302600_NS6detail15normal_iteratorINS9_10device_ptrIxEEEEPS5_m9comp_mod3IxEEE10hipError_tT0_T1_T2_jT3_P12ihipStream_tbPNSt15iterator_traitsISJ_E10value_typeEPNSP_ISK_E10value_typeEPSL_NS1_7vsmem_tEENKUlT_SJ_SK_SL_E_clISE_PxSF_SF_EESI_SY_SJ_SK_SL_EUlSY_E_NS1_11comp_targetILNS1_3genE0ELNS1_11target_archE4294967295ELNS1_3gpuE0ELNS1_3repE0EEENS1_48merge_mergepath_partition_config_static_selectorELNS0_4arch9wavefront6targetE0EEEvSK_.num_agpr, 0
	.set _ZN7rocprim17ROCPRIM_400000_NS6detail17trampoline_kernelINS0_14default_configENS1_38merge_sort_block_merge_config_selectorIxNS0_10empty_typeEEEZZNS1_27merge_sort_block_merge_implIS3_N6thrust23THRUST_200600_302600_NS6detail15normal_iteratorINS9_10device_ptrIxEEEEPS5_m9comp_mod3IxEEE10hipError_tT0_T1_T2_jT3_P12ihipStream_tbPNSt15iterator_traitsISJ_E10value_typeEPNSP_ISK_E10value_typeEPSL_NS1_7vsmem_tEENKUlT_SJ_SK_SL_E_clISE_PxSF_SF_EESI_SY_SJ_SK_SL_EUlSY_E_NS1_11comp_targetILNS1_3genE0ELNS1_11target_archE4294967295ELNS1_3gpuE0ELNS1_3repE0EEENS1_48merge_mergepath_partition_config_static_selectorELNS0_4arch9wavefront6targetE0EEEvSK_.numbered_sgpr, 0
	.set _ZN7rocprim17ROCPRIM_400000_NS6detail17trampoline_kernelINS0_14default_configENS1_38merge_sort_block_merge_config_selectorIxNS0_10empty_typeEEEZZNS1_27merge_sort_block_merge_implIS3_N6thrust23THRUST_200600_302600_NS6detail15normal_iteratorINS9_10device_ptrIxEEEEPS5_m9comp_mod3IxEEE10hipError_tT0_T1_T2_jT3_P12ihipStream_tbPNSt15iterator_traitsISJ_E10value_typeEPNSP_ISK_E10value_typeEPSL_NS1_7vsmem_tEENKUlT_SJ_SK_SL_E_clISE_PxSF_SF_EESI_SY_SJ_SK_SL_EUlSY_E_NS1_11comp_targetILNS1_3genE0ELNS1_11target_archE4294967295ELNS1_3gpuE0ELNS1_3repE0EEENS1_48merge_mergepath_partition_config_static_selectorELNS0_4arch9wavefront6targetE0EEEvSK_.num_named_barrier, 0
	.set _ZN7rocprim17ROCPRIM_400000_NS6detail17trampoline_kernelINS0_14default_configENS1_38merge_sort_block_merge_config_selectorIxNS0_10empty_typeEEEZZNS1_27merge_sort_block_merge_implIS3_N6thrust23THRUST_200600_302600_NS6detail15normal_iteratorINS9_10device_ptrIxEEEEPS5_m9comp_mod3IxEEE10hipError_tT0_T1_T2_jT3_P12ihipStream_tbPNSt15iterator_traitsISJ_E10value_typeEPNSP_ISK_E10value_typeEPSL_NS1_7vsmem_tEENKUlT_SJ_SK_SL_E_clISE_PxSF_SF_EESI_SY_SJ_SK_SL_EUlSY_E_NS1_11comp_targetILNS1_3genE0ELNS1_11target_archE4294967295ELNS1_3gpuE0ELNS1_3repE0EEENS1_48merge_mergepath_partition_config_static_selectorELNS0_4arch9wavefront6targetE0EEEvSK_.private_seg_size, 0
	.set _ZN7rocprim17ROCPRIM_400000_NS6detail17trampoline_kernelINS0_14default_configENS1_38merge_sort_block_merge_config_selectorIxNS0_10empty_typeEEEZZNS1_27merge_sort_block_merge_implIS3_N6thrust23THRUST_200600_302600_NS6detail15normal_iteratorINS9_10device_ptrIxEEEEPS5_m9comp_mod3IxEEE10hipError_tT0_T1_T2_jT3_P12ihipStream_tbPNSt15iterator_traitsISJ_E10value_typeEPNSP_ISK_E10value_typeEPSL_NS1_7vsmem_tEENKUlT_SJ_SK_SL_E_clISE_PxSF_SF_EESI_SY_SJ_SK_SL_EUlSY_E_NS1_11comp_targetILNS1_3genE0ELNS1_11target_archE4294967295ELNS1_3gpuE0ELNS1_3repE0EEENS1_48merge_mergepath_partition_config_static_selectorELNS0_4arch9wavefront6targetE0EEEvSK_.uses_vcc, 0
	.set _ZN7rocprim17ROCPRIM_400000_NS6detail17trampoline_kernelINS0_14default_configENS1_38merge_sort_block_merge_config_selectorIxNS0_10empty_typeEEEZZNS1_27merge_sort_block_merge_implIS3_N6thrust23THRUST_200600_302600_NS6detail15normal_iteratorINS9_10device_ptrIxEEEEPS5_m9comp_mod3IxEEE10hipError_tT0_T1_T2_jT3_P12ihipStream_tbPNSt15iterator_traitsISJ_E10value_typeEPNSP_ISK_E10value_typeEPSL_NS1_7vsmem_tEENKUlT_SJ_SK_SL_E_clISE_PxSF_SF_EESI_SY_SJ_SK_SL_EUlSY_E_NS1_11comp_targetILNS1_3genE0ELNS1_11target_archE4294967295ELNS1_3gpuE0ELNS1_3repE0EEENS1_48merge_mergepath_partition_config_static_selectorELNS0_4arch9wavefront6targetE0EEEvSK_.uses_flat_scratch, 0
	.set _ZN7rocprim17ROCPRIM_400000_NS6detail17trampoline_kernelINS0_14default_configENS1_38merge_sort_block_merge_config_selectorIxNS0_10empty_typeEEEZZNS1_27merge_sort_block_merge_implIS3_N6thrust23THRUST_200600_302600_NS6detail15normal_iteratorINS9_10device_ptrIxEEEEPS5_m9comp_mod3IxEEE10hipError_tT0_T1_T2_jT3_P12ihipStream_tbPNSt15iterator_traitsISJ_E10value_typeEPNSP_ISK_E10value_typeEPSL_NS1_7vsmem_tEENKUlT_SJ_SK_SL_E_clISE_PxSF_SF_EESI_SY_SJ_SK_SL_EUlSY_E_NS1_11comp_targetILNS1_3genE0ELNS1_11target_archE4294967295ELNS1_3gpuE0ELNS1_3repE0EEENS1_48merge_mergepath_partition_config_static_selectorELNS0_4arch9wavefront6targetE0EEEvSK_.has_dyn_sized_stack, 0
	.set _ZN7rocprim17ROCPRIM_400000_NS6detail17trampoline_kernelINS0_14default_configENS1_38merge_sort_block_merge_config_selectorIxNS0_10empty_typeEEEZZNS1_27merge_sort_block_merge_implIS3_N6thrust23THRUST_200600_302600_NS6detail15normal_iteratorINS9_10device_ptrIxEEEEPS5_m9comp_mod3IxEEE10hipError_tT0_T1_T2_jT3_P12ihipStream_tbPNSt15iterator_traitsISJ_E10value_typeEPNSP_ISK_E10value_typeEPSL_NS1_7vsmem_tEENKUlT_SJ_SK_SL_E_clISE_PxSF_SF_EESI_SY_SJ_SK_SL_EUlSY_E_NS1_11comp_targetILNS1_3genE0ELNS1_11target_archE4294967295ELNS1_3gpuE0ELNS1_3repE0EEENS1_48merge_mergepath_partition_config_static_selectorELNS0_4arch9wavefront6targetE0EEEvSK_.has_recursion, 0
	.set _ZN7rocprim17ROCPRIM_400000_NS6detail17trampoline_kernelINS0_14default_configENS1_38merge_sort_block_merge_config_selectorIxNS0_10empty_typeEEEZZNS1_27merge_sort_block_merge_implIS3_N6thrust23THRUST_200600_302600_NS6detail15normal_iteratorINS9_10device_ptrIxEEEEPS5_m9comp_mod3IxEEE10hipError_tT0_T1_T2_jT3_P12ihipStream_tbPNSt15iterator_traitsISJ_E10value_typeEPNSP_ISK_E10value_typeEPSL_NS1_7vsmem_tEENKUlT_SJ_SK_SL_E_clISE_PxSF_SF_EESI_SY_SJ_SK_SL_EUlSY_E_NS1_11comp_targetILNS1_3genE0ELNS1_11target_archE4294967295ELNS1_3gpuE0ELNS1_3repE0EEENS1_48merge_mergepath_partition_config_static_selectorELNS0_4arch9wavefront6targetE0EEEvSK_.has_indirect_call, 0
	.section	.AMDGPU.csdata,"",@progbits
; Kernel info:
; codeLenInByte = 0
; TotalNumSgprs: 0
; NumVgprs: 0
; ScratchSize: 0
; MemoryBound: 0
; FloatMode: 240
; IeeeMode: 1
; LDSByteSize: 0 bytes/workgroup (compile time only)
; SGPRBlocks: 0
; VGPRBlocks: 0
; NumSGPRsForWavesPerEU: 1
; NumVGPRsForWavesPerEU: 1
; Occupancy: 16
; WaveLimiterHint : 0
; COMPUTE_PGM_RSRC2:SCRATCH_EN: 0
; COMPUTE_PGM_RSRC2:USER_SGPR: 6
; COMPUTE_PGM_RSRC2:TRAP_HANDLER: 0
; COMPUTE_PGM_RSRC2:TGID_X_EN: 1
; COMPUTE_PGM_RSRC2:TGID_Y_EN: 0
; COMPUTE_PGM_RSRC2:TGID_Z_EN: 0
; COMPUTE_PGM_RSRC2:TIDIG_COMP_CNT: 0
	.section	.text._ZN7rocprim17ROCPRIM_400000_NS6detail17trampoline_kernelINS0_14default_configENS1_38merge_sort_block_merge_config_selectorIxNS0_10empty_typeEEEZZNS1_27merge_sort_block_merge_implIS3_N6thrust23THRUST_200600_302600_NS6detail15normal_iteratorINS9_10device_ptrIxEEEEPS5_m9comp_mod3IxEEE10hipError_tT0_T1_T2_jT3_P12ihipStream_tbPNSt15iterator_traitsISJ_E10value_typeEPNSP_ISK_E10value_typeEPSL_NS1_7vsmem_tEENKUlT_SJ_SK_SL_E_clISE_PxSF_SF_EESI_SY_SJ_SK_SL_EUlSY_E_NS1_11comp_targetILNS1_3genE10ELNS1_11target_archE1201ELNS1_3gpuE5ELNS1_3repE0EEENS1_48merge_mergepath_partition_config_static_selectorELNS0_4arch9wavefront6targetE0EEEvSK_,"axG",@progbits,_ZN7rocprim17ROCPRIM_400000_NS6detail17trampoline_kernelINS0_14default_configENS1_38merge_sort_block_merge_config_selectorIxNS0_10empty_typeEEEZZNS1_27merge_sort_block_merge_implIS3_N6thrust23THRUST_200600_302600_NS6detail15normal_iteratorINS9_10device_ptrIxEEEEPS5_m9comp_mod3IxEEE10hipError_tT0_T1_T2_jT3_P12ihipStream_tbPNSt15iterator_traitsISJ_E10value_typeEPNSP_ISK_E10value_typeEPSL_NS1_7vsmem_tEENKUlT_SJ_SK_SL_E_clISE_PxSF_SF_EESI_SY_SJ_SK_SL_EUlSY_E_NS1_11comp_targetILNS1_3genE10ELNS1_11target_archE1201ELNS1_3gpuE5ELNS1_3repE0EEENS1_48merge_mergepath_partition_config_static_selectorELNS0_4arch9wavefront6targetE0EEEvSK_,comdat
	.protected	_ZN7rocprim17ROCPRIM_400000_NS6detail17trampoline_kernelINS0_14default_configENS1_38merge_sort_block_merge_config_selectorIxNS0_10empty_typeEEEZZNS1_27merge_sort_block_merge_implIS3_N6thrust23THRUST_200600_302600_NS6detail15normal_iteratorINS9_10device_ptrIxEEEEPS5_m9comp_mod3IxEEE10hipError_tT0_T1_T2_jT3_P12ihipStream_tbPNSt15iterator_traitsISJ_E10value_typeEPNSP_ISK_E10value_typeEPSL_NS1_7vsmem_tEENKUlT_SJ_SK_SL_E_clISE_PxSF_SF_EESI_SY_SJ_SK_SL_EUlSY_E_NS1_11comp_targetILNS1_3genE10ELNS1_11target_archE1201ELNS1_3gpuE5ELNS1_3repE0EEENS1_48merge_mergepath_partition_config_static_selectorELNS0_4arch9wavefront6targetE0EEEvSK_ ; -- Begin function _ZN7rocprim17ROCPRIM_400000_NS6detail17trampoline_kernelINS0_14default_configENS1_38merge_sort_block_merge_config_selectorIxNS0_10empty_typeEEEZZNS1_27merge_sort_block_merge_implIS3_N6thrust23THRUST_200600_302600_NS6detail15normal_iteratorINS9_10device_ptrIxEEEEPS5_m9comp_mod3IxEEE10hipError_tT0_T1_T2_jT3_P12ihipStream_tbPNSt15iterator_traitsISJ_E10value_typeEPNSP_ISK_E10value_typeEPSL_NS1_7vsmem_tEENKUlT_SJ_SK_SL_E_clISE_PxSF_SF_EESI_SY_SJ_SK_SL_EUlSY_E_NS1_11comp_targetILNS1_3genE10ELNS1_11target_archE1201ELNS1_3gpuE5ELNS1_3repE0EEENS1_48merge_mergepath_partition_config_static_selectorELNS0_4arch9wavefront6targetE0EEEvSK_
	.globl	_ZN7rocprim17ROCPRIM_400000_NS6detail17trampoline_kernelINS0_14default_configENS1_38merge_sort_block_merge_config_selectorIxNS0_10empty_typeEEEZZNS1_27merge_sort_block_merge_implIS3_N6thrust23THRUST_200600_302600_NS6detail15normal_iteratorINS9_10device_ptrIxEEEEPS5_m9comp_mod3IxEEE10hipError_tT0_T1_T2_jT3_P12ihipStream_tbPNSt15iterator_traitsISJ_E10value_typeEPNSP_ISK_E10value_typeEPSL_NS1_7vsmem_tEENKUlT_SJ_SK_SL_E_clISE_PxSF_SF_EESI_SY_SJ_SK_SL_EUlSY_E_NS1_11comp_targetILNS1_3genE10ELNS1_11target_archE1201ELNS1_3gpuE5ELNS1_3repE0EEENS1_48merge_mergepath_partition_config_static_selectorELNS0_4arch9wavefront6targetE0EEEvSK_
	.p2align	8
	.type	_ZN7rocprim17ROCPRIM_400000_NS6detail17trampoline_kernelINS0_14default_configENS1_38merge_sort_block_merge_config_selectorIxNS0_10empty_typeEEEZZNS1_27merge_sort_block_merge_implIS3_N6thrust23THRUST_200600_302600_NS6detail15normal_iteratorINS9_10device_ptrIxEEEEPS5_m9comp_mod3IxEEE10hipError_tT0_T1_T2_jT3_P12ihipStream_tbPNSt15iterator_traitsISJ_E10value_typeEPNSP_ISK_E10value_typeEPSL_NS1_7vsmem_tEENKUlT_SJ_SK_SL_E_clISE_PxSF_SF_EESI_SY_SJ_SK_SL_EUlSY_E_NS1_11comp_targetILNS1_3genE10ELNS1_11target_archE1201ELNS1_3gpuE5ELNS1_3repE0EEENS1_48merge_mergepath_partition_config_static_selectorELNS0_4arch9wavefront6targetE0EEEvSK_,@function
_ZN7rocprim17ROCPRIM_400000_NS6detail17trampoline_kernelINS0_14default_configENS1_38merge_sort_block_merge_config_selectorIxNS0_10empty_typeEEEZZNS1_27merge_sort_block_merge_implIS3_N6thrust23THRUST_200600_302600_NS6detail15normal_iteratorINS9_10device_ptrIxEEEEPS5_m9comp_mod3IxEEE10hipError_tT0_T1_T2_jT3_P12ihipStream_tbPNSt15iterator_traitsISJ_E10value_typeEPNSP_ISK_E10value_typeEPSL_NS1_7vsmem_tEENKUlT_SJ_SK_SL_E_clISE_PxSF_SF_EESI_SY_SJ_SK_SL_EUlSY_E_NS1_11comp_targetILNS1_3genE10ELNS1_11target_archE1201ELNS1_3gpuE5ELNS1_3repE0EEENS1_48merge_mergepath_partition_config_static_selectorELNS0_4arch9wavefront6targetE0EEEvSK_: ; @_ZN7rocprim17ROCPRIM_400000_NS6detail17trampoline_kernelINS0_14default_configENS1_38merge_sort_block_merge_config_selectorIxNS0_10empty_typeEEEZZNS1_27merge_sort_block_merge_implIS3_N6thrust23THRUST_200600_302600_NS6detail15normal_iteratorINS9_10device_ptrIxEEEEPS5_m9comp_mod3IxEEE10hipError_tT0_T1_T2_jT3_P12ihipStream_tbPNSt15iterator_traitsISJ_E10value_typeEPNSP_ISK_E10value_typeEPSL_NS1_7vsmem_tEENKUlT_SJ_SK_SL_E_clISE_PxSF_SF_EESI_SY_SJ_SK_SL_EUlSY_E_NS1_11comp_targetILNS1_3genE10ELNS1_11target_archE1201ELNS1_3gpuE5ELNS1_3repE0EEENS1_48merge_mergepath_partition_config_static_selectorELNS0_4arch9wavefront6targetE0EEEvSK_
; %bb.0:
	.section	.rodata,"a",@progbits
	.p2align	6, 0x0
	.amdhsa_kernel _ZN7rocprim17ROCPRIM_400000_NS6detail17trampoline_kernelINS0_14default_configENS1_38merge_sort_block_merge_config_selectorIxNS0_10empty_typeEEEZZNS1_27merge_sort_block_merge_implIS3_N6thrust23THRUST_200600_302600_NS6detail15normal_iteratorINS9_10device_ptrIxEEEEPS5_m9comp_mod3IxEEE10hipError_tT0_T1_T2_jT3_P12ihipStream_tbPNSt15iterator_traitsISJ_E10value_typeEPNSP_ISK_E10value_typeEPSL_NS1_7vsmem_tEENKUlT_SJ_SK_SL_E_clISE_PxSF_SF_EESI_SY_SJ_SK_SL_EUlSY_E_NS1_11comp_targetILNS1_3genE10ELNS1_11target_archE1201ELNS1_3gpuE5ELNS1_3repE0EEENS1_48merge_mergepath_partition_config_static_selectorELNS0_4arch9wavefront6targetE0EEEvSK_
		.amdhsa_group_segment_fixed_size 0
		.amdhsa_private_segment_fixed_size 0
		.amdhsa_kernarg_size 48
		.amdhsa_user_sgpr_count 6
		.amdhsa_user_sgpr_private_segment_buffer 1
		.amdhsa_user_sgpr_dispatch_ptr 0
		.amdhsa_user_sgpr_queue_ptr 0
		.amdhsa_user_sgpr_kernarg_segment_ptr 1
		.amdhsa_user_sgpr_dispatch_id 0
		.amdhsa_user_sgpr_flat_scratch_init 0
		.amdhsa_user_sgpr_private_segment_size 0
		.amdhsa_wavefront_size32 1
		.amdhsa_uses_dynamic_stack 0
		.amdhsa_system_sgpr_private_segment_wavefront_offset 0
		.amdhsa_system_sgpr_workgroup_id_x 1
		.amdhsa_system_sgpr_workgroup_id_y 0
		.amdhsa_system_sgpr_workgroup_id_z 0
		.amdhsa_system_sgpr_workgroup_info 0
		.amdhsa_system_vgpr_workitem_id 0
		.amdhsa_next_free_vgpr 1
		.amdhsa_next_free_sgpr 1
		.amdhsa_reserve_vcc 0
		.amdhsa_reserve_flat_scratch 0
		.amdhsa_float_round_mode_32 0
		.amdhsa_float_round_mode_16_64 0
		.amdhsa_float_denorm_mode_32 3
		.amdhsa_float_denorm_mode_16_64 3
		.amdhsa_dx10_clamp 1
		.amdhsa_ieee_mode 1
		.amdhsa_fp16_overflow 0
		.amdhsa_workgroup_processor_mode 1
		.amdhsa_memory_ordered 1
		.amdhsa_forward_progress 1
		.amdhsa_shared_vgpr_count 0
		.amdhsa_exception_fp_ieee_invalid_op 0
		.amdhsa_exception_fp_denorm_src 0
		.amdhsa_exception_fp_ieee_div_zero 0
		.amdhsa_exception_fp_ieee_overflow 0
		.amdhsa_exception_fp_ieee_underflow 0
		.amdhsa_exception_fp_ieee_inexact 0
		.amdhsa_exception_int_div_zero 0
	.end_amdhsa_kernel
	.section	.text._ZN7rocprim17ROCPRIM_400000_NS6detail17trampoline_kernelINS0_14default_configENS1_38merge_sort_block_merge_config_selectorIxNS0_10empty_typeEEEZZNS1_27merge_sort_block_merge_implIS3_N6thrust23THRUST_200600_302600_NS6detail15normal_iteratorINS9_10device_ptrIxEEEEPS5_m9comp_mod3IxEEE10hipError_tT0_T1_T2_jT3_P12ihipStream_tbPNSt15iterator_traitsISJ_E10value_typeEPNSP_ISK_E10value_typeEPSL_NS1_7vsmem_tEENKUlT_SJ_SK_SL_E_clISE_PxSF_SF_EESI_SY_SJ_SK_SL_EUlSY_E_NS1_11comp_targetILNS1_3genE10ELNS1_11target_archE1201ELNS1_3gpuE5ELNS1_3repE0EEENS1_48merge_mergepath_partition_config_static_selectorELNS0_4arch9wavefront6targetE0EEEvSK_,"axG",@progbits,_ZN7rocprim17ROCPRIM_400000_NS6detail17trampoline_kernelINS0_14default_configENS1_38merge_sort_block_merge_config_selectorIxNS0_10empty_typeEEEZZNS1_27merge_sort_block_merge_implIS3_N6thrust23THRUST_200600_302600_NS6detail15normal_iteratorINS9_10device_ptrIxEEEEPS5_m9comp_mod3IxEEE10hipError_tT0_T1_T2_jT3_P12ihipStream_tbPNSt15iterator_traitsISJ_E10value_typeEPNSP_ISK_E10value_typeEPSL_NS1_7vsmem_tEENKUlT_SJ_SK_SL_E_clISE_PxSF_SF_EESI_SY_SJ_SK_SL_EUlSY_E_NS1_11comp_targetILNS1_3genE10ELNS1_11target_archE1201ELNS1_3gpuE5ELNS1_3repE0EEENS1_48merge_mergepath_partition_config_static_selectorELNS0_4arch9wavefront6targetE0EEEvSK_,comdat
.Lfunc_end956:
	.size	_ZN7rocprim17ROCPRIM_400000_NS6detail17trampoline_kernelINS0_14default_configENS1_38merge_sort_block_merge_config_selectorIxNS0_10empty_typeEEEZZNS1_27merge_sort_block_merge_implIS3_N6thrust23THRUST_200600_302600_NS6detail15normal_iteratorINS9_10device_ptrIxEEEEPS5_m9comp_mod3IxEEE10hipError_tT0_T1_T2_jT3_P12ihipStream_tbPNSt15iterator_traitsISJ_E10value_typeEPNSP_ISK_E10value_typeEPSL_NS1_7vsmem_tEENKUlT_SJ_SK_SL_E_clISE_PxSF_SF_EESI_SY_SJ_SK_SL_EUlSY_E_NS1_11comp_targetILNS1_3genE10ELNS1_11target_archE1201ELNS1_3gpuE5ELNS1_3repE0EEENS1_48merge_mergepath_partition_config_static_selectorELNS0_4arch9wavefront6targetE0EEEvSK_, .Lfunc_end956-_ZN7rocprim17ROCPRIM_400000_NS6detail17trampoline_kernelINS0_14default_configENS1_38merge_sort_block_merge_config_selectorIxNS0_10empty_typeEEEZZNS1_27merge_sort_block_merge_implIS3_N6thrust23THRUST_200600_302600_NS6detail15normal_iteratorINS9_10device_ptrIxEEEEPS5_m9comp_mod3IxEEE10hipError_tT0_T1_T2_jT3_P12ihipStream_tbPNSt15iterator_traitsISJ_E10value_typeEPNSP_ISK_E10value_typeEPSL_NS1_7vsmem_tEENKUlT_SJ_SK_SL_E_clISE_PxSF_SF_EESI_SY_SJ_SK_SL_EUlSY_E_NS1_11comp_targetILNS1_3genE10ELNS1_11target_archE1201ELNS1_3gpuE5ELNS1_3repE0EEENS1_48merge_mergepath_partition_config_static_selectorELNS0_4arch9wavefront6targetE0EEEvSK_
                                        ; -- End function
	.set _ZN7rocprim17ROCPRIM_400000_NS6detail17trampoline_kernelINS0_14default_configENS1_38merge_sort_block_merge_config_selectorIxNS0_10empty_typeEEEZZNS1_27merge_sort_block_merge_implIS3_N6thrust23THRUST_200600_302600_NS6detail15normal_iteratorINS9_10device_ptrIxEEEEPS5_m9comp_mod3IxEEE10hipError_tT0_T1_T2_jT3_P12ihipStream_tbPNSt15iterator_traitsISJ_E10value_typeEPNSP_ISK_E10value_typeEPSL_NS1_7vsmem_tEENKUlT_SJ_SK_SL_E_clISE_PxSF_SF_EESI_SY_SJ_SK_SL_EUlSY_E_NS1_11comp_targetILNS1_3genE10ELNS1_11target_archE1201ELNS1_3gpuE5ELNS1_3repE0EEENS1_48merge_mergepath_partition_config_static_selectorELNS0_4arch9wavefront6targetE0EEEvSK_.num_vgpr, 0
	.set _ZN7rocprim17ROCPRIM_400000_NS6detail17trampoline_kernelINS0_14default_configENS1_38merge_sort_block_merge_config_selectorIxNS0_10empty_typeEEEZZNS1_27merge_sort_block_merge_implIS3_N6thrust23THRUST_200600_302600_NS6detail15normal_iteratorINS9_10device_ptrIxEEEEPS5_m9comp_mod3IxEEE10hipError_tT0_T1_T2_jT3_P12ihipStream_tbPNSt15iterator_traitsISJ_E10value_typeEPNSP_ISK_E10value_typeEPSL_NS1_7vsmem_tEENKUlT_SJ_SK_SL_E_clISE_PxSF_SF_EESI_SY_SJ_SK_SL_EUlSY_E_NS1_11comp_targetILNS1_3genE10ELNS1_11target_archE1201ELNS1_3gpuE5ELNS1_3repE0EEENS1_48merge_mergepath_partition_config_static_selectorELNS0_4arch9wavefront6targetE0EEEvSK_.num_agpr, 0
	.set _ZN7rocprim17ROCPRIM_400000_NS6detail17trampoline_kernelINS0_14default_configENS1_38merge_sort_block_merge_config_selectorIxNS0_10empty_typeEEEZZNS1_27merge_sort_block_merge_implIS3_N6thrust23THRUST_200600_302600_NS6detail15normal_iteratorINS9_10device_ptrIxEEEEPS5_m9comp_mod3IxEEE10hipError_tT0_T1_T2_jT3_P12ihipStream_tbPNSt15iterator_traitsISJ_E10value_typeEPNSP_ISK_E10value_typeEPSL_NS1_7vsmem_tEENKUlT_SJ_SK_SL_E_clISE_PxSF_SF_EESI_SY_SJ_SK_SL_EUlSY_E_NS1_11comp_targetILNS1_3genE10ELNS1_11target_archE1201ELNS1_3gpuE5ELNS1_3repE0EEENS1_48merge_mergepath_partition_config_static_selectorELNS0_4arch9wavefront6targetE0EEEvSK_.numbered_sgpr, 0
	.set _ZN7rocprim17ROCPRIM_400000_NS6detail17trampoline_kernelINS0_14default_configENS1_38merge_sort_block_merge_config_selectorIxNS0_10empty_typeEEEZZNS1_27merge_sort_block_merge_implIS3_N6thrust23THRUST_200600_302600_NS6detail15normal_iteratorINS9_10device_ptrIxEEEEPS5_m9comp_mod3IxEEE10hipError_tT0_T1_T2_jT3_P12ihipStream_tbPNSt15iterator_traitsISJ_E10value_typeEPNSP_ISK_E10value_typeEPSL_NS1_7vsmem_tEENKUlT_SJ_SK_SL_E_clISE_PxSF_SF_EESI_SY_SJ_SK_SL_EUlSY_E_NS1_11comp_targetILNS1_3genE10ELNS1_11target_archE1201ELNS1_3gpuE5ELNS1_3repE0EEENS1_48merge_mergepath_partition_config_static_selectorELNS0_4arch9wavefront6targetE0EEEvSK_.num_named_barrier, 0
	.set _ZN7rocprim17ROCPRIM_400000_NS6detail17trampoline_kernelINS0_14default_configENS1_38merge_sort_block_merge_config_selectorIxNS0_10empty_typeEEEZZNS1_27merge_sort_block_merge_implIS3_N6thrust23THRUST_200600_302600_NS6detail15normal_iteratorINS9_10device_ptrIxEEEEPS5_m9comp_mod3IxEEE10hipError_tT0_T1_T2_jT3_P12ihipStream_tbPNSt15iterator_traitsISJ_E10value_typeEPNSP_ISK_E10value_typeEPSL_NS1_7vsmem_tEENKUlT_SJ_SK_SL_E_clISE_PxSF_SF_EESI_SY_SJ_SK_SL_EUlSY_E_NS1_11comp_targetILNS1_3genE10ELNS1_11target_archE1201ELNS1_3gpuE5ELNS1_3repE0EEENS1_48merge_mergepath_partition_config_static_selectorELNS0_4arch9wavefront6targetE0EEEvSK_.private_seg_size, 0
	.set _ZN7rocprim17ROCPRIM_400000_NS6detail17trampoline_kernelINS0_14default_configENS1_38merge_sort_block_merge_config_selectorIxNS0_10empty_typeEEEZZNS1_27merge_sort_block_merge_implIS3_N6thrust23THRUST_200600_302600_NS6detail15normal_iteratorINS9_10device_ptrIxEEEEPS5_m9comp_mod3IxEEE10hipError_tT0_T1_T2_jT3_P12ihipStream_tbPNSt15iterator_traitsISJ_E10value_typeEPNSP_ISK_E10value_typeEPSL_NS1_7vsmem_tEENKUlT_SJ_SK_SL_E_clISE_PxSF_SF_EESI_SY_SJ_SK_SL_EUlSY_E_NS1_11comp_targetILNS1_3genE10ELNS1_11target_archE1201ELNS1_3gpuE5ELNS1_3repE0EEENS1_48merge_mergepath_partition_config_static_selectorELNS0_4arch9wavefront6targetE0EEEvSK_.uses_vcc, 0
	.set _ZN7rocprim17ROCPRIM_400000_NS6detail17trampoline_kernelINS0_14default_configENS1_38merge_sort_block_merge_config_selectorIxNS0_10empty_typeEEEZZNS1_27merge_sort_block_merge_implIS3_N6thrust23THRUST_200600_302600_NS6detail15normal_iteratorINS9_10device_ptrIxEEEEPS5_m9comp_mod3IxEEE10hipError_tT0_T1_T2_jT3_P12ihipStream_tbPNSt15iterator_traitsISJ_E10value_typeEPNSP_ISK_E10value_typeEPSL_NS1_7vsmem_tEENKUlT_SJ_SK_SL_E_clISE_PxSF_SF_EESI_SY_SJ_SK_SL_EUlSY_E_NS1_11comp_targetILNS1_3genE10ELNS1_11target_archE1201ELNS1_3gpuE5ELNS1_3repE0EEENS1_48merge_mergepath_partition_config_static_selectorELNS0_4arch9wavefront6targetE0EEEvSK_.uses_flat_scratch, 0
	.set _ZN7rocprim17ROCPRIM_400000_NS6detail17trampoline_kernelINS0_14default_configENS1_38merge_sort_block_merge_config_selectorIxNS0_10empty_typeEEEZZNS1_27merge_sort_block_merge_implIS3_N6thrust23THRUST_200600_302600_NS6detail15normal_iteratorINS9_10device_ptrIxEEEEPS5_m9comp_mod3IxEEE10hipError_tT0_T1_T2_jT3_P12ihipStream_tbPNSt15iterator_traitsISJ_E10value_typeEPNSP_ISK_E10value_typeEPSL_NS1_7vsmem_tEENKUlT_SJ_SK_SL_E_clISE_PxSF_SF_EESI_SY_SJ_SK_SL_EUlSY_E_NS1_11comp_targetILNS1_3genE10ELNS1_11target_archE1201ELNS1_3gpuE5ELNS1_3repE0EEENS1_48merge_mergepath_partition_config_static_selectorELNS0_4arch9wavefront6targetE0EEEvSK_.has_dyn_sized_stack, 0
	.set _ZN7rocprim17ROCPRIM_400000_NS6detail17trampoline_kernelINS0_14default_configENS1_38merge_sort_block_merge_config_selectorIxNS0_10empty_typeEEEZZNS1_27merge_sort_block_merge_implIS3_N6thrust23THRUST_200600_302600_NS6detail15normal_iteratorINS9_10device_ptrIxEEEEPS5_m9comp_mod3IxEEE10hipError_tT0_T1_T2_jT3_P12ihipStream_tbPNSt15iterator_traitsISJ_E10value_typeEPNSP_ISK_E10value_typeEPSL_NS1_7vsmem_tEENKUlT_SJ_SK_SL_E_clISE_PxSF_SF_EESI_SY_SJ_SK_SL_EUlSY_E_NS1_11comp_targetILNS1_3genE10ELNS1_11target_archE1201ELNS1_3gpuE5ELNS1_3repE0EEENS1_48merge_mergepath_partition_config_static_selectorELNS0_4arch9wavefront6targetE0EEEvSK_.has_recursion, 0
	.set _ZN7rocprim17ROCPRIM_400000_NS6detail17trampoline_kernelINS0_14default_configENS1_38merge_sort_block_merge_config_selectorIxNS0_10empty_typeEEEZZNS1_27merge_sort_block_merge_implIS3_N6thrust23THRUST_200600_302600_NS6detail15normal_iteratorINS9_10device_ptrIxEEEEPS5_m9comp_mod3IxEEE10hipError_tT0_T1_T2_jT3_P12ihipStream_tbPNSt15iterator_traitsISJ_E10value_typeEPNSP_ISK_E10value_typeEPSL_NS1_7vsmem_tEENKUlT_SJ_SK_SL_E_clISE_PxSF_SF_EESI_SY_SJ_SK_SL_EUlSY_E_NS1_11comp_targetILNS1_3genE10ELNS1_11target_archE1201ELNS1_3gpuE5ELNS1_3repE0EEENS1_48merge_mergepath_partition_config_static_selectorELNS0_4arch9wavefront6targetE0EEEvSK_.has_indirect_call, 0
	.section	.AMDGPU.csdata,"",@progbits
; Kernel info:
; codeLenInByte = 0
; TotalNumSgprs: 0
; NumVgprs: 0
; ScratchSize: 0
; MemoryBound: 0
; FloatMode: 240
; IeeeMode: 1
; LDSByteSize: 0 bytes/workgroup (compile time only)
; SGPRBlocks: 0
; VGPRBlocks: 0
; NumSGPRsForWavesPerEU: 1
; NumVGPRsForWavesPerEU: 1
; Occupancy: 16
; WaveLimiterHint : 0
; COMPUTE_PGM_RSRC2:SCRATCH_EN: 0
; COMPUTE_PGM_RSRC2:USER_SGPR: 6
; COMPUTE_PGM_RSRC2:TRAP_HANDLER: 0
; COMPUTE_PGM_RSRC2:TGID_X_EN: 1
; COMPUTE_PGM_RSRC2:TGID_Y_EN: 0
; COMPUTE_PGM_RSRC2:TGID_Z_EN: 0
; COMPUTE_PGM_RSRC2:TIDIG_COMP_CNT: 0
	.section	.text._ZN7rocprim17ROCPRIM_400000_NS6detail17trampoline_kernelINS0_14default_configENS1_38merge_sort_block_merge_config_selectorIxNS0_10empty_typeEEEZZNS1_27merge_sort_block_merge_implIS3_N6thrust23THRUST_200600_302600_NS6detail15normal_iteratorINS9_10device_ptrIxEEEEPS5_m9comp_mod3IxEEE10hipError_tT0_T1_T2_jT3_P12ihipStream_tbPNSt15iterator_traitsISJ_E10value_typeEPNSP_ISK_E10value_typeEPSL_NS1_7vsmem_tEENKUlT_SJ_SK_SL_E_clISE_PxSF_SF_EESI_SY_SJ_SK_SL_EUlSY_E_NS1_11comp_targetILNS1_3genE5ELNS1_11target_archE942ELNS1_3gpuE9ELNS1_3repE0EEENS1_48merge_mergepath_partition_config_static_selectorELNS0_4arch9wavefront6targetE0EEEvSK_,"axG",@progbits,_ZN7rocprim17ROCPRIM_400000_NS6detail17trampoline_kernelINS0_14default_configENS1_38merge_sort_block_merge_config_selectorIxNS0_10empty_typeEEEZZNS1_27merge_sort_block_merge_implIS3_N6thrust23THRUST_200600_302600_NS6detail15normal_iteratorINS9_10device_ptrIxEEEEPS5_m9comp_mod3IxEEE10hipError_tT0_T1_T2_jT3_P12ihipStream_tbPNSt15iterator_traitsISJ_E10value_typeEPNSP_ISK_E10value_typeEPSL_NS1_7vsmem_tEENKUlT_SJ_SK_SL_E_clISE_PxSF_SF_EESI_SY_SJ_SK_SL_EUlSY_E_NS1_11comp_targetILNS1_3genE5ELNS1_11target_archE942ELNS1_3gpuE9ELNS1_3repE0EEENS1_48merge_mergepath_partition_config_static_selectorELNS0_4arch9wavefront6targetE0EEEvSK_,comdat
	.protected	_ZN7rocprim17ROCPRIM_400000_NS6detail17trampoline_kernelINS0_14default_configENS1_38merge_sort_block_merge_config_selectorIxNS0_10empty_typeEEEZZNS1_27merge_sort_block_merge_implIS3_N6thrust23THRUST_200600_302600_NS6detail15normal_iteratorINS9_10device_ptrIxEEEEPS5_m9comp_mod3IxEEE10hipError_tT0_T1_T2_jT3_P12ihipStream_tbPNSt15iterator_traitsISJ_E10value_typeEPNSP_ISK_E10value_typeEPSL_NS1_7vsmem_tEENKUlT_SJ_SK_SL_E_clISE_PxSF_SF_EESI_SY_SJ_SK_SL_EUlSY_E_NS1_11comp_targetILNS1_3genE5ELNS1_11target_archE942ELNS1_3gpuE9ELNS1_3repE0EEENS1_48merge_mergepath_partition_config_static_selectorELNS0_4arch9wavefront6targetE0EEEvSK_ ; -- Begin function _ZN7rocprim17ROCPRIM_400000_NS6detail17trampoline_kernelINS0_14default_configENS1_38merge_sort_block_merge_config_selectorIxNS0_10empty_typeEEEZZNS1_27merge_sort_block_merge_implIS3_N6thrust23THRUST_200600_302600_NS6detail15normal_iteratorINS9_10device_ptrIxEEEEPS5_m9comp_mod3IxEEE10hipError_tT0_T1_T2_jT3_P12ihipStream_tbPNSt15iterator_traitsISJ_E10value_typeEPNSP_ISK_E10value_typeEPSL_NS1_7vsmem_tEENKUlT_SJ_SK_SL_E_clISE_PxSF_SF_EESI_SY_SJ_SK_SL_EUlSY_E_NS1_11comp_targetILNS1_3genE5ELNS1_11target_archE942ELNS1_3gpuE9ELNS1_3repE0EEENS1_48merge_mergepath_partition_config_static_selectorELNS0_4arch9wavefront6targetE0EEEvSK_
	.globl	_ZN7rocprim17ROCPRIM_400000_NS6detail17trampoline_kernelINS0_14default_configENS1_38merge_sort_block_merge_config_selectorIxNS0_10empty_typeEEEZZNS1_27merge_sort_block_merge_implIS3_N6thrust23THRUST_200600_302600_NS6detail15normal_iteratorINS9_10device_ptrIxEEEEPS5_m9comp_mod3IxEEE10hipError_tT0_T1_T2_jT3_P12ihipStream_tbPNSt15iterator_traitsISJ_E10value_typeEPNSP_ISK_E10value_typeEPSL_NS1_7vsmem_tEENKUlT_SJ_SK_SL_E_clISE_PxSF_SF_EESI_SY_SJ_SK_SL_EUlSY_E_NS1_11comp_targetILNS1_3genE5ELNS1_11target_archE942ELNS1_3gpuE9ELNS1_3repE0EEENS1_48merge_mergepath_partition_config_static_selectorELNS0_4arch9wavefront6targetE0EEEvSK_
	.p2align	8
	.type	_ZN7rocprim17ROCPRIM_400000_NS6detail17trampoline_kernelINS0_14default_configENS1_38merge_sort_block_merge_config_selectorIxNS0_10empty_typeEEEZZNS1_27merge_sort_block_merge_implIS3_N6thrust23THRUST_200600_302600_NS6detail15normal_iteratorINS9_10device_ptrIxEEEEPS5_m9comp_mod3IxEEE10hipError_tT0_T1_T2_jT3_P12ihipStream_tbPNSt15iterator_traitsISJ_E10value_typeEPNSP_ISK_E10value_typeEPSL_NS1_7vsmem_tEENKUlT_SJ_SK_SL_E_clISE_PxSF_SF_EESI_SY_SJ_SK_SL_EUlSY_E_NS1_11comp_targetILNS1_3genE5ELNS1_11target_archE942ELNS1_3gpuE9ELNS1_3repE0EEENS1_48merge_mergepath_partition_config_static_selectorELNS0_4arch9wavefront6targetE0EEEvSK_,@function
_ZN7rocprim17ROCPRIM_400000_NS6detail17trampoline_kernelINS0_14default_configENS1_38merge_sort_block_merge_config_selectorIxNS0_10empty_typeEEEZZNS1_27merge_sort_block_merge_implIS3_N6thrust23THRUST_200600_302600_NS6detail15normal_iteratorINS9_10device_ptrIxEEEEPS5_m9comp_mod3IxEEE10hipError_tT0_T1_T2_jT3_P12ihipStream_tbPNSt15iterator_traitsISJ_E10value_typeEPNSP_ISK_E10value_typeEPSL_NS1_7vsmem_tEENKUlT_SJ_SK_SL_E_clISE_PxSF_SF_EESI_SY_SJ_SK_SL_EUlSY_E_NS1_11comp_targetILNS1_3genE5ELNS1_11target_archE942ELNS1_3gpuE9ELNS1_3repE0EEENS1_48merge_mergepath_partition_config_static_selectorELNS0_4arch9wavefront6targetE0EEEvSK_: ; @_ZN7rocprim17ROCPRIM_400000_NS6detail17trampoline_kernelINS0_14default_configENS1_38merge_sort_block_merge_config_selectorIxNS0_10empty_typeEEEZZNS1_27merge_sort_block_merge_implIS3_N6thrust23THRUST_200600_302600_NS6detail15normal_iteratorINS9_10device_ptrIxEEEEPS5_m9comp_mod3IxEEE10hipError_tT0_T1_T2_jT3_P12ihipStream_tbPNSt15iterator_traitsISJ_E10value_typeEPNSP_ISK_E10value_typeEPSL_NS1_7vsmem_tEENKUlT_SJ_SK_SL_E_clISE_PxSF_SF_EESI_SY_SJ_SK_SL_EUlSY_E_NS1_11comp_targetILNS1_3genE5ELNS1_11target_archE942ELNS1_3gpuE9ELNS1_3repE0EEENS1_48merge_mergepath_partition_config_static_selectorELNS0_4arch9wavefront6targetE0EEEvSK_
; %bb.0:
	.section	.rodata,"a",@progbits
	.p2align	6, 0x0
	.amdhsa_kernel _ZN7rocprim17ROCPRIM_400000_NS6detail17trampoline_kernelINS0_14default_configENS1_38merge_sort_block_merge_config_selectorIxNS0_10empty_typeEEEZZNS1_27merge_sort_block_merge_implIS3_N6thrust23THRUST_200600_302600_NS6detail15normal_iteratorINS9_10device_ptrIxEEEEPS5_m9comp_mod3IxEEE10hipError_tT0_T1_T2_jT3_P12ihipStream_tbPNSt15iterator_traitsISJ_E10value_typeEPNSP_ISK_E10value_typeEPSL_NS1_7vsmem_tEENKUlT_SJ_SK_SL_E_clISE_PxSF_SF_EESI_SY_SJ_SK_SL_EUlSY_E_NS1_11comp_targetILNS1_3genE5ELNS1_11target_archE942ELNS1_3gpuE9ELNS1_3repE0EEENS1_48merge_mergepath_partition_config_static_selectorELNS0_4arch9wavefront6targetE0EEEvSK_
		.amdhsa_group_segment_fixed_size 0
		.amdhsa_private_segment_fixed_size 0
		.amdhsa_kernarg_size 48
		.amdhsa_user_sgpr_count 6
		.amdhsa_user_sgpr_private_segment_buffer 1
		.amdhsa_user_sgpr_dispatch_ptr 0
		.amdhsa_user_sgpr_queue_ptr 0
		.amdhsa_user_sgpr_kernarg_segment_ptr 1
		.amdhsa_user_sgpr_dispatch_id 0
		.amdhsa_user_sgpr_flat_scratch_init 0
		.amdhsa_user_sgpr_private_segment_size 0
		.amdhsa_wavefront_size32 1
		.amdhsa_uses_dynamic_stack 0
		.amdhsa_system_sgpr_private_segment_wavefront_offset 0
		.amdhsa_system_sgpr_workgroup_id_x 1
		.amdhsa_system_sgpr_workgroup_id_y 0
		.amdhsa_system_sgpr_workgroup_id_z 0
		.amdhsa_system_sgpr_workgroup_info 0
		.amdhsa_system_vgpr_workitem_id 0
		.amdhsa_next_free_vgpr 1
		.amdhsa_next_free_sgpr 1
		.amdhsa_reserve_vcc 0
		.amdhsa_reserve_flat_scratch 0
		.amdhsa_float_round_mode_32 0
		.amdhsa_float_round_mode_16_64 0
		.amdhsa_float_denorm_mode_32 3
		.amdhsa_float_denorm_mode_16_64 3
		.amdhsa_dx10_clamp 1
		.amdhsa_ieee_mode 1
		.amdhsa_fp16_overflow 0
		.amdhsa_workgroup_processor_mode 1
		.amdhsa_memory_ordered 1
		.amdhsa_forward_progress 1
		.amdhsa_shared_vgpr_count 0
		.amdhsa_exception_fp_ieee_invalid_op 0
		.amdhsa_exception_fp_denorm_src 0
		.amdhsa_exception_fp_ieee_div_zero 0
		.amdhsa_exception_fp_ieee_overflow 0
		.amdhsa_exception_fp_ieee_underflow 0
		.amdhsa_exception_fp_ieee_inexact 0
		.amdhsa_exception_int_div_zero 0
	.end_amdhsa_kernel
	.section	.text._ZN7rocprim17ROCPRIM_400000_NS6detail17trampoline_kernelINS0_14default_configENS1_38merge_sort_block_merge_config_selectorIxNS0_10empty_typeEEEZZNS1_27merge_sort_block_merge_implIS3_N6thrust23THRUST_200600_302600_NS6detail15normal_iteratorINS9_10device_ptrIxEEEEPS5_m9comp_mod3IxEEE10hipError_tT0_T1_T2_jT3_P12ihipStream_tbPNSt15iterator_traitsISJ_E10value_typeEPNSP_ISK_E10value_typeEPSL_NS1_7vsmem_tEENKUlT_SJ_SK_SL_E_clISE_PxSF_SF_EESI_SY_SJ_SK_SL_EUlSY_E_NS1_11comp_targetILNS1_3genE5ELNS1_11target_archE942ELNS1_3gpuE9ELNS1_3repE0EEENS1_48merge_mergepath_partition_config_static_selectorELNS0_4arch9wavefront6targetE0EEEvSK_,"axG",@progbits,_ZN7rocprim17ROCPRIM_400000_NS6detail17trampoline_kernelINS0_14default_configENS1_38merge_sort_block_merge_config_selectorIxNS0_10empty_typeEEEZZNS1_27merge_sort_block_merge_implIS3_N6thrust23THRUST_200600_302600_NS6detail15normal_iteratorINS9_10device_ptrIxEEEEPS5_m9comp_mod3IxEEE10hipError_tT0_T1_T2_jT3_P12ihipStream_tbPNSt15iterator_traitsISJ_E10value_typeEPNSP_ISK_E10value_typeEPSL_NS1_7vsmem_tEENKUlT_SJ_SK_SL_E_clISE_PxSF_SF_EESI_SY_SJ_SK_SL_EUlSY_E_NS1_11comp_targetILNS1_3genE5ELNS1_11target_archE942ELNS1_3gpuE9ELNS1_3repE0EEENS1_48merge_mergepath_partition_config_static_selectorELNS0_4arch9wavefront6targetE0EEEvSK_,comdat
.Lfunc_end957:
	.size	_ZN7rocprim17ROCPRIM_400000_NS6detail17trampoline_kernelINS0_14default_configENS1_38merge_sort_block_merge_config_selectorIxNS0_10empty_typeEEEZZNS1_27merge_sort_block_merge_implIS3_N6thrust23THRUST_200600_302600_NS6detail15normal_iteratorINS9_10device_ptrIxEEEEPS5_m9comp_mod3IxEEE10hipError_tT0_T1_T2_jT3_P12ihipStream_tbPNSt15iterator_traitsISJ_E10value_typeEPNSP_ISK_E10value_typeEPSL_NS1_7vsmem_tEENKUlT_SJ_SK_SL_E_clISE_PxSF_SF_EESI_SY_SJ_SK_SL_EUlSY_E_NS1_11comp_targetILNS1_3genE5ELNS1_11target_archE942ELNS1_3gpuE9ELNS1_3repE0EEENS1_48merge_mergepath_partition_config_static_selectorELNS0_4arch9wavefront6targetE0EEEvSK_, .Lfunc_end957-_ZN7rocprim17ROCPRIM_400000_NS6detail17trampoline_kernelINS0_14default_configENS1_38merge_sort_block_merge_config_selectorIxNS0_10empty_typeEEEZZNS1_27merge_sort_block_merge_implIS3_N6thrust23THRUST_200600_302600_NS6detail15normal_iteratorINS9_10device_ptrIxEEEEPS5_m9comp_mod3IxEEE10hipError_tT0_T1_T2_jT3_P12ihipStream_tbPNSt15iterator_traitsISJ_E10value_typeEPNSP_ISK_E10value_typeEPSL_NS1_7vsmem_tEENKUlT_SJ_SK_SL_E_clISE_PxSF_SF_EESI_SY_SJ_SK_SL_EUlSY_E_NS1_11comp_targetILNS1_3genE5ELNS1_11target_archE942ELNS1_3gpuE9ELNS1_3repE0EEENS1_48merge_mergepath_partition_config_static_selectorELNS0_4arch9wavefront6targetE0EEEvSK_
                                        ; -- End function
	.set _ZN7rocprim17ROCPRIM_400000_NS6detail17trampoline_kernelINS0_14default_configENS1_38merge_sort_block_merge_config_selectorIxNS0_10empty_typeEEEZZNS1_27merge_sort_block_merge_implIS3_N6thrust23THRUST_200600_302600_NS6detail15normal_iteratorINS9_10device_ptrIxEEEEPS5_m9comp_mod3IxEEE10hipError_tT0_T1_T2_jT3_P12ihipStream_tbPNSt15iterator_traitsISJ_E10value_typeEPNSP_ISK_E10value_typeEPSL_NS1_7vsmem_tEENKUlT_SJ_SK_SL_E_clISE_PxSF_SF_EESI_SY_SJ_SK_SL_EUlSY_E_NS1_11comp_targetILNS1_3genE5ELNS1_11target_archE942ELNS1_3gpuE9ELNS1_3repE0EEENS1_48merge_mergepath_partition_config_static_selectorELNS0_4arch9wavefront6targetE0EEEvSK_.num_vgpr, 0
	.set _ZN7rocprim17ROCPRIM_400000_NS6detail17trampoline_kernelINS0_14default_configENS1_38merge_sort_block_merge_config_selectorIxNS0_10empty_typeEEEZZNS1_27merge_sort_block_merge_implIS3_N6thrust23THRUST_200600_302600_NS6detail15normal_iteratorINS9_10device_ptrIxEEEEPS5_m9comp_mod3IxEEE10hipError_tT0_T1_T2_jT3_P12ihipStream_tbPNSt15iterator_traitsISJ_E10value_typeEPNSP_ISK_E10value_typeEPSL_NS1_7vsmem_tEENKUlT_SJ_SK_SL_E_clISE_PxSF_SF_EESI_SY_SJ_SK_SL_EUlSY_E_NS1_11comp_targetILNS1_3genE5ELNS1_11target_archE942ELNS1_3gpuE9ELNS1_3repE0EEENS1_48merge_mergepath_partition_config_static_selectorELNS0_4arch9wavefront6targetE0EEEvSK_.num_agpr, 0
	.set _ZN7rocprim17ROCPRIM_400000_NS6detail17trampoline_kernelINS0_14default_configENS1_38merge_sort_block_merge_config_selectorIxNS0_10empty_typeEEEZZNS1_27merge_sort_block_merge_implIS3_N6thrust23THRUST_200600_302600_NS6detail15normal_iteratorINS9_10device_ptrIxEEEEPS5_m9comp_mod3IxEEE10hipError_tT0_T1_T2_jT3_P12ihipStream_tbPNSt15iterator_traitsISJ_E10value_typeEPNSP_ISK_E10value_typeEPSL_NS1_7vsmem_tEENKUlT_SJ_SK_SL_E_clISE_PxSF_SF_EESI_SY_SJ_SK_SL_EUlSY_E_NS1_11comp_targetILNS1_3genE5ELNS1_11target_archE942ELNS1_3gpuE9ELNS1_3repE0EEENS1_48merge_mergepath_partition_config_static_selectorELNS0_4arch9wavefront6targetE0EEEvSK_.numbered_sgpr, 0
	.set _ZN7rocprim17ROCPRIM_400000_NS6detail17trampoline_kernelINS0_14default_configENS1_38merge_sort_block_merge_config_selectorIxNS0_10empty_typeEEEZZNS1_27merge_sort_block_merge_implIS3_N6thrust23THRUST_200600_302600_NS6detail15normal_iteratorINS9_10device_ptrIxEEEEPS5_m9comp_mod3IxEEE10hipError_tT0_T1_T2_jT3_P12ihipStream_tbPNSt15iterator_traitsISJ_E10value_typeEPNSP_ISK_E10value_typeEPSL_NS1_7vsmem_tEENKUlT_SJ_SK_SL_E_clISE_PxSF_SF_EESI_SY_SJ_SK_SL_EUlSY_E_NS1_11comp_targetILNS1_3genE5ELNS1_11target_archE942ELNS1_3gpuE9ELNS1_3repE0EEENS1_48merge_mergepath_partition_config_static_selectorELNS0_4arch9wavefront6targetE0EEEvSK_.num_named_barrier, 0
	.set _ZN7rocprim17ROCPRIM_400000_NS6detail17trampoline_kernelINS0_14default_configENS1_38merge_sort_block_merge_config_selectorIxNS0_10empty_typeEEEZZNS1_27merge_sort_block_merge_implIS3_N6thrust23THRUST_200600_302600_NS6detail15normal_iteratorINS9_10device_ptrIxEEEEPS5_m9comp_mod3IxEEE10hipError_tT0_T1_T2_jT3_P12ihipStream_tbPNSt15iterator_traitsISJ_E10value_typeEPNSP_ISK_E10value_typeEPSL_NS1_7vsmem_tEENKUlT_SJ_SK_SL_E_clISE_PxSF_SF_EESI_SY_SJ_SK_SL_EUlSY_E_NS1_11comp_targetILNS1_3genE5ELNS1_11target_archE942ELNS1_3gpuE9ELNS1_3repE0EEENS1_48merge_mergepath_partition_config_static_selectorELNS0_4arch9wavefront6targetE0EEEvSK_.private_seg_size, 0
	.set _ZN7rocprim17ROCPRIM_400000_NS6detail17trampoline_kernelINS0_14default_configENS1_38merge_sort_block_merge_config_selectorIxNS0_10empty_typeEEEZZNS1_27merge_sort_block_merge_implIS3_N6thrust23THRUST_200600_302600_NS6detail15normal_iteratorINS9_10device_ptrIxEEEEPS5_m9comp_mod3IxEEE10hipError_tT0_T1_T2_jT3_P12ihipStream_tbPNSt15iterator_traitsISJ_E10value_typeEPNSP_ISK_E10value_typeEPSL_NS1_7vsmem_tEENKUlT_SJ_SK_SL_E_clISE_PxSF_SF_EESI_SY_SJ_SK_SL_EUlSY_E_NS1_11comp_targetILNS1_3genE5ELNS1_11target_archE942ELNS1_3gpuE9ELNS1_3repE0EEENS1_48merge_mergepath_partition_config_static_selectorELNS0_4arch9wavefront6targetE0EEEvSK_.uses_vcc, 0
	.set _ZN7rocprim17ROCPRIM_400000_NS6detail17trampoline_kernelINS0_14default_configENS1_38merge_sort_block_merge_config_selectorIxNS0_10empty_typeEEEZZNS1_27merge_sort_block_merge_implIS3_N6thrust23THRUST_200600_302600_NS6detail15normal_iteratorINS9_10device_ptrIxEEEEPS5_m9comp_mod3IxEEE10hipError_tT0_T1_T2_jT3_P12ihipStream_tbPNSt15iterator_traitsISJ_E10value_typeEPNSP_ISK_E10value_typeEPSL_NS1_7vsmem_tEENKUlT_SJ_SK_SL_E_clISE_PxSF_SF_EESI_SY_SJ_SK_SL_EUlSY_E_NS1_11comp_targetILNS1_3genE5ELNS1_11target_archE942ELNS1_3gpuE9ELNS1_3repE0EEENS1_48merge_mergepath_partition_config_static_selectorELNS0_4arch9wavefront6targetE0EEEvSK_.uses_flat_scratch, 0
	.set _ZN7rocprim17ROCPRIM_400000_NS6detail17trampoline_kernelINS0_14default_configENS1_38merge_sort_block_merge_config_selectorIxNS0_10empty_typeEEEZZNS1_27merge_sort_block_merge_implIS3_N6thrust23THRUST_200600_302600_NS6detail15normal_iteratorINS9_10device_ptrIxEEEEPS5_m9comp_mod3IxEEE10hipError_tT0_T1_T2_jT3_P12ihipStream_tbPNSt15iterator_traitsISJ_E10value_typeEPNSP_ISK_E10value_typeEPSL_NS1_7vsmem_tEENKUlT_SJ_SK_SL_E_clISE_PxSF_SF_EESI_SY_SJ_SK_SL_EUlSY_E_NS1_11comp_targetILNS1_3genE5ELNS1_11target_archE942ELNS1_3gpuE9ELNS1_3repE0EEENS1_48merge_mergepath_partition_config_static_selectorELNS0_4arch9wavefront6targetE0EEEvSK_.has_dyn_sized_stack, 0
	.set _ZN7rocprim17ROCPRIM_400000_NS6detail17trampoline_kernelINS0_14default_configENS1_38merge_sort_block_merge_config_selectorIxNS0_10empty_typeEEEZZNS1_27merge_sort_block_merge_implIS3_N6thrust23THRUST_200600_302600_NS6detail15normal_iteratorINS9_10device_ptrIxEEEEPS5_m9comp_mod3IxEEE10hipError_tT0_T1_T2_jT3_P12ihipStream_tbPNSt15iterator_traitsISJ_E10value_typeEPNSP_ISK_E10value_typeEPSL_NS1_7vsmem_tEENKUlT_SJ_SK_SL_E_clISE_PxSF_SF_EESI_SY_SJ_SK_SL_EUlSY_E_NS1_11comp_targetILNS1_3genE5ELNS1_11target_archE942ELNS1_3gpuE9ELNS1_3repE0EEENS1_48merge_mergepath_partition_config_static_selectorELNS0_4arch9wavefront6targetE0EEEvSK_.has_recursion, 0
	.set _ZN7rocprim17ROCPRIM_400000_NS6detail17trampoline_kernelINS0_14default_configENS1_38merge_sort_block_merge_config_selectorIxNS0_10empty_typeEEEZZNS1_27merge_sort_block_merge_implIS3_N6thrust23THRUST_200600_302600_NS6detail15normal_iteratorINS9_10device_ptrIxEEEEPS5_m9comp_mod3IxEEE10hipError_tT0_T1_T2_jT3_P12ihipStream_tbPNSt15iterator_traitsISJ_E10value_typeEPNSP_ISK_E10value_typeEPSL_NS1_7vsmem_tEENKUlT_SJ_SK_SL_E_clISE_PxSF_SF_EESI_SY_SJ_SK_SL_EUlSY_E_NS1_11comp_targetILNS1_3genE5ELNS1_11target_archE942ELNS1_3gpuE9ELNS1_3repE0EEENS1_48merge_mergepath_partition_config_static_selectorELNS0_4arch9wavefront6targetE0EEEvSK_.has_indirect_call, 0
	.section	.AMDGPU.csdata,"",@progbits
; Kernel info:
; codeLenInByte = 0
; TotalNumSgprs: 0
; NumVgprs: 0
; ScratchSize: 0
; MemoryBound: 0
; FloatMode: 240
; IeeeMode: 1
; LDSByteSize: 0 bytes/workgroup (compile time only)
; SGPRBlocks: 0
; VGPRBlocks: 0
; NumSGPRsForWavesPerEU: 1
; NumVGPRsForWavesPerEU: 1
; Occupancy: 16
; WaveLimiterHint : 0
; COMPUTE_PGM_RSRC2:SCRATCH_EN: 0
; COMPUTE_PGM_RSRC2:USER_SGPR: 6
; COMPUTE_PGM_RSRC2:TRAP_HANDLER: 0
; COMPUTE_PGM_RSRC2:TGID_X_EN: 1
; COMPUTE_PGM_RSRC2:TGID_Y_EN: 0
; COMPUTE_PGM_RSRC2:TGID_Z_EN: 0
; COMPUTE_PGM_RSRC2:TIDIG_COMP_CNT: 0
	.section	.text._ZN7rocprim17ROCPRIM_400000_NS6detail17trampoline_kernelINS0_14default_configENS1_38merge_sort_block_merge_config_selectorIxNS0_10empty_typeEEEZZNS1_27merge_sort_block_merge_implIS3_N6thrust23THRUST_200600_302600_NS6detail15normal_iteratorINS9_10device_ptrIxEEEEPS5_m9comp_mod3IxEEE10hipError_tT0_T1_T2_jT3_P12ihipStream_tbPNSt15iterator_traitsISJ_E10value_typeEPNSP_ISK_E10value_typeEPSL_NS1_7vsmem_tEENKUlT_SJ_SK_SL_E_clISE_PxSF_SF_EESI_SY_SJ_SK_SL_EUlSY_E_NS1_11comp_targetILNS1_3genE4ELNS1_11target_archE910ELNS1_3gpuE8ELNS1_3repE0EEENS1_48merge_mergepath_partition_config_static_selectorELNS0_4arch9wavefront6targetE0EEEvSK_,"axG",@progbits,_ZN7rocprim17ROCPRIM_400000_NS6detail17trampoline_kernelINS0_14default_configENS1_38merge_sort_block_merge_config_selectorIxNS0_10empty_typeEEEZZNS1_27merge_sort_block_merge_implIS3_N6thrust23THRUST_200600_302600_NS6detail15normal_iteratorINS9_10device_ptrIxEEEEPS5_m9comp_mod3IxEEE10hipError_tT0_T1_T2_jT3_P12ihipStream_tbPNSt15iterator_traitsISJ_E10value_typeEPNSP_ISK_E10value_typeEPSL_NS1_7vsmem_tEENKUlT_SJ_SK_SL_E_clISE_PxSF_SF_EESI_SY_SJ_SK_SL_EUlSY_E_NS1_11comp_targetILNS1_3genE4ELNS1_11target_archE910ELNS1_3gpuE8ELNS1_3repE0EEENS1_48merge_mergepath_partition_config_static_selectorELNS0_4arch9wavefront6targetE0EEEvSK_,comdat
	.protected	_ZN7rocprim17ROCPRIM_400000_NS6detail17trampoline_kernelINS0_14default_configENS1_38merge_sort_block_merge_config_selectorIxNS0_10empty_typeEEEZZNS1_27merge_sort_block_merge_implIS3_N6thrust23THRUST_200600_302600_NS6detail15normal_iteratorINS9_10device_ptrIxEEEEPS5_m9comp_mod3IxEEE10hipError_tT0_T1_T2_jT3_P12ihipStream_tbPNSt15iterator_traitsISJ_E10value_typeEPNSP_ISK_E10value_typeEPSL_NS1_7vsmem_tEENKUlT_SJ_SK_SL_E_clISE_PxSF_SF_EESI_SY_SJ_SK_SL_EUlSY_E_NS1_11comp_targetILNS1_3genE4ELNS1_11target_archE910ELNS1_3gpuE8ELNS1_3repE0EEENS1_48merge_mergepath_partition_config_static_selectorELNS0_4arch9wavefront6targetE0EEEvSK_ ; -- Begin function _ZN7rocprim17ROCPRIM_400000_NS6detail17trampoline_kernelINS0_14default_configENS1_38merge_sort_block_merge_config_selectorIxNS0_10empty_typeEEEZZNS1_27merge_sort_block_merge_implIS3_N6thrust23THRUST_200600_302600_NS6detail15normal_iteratorINS9_10device_ptrIxEEEEPS5_m9comp_mod3IxEEE10hipError_tT0_T1_T2_jT3_P12ihipStream_tbPNSt15iterator_traitsISJ_E10value_typeEPNSP_ISK_E10value_typeEPSL_NS1_7vsmem_tEENKUlT_SJ_SK_SL_E_clISE_PxSF_SF_EESI_SY_SJ_SK_SL_EUlSY_E_NS1_11comp_targetILNS1_3genE4ELNS1_11target_archE910ELNS1_3gpuE8ELNS1_3repE0EEENS1_48merge_mergepath_partition_config_static_selectorELNS0_4arch9wavefront6targetE0EEEvSK_
	.globl	_ZN7rocprim17ROCPRIM_400000_NS6detail17trampoline_kernelINS0_14default_configENS1_38merge_sort_block_merge_config_selectorIxNS0_10empty_typeEEEZZNS1_27merge_sort_block_merge_implIS3_N6thrust23THRUST_200600_302600_NS6detail15normal_iteratorINS9_10device_ptrIxEEEEPS5_m9comp_mod3IxEEE10hipError_tT0_T1_T2_jT3_P12ihipStream_tbPNSt15iterator_traitsISJ_E10value_typeEPNSP_ISK_E10value_typeEPSL_NS1_7vsmem_tEENKUlT_SJ_SK_SL_E_clISE_PxSF_SF_EESI_SY_SJ_SK_SL_EUlSY_E_NS1_11comp_targetILNS1_3genE4ELNS1_11target_archE910ELNS1_3gpuE8ELNS1_3repE0EEENS1_48merge_mergepath_partition_config_static_selectorELNS0_4arch9wavefront6targetE0EEEvSK_
	.p2align	8
	.type	_ZN7rocprim17ROCPRIM_400000_NS6detail17trampoline_kernelINS0_14default_configENS1_38merge_sort_block_merge_config_selectorIxNS0_10empty_typeEEEZZNS1_27merge_sort_block_merge_implIS3_N6thrust23THRUST_200600_302600_NS6detail15normal_iteratorINS9_10device_ptrIxEEEEPS5_m9comp_mod3IxEEE10hipError_tT0_T1_T2_jT3_P12ihipStream_tbPNSt15iterator_traitsISJ_E10value_typeEPNSP_ISK_E10value_typeEPSL_NS1_7vsmem_tEENKUlT_SJ_SK_SL_E_clISE_PxSF_SF_EESI_SY_SJ_SK_SL_EUlSY_E_NS1_11comp_targetILNS1_3genE4ELNS1_11target_archE910ELNS1_3gpuE8ELNS1_3repE0EEENS1_48merge_mergepath_partition_config_static_selectorELNS0_4arch9wavefront6targetE0EEEvSK_,@function
_ZN7rocprim17ROCPRIM_400000_NS6detail17trampoline_kernelINS0_14default_configENS1_38merge_sort_block_merge_config_selectorIxNS0_10empty_typeEEEZZNS1_27merge_sort_block_merge_implIS3_N6thrust23THRUST_200600_302600_NS6detail15normal_iteratorINS9_10device_ptrIxEEEEPS5_m9comp_mod3IxEEE10hipError_tT0_T1_T2_jT3_P12ihipStream_tbPNSt15iterator_traitsISJ_E10value_typeEPNSP_ISK_E10value_typeEPSL_NS1_7vsmem_tEENKUlT_SJ_SK_SL_E_clISE_PxSF_SF_EESI_SY_SJ_SK_SL_EUlSY_E_NS1_11comp_targetILNS1_3genE4ELNS1_11target_archE910ELNS1_3gpuE8ELNS1_3repE0EEENS1_48merge_mergepath_partition_config_static_selectorELNS0_4arch9wavefront6targetE0EEEvSK_: ; @_ZN7rocprim17ROCPRIM_400000_NS6detail17trampoline_kernelINS0_14default_configENS1_38merge_sort_block_merge_config_selectorIxNS0_10empty_typeEEEZZNS1_27merge_sort_block_merge_implIS3_N6thrust23THRUST_200600_302600_NS6detail15normal_iteratorINS9_10device_ptrIxEEEEPS5_m9comp_mod3IxEEE10hipError_tT0_T1_T2_jT3_P12ihipStream_tbPNSt15iterator_traitsISJ_E10value_typeEPNSP_ISK_E10value_typeEPSL_NS1_7vsmem_tEENKUlT_SJ_SK_SL_E_clISE_PxSF_SF_EESI_SY_SJ_SK_SL_EUlSY_E_NS1_11comp_targetILNS1_3genE4ELNS1_11target_archE910ELNS1_3gpuE8ELNS1_3repE0EEENS1_48merge_mergepath_partition_config_static_selectorELNS0_4arch9wavefront6targetE0EEEvSK_
; %bb.0:
	.section	.rodata,"a",@progbits
	.p2align	6, 0x0
	.amdhsa_kernel _ZN7rocprim17ROCPRIM_400000_NS6detail17trampoline_kernelINS0_14default_configENS1_38merge_sort_block_merge_config_selectorIxNS0_10empty_typeEEEZZNS1_27merge_sort_block_merge_implIS3_N6thrust23THRUST_200600_302600_NS6detail15normal_iteratorINS9_10device_ptrIxEEEEPS5_m9comp_mod3IxEEE10hipError_tT0_T1_T2_jT3_P12ihipStream_tbPNSt15iterator_traitsISJ_E10value_typeEPNSP_ISK_E10value_typeEPSL_NS1_7vsmem_tEENKUlT_SJ_SK_SL_E_clISE_PxSF_SF_EESI_SY_SJ_SK_SL_EUlSY_E_NS1_11comp_targetILNS1_3genE4ELNS1_11target_archE910ELNS1_3gpuE8ELNS1_3repE0EEENS1_48merge_mergepath_partition_config_static_selectorELNS0_4arch9wavefront6targetE0EEEvSK_
		.amdhsa_group_segment_fixed_size 0
		.amdhsa_private_segment_fixed_size 0
		.amdhsa_kernarg_size 48
		.amdhsa_user_sgpr_count 6
		.amdhsa_user_sgpr_private_segment_buffer 1
		.amdhsa_user_sgpr_dispatch_ptr 0
		.amdhsa_user_sgpr_queue_ptr 0
		.amdhsa_user_sgpr_kernarg_segment_ptr 1
		.amdhsa_user_sgpr_dispatch_id 0
		.amdhsa_user_sgpr_flat_scratch_init 0
		.amdhsa_user_sgpr_private_segment_size 0
		.amdhsa_wavefront_size32 1
		.amdhsa_uses_dynamic_stack 0
		.amdhsa_system_sgpr_private_segment_wavefront_offset 0
		.amdhsa_system_sgpr_workgroup_id_x 1
		.amdhsa_system_sgpr_workgroup_id_y 0
		.amdhsa_system_sgpr_workgroup_id_z 0
		.amdhsa_system_sgpr_workgroup_info 0
		.amdhsa_system_vgpr_workitem_id 0
		.amdhsa_next_free_vgpr 1
		.amdhsa_next_free_sgpr 1
		.amdhsa_reserve_vcc 0
		.amdhsa_reserve_flat_scratch 0
		.amdhsa_float_round_mode_32 0
		.amdhsa_float_round_mode_16_64 0
		.amdhsa_float_denorm_mode_32 3
		.amdhsa_float_denorm_mode_16_64 3
		.amdhsa_dx10_clamp 1
		.amdhsa_ieee_mode 1
		.amdhsa_fp16_overflow 0
		.amdhsa_workgroup_processor_mode 1
		.amdhsa_memory_ordered 1
		.amdhsa_forward_progress 1
		.amdhsa_shared_vgpr_count 0
		.amdhsa_exception_fp_ieee_invalid_op 0
		.amdhsa_exception_fp_denorm_src 0
		.amdhsa_exception_fp_ieee_div_zero 0
		.amdhsa_exception_fp_ieee_overflow 0
		.amdhsa_exception_fp_ieee_underflow 0
		.amdhsa_exception_fp_ieee_inexact 0
		.amdhsa_exception_int_div_zero 0
	.end_amdhsa_kernel
	.section	.text._ZN7rocprim17ROCPRIM_400000_NS6detail17trampoline_kernelINS0_14default_configENS1_38merge_sort_block_merge_config_selectorIxNS0_10empty_typeEEEZZNS1_27merge_sort_block_merge_implIS3_N6thrust23THRUST_200600_302600_NS6detail15normal_iteratorINS9_10device_ptrIxEEEEPS5_m9comp_mod3IxEEE10hipError_tT0_T1_T2_jT3_P12ihipStream_tbPNSt15iterator_traitsISJ_E10value_typeEPNSP_ISK_E10value_typeEPSL_NS1_7vsmem_tEENKUlT_SJ_SK_SL_E_clISE_PxSF_SF_EESI_SY_SJ_SK_SL_EUlSY_E_NS1_11comp_targetILNS1_3genE4ELNS1_11target_archE910ELNS1_3gpuE8ELNS1_3repE0EEENS1_48merge_mergepath_partition_config_static_selectorELNS0_4arch9wavefront6targetE0EEEvSK_,"axG",@progbits,_ZN7rocprim17ROCPRIM_400000_NS6detail17trampoline_kernelINS0_14default_configENS1_38merge_sort_block_merge_config_selectorIxNS0_10empty_typeEEEZZNS1_27merge_sort_block_merge_implIS3_N6thrust23THRUST_200600_302600_NS6detail15normal_iteratorINS9_10device_ptrIxEEEEPS5_m9comp_mod3IxEEE10hipError_tT0_T1_T2_jT3_P12ihipStream_tbPNSt15iterator_traitsISJ_E10value_typeEPNSP_ISK_E10value_typeEPSL_NS1_7vsmem_tEENKUlT_SJ_SK_SL_E_clISE_PxSF_SF_EESI_SY_SJ_SK_SL_EUlSY_E_NS1_11comp_targetILNS1_3genE4ELNS1_11target_archE910ELNS1_3gpuE8ELNS1_3repE0EEENS1_48merge_mergepath_partition_config_static_selectorELNS0_4arch9wavefront6targetE0EEEvSK_,comdat
.Lfunc_end958:
	.size	_ZN7rocprim17ROCPRIM_400000_NS6detail17trampoline_kernelINS0_14default_configENS1_38merge_sort_block_merge_config_selectorIxNS0_10empty_typeEEEZZNS1_27merge_sort_block_merge_implIS3_N6thrust23THRUST_200600_302600_NS6detail15normal_iteratorINS9_10device_ptrIxEEEEPS5_m9comp_mod3IxEEE10hipError_tT0_T1_T2_jT3_P12ihipStream_tbPNSt15iterator_traitsISJ_E10value_typeEPNSP_ISK_E10value_typeEPSL_NS1_7vsmem_tEENKUlT_SJ_SK_SL_E_clISE_PxSF_SF_EESI_SY_SJ_SK_SL_EUlSY_E_NS1_11comp_targetILNS1_3genE4ELNS1_11target_archE910ELNS1_3gpuE8ELNS1_3repE0EEENS1_48merge_mergepath_partition_config_static_selectorELNS0_4arch9wavefront6targetE0EEEvSK_, .Lfunc_end958-_ZN7rocprim17ROCPRIM_400000_NS6detail17trampoline_kernelINS0_14default_configENS1_38merge_sort_block_merge_config_selectorIxNS0_10empty_typeEEEZZNS1_27merge_sort_block_merge_implIS3_N6thrust23THRUST_200600_302600_NS6detail15normal_iteratorINS9_10device_ptrIxEEEEPS5_m9comp_mod3IxEEE10hipError_tT0_T1_T2_jT3_P12ihipStream_tbPNSt15iterator_traitsISJ_E10value_typeEPNSP_ISK_E10value_typeEPSL_NS1_7vsmem_tEENKUlT_SJ_SK_SL_E_clISE_PxSF_SF_EESI_SY_SJ_SK_SL_EUlSY_E_NS1_11comp_targetILNS1_3genE4ELNS1_11target_archE910ELNS1_3gpuE8ELNS1_3repE0EEENS1_48merge_mergepath_partition_config_static_selectorELNS0_4arch9wavefront6targetE0EEEvSK_
                                        ; -- End function
	.set _ZN7rocprim17ROCPRIM_400000_NS6detail17trampoline_kernelINS0_14default_configENS1_38merge_sort_block_merge_config_selectorIxNS0_10empty_typeEEEZZNS1_27merge_sort_block_merge_implIS3_N6thrust23THRUST_200600_302600_NS6detail15normal_iteratorINS9_10device_ptrIxEEEEPS5_m9comp_mod3IxEEE10hipError_tT0_T1_T2_jT3_P12ihipStream_tbPNSt15iterator_traitsISJ_E10value_typeEPNSP_ISK_E10value_typeEPSL_NS1_7vsmem_tEENKUlT_SJ_SK_SL_E_clISE_PxSF_SF_EESI_SY_SJ_SK_SL_EUlSY_E_NS1_11comp_targetILNS1_3genE4ELNS1_11target_archE910ELNS1_3gpuE8ELNS1_3repE0EEENS1_48merge_mergepath_partition_config_static_selectorELNS0_4arch9wavefront6targetE0EEEvSK_.num_vgpr, 0
	.set _ZN7rocprim17ROCPRIM_400000_NS6detail17trampoline_kernelINS0_14default_configENS1_38merge_sort_block_merge_config_selectorIxNS0_10empty_typeEEEZZNS1_27merge_sort_block_merge_implIS3_N6thrust23THRUST_200600_302600_NS6detail15normal_iteratorINS9_10device_ptrIxEEEEPS5_m9comp_mod3IxEEE10hipError_tT0_T1_T2_jT3_P12ihipStream_tbPNSt15iterator_traitsISJ_E10value_typeEPNSP_ISK_E10value_typeEPSL_NS1_7vsmem_tEENKUlT_SJ_SK_SL_E_clISE_PxSF_SF_EESI_SY_SJ_SK_SL_EUlSY_E_NS1_11comp_targetILNS1_3genE4ELNS1_11target_archE910ELNS1_3gpuE8ELNS1_3repE0EEENS1_48merge_mergepath_partition_config_static_selectorELNS0_4arch9wavefront6targetE0EEEvSK_.num_agpr, 0
	.set _ZN7rocprim17ROCPRIM_400000_NS6detail17trampoline_kernelINS0_14default_configENS1_38merge_sort_block_merge_config_selectorIxNS0_10empty_typeEEEZZNS1_27merge_sort_block_merge_implIS3_N6thrust23THRUST_200600_302600_NS6detail15normal_iteratorINS9_10device_ptrIxEEEEPS5_m9comp_mod3IxEEE10hipError_tT0_T1_T2_jT3_P12ihipStream_tbPNSt15iterator_traitsISJ_E10value_typeEPNSP_ISK_E10value_typeEPSL_NS1_7vsmem_tEENKUlT_SJ_SK_SL_E_clISE_PxSF_SF_EESI_SY_SJ_SK_SL_EUlSY_E_NS1_11comp_targetILNS1_3genE4ELNS1_11target_archE910ELNS1_3gpuE8ELNS1_3repE0EEENS1_48merge_mergepath_partition_config_static_selectorELNS0_4arch9wavefront6targetE0EEEvSK_.numbered_sgpr, 0
	.set _ZN7rocprim17ROCPRIM_400000_NS6detail17trampoline_kernelINS0_14default_configENS1_38merge_sort_block_merge_config_selectorIxNS0_10empty_typeEEEZZNS1_27merge_sort_block_merge_implIS3_N6thrust23THRUST_200600_302600_NS6detail15normal_iteratorINS9_10device_ptrIxEEEEPS5_m9comp_mod3IxEEE10hipError_tT0_T1_T2_jT3_P12ihipStream_tbPNSt15iterator_traitsISJ_E10value_typeEPNSP_ISK_E10value_typeEPSL_NS1_7vsmem_tEENKUlT_SJ_SK_SL_E_clISE_PxSF_SF_EESI_SY_SJ_SK_SL_EUlSY_E_NS1_11comp_targetILNS1_3genE4ELNS1_11target_archE910ELNS1_3gpuE8ELNS1_3repE0EEENS1_48merge_mergepath_partition_config_static_selectorELNS0_4arch9wavefront6targetE0EEEvSK_.num_named_barrier, 0
	.set _ZN7rocprim17ROCPRIM_400000_NS6detail17trampoline_kernelINS0_14default_configENS1_38merge_sort_block_merge_config_selectorIxNS0_10empty_typeEEEZZNS1_27merge_sort_block_merge_implIS3_N6thrust23THRUST_200600_302600_NS6detail15normal_iteratorINS9_10device_ptrIxEEEEPS5_m9comp_mod3IxEEE10hipError_tT0_T1_T2_jT3_P12ihipStream_tbPNSt15iterator_traitsISJ_E10value_typeEPNSP_ISK_E10value_typeEPSL_NS1_7vsmem_tEENKUlT_SJ_SK_SL_E_clISE_PxSF_SF_EESI_SY_SJ_SK_SL_EUlSY_E_NS1_11comp_targetILNS1_3genE4ELNS1_11target_archE910ELNS1_3gpuE8ELNS1_3repE0EEENS1_48merge_mergepath_partition_config_static_selectorELNS0_4arch9wavefront6targetE0EEEvSK_.private_seg_size, 0
	.set _ZN7rocprim17ROCPRIM_400000_NS6detail17trampoline_kernelINS0_14default_configENS1_38merge_sort_block_merge_config_selectorIxNS0_10empty_typeEEEZZNS1_27merge_sort_block_merge_implIS3_N6thrust23THRUST_200600_302600_NS6detail15normal_iteratorINS9_10device_ptrIxEEEEPS5_m9comp_mod3IxEEE10hipError_tT0_T1_T2_jT3_P12ihipStream_tbPNSt15iterator_traitsISJ_E10value_typeEPNSP_ISK_E10value_typeEPSL_NS1_7vsmem_tEENKUlT_SJ_SK_SL_E_clISE_PxSF_SF_EESI_SY_SJ_SK_SL_EUlSY_E_NS1_11comp_targetILNS1_3genE4ELNS1_11target_archE910ELNS1_3gpuE8ELNS1_3repE0EEENS1_48merge_mergepath_partition_config_static_selectorELNS0_4arch9wavefront6targetE0EEEvSK_.uses_vcc, 0
	.set _ZN7rocprim17ROCPRIM_400000_NS6detail17trampoline_kernelINS0_14default_configENS1_38merge_sort_block_merge_config_selectorIxNS0_10empty_typeEEEZZNS1_27merge_sort_block_merge_implIS3_N6thrust23THRUST_200600_302600_NS6detail15normal_iteratorINS9_10device_ptrIxEEEEPS5_m9comp_mod3IxEEE10hipError_tT0_T1_T2_jT3_P12ihipStream_tbPNSt15iterator_traitsISJ_E10value_typeEPNSP_ISK_E10value_typeEPSL_NS1_7vsmem_tEENKUlT_SJ_SK_SL_E_clISE_PxSF_SF_EESI_SY_SJ_SK_SL_EUlSY_E_NS1_11comp_targetILNS1_3genE4ELNS1_11target_archE910ELNS1_3gpuE8ELNS1_3repE0EEENS1_48merge_mergepath_partition_config_static_selectorELNS0_4arch9wavefront6targetE0EEEvSK_.uses_flat_scratch, 0
	.set _ZN7rocprim17ROCPRIM_400000_NS6detail17trampoline_kernelINS0_14default_configENS1_38merge_sort_block_merge_config_selectorIxNS0_10empty_typeEEEZZNS1_27merge_sort_block_merge_implIS3_N6thrust23THRUST_200600_302600_NS6detail15normal_iteratorINS9_10device_ptrIxEEEEPS5_m9comp_mod3IxEEE10hipError_tT0_T1_T2_jT3_P12ihipStream_tbPNSt15iterator_traitsISJ_E10value_typeEPNSP_ISK_E10value_typeEPSL_NS1_7vsmem_tEENKUlT_SJ_SK_SL_E_clISE_PxSF_SF_EESI_SY_SJ_SK_SL_EUlSY_E_NS1_11comp_targetILNS1_3genE4ELNS1_11target_archE910ELNS1_3gpuE8ELNS1_3repE0EEENS1_48merge_mergepath_partition_config_static_selectorELNS0_4arch9wavefront6targetE0EEEvSK_.has_dyn_sized_stack, 0
	.set _ZN7rocprim17ROCPRIM_400000_NS6detail17trampoline_kernelINS0_14default_configENS1_38merge_sort_block_merge_config_selectorIxNS0_10empty_typeEEEZZNS1_27merge_sort_block_merge_implIS3_N6thrust23THRUST_200600_302600_NS6detail15normal_iteratorINS9_10device_ptrIxEEEEPS5_m9comp_mod3IxEEE10hipError_tT0_T1_T2_jT3_P12ihipStream_tbPNSt15iterator_traitsISJ_E10value_typeEPNSP_ISK_E10value_typeEPSL_NS1_7vsmem_tEENKUlT_SJ_SK_SL_E_clISE_PxSF_SF_EESI_SY_SJ_SK_SL_EUlSY_E_NS1_11comp_targetILNS1_3genE4ELNS1_11target_archE910ELNS1_3gpuE8ELNS1_3repE0EEENS1_48merge_mergepath_partition_config_static_selectorELNS0_4arch9wavefront6targetE0EEEvSK_.has_recursion, 0
	.set _ZN7rocprim17ROCPRIM_400000_NS6detail17trampoline_kernelINS0_14default_configENS1_38merge_sort_block_merge_config_selectorIxNS0_10empty_typeEEEZZNS1_27merge_sort_block_merge_implIS3_N6thrust23THRUST_200600_302600_NS6detail15normal_iteratorINS9_10device_ptrIxEEEEPS5_m9comp_mod3IxEEE10hipError_tT0_T1_T2_jT3_P12ihipStream_tbPNSt15iterator_traitsISJ_E10value_typeEPNSP_ISK_E10value_typeEPSL_NS1_7vsmem_tEENKUlT_SJ_SK_SL_E_clISE_PxSF_SF_EESI_SY_SJ_SK_SL_EUlSY_E_NS1_11comp_targetILNS1_3genE4ELNS1_11target_archE910ELNS1_3gpuE8ELNS1_3repE0EEENS1_48merge_mergepath_partition_config_static_selectorELNS0_4arch9wavefront6targetE0EEEvSK_.has_indirect_call, 0
	.section	.AMDGPU.csdata,"",@progbits
; Kernel info:
; codeLenInByte = 0
; TotalNumSgprs: 0
; NumVgprs: 0
; ScratchSize: 0
; MemoryBound: 0
; FloatMode: 240
; IeeeMode: 1
; LDSByteSize: 0 bytes/workgroup (compile time only)
; SGPRBlocks: 0
; VGPRBlocks: 0
; NumSGPRsForWavesPerEU: 1
; NumVGPRsForWavesPerEU: 1
; Occupancy: 16
; WaveLimiterHint : 0
; COMPUTE_PGM_RSRC2:SCRATCH_EN: 0
; COMPUTE_PGM_RSRC2:USER_SGPR: 6
; COMPUTE_PGM_RSRC2:TRAP_HANDLER: 0
; COMPUTE_PGM_RSRC2:TGID_X_EN: 1
; COMPUTE_PGM_RSRC2:TGID_Y_EN: 0
; COMPUTE_PGM_RSRC2:TGID_Z_EN: 0
; COMPUTE_PGM_RSRC2:TIDIG_COMP_CNT: 0
	.section	.text._ZN7rocprim17ROCPRIM_400000_NS6detail17trampoline_kernelINS0_14default_configENS1_38merge_sort_block_merge_config_selectorIxNS0_10empty_typeEEEZZNS1_27merge_sort_block_merge_implIS3_N6thrust23THRUST_200600_302600_NS6detail15normal_iteratorINS9_10device_ptrIxEEEEPS5_m9comp_mod3IxEEE10hipError_tT0_T1_T2_jT3_P12ihipStream_tbPNSt15iterator_traitsISJ_E10value_typeEPNSP_ISK_E10value_typeEPSL_NS1_7vsmem_tEENKUlT_SJ_SK_SL_E_clISE_PxSF_SF_EESI_SY_SJ_SK_SL_EUlSY_E_NS1_11comp_targetILNS1_3genE3ELNS1_11target_archE908ELNS1_3gpuE7ELNS1_3repE0EEENS1_48merge_mergepath_partition_config_static_selectorELNS0_4arch9wavefront6targetE0EEEvSK_,"axG",@progbits,_ZN7rocprim17ROCPRIM_400000_NS6detail17trampoline_kernelINS0_14default_configENS1_38merge_sort_block_merge_config_selectorIxNS0_10empty_typeEEEZZNS1_27merge_sort_block_merge_implIS3_N6thrust23THRUST_200600_302600_NS6detail15normal_iteratorINS9_10device_ptrIxEEEEPS5_m9comp_mod3IxEEE10hipError_tT0_T1_T2_jT3_P12ihipStream_tbPNSt15iterator_traitsISJ_E10value_typeEPNSP_ISK_E10value_typeEPSL_NS1_7vsmem_tEENKUlT_SJ_SK_SL_E_clISE_PxSF_SF_EESI_SY_SJ_SK_SL_EUlSY_E_NS1_11comp_targetILNS1_3genE3ELNS1_11target_archE908ELNS1_3gpuE7ELNS1_3repE0EEENS1_48merge_mergepath_partition_config_static_selectorELNS0_4arch9wavefront6targetE0EEEvSK_,comdat
	.protected	_ZN7rocprim17ROCPRIM_400000_NS6detail17trampoline_kernelINS0_14default_configENS1_38merge_sort_block_merge_config_selectorIxNS0_10empty_typeEEEZZNS1_27merge_sort_block_merge_implIS3_N6thrust23THRUST_200600_302600_NS6detail15normal_iteratorINS9_10device_ptrIxEEEEPS5_m9comp_mod3IxEEE10hipError_tT0_T1_T2_jT3_P12ihipStream_tbPNSt15iterator_traitsISJ_E10value_typeEPNSP_ISK_E10value_typeEPSL_NS1_7vsmem_tEENKUlT_SJ_SK_SL_E_clISE_PxSF_SF_EESI_SY_SJ_SK_SL_EUlSY_E_NS1_11comp_targetILNS1_3genE3ELNS1_11target_archE908ELNS1_3gpuE7ELNS1_3repE0EEENS1_48merge_mergepath_partition_config_static_selectorELNS0_4arch9wavefront6targetE0EEEvSK_ ; -- Begin function _ZN7rocprim17ROCPRIM_400000_NS6detail17trampoline_kernelINS0_14default_configENS1_38merge_sort_block_merge_config_selectorIxNS0_10empty_typeEEEZZNS1_27merge_sort_block_merge_implIS3_N6thrust23THRUST_200600_302600_NS6detail15normal_iteratorINS9_10device_ptrIxEEEEPS5_m9comp_mod3IxEEE10hipError_tT0_T1_T2_jT3_P12ihipStream_tbPNSt15iterator_traitsISJ_E10value_typeEPNSP_ISK_E10value_typeEPSL_NS1_7vsmem_tEENKUlT_SJ_SK_SL_E_clISE_PxSF_SF_EESI_SY_SJ_SK_SL_EUlSY_E_NS1_11comp_targetILNS1_3genE3ELNS1_11target_archE908ELNS1_3gpuE7ELNS1_3repE0EEENS1_48merge_mergepath_partition_config_static_selectorELNS0_4arch9wavefront6targetE0EEEvSK_
	.globl	_ZN7rocprim17ROCPRIM_400000_NS6detail17trampoline_kernelINS0_14default_configENS1_38merge_sort_block_merge_config_selectorIxNS0_10empty_typeEEEZZNS1_27merge_sort_block_merge_implIS3_N6thrust23THRUST_200600_302600_NS6detail15normal_iteratorINS9_10device_ptrIxEEEEPS5_m9comp_mod3IxEEE10hipError_tT0_T1_T2_jT3_P12ihipStream_tbPNSt15iterator_traitsISJ_E10value_typeEPNSP_ISK_E10value_typeEPSL_NS1_7vsmem_tEENKUlT_SJ_SK_SL_E_clISE_PxSF_SF_EESI_SY_SJ_SK_SL_EUlSY_E_NS1_11comp_targetILNS1_3genE3ELNS1_11target_archE908ELNS1_3gpuE7ELNS1_3repE0EEENS1_48merge_mergepath_partition_config_static_selectorELNS0_4arch9wavefront6targetE0EEEvSK_
	.p2align	8
	.type	_ZN7rocprim17ROCPRIM_400000_NS6detail17trampoline_kernelINS0_14default_configENS1_38merge_sort_block_merge_config_selectorIxNS0_10empty_typeEEEZZNS1_27merge_sort_block_merge_implIS3_N6thrust23THRUST_200600_302600_NS6detail15normal_iteratorINS9_10device_ptrIxEEEEPS5_m9comp_mod3IxEEE10hipError_tT0_T1_T2_jT3_P12ihipStream_tbPNSt15iterator_traitsISJ_E10value_typeEPNSP_ISK_E10value_typeEPSL_NS1_7vsmem_tEENKUlT_SJ_SK_SL_E_clISE_PxSF_SF_EESI_SY_SJ_SK_SL_EUlSY_E_NS1_11comp_targetILNS1_3genE3ELNS1_11target_archE908ELNS1_3gpuE7ELNS1_3repE0EEENS1_48merge_mergepath_partition_config_static_selectorELNS0_4arch9wavefront6targetE0EEEvSK_,@function
_ZN7rocprim17ROCPRIM_400000_NS6detail17trampoline_kernelINS0_14default_configENS1_38merge_sort_block_merge_config_selectorIxNS0_10empty_typeEEEZZNS1_27merge_sort_block_merge_implIS3_N6thrust23THRUST_200600_302600_NS6detail15normal_iteratorINS9_10device_ptrIxEEEEPS5_m9comp_mod3IxEEE10hipError_tT0_T1_T2_jT3_P12ihipStream_tbPNSt15iterator_traitsISJ_E10value_typeEPNSP_ISK_E10value_typeEPSL_NS1_7vsmem_tEENKUlT_SJ_SK_SL_E_clISE_PxSF_SF_EESI_SY_SJ_SK_SL_EUlSY_E_NS1_11comp_targetILNS1_3genE3ELNS1_11target_archE908ELNS1_3gpuE7ELNS1_3repE0EEENS1_48merge_mergepath_partition_config_static_selectorELNS0_4arch9wavefront6targetE0EEEvSK_: ; @_ZN7rocprim17ROCPRIM_400000_NS6detail17trampoline_kernelINS0_14default_configENS1_38merge_sort_block_merge_config_selectorIxNS0_10empty_typeEEEZZNS1_27merge_sort_block_merge_implIS3_N6thrust23THRUST_200600_302600_NS6detail15normal_iteratorINS9_10device_ptrIxEEEEPS5_m9comp_mod3IxEEE10hipError_tT0_T1_T2_jT3_P12ihipStream_tbPNSt15iterator_traitsISJ_E10value_typeEPNSP_ISK_E10value_typeEPSL_NS1_7vsmem_tEENKUlT_SJ_SK_SL_E_clISE_PxSF_SF_EESI_SY_SJ_SK_SL_EUlSY_E_NS1_11comp_targetILNS1_3genE3ELNS1_11target_archE908ELNS1_3gpuE7ELNS1_3repE0EEENS1_48merge_mergepath_partition_config_static_selectorELNS0_4arch9wavefront6targetE0EEEvSK_
; %bb.0:
	.section	.rodata,"a",@progbits
	.p2align	6, 0x0
	.amdhsa_kernel _ZN7rocprim17ROCPRIM_400000_NS6detail17trampoline_kernelINS0_14default_configENS1_38merge_sort_block_merge_config_selectorIxNS0_10empty_typeEEEZZNS1_27merge_sort_block_merge_implIS3_N6thrust23THRUST_200600_302600_NS6detail15normal_iteratorINS9_10device_ptrIxEEEEPS5_m9comp_mod3IxEEE10hipError_tT0_T1_T2_jT3_P12ihipStream_tbPNSt15iterator_traitsISJ_E10value_typeEPNSP_ISK_E10value_typeEPSL_NS1_7vsmem_tEENKUlT_SJ_SK_SL_E_clISE_PxSF_SF_EESI_SY_SJ_SK_SL_EUlSY_E_NS1_11comp_targetILNS1_3genE3ELNS1_11target_archE908ELNS1_3gpuE7ELNS1_3repE0EEENS1_48merge_mergepath_partition_config_static_selectorELNS0_4arch9wavefront6targetE0EEEvSK_
		.amdhsa_group_segment_fixed_size 0
		.amdhsa_private_segment_fixed_size 0
		.amdhsa_kernarg_size 48
		.amdhsa_user_sgpr_count 6
		.amdhsa_user_sgpr_private_segment_buffer 1
		.amdhsa_user_sgpr_dispatch_ptr 0
		.amdhsa_user_sgpr_queue_ptr 0
		.amdhsa_user_sgpr_kernarg_segment_ptr 1
		.amdhsa_user_sgpr_dispatch_id 0
		.amdhsa_user_sgpr_flat_scratch_init 0
		.amdhsa_user_sgpr_private_segment_size 0
		.amdhsa_wavefront_size32 1
		.amdhsa_uses_dynamic_stack 0
		.amdhsa_system_sgpr_private_segment_wavefront_offset 0
		.amdhsa_system_sgpr_workgroup_id_x 1
		.amdhsa_system_sgpr_workgroup_id_y 0
		.amdhsa_system_sgpr_workgroup_id_z 0
		.amdhsa_system_sgpr_workgroup_info 0
		.amdhsa_system_vgpr_workitem_id 0
		.amdhsa_next_free_vgpr 1
		.amdhsa_next_free_sgpr 1
		.amdhsa_reserve_vcc 0
		.amdhsa_reserve_flat_scratch 0
		.amdhsa_float_round_mode_32 0
		.amdhsa_float_round_mode_16_64 0
		.amdhsa_float_denorm_mode_32 3
		.amdhsa_float_denorm_mode_16_64 3
		.amdhsa_dx10_clamp 1
		.amdhsa_ieee_mode 1
		.amdhsa_fp16_overflow 0
		.amdhsa_workgroup_processor_mode 1
		.amdhsa_memory_ordered 1
		.amdhsa_forward_progress 1
		.amdhsa_shared_vgpr_count 0
		.amdhsa_exception_fp_ieee_invalid_op 0
		.amdhsa_exception_fp_denorm_src 0
		.amdhsa_exception_fp_ieee_div_zero 0
		.amdhsa_exception_fp_ieee_overflow 0
		.amdhsa_exception_fp_ieee_underflow 0
		.amdhsa_exception_fp_ieee_inexact 0
		.amdhsa_exception_int_div_zero 0
	.end_amdhsa_kernel
	.section	.text._ZN7rocprim17ROCPRIM_400000_NS6detail17trampoline_kernelINS0_14default_configENS1_38merge_sort_block_merge_config_selectorIxNS0_10empty_typeEEEZZNS1_27merge_sort_block_merge_implIS3_N6thrust23THRUST_200600_302600_NS6detail15normal_iteratorINS9_10device_ptrIxEEEEPS5_m9comp_mod3IxEEE10hipError_tT0_T1_T2_jT3_P12ihipStream_tbPNSt15iterator_traitsISJ_E10value_typeEPNSP_ISK_E10value_typeEPSL_NS1_7vsmem_tEENKUlT_SJ_SK_SL_E_clISE_PxSF_SF_EESI_SY_SJ_SK_SL_EUlSY_E_NS1_11comp_targetILNS1_3genE3ELNS1_11target_archE908ELNS1_3gpuE7ELNS1_3repE0EEENS1_48merge_mergepath_partition_config_static_selectorELNS0_4arch9wavefront6targetE0EEEvSK_,"axG",@progbits,_ZN7rocprim17ROCPRIM_400000_NS6detail17trampoline_kernelINS0_14default_configENS1_38merge_sort_block_merge_config_selectorIxNS0_10empty_typeEEEZZNS1_27merge_sort_block_merge_implIS3_N6thrust23THRUST_200600_302600_NS6detail15normal_iteratorINS9_10device_ptrIxEEEEPS5_m9comp_mod3IxEEE10hipError_tT0_T1_T2_jT3_P12ihipStream_tbPNSt15iterator_traitsISJ_E10value_typeEPNSP_ISK_E10value_typeEPSL_NS1_7vsmem_tEENKUlT_SJ_SK_SL_E_clISE_PxSF_SF_EESI_SY_SJ_SK_SL_EUlSY_E_NS1_11comp_targetILNS1_3genE3ELNS1_11target_archE908ELNS1_3gpuE7ELNS1_3repE0EEENS1_48merge_mergepath_partition_config_static_selectorELNS0_4arch9wavefront6targetE0EEEvSK_,comdat
.Lfunc_end959:
	.size	_ZN7rocprim17ROCPRIM_400000_NS6detail17trampoline_kernelINS0_14default_configENS1_38merge_sort_block_merge_config_selectorIxNS0_10empty_typeEEEZZNS1_27merge_sort_block_merge_implIS3_N6thrust23THRUST_200600_302600_NS6detail15normal_iteratorINS9_10device_ptrIxEEEEPS5_m9comp_mod3IxEEE10hipError_tT0_T1_T2_jT3_P12ihipStream_tbPNSt15iterator_traitsISJ_E10value_typeEPNSP_ISK_E10value_typeEPSL_NS1_7vsmem_tEENKUlT_SJ_SK_SL_E_clISE_PxSF_SF_EESI_SY_SJ_SK_SL_EUlSY_E_NS1_11comp_targetILNS1_3genE3ELNS1_11target_archE908ELNS1_3gpuE7ELNS1_3repE0EEENS1_48merge_mergepath_partition_config_static_selectorELNS0_4arch9wavefront6targetE0EEEvSK_, .Lfunc_end959-_ZN7rocprim17ROCPRIM_400000_NS6detail17trampoline_kernelINS0_14default_configENS1_38merge_sort_block_merge_config_selectorIxNS0_10empty_typeEEEZZNS1_27merge_sort_block_merge_implIS3_N6thrust23THRUST_200600_302600_NS6detail15normal_iteratorINS9_10device_ptrIxEEEEPS5_m9comp_mod3IxEEE10hipError_tT0_T1_T2_jT3_P12ihipStream_tbPNSt15iterator_traitsISJ_E10value_typeEPNSP_ISK_E10value_typeEPSL_NS1_7vsmem_tEENKUlT_SJ_SK_SL_E_clISE_PxSF_SF_EESI_SY_SJ_SK_SL_EUlSY_E_NS1_11comp_targetILNS1_3genE3ELNS1_11target_archE908ELNS1_3gpuE7ELNS1_3repE0EEENS1_48merge_mergepath_partition_config_static_selectorELNS0_4arch9wavefront6targetE0EEEvSK_
                                        ; -- End function
	.set _ZN7rocprim17ROCPRIM_400000_NS6detail17trampoline_kernelINS0_14default_configENS1_38merge_sort_block_merge_config_selectorIxNS0_10empty_typeEEEZZNS1_27merge_sort_block_merge_implIS3_N6thrust23THRUST_200600_302600_NS6detail15normal_iteratorINS9_10device_ptrIxEEEEPS5_m9comp_mod3IxEEE10hipError_tT0_T1_T2_jT3_P12ihipStream_tbPNSt15iterator_traitsISJ_E10value_typeEPNSP_ISK_E10value_typeEPSL_NS1_7vsmem_tEENKUlT_SJ_SK_SL_E_clISE_PxSF_SF_EESI_SY_SJ_SK_SL_EUlSY_E_NS1_11comp_targetILNS1_3genE3ELNS1_11target_archE908ELNS1_3gpuE7ELNS1_3repE0EEENS1_48merge_mergepath_partition_config_static_selectorELNS0_4arch9wavefront6targetE0EEEvSK_.num_vgpr, 0
	.set _ZN7rocprim17ROCPRIM_400000_NS6detail17trampoline_kernelINS0_14default_configENS1_38merge_sort_block_merge_config_selectorIxNS0_10empty_typeEEEZZNS1_27merge_sort_block_merge_implIS3_N6thrust23THRUST_200600_302600_NS6detail15normal_iteratorINS9_10device_ptrIxEEEEPS5_m9comp_mod3IxEEE10hipError_tT0_T1_T2_jT3_P12ihipStream_tbPNSt15iterator_traitsISJ_E10value_typeEPNSP_ISK_E10value_typeEPSL_NS1_7vsmem_tEENKUlT_SJ_SK_SL_E_clISE_PxSF_SF_EESI_SY_SJ_SK_SL_EUlSY_E_NS1_11comp_targetILNS1_3genE3ELNS1_11target_archE908ELNS1_3gpuE7ELNS1_3repE0EEENS1_48merge_mergepath_partition_config_static_selectorELNS0_4arch9wavefront6targetE0EEEvSK_.num_agpr, 0
	.set _ZN7rocprim17ROCPRIM_400000_NS6detail17trampoline_kernelINS0_14default_configENS1_38merge_sort_block_merge_config_selectorIxNS0_10empty_typeEEEZZNS1_27merge_sort_block_merge_implIS3_N6thrust23THRUST_200600_302600_NS6detail15normal_iteratorINS9_10device_ptrIxEEEEPS5_m9comp_mod3IxEEE10hipError_tT0_T1_T2_jT3_P12ihipStream_tbPNSt15iterator_traitsISJ_E10value_typeEPNSP_ISK_E10value_typeEPSL_NS1_7vsmem_tEENKUlT_SJ_SK_SL_E_clISE_PxSF_SF_EESI_SY_SJ_SK_SL_EUlSY_E_NS1_11comp_targetILNS1_3genE3ELNS1_11target_archE908ELNS1_3gpuE7ELNS1_3repE0EEENS1_48merge_mergepath_partition_config_static_selectorELNS0_4arch9wavefront6targetE0EEEvSK_.numbered_sgpr, 0
	.set _ZN7rocprim17ROCPRIM_400000_NS6detail17trampoline_kernelINS0_14default_configENS1_38merge_sort_block_merge_config_selectorIxNS0_10empty_typeEEEZZNS1_27merge_sort_block_merge_implIS3_N6thrust23THRUST_200600_302600_NS6detail15normal_iteratorINS9_10device_ptrIxEEEEPS5_m9comp_mod3IxEEE10hipError_tT0_T1_T2_jT3_P12ihipStream_tbPNSt15iterator_traitsISJ_E10value_typeEPNSP_ISK_E10value_typeEPSL_NS1_7vsmem_tEENKUlT_SJ_SK_SL_E_clISE_PxSF_SF_EESI_SY_SJ_SK_SL_EUlSY_E_NS1_11comp_targetILNS1_3genE3ELNS1_11target_archE908ELNS1_3gpuE7ELNS1_3repE0EEENS1_48merge_mergepath_partition_config_static_selectorELNS0_4arch9wavefront6targetE0EEEvSK_.num_named_barrier, 0
	.set _ZN7rocprim17ROCPRIM_400000_NS6detail17trampoline_kernelINS0_14default_configENS1_38merge_sort_block_merge_config_selectorIxNS0_10empty_typeEEEZZNS1_27merge_sort_block_merge_implIS3_N6thrust23THRUST_200600_302600_NS6detail15normal_iteratorINS9_10device_ptrIxEEEEPS5_m9comp_mod3IxEEE10hipError_tT0_T1_T2_jT3_P12ihipStream_tbPNSt15iterator_traitsISJ_E10value_typeEPNSP_ISK_E10value_typeEPSL_NS1_7vsmem_tEENKUlT_SJ_SK_SL_E_clISE_PxSF_SF_EESI_SY_SJ_SK_SL_EUlSY_E_NS1_11comp_targetILNS1_3genE3ELNS1_11target_archE908ELNS1_3gpuE7ELNS1_3repE0EEENS1_48merge_mergepath_partition_config_static_selectorELNS0_4arch9wavefront6targetE0EEEvSK_.private_seg_size, 0
	.set _ZN7rocprim17ROCPRIM_400000_NS6detail17trampoline_kernelINS0_14default_configENS1_38merge_sort_block_merge_config_selectorIxNS0_10empty_typeEEEZZNS1_27merge_sort_block_merge_implIS3_N6thrust23THRUST_200600_302600_NS6detail15normal_iteratorINS9_10device_ptrIxEEEEPS5_m9comp_mod3IxEEE10hipError_tT0_T1_T2_jT3_P12ihipStream_tbPNSt15iterator_traitsISJ_E10value_typeEPNSP_ISK_E10value_typeEPSL_NS1_7vsmem_tEENKUlT_SJ_SK_SL_E_clISE_PxSF_SF_EESI_SY_SJ_SK_SL_EUlSY_E_NS1_11comp_targetILNS1_3genE3ELNS1_11target_archE908ELNS1_3gpuE7ELNS1_3repE0EEENS1_48merge_mergepath_partition_config_static_selectorELNS0_4arch9wavefront6targetE0EEEvSK_.uses_vcc, 0
	.set _ZN7rocprim17ROCPRIM_400000_NS6detail17trampoline_kernelINS0_14default_configENS1_38merge_sort_block_merge_config_selectorIxNS0_10empty_typeEEEZZNS1_27merge_sort_block_merge_implIS3_N6thrust23THRUST_200600_302600_NS6detail15normal_iteratorINS9_10device_ptrIxEEEEPS5_m9comp_mod3IxEEE10hipError_tT0_T1_T2_jT3_P12ihipStream_tbPNSt15iterator_traitsISJ_E10value_typeEPNSP_ISK_E10value_typeEPSL_NS1_7vsmem_tEENKUlT_SJ_SK_SL_E_clISE_PxSF_SF_EESI_SY_SJ_SK_SL_EUlSY_E_NS1_11comp_targetILNS1_3genE3ELNS1_11target_archE908ELNS1_3gpuE7ELNS1_3repE0EEENS1_48merge_mergepath_partition_config_static_selectorELNS0_4arch9wavefront6targetE0EEEvSK_.uses_flat_scratch, 0
	.set _ZN7rocprim17ROCPRIM_400000_NS6detail17trampoline_kernelINS0_14default_configENS1_38merge_sort_block_merge_config_selectorIxNS0_10empty_typeEEEZZNS1_27merge_sort_block_merge_implIS3_N6thrust23THRUST_200600_302600_NS6detail15normal_iteratorINS9_10device_ptrIxEEEEPS5_m9comp_mod3IxEEE10hipError_tT0_T1_T2_jT3_P12ihipStream_tbPNSt15iterator_traitsISJ_E10value_typeEPNSP_ISK_E10value_typeEPSL_NS1_7vsmem_tEENKUlT_SJ_SK_SL_E_clISE_PxSF_SF_EESI_SY_SJ_SK_SL_EUlSY_E_NS1_11comp_targetILNS1_3genE3ELNS1_11target_archE908ELNS1_3gpuE7ELNS1_3repE0EEENS1_48merge_mergepath_partition_config_static_selectorELNS0_4arch9wavefront6targetE0EEEvSK_.has_dyn_sized_stack, 0
	.set _ZN7rocprim17ROCPRIM_400000_NS6detail17trampoline_kernelINS0_14default_configENS1_38merge_sort_block_merge_config_selectorIxNS0_10empty_typeEEEZZNS1_27merge_sort_block_merge_implIS3_N6thrust23THRUST_200600_302600_NS6detail15normal_iteratorINS9_10device_ptrIxEEEEPS5_m9comp_mod3IxEEE10hipError_tT0_T1_T2_jT3_P12ihipStream_tbPNSt15iterator_traitsISJ_E10value_typeEPNSP_ISK_E10value_typeEPSL_NS1_7vsmem_tEENKUlT_SJ_SK_SL_E_clISE_PxSF_SF_EESI_SY_SJ_SK_SL_EUlSY_E_NS1_11comp_targetILNS1_3genE3ELNS1_11target_archE908ELNS1_3gpuE7ELNS1_3repE0EEENS1_48merge_mergepath_partition_config_static_selectorELNS0_4arch9wavefront6targetE0EEEvSK_.has_recursion, 0
	.set _ZN7rocprim17ROCPRIM_400000_NS6detail17trampoline_kernelINS0_14default_configENS1_38merge_sort_block_merge_config_selectorIxNS0_10empty_typeEEEZZNS1_27merge_sort_block_merge_implIS3_N6thrust23THRUST_200600_302600_NS6detail15normal_iteratorINS9_10device_ptrIxEEEEPS5_m9comp_mod3IxEEE10hipError_tT0_T1_T2_jT3_P12ihipStream_tbPNSt15iterator_traitsISJ_E10value_typeEPNSP_ISK_E10value_typeEPSL_NS1_7vsmem_tEENKUlT_SJ_SK_SL_E_clISE_PxSF_SF_EESI_SY_SJ_SK_SL_EUlSY_E_NS1_11comp_targetILNS1_3genE3ELNS1_11target_archE908ELNS1_3gpuE7ELNS1_3repE0EEENS1_48merge_mergepath_partition_config_static_selectorELNS0_4arch9wavefront6targetE0EEEvSK_.has_indirect_call, 0
	.section	.AMDGPU.csdata,"",@progbits
; Kernel info:
; codeLenInByte = 0
; TotalNumSgprs: 0
; NumVgprs: 0
; ScratchSize: 0
; MemoryBound: 0
; FloatMode: 240
; IeeeMode: 1
; LDSByteSize: 0 bytes/workgroup (compile time only)
; SGPRBlocks: 0
; VGPRBlocks: 0
; NumSGPRsForWavesPerEU: 1
; NumVGPRsForWavesPerEU: 1
; Occupancy: 16
; WaveLimiterHint : 0
; COMPUTE_PGM_RSRC2:SCRATCH_EN: 0
; COMPUTE_PGM_RSRC2:USER_SGPR: 6
; COMPUTE_PGM_RSRC2:TRAP_HANDLER: 0
; COMPUTE_PGM_RSRC2:TGID_X_EN: 1
; COMPUTE_PGM_RSRC2:TGID_Y_EN: 0
; COMPUTE_PGM_RSRC2:TGID_Z_EN: 0
; COMPUTE_PGM_RSRC2:TIDIG_COMP_CNT: 0
	.section	.text._ZN7rocprim17ROCPRIM_400000_NS6detail17trampoline_kernelINS0_14default_configENS1_38merge_sort_block_merge_config_selectorIxNS0_10empty_typeEEEZZNS1_27merge_sort_block_merge_implIS3_N6thrust23THRUST_200600_302600_NS6detail15normal_iteratorINS9_10device_ptrIxEEEEPS5_m9comp_mod3IxEEE10hipError_tT0_T1_T2_jT3_P12ihipStream_tbPNSt15iterator_traitsISJ_E10value_typeEPNSP_ISK_E10value_typeEPSL_NS1_7vsmem_tEENKUlT_SJ_SK_SL_E_clISE_PxSF_SF_EESI_SY_SJ_SK_SL_EUlSY_E_NS1_11comp_targetILNS1_3genE2ELNS1_11target_archE906ELNS1_3gpuE6ELNS1_3repE0EEENS1_48merge_mergepath_partition_config_static_selectorELNS0_4arch9wavefront6targetE0EEEvSK_,"axG",@progbits,_ZN7rocprim17ROCPRIM_400000_NS6detail17trampoline_kernelINS0_14default_configENS1_38merge_sort_block_merge_config_selectorIxNS0_10empty_typeEEEZZNS1_27merge_sort_block_merge_implIS3_N6thrust23THRUST_200600_302600_NS6detail15normal_iteratorINS9_10device_ptrIxEEEEPS5_m9comp_mod3IxEEE10hipError_tT0_T1_T2_jT3_P12ihipStream_tbPNSt15iterator_traitsISJ_E10value_typeEPNSP_ISK_E10value_typeEPSL_NS1_7vsmem_tEENKUlT_SJ_SK_SL_E_clISE_PxSF_SF_EESI_SY_SJ_SK_SL_EUlSY_E_NS1_11comp_targetILNS1_3genE2ELNS1_11target_archE906ELNS1_3gpuE6ELNS1_3repE0EEENS1_48merge_mergepath_partition_config_static_selectorELNS0_4arch9wavefront6targetE0EEEvSK_,comdat
	.protected	_ZN7rocprim17ROCPRIM_400000_NS6detail17trampoline_kernelINS0_14default_configENS1_38merge_sort_block_merge_config_selectorIxNS0_10empty_typeEEEZZNS1_27merge_sort_block_merge_implIS3_N6thrust23THRUST_200600_302600_NS6detail15normal_iteratorINS9_10device_ptrIxEEEEPS5_m9comp_mod3IxEEE10hipError_tT0_T1_T2_jT3_P12ihipStream_tbPNSt15iterator_traitsISJ_E10value_typeEPNSP_ISK_E10value_typeEPSL_NS1_7vsmem_tEENKUlT_SJ_SK_SL_E_clISE_PxSF_SF_EESI_SY_SJ_SK_SL_EUlSY_E_NS1_11comp_targetILNS1_3genE2ELNS1_11target_archE906ELNS1_3gpuE6ELNS1_3repE0EEENS1_48merge_mergepath_partition_config_static_selectorELNS0_4arch9wavefront6targetE0EEEvSK_ ; -- Begin function _ZN7rocprim17ROCPRIM_400000_NS6detail17trampoline_kernelINS0_14default_configENS1_38merge_sort_block_merge_config_selectorIxNS0_10empty_typeEEEZZNS1_27merge_sort_block_merge_implIS3_N6thrust23THRUST_200600_302600_NS6detail15normal_iteratorINS9_10device_ptrIxEEEEPS5_m9comp_mod3IxEEE10hipError_tT0_T1_T2_jT3_P12ihipStream_tbPNSt15iterator_traitsISJ_E10value_typeEPNSP_ISK_E10value_typeEPSL_NS1_7vsmem_tEENKUlT_SJ_SK_SL_E_clISE_PxSF_SF_EESI_SY_SJ_SK_SL_EUlSY_E_NS1_11comp_targetILNS1_3genE2ELNS1_11target_archE906ELNS1_3gpuE6ELNS1_3repE0EEENS1_48merge_mergepath_partition_config_static_selectorELNS0_4arch9wavefront6targetE0EEEvSK_
	.globl	_ZN7rocprim17ROCPRIM_400000_NS6detail17trampoline_kernelINS0_14default_configENS1_38merge_sort_block_merge_config_selectorIxNS0_10empty_typeEEEZZNS1_27merge_sort_block_merge_implIS3_N6thrust23THRUST_200600_302600_NS6detail15normal_iteratorINS9_10device_ptrIxEEEEPS5_m9comp_mod3IxEEE10hipError_tT0_T1_T2_jT3_P12ihipStream_tbPNSt15iterator_traitsISJ_E10value_typeEPNSP_ISK_E10value_typeEPSL_NS1_7vsmem_tEENKUlT_SJ_SK_SL_E_clISE_PxSF_SF_EESI_SY_SJ_SK_SL_EUlSY_E_NS1_11comp_targetILNS1_3genE2ELNS1_11target_archE906ELNS1_3gpuE6ELNS1_3repE0EEENS1_48merge_mergepath_partition_config_static_selectorELNS0_4arch9wavefront6targetE0EEEvSK_
	.p2align	8
	.type	_ZN7rocprim17ROCPRIM_400000_NS6detail17trampoline_kernelINS0_14default_configENS1_38merge_sort_block_merge_config_selectorIxNS0_10empty_typeEEEZZNS1_27merge_sort_block_merge_implIS3_N6thrust23THRUST_200600_302600_NS6detail15normal_iteratorINS9_10device_ptrIxEEEEPS5_m9comp_mod3IxEEE10hipError_tT0_T1_T2_jT3_P12ihipStream_tbPNSt15iterator_traitsISJ_E10value_typeEPNSP_ISK_E10value_typeEPSL_NS1_7vsmem_tEENKUlT_SJ_SK_SL_E_clISE_PxSF_SF_EESI_SY_SJ_SK_SL_EUlSY_E_NS1_11comp_targetILNS1_3genE2ELNS1_11target_archE906ELNS1_3gpuE6ELNS1_3repE0EEENS1_48merge_mergepath_partition_config_static_selectorELNS0_4arch9wavefront6targetE0EEEvSK_,@function
_ZN7rocprim17ROCPRIM_400000_NS6detail17trampoline_kernelINS0_14default_configENS1_38merge_sort_block_merge_config_selectorIxNS0_10empty_typeEEEZZNS1_27merge_sort_block_merge_implIS3_N6thrust23THRUST_200600_302600_NS6detail15normal_iteratorINS9_10device_ptrIxEEEEPS5_m9comp_mod3IxEEE10hipError_tT0_T1_T2_jT3_P12ihipStream_tbPNSt15iterator_traitsISJ_E10value_typeEPNSP_ISK_E10value_typeEPSL_NS1_7vsmem_tEENKUlT_SJ_SK_SL_E_clISE_PxSF_SF_EESI_SY_SJ_SK_SL_EUlSY_E_NS1_11comp_targetILNS1_3genE2ELNS1_11target_archE906ELNS1_3gpuE6ELNS1_3repE0EEENS1_48merge_mergepath_partition_config_static_selectorELNS0_4arch9wavefront6targetE0EEEvSK_: ; @_ZN7rocprim17ROCPRIM_400000_NS6detail17trampoline_kernelINS0_14default_configENS1_38merge_sort_block_merge_config_selectorIxNS0_10empty_typeEEEZZNS1_27merge_sort_block_merge_implIS3_N6thrust23THRUST_200600_302600_NS6detail15normal_iteratorINS9_10device_ptrIxEEEEPS5_m9comp_mod3IxEEE10hipError_tT0_T1_T2_jT3_P12ihipStream_tbPNSt15iterator_traitsISJ_E10value_typeEPNSP_ISK_E10value_typeEPSL_NS1_7vsmem_tEENKUlT_SJ_SK_SL_E_clISE_PxSF_SF_EESI_SY_SJ_SK_SL_EUlSY_E_NS1_11comp_targetILNS1_3genE2ELNS1_11target_archE906ELNS1_3gpuE6ELNS1_3repE0EEENS1_48merge_mergepath_partition_config_static_selectorELNS0_4arch9wavefront6targetE0EEEvSK_
; %bb.0:
	.section	.rodata,"a",@progbits
	.p2align	6, 0x0
	.amdhsa_kernel _ZN7rocprim17ROCPRIM_400000_NS6detail17trampoline_kernelINS0_14default_configENS1_38merge_sort_block_merge_config_selectorIxNS0_10empty_typeEEEZZNS1_27merge_sort_block_merge_implIS3_N6thrust23THRUST_200600_302600_NS6detail15normal_iteratorINS9_10device_ptrIxEEEEPS5_m9comp_mod3IxEEE10hipError_tT0_T1_T2_jT3_P12ihipStream_tbPNSt15iterator_traitsISJ_E10value_typeEPNSP_ISK_E10value_typeEPSL_NS1_7vsmem_tEENKUlT_SJ_SK_SL_E_clISE_PxSF_SF_EESI_SY_SJ_SK_SL_EUlSY_E_NS1_11comp_targetILNS1_3genE2ELNS1_11target_archE906ELNS1_3gpuE6ELNS1_3repE0EEENS1_48merge_mergepath_partition_config_static_selectorELNS0_4arch9wavefront6targetE0EEEvSK_
		.amdhsa_group_segment_fixed_size 0
		.amdhsa_private_segment_fixed_size 0
		.amdhsa_kernarg_size 48
		.amdhsa_user_sgpr_count 6
		.amdhsa_user_sgpr_private_segment_buffer 1
		.amdhsa_user_sgpr_dispatch_ptr 0
		.amdhsa_user_sgpr_queue_ptr 0
		.amdhsa_user_sgpr_kernarg_segment_ptr 1
		.amdhsa_user_sgpr_dispatch_id 0
		.amdhsa_user_sgpr_flat_scratch_init 0
		.amdhsa_user_sgpr_private_segment_size 0
		.amdhsa_wavefront_size32 1
		.amdhsa_uses_dynamic_stack 0
		.amdhsa_system_sgpr_private_segment_wavefront_offset 0
		.amdhsa_system_sgpr_workgroup_id_x 1
		.amdhsa_system_sgpr_workgroup_id_y 0
		.amdhsa_system_sgpr_workgroup_id_z 0
		.amdhsa_system_sgpr_workgroup_info 0
		.amdhsa_system_vgpr_workitem_id 0
		.amdhsa_next_free_vgpr 1
		.amdhsa_next_free_sgpr 1
		.amdhsa_reserve_vcc 0
		.amdhsa_reserve_flat_scratch 0
		.amdhsa_float_round_mode_32 0
		.amdhsa_float_round_mode_16_64 0
		.amdhsa_float_denorm_mode_32 3
		.amdhsa_float_denorm_mode_16_64 3
		.amdhsa_dx10_clamp 1
		.amdhsa_ieee_mode 1
		.amdhsa_fp16_overflow 0
		.amdhsa_workgroup_processor_mode 1
		.amdhsa_memory_ordered 1
		.amdhsa_forward_progress 1
		.amdhsa_shared_vgpr_count 0
		.amdhsa_exception_fp_ieee_invalid_op 0
		.amdhsa_exception_fp_denorm_src 0
		.amdhsa_exception_fp_ieee_div_zero 0
		.amdhsa_exception_fp_ieee_overflow 0
		.amdhsa_exception_fp_ieee_underflow 0
		.amdhsa_exception_fp_ieee_inexact 0
		.amdhsa_exception_int_div_zero 0
	.end_amdhsa_kernel
	.section	.text._ZN7rocprim17ROCPRIM_400000_NS6detail17trampoline_kernelINS0_14default_configENS1_38merge_sort_block_merge_config_selectorIxNS0_10empty_typeEEEZZNS1_27merge_sort_block_merge_implIS3_N6thrust23THRUST_200600_302600_NS6detail15normal_iteratorINS9_10device_ptrIxEEEEPS5_m9comp_mod3IxEEE10hipError_tT0_T1_T2_jT3_P12ihipStream_tbPNSt15iterator_traitsISJ_E10value_typeEPNSP_ISK_E10value_typeEPSL_NS1_7vsmem_tEENKUlT_SJ_SK_SL_E_clISE_PxSF_SF_EESI_SY_SJ_SK_SL_EUlSY_E_NS1_11comp_targetILNS1_3genE2ELNS1_11target_archE906ELNS1_3gpuE6ELNS1_3repE0EEENS1_48merge_mergepath_partition_config_static_selectorELNS0_4arch9wavefront6targetE0EEEvSK_,"axG",@progbits,_ZN7rocprim17ROCPRIM_400000_NS6detail17trampoline_kernelINS0_14default_configENS1_38merge_sort_block_merge_config_selectorIxNS0_10empty_typeEEEZZNS1_27merge_sort_block_merge_implIS3_N6thrust23THRUST_200600_302600_NS6detail15normal_iteratorINS9_10device_ptrIxEEEEPS5_m9comp_mod3IxEEE10hipError_tT0_T1_T2_jT3_P12ihipStream_tbPNSt15iterator_traitsISJ_E10value_typeEPNSP_ISK_E10value_typeEPSL_NS1_7vsmem_tEENKUlT_SJ_SK_SL_E_clISE_PxSF_SF_EESI_SY_SJ_SK_SL_EUlSY_E_NS1_11comp_targetILNS1_3genE2ELNS1_11target_archE906ELNS1_3gpuE6ELNS1_3repE0EEENS1_48merge_mergepath_partition_config_static_selectorELNS0_4arch9wavefront6targetE0EEEvSK_,comdat
.Lfunc_end960:
	.size	_ZN7rocprim17ROCPRIM_400000_NS6detail17trampoline_kernelINS0_14default_configENS1_38merge_sort_block_merge_config_selectorIxNS0_10empty_typeEEEZZNS1_27merge_sort_block_merge_implIS3_N6thrust23THRUST_200600_302600_NS6detail15normal_iteratorINS9_10device_ptrIxEEEEPS5_m9comp_mod3IxEEE10hipError_tT0_T1_T2_jT3_P12ihipStream_tbPNSt15iterator_traitsISJ_E10value_typeEPNSP_ISK_E10value_typeEPSL_NS1_7vsmem_tEENKUlT_SJ_SK_SL_E_clISE_PxSF_SF_EESI_SY_SJ_SK_SL_EUlSY_E_NS1_11comp_targetILNS1_3genE2ELNS1_11target_archE906ELNS1_3gpuE6ELNS1_3repE0EEENS1_48merge_mergepath_partition_config_static_selectorELNS0_4arch9wavefront6targetE0EEEvSK_, .Lfunc_end960-_ZN7rocprim17ROCPRIM_400000_NS6detail17trampoline_kernelINS0_14default_configENS1_38merge_sort_block_merge_config_selectorIxNS0_10empty_typeEEEZZNS1_27merge_sort_block_merge_implIS3_N6thrust23THRUST_200600_302600_NS6detail15normal_iteratorINS9_10device_ptrIxEEEEPS5_m9comp_mod3IxEEE10hipError_tT0_T1_T2_jT3_P12ihipStream_tbPNSt15iterator_traitsISJ_E10value_typeEPNSP_ISK_E10value_typeEPSL_NS1_7vsmem_tEENKUlT_SJ_SK_SL_E_clISE_PxSF_SF_EESI_SY_SJ_SK_SL_EUlSY_E_NS1_11comp_targetILNS1_3genE2ELNS1_11target_archE906ELNS1_3gpuE6ELNS1_3repE0EEENS1_48merge_mergepath_partition_config_static_selectorELNS0_4arch9wavefront6targetE0EEEvSK_
                                        ; -- End function
	.set _ZN7rocprim17ROCPRIM_400000_NS6detail17trampoline_kernelINS0_14default_configENS1_38merge_sort_block_merge_config_selectorIxNS0_10empty_typeEEEZZNS1_27merge_sort_block_merge_implIS3_N6thrust23THRUST_200600_302600_NS6detail15normal_iteratorINS9_10device_ptrIxEEEEPS5_m9comp_mod3IxEEE10hipError_tT0_T1_T2_jT3_P12ihipStream_tbPNSt15iterator_traitsISJ_E10value_typeEPNSP_ISK_E10value_typeEPSL_NS1_7vsmem_tEENKUlT_SJ_SK_SL_E_clISE_PxSF_SF_EESI_SY_SJ_SK_SL_EUlSY_E_NS1_11comp_targetILNS1_3genE2ELNS1_11target_archE906ELNS1_3gpuE6ELNS1_3repE0EEENS1_48merge_mergepath_partition_config_static_selectorELNS0_4arch9wavefront6targetE0EEEvSK_.num_vgpr, 0
	.set _ZN7rocprim17ROCPRIM_400000_NS6detail17trampoline_kernelINS0_14default_configENS1_38merge_sort_block_merge_config_selectorIxNS0_10empty_typeEEEZZNS1_27merge_sort_block_merge_implIS3_N6thrust23THRUST_200600_302600_NS6detail15normal_iteratorINS9_10device_ptrIxEEEEPS5_m9comp_mod3IxEEE10hipError_tT0_T1_T2_jT3_P12ihipStream_tbPNSt15iterator_traitsISJ_E10value_typeEPNSP_ISK_E10value_typeEPSL_NS1_7vsmem_tEENKUlT_SJ_SK_SL_E_clISE_PxSF_SF_EESI_SY_SJ_SK_SL_EUlSY_E_NS1_11comp_targetILNS1_3genE2ELNS1_11target_archE906ELNS1_3gpuE6ELNS1_3repE0EEENS1_48merge_mergepath_partition_config_static_selectorELNS0_4arch9wavefront6targetE0EEEvSK_.num_agpr, 0
	.set _ZN7rocprim17ROCPRIM_400000_NS6detail17trampoline_kernelINS0_14default_configENS1_38merge_sort_block_merge_config_selectorIxNS0_10empty_typeEEEZZNS1_27merge_sort_block_merge_implIS3_N6thrust23THRUST_200600_302600_NS6detail15normal_iteratorINS9_10device_ptrIxEEEEPS5_m9comp_mod3IxEEE10hipError_tT0_T1_T2_jT3_P12ihipStream_tbPNSt15iterator_traitsISJ_E10value_typeEPNSP_ISK_E10value_typeEPSL_NS1_7vsmem_tEENKUlT_SJ_SK_SL_E_clISE_PxSF_SF_EESI_SY_SJ_SK_SL_EUlSY_E_NS1_11comp_targetILNS1_3genE2ELNS1_11target_archE906ELNS1_3gpuE6ELNS1_3repE0EEENS1_48merge_mergepath_partition_config_static_selectorELNS0_4arch9wavefront6targetE0EEEvSK_.numbered_sgpr, 0
	.set _ZN7rocprim17ROCPRIM_400000_NS6detail17trampoline_kernelINS0_14default_configENS1_38merge_sort_block_merge_config_selectorIxNS0_10empty_typeEEEZZNS1_27merge_sort_block_merge_implIS3_N6thrust23THRUST_200600_302600_NS6detail15normal_iteratorINS9_10device_ptrIxEEEEPS5_m9comp_mod3IxEEE10hipError_tT0_T1_T2_jT3_P12ihipStream_tbPNSt15iterator_traitsISJ_E10value_typeEPNSP_ISK_E10value_typeEPSL_NS1_7vsmem_tEENKUlT_SJ_SK_SL_E_clISE_PxSF_SF_EESI_SY_SJ_SK_SL_EUlSY_E_NS1_11comp_targetILNS1_3genE2ELNS1_11target_archE906ELNS1_3gpuE6ELNS1_3repE0EEENS1_48merge_mergepath_partition_config_static_selectorELNS0_4arch9wavefront6targetE0EEEvSK_.num_named_barrier, 0
	.set _ZN7rocprim17ROCPRIM_400000_NS6detail17trampoline_kernelINS0_14default_configENS1_38merge_sort_block_merge_config_selectorIxNS0_10empty_typeEEEZZNS1_27merge_sort_block_merge_implIS3_N6thrust23THRUST_200600_302600_NS6detail15normal_iteratorINS9_10device_ptrIxEEEEPS5_m9comp_mod3IxEEE10hipError_tT0_T1_T2_jT3_P12ihipStream_tbPNSt15iterator_traitsISJ_E10value_typeEPNSP_ISK_E10value_typeEPSL_NS1_7vsmem_tEENKUlT_SJ_SK_SL_E_clISE_PxSF_SF_EESI_SY_SJ_SK_SL_EUlSY_E_NS1_11comp_targetILNS1_3genE2ELNS1_11target_archE906ELNS1_3gpuE6ELNS1_3repE0EEENS1_48merge_mergepath_partition_config_static_selectorELNS0_4arch9wavefront6targetE0EEEvSK_.private_seg_size, 0
	.set _ZN7rocprim17ROCPRIM_400000_NS6detail17trampoline_kernelINS0_14default_configENS1_38merge_sort_block_merge_config_selectorIxNS0_10empty_typeEEEZZNS1_27merge_sort_block_merge_implIS3_N6thrust23THRUST_200600_302600_NS6detail15normal_iteratorINS9_10device_ptrIxEEEEPS5_m9comp_mod3IxEEE10hipError_tT0_T1_T2_jT3_P12ihipStream_tbPNSt15iterator_traitsISJ_E10value_typeEPNSP_ISK_E10value_typeEPSL_NS1_7vsmem_tEENKUlT_SJ_SK_SL_E_clISE_PxSF_SF_EESI_SY_SJ_SK_SL_EUlSY_E_NS1_11comp_targetILNS1_3genE2ELNS1_11target_archE906ELNS1_3gpuE6ELNS1_3repE0EEENS1_48merge_mergepath_partition_config_static_selectorELNS0_4arch9wavefront6targetE0EEEvSK_.uses_vcc, 0
	.set _ZN7rocprim17ROCPRIM_400000_NS6detail17trampoline_kernelINS0_14default_configENS1_38merge_sort_block_merge_config_selectorIxNS0_10empty_typeEEEZZNS1_27merge_sort_block_merge_implIS3_N6thrust23THRUST_200600_302600_NS6detail15normal_iteratorINS9_10device_ptrIxEEEEPS5_m9comp_mod3IxEEE10hipError_tT0_T1_T2_jT3_P12ihipStream_tbPNSt15iterator_traitsISJ_E10value_typeEPNSP_ISK_E10value_typeEPSL_NS1_7vsmem_tEENKUlT_SJ_SK_SL_E_clISE_PxSF_SF_EESI_SY_SJ_SK_SL_EUlSY_E_NS1_11comp_targetILNS1_3genE2ELNS1_11target_archE906ELNS1_3gpuE6ELNS1_3repE0EEENS1_48merge_mergepath_partition_config_static_selectorELNS0_4arch9wavefront6targetE0EEEvSK_.uses_flat_scratch, 0
	.set _ZN7rocprim17ROCPRIM_400000_NS6detail17trampoline_kernelINS0_14default_configENS1_38merge_sort_block_merge_config_selectorIxNS0_10empty_typeEEEZZNS1_27merge_sort_block_merge_implIS3_N6thrust23THRUST_200600_302600_NS6detail15normal_iteratorINS9_10device_ptrIxEEEEPS5_m9comp_mod3IxEEE10hipError_tT0_T1_T2_jT3_P12ihipStream_tbPNSt15iterator_traitsISJ_E10value_typeEPNSP_ISK_E10value_typeEPSL_NS1_7vsmem_tEENKUlT_SJ_SK_SL_E_clISE_PxSF_SF_EESI_SY_SJ_SK_SL_EUlSY_E_NS1_11comp_targetILNS1_3genE2ELNS1_11target_archE906ELNS1_3gpuE6ELNS1_3repE0EEENS1_48merge_mergepath_partition_config_static_selectorELNS0_4arch9wavefront6targetE0EEEvSK_.has_dyn_sized_stack, 0
	.set _ZN7rocprim17ROCPRIM_400000_NS6detail17trampoline_kernelINS0_14default_configENS1_38merge_sort_block_merge_config_selectorIxNS0_10empty_typeEEEZZNS1_27merge_sort_block_merge_implIS3_N6thrust23THRUST_200600_302600_NS6detail15normal_iteratorINS9_10device_ptrIxEEEEPS5_m9comp_mod3IxEEE10hipError_tT0_T1_T2_jT3_P12ihipStream_tbPNSt15iterator_traitsISJ_E10value_typeEPNSP_ISK_E10value_typeEPSL_NS1_7vsmem_tEENKUlT_SJ_SK_SL_E_clISE_PxSF_SF_EESI_SY_SJ_SK_SL_EUlSY_E_NS1_11comp_targetILNS1_3genE2ELNS1_11target_archE906ELNS1_3gpuE6ELNS1_3repE0EEENS1_48merge_mergepath_partition_config_static_selectorELNS0_4arch9wavefront6targetE0EEEvSK_.has_recursion, 0
	.set _ZN7rocprim17ROCPRIM_400000_NS6detail17trampoline_kernelINS0_14default_configENS1_38merge_sort_block_merge_config_selectorIxNS0_10empty_typeEEEZZNS1_27merge_sort_block_merge_implIS3_N6thrust23THRUST_200600_302600_NS6detail15normal_iteratorINS9_10device_ptrIxEEEEPS5_m9comp_mod3IxEEE10hipError_tT0_T1_T2_jT3_P12ihipStream_tbPNSt15iterator_traitsISJ_E10value_typeEPNSP_ISK_E10value_typeEPSL_NS1_7vsmem_tEENKUlT_SJ_SK_SL_E_clISE_PxSF_SF_EESI_SY_SJ_SK_SL_EUlSY_E_NS1_11comp_targetILNS1_3genE2ELNS1_11target_archE906ELNS1_3gpuE6ELNS1_3repE0EEENS1_48merge_mergepath_partition_config_static_selectorELNS0_4arch9wavefront6targetE0EEEvSK_.has_indirect_call, 0
	.section	.AMDGPU.csdata,"",@progbits
; Kernel info:
; codeLenInByte = 0
; TotalNumSgprs: 0
; NumVgprs: 0
; ScratchSize: 0
; MemoryBound: 0
; FloatMode: 240
; IeeeMode: 1
; LDSByteSize: 0 bytes/workgroup (compile time only)
; SGPRBlocks: 0
; VGPRBlocks: 0
; NumSGPRsForWavesPerEU: 1
; NumVGPRsForWavesPerEU: 1
; Occupancy: 16
; WaveLimiterHint : 0
; COMPUTE_PGM_RSRC2:SCRATCH_EN: 0
; COMPUTE_PGM_RSRC2:USER_SGPR: 6
; COMPUTE_PGM_RSRC2:TRAP_HANDLER: 0
; COMPUTE_PGM_RSRC2:TGID_X_EN: 1
; COMPUTE_PGM_RSRC2:TGID_Y_EN: 0
; COMPUTE_PGM_RSRC2:TGID_Z_EN: 0
; COMPUTE_PGM_RSRC2:TIDIG_COMP_CNT: 0
	.section	.text._ZN7rocprim17ROCPRIM_400000_NS6detail17trampoline_kernelINS0_14default_configENS1_38merge_sort_block_merge_config_selectorIxNS0_10empty_typeEEEZZNS1_27merge_sort_block_merge_implIS3_N6thrust23THRUST_200600_302600_NS6detail15normal_iteratorINS9_10device_ptrIxEEEEPS5_m9comp_mod3IxEEE10hipError_tT0_T1_T2_jT3_P12ihipStream_tbPNSt15iterator_traitsISJ_E10value_typeEPNSP_ISK_E10value_typeEPSL_NS1_7vsmem_tEENKUlT_SJ_SK_SL_E_clISE_PxSF_SF_EESI_SY_SJ_SK_SL_EUlSY_E_NS1_11comp_targetILNS1_3genE9ELNS1_11target_archE1100ELNS1_3gpuE3ELNS1_3repE0EEENS1_48merge_mergepath_partition_config_static_selectorELNS0_4arch9wavefront6targetE0EEEvSK_,"axG",@progbits,_ZN7rocprim17ROCPRIM_400000_NS6detail17trampoline_kernelINS0_14default_configENS1_38merge_sort_block_merge_config_selectorIxNS0_10empty_typeEEEZZNS1_27merge_sort_block_merge_implIS3_N6thrust23THRUST_200600_302600_NS6detail15normal_iteratorINS9_10device_ptrIxEEEEPS5_m9comp_mod3IxEEE10hipError_tT0_T1_T2_jT3_P12ihipStream_tbPNSt15iterator_traitsISJ_E10value_typeEPNSP_ISK_E10value_typeEPSL_NS1_7vsmem_tEENKUlT_SJ_SK_SL_E_clISE_PxSF_SF_EESI_SY_SJ_SK_SL_EUlSY_E_NS1_11comp_targetILNS1_3genE9ELNS1_11target_archE1100ELNS1_3gpuE3ELNS1_3repE0EEENS1_48merge_mergepath_partition_config_static_selectorELNS0_4arch9wavefront6targetE0EEEvSK_,comdat
	.protected	_ZN7rocprim17ROCPRIM_400000_NS6detail17trampoline_kernelINS0_14default_configENS1_38merge_sort_block_merge_config_selectorIxNS0_10empty_typeEEEZZNS1_27merge_sort_block_merge_implIS3_N6thrust23THRUST_200600_302600_NS6detail15normal_iteratorINS9_10device_ptrIxEEEEPS5_m9comp_mod3IxEEE10hipError_tT0_T1_T2_jT3_P12ihipStream_tbPNSt15iterator_traitsISJ_E10value_typeEPNSP_ISK_E10value_typeEPSL_NS1_7vsmem_tEENKUlT_SJ_SK_SL_E_clISE_PxSF_SF_EESI_SY_SJ_SK_SL_EUlSY_E_NS1_11comp_targetILNS1_3genE9ELNS1_11target_archE1100ELNS1_3gpuE3ELNS1_3repE0EEENS1_48merge_mergepath_partition_config_static_selectorELNS0_4arch9wavefront6targetE0EEEvSK_ ; -- Begin function _ZN7rocprim17ROCPRIM_400000_NS6detail17trampoline_kernelINS0_14default_configENS1_38merge_sort_block_merge_config_selectorIxNS0_10empty_typeEEEZZNS1_27merge_sort_block_merge_implIS3_N6thrust23THRUST_200600_302600_NS6detail15normal_iteratorINS9_10device_ptrIxEEEEPS5_m9comp_mod3IxEEE10hipError_tT0_T1_T2_jT3_P12ihipStream_tbPNSt15iterator_traitsISJ_E10value_typeEPNSP_ISK_E10value_typeEPSL_NS1_7vsmem_tEENKUlT_SJ_SK_SL_E_clISE_PxSF_SF_EESI_SY_SJ_SK_SL_EUlSY_E_NS1_11comp_targetILNS1_3genE9ELNS1_11target_archE1100ELNS1_3gpuE3ELNS1_3repE0EEENS1_48merge_mergepath_partition_config_static_selectorELNS0_4arch9wavefront6targetE0EEEvSK_
	.globl	_ZN7rocprim17ROCPRIM_400000_NS6detail17trampoline_kernelINS0_14default_configENS1_38merge_sort_block_merge_config_selectorIxNS0_10empty_typeEEEZZNS1_27merge_sort_block_merge_implIS3_N6thrust23THRUST_200600_302600_NS6detail15normal_iteratorINS9_10device_ptrIxEEEEPS5_m9comp_mod3IxEEE10hipError_tT0_T1_T2_jT3_P12ihipStream_tbPNSt15iterator_traitsISJ_E10value_typeEPNSP_ISK_E10value_typeEPSL_NS1_7vsmem_tEENKUlT_SJ_SK_SL_E_clISE_PxSF_SF_EESI_SY_SJ_SK_SL_EUlSY_E_NS1_11comp_targetILNS1_3genE9ELNS1_11target_archE1100ELNS1_3gpuE3ELNS1_3repE0EEENS1_48merge_mergepath_partition_config_static_selectorELNS0_4arch9wavefront6targetE0EEEvSK_
	.p2align	8
	.type	_ZN7rocprim17ROCPRIM_400000_NS6detail17trampoline_kernelINS0_14default_configENS1_38merge_sort_block_merge_config_selectorIxNS0_10empty_typeEEEZZNS1_27merge_sort_block_merge_implIS3_N6thrust23THRUST_200600_302600_NS6detail15normal_iteratorINS9_10device_ptrIxEEEEPS5_m9comp_mod3IxEEE10hipError_tT0_T1_T2_jT3_P12ihipStream_tbPNSt15iterator_traitsISJ_E10value_typeEPNSP_ISK_E10value_typeEPSL_NS1_7vsmem_tEENKUlT_SJ_SK_SL_E_clISE_PxSF_SF_EESI_SY_SJ_SK_SL_EUlSY_E_NS1_11comp_targetILNS1_3genE9ELNS1_11target_archE1100ELNS1_3gpuE3ELNS1_3repE0EEENS1_48merge_mergepath_partition_config_static_selectorELNS0_4arch9wavefront6targetE0EEEvSK_,@function
_ZN7rocprim17ROCPRIM_400000_NS6detail17trampoline_kernelINS0_14default_configENS1_38merge_sort_block_merge_config_selectorIxNS0_10empty_typeEEEZZNS1_27merge_sort_block_merge_implIS3_N6thrust23THRUST_200600_302600_NS6detail15normal_iteratorINS9_10device_ptrIxEEEEPS5_m9comp_mod3IxEEE10hipError_tT0_T1_T2_jT3_P12ihipStream_tbPNSt15iterator_traitsISJ_E10value_typeEPNSP_ISK_E10value_typeEPSL_NS1_7vsmem_tEENKUlT_SJ_SK_SL_E_clISE_PxSF_SF_EESI_SY_SJ_SK_SL_EUlSY_E_NS1_11comp_targetILNS1_3genE9ELNS1_11target_archE1100ELNS1_3gpuE3ELNS1_3repE0EEENS1_48merge_mergepath_partition_config_static_selectorELNS0_4arch9wavefront6targetE0EEEvSK_: ; @_ZN7rocprim17ROCPRIM_400000_NS6detail17trampoline_kernelINS0_14default_configENS1_38merge_sort_block_merge_config_selectorIxNS0_10empty_typeEEEZZNS1_27merge_sort_block_merge_implIS3_N6thrust23THRUST_200600_302600_NS6detail15normal_iteratorINS9_10device_ptrIxEEEEPS5_m9comp_mod3IxEEE10hipError_tT0_T1_T2_jT3_P12ihipStream_tbPNSt15iterator_traitsISJ_E10value_typeEPNSP_ISK_E10value_typeEPSL_NS1_7vsmem_tEENKUlT_SJ_SK_SL_E_clISE_PxSF_SF_EESI_SY_SJ_SK_SL_EUlSY_E_NS1_11comp_targetILNS1_3genE9ELNS1_11target_archE1100ELNS1_3gpuE3ELNS1_3repE0EEENS1_48merge_mergepath_partition_config_static_selectorELNS0_4arch9wavefront6targetE0EEEvSK_
; %bb.0:
	.section	.rodata,"a",@progbits
	.p2align	6, 0x0
	.amdhsa_kernel _ZN7rocprim17ROCPRIM_400000_NS6detail17trampoline_kernelINS0_14default_configENS1_38merge_sort_block_merge_config_selectorIxNS0_10empty_typeEEEZZNS1_27merge_sort_block_merge_implIS3_N6thrust23THRUST_200600_302600_NS6detail15normal_iteratorINS9_10device_ptrIxEEEEPS5_m9comp_mod3IxEEE10hipError_tT0_T1_T2_jT3_P12ihipStream_tbPNSt15iterator_traitsISJ_E10value_typeEPNSP_ISK_E10value_typeEPSL_NS1_7vsmem_tEENKUlT_SJ_SK_SL_E_clISE_PxSF_SF_EESI_SY_SJ_SK_SL_EUlSY_E_NS1_11comp_targetILNS1_3genE9ELNS1_11target_archE1100ELNS1_3gpuE3ELNS1_3repE0EEENS1_48merge_mergepath_partition_config_static_selectorELNS0_4arch9wavefront6targetE0EEEvSK_
		.amdhsa_group_segment_fixed_size 0
		.amdhsa_private_segment_fixed_size 0
		.amdhsa_kernarg_size 48
		.amdhsa_user_sgpr_count 6
		.amdhsa_user_sgpr_private_segment_buffer 1
		.amdhsa_user_sgpr_dispatch_ptr 0
		.amdhsa_user_sgpr_queue_ptr 0
		.amdhsa_user_sgpr_kernarg_segment_ptr 1
		.amdhsa_user_sgpr_dispatch_id 0
		.amdhsa_user_sgpr_flat_scratch_init 0
		.amdhsa_user_sgpr_private_segment_size 0
		.amdhsa_wavefront_size32 1
		.amdhsa_uses_dynamic_stack 0
		.amdhsa_system_sgpr_private_segment_wavefront_offset 0
		.amdhsa_system_sgpr_workgroup_id_x 1
		.amdhsa_system_sgpr_workgroup_id_y 0
		.amdhsa_system_sgpr_workgroup_id_z 0
		.amdhsa_system_sgpr_workgroup_info 0
		.amdhsa_system_vgpr_workitem_id 0
		.amdhsa_next_free_vgpr 1
		.amdhsa_next_free_sgpr 1
		.amdhsa_reserve_vcc 0
		.amdhsa_reserve_flat_scratch 0
		.amdhsa_float_round_mode_32 0
		.amdhsa_float_round_mode_16_64 0
		.amdhsa_float_denorm_mode_32 3
		.amdhsa_float_denorm_mode_16_64 3
		.amdhsa_dx10_clamp 1
		.amdhsa_ieee_mode 1
		.amdhsa_fp16_overflow 0
		.amdhsa_workgroup_processor_mode 1
		.amdhsa_memory_ordered 1
		.amdhsa_forward_progress 1
		.amdhsa_shared_vgpr_count 0
		.amdhsa_exception_fp_ieee_invalid_op 0
		.amdhsa_exception_fp_denorm_src 0
		.amdhsa_exception_fp_ieee_div_zero 0
		.amdhsa_exception_fp_ieee_overflow 0
		.amdhsa_exception_fp_ieee_underflow 0
		.amdhsa_exception_fp_ieee_inexact 0
		.amdhsa_exception_int_div_zero 0
	.end_amdhsa_kernel
	.section	.text._ZN7rocprim17ROCPRIM_400000_NS6detail17trampoline_kernelINS0_14default_configENS1_38merge_sort_block_merge_config_selectorIxNS0_10empty_typeEEEZZNS1_27merge_sort_block_merge_implIS3_N6thrust23THRUST_200600_302600_NS6detail15normal_iteratorINS9_10device_ptrIxEEEEPS5_m9comp_mod3IxEEE10hipError_tT0_T1_T2_jT3_P12ihipStream_tbPNSt15iterator_traitsISJ_E10value_typeEPNSP_ISK_E10value_typeEPSL_NS1_7vsmem_tEENKUlT_SJ_SK_SL_E_clISE_PxSF_SF_EESI_SY_SJ_SK_SL_EUlSY_E_NS1_11comp_targetILNS1_3genE9ELNS1_11target_archE1100ELNS1_3gpuE3ELNS1_3repE0EEENS1_48merge_mergepath_partition_config_static_selectorELNS0_4arch9wavefront6targetE0EEEvSK_,"axG",@progbits,_ZN7rocprim17ROCPRIM_400000_NS6detail17trampoline_kernelINS0_14default_configENS1_38merge_sort_block_merge_config_selectorIxNS0_10empty_typeEEEZZNS1_27merge_sort_block_merge_implIS3_N6thrust23THRUST_200600_302600_NS6detail15normal_iteratorINS9_10device_ptrIxEEEEPS5_m9comp_mod3IxEEE10hipError_tT0_T1_T2_jT3_P12ihipStream_tbPNSt15iterator_traitsISJ_E10value_typeEPNSP_ISK_E10value_typeEPSL_NS1_7vsmem_tEENKUlT_SJ_SK_SL_E_clISE_PxSF_SF_EESI_SY_SJ_SK_SL_EUlSY_E_NS1_11comp_targetILNS1_3genE9ELNS1_11target_archE1100ELNS1_3gpuE3ELNS1_3repE0EEENS1_48merge_mergepath_partition_config_static_selectorELNS0_4arch9wavefront6targetE0EEEvSK_,comdat
.Lfunc_end961:
	.size	_ZN7rocprim17ROCPRIM_400000_NS6detail17trampoline_kernelINS0_14default_configENS1_38merge_sort_block_merge_config_selectorIxNS0_10empty_typeEEEZZNS1_27merge_sort_block_merge_implIS3_N6thrust23THRUST_200600_302600_NS6detail15normal_iteratorINS9_10device_ptrIxEEEEPS5_m9comp_mod3IxEEE10hipError_tT0_T1_T2_jT3_P12ihipStream_tbPNSt15iterator_traitsISJ_E10value_typeEPNSP_ISK_E10value_typeEPSL_NS1_7vsmem_tEENKUlT_SJ_SK_SL_E_clISE_PxSF_SF_EESI_SY_SJ_SK_SL_EUlSY_E_NS1_11comp_targetILNS1_3genE9ELNS1_11target_archE1100ELNS1_3gpuE3ELNS1_3repE0EEENS1_48merge_mergepath_partition_config_static_selectorELNS0_4arch9wavefront6targetE0EEEvSK_, .Lfunc_end961-_ZN7rocprim17ROCPRIM_400000_NS6detail17trampoline_kernelINS0_14default_configENS1_38merge_sort_block_merge_config_selectorIxNS0_10empty_typeEEEZZNS1_27merge_sort_block_merge_implIS3_N6thrust23THRUST_200600_302600_NS6detail15normal_iteratorINS9_10device_ptrIxEEEEPS5_m9comp_mod3IxEEE10hipError_tT0_T1_T2_jT3_P12ihipStream_tbPNSt15iterator_traitsISJ_E10value_typeEPNSP_ISK_E10value_typeEPSL_NS1_7vsmem_tEENKUlT_SJ_SK_SL_E_clISE_PxSF_SF_EESI_SY_SJ_SK_SL_EUlSY_E_NS1_11comp_targetILNS1_3genE9ELNS1_11target_archE1100ELNS1_3gpuE3ELNS1_3repE0EEENS1_48merge_mergepath_partition_config_static_selectorELNS0_4arch9wavefront6targetE0EEEvSK_
                                        ; -- End function
	.set _ZN7rocprim17ROCPRIM_400000_NS6detail17trampoline_kernelINS0_14default_configENS1_38merge_sort_block_merge_config_selectorIxNS0_10empty_typeEEEZZNS1_27merge_sort_block_merge_implIS3_N6thrust23THRUST_200600_302600_NS6detail15normal_iteratorINS9_10device_ptrIxEEEEPS5_m9comp_mod3IxEEE10hipError_tT0_T1_T2_jT3_P12ihipStream_tbPNSt15iterator_traitsISJ_E10value_typeEPNSP_ISK_E10value_typeEPSL_NS1_7vsmem_tEENKUlT_SJ_SK_SL_E_clISE_PxSF_SF_EESI_SY_SJ_SK_SL_EUlSY_E_NS1_11comp_targetILNS1_3genE9ELNS1_11target_archE1100ELNS1_3gpuE3ELNS1_3repE0EEENS1_48merge_mergepath_partition_config_static_selectorELNS0_4arch9wavefront6targetE0EEEvSK_.num_vgpr, 0
	.set _ZN7rocprim17ROCPRIM_400000_NS6detail17trampoline_kernelINS0_14default_configENS1_38merge_sort_block_merge_config_selectorIxNS0_10empty_typeEEEZZNS1_27merge_sort_block_merge_implIS3_N6thrust23THRUST_200600_302600_NS6detail15normal_iteratorINS9_10device_ptrIxEEEEPS5_m9comp_mod3IxEEE10hipError_tT0_T1_T2_jT3_P12ihipStream_tbPNSt15iterator_traitsISJ_E10value_typeEPNSP_ISK_E10value_typeEPSL_NS1_7vsmem_tEENKUlT_SJ_SK_SL_E_clISE_PxSF_SF_EESI_SY_SJ_SK_SL_EUlSY_E_NS1_11comp_targetILNS1_3genE9ELNS1_11target_archE1100ELNS1_3gpuE3ELNS1_3repE0EEENS1_48merge_mergepath_partition_config_static_selectorELNS0_4arch9wavefront6targetE0EEEvSK_.num_agpr, 0
	.set _ZN7rocprim17ROCPRIM_400000_NS6detail17trampoline_kernelINS0_14default_configENS1_38merge_sort_block_merge_config_selectorIxNS0_10empty_typeEEEZZNS1_27merge_sort_block_merge_implIS3_N6thrust23THRUST_200600_302600_NS6detail15normal_iteratorINS9_10device_ptrIxEEEEPS5_m9comp_mod3IxEEE10hipError_tT0_T1_T2_jT3_P12ihipStream_tbPNSt15iterator_traitsISJ_E10value_typeEPNSP_ISK_E10value_typeEPSL_NS1_7vsmem_tEENKUlT_SJ_SK_SL_E_clISE_PxSF_SF_EESI_SY_SJ_SK_SL_EUlSY_E_NS1_11comp_targetILNS1_3genE9ELNS1_11target_archE1100ELNS1_3gpuE3ELNS1_3repE0EEENS1_48merge_mergepath_partition_config_static_selectorELNS0_4arch9wavefront6targetE0EEEvSK_.numbered_sgpr, 0
	.set _ZN7rocprim17ROCPRIM_400000_NS6detail17trampoline_kernelINS0_14default_configENS1_38merge_sort_block_merge_config_selectorIxNS0_10empty_typeEEEZZNS1_27merge_sort_block_merge_implIS3_N6thrust23THRUST_200600_302600_NS6detail15normal_iteratorINS9_10device_ptrIxEEEEPS5_m9comp_mod3IxEEE10hipError_tT0_T1_T2_jT3_P12ihipStream_tbPNSt15iterator_traitsISJ_E10value_typeEPNSP_ISK_E10value_typeEPSL_NS1_7vsmem_tEENKUlT_SJ_SK_SL_E_clISE_PxSF_SF_EESI_SY_SJ_SK_SL_EUlSY_E_NS1_11comp_targetILNS1_3genE9ELNS1_11target_archE1100ELNS1_3gpuE3ELNS1_3repE0EEENS1_48merge_mergepath_partition_config_static_selectorELNS0_4arch9wavefront6targetE0EEEvSK_.num_named_barrier, 0
	.set _ZN7rocprim17ROCPRIM_400000_NS6detail17trampoline_kernelINS0_14default_configENS1_38merge_sort_block_merge_config_selectorIxNS0_10empty_typeEEEZZNS1_27merge_sort_block_merge_implIS3_N6thrust23THRUST_200600_302600_NS6detail15normal_iteratorINS9_10device_ptrIxEEEEPS5_m9comp_mod3IxEEE10hipError_tT0_T1_T2_jT3_P12ihipStream_tbPNSt15iterator_traitsISJ_E10value_typeEPNSP_ISK_E10value_typeEPSL_NS1_7vsmem_tEENKUlT_SJ_SK_SL_E_clISE_PxSF_SF_EESI_SY_SJ_SK_SL_EUlSY_E_NS1_11comp_targetILNS1_3genE9ELNS1_11target_archE1100ELNS1_3gpuE3ELNS1_3repE0EEENS1_48merge_mergepath_partition_config_static_selectorELNS0_4arch9wavefront6targetE0EEEvSK_.private_seg_size, 0
	.set _ZN7rocprim17ROCPRIM_400000_NS6detail17trampoline_kernelINS0_14default_configENS1_38merge_sort_block_merge_config_selectorIxNS0_10empty_typeEEEZZNS1_27merge_sort_block_merge_implIS3_N6thrust23THRUST_200600_302600_NS6detail15normal_iteratorINS9_10device_ptrIxEEEEPS5_m9comp_mod3IxEEE10hipError_tT0_T1_T2_jT3_P12ihipStream_tbPNSt15iterator_traitsISJ_E10value_typeEPNSP_ISK_E10value_typeEPSL_NS1_7vsmem_tEENKUlT_SJ_SK_SL_E_clISE_PxSF_SF_EESI_SY_SJ_SK_SL_EUlSY_E_NS1_11comp_targetILNS1_3genE9ELNS1_11target_archE1100ELNS1_3gpuE3ELNS1_3repE0EEENS1_48merge_mergepath_partition_config_static_selectorELNS0_4arch9wavefront6targetE0EEEvSK_.uses_vcc, 0
	.set _ZN7rocprim17ROCPRIM_400000_NS6detail17trampoline_kernelINS0_14default_configENS1_38merge_sort_block_merge_config_selectorIxNS0_10empty_typeEEEZZNS1_27merge_sort_block_merge_implIS3_N6thrust23THRUST_200600_302600_NS6detail15normal_iteratorINS9_10device_ptrIxEEEEPS5_m9comp_mod3IxEEE10hipError_tT0_T1_T2_jT3_P12ihipStream_tbPNSt15iterator_traitsISJ_E10value_typeEPNSP_ISK_E10value_typeEPSL_NS1_7vsmem_tEENKUlT_SJ_SK_SL_E_clISE_PxSF_SF_EESI_SY_SJ_SK_SL_EUlSY_E_NS1_11comp_targetILNS1_3genE9ELNS1_11target_archE1100ELNS1_3gpuE3ELNS1_3repE0EEENS1_48merge_mergepath_partition_config_static_selectorELNS0_4arch9wavefront6targetE0EEEvSK_.uses_flat_scratch, 0
	.set _ZN7rocprim17ROCPRIM_400000_NS6detail17trampoline_kernelINS0_14default_configENS1_38merge_sort_block_merge_config_selectorIxNS0_10empty_typeEEEZZNS1_27merge_sort_block_merge_implIS3_N6thrust23THRUST_200600_302600_NS6detail15normal_iteratorINS9_10device_ptrIxEEEEPS5_m9comp_mod3IxEEE10hipError_tT0_T1_T2_jT3_P12ihipStream_tbPNSt15iterator_traitsISJ_E10value_typeEPNSP_ISK_E10value_typeEPSL_NS1_7vsmem_tEENKUlT_SJ_SK_SL_E_clISE_PxSF_SF_EESI_SY_SJ_SK_SL_EUlSY_E_NS1_11comp_targetILNS1_3genE9ELNS1_11target_archE1100ELNS1_3gpuE3ELNS1_3repE0EEENS1_48merge_mergepath_partition_config_static_selectorELNS0_4arch9wavefront6targetE0EEEvSK_.has_dyn_sized_stack, 0
	.set _ZN7rocprim17ROCPRIM_400000_NS6detail17trampoline_kernelINS0_14default_configENS1_38merge_sort_block_merge_config_selectorIxNS0_10empty_typeEEEZZNS1_27merge_sort_block_merge_implIS3_N6thrust23THRUST_200600_302600_NS6detail15normal_iteratorINS9_10device_ptrIxEEEEPS5_m9comp_mod3IxEEE10hipError_tT0_T1_T2_jT3_P12ihipStream_tbPNSt15iterator_traitsISJ_E10value_typeEPNSP_ISK_E10value_typeEPSL_NS1_7vsmem_tEENKUlT_SJ_SK_SL_E_clISE_PxSF_SF_EESI_SY_SJ_SK_SL_EUlSY_E_NS1_11comp_targetILNS1_3genE9ELNS1_11target_archE1100ELNS1_3gpuE3ELNS1_3repE0EEENS1_48merge_mergepath_partition_config_static_selectorELNS0_4arch9wavefront6targetE0EEEvSK_.has_recursion, 0
	.set _ZN7rocprim17ROCPRIM_400000_NS6detail17trampoline_kernelINS0_14default_configENS1_38merge_sort_block_merge_config_selectorIxNS0_10empty_typeEEEZZNS1_27merge_sort_block_merge_implIS3_N6thrust23THRUST_200600_302600_NS6detail15normal_iteratorINS9_10device_ptrIxEEEEPS5_m9comp_mod3IxEEE10hipError_tT0_T1_T2_jT3_P12ihipStream_tbPNSt15iterator_traitsISJ_E10value_typeEPNSP_ISK_E10value_typeEPSL_NS1_7vsmem_tEENKUlT_SJ_SK_SL_E_clISE_PxSF_SF_EESI_SY_SJ_SK_SL_EUlSY_E_NS1_11comp_targetILNS1_3genE9ELNS1_11target_archE1100ELNS1_3gpuE3ELNS1_3repE0EEENS1_48merge_mergepath_partition_config_static_selectorELNS0_4arch9wavefront6targetE0EEEvSK_.has_indirect_call, 0
	.section	.AMDGPU.csdata,"",@progbits
; Kernel info:
; codeLenInByte = 0
; TotalNumSgprs: 0
; NumVgprs: 0
; ScratchSize: 0
; MemoryBound: 0
; FloatMode: 240
; IeeeMode: 1
; LDSByteSize: 0 bytes/workgroup (compile time only)
; SGPRBlocks: 0
; VGPRBlocks: 0
; NumSGPRsForWavesPerEU: 1
; NumVGPRsForWavesPerEU: 1
; Occupancy: 16
; WaveLimiterHint : 0
; COMPUTE_PGM_RSRC2:SCRATCH_EN: 0
; COMPUTE_PGM_RSRC2:USER_SGPR: 6
; COMPUTE_PGM_RSRC2:TRAP_HANDLER: 0
; COMPUTE_PGM_RSRC2:TGID_X_EN: 1
; COMPUTE_PGM_RSRC2:TGID_Y_EN: 0
; COMPUTE_PGM_RSRC2:TGID_Z_EN: 0
; COMPUTE_PGM_RSRC2:TIDIG_COMP_CNT: 0
	.section	.text._ZN7rocprim17ROCPRIM_400000_NS6detail17trampoline_kernelINS0_14default_configENS1_38merge_sort_block_merge_config_selectorIxNS0_10empty_typeEEEZZNS1_27merge_sort_block_merge_implIS3_N6thrust23THRUST_200600_302600_NS6detail15normal_iteratorINS9_10device_ptrIxEEEEPS5_m9comp_mod3IxEEE10hipError_tT0_T1_T2_jT3_P12ihipStream_tbPNSt15iterator_traitsISJ_E10value_typeEPNSP_ISK_E10value_typeEPSL_NS1_7vsmem_tEENKUlT_SJ_SK_SL_E_clISE_PxSF_SF_EESI_SY_SJ_SK_SL_EUlSY_E_NS1_11comp_targetILNS1_3genE8ELNS1_11target_archE1030ELNS1_3gpuE2ELNS1_3repE0EEENS1_48merge_mergepath_partition_config_static_selectorELNS0_4arch9wavefront6targetE0EEEvSK_,"axG",@progbits,_ZN7rocprim17ROCPRIM_400000_NS6detail17trampoline_kernelINS0_14default_configENS1_38merge_sort_block_merge_config_selectorIxNS0_10empty_typeEEEZZNS1_27merge_sort_block_merge_implIS3_N6thrust23THRUST_200600_302600_NS6detail15normal_iteratorINS9_10device_ptrIxEEEEPS5_m9comp_mod3IxEEE10hipError_tT0_T1_T2_jT3_P12ihipStream_tbPNSt15iterator_traitsISJ_E10value_typeEPNSP_ISK_E10value_typeEPSL_NS1_7vsmem_tEENKUlT_SJ_SK_SL_E_clISE_PxSF_SF_EESI_SY_SJ_SK_SL_EUlSY_E_NS1_11comp_targetILNS1_3genE8ELNS1_11target_archE1030ELNS1_3gpuE2ELNS1_3repE0EEENS1_48merge_mergepath_partition_config_static_selectorELNS0_4arch9wavefront6targetE0EEEvSK_,comdat
	.protected	_ZN7rocprim17ROCPRIM_400000_NS6detail17trampoline_kernelINS0_14default_configENS1_38merge_sort_block_merge_config_selectorIxNS0_10empty_typeEEEZZNS1_27merge_sort_block_merge_implIS3_N6thrust23THRUST_200600_302600_NS6detail15normal_iteratorINS9_10device_ptrIxEEEEPS5_m9comp_mod3IxEEE10hipError_tT0_T1_T2_jT3_P12ihipStream_tbPNSt15iterator_traitsISJ_E10value_typeEPNSP_ISK_E10value_typeEPSL_NS1_7vsmem_tEENKUlT_SJ_SK_SL_E_clISE_PxSF_SF_EESI_SY_SJ_SK_SL_EUlSY_E_NS1_11comp_targetILNS1_3genE8ELNS1_11target_archE1030ELNS1_3gpuE2ELNS1_3repE0EEENS1_48merge_mergepath_partition_config_static_selectorELNS0_4arch9wavefront6targetE0EEEvSK_ ; -- Begin function _ZN7rocprim17ROCPRIM_400000_NS6detail17trampoline_kernelINS0_14default_configENS1_38merge_sort_block_merge_config_selectorIxNS0_10empty_typeEEEZZNS1_27merge_sort_block_merge_implIS3_N6thrust23THRUST_200600_302600_NS6detail15normal_iteratorINS9_10device_ptrIxEEEEPS5_m9comp_mod3IxEEE10hipError_tT0_T1_T2_jT3_P12ihipStream_tbPNSt15iterator_traitsISJ_E10value_typeEPNSP_ISK_E10value_typeEPSL_NS1_7vsmem_tEENKUlT_SJ_SK_SL_E_clISE_PxSF_SF_EESI_SY_SJ_SK_SL_EUlSY_E_NS1_11comp_targetILNS1_3genE8ELNS1_11target_archE1030ELNS1_3gpuE2ELNS1_3repE0EEENS1_48merge_mergepath_partition_config_static_selectorELNS0_4arch9wavefront6targetE0EEEvSK_
	.globl	_ZN7rocprim17ROCPRIM_400000_NS6detail17trampoline_kernelINS0_14default_configENS1_38merge_sort_block_merge_config_selectorIxNS0_10empty_typeEEEZZNS1_27merge_sort_block_merge_implIS3_N6thrust23THRUST_200600_302600_NS6detail15normal_iteratorINS9_10device_ptrIxEEEEPS5_m9comp_mod3IxEEE10hipError_tT0_T1_T2_jT3_P12ihipStream_tbPNSt15iterator_traitsISJ_E10value_typeEPNSP_ISK_E10value_typeEPSL_NS1_7vsmem_tEENKUlT_SJ_SK_SL_E_clISE_PxSF_SF_EESI_SY_SJ_SK_SL_EUlSY_E_NS1_11comp_targetILNS1_3genE8ELNS1_11target_archE1030ELNS1_3gpuE2ELNS1_3repE0EEENS1_48merge_mergepath_partition_config_static_selectorELNS0_4arch9wavefront6targetE0EEEvSK_
	.p2align	8
	.type	_ZN7rocprim17ROCPRIM_400000_NS6detail17trampoline_kernelINS0_14default_configENS1_38merge_sort_block_merge_config_selectorIxNS0_10empty_typeEEEZZNS1_27merge_sort_block_merge_implIS3_N6thrust23THRUST_200600_302600_NS6detail15normal_iteratorINS9_10device_ptrIxEEEEPS5_m9comp_mod3IxEEE10hipError_tT0_T1_T2_jT3_P12ihipStream_tbPNSt15iterator_traitsISJ_E10value_typeEPNSP_ISK_E10value_typeEPSL_NS1_7vsmem_tEENKUlT_SJ_SK_SL_E_clISE_PxSF_SF_EESI_SY_SJ_SK_SL_EUlSY_E_NS1_11comp_targetILNS1_3genE8ELNS1_11target_archE1030ELNS1_3gpuE2ELNS1_3repE0EEENS1_48merge_mergepath_partition_config_static_selectorELNS0_4arch9wavefront6targetE0EEEvSK_,@function
_ZN7rocprim17ROCPRIM_400000_NS6detail17trampoline_kernelINS0_14default_configENS1_38merge_sort_block_merge_config_selectorIxNS0_10empty_typeEEEZZNS1_27merge_sort_block_merge_implIS3_N6thrust23THRUST_200600_302600_NS6detail15normal_iteratorINS9_10device_ptrIxEEEEPS5_m9comp_mod3IxEEE10hipError_tT0_T1_T2_jT3_P12ihipStream_tbPNSt15iterator_traitsISJ_E10value_typeEPNSP_ISK_E10value_typeEPSL_NS1_7vsmem_tEENKUlT_SJ_SK_SL_E_clISE_PxSF_SF_EESI_SY_SJ_SK_SL_EUlSY_E_NS1_11comp_targetILNS1_3genE8ELNS1_11target_archE1030ELNS1_3gpuE2ELNS1_3repE0EEENS1_48merge_mergepath_partition_config_static_selectorELNS0_4arch9wavefront6targetE0EEEvSK_: ; @_ZN7rocprim17ROCPRIM_400000_NS6detail17trampoline_kernelINS0_14default_configENS1_38merge_sort_block_merge_config_selectorIxNS0_10empty_typeEEEZZNS1_27merge_sort_block_merge_implIS3_N6thrust23THRUST_200600_302600_NS6detail15normal_iteratorINS9_10device_ptrIxEEEEPS5_m9comp_mod3IxEEE10hipError_tT0_T1_T2_jT3_P12ihipStream_tbPNSt15iterator_traitsISJ_E10value_typeEPNSP_ISK_E10value_typeEPSL_NS1_7vsmem_tEENKUlT_SJ_SK_SL_E_clISE_PxSF_SF_EESI_SY_SJ_SK_SL_EUlSY_E_NS1_11comp_targetILNS1_3genE8ELNS1_11target_archE1030ELNS1_3gpuE2ELNS1_3repE0EEENS1_48merge_mergepath_partition_config_static_selectorELNS0_4arch9wavefront6targetE0EEEvSK_
; %bb.0:
	s_load_dword s0, s[4:5], 0x0
	v_lshl_or_b32 v0, s6, 7, v0
	s_waitcnt lgkmcnt(0)
	v_cmp_gt_u32_e32 vcc_lo, s0, v0
	s_and_saveexec_b32 s0, vcc_lo
	s_cbranch_execz .LBB962_6
; %bb.1:
	s_clause 0x1
	s_load_dwordx4 s[0:3], s[4:5], 0x8
	s_load_dwordx4 s[8:11], s[4:5], 0x20
	v_mov_b32_e32 v1, 0
	v_mov_b32_e32 v3, v1
	;; [unrolled: 1-line block ×3, first 2 shown]
	s_waitcnt lgkmcnt(0)
	s_lshr_b64 s[6:7], s[0:1], 9
	s_and_b32 s6, s6, -2
	s_sub_i32 s7, 0, s6
	s_add_i32 s6, s6, -1
	v_and_b32_e32 v2, s7, v0
	v_and_b32_e32 v7, s6, v0
	v_lshlrev_b64 v[2:3], 10, v[2:3]
	v_add_co_u32 v4, vcc_lo, v2, s0
	v_add_co_ci_u32_e64 v5, null, s1, v3, vcc_lo
	v_cmp_lt_u64_e32 vcc_lo, s[2:3], v[4:5]
	v_cndmask_b32_e64 v9, v4, s2, vcc_lo
	v_cndmask_b32_e64 v10, v5, s3, vcc_lo
	v_add_co_u32 v5, vcc_lo, v9, s0
	v_add_co_ci_u32_e64 v6, null, s1, v10, vcc_lo
	v_cmp_lt_u64_e32 vcc_lo, s[2:3], v[2:3]
	s_mov_b32 s1, exec_lo
	v_cmp_lt_u64_e64 s0, s[2:3], v[5:6]
	v_cndmask_b32_e64 v4, v3, s3, vcc_lo
	v_cndmask_b32_e64 v3, v2, s2, vcc_lo
	v_cndmask_b32_e64 v13, v5, s2, s0
	v_cndmask_b32_e64 v2, v6, s3, s0
	v_lshlrev_b64 v[5:6], 10, v[7:8]
	s_mov_b32 s2, 0
	v_sub_co_u32 v7, vcc_lo, v13, v3
	v_sub_co_ci_u32_e64 v8, null, v2, v4, vcc_lo
	v_cmp_lt_u64_e32 vcc_lo, v[7:8], v[5:6]
	v_cndmask_b32_e32 v12, v6, v8, vcc_lo
	v_cndmask_b32_e32 v11, v5, v7, vcc_lo
	v_sub_co_u32 v5, vcc_lo, v9, v13
	v_sub_co_ci_u32_e64 v2, null, v10, v2, vcc_lo
	v_add_co_u32 v5, vcc_lo, v11, v5
	v_add_co_ci_u32_e64 v6, null, v12, v2, vcc_lo
	v_sub_co_u32 v7, vcc_lo, v9, v3
	v_sub_co_ci_u32_e64 v8, null, v10, v4, vcc_lo
	v_cmp_gt_u64_e32 vcc_lo, v[5:6], v[11:12]
	v_cmp_lt_u64_e64 s0, v[11:12], v[7:8]
	v_cndmask_b32_e64 v6, v6, 0, vcc_lo
	v_cndmask_b32_e64 v5, v5, 0, vcc_lo
	v_cndmask_b32_e64 v8, v8, v12, s0
	v_cndmask_b32_e64 v7, v7, v11, s0
	v_cmpx_lt_u64_e64 v[5:6], v[7:8]
	s_cbranch_execz .LBB962_5
; %bb.2:
	s_load_dwordx2 s[4:5], s[4:5], 0x18
	v_lshlrev_b64 v[9:10], 3, v[9:10]
	v_lshlrev_b64 v[13:14], 3, v[3:4]
	;; [unrolled: 1-line block ×3, first 2 shown]
	s_waitcnt lgkmcnt(0)
	v_add_co_u32 v2, vcc_lo, s4, v9
	v_add_co_ci_u32_e64 v15, null, s5, v10, vcc_lo
	v_add_co_u32 v9, vcc_lo, s4, v13
	v_add_co_ci_u32_e64 v10, null, s5, v14, vcc_lo
	;; [unrolled: 2-line block ×3, first 2 shown]
.LBB962_3:                              ; =>This Inner Loop Header: Depth=1
	v_add_co_u32 v13, vcc_lo, v7, v5
	v_add_co_ci_u32_e64 v14, null, v8, v6, vcc_lo
	v_lshrrev_b64 v[13:14], 1, v[13:14]
	v_lshlrev_b64 v[15:16], 3, v[13:14]
	v_xor_b32_e32 v2, -8, v15
	v_xor_b32_e32 v18, -1, v16
	v_add_co_u32 v17, vcc_lo, v11, v2
	v_add_co_ci_u32_e64 v18, null, v12, v18, vcc_lo
	v_add_co_u32 v15, vcc_lo, v9, v15
	v_add_co_ci_u32_e64 v16, null, v10, v16, vcc_lo
	flat_load_dword v2, v[17:18]
	s_waitcnt vmcnt(0) lgkmcnt(0)
	v_ashrrev_i64 v[17:18], 29, v[1:2]
	flat_load_dword v2, v[15:16]
	v_add_co_u32 v15, vcc_lo, s8, v17
	v_add_co_ci_u32_e64 v16, null, s9, v18, vcc_lo
	s_waitcnt vmcnt(0) lgkmcnt(0)
	v_ashrrev_i64 v[17:18], 29, v[1:2]
	v_add_co_u32 v17, vcc_lo, s8, v17
	v_add_co_ci_u32_e64 v18, null, s9, v18, vcc_lo
	s_clause 0x1
	global_load_dwordx2 v[15:16], v[15:16], off
	global_load_dwordx2 v[17:18], v[17:18], off
	v_add_co_u32 v2, vcc_lo, v13, 1
	s_waitcnt vmcnt(0)
	v_cmp_lt_i64_e64 s0, v[15:16], v[17:18]
	v_add_co_ci_u32_e64 v15, null, 0, v14, vcc_lo
	v_cndmask_b32_e64 v8, v8, v14, s0
	v_cndmask_b32_e64 v7, v7, v13, s0
	v_cndmask_b32_e64 v6, v15, v6, s0
	v_cndmask_b32_e64 v5, v2, v5, s0
	v_cmp_ge_u64_e32 vcc_lo, v[5:6], v[7:8]
	s_or_b32 s2, vcc_lo, s2
	s_andn2_b32 exec_lo, exec_lo, s2
	s_cbranch_execnz .LBB962_3
; %bb.4:
	s_or_b32 exec_lo, exec_lo, s2
.LBB962_5:
	s_or_b32 exec_lo, exec_lo, s1
	v_mov_b32_e32 v1, 0
	v_add_co_u32 v2, vcc_lo, v5, v3
	v_add_co_ci_u32_e64 v3, null, v6, v4, vcc_lo
	v_lshlrev_b64 v[0:1], 3, v[0:1]
	v_add_co_u32 v0, vcc_lo, s10, v0
	v_add_co_ci_u32_e64 v1, null, s11, v1, vcc_lo
	global_store_dwordx2 v[0:1], v[2:3], off
.LBB962_6:
	s_endpgm
	.section	.rodata,"a",@progbits
	.p2align	6, 0x0
	.amdhsa_kernel _ZN7rocprim17ROCPRIM_400000_NS6detail17trampoline_kernelINS0_14default_configENS1_38merge_sort_block_merge_config_selectorIxNS0_10empty_typeEEEZZNS1_27merge_sort_block_merge_implIS3_N6thrust23THRUST_200600_302600_NS6detail15normal_iteratorINS9_10device_ptrIxEEEEPS5_m9comp_mod3IxEEE10hipError_tT0_T1_T2_jT3_P12ihipStream_tbPNSt15iterator_traitsISJ_E10value_typeEPNSP_ISK_E10value_typeEPSL_NS1_7vsmem_tEENKUlT_SJ_SK_SL_E_clISE_PxSF_SF_EESI_SY_SJ_SK_SL_EUlSY_E_NS1_11comp_targetILNS1_3genE8ELNS1_11target_archE1030ELNS1_3gpuE2ELNS1_3repE0EEENS1_48merge_mergepath_partition_config_static_selectorELNS0_4arch9wavefront6targetE0EEEvSK_
		.amdhsa_group_segment_fixed_size 0
		.amdhsa_private_segment_fixed_size 0
		.amdhsa_kernarg_size 48
		.amdhsa_user_sgpr_count 6
		.amdhsa_user_sgpr_private_segment_buffer 1
		.amdhsa_user_sgpr_dispatch_ptr 0
		.amdhsa_user_sgpr_queue_ptr 0
		.amdhsa_user_sgpr_kernarg_segment_ptr 1
		.amdhsa_user_sgpr_dispatch_id 0
		.amdhsa_user_sgpr_flat_scratch_init 0
		.amdhsa_user_sgpr_private_segment_size 0
		.amdhsa_wavefront_size32 1
		.amdhsa_uses_dynamic_stack 0
		.amdhsa_system_sgpr_private_segment_wavefront_offset 0
		.amdhsa_system_sgpr_workgroup_id_x 1
		.amdhsa_system_sgpr_workgroup_id_y 0
		.amdhsa_system_sgpr_workgroup_id_z 0
		.amdhsa_system_sgpr_workgroup_info 0
		.amdhsa_system_vgpr_workitem_id 0
		.amdhsa_next_free_vgpr 19
		.amdhsa_next_free_sgpr 12
		.amdhsa_reserve_vcc 1
		.amdhsa_reserve_flat_scratch 0
		.amdhsa_float_round_mode_32 0
		.amdhsa_float_round_mode_16_64 0
		.amdhsa_float_denorm_mode_32 3
		.amdhsa_float_denorm_mode_16_64 3
		.amdhsa_dx10_clamp 1
		.amdhsa_ieee_mode 1
		.amdhsa_fp16_overflow 0
		.amdhsa_workgroup_processor_mode 1
		.amdhsa_memory_ordered 1
		.amdhsa_forward_progress 1
		.amdhsa_shared_vgpr_count 0
		.amdhsa_exception_fp_ieee_invalid_op 0
		.amdhsa_exception_fp_denorm_src 0
		.amdhsa_exception_fp_ieee_div_zero 0
		.amdhsa_exception_fp_ieee_overflow 0
		.amdhsa_exception_fp_ieee_underflow 0
		.amdhsa_exception_fp_ieee_inexact 0
		.amdhsa_exception_int_div_zero 0
	.end_amdhsa_kernel
	.section	.text._ZN7rocprim17ROCPRIM_400000_NS6detail17trampoline_kernelINS0_14default_configENS1_38merge_sort_block_merge_config_selectorIxNS0_10empty_typeEEEZZNS1_27merge_sort_block_merge_implIS3_N6thrust23THRUST_200600_302600_NS6detail15normal_iteratorINS9_10device_ptrIxEEEEPS5_m9comp_mod3IxEEE10hipError_tT0_T1_T2_jT3_P12ihipStream_tbPNSt15iterator_traitsISJ_E10value_typeEPNSP_ISK_E10value_typeEPSL_NS1_7vsmem_tEENKUlT_SJ_SK_SL_E_clISE_PxSF_SF_EESI_SY_SJ_SK_SL_EUlSY_E_NS1_11comp_targetILNS1_3genE8ELNS1_11target_archE1030ELNS1_3gpuE2ELNS1_3repE0EEENS1_48merge_mergepath_partition_config_static_selectorELNS0_4arch9wavefront6targetE0EEEvSK_,"axG",@progbits,_ZN7rocprim17ROCPRIM_400000_NS6detail17trampoline_kernelINS0_14default_configENS1_38merge_sort_block_merge_config_selectorIxNS0_10empty_typeEEEZZNS1_27merge_sort_block_merge_implIS3_N6thrust23THRUST_200600_302600_NS6detail15normal_iteratorINS9_10device_ptrIxEEEEPS5_m9comp_mod3IxEEE10hipError_tT0_T1_T2_jT3_P12ihipStream_tbPNSt15iterator_traitsISJ_E10value_typeEPNSP_ISK_E10value_typeEPSL_NS1_7vsmem_tEENKUlT_SJ_SK_SL_E_clISE_PxSF_SF_EESI_SY_SJ_SK_SL_EUlSY_E_NS1_11comp_targetILNS1_3genE8ELNS1_11target_archE1030ELNS1_3gpuE2ELNS1_3repE0EEENS1_48merge_mergepath_partition_config_static_selectorELNS0_4arch9wavefront6targetE0EEEvSK_,comdat
.Lfunc_end962:
	.size	_ZN7rocprim17ROCPRIM_400000_NS6detail17trampoline_kernelINS0_14default_configENS1_38merge_sort_block_merge_config_selectorIxNS0_10empty_typeEEEZZNS1_27merge_sort_block_merge_implIS3_N6thrust23THRUST_200600_302600_NS6detail15normal_iteratorINS9_10device_ptrIxEEEEPS5_m9comp_mod3IxEEE10hipError_tT0_T1_T2_jT3_P12ihipStream_tbPNSt15iterator_traitsISJ_E10value_typeEPNSP_ISK_E10value_typeEPSL_NS1_7vsmem_tEENKUlT_SJ_SK_SL_E_clISE_PxSF_SF_EESI_SY_SJ_SK_SL_EUlSY_E_NS1_11comp_targetILNS1_3genE8ELNS1_11target_archE1030ELNS1_3gpuE2ELNS1_3repE0EEENS1_48merge_mergepath_partition_config_static_selectorELNS0_4arch9wavefront6targetE0EEEvSK_, .Lfunc_end962-_ZN7rocprim17ROCPRIM_400000_NS6detail17trampoline_kernelINS0_14default_configENS1_38merge_sort_block_merge_config_selectorIxNS0_10empty_typeEEEZZNS1_27merge_sort_block_merge_implIS3_N6thrust23THRUST_200600_302600_NS6detail15normal_iteratorINS9_10device_ptrIxEEEEPS5_m9comp_mod3IxEEE10hipError_tT0_T1_T2_jT3_P12ihipStream_tbPNSt15iterator_traitsISJ_E10value_typeEPNSP_ISK_E10value_typeEPSL_NS1_7vsmem_tEENKUlT_SJ_SK_SL_E_clISE_PxSF_SF_EESI_SY_SJ_SK_SL_EUlSY_E_NS1_11comp_targetILNS1_3genE8ELNS1_11target_archE1030ELNS1_3gpuE2ELNS1_3repE0EEENS1_48merge_mergepath_partition_config_static_selectorELNS0_4arch9wavefront6targetE0EEEvSK_
                                        ; -- End function
	.set _ZN7rocprim17ROCPRIM_400000_NS6detail17trampoline_kernelINS0_14default_configENS1_38merge_sort_block_merge_config_selectorIxNS0_10empty_typeEEEZZNS1_27merge_sort_block_merge_implIS3_N6thrust23THRUST_200600_302600_NS6detail15normal_iteratorINS9_10device_ptrIxEEEEPS5_m9comp_mod3IxEEE10hipError_tT0_T1_T2_jT3_P12ihipStream_tbPNSt15iterator_traitsISJ_E10value_typeEPNSP_ISK_E10value_typeEPSL_NS1_7vsmem_tEENKUlT_SJ_SK_SL_E_clISE_PxSF_SF_EESI_SY_SJ_SK_SL_EUlSY_E_NS1_11comp_targetILNS1_3genE8ELNS1_11target_archE1030ELNS1_3gpuE2ELNS1_3repE0EEENS1_48merge_mergepath_partition_config_static_selectorELNS0_4arch9wavefront6targetE0EEEvSK_.num_vgpr, 19
	.set _ZN7rocprim17ROCPRIM_400000_NS6detail17trampoline_kernelINS0_14default_configENS1_38merge_sort_block_merge_config_selectorIxNS0_10empty_typeEEEZZNS1_27merge_sort_block_merge_implIS3_N6thrust23THRUST_200600_302600_NS6detail15normal_iteratorINS9_10device_ptrIxEEEEPS5_m9comp_mod3IxEEE10hipError_tT0_T1_T2_jT3_P12ihipStream_tbPNSt15iterator_traitsISJ_E10value_typeEPNSP_ISK_E10value_typeEPSL_NS1_7vsmem_tEENKUlT_SJ_SK_SL_E_clISE_PxSF_SF_EESI_SY_SJ_SK_SL_EUlSY_E_NS1_11comp_targetILNS1_3genE8ELNS1_11target_archE1030ELNS1_3gpuE2ELNS1_3repE0EEENS1_48merge_mergepath_partition_config_static_selectorELNS0_4arch9wavefront6targetE0EEEvSK_.num_agpr, 0
	.set _ZN7rocprim17ROCPRIM_400000_NS6detail17trampoline_kernelINS0_14default_configENS1_38merge_sort_block_merge_config_selectorIxNS0_10empty_typeEEEZZNS1_27merge_sort_block_merge_implIS3_N6thrust23THRUST_200600_302600_NS6detail15normal_iteratorINS9_10device_ptrIxEEEEPS5_m9comp_mod3IxEEE10hipError_tT0_T1_T2_jT3_P12ihipStream_tbPNSt15iterator_traitsISJ_E10value_typeEPNSP_ISK_E10value_typeEPSL_NS1_7vsmem_tEENKUlT_SJ_SK_SL_E_clISE_PxSF_SF_EESI_SY_SJ_SK_SL_EUlSY_E_NS1_11comp_targetILNS1_3genE8ELNS1_11target_archE1030ELNS1_3gpuE2ELNS1_3repE0EEENS1_48merge_mergepath_partition_config_static_selectorELNS0_4arch9wavefront6targetE0EEEvSK_.numbered_sgpr, 12
	.set _ZN7rocprim17ROCPRIM_400000_NS6detail17trampoline_kernelINS0_14default_configENS1_38merge_sort_block_merge_config_selectorIxNS0_10empty_typeEEEZZNS1_27merge_sort_block_merge_implIS3_N6thrust23THRUST_200600_302600_NS6detail15normal_iteratorINS9_10device_ptrIxEEEEPS5_m9comp_mod3IxEEE10hipError_tT0_T1_T2_jT3_P12ihipStream_tbPNSt15iterator_traitsISJ_E10value_typeEPNSP_ISK_E10value_typeEPSL_NS1_7vsmem_tEENKUlT_SJ_SK_SL_E_clISE_PxSF_SF_EESI_SY_SJ_SK_SL_EUlSY_E_NS1_11comp_targetILNS1_3genE8ELNS1_11target_archE1030ELNS1_3gpuE2ELNS1_3repE0EEENS1_48merge_mergepath_partition_config_static_selectorELNS0_4arch9wavefront6targetE0EEEvSK_.num_named_barrier, 0
	.set _ZN7rocprim17ROCPRIM_400000_NS6detail17trampoline_kernelINS0_14default_configENS1_38merge_sort_block_merge_config_selectorIxNS0_10empty_typeEEEZZNS1_27merge_sort_block_merge_implIS3_N6thrust23THRUST_200600_302600_NS6detail15normal_iteratorINS9_10device_ptrIxEEEEPS5_m9comp_mod3IxEEE10hipError_tT0_T1_T2_jT3_P12ihipStream_tbPNSt15iterator_traitsISJ_E10value_typeEPNSP_ISK_E10value_typeEPSL_NS1_7vsmem_tEENKUlT_SJ_SK_SL_E_clISE_PxSF_SF_EESI_SY_SJ_SK_SL_EUlSY_E_NS1_11comp_targetILNS1_3genE8ELNS1_11target_archE1030ELNS1_3gpuE2ELNS1_3repE0EEENS1_48merge_mergepath_partition_config_static_selectorELNS0_4arch9wavefront6targetE0EEEvSK_.private_seg_size, 0
	.set _ZN7rocprim17ROCPRIM_400000_NS6detail17trampoline_kernelINS0_14default_configENS1_38merge_sort_block_merge_config_selectorIxNS0_10empty_typeEEEZZNS1_27merge_sort_block_merge_implIS3_N6thrust23THRUST_200600_302600_NS6detail15normal_iteratorINS9_10device_ptrIxEEEEPS5_m9comp_mod3IxEEE10hipError_tT0_T1_T2_jT3_P12ihipStream_tbPNSt15iterator_traitsISJ_E10value_typeEPNSP_ISK_E10value_typeEPSL_NS1_7vsmem_tEENKUlT_SJ_SK_SL_E_clISE_PxSF_SF_EESI_SY_SJ_SK_SL_EUlSY_E_NS1_11comp_targetILNS1_3genE8ELNS1_11target_archE1030ELNS1_3gpuE2ELNS1_3repE0EEENS1_48merge_mergepath_partition_config_static_selectorELNS0_4arch9wavefront6targetE0EEEvSK_.uses_vcc, 1
	.set _ZN7rocprim17ROCPRIM_400000_NS6detail17trampoline_kernelINS0_14default_configENS1_38merge_sort_block_merge_config_selectorIxNS0_10empty_typeEEEZZNS1_27merge_sort_block_merge_implIS3_N6thrust23THRUST_200600_302600_NS6detail15normal_iteratorINS9_10device_ptrIxEEEEPS5_m9comp_mod3IxEEE10hipError_tT0_T1_T2_jT3_P12ihipStream_tbPNSt15iterator_traitsISJ_E10value_typeEPNSP_ISK_E10value_typeEPSL_NS1_7vsmem_tEENKUlT_SJ_SK_SL_E_clISE_PxSF_SF_EESI_SY_SJ_SK_SL_EUlSY_E_NS1_11comp_targetILNS1_3genE8ELNS1_11target_archE1030ELNS1_3gpuE2ELNS1_3repE0EEENS1_48merge_mergepath_partition_config_static_selectorELNS0_4arch9wavefront6targetE0EEEvSK_.uses_flat_scratch, 0
	.set _ZN7rocprim17ROCPRIM_400000_NS6detail17trampoline_kernelINS0_14default_configENS1_38merge_sort_block_merge_config_selectorIxNS0_10empty_typeEEEZZNS1_27merge_sort_block_merge_implIS3_N6thrust23THRUST_200600_302600_NS6detail15normal_iteratorINS9_10device_ptrIxEEEEPS5_m9comp_mod3IxEEE10hipError_tT0_T1_T2_jT3_P12ihipStream_tbPNSt15iterator_traitsISJ_E10value_typeEPNSP_ISK_E10value_typeEPSL_NS1_7vsmem_tEENKUlT_SJ_SK_SL_E_clISE_PxSF_SF_EESI_SY_SJ_SK_SL_EUlSY_E_NS1_11comp_targetILNS1_3genE8ELNS1_11target_archE1030ELNS1_3gpuE2ELNS1_3repE0EEENS1_48merge_mergepath_partition_config_static_selectorELNS0_4arch9wavefront6targetE0EEEvSK_.has_dyn_sized_stack, 0
	.set _ZN7rocprim17ROCPRIM_400000_NS6detail17trampoline_kernelINS0_14default_configENS1_38merge_sort_block_merge_config_selectorIxNS0_10empty_typeEEEZZNS1_27merge_sort_block_merge_implIS3_N6thrust23THRUST_200600_302600_NS6detail15normal_iteratorINS9_10device_ptrIxEEEEPS5_m9comp_mod3IxEEE10hipError_tT0_T1_T2_jT3_P12ihipStream_tbPNSt15iterator_traitsISJ_E10value_typeEPNSP_ISK_E10value_typeEPSL_NS1_7vsmem_tEENKUlT_SJ_SK_SL_E_clISE_PxSF_SF_EESI_SY_SJ_SK_SL_EUlSY_E_NS1_11comp_targetILNS1_3genE8ELNS1_11target_archE1030ELNS1_3gpuE2ELNS1_3repE0EEENS1_48merge_mergepath_partition_config_static_selectorELNS0_4arch9wavefront6targetE0EEEvSK_.has_recursion, 0
	.set _ZN7rocprim17ROCPRIM_400000_NS6detail17trampoline_kernelINS0_14default_configENS1_38merge_sort_block_merge_config_selectorIxNS0_10empty_typeEEEZZNS1_27merge_sort_block_merge_implIS3_N6thrust23THRUST_200600_302600_NS6detail15normal_iteratorINS9_10device_ptrIxEEEEPS5_m9comp_mod3IxEEE10hipError_tT0_T1_T2_jT3_P12ihipStream_tbPNSt15iterator_traitsISJ_E10value_typeEPNSP_ISK_E10value_typeEPSL_NS1_7vsmem_tEENKUlT_SJ_SK_SL_E_clISE_PxSF_SF_EESI_SY_SJ_SK_SL_EUlSY_E_NS1_11comp_targetILNS1_3genE8ELNS1_11target_archE1030ELNS1_3gpuE2ELNS1_3repE0EEENS1_48merge_mergepath_partition_config_static_selectorELNS0_4arch9wavefront6targetE0EEEvSK_.has_indirect_call, 0
	.section	.AMDGPU.csdata,"",@progbits
; Kernel info:
; codeLenInByte = 732
; TotalNumSgprs: 14
; NumVgprs: 19
; ScratchSize: 0
; MemoryBound: 0
; FloatMode: 240
; IeeeMode: 1
; LDSByteSize: 0 bytes/workgroup (compile time only)
; SGPRBlocks: 0
; VGPRBlocks: 2
; NumSGPRsForWavesPerEU: 14
; NumVGPRsForWavesPerEU: 19
; Occupancy: 16
; WaveLimiterHint : 1
; COMPUTE_PGM_RSRC2:SCRATCH_EN: 0
; COMPUTE_PGM_RSRC2:USER_SGPR: 6
; COMPUTE_PGM_RSRC2:TRAP_HANDLER: 0
; COMPUTE_PGM_RSRC2:TGID_X_EN: 1
; COMPUTE_PGM_RSRC2:TGID_Y_EN: 0
; COMPUTE_PGM_RSRC2:TGID_Z_EN: 0
; COMPUTE_PGM_RSRC2:TIDIG_COMP_CNT: 0
	.section	.text._ZN7rocprim17ROCPRIM_400000_NS6detail17trampoline_kernelINS0_14default_configENS1_38merge_sort_block_merge_config_selectorIxNS0_10empty_typeEEEZZNS1_27merge_sort_block_merge_implIS3_N6thrust23THRUST_200600_302600_NS6detail15normal_iteratorINS9_10device_ptrIxEEEEPS5_m9comp_mod3IxEEE10hipError_tT0_T1_T2_jT3_P12ihipStream_tbPNSt15iterator_traitsISJ_E10value_typeEPNSP_ISK_E10value_typeEPSL_NS1_7vsmem_tEENKUlT_SJ_SK_SL_E_clISE_PxSF_SF_EESI_SY_SJ_SK_SL_EUlSY_E0_NS1_11comp_targetILNS1_3genE0ELNS1_11target_archE4294967295ELNS1_3gpuE0ELNS1_3repE0EEENS1_38merge_mergepath_config_static_selectorELNS0_4arch9wavefront6targetE0EEEvSK_,"axG",@progbits,_ZN7rocprim17ROCPRIM_400000_NS6detail17trampoline_kernelINS0_14default_configENS1_38merge_sort_block_merge_config_selectorIxNS0_10empty_typeEEEZZNS1_27merge_sort_block_merge_implIS3_N6thrust23THRUST_200600_302600_NS6detail15normal_iteratorINS9_10device_ptrIxEEEEPS5_m9comp_mod3IxEEE10hipError_tT0_T1_T2_jT3_P12ihipStream_tbPNSt15iterator_traitsISJ_E10value_typeEPNSP_ISK_E10value_typeEPSL_NS1_7vsmem_tEENKUlT_SJ_SK_SL_E_clISE_PxSF_SF_EESI_SY_SJ_SK_SL_EUlSY_E0_NS1_11comp_targetILNS1_3genE0ELNS1_11target_archE4294967295ELNS1_3gpuE0ELNS1_3repE0EEENS1_38merge_mergepath_config_static_selectorELNS0_4arch9wavefront6targetE0EEEvSK_,comdat
	.protected	_ZN7rocprim17ROCPRIM_400000_NS6detail17trampoline_kernelINS0_14default_configENS1_38merge_sort_block_merge_config_selectorIxNS0_10empty_typeEEEZZNS1_27merge_sort_block_merge_implIS3_N6thrust23THRUST_200600_302600_NS6detail15normal_iteratorINS9_10device_ptrIxEEEEPS5_m9comp_mod3IxEEE10hipError_tT0_T1_T2_jT3_P12ihipStream_tbPNSt15iterator_traitsISJ_E10value_typeEPNSP_ISK_E10value_typeEPSL_NS1_7vsmem_tEENKUlT_SJ_SK_SL_E_clISE_PxSF_SF_EESI_SY_SJ_SK_SL_EUlSY_E0_NS1_11comp_targetILNS1_3genE0ELNS1_11target_archE4294967295ELNS1_3gpuE0ELNS1_3repE0EEENS1_38merge_mergepath_config_static_selectorELNS0_4arch9wavefront6targetE0EEEvSK_ ; -- Begin function _ZN7rocprim17ROCPRIM_400000_NS6detail17trampoline_kernelINS0_14default_configENS1_38merge_sort_block_merge_config_selectorIxNS0_10empty_typeEEEZZNS1_27merge_sort_block_merge_implIS3_N6thrust23THRUST_200600_302600_NS6detail15normal_iteratorINS9_10device_ptrIxEEEEPS5_m9comp_mod3IxEEE10hipError_tT0_T1_T2_jT3_P12ihipStream_tbPNSt15iterator_traitsISJ_E10value_typeEPNSP_ISK_E10value_typeEPSL_NS1_7vsmem_tEENKUlT_SJ_SK_SL_E_clISE_PxSF_SF_EESI_SY_SJ_SK_SL_EUlSY_E0_NS1_11comp_targetILNS1_3genE0ELNS1_11target_archE4294967295ELNS1_3gpuE0ELNS1_3repE0EEENS1_38merge_mergepath_config_static_selectorELNS0_4arch9wavefront6targetE0EEEvSK_
	.globl	_ZN7rocprim17ROCPRIM_400000_NS6detail17trampoline_kernelINS0_14default_configENS1_38merge_sort_block_merge_config_selectorIxNS0_10empty_typeEEEZZNS1_27merge_sort_block_merge_implIS3_N6thrust23THRUST_200600_302600_NS6detail15normal_iteratorINS9_10device_ptrIxEEEEPS5_m9comp_mod3IxEEE10hipError_tT0_T1_T2_jT3_P12ihipStream_tbPNSt15iterator_traitsISJ_E10value_typeEPNSP_ISK_E10value_typeEPSL_NS1_7vsmem_tEENKUlT_SJ_SK_SL_E_clISE_PxSF_SF_EESI_SY_SJ_SK_SL_EUlSY_E0_NS1_11comp_targetILNS1_3genE0ELNS1_11target_archE4294967295ELNS1_3gpuE0ELNS1_3repE0EEENS1_38merge_mergepath_config_static_selectorELNS0_4arch9wavefront6targetE0EEEvSK_
	.p2align	8
	.type	_ZN7rocprim17ROCPRIM_400000_NS6detail17trampoline_kernelINS0_14default_configENS1_38merge_sort_block_merge_config_selectorIxNS0_10empty_typeEEEZZNS1_27merge_sort_block_merge_implIS3_N6thrust23THRUST_200600_302600_NS6detail15normal_iteratorINS9_10device_ptrIxEEEEPS5_m9comp_mod3IxEEE10hipError_tT0_T1_T2_jT3_P12ihipStream_tbPNSt15iterator_traitsISJ_E10value_typeEPNSP_ISK_E10value_typeEPSL_NS1_7vsmem_tEENKUlT_SJ_SK_SL_E_clISE_PxSF_SF_EESI_SY_SJ_SK_SL_EUlSY_E0_NS1_11comp_targetILNS1_3genE0ELNS1_11target_archE4294967295ELNS1_3gpuE0ELNS1_3repE0EEENS1_38merge_mergepath_config_static_selectorELNS0_4arch9wavefront6targetE0EEEvSK_,@function
_ZN7rocprim17ROCPRIM_400000_NS6detail17trampoline_kernelINS0_14default_configENS1_38merge_sort_block_merge_config_selectorIxNS0_10empty_typeEEEZZNS1_27merge_sort_block_merge_implIS3_N6thrust23THRUST_200600_302600_NS6detail15normal_iteratorINS9_10device_ptrIxEEEEPS5_m9comp_mod3IxEEE10hipError_tT0_T1_T2_jT3_P12ihipStream_tbPNSt15iterator_traitsISJ_E10value_typeEPNSP_ISK_E10value_typeEPSL_NS1_7vsmem_tEENKUlT_SJ_SK_SL_E_clISE_PxSF_SF_EESI_SY_SJ_SK_SL_EUlSY_E0_NS1_11comp_targetILNS1_3genE0ELNS1_11target_archE4294967295ELNS1_3gpuE0ELNS1_3repE0EEENS1_38merge_mergepath_config_static_selectorELNS0_4arch9wavefront6targetE0EEEvSK_: ; @_ZN7rocprim17ROCPRIM_400000_NS6detail17trampoline_kernelINS0_14default_configENS1_38merge_sort_block_merge_config_selectorIxNS0_10empty_typeEEEZZNS1_27merge_sort_block_merge_implIS3_N6thrust23THRUST_200600_302600_NS6detail15normal_iteratorINS9_10device_ptrIxEEEEPS5_m9comp_mod3IxEEE10hipError_tT0_T1_T2_jT3_P12ihipStream_tbPNSt15iterator_traitsISJ_E10value_typeEPNSP_ISK_E10value_typeEPSL_NS1_7vsmem_tEENKUlT_SJ_SK_SL_E_clISE_PxSF_SF_EESI_SY_SJ_SK_SL_EUlSY_E0_NS1_11comp_targetILNS1_3genE0ELNS1_11target_archE4294967295ELNS1_3gpuE0ELNS1_3repE0EEENS1_38merge_mergepath_config_static_selectorELNS0_4arch9wavefront6targetE0EEEvSK_
; %bb.0:
	.section	.rodata,"a",@progbits
	.p2align	6, 0x0
	.amdhsa_kernel _ZN7rocprim17ROCPRIM_400000_NS6detail17trampoline_kernelINS0_14default_configENS1_38merge_sort_block_merge_config_selectorIxNS0_10empty_typeEEEZZNS1_27merge_sort_block_merge_implIS3_N6thrust23THRUST_200600_302600_NS6detail15normal_iteratorINS9_10device_ptrIxEEEEPS5_m9comp_mod3IxEEE10hipError_tT0_T1_T2_jT3_P12ihipStream_tbPNSt15iterator_traitsISJ_E10value_typeEPNSP_ISK_E10value_typeEPSL_NS1_7vsmem_tEENKUlT_SJ_SK_SL_E_clISE_PxSF_SF_EESI_SY_SJ_SK_SL_EUlSY_E0_NS1_11comp_targetILNS1_3genE0ELNS1_11target_archE4294967295ELNS1_3gpuE0ELNS1_3repE0EEENS1_38merge_mergepath_config_static_selectorELNS0_4arch9wavefront6targetE0EEEvSK_
		.amdhsa_group_segment_fixed_size 0
		.amdhsa_private_segment_fixed_size 0
		.amdhsa_kernarg_size 80
		.amdhsa_user_sgpr_count 6
		.amdhsa_user_sgpr_private_segment_buffer 1
		.amdhsa_user_sgpr_dispatch_ptr 0
		.amdhsa_user_sgpr_queue_ptr 0
		.amdhsa_user_sgpr_kernarg_segment_ptr 1
		.amdhsa_user_sgpr_dispatch_id 0
		.amdhsa_user_sgpr_flat_scratch_init 0
		.amdhsa_user_sgpr_private_segment_size 0
		.amdhsa_wavefront_size32 1
		.amdhsa_uses_dynamic_stack 0
		.amdhsa_system_sgpr_private_segment_wavefront_offset 0
		.amdhsa_system_sgpr_workgroup_id_x 1
		.amdhsa_system_sgpr_workgroup_id_y 0
		.amdhsa_system_sgpr_workgroup_id_z 0
		.amdhsa_system_sgpr_workgroup_info 0
		.amdhsa_system_vgpr_workitem_id 0
		.amdhsa_next_free_vgpr 1
		.amdhsa_next_free_sgpr 1
		.amdhsa_reserve_vcc 0
		.amdhsa_reserve_flat_scratch 0
		.amdhsa_float_round_mode_32 0
		.amdhsa_float_round_mode_16_64 0
		.amdhsa_float_denorm_mode_32 3
		.amdhsa_float_denorm_mode_16_64 3
		.amdhsa_dx10_clamp 1
		.amdhsa_ieee_mode 1
		.amdhsa_fp16_overflow 0
		.amdhsa_workgroup_processor_mode 1
		.amdhsa_memory_ordered 1
		.amdhsa_forward_progress 1
		.amdhsa_shared_vgpr_count 0
		.amdhsa_exception_fp_ieee_invalid_op 0
		.amdhsa_exception_fp_denorm_src 0
		.amdhsa_exception_fp_ieee_div_zero 0
		.amdhsa_exception_fp_ieee_overflow 0
		.amdhsa_exception_fp_ieee_underflow 0
		.amdhsa_exception_fp_ieee_inexact 0
		.amdhsa_exception_int_div_zero 0
	.end_amdhsa_kernel
	.section	.text._ZN7rocprim17ROCPRIM_400000_NS6detail17trampoline_kernelINS0_14default_configENS1_38merge_sort_block_merge_config_selectorIxNS0_10empty_typeEEEZZNS1_27merge_sort_block_merge_implIS3_N6thrust23THRUST_200600_302600_NS6detail15normal_iteratorINS9_10device_ptrIxEEEEPS5_m9comp_mod3IxEEE10hipError_tT0_T1_T2_jT3_P12ihipStream_tbPNSt15iterator_traitsISJ_E10value_typeEPNSP_ISK_E10value_typeEPSL_NS1_7vsmem_tEENKUlT_SJ_SK_SL_E_clISE_PxSF_SF_EESI_SY_SJ_SK_SL_EUlSY_E0_NS1_11comp_targetILNS1_3genE0ELNS1_11target_archE4294967295ELNS1_3gpuE0ELNS1_3repE0EEENS1_38merge_mergepath_config_static_selectorELNS0_4arch9wavefront6targetE0EEEvSK_,"axG",@progbits,_ZN7rocprim17ROCPRIM_400000_NS6detail17trampoline_kernelINS0_14default_configENS1_38merge_sort_block_merge_config_selectorIxNS0_10empty_typeEEEZZNS1_27merge_sort_block_merge_implIS3_N6thrust23THRUST_200600_302600_NS6detail15normal_iteratorINS9_10device_ptrIxEEEEPS5_m9comp_mod3IxEEE10hipError_tT0_T1_T2_jT3_P12ihipStream_tbPNSt15iterator_traitsISJ_E10value_typeEPNSP_ISK_E10value_typeEPSL_NS1_7vsmem_tEENKUlT_SJ_SK_SL_E_clISE_PxSF_SF_EESI_SY_SJ_SK_SL_EUlSY_E0_NS1_11comp_targetILNS1_3genE0ELNS1_11target_archE4294967295ELNS1_3gpuE0ELNS1_3repE0EEENS1_38merge_mergepath_config_static_selectorELNS0_4arch9wavefront6targetE0EEEvSK_,comdat
.Lfunc_end963:
	.size	_ZN7rocprim17ROCPRIM_400000_NS6detail17trampoline_kernelINS0_14default_configENS1_38merge_sort_block_merge_config_selectorIxNS0_10empty_typeEEEZZNS1_27merge_sort_block_merge_implIS3_N6thrust23THRUST_200600_302600_NS6detail15normal_iteratorINS9_10device_ptrIxEEEEPS5_m9comp_mod3IxEEE10hipError_tT0_T1_T2_jT3_P12ihipStream_tbPNSt15iterator_traitsISJ_E10value_typeEPNSP_ISK_E10value_typeEPSL_NS1_7vsmem_tEENKUlT_SJ_SK_SL_E_clISE_PxSF_SF_EESI_SY_SJ_SK_SL_EUlSY_E0_NS1_11comp_targetILNS1_3genE0ELNS1_11target_archE4294967295ELNS1_3gpuE0ELNS1_3repE0EEENS1_38merge_mergepath_config_static_selectorELNS0_4arch9wavefront6targetE0EEEvSK_, .Lfunc_end963-_ZN7rocprim17ROCPRIM_400000_NS6detail17trampoline_kernelINS0_14default_configENS1_38merge_sort_block_merge_config_selectorIxNS0_10empty_typeEEEZZNS1_27merge_sort_block_merge_implIS3_N6thrust23THRUST_200600_302600_NS6detail15normal_iteratorINS9_10device_ptrIxEEEEPS5_m9comp_mod3IxEEE10hipError_tT0_T1_T2_jT3_P12ihipStream_tbPNSt15iterator_traitsISJ_E10value_typeEPNSP_ISK_E10value_typeEPSL_NS1_7vsmem_tEENKUlT_SJ_SK_SL_E_clISE_PxSF_SF_EESI_SY_SJ_SK_SL_EUlSY_E0_NS1_11comp_targetILNS1_3genE0ELNS1_11target_archE4294967295ELNS1_3gpuE0ELNS1_3repE0EEENS1_38merge_mergepath_config_static_selectorELNS0_4arch9wavefront6targetE0EEEvSK_
                                        ; -- End function
	.set _ZN7rocprim17ROCPRIM_400000_NS6detail17trampoline_kernelINS0_14default_configENS1_38merge_sort_block_merge_config_selectorIxNS0_10empty_typeEEEZZNS1_27merge_sort_block_merge_implIS3_N6thrust23THRUST_200600_302600_NS6detail15normal_iteratorINS9_10device_ptrIxEEEEPS5_m9comp_mod3IxEEE10hipError_tT0_T1_T2_jT3_P12ihipStream_tbPNSt15iterator_traitsISJ_E10value_typeEPNSP_ISK_E10value_typeEPSL_NS1_7vsmem_tEENKUlT_SJ_SK_SL_E_clISE_PxSF_SF_EESI_SY_SJ_SK_SL_EUlSY_E0_NS1_11comp_targetILNS1_3genE0ELNS1_11target_archE4294967295ELNS1_3gpuE0ELNS1_3repE0EEENS1_38merge_mergepath_config_static_selectorELNS0_4arch9wavefront6targetE0EEEvSK_.num_vgpr, 0
	.set _ZN7rocprim17ROCPRIM_400000_NS6detail17trampoline_kernelINS0_14default_configENS1_38merge_sort_block_merge_config_selectorIxNS0_10empty_typeEEEZZNS1_27merge_sort_block_merge_implIS3_N6thrust23THRUST_200600_302600_NS6detail15normal_iteratorINS9_10device_ptrIxEEEEPS5_m9comp_mod3IxEEE10hipError_tT0_T1_T2_jT3_P12ihipStream_tbPNSt15iterator_traitsISJ_E10value_typeEPNSP_ISK_E10value_typeEPSL_NS1_7vsmem_tEENKUlT_SJ_SK_SL_E_clISE_PxSF_SF_EESI_SY_SJ_SK_SL_EUlSY_E0_NS1_11comp_targetILNS1_3genE0ELNS1_11target_archE4294967295ELNS1_3gpuE0ELNS1_3repE0EEENS1_38merge_mergepath_config_static_selectorELNS0_4arch9wavefront6targetE0EEEvSK_.num_agpr, 0
	.set _ZN7rocprim17ROCPRIM_400000_NS6detail17trampoline_kernelINS0_14default_configENS1_38merge_sort_block_merge_config_selectorIxNS0_10empty_typeEEEZZNS1_27merge_sort_block_merge_implIS3_N6thrust23THRUST_200600_302600_NS6detail15normal_iteratorINS9_10device_ptrIxEEEEPS5_m9comp_mod3IxEEE10hipError_tT0_T1_T2_jT3_P12ihipStream_tbPNSt15iterator_traitsISJ_E10value_typeEPNSP_ISK_E10value_typeEPSL_NS1_7vsmem_tEENKUlT_SJ_SK_SL_E_clISE_PxSF_SF_EESI_SY_SJ_SK_SL_EUlSY_E0_NS1_11comp_targetILNS1_3genE0ELNS1_11target_archE4294967295ELNS1_3gpuE0ELNS1_3repE0EEENS1_38merge_mergepath_config_static_selectorELNS0_4arch9wavefront6targetE0EEEvSK_.numbered_sgpr, 0
	.set _ZN7rocprim17ROCPRIM_400000_NS6detail17trampoline_kernelINS0_14default_configENS1_38merge_sort_block_merge_config_selectorIxNS0_10empty_typeEEEZZNS1_27merge_sort_block_merge_implIS3_N6thrust23THRUST_200600_302600_NS6detail15normal_iteratorINS9_10device_ptrIxEEEEPS5_m9comp_mod3IxEEE10hipError_tT0_T1_T2_jT3_P12ihipStream_tbPNSt15iterator_traitsISJ_E10value_typeEPNSP_ISK_E10value_typeEPSL_NS1_7vsmem_tEENKUlT_SJ_SK_SL_E_clISE_PxSF_SF_EESI_SY_SJ_SK_SL_EUlSY_E0_NS1_11comp_targetILNS1_3genE0ELNS1_11target_archE4294967295ELNS1_3gpuE0ELNS1_3repE0EEENS1_38merge_mergepath_config_static_selectorELNS0_4arch9wavefront6targetE0EEEvSK_.num_named_barrier, 0
	.set _ZN7rocprim17ROCPRIM_400000_NS6detail17trampoline_kernelINS0_14default_configENS1_38merge_sort_block_merge_config_selectorIxNS0_10empty_typeEEEZZNS1_27merge_sort_block_merge_implIS3_N6thrust23THRUST_200600_302600_NS6detail15normal_iteratorINS9_10device_ptrIxEEEEPS5_m9comp_mod3IxEEE10hipError_tT0_T1_T2_jT3_P12ihipStream_tbPNSt15iterator_traitsISJ_E10value_typeEPNSP_ISK_E10value_typeEPSL_NS1_7vsmem_tEENKUlT_SJ_SK_SL_E_clISE_PxSF_SF_EESI_SY_SJ_SK_SL_EUlSY_E0_NS1_11comp_targetILNS1_3genE0ELNS1_11target_archE4294967295ELNS1_3gpuE0ELNS1_3repE0EEENS1_38merge_mergepath_config_static_selectorELNS0_4arch9wavefront6targetE0EEEvSK_.private_seg_size, 0
	.set _ZN7rocprim17ROCPRIM_400000_NS6detail17trampoline_kernelINS0_14default_configENS1_38merge_sort_block_merge_config_selectorIxNS0_10empty_typeEEEZZNS1_27merge_sort_block_merge_implIS3_N6thrust23THRUST_200600_302600_NS6detail15normal_iteratorINS9_10device_ptrIxEEEEPS5_m9comp_mod3IxEEE10hipError_tT0_T1_T2_jT3_P12ihipStream_tbPNSt15iterator_traitsISJ_E10value_typeEPNSP_ISK_E10value_typeEPSL_NS1_7vsmem_tEENKUlT_SJ_SK_SL_E_clISE_PxSF_SF_EESI_SY_SJ_SK_SL_EUlSY_E0_NS1_11comp_targetILNS1_3genE0ELNS1_11target_archE4294967295ELNS1_3gpuE0ELNS1_3repE0EEENS1_38merge_mergepath_config_static_selectorELNS0_4arch9wavefront6targetE0EEEvSK_.uses_vcc, 0
	.set _ZN7rocprim17ROCPRIM_400000_NS6detail17trampoline_kernelINS0_14default_configENS1_38merge_sort_block_merge_config_selectorIxNS0_10empty_typeEEEZZNS1_27merge_sort_block_merge_implIS3_N6thrust23THRUST_200600_302600_NS6detail15normal_iteratorINS9_10device_ptrIxEEEEPS5_m9comp_mod3IxEEE10hipError_tT0_T1_T2_jT3_P12ihipStream_tbPNSt15iterator_traitsISJ_E10value_typeEPNSP_ISK_E10value_typeEPSL_NS1_7vsmem_tEENKUlT_SJ_SK_SL_E_clISE_PxSF_SF_EESI_SY_SJ_SK_SL_EUlSY_E0_NS1_11comp_targetILNS1_3genE0ELNS1_11target_archE4294967295ELNS1_3gpuE0ELNS1_3repE0EEENS1_38merge_mergepath_config_static_selectorELNS0_4arch9wavefront6targetE0EEEvSK_.uses_flat_scratch, 0
	.set _ZN7rocprim17ROCPRIM_400000_NS6detail17trampoline_kernelINS0_14default_configENS1_38merge_sort_block_merge_config_selectorIxNS0_10empty_typeEEEZZNS1_27merge_sort_block_merge_implIS3_N6thrust23THRUST_200600_302600_NS6detail15normal_iteratorINS9_10device_ptrIxEEEEPS5_m9comp_mod3IxEEE10hipError_tT0_T1_T2_jT3_P12ihipStream_tbPNSt15iterator_traitsISJ_E10value_typeEPNSP_ISK_E10value_typeEPSL_NS1_7vsmem_tEENKUlT_SJ_SK_SL_E_clISE_PxSF_SF_EESI_SY_SJ_SK_SL_EUlSY_E0_NS1_11comp_targetILNS1_3genE0ELNS1_11target_archE4294967295ELNS1_3gpuE0ELNS1_3repE0EEENS1_38merge_mergepath_config_static_selectorELNS0_4arch9wavefront6targetE0EEEvSK_.has_dyn_sized_stack, 0
	.set _ZN7rocprim17ROCPRIM_400000_NS6detail17trampoline_kernelINS0_14default_configENS1_38merge_sort_block_merge_config_selectorIxNS0_10empty_typeEEEZZNS1_27merge_sort_block_merge_implIS3_N6thrust23THRUST_200600_302600_NS6detail15normal_iteratorINS9_10device_ptrIxEEEEPS5_m9comp_mod3IxEEE10hipError_tT0_T1_T2_jT3_P12ihipStream_tbPNSt15iterator_traitsISJ_E10value_typeEPNSP_ISK_E10value_typeEPSL_NS1_7vsmem_tEENKUlT_SJ_SK_SL_E_clISE_PxSF_SF_EESI_SY_SJ_SK_SL_EUlSY_E0_NS1_11comp_targetILNS1_3genE0ELNS1_11target_archE4294967295ELNS1_3gpuE0ELNS1_3repE0EEENS1_38merge_mergepath_config_static_selectorELNS0_4arch9wavefront6targetE0EEEvSK_.has_recursion, 0
	.set _ZN7rocprim17ROCPRIM_400000_NS6detail17trampoline_kernelINS0_14default_configENS1_38merge_sort_block_merge_config_selectorIxNS0_10empty_typeEEEZZNS1_27merge_sort_block_merge_implIS3_N6thrust23THRUST_200600_302600_NS6detail15normal_iteratorINS9_10device_ptrIxEEEEPS5_m9comp_mod3IxEEE10hipError_tT0_T1_T2_jT3_P12ihipStream_tbPNSt15iterator_traitsISJ_E10value_typeEPNSP_ISK_E10value_typeEPSL_NS1_7vsmem_tEENKUlT_SJ_SK_SL_E_clISE_PxSF_SF_EESI_SY_SJ_SK_SL_EUlSY_E0_NS1_11comp_targetILNS1_3genE0ELNS1_11target_archE4294967295ELNS1_3gpuE0ELNS1_3repE0EEENS1_38merge_mergepath_config_static_selectorELNS0_4arch9wavefront6targetE0EEEvSK_.has_indirect_call, 0
	.section	.AMDGPU.csdata,"",@progbits
; Kernel info:
; codeLenInByte = 0
; TotalNumSgprs: 0
; NumVgprs: 0
; ScratchSize: 0
; MemoryBound: 0
; FloatMode: 240
; IeeeMode: 1
; LDSByteSize: 0 bytes/workgroup (compile time only)
; SGPRBlocks: 0
; VGPRBlocks: 0
; NumSGPRsForWavesPerEU: 1
; NumVGPRsForWavesPerEU: 1
; Occupancy: 16
; WaveLimiterHint : 0
; COMPUTE_PGM_RSRC2:SCRATCH_EN: 0
; COMPUTE_PGM_RSRC2:USER_SGPR: 6
; COMPUTE_PGM_RSRC2:TRAP_HANDLER: 0
; COMPUTE_PGM_RSRC2:TGID_X_EN: 1
; COMPUTE_PGM_RSRC2:TGID_Y_EN: 0
; COMPUTE_PGM_RSRC2:TGID_Z_EN: 0
; COMPUTE_PGM_RSRC2:TIDIG_COMP_CNT: 0
	.section	.text._ZN7rocprim17ROCPRIM_400000_NS6detail17trampoline_kernelINS0_14default_configENS1_38merge_sort_block_merge_config_selectorIxNS0_10empty_typeEEEZZNS1_27merge_sort_block_merge_implIS3_N6thrust23THRUST_200600_302600_NS6detail15normal_iteratorINS9_10device_ptrIxEEEEPS5_m9comp_mod3IxEEE10hipError_tT0_T1_T2_jT3_P12ihipStream_tbPNSt15iterator_traitsISJ_E10value_typeEPNSP_ISK_E10value_typeEPSL_NS1_7vsmem_tEENKUlT_SJ_SK_SL_E_clISE_PxSF_SF_EESI_SY_SJ_SK_SL_EUlSY_E0_NS1_11comp_targetILNS1_3genE10ELNS1_11target_archE1201ELNS1_3gpuE5ELNS1_3repE0EEENS1_38merge_mergepath_config_static_selectorELNS0_4arch9wavefront6targetE0EEEvSK_,"axG",@progbits,_ZN7rocprim17ROCPRIM_400000_NS6detail17trampoline_kernelINS0_14default_configENS1_38merge_sort_block_merge_config_selectorIxNS0_10empty_typeEEEZZNS1_27merge_sort_block_merge_implIS3_N6thrust23THRUST_200600_302600_NS6detail15normal_iteratorINS9_10device_ptrIxEEEEPS5_m9comp_mod3IxEEE10hipError_tT0_T1_T2_jT3_P12ihipStream_tbPNSt15iterator_traitsISJ_E10value_typeEPNSP_ISK_E10value_typeEPSL_NS1_7vsmem_tEENKUlT_SJ_SK_SL_E_clISE_PxSF_SF_EESI_SY_SJ_SK_SL_EUlSY_E0_NS1_11comp_targetILNS1_3genE10ELNS1_11target_archE1201ELNS1_3gpuE5ELNS1_3repE0EEENS1_38merge_mergepath_config_static_selectorELNS0_4arch9wavefront6targetE0EEEvSK_,comdat
	.protected	_ZN7rocprim17ROCPRIM_400000_NS6detail17trampoline_kernelINS0_14default_configENS1_38merge_sort_block_merge_config_selectorIxNS0_10empty_typeEEEZZNS1_27merge_sort_block_merge_implIS3_N6thrust23THRUST_200600_302600_NS6detail15normal_iteratorINS9_10device_ptrIxEEEEPS5_m9comp_mod3IxEEE10hipError_tT0_T1_T2_jT3_P12ihipStream_tbPNSt15iterator_traitsISJ_E10value_typeEPNSP_ISK_E10value_typeEPSL_NS1_7vsmem_tEENKUlT_SJ_SK_SL_E_clISE_PxSF_SF_EESI_SY_SJ_SK_SL_EUlSY_E0_NS1_11comp_targetILNS1_3genE10ELNS1_11target_archE1201ELNS1_3gpuE5ELNS1_3repE0EEENS1_38merge_mergepath_config_static_selectorELNS0_4arch9wavefront6targetE0EEEvSK_ ; -- Begin function _ZN7rocprim17ROCPRIM_400000_NS6detail17trampoline_kernelINS0_14default_configENS1_38merge_sort_block_merge_config_selectorIxNS0_10empty_typeEEEZZNS1_27merge_sort_block_merge_implIS3_N6thrust23THRUST_200600_302600_NS6detail15normal_iteratorINS9_10device_ptrIxEEEEPS5_m9comp_mod3IxEEE10hipError_tT0_T1_T2_jT3_P12ihipStream_tbPNSt15iterator_traitsISJ_E10value_typeEPNSP_ISK_E10value_typeEPSL_NS1_7vsmem_tEENKUlT_SJ_SK_SL_E_clISE_PxSF_SF_EESI_SY_SJ_SK_SL_EUlSY_E0_NS1_11comp_targetILNS1_3genE10ELNS1_11target_archE1201ELNS1_3gpuE5ELNS1_3repE0EEENS1_38merge_mergepath_config_static_selectorELNS0_4arch9wavefront6targetE0EEEvSK_
	.globl	_ZN7rocprim17ROCPRIM_400000_NS6detail17trampoline_kernelINS0_14default_configENS1_38merge_sort_block_merge_config_selectorIxNS0_10empty_typeEEEZZNS1_27merge_sort_block_merge_implIS3_N6thrust23THRUST_200600_302600_NS6detail15normal_iteratorINS9_10device_ptrIxEEEEPS5_m9comp_mod3IxEEE10hipError_tT0_T1_T2_jT3_P12ihipStream_tbPNSt15iterator_traitsISJ_E10value_typeEPNSP_ISK_E10value_typeEPSL_NS1_7vsmem_tEENKUlT_SJ_SK_SL_E_clISE_PxSF_SF_EESI_SY_SJ_SK_SL_EUlSY_E0_NS1_11comp_targetILNS1_3genE10ELNS1_11target_archE1201ELNS1_3gpuE5ELNS1_3repE0EEENS1_38merge_mergepath_config_static_selectorELNS0_4arch9wavefront6targetE0EEEvSK_
	.p2align	8
	.type	_ZN7rocprim17ROCPRIM_400000_NS6detail17trampoline_kernelINS0_14default_configENS1_38merge_sort_block_merge_config_selectorIxNS0_10empty_typeEEEZZNS1_27merge_sort_block_merge_implIS3_N6thrust23THRUST_200600_302600_NS6detail15normal_iteratorINS9_10device_ptrIxEEEEPS5_m9comp_mod3IxEEE10hipError_tT0_T1_T2_jT3_P12ihipStream_tbPNSt15iterator_traitsISJ_E10value_typeEPNSP_ISK_E10value_typeEPSL_NS1_7vsmem_tEENKUlT_SJ_SK_SL_E_clISE_PxSF_SF_EESI_SY_SJ_SK_SL_EUlSY_E0_NS1_11comp_targetILNS1_3genE10ELNS1_11target_archE1201ELNS1_3gpuE5ELNS1_3repE0EEENS1_38merge_mergepath_config_static_selectorELNS0_4arch9wavefront6targetE0EEEvSK_,@function
_ZN7rocprim17ROCPRIM_400000_NS6detail17trampoline_kernelINS0_14default_configENS1_38merge_sort_block_merge_config_selectorIxNS0_10empty_typeEEEZZNS1_27merge_sort_block_merge_implIS3_N6thrust23THRUST_200600_302600_NS6detail15normal_iteratorINS9_10device_ptrIxEEEEPS5_m9comp_mod3IxEEE10hipError_tT0_T1_T2_jT3_P12ihipStream_tbPNSt15iterator_traitsISJ_E10value_typeEPNSP_ISK_E10value_typeEPSL_NS1_7vsmem_tEENKUlT_SJ_SK_SL_E_clISE_PxSF_SF_EESI_SY_SJ_SK_SL_EUlSY_E0_NS1_11comp_targetILNS1_3genE10ELNS1_11target_archE1201ELNS1_3gpuE5ELNS1_3repE0EEENS1_38merge_mergepath_config_static_selectorELNS0_4arch9wavefront6targetE0EEEvSK_: ; @_ZN7rocprim17ROCPRIM_400000_NS6detail17trampoline_kernelINS0_14default_configENS1_38merge_sort_block_merge_config_selectorIxNS0_10empty_typeEEEZZNS1_27merge_sort_block_merge_implIS3_N6thrust23THRUST_200600_302600_NS6detail15normal_iteratorINS9_10device_ptrIxEEEEPS5_m9comp_mod3IxEEE10hipError_tT0_T1_T2_jT3_P12ihipStream_tbPNSt15iterator_traitsISJ_E10value_typeEPNSP_ISK_E10value_typeEPSL_NS1_7vsmem_tEENKUlT_SJ_SK_SL_E_clISE_PxSF_SF_EESI_SY_SJ_SK_SL_EUlSY_E0_NS1_11comp_targetILNS1_3genE10ELNS1_11target_archE1201ELNS1_3gpuE5ELNS1_3repE0EEENS1_38merge_mergepath_config_static_selectorELNS0_4arch9wavefront6targetE0EEEvSK_
; %bb.0:
	.section	.rodata,"a",@progbits
	.p2align	6, 0x0
	.amdhsa_kernel _ZN7rocprim17ROCPRIM_400000_NS6detail17trampoline_kernelINS0_14default_configENS1_38merge_sort_block_merge_config_selectorIxNS0_10empty_typeEEEZZNS1_27merge_sort_block_merge_implIS3_N6thrust23THRUST_200600_302600_NS6detail15normal_iteratorINS9_10device_ptrIxEEEEPS5_m9comp_mod3IxEEE10hipError_tT0_T1_T2_jT3_P12ihipStream_tbPNSt15iterator_traitsISJ_E10value_typeEPNSP_ISK_E10value_typeEPSL_NS1_7vsmem_tEENKUlT_SJ_SK_SL_E_clISE_PxSF_SF_EESI_SY_SJ_SK_SL_EUlSY_E0_NS1_11comp_targetILNS1_3genE10ELNS1_11target_archE1201ELNS1_3gpuE5ELNS1_3repE0EEENS1_38merge_mergepath_config_static_selectorELNS0_4arch9wavefront6targetE0EEEvSK_
		.amdhsa_group_segment_fixed_size 0
		.amdhsa_private_segment_fixed_size 0
		.amdhsa_kernarg_size 80
		.amdhsa_user_sgpr_count 6
		.amdhsa_user_sgpr_private_segment_buffer 1
		.amdhsa_user_sgpr_dispatch_ptr 0
		.amdhsa_user_sgpr_queue_ptr 0
		.amdhsa_user_sgpr_kernarg_segment_ptr 1
		.amdhsa_user_sgpr_dispatch_id 0
		.amdhsa_user_sgpr_flat_scratch_init 0
		.amdhsa_user_sgpr_private_segment_size 0
		.amdhsa_wavefront_size32 1
		.amdhsa_uses_dynamic_stack 0
		.amdhsa_system_sgpr_private_segment_wavefront_offset 0
		.amdhsa_system_sgpr_workgroup_id_x 1
		.amdhsa_system_sgpr_workgroup_id_y 0
		.amdhsa_system_sgpr_workgroup_id_z 0
		.amdhsa_system_sgpr_workgroup_info 0
		.amdhsa_system_vgpr_workitem_id 0
		.amdhsa_next_free_vgpr 1
		.amdhsa_next_free_sgpr 1
		.amdhsa_reserve_vcc 0
		.amdhsa_reserve_flat_scratch 0
		.amdhsa_float_round_mode_32 0
		.amdhsa_float_round_mode_16_64 0
		.amdhsa_float_denorm_mode_32 3
		.amdhsa_float_denorm_mode_16_64 3
		.amdhsa_dx10_clamp 1
		.amdhsa_ieee_mode 1
		.amdhsa_fp16_overflow 0
		.amdhsa_workgroup_processor_mode 1
		.amdhsa_memory_ordered 1
		.amdhsa_forward_progress 1
		.amdhsa_shared_vgpr_count 0
		.amdhsa_exception_fp_ieee_invalid_op 0
		.amdhsa_exception_fp_denorm_src 0
		.amdhsa_exception_fp_ieee_div_zero 0
		.amdhsa_exception_fp_ieee_overflow 0
		.amdhsa_exception_fp_ieee_underflow 0
		.amdhsa_exception_fp_ieee_inexact 0
		.amdhsa_exception_int_div_zero 0
	.end_amdhsa_kernel
	.section	.text._ZN7rocprim17ROCPRIM_400000_NS6detail17trampoline_kernelINS0_14default_configENS1_38merge_sort_block_merge_config_selectorIxNS0_10empty_typeEEEZZNS1_27merge_sort_block_merge_implIS3_N6thrust23THRUST_200600_302600_NS6detail15normal_iteratorINS9_10device_ptrIxEEEEPS5_m9comp_mod3IxEEE10hipError_tT0_T1_T2_jT3_P12ihipStream_tbPNSt15iterator_traitsISJ_E10value_typeEPNSP_ISK_E10value_typeEPSL_NS1_7vsmem_tEENKUlT_SJ_SK_SL_E_clISE_PxSF_SF_EESI_SY_SJ_SK_SL_EUlSY_E0_NS1_11comp_targetILNS1_3genE10ELNS1_11target_archE1201ELNS1_3gpuE5ELNS1_3repE0EEENS1_38merge_mergepath_config_static_selectorELNS0_4arch9wavefront6targetE0EEEvSK_,"axG",@progbits,_ZN7rocprim17ROCPRIM_400000_NS6detail17trampoline_kernelINS0_14default_configENS1_38merge_sort_block_merge_config_selectorIxNS0_10empty_typeEEEZZNS1_27merge_sort_block_merge_implIS3_N6thrust23THRUST_200600_302600_NS6detail15normal_iteratorINS9_10device_ptrIxEEEEPS5_m9comp_mod3IxEEE10hipError_tT0_T1_T2_jT3_P12ihipStream_tbPNSt15iterator_traitsISJ_E10value_typeEPNSP_ISK_E10value_typeEPSL_NS1_7vsmem_tEENKUlT_SJ_SK_SL_E_clISE_PxSF_SF_EESI_SY_SJ_SK_SL_EUlSY_E0_NS1_11comp_targetILNS1_3genE10ELNS1_11target_archE1201ELNS1_3gpuE5ELNS1_3repE0EEENS1_38merge_mergepath_config_static_selectorELNS0_4arch9wavefront6targetE0EEEvSK_,comdat
.Lfunc_end964:
	.size	_ZN7rocprim17ROCPRIM_400000_NS6detail17trampoline_kernelINS0_14default_configENS1_38merge_sort_block_merge_config_selectorIxNS0_10empty_typeEEEZZNS1_27merge_sort_block_merge_implIS3_N6thrust23THRUST_200600_302600_NS6detail15normal_iteratorINS9_10device_ptrIxEEEEPS5_m9comp_mod3IxEEE10hipError_tT0_T1_T2_jT3_P12ihipStream_tbPNSt15iterator_traitsISJ_E10value_typeEPNSP_ISK_E10value_typeEPSL_NS1_7vsmem_tEENKUlT_SJ_SK_SL_E_clISE_PxSF_SF_EESI_SY_SJ_SK_SL_EUlSY_E0_NS1_11comp_targetILNS1_3genE10ELNS1_11target_archE1201ELNS1_3gpuE5ELNS1_3repE0EEENS1_38merge_mergepath_config_static_selectorELNS0_4arch9wavefront6targetE0EEEvSK_, .Lfunc_end964-_ZN7rocprim17ROCPRIM_400000_NS6detail17trampoline_kernelINS0_14default_configENS1_38merge_sort_block_merge_config_selectorIxNS0_10empty_typeEEEZZNS1_27merge_sort_block_merge_implIS3_N6thrust23THRUST_200600_302600_NS6detail15normal_iteratorINS9_10device_ptrIxEEEEPS5_m9comp_mod3IxEEE10hipError_tT0_T1_T2_jT3_P12ihipStream_tbPNSt15iterator_traitsISJ_E10value_typeEPNSP_ISK_E10value_typeEPSL_NS1_7vsmem_tEENKUlT_SJ_SK_SL_E_clISE_PxSF_SF_EESI_SY_SJ_SK_SL_EUlSY_E0_NS1_11comp_targetILNS1_3genE10ELNS1_11target_archE1201ELNS1_3gpuE5ELNS1_3repE0EEENS1_38merge_mergepath_config_static_selectorELNS0_4arch9wavefront6targetE0EEEvSK_
                                        ; -- End function
	.set _ZN7rocprim17ROCPRIM_400000_NS6detail17trampoline_kernelINS0_14default_configENS1_38merge_sort_block_merge_config_selectorIxNS0_10empty_typeEEEZZNS1_27merge_sort_block_merge_implIS3_N6thrust23THRUST_200600_302600_NS6detail15normal_iteratorINS9_10device_ptrIxEEEEPS5_m9comp_mod3IxEEE10hipError_tT0_T1_T2_jT3_P12ihipStream_tbPNSt15iterator_traitsISJ_E10value_typeEPNSP_ISK_E10value_typeEPSL_NS1_7vsmem_tEENKUlT_SJ_SK_SL_E_clISE_PxSF_SF_EESI_SY_SJ_SK_SL_EUlSY_E0_NS1_11comp_targetILNS1_3genE10ELNS1_11target_archE1201ELNS1_3gpuE5ELNS1_3repE0EEENS1_38merge_mergepath_config_static_selectorELNS0_4arch9wavefront6targetE0EEEvSK_.num_vgpr, 0
	.set _ZN7rocprim17ROCPRIM_400000_NS6detail17trampoline_kernelINS0_14default_configENS1_38merge_sort_block_merge_config_selectorIxNS0_10empty_typeEEEZZNS1_27merge_sort_block_merge_implIS3_N6thrust23THRUST_200600_302600_NS6detail15normal_iteratorINS9_10device_ptrIxEEEEPS5_m9comp_mod3IxEEE10hipError_tT0_T1_T2_jT3_P12ihipStream_tbPNSt15iterator_traitsISJ_E10value_typeEPNSP_ISK_E10value_typeEPSL_NS1_7vsmem_tEENKUlT_SJ_SK_SL_E_clISE_PxSF_SF_EESI_SY_SJ_SK_SL_EUlSY_E0_NS1_11comp_targetILNS1_3genE10ELNS1_11target_archE1201ELNS1_3gpuE5ELNS1_3repE0EEENS1_38merge_mergepath_config_static_selectorELNS0_4arch9wavefront6targetE0EEEvSK_.num_agpr, 0
	.set _ZN7rocprim17ROCPRIM_400000_NS6detail17trampoline_kernelINS0_14default_configENS1_38merge_sort_block_merge_config_selectorIxNS0_10empty_typeEEEZZNS1_27merge_sort_block_merge_implIS3_N6thrust23THRUST_200600_302600_NS6detail15normal_iteratorINS9_10device_ptrIxEEEEPS5_m9comp_mod3IxEEE10hipError_tT0_T1_T2_jT3_P12ihipStream_tbPNSt15iterator_traitsISJ_E10value_typeEPNSP_ISK_E10value_typeEPSL_NS1_7vsmem_tEENKUlT_SJ_SK_SL_E_clISE_PxSF_SF_EESI_SY_SJ_SK_SL_EUlSY_E0_NS1_11comp_targetILNS1_3genE10ELNS1_11target_archE1201ELNS1_3gpuE5ELNS1_3repE0EEENS1_38merge_mergepath_config_static_selectorELNS0_4arch9wavefront6targetE0EEEvSK_.numbered_sgpr, 0
	.set _ZN7rocprim17ROCPRIM_400000_NS6detail17trampoline_kernelINS0_14default_configENS1_38merge_sort_block_merge_config_selectorIxNS0_10empty_typeEEEZZNS1_27merge_sort_block_merge_implIS3_N6thrust23THRUST_200600_302600_NS6detail15normal_iteratorINS9_10device_ptrIxEEEEPS5_m9comp_mod3IxEEE10hipError_tT0_T1_T2_jT3_P12ihipStream_tbPNSt15iterator_traitsISJ_E10value_typeEPNSP_ISK_E10value_typeEPSL_NS1_7vsmem_tEENKUlT_SJ_SK_SL_E_clISE_PxSF_SF_EESI_SY_SJ_SK_SL_EUlSY_E0_NS1_11comp_targetILNS1_3genE10ELNS1_11target_archE1201ELNS1_3gpuE5ELNS1_3repE0EEENS1_38merge_mergepath_config_static_selectorELNS0_4arch9wavefront6targetE0EEEvSK_.num_named_barrier, 0
	.set _ZN7rocprim17ROCPRIM_400000_NS6detail17trampoline_kernelINS0_14default_configENS1_38merge_sort_block_merge_config_selectorIxNS0_10empty_typeEEEZZNS1_27merge_sort_block_merge_implIS3_N6thrust23THRUST_200600_302600_NS6detail15normal_iteratorINS9_10device_ptrIxEEEEPS5_m9comp_mod3IxEEE10hipError_tT0_T1_T2_jT3_P12ihipStream_tbPNSt15iterator_traitsISJ_E10value_typeEPNSP_ISK_E10value_typeEPSL_NS1_7vsmem_tEENKUlT_SJ_SK_SL_E_clISE_PxSF_SF_EESI_SY_SJ_SK_SL_EUlSY_E0_NS1_11comp_targetILNS1_3genE10ELNS1_11target_archE1201ELNS1_3gpuE5ELNS1_3repE0EEENS1_38merge_mergepath_config_static_selectorELNS0_4arch9wavefront6targetE0EEEvSK_.private_seg_size, 0
	.set _ZN7rocprim17ROCPRIM_400000_NS6detail17trampoline_kernelINS0_14default_configENS1_38merge_sort_block_merge_config_selectorIxNS0_10empty_typeEEEZZNS1_27merge_sort_block_merge_implIS3_N6thrust23THRUST_200600_302600_NS6detail15normal_iteratorINS9_10device_ptrIxEEEEPS5_m9comp_mod3IxEEE10hipError_tT0_T1_T2_jT3_P12ihipStream_tbPNSt15iterator_traitsISJ_E10value_typeEPNSP_ISK_E10value_typeEPSL_NS1_7vsmem_tEENKUlT_SJ_SK_SL_E_clISE_PxSF_SF_EESI_SY_SJ_SK_SL_EUlSY_E0_NS1_11comp_targetILNS1_3genE10ELNS1_11target_archE1201ELNS1_3gpuE5ELNS1_3repE0EEENS1_38merge_mergepath_config_static_selectorELNS0_4arch9wavefront6targetE0EEEvSK_.uses_vcc, 0
	.set _ZN7rocprim17ROCPRIM_400000_NS6detail17trampoline_kernelINS0_14default_configENS1_38merge_sort_block_merge_config_selectorIxNS0_10empty_typeEEEZZNS1_27merge_sort_block_merge_implIS3_N6thrust23THRUST_200600_302600_NS6detail15normal_iteratorINS9_10device_ptrIxEEEEPS5_m9comp_mod3IxEEE10hipError_tT0_T1_T2_jT3_P12ihipStream_tbPNSt15iterator_traitsISJ_E10value_typeEPNSP_ISK_E10value_typeEPSL_NS1_7vsmem_tEENKUlT_SJ_SK_SL_E_clISE_PxSF_SF_EESI_SY_SJ_SK_SL_EUlSY_E0_NS1_11comp_targetILNS1_3genE10ELNS1_11target_archE1201ELNS1_3gpuE5ELNS1_3repE0EEENS1_38merge_mergepath_config_static_selectorELNS0_4arch9wavefront6targetE0EEEvSK_.uses_flat_scratch, 0
	.set _ZN7rocprim17ROCPRIM_400000_NS6detail17trampoline_kernelINS0_14default_configENS1_38merge_sort_block_merge_config_selectorIxNS0_10empty_typeEEEZZNS1_27merge_sort_block_merge_implIS3_N6thrust23THRUST_200600_302600_NS6detail15normal_iteratorINS9_10device_ptrIxEEEEPS5_m9comp_mod3IxEEE10hipError_tT0_T1_T2_jT3_P12ihipStream_tbPNSt15iterator_traitsISJ_E10value_typeEPNSP_ISK_E10value_typeEPSL_NS1_7vsmem_tEENKUlT_SJ_SK_SL_E_clISE_PxSF_SF_EESI_SY_SJ_SK_SL_EUlSY_E0_NS1_11comp_targetILNS1_3genE10ELNS1_11target_archE1201ELNS1_3gpuE5ELNS1_3repE0EEENS1_38merge_mergepath_config_static_selectorELNS0_4arch9wavefront6targetE0EEEvSK_.has_dyn_sized_stack, 0
	.set _ZN7rocprim17ROCPRIM_400000_NS6detail17trampoline_kernelINS0_14default_configENS1_38merge_sort_block_merge_config_selectorIxNS0_10empty_typeEEEZZNS1_27merge_sort_block_merge_implIS3_N6thrust23THRUST_200600_302600_NS6detail15normal_iteratorINS9_10device_ptrIxEEEEPS5_m9comp_mod3IxEEE10hipError_tT0_T1_T2_jT3_P12ihipStream_tbPNSt15iterator_traitsISJ_E10value_typeEPNSP_ISK_E10value_typeEPSL_NS1_7vsmem_tEENKUlT_SJ_SK_SL_E_clISE_PxSF_SF_EESI_SY_SJ_SK_SL_EUlSY_E0_NS1_11comp_targetILNS1_3genE10ELNS1_11target_archE1201ELNS1_3gpuE5ELNS1_3repE0EEENS1_38merge_mergepath_config_static_selectorELNS0_4arch9wavefront6targetE0EEEvSK_.has_recursion, 0
	.set _ZN7rocprim17ROCPRIM_400000_NS6detail17trampoline_kernelINS0_14default_configENS1_38merge_sort_block_merge_config_selectorIxNS0_10empty_typeEEEZZNS1_27merge_sort_block_merge_implIS3_N6thrust23THRUST_200600_302600_NS6detail15normal_iteratorINS9_10device_ptrIxEEEEPS5_m9comp_mod3IxEEE10hipError_tT0_T1_T2_jT3_P12ihipStream_tbPNSt15iterator_traitsISJ_E10value_typeEPNSP_ISK_E10value_typeEPSL_NS1_7vsmem_tEENKUlT_SJ_SK_SL_E_clISE_PxSF_SF_EESI_SY_SJ_SK_SL_EUlSY_E0_NS1_11comp_targetILNS1_3genE10ELNS1_11target_archE1201ELNS1_3gpuE5ELNS1_3repE0EEENS1_38merge_mergepath_config_static_selectorELNS0_4arch9wavefront6targetE0EEEvSK_.has_indirect_call, 0
	.section	.AMDGPU.csdata,"",@progbits
; Kernel info:
; codeLenInByte = 0
; TotalNumSgprs: 0
; NumVgprs: 0
; ScratchSize: 0
; MemoryBound: 0
; FloatMode: 240
; IeeeMode: 1
; LDSByteSize: 0 bytes/workgroup (compile time only)
; SGPRBlocks: 0
; VGPRBlocks: 0
; NumSGPRsForWavesPerEU: 1
; NumVGPRsForWavesPerEU: 1
; Occupancy: 16
; WaveLimiterHint : 0
; COMPUTE_PGM_RSRC2:SCRATCH_EN: 0
; COMPUTE_PGM_RSRC2:USER_SGPR: 6
; COMPUTE_PGM_RSRC2:TRAP_HANDLER: 0
; COMPUTE_PGM_RSRC2:TGID_X_EN: 1
; COMPUTE_PGM_RSRC2:TGID_Y_EN: 0
; COMPUTE_PGM_RSRC2:TGID_Z_EN: 0
; COMPUTE_PGM_RSRC2:TIDIG_COMP_CNT: 0
	.section	.text._ZN7rocprim17ROCPRIM_400000_NS6detail17trampoline_kernelINS0_14default_configENS1_38merge_sort_block_merge_config_selectorIxNS0_10empty_typeEEEZZNS1_27merge_sort_block_merge_implIS3_N6thrust23THRUST_200600_302600_NS6detail15normal_iteratorINS9_10device_ptrIxEEEEPS5_m9comp_mod3IxEEE10hipError_tT0_T1_T2_jT3_P12ihipStream_tbPNSt15iterator_traitsISJ_E10value_typeEPNSP_ISK_E10value_typeEPSL_NS1_7vsmem_tEENKUlT_SJ_SK_SL_E_clISE_PxSF_SF_EESI_SY_SJ_SK_SL_EUlSY_E0_NS1_11comp_targetILNS1_3genE5ELNS1_11target_archE942ELNS1_3gpuE9ELNS1_3repE0EEENS1_38merge_mergepath_config_static_selectorELNS0_4arch9wavefront6targetE0EEEvSK_,"axG",@progbits,_ZN7rocprim17ROCPRIM_400000_NS6detail17trampoline_kernelINS0_14default_configENS1_38merge_sort_block_merge_config_selectorIxNS0_10empty_typeEEEZZNS1_27merge_sort_block_merge_implIS3_N6thrust23THRUST_200600_302600_NS6detail15normal_iteratorINS9_10device_ptrIxEEEEPS5_m9comp_mod3IxEEE10hipError_tT0_T1_T2_jT3_P12ihipStream_tbPNSt15iterator_traitsISJ_E10value_typeEPNSP_ISK_E10value_typeEPSL_NS1_7vsmem_tEENKUlT_SJ_SK_SL_E_clISE_PxSF_SF_EESI_SY_SJ_SK_SL_EUlSY_E0_NS1_11comp_targetILNS1_3genE5ELNS1_11target_archE942ELNS1_3gpuE9ELNS1_3repE0EEENS1_38merge_mergepath_config_static_selectorELNS0_4arch9wavefront6targetE0EEEvSK_,comdat
	.protected	_ZN7rocprim17ROCPRIM_400000_NS6detail17trampoline_kernelINS0_14default_configENS1_38merge_sort_block_merge_config_selectorIxNS0_10empty_typeEEEZZNS1_27merge_sort_block_merge_implIS3_N6thrust23THRUST_200600_302600_NS6detail15normal_iteratorINS9_10device_ptrIxEEEEPS5_m9comp_mod3IxEEE10hipError_tT0_T1_T2_jT3_P12ihipStream_tbPNSt15iterator_traitsISJ_E10value_typeEPNSP_ISK_E10value_typeEPSL_NS1_7vsmem_tEENKUlT_SJ_SK_SL_E_clISE_PxSF_SF_EESI_SY_SJ_SK_SL_EUlSY_E0_NS1_11comp_targetILNS1_3genE5ELNS1_11target_archE942ELNS1_3gpuE9ELNS1_3repE0EEENS1_38merge_mergepath_config_static_selectorELNS0_4arch9wavefront6targetE0EEEvSK_ ; -- Begin function _ZN7rocprim17ROCPRIM_400000_NS6detail17trampoline_kernelINS0_14default_configENS1_38merge_sort_block_merge_config_selectorIxNS0_10empty_typeEEEZZNS1_27merge_sort_block_merge_implIS3_N6thrust23THRUST_200600_302600_NS6detail15normal_iteratorINS9_10device_ptrIxEEEEPS5_m9comp_mod3IxEEE10hipError_tT0_T1_T2_jT3_P12ihipStream_tbPNSt15iterator_traitsISJ_E10value_typeEPNSP_ISK_E10value_typeEPSL_NS1_7vsmem_tEENKUlT_SJ_SK_SL_E_clISE_PxSF_SF_EESI_SY_SJ_SK_SL_EUlSY_E0_NS1_11comp_targetILNS1_3genE5ELNS1_11target_archE942ELNS1_3gpuE9ELNS1_3repE0EEENS1_38merge_mergepath_config_static_selectorELNS0_4arch9wavefront6targetE0EEEvSK_
	.globl	_ZN7rocprim17ROCPRIM_400000_NS6detail17trampoline_kernelINS0_14default_configENS1_38merge_sort_block_merge_config_selectorIxNS0_10empty_typeEEEZZNS1_27merge_sort_block_merge_implIS3_N6thrust23THRUST_200600_302600_NS6detail15normal_iteratorINS9_10device_ptrIxEEEEPS5_m9comp_mod3IxEEE10hipError_tT0_T1_T2_jT3_P12ihipStream_tbPNSt15iterator_traitsISJ_E10value_typeEPNSP_ISK_E10value_typeEPSL_NS1_7vsmem_tEENKUlT_SJ_SK_SL_E_clISE_PxSF_SF_EESI_SY_SJ_SK_SL_EUlSY_E0_NS1_11comp_targetILNS1_3genE5ELNS1_11target_archE942ELNS1_3gpuE9ELNS1_3repE0EEENS1_38merge_mergepath_config_static_selectorELNS0_4arch9wavefront6targetE0EEEvSK_
	.p2align	8
	.type	_ZN7rocprim17ROCPRIM_400000_NS6detail17trampoline_kernelINS0_14default_configENS1_38merge_sort_block_merge_config_selectorIxNS0_10empty_typeEEEZZNS1_27merge_sort_block_merge_implIS3_N6thrust23THRUST_200600_302600_NS6detail15normal_iteratorINS9_10device_ptrIxEEEEPS5_m9comp_mod3IxEEE10hipError_tT0_T1_T2_jT3_P12ihipStream_tbPNSt15iterator_traitsISJ_E10value_typeEPNSP_ISK_E10value_typeEPSL_NS1_7vsmem_tEENKUlT_SJ_SK_SL_E_clISE_PxSF_SF_EESI_SY_SJ_SK_SL_EUlSY_E0_NS1_11comp_targetILNS1_3genE5ELNS1_11target_archE942ELNS1_3gpuE9ELNS1_3repE0EEENS1_38merge_mergepath_config_static_selectorELNS0_4arch9wavefront6targetE0EEEvSK_,@function
_ZN7rocprim17ROCPRIM_400000_NS6detail17trampoline_kernelINS0_14default_configENS1_38merge_sort_block_merge_config_selectorIxNS0_10empty_typeEEEZZNS1_27merge_sort_block_merge_implIS3_N6thrust23THRUST_200600_302600_NS6detail15normal_iteratorINS9_10device_ptrIxEEEEPS5_m9comp_mod3IxEEE10hipError_tT0_T1_T2_jT3_P12ihipStream_tbPNSt15iterator_traitsISJ_E10value_typeEPNSP_ISK_E10value_typeEPSL_NS1_7vsmem_tEENKUlT_SJ_SK_SL_E_clISE_PxSF_SF_EESI_SY_SJ_SK_SL_EUlSY_E0_NS1_11comp_targetILNS1_3genE5ELNS1_11target_archE942ELNS1_3gpuE9ELNS1_3repE0EEENS1_38merge_mergepath_config_static_selectorELNS0_4arch9wavefront6targetE0EEEvSK_: ; @_ZN7rocprim17ROCPRIM_400000_NS6detail17trampoline_kernelINS0_14default_configENS1_38merge_sort_block_merge_config_selectorIxNS0_10empty_typeEEEZZNS1_27merge_sort_block_merge_implIS3_N6thrust23THRUST_200600_302600_NS6detail15normal_iteratorINS9_10device_ptrIxEEEEPS5_m9comp_mod3IxEEE10hipError_tT0_T1_T2_jT3_P12ihipStream_tbPNSt15iterator_traitsISJ_E10value_typeEPNSP_ISK_E10value_typeEPSL_NS1_7vsmem_tEENKUlT_SJ_SK_SL_E_clISE_PxSF_SF_EESI_SY_SJ_SK_SL_EUlSY_E0_NS1_11comp_targetILNS1_3genE5ELNS1_11target_archE942ELNS1_3gpuE9ELNS1_3repE0EEENS1_38merge_mergepath_config_static_selectorELNS0_4arch9wavefront6targetE0EEEvSK_
; %bb.0:
	.section	.rodata,"a",@progbits
	.p2align	6, 0x0
	.amdhsa_kernel _ZN7rocprim17ROCPRIM_400000_NS6detail17trampoline_kernelINS0_14default_configENS1_38merge_sort_block_merge_config_selectorIxNS0_10empty_typeEEEZZNS1_27merge_sort_block_merge_implIS3_N6thrust23THRUST_200600_302600_NS6detail15normal_iteratorINS9_10device_ptrIxEEEEPS5_m9comp_mod3IxEEE10hipError_tT0_T1_T2_jT3_P12ihipStream_tbPNSt15iterator_traitsISJ_E10value_typeEPNSP_ISK_E10value_typeEPSL_NS1_7vsmem_tEENKUlT_SJ_SK_SL_E_clISE_PxSF_SF_EESI_SY_SJ_SK_SL_EUlSY_E0_NS1_11comp_targetILNS1_3genE5ELNS1_11target_archE942ELNS1_3gpuE9ELNS1_3repE0EEENS1_38merge_mergepath_config_static_selectorELNS0_4arch9wavefront6targetE0EEEvSK_
		.amdhsa_group_segment_fixed_size 0
		.amdhsa_private_segment_fixed_size 0
		.amdhsa_kernarg_size 80
		.amdhsa_user_sgpr_count 6
		.amdhsa_user_sgpr_private_segment_buffer 1
		.amdhsa_user_sgpr_dispatch_ptr 0
		.amdhsa_user_sgpr_queue_ptr 0
		.amdhsa_user_sgpr_kernarg_segment_ptr 1
		.amdhsa_user_sgpr_dispatch_id 0
		.amdhsa_user_sgpr_flat_scratch_init 0
		.amdhsa_user_sgpr_private_segment_size 0
		.amdhsa_wavefront_size32 1
		.amdhsa_uses_dynamic_stack 0
		.amdhsa_system_sgpr_private_segment_wavefront_offset 0
		.amdhsa_system_sgpr_workgroup_id_x 1
		.amdhsa_system_sgpr_workgroup_id_y 0
		.amdhsa_system_sgpr_workgroup_id_z 0
		.amdhsa_system_sgpr_workgroup_info 0
		.amdhsa_system_vgpr_workitem_id 0
		.amdhsa_next_free_vgpr 1
		.amdhsa_next_free_sgpr 1
		.amdhsa_reserve_vcc 0
		.amdhsa_reserve_flat_scratch 0
		.amdhsa_float_round_mode_32 0
		.amdhsa_float_round_mode_16_64 0
		.amdhsa_float_denorm_mode_32 3
		.amdhsa_float_denorm_mode_16_64 3
		.amdhsa_dx10_clamp 1
		.amdhsa_ieee_mode 1
		.amdhsa_fp16_overflow 0
		.amdhsa_workgroup_processor_mode 1
		.amdhsa_memory_ordered 1
		.amdhsa_forward_progress 1
		.amdhsa_shared_vgpr_count 0
		.amdhsa_exception_fp_ieee_invalid_op 0
		.amdhsa_exception_fp_denorm_src 0
		.amdhsa_exception_fp_ieee_div_zero 0
		.amdhsa_exception_fp_ieee_overflow 0
		.amdhsa_exception_fp_ieee_underflow 0
		.amdhsa_exception_fp_ieee_inexact 0
		.amdhsa_exception_int_div_zero 0
	.end_amdhsa_kernel
	.section	.text._ZN7rocprim17ROCPRIM_400000_NS6detail17trampoline_kernelINS0_14default_configENS1_38merge_sort_block_merge_config_selectorIxNS0_10empty_typeEEEZZNS1_27merge_sort_block_merge_implIS3_N6thrust23THRUST_200600_302600_NS6detail15normal_iteratorINS9_10device_ptrIxEEEEPS5_m9comp_mod3IxEEE10hipError_tT0_T1_T2_jT3_P12ihipStream_tbPNSt15iterator_traitsISJ_E10value_typeEPNSP_ISK_E10value_typeEPSL_NS1_7vsmem_tEENKUlT_SJ_SK_SL_E_clISE_PxSF_SF_EESI_SY_SJ_SK_SL_EUlSY_E0_NS1_11comp_targetILNS1_3genE5ELNS1_11target_archE942ELNS1_3gpuE9ELNS1_3repE0EEENS1_38merge_mergepath_config_static_selectorELNS0_4arch9wavefront6targetE0EEEvSK_,"axG",@progbits,_ZN7rocprim17ROCPRIM_400000_NS6detail17trampoline_kernelINS0_14default_configENS1_38merge_sort_block_merge_config_selectorIxNS0_10empty_typeEEEZZNS1_27merge_sort_block_merge_implIS3_N6thrust23THRUST_200600_302600_NS6detail15normal_iteratorINS9_10device_ptrIxEEEEPS5_m9comp_mod3IxEEE10hipError_tT0_T1_T2_jT3_P12ihipStream_tbPNSt15iterator_traitsISJ_E10value_typeEPNSP_ISK_E10value_typeEPSL_NS1_7vsmem_tEENKUlT_SJ_SK_SL_E_clISE_PxSF_SF_EESI_SY_SJ_SK_SL_EUlSY_E0_NS1_11comp_targetILNS1_3genE5ELNS1_11target_archE942ELNS1_3gpuE9ELNS1_3repE0EEENS1_38merge_mergepath_config_static_selectorELNS0_4arch9wavefront6targetE0EEEvSK_,comdat
.Lfunc_end965:
	.size	_ZN7rocprim17ROCPRIM_400000_NS6detail17trampoline_kernelINS0_14default_configENS1_38merge_sort_block_merge_config_selectorIxNS0_10empty_typeEEEZZNS1_27merge_sort_block_merge_implIS3_N6thrust23THRUST_200600_302600_NS6detail15normal_iteratorINS9_10device_ptrIxEEEEPS5_m9comp_mod3IxEEE10hipError_tT0_T1_T2_jT3_P12ihipStream_tbPNSt15iterator_traitsISJ_E10value_typeEPNSP_ISK_E10value_typeEPSL_NS1_7vsmem_tEENKUlT_SJ_SK_SL_E_clISE_PxSF_SF_EESI_SY_SJ_SK_SL_EUlSY_E0_NS1_11comp_targetILNS1_3genE5ELNS1_11target_archE942ELNS1_3gpuE9ELNS1_3repE0EEENS1_38merge_mergepath_config_static_selectorELNS0_4arch9wavefront6targetE0EEEvSK_, .Lfunc_end965-_ZN7rocprim17ROCPRIM_400000_NS6detail17trampoline_kernelINS0_14default_configENS1_38merge_sort_block_merge_config_selectorIxNS0_10empty_typeEEEZZNS1_27merge_sort_block_merge_implIS3_N6thrust23THRUST_200600_302600_NS6detail15normal_iteratorINS9_10device_ptrIxEEEEPS5_m9comp_mod3IxEEE10hipError_tT0_T1_T2_jT3_P12ihipStream_tbPNSt15iterator_traitsISJ_E10value_typeEPNSP_ISK_E10value_typeEPSL_NS1_7vsmem_tEENKUlT_SJ_SK_SL_E_clISE_PxSF_SF_EESI_SY_SJ_SK_SL_EUlSY_E0_NS1_11comp_targetILNS1_3genE5ELNS1_11target_archE942ELNS1_3gpuE9ELNS1_3repE0EEENS1_38merge_mergepath_config_static_selectorELNS0_4arch9wavefront6targetE0EEEvSK_
                                        ; -- End function
	.set _ZN7rocprim17ROCPRIM_400000_NS6detail17trampoline_kernelINS0_14default_configENS1_38merge_sort_block_merge_config_selectorIxNS0_10empty_typeEEEZZNS1_27merge_sort_block_merge_implIS3_N6thrust23THRUST_200600_302600_NS6detail15normal_iteratorINS9_10device_ptrIxEEEEPS5_m9comp_mod3IxEEE10hipError_tT0_T1_T2_jT3_P12ihipStream_tbPNSt15iterator_traitsISJ_E10value_typeEPNSP_ISK_E10value_typeEPSL_NS1_7vsmem_tEENKUlT_SJ_SK_SL_E_clISE_PxSF_SF_EESI_SY_SJ_SK_SL_EUlSY_E0_NS1_11comp_targetILNS1_3genE5ELNS1_11target_archE942ELNS1_3gpuE9ELNS1_3repE0EEENS1_38merge_mergepath_config_static_selectorELNS0_4arch9wavefront6targetE0EEEvSK_.num_vgpr, 0
	.set _ZN7rocprim17ROCPRIM_400000_NS6detail17trampoline_kernelINS0_14default_configENS1_38merge_sort_block_merge_config_selectorIxNS0_10empty_typeEEEZZNS1_27merge_sort_block_merge_implIS3_N6thrust23THRUST_200600_302600_NS6detail15normal_iteratorINS9_10device_ptrIxEEEEPS5_m9comp_mod3IxEEE10hipError_tT0_T1_T2_jT3_P12ihipStream_tbPNSt15iterator_traitsISJ_E10value_typeEPNSP_ISK_E10value_typeEPSL_NS1_7vsmem_tEENKUlT_SJ_SK_SL_E_clISE_PxSF_SF_EESI_SY_SJ_SK_SL_EUlSY_E0_NS1_11comp_targetILNS1_3genE5ELNS1_11target_archE942ELNS1_3gpuE9ELNS1_3repE0EEENS1_38merge_mergepath_config_static_selectorELNS0_4arch9wavefront6targetE0EEEvSK_.num_agpr, 0
	.set _ZN7rocprim17ROCPRIM_400000_NS6detail17trampoline_kernelINS0_14default_configENS1_38merge_sort_block_merge_config_selectorIxNS0_10empty_typeEEEZZNS1_27merge_sort_block_merge_implIS3_N6thrust23THRUST_200600_302600_NS6detail15normal_iteratorINS9_10device_ptrIxEEEEPS5_m9comp_mod3IxEEE10hipError_tT0_T1_T2_jT3_P12ihipStream_tbPNSt15iterator_traitsISJ_E10value_typeEPNSP_ISK_E10value_typeEPSL_NS1_7vsmem_tEENKUlT_SJ_SK_SL_E_clISE_PxSF_SF_EESI_SY_SJ_SK_SL_EUlSY_E0_NS1_11comp_targetILNS1_3genE5ELNS1_11target_archE942ELNS1_3gpuE9ELNS1_3repE0EEENS1_38merge_mergepath_config_static_selectorELNS0_4arch9wavefront6targetE0EEEvSK_.numbered_sgpr, 0
	.set _ZN7rocprim17ROCPRIM_400000_NS6detail17trampoline_kernelINS0_14default_configENS1_38merge_sort_block_merge_config_selectorIxNS0_10empty_typeEEEZZNS1_27merge_sort_block_merge_implIS3_N6thrust23THRUST_200600_302600_NS6detail15normal_iteratorINS9_10device_ptrIxEEEEPS5_m9comp_mod3IxEEE10hipError_tT0_T1_T2_jT3_P12ihipStream_tbPNSt15iterator_traitsISJ_E10value_typeEPNSP_ISK_E10value_typeEPSL_NS1_7vsmem_tEENKUlT_SJ_SK_SL_E_clISE_PxSF_SF_EESI_SY_SJ_SK_SL_EUlSY_E0_NS1_11comp_targetILNS1_3genE5ELNS1_11target_archE942ELNS1_3gpuE9ELNS1_3repE0EEENS1_38merge_mergepath_config_static_selectorELNS0_4arch9wavefront6targetE0EEEvSK_.num_named_barrier, 0
	.set _ZN7rocprim17ROCPRIM_400000_NS6detail17trampoline_kernelINS0_14default_configENS1_38merge_sort_block_merge_config_selectorIxNS0_10empty_typeEEEZZNS1_27merge_sort_block_merge_implIS3_N6thrust23THRUST_200600_302600_NS6detail15normal_iteratorINS9_10device_ptrIxEEEEPS5_m9comp_mod3IxEEE10hipError_tT0_T1_T2_jT3_P12ihipStream_tbPNSt15iterator_traitsISJ_E10value_typeEPNSP_ISK_E10value_typeEPSL_NS1_7vsmem_tEENKUlT_SJ_SK_SL_E_clISE_PxSF_SF_EESI_SY_SJ_SK_SL_EUlSY_E0_NS1_11comp_targetILNS1_3genE5ELNS1_11target_archE942ELNS1_3gpuE9ELNS1_3repE0EEENS1_38merge_mergepath_config_static_selectorELNS0_4arch9wavefront6targetE0EEEvSK_.private_seg_size, 0
	.set _ZN7rocprim17ROCPRIM_400000_NS6detail17trampoline_kernelINS0_14default_configENS1_38merge_sort_block_merge_config_selectorIxNS0_10empty_typeEEEZZNS1_27merge_sort_block_merge_implIS3_N6thrust23THRUST_200600_302600_NS6detail15normal_iteratorINS9_10device_ptrIxEEEEPS5_m9comp_mod3IxEEE10hipError_tT0_T1_T2_jT3_P12ihipStream_tbPNSt15iterator_traitsISJ_E10value_typeEPNSP_ISK_E10value_typeEPSL_NS1_7vsmem_tEENKUlT_SJ_SK_SL_E_clISE_PxSF_SF_EESI_SY_SJ_SK_SL_EUlSY_E0_NS1_11comp_targetILNS1_3genE5ELNS1_11target_archE942ELNS1_3gpuE9ELNS1_3repE0EEENS1_38merge_mergepath_config_static_selectorELNS0_4arch9wavefront6targetE0EEEvSK_.uses_vcc, 0
	.set _ZN7rocprim17ROCPRIM_400000_NS6detail17trampoline_kernelINS0_14default_configENS1_38merge_sort_block_merge_config_selectorIxNS0_10empty_typeEEEZZNS1_27merge_sort_block_merge_implIS3_N6thrust23THRUST_200600_302600_NS6detail15normal_iteratorINS9_10device_ptrIxEEEEPS5_m9comp_mod3IxEEE10hipError_tT0_T1_T2_jT3_P12ihipStream_tbPNSt15iterator_traitsISJ_E10value_typeEPNSP_ISK_E10value_typeEPSL_NS1_7vsmem_tEENKUlT_SJ_SK_SL_E_clISE_PxSF_SF_EESI_SY_SJ_SK_SL_EUlSY_E0_NS1_11comp_targetILNS1_3genE5ELNS1_11target_archE942ELNS1_3gpuE9ELNS1_3repE0EEENS1_38merge_mergepath_config_static_selectorELNS0_4arch9wavefront6targetE0EEEvSK_.uses_flat_scratch, 0
	.set _ZN7rocprim17ROCPRIM_400000_NS6detail17trampoline_kernelINS0_14default_configENS1_38merge_sort_block_merge_config_selectorIxNS0_10empty_typeEEEZZNS1_27merge_sort_block_merge_implIS3_N6thrust23THRUST_200600_302600_NS6detail15normal_iteratorINS9_10device_ptrIxEEEEPS5_m9comp_mod3IxEEE10hipError_tT0_T1_T2_jT3_P12ihipStream_tbPNSt15iterator_traitsISJ_E10value_typeEPNSP_ISK_E10value_typeEPSL_NS1_7vsmem_tEENKUlT_SJ_SK_SL_E_clISE_PxSF_SF_EESI_SY_SJ_SK_SL_EUlSY_E0_NS1_11comp_targetILNS1_3genE5ELNS1_11target_archE942ELNS1_3gpuE9ELNS1_3repE0EEENS1_38merge_mergepath_config_static_selectorELNS0_4arch9wavefront6targetE0EEEvSK_.has_dyn_sized_stack, 0
	.set _ZN7rocprim17ROCPRIM_400000_NS6detail17trampoline_kernelINS0_14default_configENS1_38merge_sort_block_merge_config_selectorIxNS0_10empty_typeEEEZZNS1_27merge_sort_block_merge_implIS3_N6thrust23THRUST_200600_302600_NS6detail15normal_iteratorINS9_10device_ptrIxEEEEPS5_m9comp_mod3IxEEE10hipError_tT0_T1_T2_jT3_P12ihipStream_tbPNSt15iterator_traitsISJ_E10value_typeEPNSP_ISK_E10value_typeEPSL_NS1_7vsmem_tEENKUlT_SJ_SK_SL_E_clISE_PxSF_SF_EESI_SY_SJ_SK_SL_EUlSY_E0_NS1_11comp_targetILNS1_3genE5ELNS1_11target_archE942ELNS1_3gpuE9ELNS1_3repE0EEENS1_38merge_mergepath_config_static_selectorELNS0_4arch9wavefront6targetE0EEEvSK_.has_recursion, 0
	.set _ZN7rocprim17ROCPRIM_400000_NS6detail17trampoline_kernelINS0_14default_configENS1_38merge_sort_block_merge_config_selectorIxNS0_10empty_typeEEEZZNS1_27merge_sort_block_merge_implIS3_N6thrust23THRUST_200600_302600_NS6detail15normal_iteratorINS9_10device_ptrIxEEEEPS5_m9comp_mod3IxEEE10hipError_tT0_T1_T2_jT3_P12ihipStream_tbPNSt15iterator_traitsISJ_E10value_typeEPNSP_ISK_E10value_typeEPSL_NS1_7vsmem_tEENKUlT_SJ_SK_SL_E_clISE_PxSF_SF_EESI_SY_SJ_SK_SL_EUlSY_E0_NS1_11comp_targetILNS1_3genE5ELNS1_11target_archE942ELNS1_3gpuE9ELNS1_3repE0EEENS1_38merge_mergepath_config_static_selectorELNS0_4arch9wavefront6targetE0EEEvSK_.has_indirect_call, 0
	.section	.AMDGPU.csdata,"",@progbits
; Kernel info:
; codeLenInByte = 0
; TotalNumSgprs: 0
; NumVgprs: 0
; ScratchSize: 0
; MemoryBound: 0
; FloatMode: 240
; IeeeMode: 1
; LDSByteSize: 0 bytes/workgroup (compile time only)
; SGPRBlocks: 0
; VGPRBlocks: 0
; NumSGPRsForWavesPerEU: 1
; NumVGPRsForWavesPerEU: 1
; Occupancy: 16
; WaveLimiterHint : 0
; COMPUTE_PGM_RSRC2:SCRATCH_EN: 0
; COMPUTE_PGM_RSRC2:USER_SGPR: 6
; COMPUTE_PGM_RSRC2:TRAP_HANDLER: 0
; COMPUTE_PGM_RSRC2:TGID_X_EN: 1
; COMPUTE_PGM_RSRC2:TGID_Y_EN: 0
; COMPUTE_PGM_RSRC2:TGID_Z_EN: 0
; COMPUTE_PGM_RSRC2:TIDIG_COMP_CNT: 0
	.section	.text._ZN7rocprim17ROCPRIM_400000_NS6detail17trampoline_kernelINS0_14default_configENS1_38merge_sort_block_merge_config_selectorIxNS0_10empty_typeEEEZZNS1_27merge_sort_block_merge_implIS3_N6thrust23THRUST_200600_302600_NS6detail15normal_iteratorINS9_10device_ptrIxEEEEPS5_m9comp_mod3IxEEE10hipError_tT0_T1_T2_jT3_P12ihipStream_tbPNSt15iterator_traitsISJ_E10value_typeEPNSP_ISK_E10value_typeEPSL_NS1_7vsmem_tEENKUlT_SJ_SK_SL_E_clISE_PxSF_SF_EESI_SY_SJ_SK_SL_EUlSY_E0_NS1_11comp_targetILNS1_3genE4ELNS1_11target_archE910ELNS1_3gpuE8ELNS1_3repE0EEENS1_38merge_mergepath_config_static_selectorELNS0_4arch9wavefront6targetE0EEEvSK_,"axG",@progbits,_ZN7rocprim17ROCPRIM_400000_NS6detail17trampoline_kernelINS0_14default_configENS1_38merge_sort_block_merge_config_selectorIxNS0_10empty_typeEEEZZNS1_27merge_sort_block_merge_implIS3_N6thrust23THRUST_200600_302600_NS6detail15normal_iteratorINS9_10device_ptrIxEEEEPS5_m9comp_mod3IxEEE10hipError_tT0_T1_T2_jT3_P12ihipStream_tbPNSt15iterator_traitsISJ_E10value_typeEPNSP_ISK_E10value_typeEPSL_NS1_7vsmem_tEENKUlT_SJ_SK_SL_E_clISE_PxSF_SF_EESI_SY_SJ_SK_SL_EUlSY_E0_NS1_11comp_targetILNS1_3genE4ELNS1_11target_archE910ELNS1_3gpuE8ELNS1_3repE0EEENS1_38merge_mergepath_config_static_selectorELNS0_4arch9wavefront6targetE0EEEvSK_,comdat
	.protected	_ZN7rocprim17ROCPRIM_400000_NS6detail17trampoline_kernelINS0_14default_configENS1_38merge_sort_block_merge_config_selectorIxNS0_10empty_typeEEEZZNS1_27merge_sort_block_merge_implIS3_N6thrust23THRUST_200600_302600_NS6detail15normal_iteratorINS9_10device_ptrIxEEEEPS5_m9comp_mod3IxEEE10hipError_tT0_T1_T2_jT3_P12ihipStream_tbPNSt15iterator_traitsISJ_E10value_typeEPNSP_ISK_E10value_typeEPSL_NS1_7vsmem_tEENKUlT_SJ_SK_SL_E_clISE_PxSF_SF_EESI_SY_SJ_SK_SL_EUlSY_E0_NS1_11comp_targetILNS1_3genE4ELNS1_11target_archE910ELNS1_3gpuE8ELNS1_3repE0EEENS1_38merge_mergepath_config_static_selectorELNS0_4arch9wavefront6targetE0EEEvSK_ ; -- Begin function _ZN7rocprim17ROCPRIM_400000_NS6detail17trampoline_kernelINS0_14default_configENS1_38merge_sort_block_merge_config_selectorIxNS0_10empty_typeEEEZZNS1_27merge_sort_block_merge_implIS3_N6thrust23THRUST_200600_302600_NS6detail15normal_iteratorINS9_10device_ptrIxEEEEPS5_m9comp_mod3IxEEE10hipError_tT0_T1_T2_jT3_P12ihipStream_tbPNSt15iterator_traitsISJ_E10value_typeEPNSP_ISK_E10value_typeEPSL_NS1_7vsmem_tEENKUlT_SJ_SK_SL_E_clISE_PxSF_SF_EESI_SY_SJ_SK_SL_EUlSY_E0_NS1_11comp_targetILNS1_3genE4ELNS1_11target_archE910ELNS1_3gpuE8ELNS1_3repE0EEENS1_38merge_mergepath_config_static_selectorELNS0_4arch9wavefront6targetE0EEEvSK_
	.globl	_ZN7rocprim17ROCPRIM_400000_NS6detail17trampoline_kernelINS0_14default_configENS1_38merge_sort_block_merge_config_selectorIxNS0_10empty_typeEEEZZNS1_27merge_sort_block_merge_implIS3_N6thrust23THRUST_200600_302600_NS6detail15normal_iteratorINS9_10device_ptrIxEEEEPS5_m9comp_mod3IxEEE10hipError_tT0_T1_T2_jT3_P12ihipStream_tbPNSt15iterator_traitsISJ_E10value_typeEPNSP_ISK_E10value_typeEPSL_NS1_7vsmem_tEENKUlT_SJ_SK_SL_E_clISE_PxSF_SF_EESI_SY_SJ_SK_SL_EUlSY_E0_NS1_11comp_targetILNS1_3genE4ELNS1_11target_archE910ELNS1_3gpuE8ELNS1_3repE0EEENS1_38merge_mergepath_config_static_selectorELNS0_4arch9wavefront6targetE0EEEvSK_
	.p2align	8
	.type	_ZN7rocprim17ROCPRIM_400000_NS6detail17trampoline_kernelINS0_14default_configENS1_38merge_sort_block_merge_config_selectorIxNS0_10empty_typeEEEZZNS1_27merge_sort_block_merge_implIS3_N6thrust23THRUST_200600_302600_NS6detail15normal_iteratorINS9_10device_ptrIxEEEEPS5_m9comp_mod3IxEEE10hipError_tT0_T1_T2_jT3_P12ihipStream_tbPNSt15iterator_traitsISJ_E10value_typeEPNSP_ISK_E10value_typeEPSL_NS1_7vsmem_tEENKUlT_SJ_SK_SL_E_clISE_PxSF_SF_EESI_SY_SJ_SK_SL_EUlSY_E0_NS1_11comp_targetILNS1_3genE4ELNS1_11target_archE910ELNS1_3gpuE8ELNS1_3repE0EEENS1_38merge_mergepath_config_static_selectorELNS0_4arch9wavefront6targetE0EEEvSK_,@function
_ZN7rocprim17ROCPRIM_400000_NS6detail17trampoline_kernelINS0_14default_configENS1_38merge_sort_block_merge_config_selectorIxNS0_10empty_typeEEEZZNS1_27merge_sort_block_merge_implIS3_N6thrust23THRUST_200600_302600_NS6detail15normal_iteratorINS9_10device_ptrIxEEEEPS5_m9comp_mod3IxEEE10hipError_tT0_T1_T2_jT3_P12ihipStream_tbPNSt15iterator_traitsISJ_E10value_typeEPNSP_ISK_E10value_typeEPSL_NS1_7vsmem_tEENKUlT_SJ_SK_SL_E_clISE_PxSF_SF_EESI_SY_SJ_SK_SL_EUlSY_E0_NS1_11comp_targetILNS1_3genE4ELNS1_11target_archE910ELNS1_3gpuE8ELNS1_3repE0EEENS1_38merge_mergepath_config_static_selectorELNS0_4arch9wavefront6targetE0EEEvSK_: ; @_ZN7rocprim17ROCPRIM_400000_NS6detail17trampoline_kernelINS0_14default_configENS1_38merge_sort_block_merge_config_selectorIxNS0_10empty_typeEEEZZNS1_27merge_sort_block_merge_implIS3_N6thrust23THRUST_200600_302600_NS6detail15normal_iteratorINS9_10device_ptrIxEEEEPS5_m9comp_mod3IxEEE10hipError_tT0_T1_T2_jT3_P12ihipStream_tbPNSt15iterator_traitsISJ_E10value_typeEPNSP_ISK_E10value_typeEPSL_NS1_7vsmem_tEENKUlT_SJ_SK_SL_E_clISE_PxSF_SF_EESI_SY_SJ_SK_SL_EUlSY_E0_NS1_11comp_targetILNS1_3genE4ELNS1_11target_archE910ELNS1_3gpuE8ELNS1_3repE0EEENS1_38merge_mergepath_config_static_selectorELNS0_4arch9wavefront6targetE0EEEvSK_
; %bb.0:
	.section	.rodata,"a",@progbits
	.p2align	6, 0x0
	.amdhsa_kernel _ZN7rocprim17ROCPRIM_400000_NS6detail17trampoline_kernelINS0_14default_configENS1_38merge_sort_block_merge_config_selectorIxNS0_10empty_typeEEEZZNS1_27merge_sort_block_merge_implIS3_N6thrust23THRUST_200600_302600_NS6detail15normal_iteratorINS9_10device_ptrIxEEEEPS5_m9comp_mod3IxEEE10hipError_tT0_T1_T2_jT3_P12ihipStream_tbPNSt15iterator_traitsISJ_E10value_typeEPNSP_ISK_E10value_typeEPSL_NS1_7vsmem_tEENKUlT_SJ_SK_SL_E_clISE_PxSF_SF_EESI_SY_SJ_SK_SL_EUlSY_E0_NS1_11comp_targetILNS1_3genE4ELNS1_11target_archE910ELNS1_3gpuE8ELNS1_3repE0EEENS1_38merge_mergepath_config_static_selectorELNS0_4arch9wavefront6targetE0EEEvSK_
		.amdhsa_group_segment_fixed_size 0
		.amdhsa_private_segment_fixed_size 0
		.amdhsa_kernarg_size 80
		.amdhsa_user_sgpr_count 6
		.amdhsa_user_sgpr_private_segment_buffer 1
		.amdhsa_user_sgpr_dispatch_ptr 0
		.amdhsa_user_sgpr_queue_ptr 0
		.amdhsa_user_sgpr_kernarg_segment_ptr 1
		.amdhsa_user_sgpr_dispatch_id 0
		.amdhsa_user_sgpr_flat_scratch_init 0
		.amdhsa_user_sgpr_private_segment_size 0
		.amdhsa_wavefront_size32 1
		.amdhsa_uses_dynamic_stack 0
		.amdhsa_system_sgpr_private_segment_wavefront_offset 0
		.amdhsa_system_sgpr_workgroup_id_x 1
		.amdhsa_system_sgpr_workgroup_id_y 0
		.amdhsa_system_sgpr_workgroup_id_z 0
		.amdhsa_system_sgpr_workgroup_info 0
		.amdhsa_system_vgpr_workitem_id 0
		.amdhsa_next_free_vgpr 1
		.amdhsa_next_free_sgpr 1
		.amdhsa_reserve_vcc 0
		.amdhsa_reserve_flat_scratch 0
		.amdhsa_float_round_mode_32 0
		.amdhsa_float_round_mode_16_64 0
		.amdhsa_float_denorm_mode_32 3
		.amdhsa_float_denorm_mode_16_64 3
		.amdhsa_dx10_clamp 1
		.amdhsa_ieee_mode 1
		.amdhsa_fp16_overflow 0
		.amdhsa_workgroup_processor_mode 1
		.amdhsa_memory_ordered 1
		.amdhsa_forward_progress 1
		.amdhsa_shared_vgpr_count 0
		.amdhsa_exception_fp_ieee_invalid_op 0
		.amdhsa_exception_fp_denorm_src 0
		.amdhsa_exception_fp_ieee_div_zero 0
		.amdhsa_exception_fp_ieee_overflow 0
		.amdhsa_exception_fp_ieee_underflow 0
		.amdhsa_exception_fp_ieee_inexact 0
		.amdhsa_exception_int_div_zero 0
	.end_amdhsa_kernel
	.section	.text._ZN7rocprim17ROCPRIM_400000_NS6detail17trampoline_kernelINS0_14default_configENS1_38merge_sort_block_merge_config_selectorIxNS0_10empty_typeEEEZZNS1_27merge_sort_block_merge_implIS3_N6thrust23THRUST_200600_302600_NS6detail15normal_iteratorINS9_10device_ptrIxEEEEPS5_m9comp_mod3IxEEE10hipError_tT0_T1_T2_jT3_P12ihipStream_tbPNSt15iterator_traitsISJ_E10value_typeEPNSP_ISK_E10value_typeEPSL_NS1_7vsmem_tEENKUlT_SJ_SK_SL_E_clISE_PxSF_SF_EESI_SY_SJ_SK_SL_EUlSY_E0_NS1_11comp_targetILNS1_3genE4ELNS1_11target_archE910ELNS1_3gpuE8ELNS1_3repE0EEENS1_38merge_mergepath_config_static_selectorELNS0_4arch9wavefront6targetE0EEEvSK_,"axG",@progbits,_ZN7rocprim17ROCPRIM_400000_NS6detail17trampoline_kernelINS0_14default_configENS1_38merge_sort_block_merge_config_selectorIxNS0_10empty_typeEEEZZNS1_27merge_sort_block_merge_implIS3_N6thrust23THRUST_200600_302600_NS6detail15normal_iteratorINS9_10device_ptrIxEEEEPS5_m9comp_mod3IxEEE10hipError_tT0_T1_T2_jT3_P12ihipStream_tbPNSt15iterator_traitsISJ_E10value_typeEPNSP_ISK_E10value_typeEPSL_NS1_7vsmem_tEENKUlT_SJ_SK_SL_E_clISE_PxSF_SF_EESI_SY_SJ_SK_SL_EUlSY_E0_NS1_11comp_targetILNS1_3genE4ELNS1_11target_archE910ELNS1_3gpuE8ELNS1_3repE0EEENS1_38merge_mergepath_config_static_selectorELNS0_4arch9wavefront6targetE0EEEvSK_,comdat
.Lfunc_end966:
	.size	_ZN7rocprim17ROCPRIM_400000_NS6detail17trampoline_kernelINS0_14default_configENS1_38merge_sort_block_merge_config_selectorIxNS0_10empty_typeEEEZZNS1_27merge_sort_block_merge_implIS3_N6thrust23THRUST_200600_302600_NS6detail15normal_iteratorINS9_10device_ptrIxEEEEPS5_m9comp_mod3IxEEE10hipError_tT0_T1_T2_jT3_P12ihipStream_tbPNSt15iterator_traitsISJ_E10value_typeEPNSP_ISK_E10value_typeEPSL_NS1_7vsmem_tEENKUlT_SJ_SK_SL_E_clISE_PxSF_SF_EESI_SY_SJ_SK_SL_EUlSY_E0_NS1_11comp_targetILNS1_3genE4ELNS1_11target_archE910ELNS1_3gpuE8ELNS1_3repE0EEENS1_38merge_mergepath_config_static_selectorELNS0_4arch9wavefront6targetE0EEEvSK_, .Lfunc_end966-_ZN7rocprim17ROCPRIM_400000_NS6detail17trampoline_kernelINS0_14default_configENS1_38merge_sort_block_merge_config_selectorIxNS0_10empty_typeEEEZZNS1_27merge_sort_block_merge_implIS3_N6thrust23THRUST_200600_302600_NS6detail15normal_iteratorINS9_10device_ptrIxEEEEPS5_m9comp_mod3IxEEE10hipError_tT0_T1_T2_jT3_P12ihipStream_tbPNSt15iterator_traitsISJ_E10value_typeEPNSP_ISK_E10value_typeEPSL_NS1_7vsmem_tEENKUlT_SJ_SK_SL_E_clISE_PxSF_SF_EESI_SY_SJ_SK_SL_EUlSY_E0_NS1_11comp_targetILNS1_3genE4ELNS1_11target_archE910ELNS1_3gpuE8ELNS1_3repE0EEENS1_38merge_mergepath_config_static_selectorELNS0_4arch9wavefront6targetE0EEEvSK_
                                        ; -- End function
	.set _ZN7rocprim17ROCPRIM_400000_NS6detail17trampoline_kernelINS0_14default_configENS1_38merge_sort_block_merge_config_selectorIxNS0_10empty_typeEEEZZNS1_27merge_sort_block_merge_implIS3_N6thrust23THRUST_200600_302600_NS6detail15normal_iteratorINS9_10device_ptrIxEEEEPS5_m9comp_mod3IxEEE10hipError_tT0_T1_T2_jT3_P12ihipStream_tbPNSt15iterator_traitsISJ_E10value_typeEPNSP_ISK_E10value_typeEPSL_NS1_7vsmem_tEENKUlT_SJ_SK_SL_E_clISE_PxSF_SF_EESI_SY_SJ_SK_SL_EUlSY_E0_NS1_11comp_targetILNS1_3genE4ELNS1_11target_archE910ELNS1_3gpuE8ELNS1_3repE0EEENS1_38merge_mergepath_config_static_selectorELNS0_4arch9wavefront6targetE0EEEvSK_.num_vgpr, 0
	.set _ZN7rocprim17ROCPRIM_400000_NS6detail17trampoline_kernelINS0_14default_configENS1_38merge_sort_block_merge_config_selectorIxNS0_10empty_typeEEEZZNS1_27merge_sort_block_merge_implIS3_N6thrust23THRUST_200600_302600_NS6detail15normal_iteratorINS9_10device_ptrIxEEEEPS5_m9comp_mod3IxEEE10hipError_tT0_T1_T2_jT3_P12ihipStream_tbPNSt15iterator_traitsISJ_E10value_typeEPNSP_ISK_E10value_typeEPSL_NS1_7vsmem_tEENKUlT_SJ_SK_SL_E_clISE_PxSF_SF_EESI_SY_SJ_SK_SL_EUlSY_E0_NS1_11comp_targetILNS1_3genE4ELNS1_11target_archE910ELNS1_3gpuE8ELNS1_3repE0EEENS1_38merge_mergepath_config_static_selectorELNS0_4arch9wavefront6targetE0EEEvSK_.num_agpr, 0
	.set _ZN7rocprim17ROCPRIM_400000_NS6detail17trampoline_kernelINS0_14default_configENS1_38merge_sort_block_merge_config_selectorIxNS0_10empty_typeEEEZZNS1_27merge_sort_block_merge_implIS3_N6thrust23THRUST_200600_302600_NS6detail15normal_iteratorINS9_10device_ptrIxEEEEPS5_m9comp_mod3IxEEE10hipError_tT0_T1_T2_jT3_P12ihipStream_tbPNSt15iterator_traitsISJ_E10value_typeEPNSP_ISK_E10value_typeEPSL_NS1_7vsmem_tEENKUlT_SJ_SK_SL_E_clISE_PxSF_SF_EESI_SY_SJ_SK_SL_EUlSY_E0_NS1_11comp_targetILNS1_3genE4ELNS1_11target_archE910ELNS1_3gpuE8ELNS1_3repE0EEENS1_38merge_mergepath_config_static_selectorELNS0_4arch9wavefront6targetE0EEEvSK_.numbered_sgpr, 0
	.set _ZN7rocprim17ROCPRIM_400000_NS6detail17trampoline_kernelINS0_14default_configENS1_38merge_sort_block_merge_config_selectorIxNS0_10empty_typeEEEZZNS1_27merge_sort_block_merge_implIS3_N6thrust23THRUST_200600_302600_NS6detail15normal_iteratorINS9_10device_ptrIxEEEEPS5_m9comp_mod3IxEEE10hipError_tT0_T1_T2_jT3_P12ihipStream_tbPNSt15iterator_traitsISJ_E10value_typeEPNSP_ISK_E10value_typeEPSL_NS1_7vsmem_tEENKUlT_SJ_SK_SL_E_clISE_PxSF_SF_EESI_SY_SJ_SK_SL_EUlSY_E0_NS1_11comp_targetILNS1_3genE4ELNS1_11target_archE910ELNS1_3gpuE8ELNS1_3repE0EEENS1_38merge_mergepath_config_static_selectorELNS0_4arch9wavefront6targetE0EEEvSK_.num_named_barrier, 0
	.set _ZN7rocprim17ROCPRIM_400000_NS6detail17trampoline_kernelINS0_14default_configENS1_38merge_sort_block_merge_config_selectorIxNS0_10empty_typeEEEZZNS1_27merge_sort_block_merge_implIS3_N6thrust23THRUST_200600_302600_NS6detail15normal_iteratorINS9_10device_ptrIxEEEEPS5_m9comp_mod3IxEEE10hipError_tT0_T1_T2_jT3_P12ihipStream_tbPNSt15iterator_traitsISJ_E10value_typeEPNSP_ISK_E10value_typeEPSL_NS1_7vsmem_tEENKUlT_SJ_SK_SL_E_clISE_PxSF_SF_EESI_SY_SJ_SK_SL_EUlSY_E0_NS1_11comp_targetILNS1_3genE4ELNS1_11target_archE910ELNS1_3gpuE8ELNS1_3repE0EEENS1_38merge_mergepath_config_static_selectorELNS0_4arch9wavefront6targetE0EEEvSK_.private_seg_size, 0
	.set _ZN7rocprim17ROCPRIM_400000_NS6detail17trampoline_kernelINS0_14default_configENS1_38merge_sort_block_merge_config_selectorIxNS0_10empty_typeEEEZZNS1_27merge_sort_block_merge_implIS3_N6thrust23THRUST_200600_302600_NS6detail15normal_iteratorINS9_10device_ptrIxEEEEPS5_m9comp_mod3IxEEE10hipError_tT0_T1_T2_jT3_P12ihipStream_tbPNSt15iterator_traitsISJ_E10value_typeEPNSP_ISK_E10value_typeEPSL_NS1_7vsmem_tEENKUlT_SJ_SK_SL_E_clISE_PxSF_SF_EESI_SY_SJ_SK_SL_EUlSY_E0_NS1_11comp_targetILNS1_3genE4ELNS1_11target_archE910ELNS1_3gpuE8ELNS1_3repE0EEENS1_38merge_mergepath_config_static_selectorELNS0_4arch9wavefront6targetE0EEEvSK_.uses_vcc, 0
	.set _ZN7rocprim17ROCPRIM_400000_NS6detail17trampoline_kernelINS0_14default_configENS1_38merge_sort_block_merge_config_selectorIxNS0_10empty_typeEEEZZNS1_27merge_sort_block_merge_implIS3_N6thrust23THRUST_200600_302600_NS6detail15normal_iteratorINS9_10device_ptrIxEEEEPS5_m9comp_mod3IxEEE10hipError_tT0_T1_T2_jT3_P12ihipStream_tbPNSt15iterator_traitsISJ_E10value_typeEPNSP_ISK_E10value_typeEPSL_NS1_7vsmem_tEENKUlT_SJ_SK_SL_E_clISE_PxSF_SF_EESI_SY_SJ_SK_SL_EUlSY_E0_NS1_11comp_targetILNS1_3genE4ELNS1_11target_archE910ELNS1_3gpuE8ELNS1_3repE0EEENS1_38merge_mergepath_config_static_selectorELNS0_4arch9wavefront6targetE0EEEvSK_.uses_flat_scratch, 0
	.set _ZN7rocprim17ROCPRIM_400000_NS6detail17trampoline_kernelINS0_14default_configENS1_38merge_sort_block_merge_config_selectorIxNS0_10empty_typeEEEZZNS1_27merge_sort_block_merge_implIS3_N6thrust23THRUST_200600_302600_NS6detail15normal_iteratorINS9_10device_ptrIxEEEEPS5_m9comp_mod3IxEEE10hipError_tT0_T1_T2_jT3_P12ihipStream_tbPNSt15iterator_traitsISJ_E10value_typeEPNSP_ISK_E10value_typeEPSL_NS1_7vsmem_tEENKUlT_SJ_SK_SL_E_clISE_PxSF_SF_EESI_SY_SJ_SK_SL_EUlSY_E0_NS1_11comp_targetILNS1_3genE4ELNS1_11target_archE910ELNS1_3gpuE8ELNS1_3repE0EEENS1_38merge_mergepath_config_static_selectorELNS0_4arch9wavefront6targetE0EEEvSK_.has_dyn_sized_stack, 0
	.set _ZN7rocprim17ROCPRIM_400000_NS6detail17trampoline_kernelINS0_14default_configENS1_38merge_sort_block_merge_config_selectorIxNS0_10empty_typeEEEZZNS1_27merge_sort_block_merge_implIS3_N6thrust23THRUST_200600_302600_NS6detail15normal_iteratorINS9_10device_ptrIxEEEEPS5_m9comp_mod3IxEEE10hipError_tT0_T1_T2_jT3_P12ihipStream_tbPNSt15iterator_traitsISJ_E10value_typeEPNSP_ISK_E10value_typeEPSL_NS1_7vsmem_tEENKUlT_SJ_SK_SL_E_clISE_PxSF_SF_EESI_SY_SJ_SK_SL_EUlSY_E0_NS1_11comp_targetILNS1_3genE4ELNS1_11target_archE910ELNS1_3gpuE8ELNS1_3repE0EEENS1_38merge_mergepath_config_static_selectorELNS0_4arch9wavefront6targetE0EEEvSK_.has_recursion, 0
	.set _ZN7rocprim17ROCPRIM_400000_NS6detail17trampoline_kernelINS0_14default_configENS1_38merge_sort_block_merge_config_selectorIxNS0_10empty_typeEEEZZNS1_27merge_sort_block_merge_implIS3_N6thrust23THRUST_200600_302600_NS6detail15normal_iteratorINS9_10device_ptrIxEEEEPS5_m9comp_mod3IxEEE10hipError_tT0_T1_T2_jT3_P12ihipStream_tbPNSt15iterator_traitsISJ_E10value_typeEPNSP_ISK_E10value_typeEPSL_NS1_7vsmem_tEENKUlT_SJ_SK_SL_E_clISE_PxSF_SF_EESI_SY_SJ_SK_SL_EUlSY_E0_NS1_11comp_targetILNS1_3genE4ELNS1_11target_archE910ELNS1_3gpuE8ELNS1_3repE0EEENS1_38merge_mergepath_config_static_selectorELNS0_4arch9wavefront6targetE0EEEvSK_.has_indirect_call, 0
	.section	.AMDGPU.csdata,"",@progbits
; Kernel info:
; codeLenInByte = 0
; TotalNumSgprs: 0
; NumVgprs: 0
; ScratchSize: 0
; MemoryBound: 0
; FloatMode: 240
; IeeeMode: 1
; LDSByteSize: 0 bytes/workgroup (compile time only)
; SGPRBlocks: 0
; VGPRBlocks: 0
; NumSGPRsForWavesPerEU: 1
; NumVGPRsForWavesPerEU: 1
; Occupancy: 16
; WaveLimiterHint : 0
; COMPUTE_PGM_RSRC2:SCRATCH_EN: 0
; COMPUTE_PGM_RSRC2:USER_SGPR: 6
; COMPUTE_PGM_RSRC2:TRAP_HANDLER: 0
; COMPUTE_PGM_RSRC2:TGID_X_EN: 1
; COMPUTE_PGM_RSRC2:TGID_Y_EN: 0
; COMPUTE_PGM_RSRC2:TGID_Z_EN: 0
; COMPUTE_PGM_RSRC2:TIDIG_COMP_CNT: 0
	.section	.text._ZN7rocprim17ROCPRIM_400000_NS6detail17trampoline_kernelINS0_14default_configENS1_38merge_sort_block_merge_config_selectorIxNS0_10empty_typeEEEZZNS1_27merge_sort_block_merge_implIS3_N6thrust23THRUST_200600_302600_NS6detail15normal_iteratorINS9_10device_ptrIxEEEEPS5_m9comp_mod3IxEEE10hipError_tT0_T1_T2_jT3_P12ihipStream_tbPNSt15iterator_traitsISJ_E10value_typeEPNSP_ISK_E10value_typeEPSL_NS1_7vsmem_tEENKUlT_SJ_SK_SL_E_clISE_PxSF_SF_EESI_SY_SJ_SK_SL_EUlSY_E0_NS1_11comp_targetILNS1_3genE3ELNS1_11target_archE908ELNS1_3gpuE7ELNS1_3repE0EEENS1_38merge_mergepath_config_static_selectorELNS0_4arch9wavefront6targetE0EEEvSK_,"axG",@progbits,_ZN7rocprim17ROCPRIM_400000_NS6detail17trampoline_kernelINS0_14default_configENS1_38merge_sort_block_merge_config_selectorIxNS0_10empty_typeEEEZZNS1_27merge_sort_block_merge_implIS3_N6thrust23THRUST_200600_302600_NS6detail15normal_iteratorINS9_10device_ptrIxEEEEPS5_m9comp_mod3IxEEE10hipError_tT0_T1_T2_jT3_P12ihipStream_tbPNSt15iterator_traitsISJ_E10value_typeEPNSP_ISK_E10value_typeEPSL_NS1_7vsmem_tEENKUlT_SJ_SK_SL_E_clISE_PxSF_SF_EESI_SY_SJ_SK_SL_EUlSY_E0_NS1_11comp_targetILNS1_3genE3ELNS1_11target_archE908ELNS1_3gpuE7ELNS1_3repE0EEENS1_38merge_mergepath_config_static_selectorELNS0_4arch9wavefront6targetE0EEEvSK_,comdat
	.protected	_ZN7rocprim17ROCPRIM_400000_NS6detail17trampoline_kernelINS0_14default_configENS1_38merge_sort_block_merge_config_selectorIxNS0_10empty_typeEEEZZNS1_27merge_sort_block_merge_implIS3_N6thrust23THRUST_200600_302600_NS6detail15normal_iteratorINS9_10device_ptrIxEEEEPS5_m9comp_mod3IxEEE10hipError_tT0_T1_T2_jT3_P12ihipStream_tbPNSt15iterator_traitsISJ_E10value_typeEPNSP_ISK_E10value_typeEPSL_NS1_7vsmem_tEENKUlT_SJ_SK_SL_E_clISE_PxSF_SF_EESI_SY_SJ_SK_SL_EUlSY_E0_NS1_11comp_targetILNS1_3genE3ELNS1_11target_archE908ELNS1_3gpuE7ELNS1_3repE0EEENS1_38merge_mergepath_config_static_selectorELNS0_4arch9wavefront6targetE0EEEvSK_ ; -- Begin function _ZN7rocprim17ROCPRIM_400000_NS6detail17trampoline_kernelINS0_14default_configENS1_38merge_sort_block_merge_config_selectorIxNS0_10empty_typeEEEZZNS1_27merge_sort_block_merge_implIS3_N6thrust23THRUST_200600_302600_NS6detail15normal_iteratorINS9_10device_ptrIxEEEEPS5_m9comp_mod3IxEEE10hipError_tT0_T1_T2_jT3_P12ihipStream_tbPNSt15iterator_traitsISJ_E10value_typeEPNSP_ISK_E10value_typeEPSL_NS1_7vsmem_tEENKUlT_SJ_SK_SL_E_clISE_PxSF_SF_EESI_SY_SJ_SK_SL_EUlSY_E0_NS1_11comp_targetILNS1_3genE3ELNS1_11target_archE908ELNS1_3gpuE7ELNS1_3repE0EEENS1_38merge_mergepath_config_static_selectorELNS0_4arch9wavefront6targetE0EEEvSK_
	.globl	_ZN7rocprim17ROCPRIM_400000_NS6detail17trampoline_kernelINS0_14default_configENS1_38merge_sort_block_merge_config_selectorIxNS0_10empty_typeEEEZZNS1_27merge_sort_block_merge_implIS3_N6thrust23THRUST_200600_302600_NS6detail15normal_iteratorINS9_10device_ptrIxEEEEPS5_m9comp_mod3IxEEE10hipError_tT0_T1_T2_jT3_P12ihipStream_tbPNSt15iterator_traitsISJ_E10value_typeEPNSP_ISK_E10value_typeEPSL_NS1_7vsmem_tEENKUlT_SJ_SK_SL_E_clISE_PxSF_SF_EESI_SY_SJ_SK_SL_EUlSY_E0_NS1_11comp_targetILNS1_3genE3ELNS1_11target_archE908ELNS1_3gpuE7ELNS1_3repE0EEENS1_38merge_mergepath_config_static_selectorELNS0_4arch9wavefront6targetE0EEEvSK_
	.p2align	8
	.type	_ZN7rocprim17ROCPRIM_400000_NS6detail17trampoline_kernelINS0_14default_configENS1_38merge_sort_block_merge_config_selectorIxNS0_10empty_typeEEEZZNS1_27merge_sort_block_merge_implIS3_N6thrust23THRUST_200600_302600_NS6detail15normal_iteratorINS9_10device_ptrIxEEEEPS5_m9comp_mod3IxEEE10hipError_tT0_T1_T2_jT3_P12ihipStream_tbPNSt15iterator_traitsISJ_E10value_typeEPNSP_ISK_E10value_typeEPSL_NS1_7vsmem_tEENKUlT_SJ_SK_SL_E_clISE_PxSF_SF_EESI_SY_SJ_SK_SL_EUlSY_E0_NS1_11comp_targetILNS1_3genE3ELNS1_11target_archE908ELNS1_3gpuE7ELNS1_3repE0EEENS1_38merge_mergepath_config_static_selectorELNS0_4arch9wavefront6targetE0EEEvSK_,@function
_ZN7rocprim17ROCPRIM_400000_NS6detail17trampoline_kernelINS0_14default_configENS1_38merge_sort_block_merge_config_selectorIxNS0_10empty_typeEEEZZNS1_27merge_sort_block_merge_implIS3_N6thrust23THRUST_200600_302600_NS6detail15normal_iteratorINS9_10device_ptrIxEEEEPS5_m9comp_mod3IxEEE10hipError_tT0_T1_T2_jT3_P12ihipStream_tbPNSt15iterator_traitsISJ_E10value_typeEPNSP_ISK_E10value_typeEPSL_NS1_7vsmem_tEENKUlT_SJ_SK_SL_E_clISE_PxSF_SF_EESI_SY_SJ_SK_SL_EUlSY_E0_NS1_11comp_targetILNS1_3genE3ELNS1_11target_archE908ELNS1_3gpuE7ELNS1_3repE0EEENS1_38merge_mergepath_config_static_selectorELNS0_4arch9wavefront6targetE0EEEvSK_: ; @_ZN7rocprim17ROCPRIM_400000_NS6detail17trampoline_kernelINS0_14default_configENS1_38merge_sort_block_merge_config_selectorIxNS0_10empty_typeEEEZZNS1_27merge_sort_block_merge_implIS3_N6thrust23THRUST_200600_302600_NS6detail15normal_iteratorINS9_10device_ptrIxEEEEPS5_m9comp_mod3IxEEE10hipError_tT0_T1_T2_jT3_P12ihipStream_tbPNSt15iterator_traitsISJ_E10value_typeEPNSP_ISK_E10value_typeEPSL_NS1_7vsmem_tEENKUlT_SJ_SK_SL_E_clISE_PxSF_SF_EESI_SY_SJ_SK_SL_EUlSY_E0_NS1_11comp_targetILNS1_3genE3ELNS1_11target_archE908ELNS1_3gpuE7ELNS1_3repE0EEENS1_38merge_mergepath_config_static_selectorELNS0_4arch9wavefront6targetE0EEEvSK_
; %bb.0:
	.section	.rodata,"a",@progbits
	.p2align	6, 0x0
	.amdhsa_kernel _ZN7rocprim17ROCPRIM_400000_NS6detail17trampoline_kernelINS0_14default_configENS1_38merge_sort_block_merge_config_selectorIxNS0_10empty_typeEEEZZNS1_27merge_sort_block_merge_implIS3_N6thrust23THRUST_200600_302600_NS6detail15normal_iteratorINS9_10device_ptrIxEEEEPS5_m9comp_mod3IxEEE10hipError_tT0_T1_T2_jT3_P12ihipStream_tbPNSt15iterator_traitsISJ_E10value_typeEPNSP_ISK_E10value_typeEPSL_NS1_7vsmem_tEENKUlT_SJ_SK_SL_E_clISE_PxSF_SF_EESI_SY_SJ_SK_SL_EUlSY_E0_NS1_11comp_targetILNS1_3genE3ELNS1_11target_archE908ELNS1_3gpuE7ELNS1_3repE0EEENS1_38merge_mergepath_config_static_selectorELNS0_4arch9wavefront6targetE0EEEvSK_
		.amdhsa_group_segment_fixed_size 0
		.amdhsa_private_segment_fixed_size 0
		.amdhsa_kernarg_size 80
		.amdhsa_user_sgpr_count 6
		.amdhsa_user_sgpr_private_segment_buffer 1
		.amdhsa_user_sgpr_dispatch_ptr 0
		.amdhsa_user_sgpr_queue_ptr 0
		.amdhsa_user_sgpr_kernarg_segment_ptr 1
		.amdhsa_user_sgpr_dispatch_id 0
		.amdhsa_user_sgpr_flat_scratch_init 0
		.amdhsa_user_sgpr_private_segment_size 0
		.amdhsa_wavefront_size32 1
		.amdhsa_uses_dynamic_stack 0
		.amdhsa_system_sgpr_private_segment_wavefront_offset 0
		.amdhsa_system_sgpr_workgroup_id_x 1
		.amdhsa_system_sgpr_workgroup_id_y 0
		.amdhsa_system_sgpr_workgroup_id_z 0
		.amdhsa_system_sgpr_workgroup_info 0
		.amdhsa_system_vgpr_workitem_id 0
		.amdhsa_next_free_vgpr 1
		.amdhsa_next_free_sgpr 1
		.amdhsa_reserve_vcc 0
		.amdhsa_reserve_flat_scratch 0
		.amdhsa_float_round_mode_32 0
		.amdhsa_float_round_mode_16_64 0
		.amdhsa_float_denorm_mode_32 3
		.amdhsa_float_denorm_mode_16_64 3
		.amdhsa_dx10_clamp 1
		.amdhsa_ieee_mode 1
		.amdhsa_fp16_overflow 0
		.amdhsa_workgroup_processor_mode 1
		.amdhsa_memory_ordered 1
		.amdhsa_forward_progress 1
		.amdhsa_shared_vgpr_count 0
		.amdhsa_exception_fp_ieee_invalid_op 0
		.amdhsa_exception_fp_denorm_src 0
		.amdhsa_exception_fp_ieee_div_zero 0
		.amdhsa_exception_fp_ieee_overflow 0
		.amdhsa_exception_fp_ieee_underflow 0
		.amdhsa_exception_fp_ieee_inexact 0
		.amdhsa_exception_int_div_zero 0
	.end_amdhsa_kernel
	.section	.text._ZN7rocprim17ROCPRIM_400000_NS6detail17trampoline_kernelINS0_14default_configENS1_38merge_sort_block_merge_config_selectorIxNS0_10empty_typeEEEZZNS1_27merge_sort_block_merge_implIS3_N6thrust23THRUST_200600_302600_NS6detail15normal_iteratorINS9_10device_ptrIxEEEEPS5_m9comp_mod3IxEEE10hipError_tT0_T1_T2_jT3_P12ihipStream_tbPNSt15iterator_traitsISJ_E10value_typeEPNSP_ISK_E10value_typeEPSL_NS1_7vsmem_tEENKUlT_SJ_SK_SL_E_clISE_PxSF_SF_EESI_SY_SJ_SK_SL_EUlSY_E0_NS1_11comp_targetILNS1_3genE3ELNS1_11target_archE908ELNS1_3gpuE7ELNS1_3repE0EEENS1_38merge_mergepath_config_static_selectorELNS0_4arch9wavefront6targetE0EEEvSK_,"axG",@progbits,_ZN7rocprim17ROCPRIM_400000_NS6detail17trampoline_kernelINS0_14default_configENS1_38merge_sort_block_merge_config_selectorIxNS0_10empty_typeEEEZZNS1_27merge_sort_block_merge_implIS3_N6thrust23THRUST_200600_302600_NS6detail15normal_iteratorINS9_10device_ptrIxEEEEPS5_m9comp_mod3IxEEE10hipError_tT0_T1_T2_jT3_P12ihipStream_tbPNSt15iterator_traitsISJ_E10value_typeEPNSP_ISK_E10value_typeEPSL_NS1_7vsmem_tEENKUlT_SJ_SK_SL_E_clISE_PxSF_SF_EESI_SY_SJ_SK_SL_EUlSY_E0_NS1_11comp_targetILNS1_3genE3ELNS1_11target_archE908ELNS1_3gpuE7ELNS1_3repE0EEENS1_38merge_mergepath_config_static_selectorELNS0_4arch9wavefront6targetE0EEEvSK_,comdat
.Lfunc_end967:
	.size	_ZN7rocprim17ROCPRIM_400000_NS6detail17trampoline_kernelINS0_14default_configENS1_38merge_sort_block_merge_config_selectorIxNS0_10empty_typeEEEZZNS1_27merge_sort_block_merge_implIS3_N6thrust23THRUST_200600_302600_NS6detail15normal_iteratorINS9_10device_ptrIxEEEEPS5_m9comp_mod3IxEEE10hipError_tT0_T1_T2_jT3_P12ihipStream_tbPNSt15iterator_traitsISJ_E10value_typeEPNSP_ISK_E10value_typeEPSL_NS1_7vsmem_tEENKUlT_SJ_SK_SL_E_clISE_PxSF_SF_EESI_SY_SJ_SK_SL_EUlSY_E0_NS1_11comp_targetILNS1_3genE3ELNS1_11target_archE908ELNS1_3gpuE7ELNS1_3repE0EEENS1_38merge_mergepath_config_static_selectorELNS0_4arch9wavefront6targetE0EEEvSK_, .Lfunc_end967-_ZN7rocprim17ROCPRIM_400000_NS6detail17trampoline_kernelINS0_14default_configENS1_38merge_sort_block_merge_config_selectorIxNS0_10empty_typeEEEZZNS1_27merge_sort_block_merge_implIS3_N6thrust23THRUST_200600_302600_NS6detail15normal_iteratorINS9_10device_ptrIxEEEEPS5_m9comp_mod3IxEEE10hipError_tT0_T1_T2_jT3_P12ihipStream_tbPNSt15iterator_traitsISJ_E10value_typeEPNSP_ISK_E10value_typeEPSL_NS1_7vsmem_tEENKUlT_SJ_SK_SL_E_clISE_PxSF_SF_EESI_SY_SJ_SK_SL_EUlSY_E0_NS1_11comp_targetILNS1_3genE3ELNS1_11target_archE908ELNS1_3gpuE7ELNS1_3repE0EEENS1_38merge_mergepath_config_static_selectorELNS0_4arch9wavefront6targetE0EEEvSK_
                                        ; -- End function
	.set _ZN7rocprim17ROCPRIM_400000_NS6detail17trampoline_kernelINS0_14default_configENS1_38merge_sort_block_merge_config_selectorIxNS0_10empty_typeEEEZZNS1_27merge_sort_block_merge_implIS3_N6thrust23THRUST_200600_302600_NS6detail15normal_iteratorINS9_10device_ptrIxEEEEPS5_m9comp_mod3IxEEE10hipError_tT0_T1_T2_jT3_P12ihipStream_tbPNSt15iterator_traitsISJ_E10value_typeEPNSP_ISK_E10value_typeEPSL_NS1_7vsmem_tEENKUlT_SJ_SK_SL_E_clISE_PxSF_SF_EESI_SY_SJ_SK_SL_EUlSY_E0_NS1_11comp_targetILNS1_3genE3ELNS1_11target_archE908ELNS1_3gpuE7ELNS1_3repE0EEENS1_38merge_mergepath_config_static_selectorELNS0_4arch9wavefront6targetE0EEEvSK_.num_vgpr, 0
	.set _ZN7rocprim17ROCPRIM_400000_NS6detail17trampoline_kernelINS0_14default_configENS1_38merge_sort_block_merge_config_selectorIxNS0_10empty_typeEEEZZNS1_27merge_sort_block_merge_implIS3_N6thrust23THRUST_200600_302600_NS6detail15normal_iteratorINS9_10device_ptrIxEEEEPS5_m9comp_mod3IxEEE10hipError_tT0_T1_T2_jT3_P12ihipStream_tbPNSt15iterator_traitsISJ_E10value_typeEPNSP_ISK_E10value_typeEPSL_NS1_7vsmem_tEENKUlT_SJ_SK_SL_E_clISE_PxSF_SF_EESI_SY_SJ_SK_SL_EUlSY_E0_NS1_11comp_targetILNS1_3genE3ELNS1_11target_archE908ELNS1_3gpuE7ELNS1_3repE0EEENS1_38merge_mergepath_config_static_selectorELNS0_4arch9wavefront6targetE0EEEvSK_.num_agpr, 0
	.set _ZN7rocprim17ROCPRIM_400000_NS6detail17trampoline_kernelINS0_14default_configENS1_38merge_sort_block_merge_config_selectorIxNS0_10empty_typeEEEZZNS1_27merge_sort_block_merge_implIS3_N6thrust23THRUST_200600_302600_NS6detail15normal_iteratorINS9_10device_ptrIxEEEEPS5_m9comp_mod3IxEEE10hipError_tT0_T1_T2_jT3_P12ihipStream_tbPNSt15iterator_traitsISJ_E10value_typeEPNSP_ISK_E10value_typeEPSL_NS1_7vsmem_tEENKUlT_SJ_SK_SL_E_clISE_PxSF_SF_EESI_SY_SJ_SK_SL_EUlSY_E0_NS1_11comp_targetILNS1_3genE3ELNS1_11target_archE908ELNS1_3gpuE7ELNS1_3repE0EEENS1_38merge_mergepath_config_static_selectorELNS0_4arch9wavefront6targetE0EEEvSK_.numbered_sgpr, 0
	.set _ZN7rocprim17ROCPRIM_400000_NS6detail17trampoline_kernelINS0_14default_configENS1_38merge_sort_block_merge_config_selectorIxNS0_10empty_typeEEEZZNS1_27merge_sort_block_merge_implIS3_N6thrust23THRUST_200600_302600_NS6detail15normal_iteratorINS9_10device_ptrIxEEEEPS5_m9comp_mod3IxEEE10hipError_tT0_T1_T2_jT3_P12ihipStream_tbPNSt15iterator_traitsISJ_E10value_typeEPNSP_ISK_E10value_typeEPSL_NS1_7vsmem_tEENKUlT_SJ_SK_SL_E_clISE_PxSF_SF_EESI_SY_SJ_SK_SL_EUlSY_E0_NS1_11comp_targetILNS1_3genE3ELNS1_11target_archE908ELNS1_3gpuE7ELNS1_3repE0EEENS1_38merge_mergepath_config_static_selectorELNS0_4arch9wavefront6targetE0EEEvSK_.num_named_barrier, 0
	.set _ZN7rocprim17ROCPRIM_400000_NS6detail17trampoline_kernelINS0_14default_configENS1_38merge_sort_block_merge_config_selectorIxNS0_10empty_typeEEEZZNS1_27merge_sort_block_merge_implIS3_N6thrust23THRUST_200600_302600_NS6detail15normal_iteratorINS9_10device_ptrIxEEEEPS5_m9comp_mod3IxEEE10hipError_tT0_T1_T2_jT3_P12ihipStream_tbPNSt15iterator_traitsISJ_E10value_typeEPNSP_ISK_E10value_typeEPSL_NS1_7vsmem_tEENKUlT_SJ_SK_SL_E_clISE_PxSF_SF_EESI_SY_SJ_SK_SL_EUlSY_E0_NS1_11comp_targetILNS1_3genE3ELNS1_11target_archE908ELNS1_3gpuE7ELNS1_3repE0EEENS1_38merge_mergepath_config_static_selectorELNS0_4arch9wavefront6targetE0EEEvSK_.private_seg_size, 0
	.set _ZN7rocprim17ROCPRIM_400000_NS6detail17trampoline_kernelINS0_14default_configENS1_38merge_sort_block_merge_config_selectorIxNS0_10empty_typeEEEZZNS1_27merge_sort_block_merge_implIS3_N6thrust23THRUST_200600_302600_NS6detail15normal_iteratorINS9_10device_ptrIxEEEEPS5_m9comp_mod3IxEEE10hipError_tT0_T1_T2_jT3_P12ihipStream_tbPNSt15iterator_traitsISJ_E10value_typeEPNSP_ISK_E10value_typeEPSL_NS1_7vsmem_tEENKUlT_SJ_SK_SL_E_clISE_PxSF_SF_EESI_SY_SJ_SK_SL_EUlSY_E0_NS1_11comp_targetILNS1_3genE3ELNS1_11target_archE908ELNS1_3gpuE7ELNS1_3repE0EEENS1_38merge_mergepath_config_static_selectorELNS0_4arch9wavefront6targetE0EEEvSK_.uses_vcc, 0
	.set _ZN7rocprim17ROCPRIM_400000_NS6detail17trampoline_kernelINS0_14default_configENS1_38merge_sort_block_merge_config_selectorIxNS0_10empty_typeEEEZZNS1_27merge_sort_block_merge_implIS3_N6thrust23THRUST_200600_302600_NS6detail15normal_iteratorINS9_10device_ptrIxEEEEPS5_m9comp_mod3IxEEE10hipError_tT0_T1_T2_jT3_P12ihipStream_tbPNSt15iterator_traitsISJ_E10value_typeEPNSP_ISK_E10value_typeEPSL_NS1_7vsmem_tEENKUlT_SJ_SK_SL_E_clISE_PxSF_SF_EESI_SY_SJ_SK_SL_EUlSY_E0_NS1_11comp_targetILNS1_3genE3ELNS1_11target_archE908ELNS1_3gpuE7ELNS1_3repE0EEENS1_38merge_mergepath_config_static_selectorELNS0_4arch9wavefront6targetE0EEEvSK_.uses_flat_scratch, 0
	.set _ZN7rocprim17ROCPRIM_400000_NS6detail17trampoline_kernelINS0_14default_configENS1_38merge_sort_block_merge_config_selectorIxNS0_10empty_typeEEEZZNS1_27merge_sort_block_merge_implIS3_N6thrust23THRUST_200600_302600_NS6detail15normal_iteratorINS9_10device_ptrIxEEEEPS5_m9comp_mod3IxEEE10hipError_tT0_T1_T2_jT3_P12ihipStream_tbPNSt15iterator_traitsISJ_E10value_typeEPNSP_ISK_E10value_typeEPSL_NS1_7vsmem_tEENKUlT_SJ_SK_SL_E_clISE_PxSF_SF_EESI_SY_SJ_SK_SL_EUlSY_E0_NS1_11comp_targetILNS1_3genE3ELNS1_11target_archE908ELNS1_3gpuE7ELNS1_3repE0EEENS1_38merge_mergepath_config_static_selectorELNS0_4arch9wavefront6targetE0EEEvSK_.has_dyn_sized_stack, 0
	.set _ZN7rocprim17ROCPRIM_400000_NS6detail17trampoline_kernelINS0_14default_configENS1_38merge_sort_block_merge_config_selectorIxNS0_10empty_typeEEEZZNS1_27merge_sort_block_merge_implIS3_N6thrust23THRUST_200600_302600_NS6detail15normal_iteratorINS9_10device_ptrIxEEEEPS5_m9comp_mod3IxEEE10hipError_tT0_T1_T2_jT3_P12ihipStream_tbPNSt15iterator_traitsISJ_E10value_typeEPNSP_ISK_E10value_typeEPSL_NS1_7vsmem_tEENKUlT_SJ_SK_SL_E_clISE_PxSF_SF_EESI_SY_SJ_SK_SL_EUlSY_E0_NS1_11comp_targetILNS1_3genE3ELNS1_11target_archE908ELNS1_3gpuE7ELNS1_3repE0EEENS1_38merge_mergepath_config_static_selectorELNS0_4arch9wavefront6targetE0EEEvSK_.has_recursion, 0
	.set _ZN7rocprim17ROCPRIM_400000_NS6detail17trampoline_kernelINS0_14default_configENS1_38merge_sort_block_merge_config_selectorIxNS0_10empty_typeEEEZZNS1_27merge_sort_block_merge_implIS3_N6thrust23THRUST_200600_302600_NS6detail15normal_iteratorINS9_10device_ptrIxEEEEPS5_m9comp_mod3IxEEE10hipError_tT0_T1_T2_jT3_P12ihipStream_tbPNSt15iterator_traitsISJ_E10value_typeEPNSP_ISK_E10value_typeEPSL_NS1_7vsmem_tEENKUlT_SJ_SK_SL_E_clISE_PxSF_SF_EESI_SY_SJ_SK_SL_EUlSY_E0_NS1_11comp_targetILNS1_3genE3ELNS1_11target_archE908ELNS1_3gpuE7ELNS1_3repE0EEENS1_38merge_mergepath_config_static_selectorELNS0_4arch9wavefront6targetE0EEEvSK_.has_indirect_call, 0
	.section	.AMDGPU.csdata,"",@progbits
; Kernel info:
; codeLenInByte = 0
; TotalNumSgprs: 0
; NumVgprs: 0
; ScratchSize: 0
; MemoryBound: 0
; FloatMode: 240
; IeeeMode: 1
; LDSByteSize: 0 bytes/workgroup (compile time only)
; SGPRBlocks: 0
; VGPRBlocks: 0
; NumSGPRsForWavesPerEU: 1
; NumVGPRsForWavesPerEU: 1
; Occupancy: 16
; WaveLimiterHint : 0
; COMPUTE_PGM_RSRC2:SCRATCH_EN: 0
; COMPUTE_PGM_RSRC2:USER_SGPR: 6
; COMPUTE_PGM_RSRC2:TRAP_HANDLER: 0
; COMPUTE_PGM_RSRC2:TGID_X_EN: 1
; COMPUTE_PGM_RSRC2:TGID_Y_EN: 0
; COMPUTE_PGM_RSRC2:TGID_Z_EN: 0
; COMPUTE_PGM_RSRC2:TIDIG_COMP_CNT: 0
	.section	.text._ZN7rocprim17ROCPRIM_400000_NS6detail17trampoline_kernelINS0_14default_configENS1_38merge_sort_block_merge_config_selectorIxNS0_10empty_typeEEEZZNS1_27merge_sort_block_merge_implIS3_N6thrust23THRUST_200600_302600_NS6detail15normal_iteratorINS9_10device_ptrIxEEEEPS5_m9comp_mod3IxEEE10hipError_tT0_T1_T2_jT3_P12ihipStream_tbPNSt15iterator_traitsISJ_E10value_typeEPNSP_ISK_E10value_typeEPSL_NS1_7vsmem_tEENKUlT_SJ_SK_SL_E_clISE_PxSF_SF_EESI_SY_SJ_SK_SL_EUlSY_E0_NS1_11comp_targetILNS1_3genE2ELNS1_11target_archE906ELNS1_3gpuE6ELNS1_3repE0EEENS1_38merge_mergepath_config_static_selectorELNS0_4arch9wavefront6targetE0EEEvSK_,"axG",@progbits,_ZN7rocprim17ROCPRIM_400000_NS6detail17trampoline_kernelINS0_14default_configENS1_38merge_sort_block_merge_config_selectorIxNS0_10empty_typeEEEZZNS1_27merge_sort_block_merge_implIS3_N6thrust23THRUST_200600_302600_NS6detail15normal_iteratorINS9_10device_ptrIxEEEEPS5_m9comp_mod3IxEEE10hipError_tT0_T1_T2_jT3_P12ihipStream_tbPNSt15iterator_traitsISJ_E10value_typeEPNSP_ISK_E10value_typeEPSL_NS1_7vsmem_tEENKUlT_SJ_SK_SL_E_clISE_PxSF_SF_EESI_SY_SJ_SK_SL_EUlSY_E0_NS1_11comp_targetILNS1_3genE2ELNS1_11target_archE906ELNS1_3gpuE6ELNS1_3repE0EEENS1_38merge_mergepath_config_static_selectorELNS0_4arch9wavefront6targetE0EEEvSK_,comdat
	.protected	_ZN7rocprim17ROCPRIM_400000_NS6detail17trampoline_kernelINS0_14default_configENS1_38merge_sort_block_merge_config_selectorIxNS0_10empty_typeEEEZZNS1_27merge_sort_block_merge_implIS3_N6thrust23THRUST_200600_302600_NS6detail15normal_iteratorINS9_10device_ptrIxEEEEPS5_m9comp_mod3IxEEE10hipError_tT0_T1_T2_jT3_P12ihipStream_tbPNSt15iterator_traitsISJ_E10value_typeEPNSP_ISK_E10value_typeEPSL_NS1_7vsmem_tEENKUlT_SJ_SK_SL_E_clISE_PxSF_SF_EESI_SY_SJ_SK_SL_EUlSY_E0_NS1_11comp_targetILNS1_3genE2ELNS1_11target_archE906ELNS1_3gpuE6ELNS1_3repE0EEENS1_38merge_mergepath_config_static_selectorELNS0_4arch9wavefront6targetE0EEEvSK_ ; -- Begin function _ZN7rocprim17ROCPRIM_400000_NS6detail17trampoline_kernelINS0_14default_configENS1_38merge_sort_block_merge_config_selectorIxNS0_10empty_typeEEEZZNS1_27merge_sort_block_merge_implIS3_N6thrust23THRUST_200600_302600_NS6detail15normal_iteratorINS9_10device_ptrIxEEEEPS5_m9comp_mod3IxEEE10hipError_tT0_T1_T2_jT3_P12ihipStream_tbPNSt15iterator_traitsISJ_E10value_typeEPNSP_ISK_E10value_typeEPSL_NS1_7vsmem_tEENKUlT_SJ_SK_SL_E_clISE_PxSF_SF_EESI_SY_SJ_SK_SL_EUlSY_E0_NS1_11comp_targetILNS1_3genE2ELNS1_11target_archE906ELNS1_3gpuE6ELNS1_3repE0EEENS1_38merge_mergepath_config_static_selectorELNS0_4arch9wavefront6targetE0EEEvSK_
	.globl	_ZN7rocprim17ROCPRIM_400000_NS6detail17trampoline_kernelINS0_14default_configENS1_38merge_sort_block_merge_config_selectorIxNS0_10empty_typeEEEZZNS1_27merge_sort_block_merge_implIS3_N6thrust23THRUST_200600_302600_NS6detail15normal_iteratorINS9_10device_ptrIxEEEEPS5_m9comp_mod3IxEEE10hipError_tT0_T1_T2_jT3_P12ihipStream_tbPNSt15iterator_traitsISJ_E10value_typeEPNSP_ISK_E10value_typeEPSL_NS1_7vsmem_tEENKUlT_SJ_SK_SL_E_clISE_PxSF_SF_EESI_SY_SJ_SK_SL_EUlSY_E0_NS1_11comp_targetILNS1_3genE2ELNS1_11target_archE906ELNS1_3gpuE6ELNS1_3repE0EEENS1_38merge_mergepath_config_static_selectorELNS0_4arch9wavefront6targetE0EEEvSK_
	.p2align	8
	.type	_ZN7rocprim17ROCPRIM_400000_NS6detail17trampoline_kernelINS0_14default_configENS1_38merge_sort_block_merge_config_selectorIxNS0_10empty_typeEEEZZNS1_27merge_sort_block_merge_implIS3_N6thrust23THRUST_200600_302600_NS6detail15normal_iteratorINS9_10device_ptrIxEEEEPS5_m9comp_mod3IxEEE10hipError_tT0_T1_T2_jT3_P12ihipStream_tbPNSt15iterator_traitsISJ_E10value_typeEPNSP_ISK_E10value_typeEPSL_NS1_7vsmem_tEENKUlT_SJ_SK_SL_E_clISE_PxSF_SF_EESI_SY_SJ_SK_SL_EUlSY_E0_NS1_11comp_targetILNS1_3genE2ELNS1_11target_archE906ELNS1_3gpuE6ELNS1_3repE0EEENS1_38merge_mergepath_config_static_selectorELNS0_4arch9wavefront6targetE0EEEvSK_,@function
_ZN7rocprim17ROCPRIM_400000_NS6detail17trampoline_kernelINS0_14default_configENS1_38merge_sort_block_merge_config_selectorIxNS0_10empty_typeEEEZZNS1_27merge_sort_block_merge_implIS3_N6thrust23THRUST_200600_302600_NS6detail15normal_iteratorINS9_10device_ptrIxEEEEPS5_m9comp_mod3IxEEE10hipError_tT0_T1_T2_jT3_P12ihipStream_tbPNSt15iterator_traitsISJ_E10value_typeEPNSP_ISK_E10value_typeEPSL_NS1_7vsmem_tEENKUlT_SJ_SK_SL_E_clISE_PxSF_SF_EESI_SY_SJ_SK_SL_EUlSY_E0_NS1_11comp_targetILNS1_3genE2ELNS1_11target_archE906ELNS1_3gpuE6ELNS1_3repE0EEENS1_38merge_mergepath_config_static_selectorELNS0_4arch9wavefront6targetE0EEEvSK_: ; @_ZN7rocprim17ROCPRIM_400000_NS6detail17trampoline_kernelINS0_14default_configENS1_38merge_sort_block_merge_config_selectorIxNS0_10empty_typeEEEZZNS1_27merge_sort_block_merge_implIS3_N6thrust23THRUST_200600_302600_NS6detail15normal_iteratorINS9_10device_ptrIxEEEEPS5_m9comp_mod3IxEEE10hipError_tT0_T1_T2_jT3_P12ihipStream_tbPNSt15iterator_traitsISJ_E10value_typeEPNSP_ISK_E10value_typeEPSL_NS1_7vsmem_tEENKUlT_SJ_SK_SL_E_clISE_PxSF_SF_EESI_SY_SJ_SK_SL_EUlSY_E0_NS1_11comp_targetILNS1_3genE2ELNS1_11target_archE906ELNS1_3gpuE6ELNS1_3repE0EEENS1_38merge_mergepath_config_static_selectorELNS0_4arch9wavefront6targetE0EEEvSK_
; %bb.0:
	.section	.rodata,"a",@progbits
	.p2align	6, 0x0
	.amdhsa_kernel _ZN7rocprim17ROCPRIM_400000_NS6detail17trampoline_kernelINS0_14default_configENS1_38merge_sort_block_merge_config_selectorIxNS0_10empty_typeEEEZZNS1_27merge_sort_block_merge_implIS3_N6thrust23THRUST_200600_302600_NS6detail15normal_iteratorINS9_10device_ptrIxEEEEPS5_m9comp_mod3IxEEE10hipError_tT0_T1_T2_jT3_P12ihipStream_tbPNSt15iterator_traitsISJ_E10value_typeEPNSP_ISK_E10value_typeEPSL_NS1_7vsmem_tEENKUlT_SJ_SK_SL_E_clISE_PxSF_SF_EESI_SY_SJ_SK_SL_EUlSY_E0_NS1_11comp_targetILNS1_3genE2ELNS1_11target_archE906ELNS1_3gpuE6ELNS1_3repE0EEENS1_38merge_mergepath_config_static_selectorELNS0_4arch9wavefront6targetE0EEEvSK_
		.amdhsa_group_segment_fixed_size 0
		.amdhsa_private_segment_fixed_size 0
		.amdhsa_kernarg_size 80
		.amdhsa_user_sgpr_count 6
		.amdhsa_user_sgpr_private_segment_buffer 1
		.amdhsa_user_sgpr_dispatch_ptr 0
		.amdhsa_user_sgpr_queue_ptr 0
		.amdhsa_user_sgpr_kernarg_segment_ptr 1
		.amdhsa_user_sgpr_dispatch_id 0
		.amdhsa_user_sgpr_flat_scratch_init 0
		.amdhsa_user_sgpr_private_segment_size 0
		.amdhsa_wavefront_size32 1
		.amdhsa_uses_dynamic_stack 0
		.amdhsa_system_sgpr_private_segment_wavefront_offset 0
		.amdhsa_system_sgpr_workgroup_id_x 1
		.amdhsa_system_sgpr_workgroup_id_y 0
		.amdhsa_system_sgpr_workgroup_id_z 0
		.amdhsa_system_sgpr_workgroup_info 0
		.amdhsa_system_vgpr_workitem_id 0
		.amdhsa_next_free_vgpr 1
		.amdhsa_next_free_sgpr 1
		.amdhsa_reserve_vcc 0
		.amdhsa_reserve_flat_scratch 0
		.amdhsa_float_round_mode_32 0
		.amdhsa_float_round_mode_16_64 0
		.amdhsa_float_denorm_mode_32 3
		.amdhsa_float_denorm_mode_16_64 3
		.amdhsa_dx10_clamp 1
		.amdhsa_ieee_mode 1
		.amdhsa_fp16_overflow 0
		.amdhsa_workgroup_processor_mode 1
		.amdhsa_memory_ordered 1
		.amdhsa_forward_progress 1
		.amdhsa_shared_vgpr_count 0
		.amdhsa_exception_fp_ieee_invalid_op 0
		.amdhsa_exception_fp_denorm_src 0
		.amdhsa_exception_fp_ieee_div_zero 0
		.amdhsa_exception_fp_ieee_overflow 0
		.amdhsa_exception_fp_ieee_underflow 0
		.amdhsa_exception_fp_ieee_inexact 0
		.amdhsa_exception_int_div_zero 0
	.end_amdhsa_kernel
	.section	.text._ZN7rocprim17ROCPRIM_400000_NS6detail17trampoline_kernelINS0_14default_configENS1_38merge_sort_block_merge_config_selectorIxNS0_10empty_typeEEEZZNS1_27merge_sort_block_merge_implIS3_N6thrust23THRUST_200600_302600_NS6detail15normal_iteratorINS9_10device_ptrIxEEEEPS5_m9comp_mod3IxEEE10hipError_tT0_T1_T2_jT3_P12ihipStream_tbPNSt15iterator_traitsISJ_E10value_typeEPNSP_ISK_E10value_typeEPSL_NS1_7vsmem_tEENKUlT_SJ_SK_SL_E_clISE_PxSF_SF_EESI_SY_SJ_SK_SL_EUlSY_E0_NS1_11comp_targetILNS1_3genE2ELNS1_11target_archE906ELNS1_3gpuE6ELNS1_3repE0EEENS1_38merge_mergepath_config_static_selectorELNS0_4arch9wavefront6targetE0EEEvSK_,"axG",@progbits,_ZN7rocprim17ROCPRIM_400000_NS6detail17trampoline_kernelINS0_14default_configENS1_38merge_sort_block_merge_config_selectorIxNS0_10empty_typeEEEZZNS1_27merge_sort_block_merge_implIS3_N6thrust23THRUST_200600_302600_NS6detail15normal_iteratorINS9_10device_ptrIxEEEEPS5_m9comp_mod3IxEEE10hipError_tT0_T1_T2_jT3_P12ihipStream_tbPNSt15iterator_traitsISJ_E10value_typeEPNSP_ISK_E10value_typeEPSL_NS1_7vsmem_tEENKUlT_SJ_SK_SL_E_clISE_PxSF_SF_EESI_SY_SJ_SK_SL_EUlSY_E0_NS1_11comp_targetILNS1_3genE2ELNS1_11target_archE906ELNS1_3gpuE6ELNS1_3repE0EEENS1_38merge_mergepath_config_static_selectorELNS0_4arch9wavefront6targetE0EEEvSK_,comdat
.Lfunc_end968:
	.size	_ZN7rocprim17ROCPRIM_400000_NS6detail17trampoline_kernelINS0_14default_configENS1_38merge_sort_block_merge_config_selectorIxNS0_10empty_typeEEEZZNS1_27merge_sort_block_merge_implIS3_N6thrust23THRUST_200600_302600_NS6detail15normal_iteratorINS9_10device_ptrIxEEEEPS5_m9comp_mod3IxEEE10hipError_tT0_T1_T2_jT3_P12ihipStream_tbPNSt15iterator_traitsISJ_E10value_typeEPNSP_ISK_E10value_typeEPSL_NS1_7vsmem_tEENKUlT_SJ_SK_SL_E_clISE_PxSF_SF_EESI_SY_SJ_SK_SL_EUlSY_E0_NS1_11comp_targetILNS1_3genE2ELNS1_11target_archE906ELNS1_3gpuE6ELNS1_3repE0EEENS1_38merge_mergepath_config_static_selectorELNS0_4arch9wavefront6targetE0EEEvSK_, .Lfunc_end968-_ZN7rocprim17ROCPRIM_400000_NS6detail17trampoline_kernelINS0_14default_configENS1_38merge_sort_block_merge_config_selectorIxNS0_10empty_typeEEEZZNS1_27merge_sort_block_merge_implIS3_N6thrust23THRUST_200600_302600_NS6detail15normal_iteratorINS9_10device_ptrIxEEEEPS5_m9comp_mod3IxEEE10hipError_tT0_T1_T2_jT3_P12ihipStream_tbPNSt15iterator_traitsISJ_E10value_typeEPNSP_ISK_E10value_typeEPSL_NS1_7vsmem_tEENKUlT_SJ_SK_SL_E_clISE_PxSF_SF_EESI_SY_SJ_SK_SL_EUlSY_E0_NS1_11comp_targetILNS1_3genE2ELNS1_11target_archE906ELNS1_3gpuE6ELNS1_3repE0EEENS1_38merge_mergepath_config_static_selectorELNS0_4arch9wavefront6targetE0EEEvSK_
                                        ; -- End function
	.set _ZN7rocprim17ROCPRIM_400000_NS6detail17trampoline_kernelINS0_14default_configENS1_38merge_sort_block_merge_config_selectorIxNS0_10empty_typeEEEZZNS1_27merge_sort_block_merge_implIS3_N6thrust23THRUST_200600_302600_NS6detail15normal_iteratorINS9_10device_ptrIxEEEEPS5_m9comp_mod3IxEEE10hipError_tT0_T1_T2_jT3_P12ihipStream_tbPNSt15iterator_traitsISJ_E10value_typeEPNSP_ISK_E10value_typeEPSL_NS1_7vsmem_tEENKUlT_SJ_SK_SL_E_clISE_PxSF_SF_EESI_SY_SJ_SK_SL_EUlSY_E0_NS1_11comp_targetILNS1_3genE2ELNS1_11target_archE906ELNS1_3gpuE6ELNS1_3repE0EEENS1_38merge_mergepath_config_static_selectorELNS0_4arch9wavefront6targetE0EEEvSK_.num_vgpr, 0
	.set _ZN7rocprim17ROCPRIM_400000_NS6detail17trampoline_kernelINS0_14default_configENS1_38merge_sort_block_merge_config_selectorIxNS0_10empty_typeEEEZZNS1_27merge_sort_block_merge_implIS3_N6thrust23THRUST_200600_302600_NS6detail15normal_iteratorINS9_10device_ptrIxEEEEPS5_m9comp_mod3IxEEE10hipError_tT0_T1_T2_jT3_P12ihipStream_tbPNSt15iterator_traitsISJ_E10value_typeEPNSP_ISK_E10value_typeEPSL_NS1_7vsmem_tEENKUlT_SJ_SK_SL_E_clISE_PxSF_SF_EESI_SY_SJ_SK_SL_EUlSY_E0_NS1_11comp_targetILNS1_3genE2ELNS1_11target_archE906ELNS1_3gpuE6ELNS1_3repE0EEENS1_38merge_mergepath_config_static_selectorELNS0_4arch9wavefront6targetE0EEEvSK_.num_agpr, 0
	.set _ZN7rocprim17ROCPRIM_400000_NS6detail17trampoline_kernelINS0_14default_configENS1_38merge_sort_block_merge_config_selectorIxNS0_10empty_typeEEEZZNS1_27merge_sort_block_merge_implIS3_N6thrust23THRUST_200600_302600_NS6detail15normal_iteratorINS9_10device_ptrIxEEEEPS5_m9comp_mod3IxEEE10hipError_tT0_T1_T2_jT3_P12ihipStream_tbPNSt15iterator_traitsISJ_E10value_typeEPNSP_ISK_E10value_typeEPSL_NS1_7vsmem_tEENKUlT_SJ_SK_SL_E_clISE_PxSF_SF_EESI_SY_SJ_SK_SL_EUlSY_E0_NS1_11comp_targetILNS1_3genE2ELNS1_11target_archE906ELNS1_3gpuE6ELNS1_3repE0EEENS1_38merge_mergepath_config_static_selectorELNS0_4arch9wavefront6targetE0EEEvSK_.numbered_sgpr, 0
	.set _ZN7rocprim17ROCPRIM_400000_NS6detail17trampoline_kernelINS0_14default_configENS1_38merge_sort_block_merge_config_selectorIxNS0_10empty_typeEEEZZNS1_27merge_sort_block_merge_implIS3_N6thrust23THRUST_200600_302600_NS6detail15normal_iteratorINS9_10device_ptrIxEEEEPS5_m9comp_mod3IxEEE10hipError_tT0_T1_T2_jT3_P12ihipStream_tbPNSt15iterator_traitsISJ_E10value_typeEPNSP_ISK_E10value_typeEPSL_NS1_7vsmem_tEENKUlT_SJ_SK_SL_E_clISE_PxSF_SF_EESI_SY_SJ_SK_SL_EUlSY_E0_NS1_11comp_targetILNS1_3genE2ELNS1_11target_archE906ELNS1_3gpuE6ELNS1_3repE0EEENS1_38merge_mergepath_config_static_selectorELNS0_4arch9wavefront6targetE0EEEvSK_.num_named_barrier, 0
	.set _ZN7rocprim17ROCPRIM_400000_NS6detail17trampoline_kernelINS0_14default_configENS1_38merge_sort_block_merge_config_selectorIxNS0_10empty_typeEEEZZNS1_27merge_sort_block_merge_implIS3_N6thrust23THRUST_200600_302600_NS6detail15normal_iteratorINS9_10device_ptrIxEEEEPS5_m9comp_mod3IxEEE10hipError_tT0_T1_T2_jT3_P12ihipStream_tbPNSt15iterator_traitsISJ_E10value_typeEPNSP_ISK_E10value_typeEPSL_NS1_7vsmem_tEENKUlT_SJ_SK_SL_E_clISE_PxSF_SF_EESI_SY_SJ_SK_SL_EUlSY_E0_NS1_11comp_targetILNS1_3genE2ELNS1_11target_archE906ELNS1_3gpuE6ELNS1_3repE0EEENS1_38merge_mergepath_config_static_selectorELNS0_4arch9wavefront6targetE0EEEvSK_.private_seg_size, 0
	.set _ZN7rocprim17ROCPRIM_400000_NS6detail17trampoline_kernelINS0_14default_configENS1_38merge_sort_block_merge_config_selectorIxNS0_10empty_typeEEEZZNS1_27merge_sort_block_merge_implIS3_N6thrust23THRUST_200600_302600_NS6detail15normal_iteratorINS9_10device_ptrIxEEEEPS5_m9comp_mod3IxEEE10hipError_tT0_T1_T2_jT3_P12ihipStream_tbPNSt15iterator_traitsISJ_E10value_typeEPNSP_ISK_E10value_typeEPSL_NS1_7vsmem_tEENKUlT_SJ_SK_SL_E_clISE_PxSF_SF_EESI_SY_SJ_SK_SL_EUlSY_E0_NS1_11comp_targetILNS1_3genE2ELNS1_11target_archE906ELNS1_3gpuE6ELNS1_3repE0EEENS1_38merge_mergepath_config_static_selectorELNS0_4arch9wavefront6targetE0EEEvSK_.uses_vcc, 0
	.set _ZN7rocprim17ROCPRIM_400000_NS6detail17trampoline_kernelINS0_14default_configENS1_38merge_sort_block_merge_config_selectorIxNS0_10empty_typeEEEZZNS1_27merge_sort_block_merge_implIS3_N6thrust23THRUST_200600_302600_NS6detail15normal_iteratorINS9_10device_ptrIxEEEEPS5_m9comp_mod3IxEEE10hipError_tT0_T1_T2_jT3_P12ihipStream_tbPNSt15iterator_traitsISJ_E10value_typeEPNSP_ISK_E10value_typeEPSL_NS1_7vsmem_tEENKUlT_SJ_SK_SL_E_clISE_PxSF_SF_EESI_SY_SJ_SK_SL_EUlSY_E0_NS1_11comp_targetILNS1_3genE2ELNS1_11target_archE906ELNS1_3gpuE6ELNS1_3repE0EEENS1_38merge_mergepath_config_static_selectorELNS0_4arch9wavefront6targetE0EEEvSK_.uses_flat_scratch, 0
	.set _ZN7rocprim17ROCPRIM_400000_NS6detail17trampoline_kernelINS0_14default_configENS1_38merge_sort_block_merge_config_selectorIxNS0_10empty_typeEEEZZNS1_27merge_sort_block_merge_implIS3_N6thrust23THRUST_200600_302600_NS6detail15normal_iteratorINS9_10device_ptrIxEEEEPS5_m9comp_mod3IxEEE10hipError_tT0_T1_T2_jT3_P12ihipStream_tbPNSt15iterator_traitsISJ_E10value_typeEPNSP_ISK_E10value_typeEPSL_NS1_7vsmem_tEENKUlT_SJ_SK_SL_E_clISE_PxSF_SF_EESI_SY_SJ_SK_SL_EUlSY_E0_NS1_11comp_targetILNS1_3genE2ELNS1_11target_archE906ELNS1_3gpuE6ELNS1_3repE0EEENS1_38merge_mergepath_config_static_selectorELNS0_4arch9wavefront6targetE0EEEvSK_.has_dyn_sized_stack, 0
	.set _ZN7rocprim17ROCPRIM_400000_NS6detail17trampoline_kernelINS0_14default_configENS1_38merge_sort_block_merge_config_selectorIxNS0_10empty_typeEEEZZNS1_27merge_sort_block_merge_implIS3_N6thrust23THRUST_200600_302600_NS6detail15normal_iteratorINS9_10device_ptrIxEEEEPS5_m9comp_mod3IxEEE10hipError_tT0_T1_T2_jT3_P12ihipStream_tbPNSt15iterator_traitsISJ_E10value_typeEPNSP_ISK_E10value_typeEPSL_NS1_7vsmem_tEENKUlT_SJ_SK_SL_E_clISE_PxSF_SF_EESI_SY_SJ_SK_SL_EUlSY_E0_NS1_11comp_targetILNS1_3genE2ELNS1_11target_archE906ELNS1_3gpuE6ELNS1_3repE0EEENS1_38merge_mergepath_config_static_selectorELNS0_4arch9wavefront6targetE0EEEvSK_.has_recursion, 0
	.set _ZN7rocprim17ROCPRIM_400000_NS6detail17trampoline_kernelINS0_14default_configENS1_38merge_sort_block_merge_config_selectorIxNS0_10empty_typeEEEZZNS1_27merge_sort_block_merge_implIS3_N6thrust23THRUST_200600_302600_NS6detail15normal_iteratorINS9_10device_ptrIxEEEEPS5_m9comp_mod3IxEEE10hipError_tT0_T1_T2_jT3_P12ihipStream_tbPNSt15iterator_traitsISJ_E10value_typeEPNSP_ISK_E10value_typeEPSL_NS1_7vsmem_tEENKUlT_SJ_SK_SL_E_clISE_PxSF_SF_EESI_SY_SJ_SK_SL_EUlSY_E0_NS1_11comp_targetILNS1_3genE2ELNS1_11target_archE906ELNS1_3gpuE6ELNS1_3repE0EEENS1_38merge_mergepath_config_static_selectorELNS0_4arch9wavefront6targetE0EEEvSK_.has_indirect_call, 0
	.section	.AMDGPU.csdata,"",@progbits
; Kernel info:
; codeLenInByte = 0
; TotalNumSgprs: 0
; NumVgprs: 0
; ScratchSize: 0
; MemoryBound: 0
; FloatMode: 240
; IeeeMode: 1
; LDSByteSize: 0 bytes/workgroup (compile time only)
; SGPRBlocks: 0
; VGPRBlocks: 0
; NumSGPRsForWavesPerEU: 1
; NumVGPRsForWavesPerEU: 1
; Occupancy: 16
; WaveLimiterHint : 0
; COMPUTE_PGM_RSRC2:SCRATCH_EN: 0
; COMPUTE_PGM_RSRC2:USER_SGPR: 6
; COMPUTE_PGM_RSRC2:TRAP_HANDLER: 0
; COMPUTE_PGM_RSRC2:TGID_X_EN: 1
; COMPUTE_PGM_RSRC2:TGID_Y_EN: 0
; COMPUTE_PGM_RSRC2:TGID_Z_EN: 0
; COMPUTE_PGM_RSRC2:TIDIG_COMP_CNT: 0
	.section	.text._ZN7rocprim17ROCPRIM_400000_NS6detail17trampoline_kernelINS0_14default_configENS1_38merge_sort_block_merge_config_selectorIxNS0_10empty_typeEEEZZNS1_27merge_sort_block_merge_implIS3_N6thrust23THRUST_200600_302600_NS6detail15normal_iteratorINS9_10device_ptrIxEEEEPS5_m9comp_mod3IxEEE10hipError_tT0_T1_T2_jT3_P12ihipStream_tbPNSt15iterator_traitsISJ_E10value_typeEPNSP_ISK_E10value_typeEPSL_NS1_7vsmem_tEENKUlT_SJ_SK_SL_E_clISE_PxSF_SF_EESI_SY_SJ_SK_SL_EUlSY_E0_NS1_11comp_targetILNS1_3genE9ELNS1_11target_archE1100ELNS1_3gpuE3ELNS1_3repE0EEENS1_38merge_mergepath_config_static_selectorELNS0_4arch9wavefront6targetE0EEEvSK_,"axG",@progbits,_ZN7rocprim17ROCPRIM_400000_NS6detail17trampoline_kernelINS0_14default_configENS1_38merge_sort_block_merge_config_selectorIxNS0_10empty_typeEEEZZNS1_27merge_sort_block_merge_implIS3_N6thrust23THRUST_200600_302600_NS6detail15normal_iteratorINS9_10device_ptrIxEEEEPS5_m9comp_mod3IxEEE10hipError_tT0_T1_T2_jT3_P12ihipStream_tbPNSt15iterator_traitsISJ_E10value_typeEPNSP_ISK_E10value_typeEPSL_NS1_7vsmem_tEENKUlT_SJ_SK_SL_E_clISE_PxSF_SF_EESI_SY_SJ_SK_SL_EUlSY_E0_NS1_11comp_targetILNS1_3genE9ELNS1_11target_archE1100ELNS1_3gpuE3ELNS1_3repE0EEENS1_38merge_mergepath_config_static_selectorELNS0_4arch9wavefront6targetE0EEEvSK_,comdat
	.protected	_ZN7rocprim17ROCPRIM_400000_NS6detail17trampoline_kernelINS0_14default_configENS1_38merge_sort_block_merge_config_selectorIxNS0_10empty_typeEEEZZNS1_27merge_sort_block_merge_implIS3_N6thrust23THRUST_200600_302600_NS6detail15normal_iteratorINS9_10device_ptrIxEEEEPS5_m9comp_mod3IxEEE10hipError_tT0_T1_T2_jT3_P12ihipStream_tbPNSt15iterator_traitsISJ_E10value_typeEPNSP_ISK_E10value_typeEPSL_NS1_7vsmem_tEENKUlT_SJ_SK_SL_E_clISE_PxSF_SF_EESI_SY_SJ_SK_SL_EUlSY_E0_NS1_11comp_targetILNS1_3genE9ELNS1_11target_archE1100ELNS1_3gpuE3ELNS1_3repE0EEENS1_38merge_mergepath_config_static_selectorELNS0_4arch9wavefront6targetE0EEEvSK_ ; -- Begin function _ZN7rocprim17ROCPRIM_400000_NS6detail17trampoline_kernelINS0_14default_configENS1_38merge_sort_block_merge_config_selectorIxNS0_10empty_typeEEEZZNS1_27merge_sort_block_merge_implIS3_N6thrust23THRUST_200600_302600_NS6detail15normal_iteratorINS9_10device_ptrIxEEEEPS5_m9comp_mod3IxEEE10hipError_tT0_T1_T2_jT3_P12ihipStream_tbPNSt15iterator_traitsISJ_E10value_typeEPNSP_ISK_E10value_typeEPSL_NS1_7vsmem_tEENKUlT_SJ_SK_SL_E_clISE_PxSF_SF_EESI_SY_SJ_SK_SL_EUlSY_E0_NS1_11comp_targetILNS1_3genE9ELNS1_11target_archE1100ELNS1_3gpuE3ELNS1_3repE0EEENS1_38merge_mergepath_config_static_selectorELNS0_4arch9wavefront6targetE0EEEvSK_
	.globl	_ZN7rocprim17ROCPRIM_400000_NS6detail17trampoline_kernelINS0_14default_configENS1_38merge_sort_block_merge_config_selectorIxNS0_10empty_typeEEEZZNS1_27merge_sort_block_merge_implIS3_N6thrust23THRUST_200600_302600_NS6detail15normal_iteratorINS9_10device_ptrIxEEEEPS5_m9comp_mod3IxEEE10hipError_tT0_T1_T2_jT3_P12ihipStream_tbPNSt15iterator_traitsISJ_E10value_typeEPNSP_ISK_E10value_typeEPSL_NS1_7vsmem_tEENKUlT_SJ_SK_SL_E_clISE_PxSF_SF_EESI_SY_SJ_SK_SL_EUlSY_E0_NS1_11comp_targetILNS1_3genE9ELNS1_11target_archE1100ELNS1_3gpuE3ELNS1_3repE0EEENS1_38merge_mergepath_config_static_selectorELNS0_4arch9wavefront6targetE0EEEvSK_
	.p2align	8
	.type	_ZN7rocprim17ROCPRIM_400000_NS6detail17trampoline_kernelINS0_14default_configENS1_38merge_sort_block_merge_config_selectorIxNS0_10empty_typeEEEZZNS1_27merge_sort_block_merge_implIS3_N6thrust23THRUST_200600_302600_NS6detail15normal_iteratorINS9_10device_ptrIxEEEEPS5_m9comp_mod3IxEEE10hipError_tT0_T1_T2_jT3_P12ihipStream_tbPNSt15iterator_traitsISJ_E10value_typeEPNSP_ISK_E10value_typeEPSL_NS1_7vsmem_tEENKUlT_SJ_SK_SL_E_clISE_PxSF_SF_EESI_SY_SJ_SK_SL_EUlSY_E0_NS1_11comp_targetILNS1_3genE9ELNS1_11target_archE1100ELNS1_3gpuE3ELNS1_3repE0EEENS1_38merge_mergepath_config_static_selectorELNS0_4arch9wavefront6targetE0EEEvSK_,@function
_ZN7rocprim17ROCPRIM_400000_NS6detail17trampoline_kernelINS0_14default_configENS1_38merge_sort_block_merge_config_selectorIxNS0_10empty_typeEEEZZNS1_27merge_sort_block_merge_implIS3_N6thrust23THRUST_200600_302600_NS6detail15normal_iteratorINS9_10device_ptrIxEEEEPS5_m9comp_mod3IxEEE10hipError_tT0_T1_T2_jT3_P12ihipStream_tbPNSt15iterator_traitsISJ_E10value_typeEPNSP_ISK_E10value_typeEPSL_NS1_7vsmem_tEENKUlT_SJ_SK_SL_E_clISE_PxSF_SF_EESI_SY_SJ_SK_SL_EUlSY_E0_NS1_11comp_targetILNS1_3genE9ELNS1_11target_archE1100ELNS1_3gpuE3ELNS1_3repE0EEENS1_38merge_mergepath_config_static_selectorELNS0_4arch9wavefront6targetE0EEEvSK_: ; @_ZN7rocprim17ROCPRIM_400000_NS6detail17trampoline_kernelINS0_14default_configENS1_38merge_sort_block_merge_config_selectorIxNS0_10empty_typeEEEZZNS1_27merge_sort_block_merge_implIS3_N6thrust23THRUST_200600_302600_NS6detail15normal_iteratorINS9_10device_ptrIxEEEEPS5_m9comp_mod3IxEEE10hipError_tT0_T1_T2_jT3_P12ihipStream_tbPNSt15iterator_traitsISJ_E10value_typeEPNSP_ISK_E10value_typeEPSL_NS1_7vsmem_tEENKUlT_SJ_SK_SL_E_clISE_PxSF_SF_EESI_SY_SJ_SK_SL_EUlSY_E0_NS1_11comp_targetILNS1_3genE9ELNS1_11target_archE1100ELNS1_3gpuE3ELNS1_3repE0EEENS1_38merge_mergepath_config_static_selectorELNS0_4arch9wavefront6targetE0EEEvSK_
; %bb.0:
	.section	.rodata,"a",@progbits
	.p2align	6, 0x0
	.amdhsa_kernel _ZN7rocprim17ROCPRIM_400000_NS6detail17trampoline_kernelINS0_14default_configENS1_38merge_sort_block_merge_config_selectorIxNS0_10empty_typeEEEZZNS1_27merge_sort_block_merge_implIS3_N6thrust23THRUST_200600_302600_NS6detail15normal_iteratorINS9_10device_ptrIxEEEEPS5_m9comp_mod3IxEEE10hipError_tT0_T1_T2_jT3_P12ihipStream_tbPNSt15iterator_traitsISJ_E10value_typeEPNSP_ISK_E10value_typeEPSL_NS1_7vsmem_tEENKUlT_SJ_SK_SL_E_clISE_PxSF_SF_EESI_SY_SJ_SK_SL_EUlSY_E0_NS1_11comp_targetILNS1_3genE9ELNS1_11target_archE1100ELNS1_3gpuE3ELNS1_3repE0EEENS1_38merge_mergepath_config_static_selectorELNS0_4arch9wavefront6targetE0EEEvSK_
		.amdhsa_group_segment_fixed_size 0
		.amdhsa_private_segment_fixed_size 0
		.amdhsa_kernarg_size 80
		.amdhsa_user_sgpr_count 6
		.amdhsa_user_sgpr_private_segment_buffer 1
		.amdhsa_user_sgpr_dispatch_ptr 0
		.amdhsa_user_sgpr_queue_ptr 0
		.amdhsa_user_sgpr_kernarg_segment_ptr 1
		.amdhsa_user_sgpr_dispatch_id 0
		.amdhsa_user_sgpr_flat_scratch_init 0
		.amdhsa_user_sgpr_private_segment_size 0
		.amdhsa_wavefront_size32 1
		.amdhsa_uses_dynamic_stack 0
		.amdhsa_system_sgpr_private_segment_wavefront_offset 0
		.amdhsa_system_sgpr_workgroup_id_x 1
		.amdhsa_system_sgpr_workgroup_id_y 0
		.amdhsa_system_sgpr_workgroup_id_z 0
		.amdhsa_system_sgpr_workgroup_info 0
		.amdhsa_system_vgpr_workitem_id 0
		.amdhsa_next_free_vgpr 1
		.amdhsa_next_free_sgpr 1
		.amdhsa_reserve_vcc 0
		.amdhsa_reserve_flat_scratch 0
		.amdhsa_float_round_mode_32 0
		.amdhsa_float_round_mode_16_64 0
		.amdhsa_float_denorm_mode_32 3
		.amdhsa_float_denorm_mode_16_64 3
		.amdhsa_dx10_clamp 1
		.amdhsa_ieee_mode 1
		.amdhsa_fp16_overflow 0
		.amdhsa_workgroup_processor_mode 1
		.amdhsa_memory_ordered 1
		.amdhsa_forward_progress 1
		.amdhsa_shared_vgpr_count 0
		.amdhsa_exception_fp_ieee_invalid_op 0
		.amdhsa_exception_fp_denorm_src 0
		.amdhsa_exception_fp_ieee_div_zero 0
		.amdhsa_exception_fp_ieee_overflow 0
		.amdhsa_exception_fp_ieee_underflow 0
		.amdhsa_exception_fp_ieee_inexact 0
		.amdhsa_exception_int_div_zero 0
	.end_amdhsa_kernel
	.section	.text._ZN7rocprim17ROCPRIM_400000_NS6detail17trampoline_kernelINS0_14default_configENS1_38merge_sort_block_merge_config_selectorIxNS0_10empty_typeEEEZZNS1_27merge_sort_block_merge_implIS3_N6thrust23THRUST_200600_302600_NS6detail15normal_iteratorINS9_10device_ptrIxEEEEPS5_m9comp_mod3IxEEE10hipError_tT0_T1_T2_jT3_P12ihipStream_tbPNSt15iterator_traitsISJ_E10value_typeEPNSP_ISK_E10value_typeEPSL_NS1_7vsmem_tEENKUlT_SJ_SK_SL_E_clISE_PxSF_SF_EESI_SY_SJ_SK_SL_EUlSY_E0_NS1_11comp_targetILNS1_3genE9ELNS1_11target_archE1100ELNS1_3gpuE3ELNS1_3repE0EEENS1_38merge_mergepath_config_static_selectorELNS0_4arch9wavefront6targetE0EEEvSK_,"axG",@progbits,_ZN7rocprim17ROCPRIM_400000_NS6detail17trampoline_kernelINS0_14default_configENS1_38merge_sort_block_merge_config_selectorIxNS0_10empty_typeEEEZZNS1_27merge_sort_block_merge_implIS3_N6thrust23THRUST_200600_302600_NS6detail15normal_iteratorINS9_10device_ptrIxEEEEPS5_m9comp_mod3IxEEE10hipError_tT0_T1_T2_jT3_P12ihipStream_tbPNSt15iterator_traitsISJ_E10value_typeEPNSP_ISK_E10value_typeEPSL_NS1_7vsmem_tEENKUlT_SJ_SK_SL_E_clISE_PxSF_SF_EESI_SY_SJ_SK_SL_EUlSY_E0_NS1_11comp_targetILNS1_3genE9ELNS1_11target_archE1100ELNS1_3gpuE3ELNS1_3repE0EEENS1_38merge_mergepath_config_static_selectorELNS0_4arch9wavefront6targetE0EEEvSK_,comdat
.Lfunc_end969:
	.size	_ZN7rocprim17ROCPRIM_400000_NS6detail17trampoline_kernelINS0_14default_configENS1_38merge_sort_block_merge_config_selectorIxNS0_10empty_typeEEEZZNS1_27merge_sort_block_merge_implIS3_N6thrust23THRUST_200600_302600_NS6detail15normal_iteratorINS9_10device_ptrIxEEEEPS5_m9comp_mod3IxEEE10hipError_tT0_T1_T2_jT3_P12ihipStream_tbPNSt15iterator_traitsISJ_E10value_typeEPNSP_ISK_E10value_typeEPSL_NS1_7vsmem_tEENKUlT_SJ_SK_SL_E_clISE_PxSF_SF_EESI_SY_SJ_SK_SL_EUlSY_E0_NS1_11comp_targetILNS1_3genE9ELNS1_11target_archE1100ELNS1_3gpuE3ELNS1_3repE0EEENS1_38merge_mergepath_config_static_selectorELNS0_4arch9wavefront6targetE0EEEvSK_, .Lfunc_end969-_ZN7rocprim17ROCPRIM_400000_NS6detail17trampoline_kernelINS0_14default_configENS1_38merge_sort_block_merge_config_selectorIxNS0_10empty_typeEEEZZNS1_27merge_sort_block_merge_implIS3_N6thrust23THRUST_200600_302600_NS6detail15normal_iteratorINS9_10device_ptrIxEEEEPS5_m9comp_mod3IxEEE10hipError_tT0_T1_T2_jT3_P12ihipStream_tbPNSt15iterator_traitsISJ_E10value_typeEPNSP_ISK_E10value_typeEPSL_NS1_7vsmem_tEENKUlT_SJ_SK_SL_E_clISE_PxSF_SF_EESI_SY_SJ_SK_SL_EUlSY_E0_NS1_11comp_targetILNS1_3genE9ELNS1_11target_archE1100ELNS1_3gpuE3ELNS1_3repE0EEENS1_38merge_mergepath_config_static_selectorELNS0_4arch9wavefront6targetE0EEEvSK_
                                        ; -- End function
	.set _ZN7rocprim17ROCPRIM_400000_NS6detail17trampoline_kernelINS0_14default_configENS1_38merge_sort_block_merge_config_selectorIxNS0_10empty_typeEEEZZNS1_27merge_sort_block_merge_implIS3_N6thrust23THRUST_200600_302600_NS6detail15normal_iteratorINS9_10device_ptrIxEEEEPS5_m9comp_mod3IxEEE10hipError_tT0_T1_T2_jT3_P12ihipStream_tbPNSt15iterator_traitsISJ_E10value_typeEPNSP_ISK_E10value_typeEPSL_NS1_7vsmem_tEENKUlT_SJ_SK_SL_E_clISE_PxSF_SF_EESI_SY_SJ_SK_SL_EUlSY_E0_NS1_11comp_targetILNS1_3genE9ELNS1_11target_archE1100ELNS1_3gpuE3ELNS1_3repE0EEENS1_38merge_mergepath_config_static_selectorELNS0_4arch9wavefront6targetE0EEEvSK_.num_vgpr, 0
	.set _ZN7rocprim17ROCPRIM_400000_NS6detail17trampoline_kernelINS0_14default_configENS1_38merge_sort_block_merge_config_selectorIxNS0_10empty_typeEEEZZNS1_27merge_sort_block_merge_implIS3_N6thrust23THRUST_200600_302600_NS6detail15normal_iteratorINS9_10device_ptrIxEEEEPS5_m9comp_mod3IxEEE10hipError_tT0_T1_T2_jT3_P12ihipStream_tbPNSt15iterator_traitsISJ_E10value_typeEPNSP_ISK_E10value_typeEPSL_NS1_7vsmem_tEENKUlT_SJ_SK_SL_E_clISE_PxSF_SF_EESI_SY_SJ_SK_SL_EUlSY_E0_NS1_11comp_targetILNS1_3genE9ELNS1_11target_archE1100ELNS1_3gpuE3ELNS1_3repE0EEENS1_38merge_mergepath_config_static_selectorELNS0_4arch9wavefront6targetE0EEEvSK_.num_agpr, 0
	.set _ZN7rocprim17ROCPRIM_400000_NS6detail17trampoline_kernelINS0_14default_configENS1_38merge_sort_block_merge_config_selectorIxNS0_10empty_typeEEEZZNS1_27merge_sort_block_merge_implIS3_N6thrust23THRUST_200600_302600_NS6detail15normal_iteratorINS9_10device_ptrIxEEEEPS5_m9comp_mod3IxEEE10hipError_tT0_T1_T2_jT3_P12ihipStream_tbPNSt15iterator_traitsISJ_E10value_typeEPNSP_ISK_E10value_typeEPSL_NS1_7vsmem_tEENKUlT_SJ_SK_SL_E_clISE_PxSF_SF_EESI_SY_SJ_SK_SL_EUlSY_E0_NS1_11comp_targetILNS1_3genE9ELNS1_11target_archE1100ELNS1_3gpuE3ELNS1_3repE0EEENS1_38merge_mergepath_config_static_selectorELNS0_4arch9wavefront6targetE0EEEvSK_.numbered_sgpr, 0
	.set _ZN7rocprim17ROCPRIM_400000_NS6detail17trampoline_kernelINS0_14default_configENS1_38merge_sort_block_merge_config_selectorIxNS0_10empty_typeEEEZZNS1_27merge_sort_block_merge_implIS3_N6thrust23THRUST_200600_302600_NS6detail15normal_iteratorINS9_10device_ptrIxEEEEPS5_m9comp_mod3IxEEE10hipError_tT0_T1_T2_jT3_P12ihipStream_tbPNSt15iterator_traitsISJ_E10value_typeEPNSP_ISK_E10value_typeEPSL_NS1_7vsmem_tEENKUlT_SJ_SK_SL_E_clISE_PxSF_SF_EESI_SY_SJ_SK_SL_EUlSY_E0_NS1_11comp_targetILNS1_3genE9ELNS1_11target_archE1100ELNS1_3gpuE3ELNS1_3repE0EEENS1_38merge_mergepath_config_static_selectorELNS0_4arch9wavefront6targetE0EEEvSK_.num_named_barrier, 0
	.set _ZN7rocprim17ROCPRIM_400000_NS6detail17trampoline_kernelINS0_14default_configENS1_38merge_sort_block_merge_config_selectorIxNS0_10empty_typeEEEZZNS1_27merge_sort_block_merge_implIS3_N6thrust23THRUST_200600_302600_NS6detail15normal_iteratorINS9_10device_ptrIxEEEEPS5_m9comp_mod3IxEEE10hipError_tT0_T1_T2_jT3_P12ihipStream_tbPNSt15iterator_traitsISJ_E10value_typeEPNSP_ISK_E10value_typeEPSL_NS1_7vsmem_tEENKUlT_SJ_SK_SL_E_clISE_PxSF_SF_EESI_SY_SJ_SK_SL_EUlSY_E0_NS1_11comp_targetILNS1_3genE9ELNS1_11target_archE1100ELNS1_3gpuE3ELNS1_3repE0EEENS1_38merge_mergepath_config_static_selectorELNS0_4arch9wavefront6targetE0EEEvSK_.private_seg_size, 0
	.set _ZN7rocprim17ROCPRIM_400000_NS6detail17trampoline_kernelINS0_14default_configENS1_38merge_sort_block_merge_config_selectorIxNS0_10empty_typeEEEZZNS1_27merge_sort_block_merge_implIS3_N6thrust23THRUST_200600_302600_NS6detail15normal_iteratorINS9_10device_ptrIxEEEEPS5_m9comp_mod3IxEEE10hipError_tT0_T1_T2_jT3_P12ihipStream_tbPNSt15iterator_traitsISJ_E10value_typeEPNSP_ISK_E10value_typeEPSL_NS1_7vsmem_tEENKUlT_SJ_SK_SL_E_clISE_PxSF_SF_EESI_SY_SJ_SK_SL_EUlSY_E0_NS1_11comp_targetILNS1_3genE9ELNS1_11target_archE1100ELNS1_3gpuE3ELNS1_3repE0EEENS1_38merge_mergepath_config_static_selectorELNS0_4arch9wavefront6targetE0EEEvSK_.uses_vcc, 0
	.set _ZN7rocprim17ROCPRIM_400000_NS6detail17trampoline_kernelINS0_14default_configENS1_38merge_sort_block_merge_config_selectorIxNS0_10empty_typeEEEZZNS1_27merge_sort_block_merge_implIS3_N6thrust23THRUST_200600_302600_NS6detail15normal_iteratorINS9_10device_ptrIxEEEEPS5_m9comp_mod3IxEEE10hipError_tT0_T1_T2_jT3_P12ihipStream_tbPNSt15iterator_traitsISJ_E10value_typeEPNSP_ISK_E10value_typeEPSL_NS1_7vsmem_tEENKUlT_SJ_SK_SL_E_clISE_PxSF_SF_EESI_SY_SJ_SK_SL_EUlSY_E0_NS1_11comp_targetILNS1_3genE9ELNS1_11target_archE1100ELNS1_3gpuE3ELNS1_3repE0EEENS1_38merge_mergepath_config_static_selectorELNS0_4arch9wavefront6targetE0EEEvSK_.uses_flat_scratch, 0
	.set _ZN7rocprim17ROCPRIM_400000_NS6detail17trampoline_kernelINS0_14default_configENS1_38merge_sort_block_merge_config_selectorIxNS0_10empty_typeEEEZZNS1_27merge_sort_block_merge_implIS3_N6thrust23THRUST_200600_302600_NS6detail15normal_iteratorINS9_10device_ptrIxEEEEPS5_m9comp_mod3IxEEE10hipError_tT0_T1_T2_jT3_P12ihipStream_tbPNSt15iterator_traitsISJ_E10value_typeEPNSP_ISK_E10value_typeEPSL_NS1_7vsmem_tEENKUlT_SJ_SK_SL_E_clISE_PxSF_SF_EESI_SY_SJ_SK_SL_EUlSY_E0_NS1_11comp_targetILNS1_3genE9ELNS1_11target_archE1100ELNS1_3gpuE3ELNS1_3repE0EEENS1_38merge_mergepath_config_static_selectorELNS0_4arch9wavefront6targetE0EEEvSK_.has_dyn_sized_stack, 0
	.set _ZN7rocprim17ROCPRIM_400000_NS6detail17trampoline_kernelINS0_14default_configENS1_38merge_sort_block_merge_config_selectorIxNS0_10empty_typeEEEZZNS1_27merge_sort_block_merge_implIS3_N6thrust23THRUST_200600_302600_NS6detail15normal_iteratorINS9_10device_ptrIxEEEEPS5_m9comp_mod3IxEEE10hipError_tT0_T1_T2_jT3_P12ihipStream_tbPNSt15iterator_traitsISJ_E10value_typeEPNSP_ISK_E10value_typeEPSL_NS1_7vsmem_tEENKUlT_SJ_SK_SL_E_clISE_PxSF_SF_EESI_SY_SJ_SK_SL_EUlSY_E0_NS1_11comp_targetILNS1_3genE9ELNS1_11target_archE1100ELNS1_3gpuE3ELNS1_3repE0EEENS1_38merge_mergepath_config_static_selectorELNS0_4arch9wavefront6targetE0EEEvSK_.has_recursion, 0
	.set _ZN7rocprim17ROCPRIM_400000_NS6detail17trampoline_kernelINS0_14default_configENS1_38merge_sort_block_merge_config_selectorIxNS0_10empty_typeEEEZZNS1_27merge_sort_block_merge_implIS3_N6thrust23THRUST_200600_302600_NS6detail15normal_iteratorINS9_10device_ptrIxEEEEPS5_m9comp_mod3IxEEE10hipError_tT0_T1_T2_jT3_P12ihipStream_tbPNSt15iterator_traitsISJ_E10value_typeEPNSP_ISK_E10value_typeEPSL_NS1_7vsmem_tEENKUlT_SJ_SK_SL_E_clISE_PxSF_SF_EESI_SY_SJ_SK_SL_EUlSY_E0_NS1_11comp_targetILNS1_3genE9ELNS1_11target_archE1100ELNS1_3gpuE3ELNS1_3repE0EEENS1_38merge_mergepath_config_static_selectorELNS0_4arch9wavefront6targetE0EEEvSK_.has_indirect_call, 0
	.section	.AMDGPU.csdata,"",@progbits
; Kernel info:
; codeLenInByte = 0
; TotalNumSgprs: 0
; NumVgprs: 0
; ScratchSize: 0
; MemoryBound: 0
; FloatMode: 240
; IeeeMode: 1
; LDSByteSize: 0 bytes/workgroup (compile time only)
; SGPRBlocks: 0
; VGPRBlocks: 0
; NumSGPRsForWavesPerEU: 1
; NumVGPRsForWavesPerEU: 1
; Occupancy: 16
; WaveLimiterHint : 0
; COMPUTE_PGM_RSRC2:SCRATCH_EN: 0
; COMPUTE_PGM_RSRC2:USER_SGPR: 6
; COMPUTE_PGM_RSRC2:TRAP_HANDLER: 0
; COMPUTE_PGM_RSRC2:TGID_X_EN: 1
; COMPUTE_PGM_RSRC2:TGID_Y_EN: 0
; COMPUTE_PGM_RSRC2:TGID_Z_EN: 0
; COMPUTE_PGM_RSRC2:TIDIG_COMP_CNT: 0
	.section	.text._ZN7rocprim17ROCPRIM_400000_NS6detail17trampoline_kernelINS0_14default_configENS1_38merge_sort_block_merge_config_selectorIxNS0_10empty_typeEEEZZNS1_27merge_sort_block_merge_implIS3_N6thrust23THRUST_200600_302600_NS6detail15normal_iteratorINS9_10device_ptrIxEEEEPS5_m9comp_mod3IxEEE10hipError_tT0_T1_T2_jT3_P12ihipStream_tbPNSt15iterator_traitsISJ_E10value_typeEPNSP_ISK_E10value_typeEPSL_NS1_7vsmem_tEENKUlT_SJ_SK_SL_E_clISE_PxSF_SF_EESI_SY_SJ_SK_SL_EUlSY_E0_NS1_11comp_targetILNS1_3genE8ELNS1_11target_archE1030ELNS1_3gpuE2ELNS1_3repE0EEENS1_38merge_mergepath_config_static_selectorELNS0_4arch9wavefront6targetE0EEEvSK_,"axG",@progbits,_ZN7rocprim17ROCPRIM_400000_NS6detail17trampoline_kernelINS0_14default_configENS1_38merge_sort_block_merge_config_selectorIxNS0_10empty_typeEEEZZNS1_27merge_sort_block_merge_implIS3_N6thrust23THRUST_200600_302600_NS6detail15normal_iteratorINS9_10device_ptrIxEEEEPS5_m9comp_mod3IxEEE10hipError_tT0_T1_T2_jT3_P12ihipStream_tbPNSt15iterator_traitsISJ_E10value_typeEPNSP_ISK_E10value_typeEPSL_NS1_7vsmem_tEENKUlT_SJ_SK_SL_E_clISE_PxSF_SF_EESI_SY_SJ_SK_SL_EUlSY_E0_NS1_11comp_targetILNS1_3genE8ELNS1_11target_archE1030ELNS1_3gpuE2ELNS1_3repE0EEENS1_38merge_mergepath_config_static_selectorELNS0_4arch9wavefront6targetE0EEEvSK_,comdat
	.protected	_ZN7rocprim17ROCPRIM_400000_NS6detail17trampoline_kernelINS0_14default_configENS1_38merge_sort_block_merge_config_selectorIxNS0_10empty_typeEEEZZNS1_27merge_sort_block_merge_implIS3_N6thrust23THRUST_200600_302600_NS6detail15normal_iteratorINS9_10device_ptrIxEEEEPS5_m9comp_mod3IxEEE10hipError_tT0_T1_T2_jT3_P12ihipStream_tbPNSt15iterator_traitsISJ_E10value_typeEPNSP_ISK_E10value_typeEPSL_NS1_7vsmem_tEENKUlT_SJ_SK_SL_E_clISE_PxSF_SF_EESI_SY_SJ_SK_SL_EUlSY_E0_NS1_11comp_targetILNS1_3genE8ELNS1_11target_archE1030ELNS1_3gpuE2ELNS1_3repE0EEENS1_38merge_mergepath_config_static_selectorELNS0_4arch9wavefront6targetE0EEEvSK_ ; -- Begin function _ZN7rocprim17ROCPRIM_400000_NS6detail17trampoline_kernelINS0_14default_configENS1_38merge_sort_block_merge_config_selectorIxNS0_10empty_typeEEEZZNS1_27merge_sort_block_merge_implIS3_N6thrust23THRUST_200600_302600_NS6detail15normal_iteratorINS9_10device_ptrIxEEEEPS5_m9comp_mod3IxEEE10hipError_tT0_T1_T2_jT3_P12ihipStream_tbPNSt15iterator_traitsISJ_E10value_typeEPNSP_ISK_E10value_typeEPSL_NS1_7vsmem_tEENKUlT_SJ_SK_SL_E_clISE_PxSF_SF_EESI_SY_SJ_SK_SL_EUlSY_E0_NS1_11comp_targetILNS1_3genE8ELNS1_11target_archE1030ELNS1_3gpuE2ELNS1_3repE0EEENS1_38merge_mergepath_config_static_selectorELNS0_4arch9wavefront6targetE0EEEvSK_
	.globl	_ZN7rocprim17ROCPRIM_400000_NS6detail17trampoline_kernelINS0_14default_configENS1_38merge_sort_block_merge_config_selectorIxNS0_10empty_typeEEEZZNS1_27merge_sort_block_merge_implIS3_N6thrust23THRUST_200600_302600_NS6detail15normal_iteratorINS9_10device_ptrIxEEEEPS5_m9comp_mod3IxEEE10hipError_tT0_T1_T2_jT3_P12ihipStream_tbPNSt15iterator_traitsISJ_E10value_typeEPNSP_ISK_E10value_typeEPSL_NS1_7vsmem_tEENKUlT_SJ_SK_SL_E_clISE_PxSF_SF_EESI_SY_SJ_SK_SL_EUlSY_E0_NS1_11comp_targetILNS1_3genE8ELNS1_11target_archE1030ELNS1_3gpuE2ELNS1_3repE0EEENS1_38merge_mergepath_config_static_selectorELNS0_4arch9wavefront6targetE0EEEvSK_
	.p2align	8
	.type	_ZN7rocprim17ROCPRIM_400000_NS6detail17trampoline_kernelINS0_14default_configENS1_38merge_sort_block_merge_config_selectorIxNS0_10empty_typeEEEZZNS1_27merge_sort_block_merge_implIS3_N6thrust23THRUST_200600_302600_NS6detail15normal_iteratorINS9_10device_ptrIxEEEEPS5_m9comp_mod3IxEEE10hipError_tT0_T1_T2_jT3_P12ihipStream_tbPNSt15iterator_traitsISJ_E10value_typeEPNSP_ISK_E10value_typeEPSL_NS1_7vsmem_tEENKUlT_SJ_SK_SL_E_clISE_PxSF_SF_EESI_SY_SJ_SK_SL_EUlSY_E0_NS1_11comp_targetILNS1_3genE8ELNS1_11target_archE1030ELNS1_3gpuE2ELNS1_3repE0EEENS1_38merge_mergepath_config_static_selectorELNS0_4arch9wavefront6targetE0EEEvSK_,@function
_ZN7rocprim17ROCPRIM_400000_NS6detail17trampoline_kernelINS0_14default_configENS1_38merge_sort_block_merge_config_selectorIxNS0_10empty_typeEEEZZNS1_27merge_sort_block_merge_implIS3_N6thrust23THRUST_200600_302600_NS6detail15normal_iteratorINS9_10device_ptrIxEEEEPS5_m9comp_mod3IxEEE10hipError_tT0_T1_T2_jT3_P12ihipStream_tbPNSt15iterator_traitsISJ_E10value_typeEPNSP_ISK_E10value_typeEPSL_NS1_7vsmem_tEENKUlT_SJ_SK_SL_E_clISE_PxSF_SF_EESI_SY_SJ_SK_SL_EUlSY_E0_NS1_11comp_targetILNS1_3genE8ELNS1_11target_archE1030ELNS1_3gpuE2ELNS1_3repE0EEENS1_38merge_mergepath_config_static_selectorELNS0_4arch9wavefront6targetE0EEEvSK_: ; @_ZN7rocprim17ROCPRIM_400000_NS6detail17trampoline_kernelINS0_14default_configENS1_38merge_sort_block_merge_config_selectorIxNS0_10empty_typeEEEZZNS1_27merge_sort_block_merge_implIS3_N6thrust23THRUST_200600_302600_NS6detail15normal_iteratorINS9_10device_ptrIxEEEEPS5_m9comp_mod3IxEEE10hipError_tT0_T1_T2_jT3_P12ihipStream_tbPNSt15iterator_traitsISJ_E10value_typeEPNSP_ISK_E10value_typeEPSL_NS1_7vsmem_tEENKUlT_SJ_SK_SL_E_clISE_PxSF_SF_EESI_SY_SJ_SK_SL_EUlSY_E0_NS1_11comp_targetILNS1_3genE8ELNS1_11target_archE1030ELNS1_3gpuE2ELNS1_3repE0EEENS1_38merge_mergepath_config_static_selectorELNS0_4arch9wavefront6targetE0EEEvSK_
; %bb.0:
	s_clause 0x1
	s_load_dwordx2 s[0:1], s[4:5], 0x50
	s_load_dword s2, s[4:5], 0x38
	s_waitcnt lgkmcnt(0)
	s_mul_i32 s1, s1, s8
	s_add_i32 s1, s1, s7
	s_mul_i32 s0, s1, s0
	s_add_i32 s16, s0, s6
	s_cmp_ge_u32 s16, s2
	s_cbranch_scc1 .LBB970_28
; %bb.1:
	s_clause 0x1
	s_load_dwordx2 s[0:1], s[4:5], 0x48
	s_load_dwordx4 s[8:11], s[4:5], 0x28
	s_mov_b32 s17, 0
	s_lshl_b64 s[2:3], s[16:17], 3
	s_waitcnt lgkmcnt(0)
	s_add_u32 s0, s0, s2
	s_addc_u32 s1, s1, s3
	s_lshl_b64 s[6:7], s[16:17], 10
	s_load_dwordx4 s[12:15], s[0:1], 0x0
	s_lshr_b64 s[0:1], s[10:11], 9
	s_mov_b32 s1, s17
	s_and_b32 s0, s0, -2
	s_sub_i32 s25, 0, s0
	s_and_b32 s0, s16, s25
	s_lshl_b64 s[18:19], s[0:1], 10
	s_sub_u32 s22, s6, s18
	s_subb_u32 s26, s7, s19
	s_lshl_b64 s[20:21], s[0:1], 11
	s_load_dwordx4 s[0:3], s[4:5], 0x8
	s_add_u32 s23, s20, s10
	s_addc_u32 s24, s21, s11
	s_add_u32 s20, s23, s22
	s_addc_u32 s21, s24, s26
	s_waitcnt lgkmcnt(0)
	s_sub_u32 s22, s20, s14
	s_subb_u32 s15, s21, s15
	s_add_u32 s26, s22, 0x400
	s_addc_u32 s27, s15, 0
	v_cmp_lt_u64_e64 s15, s[8:9], s[26:27]
	s_and_b32 s15, s15, exec_lo
	s_cselect_b32 s22, s8, s26
	s_or_b32 s15, s16, s25
	s_cmp_lg_u32 s15, -1
	s_mov_b32 s15, -1
	s_cbranch_scc1 .LBB970_3
; %bb.2:
	s_sub_u32 s18, s23, s18
	s_subb_u32 s19, s24, s19
	v_cmp_lt_u64_e64 s14, s[8:9], s[18:19]
	s_and_b32 s14, s14, exec_lo
	s_cselect_b32 s14, s8, s18
	s_add_u32 s10, s18, s10
	s_addc_u32 s11, s19, s11
	v_cmp_lt_u64_e64 s11, s[8:9], s[10:11]
	s_and_b32 s11, s11, exec_lo
	s_cselect_b32 s22, s8, s10
.LBB970_3:
	s_lshr_b64 s[24:25], s[8:9], 10
	v_lshlrev_b32_e32 v5, 3, v0
	s_cmp_lg_u64 s[24:25], s[16:17]
	s_cselect_b32 s10, -1, 0
	s_sub_u32 s18, s20, s12
	s_subb_u32 s19, s21, s13
	v_cmp_lt_u64_e64 s11, s[8:9], s[18:19]
	s_and_b32 s11, s11, exec_lo
	s_cselect_b32 s20, s8, s18
	s_cselect_b32 s21, s9, s19
	s_sub_i32 s9, s14, s12
	s_lshl_b64 s[12:13], s[12:13], 3
	s_sub_i32 s11, s22, s20
	s_add_u32 s14, s0, s12
	s_addc_u32 s18, s1, s13
	s_lshl_b64 s[12:13], s[20:21], 3
	s_add_u32 s12, s0, s12
	s_addc_u32 s13, s1, s13
	s_cmp_eq_u64 s[24:25], s[16:17]
	s_cbranch_scc1 .LBB970_5
; %bb.4:
	v_sub_co_u32 v1, vcc_lo, v0, s9
	v_mov_b32_e32 v2, 0
	v_add_co_u32 v3, s0, s14, v5
	v_add_co_ci_u32_e64 v4, null, s18, 0, s0
	v_lshlrev_b64 v[1:2], 3, v[1:2]
	s_add_i32 s1, s9, s11
	s_mov_b32 s17, -1
	v_add_co_u32 v1, s0, s12, v1
	v_add_co_ci_u32_e64 v2, null, s13, v2, s0
	v_cndmask_b32_e32 v3, v1, v3, vcc_lo
	v_cndmask_b32_e32 v4, v2, v4, vcc_lo
	s_cbranch_execz .LBB970_6
	s_branch .LBB970_9
.LBB970_5:
                                        ; implicit-def: $vgpr3_vgpr4
                                        ; implicit-def: $sgpr1
	s_andn2_b32 vcc_lo, exec_lo, s15
	s_cbranch_vccnz .LBB970_9
.LBB970_6:
	s_add_i32 s1, s9, s11
	s_mov_b32 s15, exec_lo
                                        ; implicit-def: $vgpr3_vgpr4
	v_cmpx_gt_u32_e64 s1, v0
	s_cbranch_execz .LBB970_8
; %bb.7:
	v_sub_co_u32 v1, vcc_lo, v0, s9
	v_mov_b32_e32 v2, 0
	v_add_co_u32 v3, s0, s14, v5
	v_add_co_ci_u32_e64 v4, null, s18, 0, s0
	v_lshlrev_b64 v[1:2], 3, v[1:2]
	s_or_b32 s17, s17, exec_lo
	v_add_co_u32 v1, s0, s12, v1
	v_add_co_ci_u32_e64 v2, null, s13, v2, s0
	v_cndmask_b32_e32 v3, v1, v3, vcc_lo
	v_cndmask_b32_e32 v4, v2, v4, vcc_lo
.LBB970_8:
	s_or_b32 exec_lo, exec_lo, s15
.LBB970_9:
	s_load_dwordx2 s[4:5], s[4:5], 0x40
	v_mov_b32_e32 v6, s1
                                        ; implicit-def: $vgpr1_vgpr2
	s_and_saveexec_b32 s0, s17
	s_cbranch_execz .LBB970_11
; %bb.10:
	global_load_dwordx2 v[1:2], v[3:4], off
	v_mov_b32_e32 v6, s1
.LBB970_11:
	s_or_b32 exec_lo, exec_lo, s0
	v_min_u32_e32 v8, v6, v0
	s_mov_b32 s0, exec_lo
	s_waitcnt vmcnt(0)
	ds_write_b64 v5, v[1:2]
	s_waitcnt lgkmcnt(0)
	s_barrier
	v_sub_nc_u32_e64 v7, v8, s11 clamp
	v_min_u32_e32 v9, s9, v8
	buffer_gl0_inv
	v_cmpx_lt_u32_e64 v7, v9
	s_cbranch_execz .LBB970_15
; %bb.12:
	v_lshlrev_b32_e32 v3, 3, v8
	s_mov_b32 s1, 0
	v_lshl_add_u32 v10, s9, 3, v3
	v_mov_b32_e32 v3, 0
	s_inst_prefetch 0x1
	.p2align	6
.LBB970_13:                             ; =>This Inner Loop Header: Depth=1
	v_add_nc_u32_e32 v4, v9, v7
	v_lshrrev_b32_e32 v15, 1, v4
	v_not_b32_e32 v4, v15
	v_lshlrev_b32_e32 v13, 3, v15
	v_lshl_add_u32 v4, v4, 3, v10
	ds_read_b32 v4, v4
	s_waitcnt lgkmcnt(0)
	v_ashrrev_i64 v[11:12], 29, v[3:4]
	ds_read_b32 v4, v13
	v_add_co_u32 v11, vcc_lo, s4, v11
	v_add_co_ci_u32_e64 v12, null, s5, v12, vcc_lo
	s_waitcnt lgkmcnt(0)
	v_ashrrev_i64 v[13:14], 29, v[3:4]
	v_add_nc_u32_e32 v4, 1, v15
	v_add_co_u32 v13, vcc_lo, s4, v13
	v_add_co_ci_u32_e64 v14, null, s5, v14, vcc_lo
	s_clause 0x1
	global_load_dwordx2 v[11:12], v[11:12], off
	global_load_dwordx2 v[13:14], v[13:14], off
	s_waitcnt vmcnt(0)
	v_cmp_lt_i64_e32 vcc_lo, v[11:12], v[13:14]
	v_cndmask_b32_e32 v9, v9, v15, vcc_lo
	v_cndmask_b32_e32 v7, v4, v7, vcc_lo
	v_cmp_ge_u32_e32 vcc_lo, v7, v9
	s_or_b32 s1, vcc_lo, s1
	s_andn2_b32 exec_lo, exec_lo, s1
	s_cbranch_execnz .LBB970_13
; %bb.14:
	s_inst_prefetch 0x2
	s_or_b32 exec_lo, exec_lo, s1
.LBB970_15:
	s_or_b32 exec_lo, exec_lo, s0
	v_sub_nc_u32_e32 v3, v8, v7
	v_cmp_ge_u32_e32 vcc_lo, s9, v7
	v_add_nc_u32_e32 v8, s9, v3
	v_cmp_le_u32_e64 s0, v8, v6
	s_or_b32 s0, vcc_lo, s0
	s_and_saveexec_b32 s1, s0
	s_cbranch_execz .LBB970_23
; %bb.16:
	v_cmp_gt_u32_e64 s0, s9, v7
	v_cmp_le_u32_e32 vcc_lo, s9, v7
                                        ; implicit-def: $vgpr1_vgpr2
	s_and_saveexec_b32 s9, s0
; %bb.17:
	v_lshlrev_b32_e32 v1, 3, v7
	ds_read_b64 v[1:2], v1
; %bb.18:
	s_or_b32 exec_lo, exec_lo, s9
	v_cmp_ge_u32_e64 s9, v8, v6
	s_mov_b32 s11, exec_lo
                                        ; implicit-def: $vgpr3_vgpr4
	v_cmpx_lt_u32_e64 v8, v6
; %bb.19:
	v_lshlrev_b32_e32 v3, 3, v8
	ds_read_b64 v[3:4], v3
; %bb.20:
	s_or_b32 exec_lo, exec_lo, s11
	s_nor_b32 s11, vcc_lo, s9
	s_and_saveexec_b32 s0, s11
	s_cbranch_execz .LBB970_22
; %bb.21:
	v_mov_b32_e32 v6, 0
	s_waitcnt lgkmcnt(0)
	v_mov_b32_e32 v7, v3
	v_ashrrev_i64 v[8:9], 29, v[6:7]
	v_mov_b32_e32 v7, v1
	v_ashrrev_i64 v[6:7], 29, v[6:7]
	v_add_co_u32 v8, vcc_lo, s4, v8
	v_add_co_ci_u32_e64 v9, null, s5, v9, vcc_lo
	v_add_co_u32 v6, vcc_lo, s4, v6
	v_add_co_ci_u32_e64 v7, null, s5, v7, vcc_lo
	s_clause 0x1
	global_load_dwordx2 v[8:9], v[8:9], off
	global_load_dwordx2 v[6:7], v[6:7], off
	s_andn2_b32 s4, s9, exec_lo
	s_waitcnt vmcnt(0)
	v_cmp_ge_i64_e32 vcc_lo, v[8:9], v[6:7]
	s_and_b32 s5, vcc_lo, exec_lo
	s_or_b32 s9, s4, s5
.LBB970_22:
	s_or_b32 exec_lo, exec_lo, s0
	s_waitcnt lgkmcnt(0)
	v_cndmask_b32_e64 v2, v4, v2, s9
	v_cndmask_b32_e64 v1, v3, v1, s9
.LBB970_23:
	s_or_b32 exec_lo, exec_lo, s1
	s_and_b32 vcc_lo, exec_lo, s10
	s_mov_b32 s0, -1
	s_barrier
	buffer_gl0_inv
	s_barrier
	buffer_gl0_inv
	s_cbranch_vccz .LBB970_25
; %bb.24:
	ds_write_b64 v5, v[1:2]
	s_waitcnt lgkmcnt(0)
	s_barrier
	buffer_gl0_inv
	ds_read_b64 v[3:4], v5
	s_lshl_b64 s[0:1], s[6:7], 3
	s_add_u32 s4, s2, s0
	s_addc_u32 s5, s3, s1
	s_mov_b32 s0, 0
	s_waitcnt lgkmcnt(0)
	global_store_dwordx2 v5, v[3:4], s[4:5]
.LBB970_25:
	s_andn2_b32 vcc_lo, exec_lo, s0
	s_cbranch_vccnz .LBB970_28
; %bb.26:
	s_sub_i32 s0, s8, s6
	ds_write_b64 v5, v[1:2]
	v_cmp_gt_u32_e32 vcc_lo, s0, v0
	s_waitcnt lgkmcnt(0)
	s_waitcnt_vscnt null, 0x0
	s_barrier
	buffer_gl0_inv
	s_and_saveexec_b32 s0, vcc_lo
	s_cbranch_execz .LBB970_28
; %bb.27:
	ds_read_b64 v[0:1], v5
	s_lshl_b64 s[0:1], s[6:7], 3
	s_add_u32 s0, s2, s0
	s_addc_u32 s1, s3, s1
	s_waitcnt lgkmcnt(0)
	global_store_dwordx2 v5, v[0:1], s[0:1]
.LBB970_28:
	s_endpgm
	.section	.rodata,"a",@progbits
	.p2align	6, 0x0
	.amdhsa_kernel _ZN7rocprim17ROCPRIM_400000_NS6detail17trampoline_kernelINS0_14default_configENS1_38merge_sort_block_merge_config_selectorIxNS0_10empty_typeEEEZZNS1_27merge_sort_block_merge_implIS3_N6thrust23THRUST_200600_302600_NS6detail15normal_iteratorINS9_10device_ptrIxEEEEPS5_m9comp_mod3IxEEE10hipError_tT0_T1_T2_jT3_P12ihipStream_tbPNSt15iterator_traitsISJ_E10value_typeEPNSP_ISK_E10value_typeEPSL_NS1_7vsmem_tEENKUlT_SJ_SK_SL_E_clISE_PxSF_SF_EESI_SY_SJ_SK_SL_EUlSY_E0_NS1_11comp_targetILNS1_3genE8ELNS1_11target_archE1030ELNS1_3gpuE2ELNS1_3repE0EEENS1_38merge_mergepath_config_static_selectorELNS0_4arch9wavefront6targetE0EEEvSK_
		.amdhsa_group_segment_fixed_size 8208
		.amdhsa_private_segment_fixed_size 0
		.amdhsa_kernarg_size 336
		.amdhsa_user_sgpr_count 6
		.amdhsa_user_sgpr_private_segment_buffer 1
		.amdhsa_user_sgpr_dispatch_ptr 0
		.amdhsa_user_sgpr_queue_ptr 0
		.amdhsa_user_sgpr_kernarg_segment_ptr 1
		.amdhsa_user_sgpr_dispatch_id 0
		.amdhsa_user_sgpr_flat_scratch_init 0
		.amdhsa_user_sgpr_private_segment_size 0
		.amdhsa_wavefront_size32 1
		.amdhsa_uses_dynamic_stack 0
		.amdhsa_system_sgpr_private_segment_wavefront_offset 0
		.amdhsa_system_sgpr_workgroup_id_x 1
		.amdhsa_system_sgpr_workgroup_id_y 1
		.amdhsa_system_sgpr_workgroup_id_z 1
		.amdhsa_system_sgpr_workgroup_info 0
		.amdhsa_system_vgpr_workitem_id 0
		.amdhsa_next_free_vgpr 16
		.amdhsa_next_free_sgpr 28
		.amdhsa_reserve_vcc 1
		.amdhsa_reserve_flat_scratch 0
		.amdhsa_float_round_mode_32 0
		.amdhsa_float_round_mode_16_64 0
		.amdhsa_float_denorm_mode_32 3
		.amdhsa_float_denorm_mode_16_64 3
		.amdhsa_dx10_clamp 1
		.amdhsa_ieee_mode 1
		.amdhsa_fp16_overflow 0
		.amdhsa_workgroup_processor_mode 1
		.amdhsa_memory_ordered 1
		.amdhsa_forward_progress 1
		.amdhsa_shared_vgpr_count 0
		.amdhsa_exception_fp_ieee_invalid_op 0
		.amdhsa_exception_fp_denorm_src 0
		.amdhsa_exception_fp_ieee_div_zero 0
		.amdhsa_exception_fp_ieee_overflow 0
		.amdhsa_exception_fp_ieee_underflow 0
		.amdhsa_exception_fp_ieee_inexact 0
		.amdhsa_exception_int_div_zero 0
	.end_amdhsa_kernel
	.section	.text._ZN7rocprim17ROCPRIM_400000_NS6detail17trampoline_kernelINS0_14default_configENS1_38merge_sort_block_merge_config_selectorIxNS0_10empty_typeEEEZZNS1_27merge_sort_block_merge_implIS3_N6thrust23THRUST_200600_302600_NS6detail15normal_iteratorINS9_10device_ptrIxEEEEPS5_m9comp_mod3IxEEE10hipError_tT0_T1_T2_jT3_P12ihipStream_tbPNSt15iterator_traitsISJ_E10value_typeEPNSP_ISK_E10value_typeEPSL_NS1_7vsmem_tEENKUlT_SJ_SK_SL_E_clISE_PxSF_SF_EESI_SY_SJ_SK_SL_EUlSY_E0_NS1_11comp_targetILNS1_3genE8ELNS1_11target_archE1030ELNS1_3gpuE2ELNS1_3repE0EEENS1_38merge_mergepath_config_static_selectorELNS0_4arch9wavefront6targetE0EEEvSK_,"axG",@progbits,_ZN7rocprim17ROCPRIM_400000_NS6detail17trampoline_kernelINS0_14default_configENS1_38merge_sort_block_merge_config_selectorIxNS0_10empty_typeEEEZZNS1_27merge_sort_block_merge_implIS3_N6thrust23THRUST_200600_302600_NS6detail15normal_iteratorINS9_10device_ptrIxEEEEPS5_m9comp_mod3IxEEE10hipError_tT0_T1_T2_jT3_P12ihipStream_tbPNSt15iterator_traitsISJ_E10value_typeEPNSP_ISK_E10value_typeEPSL_NS1_7vsmem_tEENKUlT_SJ_SK_SL_E_clISE_PxSF_SF_EESI_SY_SJ_SK_SL_EUlSY_E0_NS1_11comp_targetILNS1_3genE8ELNS1_11target_archE1030ELNS1_3gpuE2ELNS1_3repE0EEENS1_38merge_mergepath_config_static_selectorELNS0_4arch9wavefront6targetE0EEEvSK_,comdat
.Lfunc_end970:
	.size	_ZN7rocprim17ROCPRIM_400000_NS6detail17trampoline_kernelINS0_14default_configENS1_38merge_sort_block_merge_config_selectorIxNS0_10empty_typeEEEZZNS1_27merge_sort_block_merge_implIS3_N6thrust23THRUST_200600_302600_NS6detail15normal_iteratorINS9_10device_ptrIxEEEEPS5_m9comp_mod3IxEEE10hipError_tT0_T1_T2_jT3_P12ihipStream_tbPNSt15iterator_traitsISJ_E10value_typeEPNSP_ISK_E10value_typeEPSL_NS1_7vsmem_tEENKUlT_SJ_SK_SL_E_clISE_PxSF_SF_EESI_SY_SJ_SK_SL_EUlSY_E0_NS1_11comp_targetILNS1_3genE8ELNS1_11target_archE1030ELNS1_3gpuE2ELNS1_3repE0EEENS1_38merge_mergepath_config_static_selectorELNS0_4arch9wavefront6targetE0EEEvSK_, .Lfunc_end970-_ZN7rocprim17ROCPRIM_400000_NS6detail17trampoline_kernelINS0_14default_configENS1_38merge_sort_block_merge_config_selectorIxNS0_10empty_typeEEEZZNS1_27merge_sort_block_merge_implIS3_N6thrust23THRUST_200600_302600_NS6detail15normal_iteratorINS9_10device_ptrIxEEEEPS5_m9comp_mod3IxEEE10hipError_tT0_T1_T2_jT3_P12ihipStream_tbPNSt15iterator_traitsISJ_E10value_typeEPNSP_ISK_E10value_typeEPSL_NS1_7vsmem_tEENKUlT_SJ_SK_SL_E_clISE_PxSF_SF_EESI_SY_SJ_SK_SL_EUlSY_E0_NS1_11comp_targetILNS1_3genE8ELNS1_11target_archE1030ELNS1_3gpuE2ELNS1_3repE0EEENS1_38merge_mergepath_config_static_selectorELNS0_4arch9wavefront6targetE0EEEvSK_
                                        ; -- End function
	.set _ZN7rocprim17ROCPRIM_400000_NS6detail17trampoline_kernelINS0_14default_configENS1_38merge_sort_block_merge_config_selectorIxNS0_10empty_typeEEEZZNS1_27merge_sort_block_merge_implIS3_N6thrust23THRUST_200600_302600_NS6detail15normal_iteratorINS9_10device_ptrIxEEEEPS5_m9comp_mod3IxEEE10hipError_tT0_T1_T2_jT3_P12ihipStream_tbPNSt15iterator_traitsISJ_E10value_typeEPNSP_ISK_E10value_typeEPSL_NS1_7vsmem_tEENKUlT_SJ_SK_SL_E_clISE_PxSF_SF_EESI_SY_SJ_SK_SL_EUlSY_E0_NS1_11comp_targetILNS1_3genE8ELNS1_11target_archE1030ELNS1_3gpuE2ELNS1_3repE0EEENS1_38merge_mergepath_config_static_selectorELNS0_4arch9wavefront6targetE0EEEvSK_.num_vgpr, 16
	.set _ZN7rocprim17ROCPRIM_400000_NS6detail17trampoline_kernelINS0_14default_configENS1_38merge_sort_block_merge_config_selectorIxNS0_10empty_typeEEEZZNS1_27merge_sort_block_merge_implIS3_N6thrust23THRUST_200600_302600_NS6detail15normal_iteratorINS9_10device_ptrIxEEEEPS5_m9comp_mod3IxEEE10hipError_tT0_T1_T2_jT3_P12ihipStream_tbPNSt15iterator_traitsISJ_E10value_typeEPNSP_ISK_E10value_typeEPSL_NS1_7vsmem_tEENKUlT_SJ_SK_SL_E_clISE_PxSF_SF_EESI_SY_SJ_SK_SL_EUlSY_E0_NS1_11comp_targetILNS1_3genE8ELNS1_11target_archE1030ELNS1_3gpuE2ELNS1_3repE0EEENS1_38merge_mergepath_config_static_selectorELNS0_4arch9wavefront6targetE0EEEvSK_.num_agpr, 0
	.set _ZN7rocprim17ROCPRIM_400000_NS6detail17trampoline_kernelINS0_14default_configENS1_38merge_sort_block_merge_config_selectorIxNS0_10empty_typeEEEZZNS1_27merge_sort_block_merge_implIS3_N6thrust23THRUST_200600_302600_NS6detail15normal_iteratorINS9_10device_ptrIxEEEEPS5_m9comp_mod3IxEEE10hipError_tT0_T1_T2_jT3_P12ihipStream_tbPNSt15iterator_traitsISJ_E10value_typeEPNSP_ISK_E10value_typeEPSL_NS1_7vsmem_tEENKUlT_SJ_SK_SL_E_clISE_PxSF_SF_EESI_SY_SJ_SK_SL_EUlSY_E0_NS1_11comp_targetILNS1_3genE8ELNS1_11target_archE1030ELNS1_3gpuE2ELNS1_3repE0EEENS1_38merge_mergepath_config_static_selectorELNS0_4arch9wavefront6targetE0EEEvSK_.numbered_sgpr, 28
	.set _ZN7rocprim17ROCPRIM_400000_NS6detail17trampoline_kernelINS0_14default_configENS1_38merge_sort_block_merge_config_selectorIxNS0_10empty_typeEEEZZNS1_27merge_sort_block_merge_implIS3_N6thrust23THRUST_200600_302600_NS6detail15normal_iteratorINS9_10device_ptrIxEEEEPS5_m9comp_mod3IxEEE10hipError_tT0_T1_T2_jT3_P12ihipStream_tbPNSt15iterator_traitsISJ_E10value_typeEPNSP_ISK_E10value_typeEPSL_NS1_7vsmem_tEENKUlT_SJ_SK_SL_E_clISE_PxSF_SF_EESI_SY_SJ_SK_SL_EUlSY_E0_NS1_11comp_targetILNS1_3genE8ELNS1_11target_archE1030ELNS1_3gpuE2ELNS1_3repE0EEENS1_38merge_mergepath_config_static_selectorELNS0_4arch9wavefront6targetE0EEEvSK_.num_named_barrier, 0
	.set _ZN7rocprim17ROCPRIM_400000_NS6detail17trampoline_kernelINS0_14default_configENS1_38merge_sort_block_merge_config_selectorIxNS0_10empty_typeEEEZZNS1_27merge_sort_block_merge_implIS3_N6thrust23THRUST_200600_302600_NS6detail15normal_iteratorINS9_10device_ptrIxEEEEPS5_m9comp_mod3IxEEE10hipError_tT0_T1_T2_jT3_P12ihipStream_tbPNSt15iterator_traitsISJ_E10value_typeEPNSP_ISK_E10value_typeEPSL_NS1_7vsmem_tEENKUlT_SJ_SK_SL_E_clISE_PxSF_SF_EESI_SY_SJ_SK_SL_EUlSY_E0_NS1_11comp_targetILNS1_3genE8ELNS1_11target_archE1030ELNS1_3gpuE2ELNS1_3repE0EEENS1_38merge_mergepath_config_static_selectorELNS0_4arch9wavefront6targetE0EEEvSK_.private_seg_size, 0
	.set _ZN7rocprim17ROCPRIM_400000_NS6detail17trampoline_kernelINS0_14default_configENS1_38merge_sort_block_merge_config_selectorIxNS0_10empty_typeEEEZZNS1_27merge_sort_block_merge_implIS3_N6thrust23THRUST_200600_302600_NS6detail15normal_iteratorINS9_10device_ptrIxEEEEPS5_m9comp_mod3IxEEE10hipError_tT0_T1_T2_jT3_P12ihipStream_tbPNSt15iterator_traitsISJ_E10value_typeEPNSP_ISK_E10value_typeEPSL_NS1_7vsmem_tEENKUlT_SJ_SK_SL_E_clISE_PxSF_SF_EESI_SY_SJ_SK_SL_EUlSY_E0_NS1_11comp_targetILNS1_3genE8ELNS1_11target_archE1030ELNS1_3gpuE2ELNS1_3repE0EEENS1_38merge_mergepath_config_static_selectorELNS0_4arch9wavefront6targetE0EEEvSK_.uses_vcc, 1
	.set _ZN7rocprim17ROCPRIM_400000_NS6detail17trampoline_kernelINS0_14default_configENS1_38merge_sort_block_merge_config_selectorIxNS0_10empty_typeEEEZZNS1_27merge_sort_block_merge_implIS3_N6thrust23THRUST_200600_302600_NS6detail15normal_iteratorINS9_10device_ptrIxEEEEPS5_m9comp_mod3IxEEE10hipError_tT0_T1_T2_jT3_P12ihipStream_tbPNSt15iterator_traitsISJ_E10value_typeEPNSP_ISK_E10value_typeEPSL_NS1_7vsmem_tEENKUlT_SJ_SK_SL_E_clISE_PxSF_SF_EESI_SY_SJ_SK_SL_EUlSY_E0_NS1_11comp_targetILNS1_3genE8ELNS1_11target_archE1030ELNS1_3gpuE2ELNS1_3repE0EEENS1_38merge_mergepath_config_static_selectorELNS0_4arch9wavefront6targetE0EEEvSK_.uses_flat_scratch, 0
	.set _ZN7rocprim17ROCPRIM_400000_NS6detail17trampoline_kernelINS0_14default_configENS1_38merge_sort_block_merge_config_selectorIxNS0_10empty_typeEEEZZNS1_27merge_sort_block_merge_implIS3_N6thrust23THRUST_200600_302600_NS6detail15normal_iteratorINS9_10device_ptrIxEEEEPS5_m9comp_mod3IxEEE10hipError_tT0_T1_T2_jT3_P12ihipStream_tbPNSt15iterator_traitsISJ_E10value_typeEPNSP_ISK_E10value_typeEPSL_NS1_7vsmem_tEENKUlT_SJ_SK_SL_E_clISE_PxSF_SF_EESI_SY_SJ_SK_SL_EUlSY_E0_NS1_11comp_targetILNS1_3genE8ELNS1_11target_archE1030ELNS1_3gpuE2ELNS1_3repE0EEENS1_38merge_mergepath_config_static_selectorELNS0_4arch9wavefront6targetE0EEEvSK_.has_dyn_sized_stack, 0
	.set _ZN7rocprim17ROCPRIM_400000_NS6detail17trampoline_kernelINS0_14default_configENS1_38merge_sort_block_merge_config_selectorIxNS0_10empty_typeEEEZZNS1_27merge_sort_block_merge_implIS3_N6thrust23THRUST_200600_302600_NS6detail15normal_iteratorINS9_10device_ptrIxEEEEPS5_m9comp_mod3IxEEE10hipError_tT0_T1_T2_jT3_P12ihipStream_tbPNSt15iterator_traitsISJ_E10value_typeEPNSP_ISK_E10value_typeEPSL_NS1_7vsmem_tEENKUlT_SJ_SK_SL_E_clISE_PxSF_SF_EESI_SY_SJ_SK_SL_EUlSY_E0_NS1_11comp_targetILNS1_3genE8ELNS1_11target_archE1030ELNS1_3gpuE2ELNS1_3repE0EEENS1_38merge_mergepath_config_static_selectorELNS0_4arch9wavefront6targetE0EEEvSK_.has_recursion, 0
	.set _ZN7rocprim17ROCPRIM_400000_NS6detail17trampoline_kernelINS0_14default_configENS1_38merge_sort_block_merge_config_selectorIxNS0_10empty_typeEEEZZNS1_27merge_sort_block_merge_implIS3_N6thrust23THRUST_200600_302600_NS6detail15normal_iteratorINS9_10device_ptrIxEEEEPS5_m9comp_mod3IxEEE10hipError_tT0_T1_T2_jT3_P12ihipStream_tbPNSt15iterator_traitsISJ_E10value_typeEPNSP_ISK_E10value_typeEPSL_NS1_7vsmem_tEENKUlT_SJ_SK_SL_E_clISE_PxSF_SF_EESI_SY_SJ_SK_SL_EUlSY_E0_NS1_11comp_targetILNS1_3genE8ELNS1_11target_archE1030ELNS1_3gpuE2ELNS1_3repE0EEENS1_38merge_mergepath_config_static_selectorELNS0_4arch9wavefront6targetE0EEEvSK_.has_indirect_call, 0
	.section	.AMDGPU.csdata,"",@progbits
; Kernel info:
; codeLenInByte = 1232
; TotalNumSgprs: 30
; NumVgprs: 16
; ScratchSize: 0
; MemoryBound: 0
; FloatMode: 240
; IeeeMode: 1
; LDSByteSize: 8208 bytes/workgroup (compile time only)
; SGPRBlocks: 0
; VGPRBlocks: 1
; NumSGPRsForWavesPerEU: 30
; NumVGPRsForWavesPerEU: 16
; Occupancy: 16
; WaveLimiterHint : 0
; COMPUTE_PGM_RSRC2:SCRATCH_EN: 0
; COMPUTE_PGM_RSRC2:USER_SGPR: 6
; COMPUTE_PGM_RSRC2:TRAP_HANDLER: 0
; COMPUTE_PGM_RSRC2:TGID_X_EN: 1
; COMPUTE_PGM_RSRC2:TGID_Y_EN: 1
; COMPUTE_PGM_RSRC2:TGID_Z_EN: 1
; COMPUTE_PGM_RSRC2:TIDIG_COMP_CNT: 0
	.section	.text._ZN7rocprim17ROCPRIM_400000_NS6detail17trampoline_kernelINS0_14default_configENS1_38merge_sort_block_merge_config_selectorIxNS0_10empty_typeEEEZZNS1_27merge_sort_block_merge_implIS3_N6thrust23THRUST_200600_302600_NS6detail15normal_iteratorINS9_10device_ptrIxEEEEPS5_m9comp_mod3IxEEE10hipError_tT0_T1_T2_jT3_P12ihipStream_tbPNSt15iterator_traitsISJ_E10value_typeEPNSP_ISK_E10value_typeEPSL_NS1_7vsmem_tEENKUlT_SJ_SK_SL_E_clISE_PxSF_SF_EESI_SY_SJ_SK_SL_EUlSY_E1_NS1_11comp_targetILNS1_3genE0ELNS1_11target_archE4294967295ELNS1_3gpuE0ELNS1_3repE0EEENS1_36merge_oddeven_config_static_selectorELNS0_4arch9wavefront6targetE0EEEvSK_,"axG",@progbits,_ZN7rocprim17ROCPRIM_400000_NS6detail17trampoline_kernelINS0_14default_configENS1_38merge_sort_block_merge_config_selectorIxNS0_10empty_typeEEEZZNS1_27merge_sort_block_merge_implIS3_N6thrust23THRUST_200600_302600_NS6detail15normal_iteratorINS9_10device_ptrIxEEEEPS5_m9comp_mod3IxEEE10hipError_tT0_T1_T2_jT3_P12ihipStream_tbPNSt15iterator_traitsISJ_E10value_typeEPNSP_ISK_E10value_typeEPSL_NS1_7vsmem_tEENKUlT_SJ_SK_SL_E_clISE_PxSF_SF_EESI_SY_SJ_SK_SL_EUlSY_E1_NS1_11comp_targetILNS1_3genE0ELNS1_11target_archE4294967295ELNS1_3gpuE0ELNS1_3repE0EEENS1_36merge_oddeven_config_static_selectorELNS0_4arch9wavefront6targetE0EEEvSK_,comdat
	.protected	_ZN7rocprim17ROCPRIM_400000_NS6detail17trampoline_kernelINS0_14default_configENS1_38merge_sort_block_merge_config_selectorIxNS0_10empty_typeEEEZZNS1_27merge_sort_block_merge_implIS3_N6thrust23THRUST_200600_302600_NS6detail15normal_iteratorINS9_10device_ptrIxEEEEPS5_m9comp_mod3IxEEE10hipError_tT0_T1_T2_jT3_P12ihipStream_tbPNSt15iterator_traitsISJ_E10value_typeEPNSP_ISK_E10value_typeEPSL_NS1_7vsmem_tEENKUlT_SJ_SK_SL_E_clISE_PxSF_SF_EESI_SY_SJ_SK_SL_EUlSY_E1_NS1_11comp_targetILNS1_3genE0ELNS1_11target_archE4294967295ELNS1_3gpuE0ELNS1_3repE0EEENS1_36merge_oddeven_config_static_selectorELNS0_4arch9wavefront6targetE0EEEvSK_ ; -- Begin function _ZN7rocprim17ROCPRIM_400000_NS6detail17trampoline_kernelINS0_14default_configENS1_38merge_sort_block_merge_config_selectorIxNS0_10empty_typeEEEZZNS1_27merge_sort_block_merge_implIS3_N6thrust23THRUST_200600_302600_NS6detail15normal_iteratorINS9_10device_ptrIxEEEEPS5_m9comp_mod3IxEEE10hipError_tT0_T1_T2_jT3_P12ihipStream_tbPNSt15iterator_traitsISJ_E10value_typeEPNSP_ISK_E10value_typeEPSL_NS1_7vsmem_tEENKUlT_SJ_SK_SL_E_clISE_PxSF_SF_EESI_SY_SJ_SK_SL_EUlSY_E1_NS1_11comp_targetILNS1_3genE0ELNS1_11target_archE4294967295ELNS1_3gpuE0ELNS1_3repE0EEENS1_36merge_oddeven_config_static_selectorELNS0_4arch9wavefront6targetE0EEEvSK_
	.globl	_ZN7rocprim17ROCPRIM_400000_NS6detail17trampoline_kernelINS0_14default_configENS1_38merge_sort_block_merge_config_selectorIxNS0_10empty_typeEEEZZNS1_27merge_sort_block_merge_implIS3_N6thrust23THRUST_200600_302600_NS6detail15normal_iteratorINS9_10device_ptrIxEEEEPS5_m9comp_mod3IxEEE10hipError_tT0_T1_T2_jT3_P12ihipStream_tbPNSt15iterator_traitsISJ_E10value_typeEPNSP_ISK_E10value_typeEPSL_NS1_7vsmem_tEENKUlT_SJ_SK_SL_E_clISE_PxSF_SF_EESI_SY_SJ_SK_SL_EUlSY_E1_NS1_11comp_targetILNS1_3genE0ELNS1_11target_archE4294967295ELNS1_3gpuE0ELNS1_3repE0EEENS1_36merge_oddeven_config_static_selectorELNS0_4arch9wavefront6targetE0EEEvSK_
	.p2align	8
	.type	_ZN7rocprim17ROCPRIM_400000_NS6detail17trampoline_kernelINS0_14default_configENS1_38merge_sort_block_merge_config_selectorIxNS0_10empty_typeEEEZZNS1_27merge_sort_block_merge_implIS3_N6thrust23THRUST_200600_302600_NS6detail15normal_iteratorINS9_10device_ptrIxEEEEPS5_m9comp_mod3IxEEE10hipError_tT0_T1_T2_jT3_P12ihipStream_tbPNSt15iterator_traitsISJ_E10value_typeEPNSP_ISK_E10value_typeEPSL_NS1_7vsmem_tEENKUlT_SJ_SK_SL_E_clISE_PxSF_SF_EESI_SY_SJ_SK_SL_EUlSY_E1_NS1_11comp_targetILNS1_3genE0ELNS1_11target_archE4294967295ELNS1_3gpuE0ELNS1_3repE0EEENS1_36merge_oddeven_config_static_selectorELNS0_4arch9wavefront6targetE0EEEvSK_,@function
_ZN7rocprim17ROCPRIM_400000_NS6detail17trampoline_kernelINS0_14default_configENS1_38merge_sort_block_merge_config_selectorIxNS0_10empty_typeEEEZZNS1_27merge_sort_block_merge_implIS3_N6thrust23THRUST_200600_302600_NS6detail15normal_iteratorINS9_10device_ptrIxEEEEPS5_m9comp_mod3IxEEE10hipError_tT0_T1_T2_jT3_P12ihipStream_tbPNSt15iterator_traitsISJ_E10value_typeEPNSP_ISK_E10value_typeEPSL_NS1_7vsmem_tEENKUlT_SJ_SK_SL_E_clISE_PxSF_SF_EESI_SY_SJ_SK_SL_EUlSY_E1_NS1_11comp_targetILNS1_3genE0ELNS1_11target_archE4294967295ELNS1_3gpuE0ELNS1_3repE0EEENS1_36merge_oddeven_config_static_selectorELNS0_4arch9wavefront6targetE0EEEvSK_: ; @_ZN7rocprim17ROCPRIM_400000_NS6detail17trampoline_kernelINS0_14default_configENS1_38merge_sort_block_merge_config_selectorIxNS0_10empty_typeEEEZZNS1_27merge_sort_block_merge_implIS3_N6thrust23THRUST_200600_302600_NS6detail15normal_iteratorINS9_10device_ptrIxEEEEPS5_m9comp_mod3IxEEE10hipError_tT0_T1_T2_jT3_P12ihipStream_tbPNSt15iterator_traitsISJ_E10value_typeEPNSP_ISK_E10value_typeEPSL_NS1_7vsmem_tEENKUlT_SJ_SK_SL_E_clISE_PxSF_SF_EESI_SY_SJ_SK_SL_EUlSY_E1_NS1_11comp_targetILNS1_3genE0ELNS1_11target_archE4294967295ELNS1_3gpuE0ELNS1_3repE0EEENS1_36merge_oddeven_config_static_selectorELNS0_4arch9wavefront6targetE0EEEvSK_
; %bb.0:
	.section	.rodata,"a",@progbits
	.p2align	6, 0x0
	.amdhsa_kernel _ZN7rocprim17ROCPRIM_400000_NS6detail17trampoline_kernelINS0_14default_configENS1_38merge_sort_block_merge_config_selectorIxNS0_10empty_typeEEEZZNS1_27merge_sort_block_merge_implIS3_N6thrust23THRUST_200600_302600_NS6detail15normal_iteratorINS9_10device_ptrIxEEEEPS5_m9comp_mod3IxEEE10hipError_tT0_T1_T2_jT3_P12ihipStream_tbPNSt15iterator_traitsISJ_E10value_typeEPNSP_ISK_E10value_typeEPSL_NS1_7vsmem_tEENKUlT_SJ_SK_SL_E_clISE_PxSF_SF_EESI_SY_SJ_SK_SL_EUlSY_E1_NS1_11comp_targetILNS1_3genE0ELNS1_11target_archE4294967295ELNS1_3gpuE0ELNS1_3repE0EEENS1_36merge_oddeven_config_static_selectorELNS0_4arch9wavefront6targetE0EEEvSK_
		.amdhsa_group_segment_fixed_size 0
		.amdhsa_private_segment_fixed_size 0
		.amdhsa_kernarg_size 56
		.amdhsa_user_sgpr_count 6
		.amdhsa_user_sgpr_private_segment_buffer 1
		.amdhsa_user_sgpr_dispatch_ptr 0
		.amdhsa_user_sgpr_queue_ptr 0
		.amdhsa_user_sgpr_kernarg_segment_ptr 1
		.amdhsa_user_sgpr_dispatch_id 0
		.amdhsa_user_sgpr_flat_scratch_init 0
		.amdhsa_user_sgpr_private_segment_size 0
		.amdhsa_wavefront_size32 1
		.amdhsa_uses_dynamic_stack 0
		.amdhsa_system_sgpr_private_segment_wavefront_offset 0
		.amdhsa_system_sgpr_workgroup_id_x 1
		.amdhsa_system_sgpr_workgroup_id_y 0
		.amdhsa_system_sgpr_workgroup_id_z 0
		.amdhsa_system_sgpr_workgroup_info 0
		.amdhsa_system_vgpr_workitem_id 0
		.amdhsa_next_free_vgpr 1
		.amdhsa_next_free_sgpr 1
		.amdhsa_reserve_vcc 0
		.amdhsa_reserve_flat_scratch 0
		.amdhsa_float_round_mode_32 0
		.amdhsa_float_round_mode_16_64 0
		.amdhsa_float_denorm_mode_32 3
		.amdhsa_float_denorm_mode_16_64 3
		.amdhsa_dx10_clamp 1
		.amdhsa_ieee_mode 1
		.amdhsa_fp16_overflow 0
		.amdhsa_workgroup_processor_mode 1
		.amdhsa_memory_ordered 1
		.amdhsa_forward_progress 1
		.amdhsa_shared_vgpr_count 0
		.amdhsa_exception_fp_ieee_invalid_op 0
		.amdhsa_exception_fp_denorm_src 0
		.amdhsa_exception_fp_ieee_div_zero 0
		.amdhsa_exception_fp_ieee_overflow 0
		.amdhsa_exception_fp_ieee_underflow 0
		.amdhsa_exception_fp_ieee_inexact 0
		.amdhsa_exception_int_div_zero 0
	.end_amdhsa_kernel
	.section	.text._ZN7rocprim17ROCPRIM_400000_NS6detail17trampoline_kernelINS0_14default_configENS1_38merge_sort_block_merge_config_selectorIxNS0_10empty_typeEEEZZNS1_27merge_sort_block_merge_implIS3_N6thrust23THRUST_200600_302600_NS6detail15normal_iteratorINS9_10device_ptrIxEEEEPS5_m9comp_mod3IxEEE10hipError_tT0_T1_T2_jT3_P12ihipStream_tbPNSt15iterator_traitsISJ_E10value_typeEPNSP_ISK_E10value_typeEPSL_NS1_7vsmem_tEENKUlT_SJ_SK_SL_E_clISE_PxSF_SF_EESI_SY_SJ_SK_SL_EUlSY_E1_NS1_11comp_targetILNS1_3genE0ELNS1_11target_archE4294967295ELNS1_3gpuE0ELNS1_3repE0EEENS1_36merge_oddeven_config_static_selectorELNS0_4arch9wavefront6targetE0EEEvSK_,"axG",@progbits,_ZN7rocprim17ROCPRIM_400000_NS6detail17trampoline_kernelINS0_14default_configENS1_38merge_sort_block_merge_config_selectorIxNS0_10empty_typeEEEZZNS1_27merge_sort_block_merge_implIS3_N6thrust23THRUST_200600_302600_NS6detail15normal_iteratorINS9_10device_ptrIxEEEEPS5_m9comp_mod3IxEEE10hipError_tT0_T1_T2_jT3_P12ihipStream_tbPNSt15iterator_traitsISJ_E10value_typeEPNSP_ISK_E10value_typeEPSL_NS1_7vsmem_tEENKUlT_SJ_SK_SL_E_clISE_PxSF_SF_EESI_SY_SJ_SK_SL_EUlSY_E1_NS1_11comp_targetILNS1_3genE0ELNS1_11target_archE4294967295ELNS1_3gpuE0ELNS1_3repE0EEENS1_36merge_oddeven_config_static_selectorELNS0_4arch9wavefront6targetE0EEEvSK_,comdat
.Lfunc_end971:
	.size	_ZN7rocprim17ROCPRIM_400000_NS6detail17trampoline_kernelINS0_14default_configENS1_38merge_sort_block_merge_config_selectorIxNS0_10empty_typeEEEZZNS1_27merge_sort_block_merge_implIS3_N6thrust23THRUST_200600_302600_NS6detail15normal_iteratorINS9_10device_ptrIxEEEEPS5_m9comp_mod3IxEEE10hipError_tT0_T1_T2_jT3_P12ihipStream_tbPNSt15iterator_traitsISJ_E10value_typeEPNSP_ISK_E10value_typeEPSL_NS1_7vsmem_tEENKUlT_SJ_SK_SL_E_clISE_PxSF_SF_EESI_SY_SJ_SK_SL_EUlSY_E1_NS1_11comp_targetILNS1_3genE0ELNS1_11target_archE4294967295ELNS1_3gpuE0ELNS1_3repE0EEENS1_36merge_oddeven_config_static_selectorELNS0_4arch9wavefront6targetE0EEEvSK_, .Lfunc_end971-_ZN7rocprim17ROCPRIM_400000_NS6detail17trampoline_kernelINS0_14default_configENS1_38merge_sort_block_merge_config_selectorIxNS0_10empty_typeEEEZZNS1_27merge_sort_block_merge_implIS3_N6thrust23THRUST_200600_302600_NS6detail15normal_iteratorINS9_10device_ptrIxEEEEPS5_m9comp_mod3IxEEE10hipError_tT0_T1_T2_jT3_P12ihipStream_tbPNSt15iterator_traitsISJ_E10value_typeEPNSP_ISK_E10value_typeEPSL_NS1_7vsmem_tEENKUlT_SJ_SK_SL_E_clISE_PxSF_SF_EESI_SY_SJ_SK_SL_EUlSY_E1_NS1_11comp_targetILNS1_3genE0ELNS1_11target_archE4294967295ELNS1_3gpuE0ELNS1_3repE0EEENS1_36merge_oddeven_config_static_selectorELNS0_4arch9wavefront6targetE0EEEvSK_
                                        ; -- End function
	.set _ZN7rocprim17ROCPRIM_400000_NS6detail17trampoline_kernelINS0_14default_configENS1_38merge_sort_block_merge_config_selectorIxNS0_10empty_typeEEEZZNS1_27merge_sort_block_merge_implIS3_N6thrust23THRUST_200600_302600_NS6detail15normal_iteratorINS9_10device_ptrIxEEEEPS5_m9comp_mod3IxEEE10hipError_tT0_T1_T2_jT3_P12ihipStream_tbPNSt15iterator_traitsISJ_E10value_typeEPNSP_ISK_E10value_typeEPSL_NS1_7vsmem_tEENKUlT_SJ_SK_SL_E_clISE_PxSF_SF_EESI_SY_SJ_SK_SL_EUlSY_E1_NS1_11comp_targetILNS1_3genE0ELNS1_11target_archE4294967295ELNS1_3gpuE0ELNS1_3repE0EEENS1_36merge_oddeven_config_static_selectorELNS0_4arch9wavefront6targetE0EEEvSK_.num_vgpr, 0
	.set _ZN7rocprim17ROCPRIM_400000_NS6detail17trampoline_kernelINS0_14default_configENS1_38merge_sort_block_merge_config_selectorIxNS0_10empty_typeEEEZZNS1_27merge_sort_block_merge_implIS3_N6thrust23THRUST_200600_302600_NS6detail15normal_iteratorINS9_10device_ptrIxEEEEPS5_m9comp_mod3IxEEE10hipError_tT0_T1_T2_jT3_P12ihipStream_tbPNSt15iterator_traitsISJ_E10value_typeEPNSP_ISK_E10value_typeEPSL_NS1_7vsmem_tEENKUlT_SJ_SK_SL_E_clISE_PxSF_SF_EESI_SY_SJ_SK_SL_EUlSY_E1_NS1_11comp_targetILNS1_3genE0ELNS1_11target_archE4294967295ELNS1_3gpuE0ELNS1_3repE0EEENS1_36merge_oddeven_config_static_selectorELNS0_4arch9wavefront6targetE0EEEvSK_.num_agpr, 0
	.set _ZN7rocprim17ROCPRIM_400000_NS6detail17trampoline_kernelINS0_14default_configENS1_38merge_sort_block_merge_config_selectorIxNS0_10empty_typeEEEZZNS1_27merge_sort_block_merge_implIS3_N6thrust23THRUST_200600_302600_NS6detail15normal_iteratorINS9_10device_ptrIxEEEEPS5_m9comp_mod3IxEEE10hipError_tT0_T1_T2_jT3_P12ihipStream_tbPNSt15iterator_traitsISJ_E10value_typeEPNSP_ISK_E10value_typeEPSL_NS1_7vsmem_tEENKUlT_SJ_SK_SL_E_clISE_PxSF_SF_EESI_SY_SJ_SK_SL_EUlSY_E1_NS1_11comp_targetILNS1_3genE0ELNS1_11target_archE4294967295ELNS1_3gpuE0ELNS1_3repE0EEENS1_36merge_oddeven_config_static_selectorELNS0_4arch9wavefront6targetE0EEEvSK_.numbered_sgpr, 0
	.set _ZN7rocprim17ROCPRIM_400000_NS6detail17trampoline_kernelINS0_14default_configENS1_38merge_sort_block_merge_config_selectorIxNS0_10empty_typeEEEZZNS1_27merge_sort_block_merge_implIS3_N6thrust23THRUST_200600_302600_NS6detail15normal_iteratorINS9_10device_ptrIxEEEEPS5_m9comp_mod3IxEEE10hipError_tT0_T1_T2_jT3_P12ihipStream_tbPNSt15iterator_traitsISJ_E10value_typeEPNSP_ISK_E10value_typeEPSL_NS1_7vsmem_tEENKUlT_SJ_SK_SL_E_clISE_PxSF_SF_EESI_SY_SJ_SK_SL_EUlSY_E1_NS1_11comp_targetILNS1_3genE0ELNS1_11target_archE4294967295ELNS1_3gpuE0ELNS1_3repE0EEENS1_36merge_oddeven_config_static_selectorELNS0_4arch9wavefront6targetE0EEEvSK_.num_named_barrier, 0
	.set _ZN7rocprim17ROCPRIM_400000_NS6detail17trampoline_kernelINS0_14default_configENS1_38merge_sort_block_merge_config_selectorIxNS0_10empty_typeEEEZZNS1_27merge_sort_block_merge_implIS3_N6thrust23THRUST_200600_302600_NS6detail15normal_iteratorINS9_10device_ptrIxEEEEPS5_m9comp_mod3IxEEE10hipError_tT0_T1_T2_jT3_P12ihipStream_tbPNSt15iterator_traitsISJ_E10value_typeEPNSP_ISK_E10value_typeEPSL_NS1_7vsmem_tEENKUlT_SJ_SK_SL_E_clISE_PxSF_SF_EESI_SY_SJ_SK_SL_EUlSY_E1_NS1_11comp_targetILNS1_3genE0ELNS1_11target_archE4294967295ELNS1_3gpuE0ELNS1_3repE0EEENS1_36merge_oddeven_config_static_selectorELNS0_4arch9wavefront6targetE0EEEvSK_.private_seg_size, 0
	.set _ZN7rocprim17ROCPRIM_400000_NS6detail17trampoline_kernelINS0_14default_configENS1_38merge_sort_block_merge_config_selectorIxNS0_10empty_typeEEEZZNS1_27merge_sort_block_merge_implIS3_N6thrust23THRUST_200600_302600_NS6detail15normal_iteratorINS9_10device_ptrIxEEEEPS5_m9comp_mod3IxEEE10hipError_tT0_T1_T2_jT3_P12ihipStream_tbPNSt15iterator_traitsISJ_E10value_typeEPNSP_ISK_E10value_typeEPSL_NS1_7vsmem_tEENKUlT_SJ_SK_SL_E_clISE_PxSF_SF_EESI_SY_SJ_SK_SL_EUlSY_E1_NS1_11comp_targetILNS1_3genE0ELNS1_11target_archE4294967295ELNS1_3gpuE0ELNS1_3repE0EEENS1_36merge_oddeven_config_static_selectorELNS0_4arch9wavefront6targetE0EEEvSK_.uses_vcc, 0
	.set _ZN7rocprim17ROCPRIM_400000_NS6detail17trampoline_kernelINS0_14default_configENS1_38merge_sort_block_merge_config_selectorIxNS0_10empty_typeEEEZZNS1_27merge_sort_block_merge_implIS3_N6thrust23THRUST_200600_302600_NS6detail15normal_iteratorINS9_10device_ptrIxEEEEPS5_m9comp_mod3IxEEE10hipError_tT0_T1_T2_jT3_P12ihipStream_tbPNSt15iterator_traitsISJ_E10value_typeEPNSP_ISK_E10value_typeEPSL_NS1_7vsmem_tEENKUlT_SJ_SK_SL_E_clISE_PxSF_SF_EESI_SY_SJ_SK_SL_EUlSY_E1_NS1_11comp_targetILNS1_3genE0ELNS1_11target_archE4294967295ELNS1_3gpuE0ELNS1_3repE0EEENS1_36merge_oddeven_config_static_selectorELNS0_4arch9wavefront6targetE0EEEvSK_.uses_flat_scratch, 0
	.set _ZN7rocprim17ROCPRIM_400000_NS6detail17trampoline_kernelINS0_14default_configENS1_38merge_sort_block_merge_config_selectorIxNS0_10empty_typeEEEZZNS1_27merge_sort_block_merge_implIS3_N6thrust23THRUST_200600_302600_NS6detail15normal_iteratorINS9_10device_ptrIxEEEEPS5_m9comp_mod3IxEEE10hipError_tT0_T1_T2_jT3_P12ihipStream_tbPNSt15iterator_traitsISJ_E10value_typeEPNSP_ISK_E10value_typeEPSL_NS1_7vsmem_tEENKUlT_SJ_SK_SL_E_clISE_PxSF_SF_EESI_SY_SJ_SK_SL_EUlSY_E1_NS1_11comp_targetILNS1_3genE0ELNS1_11target_archE4294967295ELNS1_3gpuE0ELNS1_3repE0EEENS1_36merge_oddeven_config_static_selectorELNS0_4arch9wavefront6targetE0EEEvSK_.has_dyn_sized_stack, 0
	.set _ZN7rocprim17ROCPRIM_400000_NS6detail17trampoline_kernelINS0_14default_configENS1_38merge_sort_block_merge_config_selectorIxNS0_10empty_typeEEEZZNS1_27merge_sort_block_merge_implIS3_N6thrust23THRUST_200600_302600_NS6detail15normal_iteratorINS9_10device_ptrIxEEEEPS5_m9comp_mod3IxEEE10hipError_tT0_T1_T2_jT3_P12ihipStream_tbPNSt15iterator_traitsISJ_E10value_typeEPNSP_ISK_E10value_typeEPSL_NS1_7vsmem_tEENKUlT_SJ_SK_SL_E_clISE_PxSF_SF_EESI_SY_SJ_SK_SL_EUlSY_E1_NS1_11comp_targetILNS1_3genE0ELNS1_11target_archE4294967295ELNS1_3gpuE0ELNS1_3repE0EEENS1_36merge_oddeven_config_static_selectorELNS0_4arch9wavefront6targetE0EEEvSK_.has_recursion, 0
	.set _ZN7rocprim17ROCPRIM_400000_NS6detail17trampoline_kernelINS0_14default_configENS1_38merge_sort_block_merge_config_selectorIxNS0_10empty_typeEEEZZNS1_27merge_sort_block_merge_implIS3_N6thrust23THRUST_200600_302600_NS6detail15normal_iteratorINS9_10device_ptrIxEEEEPS5_m9comp_mod3IxEEE10hipError_tT0_T1_T2_jT3_P12ihipStream_tbPNSt15iterator_traitsISJ_E10value_typeEPNSP_ISK_E10value_typeEPSL_NS1_7vsmem_tEENKUlT_SJ_SK_SL_E_clISE_PxSF_SF_EESI_SY_SJ_SK_SL_EUlSY_E1_NS1_11comp_targetILNS1_3genE0ELNS1_11target_archE4294967295ELNS1_3gpuE0ELNS1_3repE0EEENS1_36merge_oddeven_config_static_selectorELNS0_4arch9wavefront6targetE0EEEvSK_.has_indirect_call, 0
	.section	.AMDGPU.csdata,"",@progbits
; Kernel info:
; codeLenInByte = 0
; TotalNumSgprs: 0
; NumVgprs: 0
; ScratchSize: 0
; MemoryBound: 0
; FloatMode: 240
; IeeeMode: 1
; LDSByteSize: 0 bytes/workgroup (compile time only)
; SGPRBlocks: 0
; VGPRBlocks: 0
; NumSGPRsForWavesPerEU: 1
; NumVGPRsForWavesPerEU: 1
; Occupancy: 16
; WaveLimiterHint : 0
; COMPUTE_PGM_RSRC2:SCRATCH_EN: 0
; COMPUTE_PGM_RSRC2:USER_SGPR: 6
; COMPUTE_PGM_RSRC2:TRAP_HANDLER: 0
; COMPUTE_PGM_RSRC2:TGID_X_EN: 1
; COMPUTE_PGM_RSRC2:TGID_Y_EN: 0
; COMPUTE_PGM_RSRC2:TGID_Z_EN: 0
; COMPUTE_PGM_RSRC2:TIDIG_COMP_CNT: 0
	.section	.text._ZN7rocprim17ROCPRIM_400000_NS6detail17trampoline_kernelINS0_14default_configENS1_38merge_sort_block_merge_config_selectorIxNS0_10empty_typeEEEZZNS1_27merge_sort_block_merge_implIS3_N6thrust23THRUST_200600_302600_NS6detail15normal_iteratorINS9_10device_ptrIxEEEEPS5_m9comp_mod3IxEEE10hipError_tT0_T1_T2_jT3_P12ihipStream_tbPNSt15iterator_traitsISJ_E10value_typeEPNSP_ISK_E10value_typeEPSL_NS1_7vsmem_tEENKUlT_SJ_SK_SL_E_clISE_PxSF_SF_EESI_SY_SJ_SK_SL_EUlSY_E1_NS1_11comp_targetILNS1_3genE10ELNS1_11target_archE1201ELNS1_3gpuE5ELNS1_3repE0EEENS1_36merge_oddeven_config_static_selectorELNS0_4arch9wavefront6targetE0EEEvSK_,"axG",@progbits,_ZN7rocprim17ROCPRIM_400000_NS6detail17trampoline_kernelINS0_14default_configENS1_38merge_sort_block_merge_config_selectorIxNS0_10empty_typeEEEZZNS1_27merge_sort_block_merge_implIS3_N6thrust23THRUST_200600_302600_NS6detail15normal_iteratorINS9_10device_ptrIxEEEEPS5_m9comp_mod3IxEEE10hipError_tT0_T1_T2_jT3_P12ihipStream_tbPNSt15iterator_traitsISJ_E10value_typeEPNSP_ISK_E10value_typeEPSL_NS1_7vsmem_tEENKUlT_SJ_SK_SL_E_clISE_PxSF_SF_EESI_SY_SJ_SK_SL_EUlSY_E1_NS1_11comp_targetILNS1_3genE10ELNS1_11target_archE1201ELNS1_3gpuE5ELNS1_3repE0EEENS1_36merge_oddeven_config_static_selectorELNS0_4arch9wavefront6targetE0EEEvSK_,comdat
	.protected	_ZN7rocprim17ROCPRIM_400000_NS6detail17trampoline_kernelINS0_14default_configENS1_38merge_sort_block_merge_config_selectorIxNS0_10empty_typeEEEZZNS1_27merge_sort_block_merge_implIS3_N6thrust23THRUST_200600_302600_NS6detail15normal_iteratorINS9_10device_ptrIxEEEEPS5_m9comp_mod3IxEEE10hipError_tT0_T1_T2_jT3_P12ihipStream_tbPNSt15iterator_traitsISJ_E10value_typeEPNSP_ISK_E10value_typeEPSL_NS1_7vsmem_tEENKUlT_SJ_SK_SL_E_clISE_PxSF_SF_EESI_SY_SJ_SK_SL_EUlSY_E1_NS1_11comp_targetILNS1_3genE10ELNS1_11target_archE1201ELNS1_3gpuE5ELNS1_3repE0EEENS1_36merge_oddeven_config_static_selectorELNS0_4arch9wavefront6targetE0EEEvSK_ ; -- Begin function _ZN7rocprim17ROCPRIM_400000_NS6detail17trampoline_kernelINS0_14default_configENS1_38merge_sort_block_merge_config_selectorIxNS0_10empty_typeEEEZZNS1_27merge_sort_block_merge_implIS3_N6thrust23THRUST_200600_302600_NS6detail15normal_iteratorINS9_10device_ptrIxEEEEPS5_m9comp_mod3IxEEE10hipError_tT0_T1_T2_jT3_P12ihipStream_tbPNSt15iterator_traitsISJ_E10value_typeEPNSP_ISK_E10value_typeEPSL_NS1_7vsmem_tEENKUlT_SJ_SK_SL_E_clISE_PxSF_SF_EESI_SY_SJ_SK_SL_EUlSY_E1_NS1_11comp_targetILNS1_3genE10ELNS1_11target_archE1201ELNS1_3gpuE5ELNS1_3repE0EEENS1_36merge_oddeven_config_static_selectorELNS0_4arch9wavefront6targetE0EEEvSK_
	.globl	_ZN7rocprim17ROCPRIM_400000_NS6detail17trampoline_kernelINS0_14default_configENS1_38merge_sort_block_merge_config_selectorIxNS0_10empty_typeEEEZZNS1_27merge_sort_block_merge_implIS3_N6thrust23THRUST_200600_302600_NS6detail15normal_iteratorINS9_10device_ptrIxEEEEPS5_m9comp_mod3IxEEE10hipError_tT0_T1_T2_jT3_P12ihipStream_tbPNSt15iterator_traitsISJ_E10value_typeEPNSP_ISK_E10value_typeEPSL_NS1_7vsmem_tEENKUlT_SJ_SK_SL_E_clISE_PxSF_SF_EESI_SY_SJ_SK_SL_EUlSY_E1_NS1_11comp_targetILNS1_3genE10ELNS1_11target_archE1201ELNS1_3gpuE5ELNS1_3repE0EEENS1_36merge_oddeven_config_static_selectorELNS0_4arch9wavefront6targetE0EEEvSK_
	.p2align	8
	.type	_ZN7rocprim17ROCPRIM_400000_NS6detail17trampoline_kernelINS0_14default_configENS1_38merge_sort_block_merge_config_selectorIxNS0_10empty_typeEEEZZNS1_27merge_sort_block_merge_implIS3_N6thrust23THRUST_200600_302600_NS6detail15normal_iteratorINS9_10device_ptrIxEEEEPS5_m9comp_mod3IxEEE10hipError_tT0_T1_T2_jT3_P12ihipStream_tbPNSt15iterator_traitsISJ_E10value_typeEPNSP_ISK_E10value_typeEPSL_NS1_7vsmem_tEENKUlT_SJ_SK_SL_E_clISE_PxSF_SF_EESI_SY_SJ_SK_SL_EUlSY_E1_NS1_11comp_targetILNS1_3genE10ELNS1_11target_archE1201ELNS1_3gpuE5ELNS1_3repE0EEENS1_36merge_oddeven_config_static_selectorELNS0_4arch9wavefront6targetE0EEEvSK_,@function
_ZN7rocprim17ROCPRIM_400000_NS6detail17trampoline_kernelINS0_14default_configENS1_38merge_sort_block_merge_config_selectorIxNS0_10empty_typeEEEZZNS1_27merge_sort_block_merge_implIS3_N6thrust23THRUST_200600_302600_NS6detail15normal_iteratorINS9_10device_ptrIxEEEEPS5_m9comp_mod3IxEEE10hipError_tT0_T1_T2_jT3_P12ihipStream_tbPNSt15iterator_traitsISJ_E10value_typeEPNSP_ISK_E10value_typeEPSL_NS1_7vsmem_tEENKUlT_SJ_SK_SL_E_clISE_PxSF_SF_EESI_SY_SJ_SK_SL_EUlSY_E1_NS1_11comp_targetILNS1_3genE10ELNS1_11target_archE1201ELNS1_3gpuE5ELNS1_3repE0EEENS1_36merge_oddeven_config_static_selectorELNS0_4arch9wavefront6targetE0EEEvSK_: ; @_ZN7rocprim17ROCPRIM_400000_NS6detail17trampoline_kernelINS0_14default_configENS1_38merge_sort_block_merge_config_selectorIxNS0_10empty_typeEEEZZNS1_27merge_sort_block_merge_implIS3_N6thrust23THRUST_200600_302600_NS6detail15normal_iteratorINS9_10device_ptrIxEEEEPS5_m9comp_mod3IxEEE10hipError_tT0_T1_T2_jT3_P12ihipStream_tbPNSt15iterator_traitsISJ_E10value_typeEPNSP_ISK_E10value_typeEPSL_NS1_7vsmem_tEENKUlT_SJ_SK_SL_E_clISE_PxSF_SF_EESI_SY_SJ_SK_SL_EUlSY_E1_NS1_11comp_targetILNS1_3genE10ELNS1_11target_archE1201ELNS1_3gpuE5ELNS1_3repE0EEENS1_36merge_oddeven_config_static_selectorELNS0_4arch9wavefront6targetE0EEEvSK_
; %bb.0:
	.section	.rodata,"a",@progbits
	.p2align	6, 0x0
	.amdhsa_kernel _ZN7rocprim17ROCPRIM_400000_NS6detail17trampoline_kernelINS0_14default_configENS1_38merge_sort_block_merge_config_selectorIxNS0_10empty_typeEEEZZNS1_27merge_sort_block_merge_implIS3_N6thrust23THRUST_200600_302600_NS6detail15normal_iteratorINS9_10device_ptrIxEEEEPS5_m9comp_mod3IxEEE10hipError_tT0_T1_T2_jT3_P12ihipStream_tbPNSt15iterator_traitsISJ_E10value_typeEPNSP_ISK_E10value_typeEPSL_NS1_7vsmem_tEENKUlT_SJ_SK_SL_E_clISE_PxSF_SF_EESI_SY_SJ_SK_SL_EUlSY_E1_NS1_11comp_targetILNS1_3genE10ELNS1_11target_archE1201ELNS1_3gpuE5ELNS1_3repE0EEENS1_36merge_oddeven_config_static_selectorELNS0_4arch9wavefront6targetE0EEEvSK_
		.amdhsa_group_segment_fixed_size 0
		.amdhsa_private_segment_fixed_size 0
		.amdhsa_kernarg_size 56
		.amdhsa_user_sgpr_count 6
		.amdhsa_user_sgpr_private_segment_buffer 1
		.amdhsa_user_sgpr_dispatch_ptr 0
		.amdhsa_user_sgpr_queue_ptr 0
		.amdhsa_user_sgpr_kernarg_segment_ptr 1
		.amdhsa_user_sgpr_dispatch_id 0
		.amdhsa_user_sgpr_flat_scratch_init 0
		.amdhsa_user_sgpr_private_segment_size 0
		.amdhsa_wavefront_size32 1
		.amdhsa_uses_dynamic_stack 0
		.amdhsa_system_sgpr_private_segment_wavefront_offset 0
		.amdhsa_system_sgpr_workgroup_id_x 1
		.amdhsa_system_sgpr_workgroup_id_y 0
		.amdhsa_system_sgpr_workgroup_id_z 0
		.amdhsa_system_sgpr_workgroup_info 0
		.amdhsa_system_vgpr_workitem_id 0
		.amdhsa_next_free_vgpr 1
		.amdhsa_next_free_sgpr 1
		.amdhsa_reserve_vcc 0
		.amdhsa_reserve_flat_scratch 0
		.amdhsa_float_round_mode_32 0
		.amdhsa_float_round_mode_16_64 0
		.amdhsa_float_denorm_mode_32 3
		.amdhsa_float_denorm_mode_16_64 3
		.amdhsa_dx10_clamp 1
		.amdhsa_ieee_mode 1
		.amdhsa_fp16_overflow 0
		.amdhsa_workgroup_processor_mode 1
		.amdhsa_memory_ordered 1
		.amdhsa_forward_progress 1
		.amdhsa_shared_vgpr_count 0
		.amdhsa_exception_fp_ieee_invalid_op 0
		.amdhsa_exception_fp_denorm_src 0
		.amdhsa_exception_fp_ieee_div_zero 0
		.amdhsa_exception_fp_ieee_overflow 0
		.amdhsa_exception_fp_ieee_underflow 0
		.amdhsa_exception_fp_ieee_inexact 0
		.amdhsa_exception_int_div_zero 0
	.end_amdhsa_kernel
	.section	.text._ZN7rocprim17ROCPRIM_400000_NS6detail17trampoline_kernelINS0_14default_configENS1_38merge_sort_block_merge_config_selectorIxNS0_10empty_typeEEEZZNS1_27merge_sort_block_merge_implIS3_N6thrust23THRUST_200600_302600_NS6detail15normal_iteratorINS9_10device_ptrIxEEEEPS5_m9comp_mod3IxEEE10hipError_tT0_T1_T2_jT3_P12ihipStream_tbPNSt15iterator_traitsISJ_E10value_typeEPNSP_ISK_E10value_typeEPSL_NS1_7vsmem_tEENKUlT_SJ_SK_SL_E_clISE_PxSF_SF_EESI_SY_SJ_SK_SL_EUlSY_E1_NS1_11comp_targetILNS1_3genE10ELNS1_11target_archE1201ELNS1_3gpuE5ELNS1_3repE0EEENS1_36merge_oddeven_config_static_selectorELNS0_4arch9wavefront6targetE0EEEvSK_,"axG",@progbits,_ZN7rocprim17ROCPRIM_400000_NS6detail17trampoline_kernelINS0_14default_configENS1_38merge_sort_block_merge_config_selectorIxNS0_10empty_typeEEEZZNS1_27merge_sort_block_merge_implIS3_N6thrust23THRUST_200600_302600_NS6detail15normal_iteratorINS9_10device_ptrIxEEEEPS5_m9comp_mod3IxEEE10hipError_tT0_T1_T2_jT3_P12ihipStream_tbPNSt15iterator_traitsISJ_E10value_typeEPNSP_ISK_E10value_typeEPSL_NS1_7vsmem_tEENKUlT_SJ_SK_SL_E_clISE_PxSF_SF_EESI_SY_SJ_SK_SL_EUlSY_E1_NS1_11comp_targetILNS1_3genE10ELNS1_11target_archE1201ELNS1_3gpuE5ELNS1_3repE0EEENS1_36merge_oddeven_config_static_selectorELNS0_4arch9wavefront6targetE0EEEvSK_,comdat
.Lfunc_end972:
	.size	_ZN7rocprim17ROCPRIM_400000_NS6detail17trampoline_kernelINS0_14default_configENS1_38merge_sort_block_merge_config_selectorIxNS0_10empty_typeEEEZZNS1_27merge_sort_block_merge_implIS3_N6thrust23THRUST_200600_302600_NS6detail15normal_iteratorINS9_10device_ptrIxEEEEPS5_m9comp_mod3IxEEE10hipError_tT0_T1_T2_jT3_P12ihipStream_tbPNSt15iterator_traitsISJ_E10value_typeEPNSP_ISK_E10value_typeEPSL_NS1_7vsmem_tEENKUlT_SJ_SK_SL_E_clISE_PxSF_SF_EESI_SY_SJ_SK_SL_EUlSY_E1_NS1_11comp_targetILNS1_3genE10ELNS1_11target_archE1201ELNS1_3gpuE5ELNS1_3repE0EEENS1_36merge_oddeven_config_static_selectorELNS0_4arch9wavefront6targetE0EEEvSK_, .Lfunc_end972-_ZN7rocprim17ROCPRIM_400000_NS6detail17trampoline_kernelINS0_14default_configENS1_38merge_sort_block_merge_config_selectorIxNS0_10empty_typeEEEZZNS1_27merge_sort_block_merge_implIS3_N6thrust23THRUST_200600_302600_NS6detail15normal_iteratorINS9_10device_ptrIxEEEEPS5_m9comp_mod3IxEEE10hipError_tT0_T1_T2_jT3_P12ihipStream_tbPNSt15iterator_traitsISJ_E10value_typeEPNSP_ISK_E10value_typeEPSL_NS1_7vsmem_tEENKUlT_SJ_SK_SL_E_clISE_PxSF_SF_EESI_SY_SJ_SK_SL_EUlSY_E1_NS1_11comp_targetILNS1_3genE10ELNS1_11target_archE1201ELNS1_3gpuE5ELNS1_3repE0EEENS1_36merge_oddeven_config_static_selectorELNS0_4arch9wavefront6targetE0EEEvSK_
                                        ; -- End function
	.set _ZN7rocprim17ROCPRIM_400000_NS6detail17trampoline_kernelINS0_14default_configENS1_38merge_sort_block_merge_config_selectorIxNS0_10empty_typeEEEZZNS1_27merge_sort_block_merge_implIS3_N6thrust23THRUST_200600_302600_NS6detail15normal_iteratorINS9_10device_ptrIxEEEEPS5_m9comp_mod3IxEEE10hipError_tT0_T1_T2_jT3_P12ihipStream_tbPNSt15iterator_traitsISJ_E10value_typeEPNSP_ISK_E10value_typeEPSL_NS1_7vsmem_tEENKUlT_SJ_SK_SL_E_clISE_PxSF_SF_EESI_SY_SJ_SK_SL_EUlSY_E1_NS1_11comp_targetILNS1_3genE10ELNS1_11target_archE1201ELNS1_3gpuE5ELNS1_3repE0EEENS1_36merge_oddeven_config_static_selectorELNS0_4arch9wavefront6targetE0EEEvSK_.num_vgpr, 0
	.set _ZN7rocprim17ROCPRIM_400000_NS6detail17trampoline_kernelINS0_14default_configENS1_38merge_sort_block_merge_config_selectorIxNS0_10empty_typeEEEZZNS1_27merge_sort_block_merge_implIS3_N6thrust23THRUST_200600_302600_NS6detail15normal_iteratorINS9_10device_ptrIxEEEEPS5_m9comp_mod3IxEEE10hipError_tT0_T1_T2_jT3_P12ihipStream_tbPNSt15iterator_traitsISJ_E10value_typeEPNSP_ISK_E10value_typeEPSL_NS1_7vsmem_tEENKUlT_SJ_SK_SL_E_clISE_PxSF_SF_EESI_SY_SJ_SK_SL_EUlSY_E1_NS1_11comp_targetILNS1_3genE10ELNS1_11target_archE1201ELNS1_3gpuE5ELNS1_3repE0EEENS1_36merge_oddeven_config_static_selectorELNS0_4arch9wavefront6targetE0EEEvSK_.num_agpr, 0
	.set _ZN7rocprim17ROCPRIM_400000_NS6detail17trampoline_kernelINS0_14default_configENS1_38merge_sort_block_merge_config_selectorIxNS0_10empty_typeEEEZZNS1_27merge_sort_block_merge_implIS3_N6thrust23THRUST_200600_302600_NS6detail15normal_iteratorINS9_10device_ptrIxEEEEPS5_m9comp_mod3IxEEE10hipError_tT0_T1_T2_jT3_P12ihipStream_tbPNSt15iterator_traitsISJ_E10value_typeEPNSP_ISK_E10value_typeEPSL_NS1_7vsmem_tEENKUlT_SJ_SK_SL_E_clISE_PxSF_SF_EESI_SY_SJ_SK_SL_EUlSY_E1_NS1_11comp_targetILNS1_3genE10ELNS1_11target_archE1201ELNS1_3gpuE5ELNS1_3repE0EEENS1_36merge_oddeven_config_static_selectorELNS0_4arch9wavefront6targetE0EEEvSK_.numbered_sgpr, 0
	.set _ZN7rocprim17ROCPRIM_400000_NS6detail17trampoline_kernelINS0_14default_configENS1_38merge_sort_block_merge_config_selectorIxNS0_10empty_typeEEEZZNS1_27merge_sort_block_merge_implIS3_N6thrust23THRUST_200600_302600_NS6detail15normal_iteratorINS9_10device_ptrIxEEEEPS5_m9comp_mod3IxEEE10hipError_tT0_T1_T2_jT3_P12ihipStream_tbPNSt15iterator_traitsISJ_E10value_typeEPNSP_ISK_E10value_typeEPSL_NS1_7vsmem_tEENKUlT_SJ_SK_SL_E_clISE_PxSF_SF_EESI_SY_SJ_SK_SL_EUlSY_E1_NS1_11comp_targetILNS1_3genE10ELNS1_11target_archE1201ELNS1_3gpuE5ELNS1_3repE0EEENS1_36merge_oddeven_config_static_selectorELNS0_4arch9wavefront6targetE0EEEvSK_.num_named_barrier, 0
	.set _ZN7rocprim17ROCPRIM_400000_NS6detail17trampoline_kernelINS0_14default_configENS1_38merge_sort_block_merge_config_selectorIxNS0_10empty_typeEEEZZNS1_27merge_sort_block_merge_implIS3_N6thrust23THRUST_200600_302600_NS6detail15normal_iteratorINS9_10device_ptrIxEEEEPS5_m9comp_mod3IxEEE10hipError_tT0_T1_T2_jT3_P12ihipStream_tbPNSt15iterator_traitsISJ_E10value_typeEPNSP_ISK_E10value_typeEPSL_NS1_7vsmem_tEENKUlT_SJ_SK_SL_E_clISE_PxSF_SF_EESI_SY_SJ_SK_SL_EUlSY_E1_NS1_11comp_targetILNS1_3genE10ELNS1_11target_archE1201ELNS1_3gpuE5ELNS1_3repE0EEENS1_36merge_oddeven_config_static_selectorELNS0_4arch9wavefront6targetE0EEEvSK_.private_seg_size, 0
	.set _ZN7rocprim17ROCPRIM_400000_NS6detail17trampoline_kernelINS0_14default_configENS1_38merge_sort_block_merge_config_selectorIxNS0_10empty_typeEEEZZNS1_27merge_sort_block_merge_implIS3_N6thrust23THRUST_200600_302600_NS6detail15normal_iteratorINS9_10device_ptrIxEEEEPS5_m9comp_mod3IxEEE10hipError_tT0_T1_T2_jT3_P12ihipStream_tbPNSt15iterator_traitsISJ_E10value_typeEPNSP_ISK_E10value_typeEPSL_NS1_7vsmem_tEENKUlT_SJ_SK_SL_E_clISE_PxSF_SF_EESI_SY_SJ_SK_SL_EUlSY_E1_NS1_11comp_targetILNS1_3genE10ELNS1_11target_archE1201ELNS1_3gpuE5ELNS1_3repE0EEENS1_36merge_oddeven_config_static_selectorELNS0_4arch9wavefront6targetE0EEEvSK_.uses_vcc, 0
	.set _ZN7rocprim17ROCPRIM_400000_NS6detail17trampoline_kernelINS0_14default_configENS1_38merge_sort_block_merge_config_selectorIxNS0_10empty_typeEEEZZNS1_27merge_sort_block_merge_implIS3_N6thrust23THRUST_200600_302600_NS6detail15normal_iteratorINS9_10device_ptrIxEEEEPS5_m9comp_mod3IxEEE10hipError_tT0_T1_T2_jT3_P12ihipStream_tbPNSt15iterator_traitsISJ_E10value_typeEPNSP_ISK_E10value_typeEPSL_NS1_7vsmem_tEENKUlT_SJ_SK_SL_E_clISE_PxSF_SF_EESI_SY_SJ_SK_SL_EUlSY_E1_NS1_11comp_targetILNS1_3genE10ELNS1_11target_archE1201ELNS1_3gpuE5ELNS1_3repE0EEENS1_36merge_oddeven_config_static_selectorELNS0_4arch9wavefront6targetE0EEEvSK_.uses_flat_scratch, 0
	.set _ZN7rocprim17ROCPRIM_400000_NS6detail17trampoline_kernelINS0_14default_configENS1_38merge_sort_block_merge_config_selectorIxNS0_10empty_typeEEEZZNS1_27merge_sort_block_merge_implIS3_N6thrust23THRUST_200600_302600_NS6detail15normal_iteratorINS9_10device_ptrIxEEEEPS5_m9comp_mod3IxEEE10hipError_tT0_T1_T2_jT3_P12ihipStream_tbPNSt15iterator_traitsISJ_E10value_typeEPNSP_ISK_E10value_typeEPSL_NS1_7vsmem_tEENKUlT_SJ_SK_SL_E_clISE_PxSF_SF_EESI_SY_SJ_SK_SL_EUlSY_E1_NS1_11comp_targetILNS1_3genE10ELNS1_11target_archE1201ELNS1_3gpuE5ELNS1_3repE0EEENS1_36merge_oddeven_config_static_selectorELNS0_4arch9wavefront6targetE0EEEvSK_.has_dyn_sized_stack, 0
	.set _ZN7rocprim17ROCPRIM_400000_NS6detail17trampoline_kernelINS0_14default_configENS1_38merge_sort_block_merge_config_selectorIxNS0_10empty_typeEEEZZNS1_27merge_sort_block_merge_implIS3_N6thrust23THRUST_200600_302600_NS6detail15normal_iteratorINS9_10device_ptrIxEEEEPS5_m9comp_mod3IxEEE10hipError_tT0_T1_T2_jT3_P12ihipStream_tbPNSt15iterator_traitsISJ_E10value_typeEPNSP_ISK_E10value_typeEPSL_NS1_7vsmem_tEENKUlT_SJ_SK_SL_E_clISE_PxSF_SF_EESI_SY_SJ_SK_SL_EUlSY_E1_NS1_11comp_targetILNS1_3genE10ELNS1_11target_archE1201ELNS1_3gpuE5ELNS1_3repE0EEENS1_36merge_oddeven_config_static_selectorELNS0_4arch9wavefront6targetE0EEEvSK_.has_recursion, 0
	.set _ZN7rocprim17ROCPRIM_400000_NS6detail17trampoline_kernelINS0_14default_configENS1_38merge_sort_block_merge_config_selectorIxNS0_10empty_typeEEEZZNS1_27merge_sort_block_merge_implIS3_N6thrust23THRUST_200600_302600_NS6detail15normal_iteratorINS9_10device_ptrIxEEEEPS5_m9comp_mod3IxEEE10hipError_tT0_T1_T2_jT3_P12ihipStream_tbPNSt15iterator_traitsISJ_E10value_typeEPNSP_ISK_E10value_typeEPSL_NS1_7vsmem_tEENKUlT_SJ_SK_SL_E_clISE_PxSF_SF_EESI_SY_SJ_SK_SL_EUlSY_E1_NS1_11comp_targetILNS1_3genE10ELNS1_11target_archE1201ELNS1_3gpuE5ELNS1_3repE0EEENS1_36merge_oddeven_config_static_selectorELNS0_4arch9wavefront6targetE0EEEvSK_.has_indirect_call, 0
	.section	.AMDGPU.csdata,"",@progbits
; Kernel info:
; codeLenInByte = 0
; TotalNumSgprs: 0
; NumVgprs: 0
; ScratchSize: 0
; MemoryBound: 0
; FloatMode: 240
; IeeeMode: 1
; LDSByteSize: 0 bytes/workgroup (compile time only)
; SGPRBlocks: 0
; VGPRBlocks: 0
; NumSGPRsForWavesPerEU: 1
; NumVGPRsForWavesPerEU: 1
; Occupancy: 16
; WaveLimiterHint : 0
; COMPUTE_PGM_RSRC2:SCRATCH_EN: 0
; COMPUTE_PGM_RSRC2:USER_SGPR: 6
; COMPUTE_PGM_RSRC2:TRAP_HANDLER: 0
; COMPUTE_PGM_RSRC2:TGID_X_EN: 1
; COMPUTE_PGM_RSRC2:TGID_Y_EN: 0
; COMPUTE_PGM_RSRC2:TGID_Z_EN: 0
; COMPUTE_PGM_RSRC2:TIDIG_COMP_CNT: 0
	.section	.text._ZN7rocprim17ROCPRIM_400000_NS6detail17trampoline_kernelINS0_14default_configENS1_38merge_sort_block_merge_config_selectorIxNS0_10empty_typeEEEZZNS1_27merge_sort_block_merge_implIS3_N6thrust23THRUST_200600_302600_NS6detail15normal_iteratorINS9_10device_ptrIxEEEEPS5_m9comp_mod3IxEEE10hipError_tT0_T1_T2_jT3_P12ihipStream_tbPNSt15iterator_traitsISJ_E10value_typeEPNSP_ISK_E10value_typeEPSL_NS1_7vsmem_tEENKUlT_SJ_SK_SL_E_clISE_PxSF_SF_EESI_SY_SJ_SK_SL_EUlSY_E1_NS1_11comp_targetILNS1_3genE5ELNS1_11target_archE942ELNS1_3gpuE9ELNS1_3repE0EEENS1_36merge_oddeven_config_static_selectorELNS0_4arch9wavefront6targetE0EEEvSK_,"axG",@progbits,_ZN7rocprim17ROCPRIM_400000_NS6detail17trampoline_kernelINS0_14default_configENS1_38merge_sort_block_merge_config_selectorIxNS0_10empty_typeEEEZZNS1_27merge_sort_block_merge_implIS3_N6thrust23THRUST_200600_302600_NS6detail15normal_iteratorINS9_10device_ptrIxEEEEPS5_m9comp_mod3IxEEE10hipError_tT0_T1_T2_jT3_P12ihipStream_tbPNSt15iterator_traitsISJ_E10value_typeEPNSP_ISK_E10value_typeEPSL_NS1_7vsmem_tEENKUlT_SJ_SK_SL_E_clISE_PxSF_SF_EESI_SY_SJ_SK_SL_EUlSY_E1_NS1_11comp_targetILNS1_3genE5ELNS1_11target_archE942ELNS1_3gpuE9ELNS1_3repE0EEENS1_36merge_oddeven_config_static_selectorELNS0_4arch9wavefront6targetE0EEEvSK_,comdat
	.protected	_ZN7rocprim17ROCPRIM_400000_NS6detail17trampoline_kernelINS0_14default_configENS1_38merge_sort_block_merge_config_selectorIxNS0_10empty_typeEEEZZNS1_27merge_sort_block_merge_implIS3_N6thrust23THRUST_200600_302600_NS6detail15normal_iteratorINS9_10device_ptrIxEEEEPS5_m9comp_mod3IxEEE10hipError_tT0_T1_T2_jT3_P12ihipStream_tbPNSt15iterator_traitsISJ_E10value_typeEPNSP_ISK_E10value_typeEPSL_NS1_7vsmem_tEENKUlT_SJ_SK_SL_E_clISE_PxSF_SF_EESI_SY_SJ_SK_SL_EUlSY_E1_NS1_11comp_targetILNS1_3genE5ELNS1_11target_archE942ELNS1_3gpuE9ELNS1_3repE0EEENS1_36merge_oddeven_config_static_selectorELNS0_4arch9wavefront6targetE0EEEvSK_ ; -- Begin function _ZN7rocprim17ROCPRIM_400000_NS6detail17trampoline_kernelINS0_14default_configENS1_38merge_sort_block_merge_config_selectorIxNS0_10empty_typeEEEZZNS1_27merge_sort_block_merge_implIS3_N6thrust23THRUST_200600_302600_NS6detail15normal_iteratorINS9_10device_ptrIxEEEEPS5_m9comp_mod3IxEEE10hipError_tT0_T1_T2_jT3_P12ihipStream_tbPNSt15iterator_traitsISJ_E10value_typeEPNSP_ISK_E10value_typeEPSL_NS1_7vsmem_tEENKUlT_SJ_SK_SL_E_clISE_PxSF_SF_EESI_SY_SJ_SK_SL_EUlSY_E1_NS1_11comp_targetILNS1_3genE5ELNS1_11target_archE942ELNS1_3gpuE9ELNS1_3repE0EEENS1_36merge_oddeven_config_static_selectorELNS0_4arch9wavefront6targetE0EEEvSK_
	.globl	_ZN7rocprim17ROCPRIM_400000_NS6detail17trampoline_kernelINS0_14default_configENS1_38merge_sort_block_merge_config_selectorIxNS0_10empty_typeEEEZZNS1_27merge_sort_block_merge_implIS3_N6thrust23THRUST_200600_302600_NS6detail15normal_iteratorINS9_10device_ptrIxEEEEPS5_m9comp_mod3IxEEE10hipError_tT0_T1_T2_jT3_P12ihipStream_tbPNSt15iterator_traitsISJ_E10value_typeEPNSP_ISK_E10value_typeEPSL_NS1_7vsmem_tEENKUlT_SJ_SK_SL_E_clISE_PxSF_SF_EESI_SY_SJ_SK_SL_EUlSY_E1_NS1_11comp_targetILNS1_3genE5ELNS1_11target_archE942ELNS1_3gpuE9ELNS1_3repE0EEENS1_36merge_oddeven_config_static_selectorELNS0_4arch9wavefront6targetE0EEEvSK_
	.p2align	8
	.type	_ZN7rocprim17ROCPRIM_400000_NS6detail17trampoline_kernelINS0_14default_configENS1_38merge_sort_block_merge_config_selectorIxNS0_10empty_typeEEEZZNS1_27merge_sort_block_merge_implIS3_N6thrust23THRUST_200600_302600_NS6detail15normal_iteratorINS9_10device_ptrIxEEEEPS5_m9comp_mod3IxEEE10hipError_tT0_T1_T2_jT3_P12ihipStream_tbPNSt15iterator_traitsISJ_E10value_typeEPNSP_ISK_E10value_typeEPSL_NS1_7vsmem_tEENKUlT_SJ_SK_SL_E_clISE_PxSF_SF_EESI_SY_SJ_SK_SL_EUlSY_E1_NS1_11comp_targetILNS1_3genE5ELNS1_11target_archE942ELNS1_3gpuE9ELNS1_3repE0EEENS1_36merge_oddeven_config_static_selectorELNS0_4arch9wavefront6targetE0EEEvSK_,@function
_ZN7rocprim17ROCPRIM_400000_NS6detail17trampoline_kernelINS0_14default_configENS1_38merge_sort_block_merge_config_selectorIxNS0_10empty_typeEEEZZNS1_27merge_sort_block_merge_implIS3_N6thrust23THRUST_200600_302600_NS6detail15normal_iteratorINS9_10device_ptrIxEEEEPS5_m9comp_mod3IxEEE10hipError_tT0_T1_T2_jT3_P12ihipStream_tbPNSt15iterator_traitsISJ_E10value_typeEPNSP_ISK_E10value_typeEPSL_NS1_7vsmem_tEENKUlT_SJ_SK_SL_E_clISE_PxSF_SF_EESI_SY_SJ_SK_SL_EUlSY_E1_NS1_11comp_targetILNS1_3genE5ELNS1_11target_archE942ELNS1_3gpuE9ELNS1_3repE0EEENS1_36merge_oddeven_config_static_selectorELNS0_4arch9wavefront6targetE0EEEvSK_: ; @_ZN7rocprim17ROCPRIM_400000_NS6detail17trampoline_kernelINS0_14default_configENS1_38merge_sort_block_merge_config_selectorIxNS0_10empty_typeEEEZZNS1_27merge_sort_block_merge_implIS3_N6thrust23THRUST_200600_302600_NS6detail15normal_iteratorINS9_10device_ptrIxEEEEPS5_m9comp_mod3IxEEE10hipError_tT0_T1_T2_jT3_P12ihipStream_tbPNSt15iterator_traitsISJ_E10value_typeEPNSP_ISK_E10value_typeEPSL_NS1_7vsmem_tEENKUlT_SJ_SK_SL_E_clISE_PxSF_SF_EESI_SY_SJ_SK_SL_EUlSY_E1_NS1_11comp_targetILNS1_3genE5ELNS1_11target_archE942ELNS1_3gpuE9ELNS1_3repE0EEENS1_36merge_oddeven_config_static_selectorELNS0_4arch9wavefront6targetE0EEEvSK_
; %bb.0:
	.section	.rodata,"a",@progbits
	.p2align	6, 0x0
	.amdhsa_kernel _ZN7rocprim17ROCPRIM_400000_NS6detail17trampoline_kernelINS0_14default_configENS1_38merge_sort_block_merge_config_selectorIxNS0_10empty_typeEEEZZNS1_27merge_sort_block_merge_implIS3_N6thrust23THRUST_200600_302600_NS6detail15normal_iteratorINS9_10device_ptrIxEEEEPS5_m9comp_mod3IxEEE10hipError_tT0_T1_T2_jT3_P12ihipStream_tbPNSt15iterator_traitsISJ_E10value_typeEPNSP_ISK_E10value_typeEPSL_NS1_7vsmem_tEENKUlT_SJ_SK_SL_E_clISE_PxSF_SF_EESI_SY_SJ_SK_SL_EUlSY_E1_NS1_11comp_targetILNS1_3genE5ELNS1_11target_archE942ELNS1_3gpuE9ELNS1_3repE0EEENS1_36merge_oddeven_config_static_selectorELNS0_4arch9wavefront6targetE0EEEvSK_
		.amdhsa_group_segment_fixed_size 0
		.amdhsa_private_segment_fixed_size 0
		.amdhsa_kernarg_size 56
		.amdhsa_user_sgpr_count 6
		.amdhsa_user_sgpr_private_segment_buffer 1
		.amdhsa_user_sgpr_dispatch_ptr 0
		.amdhsa_user_sgpr_queue_ptr 0
		.amdhsa_user_sgpr_kernarg_segment_ptr 1
		.amdhsa_user_sgpr_dispatch_id 0
		.amdhsa_user_sgpr_flat_scratch_init 0
		.amdhsa_user_sgpr_private_segment_size 0
		.amdhsa_wavefront_size32 1
		.amdhsa_uses_dynamic_stack 0
		.amdhsa_system_sgpr_private_segment_wavefront_offset 0
		.amdhsa_system_sgpr_workgroup_id_x 1
		.amdhsa_system_sgpr_workgroup_id_y 0
		.amdhsa_system_sgpr_workgroup_id_z 0
		.amdhsa_system_sgpr_workgroup_info 0
		.amdhsa_system_vgpr_workitem_id 0
		.amdhsa_next_free_vgpr 1
		.amdhsa_next_free_sgpr 1
		.amdhsa_reserve_vcc 0
		.amdhsa_reserve_flat_scratch 0
		.amdhsa_float_round_mode_32 0
		.amdhsa_float_round_mode_16_64 0
		.amdhsa_float_denorm_mode_32 3
		.amdhsa_float_denorm_mode_16_64 3
		.amdhsa_dx10_clamp 1
		.amdhsa_ieee_mode 1
		.amdhsa_fp16_overflow 0
		.amdhsa_workgroup_processor_mode 1
		.amdhsa_memory_ordered 1
		.amdhsa_forward_progress 1
		.amdhsa_shared_vgpr_count 0
		.amdhsa_exception_fp_ieee_invalid_op 0
		.amdhsa_exception_fp_denorm_src 0
		.amdhsa_exception_fp_ieee_div_zero 0
		.amdhsa_exception_fp_ieee_overflow 0
		.amdhsa_exception_fp_ieee_underflow 0
		.amdhsa_exception_fp_ieee_inexact 0
		.amdhsa_exception_int_div_zero 0
	.end_amdhsa_kernel
	.section	.text._ZN7rocprim17ROCPRIM_400000_NS6detail17trampoline_kernelINS0_14default_configENS1_38merge_sort_block_merge_config_selectorIxNS0_10empty_typeEEEZZNS1_27merge_sort_block_merge_implIS3_N6thrust23THRUST_200600_302600_NS6detail15normal_iteratorINS9_10device_ptrIxEEEEPS5_m9comp_mod3IxEEE10hipError_tT0_T1_T2_jT3_P12ihipStream_tbPNSt15iterator_traitsISJ_E10value_typeEPNSP_ISK_E10value_typeEPSL_NS1_7vsmem_tEENKUlT_SJ_SK_SL_E_clISE_PxSF_SF_EESI_SY_SJ_SK_SL_EUlSY_E1_NS1_11comp_targetILNS1_3genE5ELNS1_11target_archE942ELNS1_3gpuE9ELNS1_3repE0EEENS1_36merge_oddeven_config_static_selectorELNS0_4arch9wavefront6targetE0EEEvSK_,"axG",@progbits,_ZN7rocprim17ROCPRIM_400000_NS6detail17trampoline_kernelINS0_14default_configENS1_38merge_sort_block_merge_config_selectorIxNS0_10empty_typeEEEZZNS1_27merge_sort_block_merge_implIS3_N6thrust23THRUST_200600_302600_NS6detail15normal_iteratorINS9_10device_ptrIxEEEEPS5_m9comp_mod3IxEEE10hipError_tT0_T1_T2_jT3_P12ihipStream_tbPNSt15iterator_traitsISJ_E10value_typeEPNSP_ISK_E10value_typeEPSL_NS1_7vsmem_tEENKUlT_SJ_SK_SL_E_clISE_PxSF_SF_EESI_SY_SJ_SK_SL_EUlSY_E1_NS1_11comp_targetILNS1_3genE5ELNS1_11target_archE942ELNS1_3gpuE9ELNS1_3repE0EEENS1_36merge_oddeven_config_static_selectorELNS0_4arch9wavefront6targetE0EEEvSK_,comdat
.Lfunc_end973:
	.size	_ZN7rocprim17ROCPRIM_400000_NS6detail17trampoline_kernelINS0_14default_configENS1_38merge_sort_block_merge_config_selectorIxNS0_10empty_typeEEEZZNS1_27merge_sort_block_merge_implIS3_N6thrust23THRUST_200600_302600_NS6detail15normal_iteratorINS9_10device_ptrIxEEEEPS5_m9comp_mod3IxEEE10hipError_tT0_T1_T2_jT3_P12ihipStream_tbPNSt15iterator_traitsISJ_E10value_typeEPNSP_ISK_E10value_typeEPSL_NS1_7vsmem_tEENKUlT_SJ_SK_SL_E_clISE_PxSF_SF_EESI_SY_SJ_SK_SL_EUlSY_E1_NS1_11comp_targetILNS1_3genE5ELNS1_11target_archE942ELNS1_3gpuE9ELNS1_3repE0EEENS1_36merge_oddeven_config_static_selectorELNS0_4arch9wavefront6targetE0EEEvSK_, .Lfunc_end973-_ZN7rocprim17ROCPRIM_400000_NS6detail17trampoline_kernelINS0_14default_configENS1_38merge_sort_block_merge_config_selectorIxNS0_10empty_typeEEEZZNS1_27merge_sort_block_merge_implIS3_N6thrust23THRUST_200600_302600_NS6detail15normal_iteratorINS9_10device_ptrIxEEEEPS5_m9comp_mod3IxEEE10hipError_tT0_T1_T2_jT3_P12ihipStream_tbPNSt15iterator_traitsISJ_E10value_typeEPNSP_ISK_E10value_typeEPSL_NS1_7vsmem_tEENKUlT_SJ_SK_SL_E_clISE_PxSF_SF_EESI_SY_SJ_SK_SL_EUlSY_E1_NS1_11comp_targetILNS1_3genE5ELNS1_11target_archE942ELNS1_3gpuE9ELNS1_3repE0EEENS1_36merge_oddeven_config_static_selectorELNS0_4arch9wavefront6targetE0EEEvSK_
                                        ; -- End function
	.set _ZN7rocprim17ROCPRIM_400000_NS6detail17trampoline_kernelINS0_14default_configENS1_38merge_sort_block_merge_config_selectorIxNS0_10empty_typeEEEZZNS1_27merge_sort_block_merge_implIS3_N6thrust23THRUST_200600_302600_NS6detail15normal_iteratorINS9_10device_ptrIxEEEEPS5_m9comp_mod3IxEEE10hipError_tT0_T1_T2_jT3_P12ihipStream_tbPNSt15iterator_traitsISJ_E10value_typeEPNSP_ISK_E10value_typeEPSL_NS1_7vsmem_tEENKUlT_SJ_SK_SL_E_clISE_PxSF_SF_EESI_SY_SJ_SK_SL_EUlSY_E1_NS1_11comp_targetILNS1_3genE5ELNS1_11target_archE942ELNS1_3gpuE9ELNS1_3repE0EEENS1_36merge_oddeven_config_static_selectorELNS0_4arch9wavefront6targetE0EEEvSK_.num_vgpr, 0
	.set _ZN7rocprim17ROCPRIM_400000_NS6detail17trampoline_kernelINS0_14default_configENS1_38merge_sort_block_merge_config_selectorIxNS0_10empty_typeEEEZZNS1_27merge_sort_block_merge_implIS3_N6thrust23THRUST_200600_302600_NS6detail15normal_iteratorINS9_10device_ptrIxEEEEPS5_m9comp_mod3IxEEE10hipError_tT0_T1_T2_jT3_P12ihipStream_tbPNSt15iterator_traitsISJ_E10value_typeEPNSP_ISK_E10value_typeEPSL_NS1_7vsmem_tEENKUlT_SJ_SK_SL_E_clISE_PxSF_SF_EESI_SY_SJ_SK_SL_EUlSY_E1_NS1_11comp_targetILNS1_3genE5ELNS1_11target_archE942ELNS1_3gpuE9ELNS1_3repE0EEENS1_36merge_oddeven_config_static_selectorELNS0_4arch9wavefront6targetE0EEEvSK_.num_agpr, 0
	.set _ZN7rocprim17ROCPRIM_400000_NS6detail17trampoline_kernelINS0_14default_configENS1_38merge_sort_block_merge_config_selectorIxNS0_10empty_typeEEEZZNS1_27merge_sort_block_merge_implIS3_N6thrust23THRUST_200600_302600_NS6detail15normal_iteratorINS9_10device_ptrIxEEEEPS5_m9comp_mod3IxEEE10hipError_tT0_T1_T2_jT3_P12ihipStream_tbPNSt15iterator_traitsISJ_E10value_typeEPNSP_ISK_E10value_typeEPSL_NS1_7vsmem_tEENKUlT_SJ_SK_SL_E_clISE_PxSF_SF_EESI_SY_SJ_SK_SL_EUlSY_E1_NS1_11comp_targetILNS1_3genE5ELNS1_11target_archE942ELNS1_3gpuE9ELNS1_3repE0EEENS1_36merge_oddeven_config_static_selectorELNS0_4arch9wavefront6targetE0EEEvSK_.numbered_sgpr, 0
	.set _ZN7rocprim17ROCPRIM_400000_NS6detail17trampoline_kernelINS0_14default_configENS1_38merge_sort_block_merge_config_selectorIxNS0_10empty_typeEEEZZNS1_27merge_sort_block_merge_implIS3_N6thrust23THRUST_200600_302600_NS6detail15normal_iteratorINS9_10device_ptrIxEEEEPS5_m9comp_mod3IxEEE10hipError_tT0_T1_T2_jT3_P12ihipStream_tbPNSt15iterator_traitsISJ_E10value_typeEPNSP_ISK_E10value_typeEPSL_NS1_7vsmem_tEENKUlT_SJ_SK_SL_E_clISE_PxSF_SF_EESI_SY_SJ_SK_SL_EUlSY_E1_NS1_11comp_targetILNS1_3genE5ELNS1_11target_archE942ELNS1_3gpuE9ELNS1_3repE0EEENS1_36merge_oddeven_config_static_selectorELNS0_4arch9wavefront6targetE0EEEvSK_.num_named_barrier, 0
	.set _ZN7rocprim17ROCPRIM_400000_NS6detail17trampoline_kernelINS0_14default_configENS1_38merge_sort_block_merge_config_selectorIxNS0_10empty_typeEEEZZNS1_27merge_sort_block_merge_implIS3_N6thrust23THRUST_200600_302600_NS6detail15normal_iteratorINS9_10device_ptrIxEEEEPS5_m9comp_mod3IxEEE10hipError_tT0_T1_T2_jT3_P12ihipStream_tbPNSt15iterator_traitsISJ_E10value_typeEPNSP_ISK_E10value_typeEPSL_NS1_7vsmem_tEENKUlT_SJ_SK_SL_E_clISE_PxSF_SF_EESI_SY_SJ_SK_SL_EUlSY_E1_NS1_11comp_targetILNS1_3genE5ELNS1_11target_archE942ELNS1_3gpuE9ELNS1_3repE0EEENS1_36merge_oddeven_config_static_selectorELNS0_4arch9wavefront6targetE0EEEvSK_.private_seg_size, 0
	.set _ZN7rocprim17ROCPRIM_400000_NS6detail17trampoline_kernelINS0_14default_configENS1_38merge_sort_block_merge_config_selectorIxNS0_10empty_typeEEEZZNS1_27merge_sort_block_merge_implIS3_N6thrust23THRUST_200600_302600_NS6detail15normal_iteratorINS9_10device_ptrIxEEEEPS5_m9comp_mod3IxEEE10hipError_tT0_T1_T2_jT3_P12ihipStream_tbPNSt15iterator_traitsISJ_E10value_typeEPNSP_ISK_E10value_typeEPSL_NS1_7vsmem_tEENKUlT_SJ_SK_SL_E_clISE_PxSF_SF_EESI_SY_SJ_SK_SL_EUlSY_E1_NS1_11comp_targetILNS1_3genE5ELNS1_11target_archE942ELNS1_3gpuE9ELNS1_3repE0EEENS1_36merge_oddeven_config_static_selectorELNS0_4arch9wavefront6targetE0EEEvSK_.uses_vcc, 0
	.set _ZN7rocprim17ROCPRIM_400000_NS6detail17trampoline_kernelINS0_14default_configENS1_38merge_sort_block_merge_config_selectorIxNS0_10empty_typeEEEZZNS1_27merge_sort_block_merge_implIS3_N6thrust23THRUST_200600_302600_NS6detail15normal_iteratorINS9_10device_ptrIxEEEEPS5_m9comp_mod3IxEEE10hipError_tT0_T1_T2_jT3_P12ihipStream_tbPNSt15iterator_traitsISJ_E10value_typeEPNSP_ISK_E10value_typeEPSL_NS1_7vsmem_tEENKUlT_SJ_SK_SL_E_clISE_PxSF_SF_EESI_SY_SJ_SK_SL_EUlSY_E1_NS1_11comp_targetILNS1_3genE5ELNS1_11target_archE942ELNS1_3gpuE9ELNS1_3repE0EEENS1_36merge_oddeven_config_static_selectorELNS0_4arch9wavefront6targetE0EEEvSK_.uses_flat_scratch, 0
	.set _ZN7rocprim17ROCPRIM_400000_NS6detail17trampoline_kernelINS0_14default_configENS1_38merge_sort_block_merge_config_selectorIxNS0_10empty_typeEEEZZNS1_27merge_sort_block_merge_implIS3_N6thrust23THRUST_200600_302600_NS6detail15normal_iteratorINS9_10device_ptrIxEEEEPS5_m9comp_mod3IxEEE10hipError_tT0_T1_T2_jT3_P12ihipStream_tbPNSt15iterator_traitsISJ_E10value_typeEPNSP_ISK_E10value_typeEPSL_NS1_7vsmem_tEENKUlT_SJ_SK_SL_E_clISE_PxSF_SF_EESI_SY_SJ_SK_SL_EUlSY_E1_NS1_11comp_targetILNS1_3genE5ELNS1_11target_archE942ELNS1_3gpuE9ELNS1_3repE0EEENS1_36merge_oddeven_config_static_selectorELNS0_4arch9wavefront6targetE0EEEvSK_.has_dyn_sized_stack, 0
	.set _ZN7rocprim17ROCPRIM_400000_NS6detail17trampoline_kernelINS0_14default_configENS1_38merge_sort_block_merge_config_selectorIxNS0_10empty_typeEEEZZNS1_27merge_sort_block_merge_implIS3_N6thrust23THRUST_200600_302600_NS6detail15normal_iteratorINS9_10device_ptrIxEEEEPS5_m9comp_mod3IxEEE10hipError_tT0_T1_T2_jT3_P12ihipStream_tbPNSt15iterator_traitsISJ_E10value_typeEPNSP_ISK_E10value_typeEPSL_NS1_7vsmem_tEENKUlT_SJ_SK_SL_E_clISE_PxSF_SF_EESI_SY_SJ_SK_SL_EUlSY_E1_NS1_11comp_targetILNS1_3genE5ELNS1_11target_archE942ELNS1_3gpuE9ELNS1_3repE0EEENS1_36merge_oddeven_config_static_selectorELNS0_4arch9wavefront6targetE0EEEvSK_.has_recursion, 0
	.set _ZN7rocprim17ROCPRIM_400000_NS6detail17trampoline_kernelINS0_14default_configENS1_38merge_sort_block_merge_config_selectorIxNS0_10empty_typeEEEZZNS1_27merge_sort_block_merge_implIS3_N6thrust23THRUST_200600_302600_NS6detail15normal_iteratorINS9_10device_ptrIxEEEEPS5_m9comp_mod3IxEEE10hipError_tT0_T1_T2_jT3_P12ihipStream_tbPNSt15iterator_traitsISJ_E10value_typeEPNSP_ISK_E10value_typeEPSL_NS1_7vsmem_tEENKUlT_SJ_SK_SL_E_clISE_PxSF_SF_EESI_SY_SJ_SK_SL_EUlSY_E1_NS1_11comp_targetILNS1_3genE5ELNS1_11target_archE942ELNS1_3gpuE9ELNS1_3repE0EEENS1_36merge_oddeven_config_static_selectorELNS0_4arch9wavefront6targetE0EEEvSK_.has_indirect_call, 0
	.section	.AMDGPU.csdata,"",@progbits
; Kernel info:
; codeLenInByte = 0
; TotalNumSgprs: 0
; NumVgprs: 0
; ScratchSize: 0
; MemoryBound: 0
; FloatMode: 240
; IeeeMode: 1
; LDSByteSize: 0 bytes/workgroup (compile time only)
; SGPRBlocks: 0
; VGPRBlocks: 0
; NumSGPRsForWavesPerEU: 1
; NumVGPRsForWavesPerEU: 1
; Occupancy: 16
; WaveLimiterHint : 0
; COMPUTE_PGM_RSRC2:SCRATCH_EN: 0
; COMPUTE_PGM_RSRC2:USER_SGPR: 6
; COMPUTE_PGM_RSRC2:TRAP_HANDLER: 0
; COMPUTE_PGM_RSRC2:TGID_X_EN: 1
; COMPUTE_PGM_RSRC2:TGID_Y_EN: 0
; COMPUTE_PGM_RSRC2:TGID_Z_EN: 0
; COMPUTE_PGM_RSRC2:TIDIG_COMP_CNT: 0
	.section	.text._ZN7rocprim17ROCPRIM_400000_NS6detail17trampoline_kernelINS0_14default_configENS1_38merge_sort_block_merge_config_selectorIxNS0_10empty_typeEEEZZNS1_27merge_sort_block_merge_implIS3_N6thrust23THRUST_200600_302600_NS6detail15normal_iteratorINS9_10device_ptrIxEEEEPS5_m9comp_mod3IxEEE10hipError_tT0_T1_T2_jT3_P12ihipStream_tbPNSt15iterator_traitsISJ_E10value_typeEPNSP_ISK_E10value_typeEPSL_NS1_7vsmem_tEENKUlT_SJ_SK_SL_E_clISE_PxSF_SF_EESI_SY_SJ_SK_SL_EUlSY_E1_NS1_11comp_targetILNS1_3genE4ELNS1_11target_archE910ELNS1_3gpuE8ELNS1_3repE0EEENS1_36merge_oddeven_config_static_selectorELNS0_4arch9wavefront6targetE0EEEvSK_,"axG",@progbits,_ZN7rocprim17ROCPRIM_400000_NS6detail17trampoline_kernelINS0_14default_configENS1_38merge_sort_block_merge_config_selectorIxNS0_10empty_typeEEEZZNS1_27merge_sort_block_merge_implIS3_N6thrust23THRUST_200600_302600_NS6detail15normal_iteratorINS9_10device_ptrIxEEEEPS5_m9comp_mod3IxEEE10hipError_tT0_T1_T2_jT3_P12ihipStream_tbPNSt15iterator_traitsISJ_E10value_typeEPNSP_ISK_E10value_typeEPSL_NS1_7vsmem_tEENKUlT_SJ_SK_SL_E_clISE_PxSF_SF_EESI_SY_SJ_SK_SL_EUlSY_E1_NS1_11comp_targetILNS1_3genE4ELNS1_11target_archE910ELNS1_3gpuE8ELNS1_3repE0EEENS1_36merge_oddeven_config_static_selectorELNS0_4arch9wavefront6targetE0EEEvSK_,comdat
	.protected	_ZN7rocprim17ROCPRIM_400000_NS6detail17trampoline_kernelINS0_14default_configENS1_38merge_sort_block_merge_config_selectorIxNS0_10empty_typeEEEZZNS1_27merge_sort_block_merge_implIS3_N6thrust23THRUST_200600_302600_NS6detail15normal_iteratorINS9_10device_ptrIxEEEEPS5_m9comp_mod3IxEEE10hipError_tT0_T1_T2_jT3_P12ihipStream_tbPNSt15iterator_traitsISJ_E10value_typeEPNSP_ISK_E10value_typeEPSL_NS1_7vsmem_tEENKUlT_SJ_SK_SL_E_clISE_PxSF_SF_EESI_SY_SJ_SK_SL_EUlSY_E1_NS1_11comp_targetILNS1_3genE4ELNS1_11target_archE910ELNS1_3gpuE8ELNS1_3repE0EEENS1_36merge_oddeven_config_static_selectorELNS0_4arch9wavefront6targetE0EEEvSK_ ; -- Begin function _ZN7rocprim17ROCPRIM_400000_NS6detail17trampoline_kernelINS0_14default_configENS1_38merge_sort_block_merge_config_selectorIxNS0_10empty_typeEEEZZNS1_27merge_sort_block_merge_implIS3_N6thrust23THRUST_200600_302600_NS6detail15normal_iteratorINS9_10device_ptrIxEEEEPS5_m9comp_mod3IxEEE10hipError_tT0_T1_T2_jT3_P12ihipStream_tbPNSt15iterator_traitsISJ_E10value_typeEPNSP_ISK_E10value_typeEPSL_NS1_7vsmem_tEENKUlT_SJ_SK_SL_E_clISE_PxSF_SF_EESI_SY_SJ_SK_SL_EUlSY_E1_NS1_11comp_targetILNS1_3genE4ELNS1_11target_archE910ELNS1_3gpuE8ELNS1_3repE0EEENS1_36merge_oddeven_config_static_selectorELNS0_4arch9wavefront6targetE0EEEvSK_
	.globl	_ZN7rocprim17ROCPRIM_400000_NS6detail17trampoline_kernelINS0_14default_configENS1_38merge_sort_block_merge_config_selectorIxNS0_10empty_typeEEEZZNS1_27merge_sort_block_merge_implIS3_N6thrust23THRUST_200600_302600_NS6detail15normal_iteratorINS9_10device_ptrIxEEEEPS5_m9comp_mod3IxEEE10hipError_tT0_T1_T2_jT3_P12ihipStream_tbPNSt15iterator_traitsISJ_E10value_typeEPNSP_ISK_E10value_typeEPSL_NS1_7vsmem_tEENKUlT_SJ_SK_SL_E_clISE_PxSF_SF_EESI_SY_SJ_SK_SL_EUlSY_E1_NS1_11comp_targetILNS1_3genE4ELNS1_11target_archE910ELNS1_3gpuE8ELNS1_3repE0EEENS1_36merge_oddeven_config_static_selectorELNS0_4arch9wavefront6targetE0EEEvSK_
	.p2align	8
	.type	_ZN7rocprim17ROCPRIM_400000_NS6detail17trampoline_kernelINS0_14default_configENS1_38merge_sort_block_merge_config_selectorIxNS0_10empty_typeEEEZZNS1_27merge_sort_block_merge_implIS3_N6thrust23THRUST_200600_302600_NS6detail15normal_iteratorINS9_10device_ptrIxEEEEPS5_m9comp_mod3IxEEE10hipError_tT0_T1_T2_jT3_P12ihipStream_tbPNSt15iterator_traitsISJ_E10value_typeEPNSP_ISK_E10value_typeEPSL_NS1_7vsmem_tEENKUlT_SJ_SK_SL_E_clISE_PxSF_SF_EESI_SY_SJ_SK_SL_EUlSY_E1_NS1_11comp_targetILNS1_3genE4ELNS1_11target_archE910ELNS1_3gpuE8ELNS1_3repE0EEENS1_36merge_oddeven_config_static_selectorELNS0_4arch9wavefront6targetE0EEEvSK_,@function
_ZN7rocprim17ROCPRIM_400000_NS6detail17trampoline_kernelINS0_14default_configENS1_38merge_sort_block_merge_config_selectorIxNS0_10empty_typeEEEZZNS1_27merge_sort_block_merge_implIS3_N6thrust23THRUST_200600_302600_NS6detail15normal_iteratorINS9_10device_ptrIxEEEEPS5_m9comp_mod3IxEEE10hipError_tT0_T1_T2_jT3_P12ihipStream_tbPNSt15iterator_traitsISJ_E10value_typeEPNSP_ISK_E10value_typeEPSL_NS1_7vsmem_tEENKUlT_SJ_SK_SL_E_clISE_PxSF_SF_EESI_SY_SJ_SK_SL_EUlSY_E1_NS1_11comp_targetILNS1_3genE4ELNS1_11target_archE910ELNS1_3gpuE8ELNS1_3repE0EEENS1_36merge_oddeven_config_static_selectorELNS0_4arch9wavefront6targetE0EEEvSK_: ; @_ZN7rocprim17ROCPRIM_400000_NS6detail17trampoline_kernelINS0_14default_configENS1_38merge_sort_block_merge_config_selectorIxNS0_10empty_typeEEEZZNS1_27merge_sort_block_merge_implIS3_N6thrust23THRUST_200600_302600_NS6detail15normal_iteratorINS9_10device_ptrIxEEEEPS5_m9comp_mod3IxEEE10hipError_tT0_T1_T2_jT3_P12ihipStream_tbPNSt15iterator_traitsISJ_E10value_typeEPNSP_ISK_E10value_typeEPSL_NS1_7vsmem_tEENKUlT_SJ_SK_SL_E_clISE_PxSF_SF_EESI_SY_SJ_SK_SL_EUlSY_E1_NS1_11comp_targetILNS1_3genE4ELNS1_11target_archE910ELNS1_3gpuE8ELNS1_3repE0EEENS1_36merge_oddeven_config_static_selectorELNS0_4arch9wavefront6targetE0EEEvSK_
; %bb.0:
	.section	.rodata,"a",@progbits
	.p2align	6, 0x0
	.amdhsa_kernel _ZN7rocprim17ROCPRIM_400000_NS6detail17trampoline_kernelINS0_14default_configENS1_38merge_sort_block_merge_config_selectorIxNS0_10empty_typeEEEZZNS1_27merge_sort_block_merge_implIS3_N6thrust23THRUST_200600_302600_NS6detail15normal_iteratorINS9_10device_ptrIxEEEEPS5_m9comp_mod3IxEEE10hipError_tT0_T1_T2_jT3_P12ihipStream_tbPNSt15iterator_traitsISJ_E10value_typeEPNSP_ISK_E10value_typeEPSL_NS1_7vsmem_tEENKUlT_SJ_SK_SL_E_clISE_PxSF_SF_EESI_SY_SJ_SK_SL_EUlSY_E1_NS1_11comp_targetILNS1_3genE4ELNS1_11target_archE910ELNS1_3gpuE8ELNS1_3repE0EEENS1_36merge_oddeven_config_static_selectorELNS0_4arch9wavefront6targetE0EEEvSK_
		.amdhsa_group_segment_fixed_size 0
		.amdhsa_private_segment_fixed_size 0
		.amdhsa_kernarg_size 56
		.amdhsa_user_sgpr_count 6
		.amdhsa_user_sgpr_private_segment_buffer 1
		.amdhsa_user_sgpr_dispatch_ptr 0
		.amdhsa_user_sgpr_queue_ptr 0
		.amdhsa_user_sgpr_kernarg_segment_ptr 1
		.amdhsa_user_sgpr_dispatch_id 0
		.amdhsa_user_sgpr_flat_scratch_init 0
		.amdhsa_user_sgpr_private_segment_size 0
		.amdhsa_wavefront_size32 1
		.amdhsa_uses_dynamic_stack 0
		.amdhsa_system_sgpr_private_segment_wavefront_offset 0
		.amdhsa_system_sgpr_workgroup_id_x 1
		.amdhsa_system_sgpr_workgroup_id_y 0
		.amdhsa_system_sgpr_workgroup_id_z 0
		.amdhsa_system_sgpr_workgroup_info 0
		.amdhsa_system_vgpr_workitem_id 0
		.amdhsa_next_free_vgpr 1
		.amdhsa_next_free_sgpr 1
		.amdhsa_reserve_vcc 0
		.amdhsa_reserve_flat_scratch 0
		.amdhsa_float_round_mode_32 0
		.amdhsa_float_round_mode_16_64 0
		.amdhsa_float_denorm_mode_32 3
		.amdhsa_float_denorm_mode_16_64 3
		.amdhsa_dx10_clamp 1
		.amdhsa_ieee_mode 1
		.amdhsa_fp16_overflow 0
		.amdhsa_workgroup_processor_mode 1
		.amdhsa_memory_ordered 1
		.amdhsa_forward_progress 1
		.amdhsa_shared_vgpr_count 0
		.amdhsa_exception_fp_ieee_invalid_op 0
		.amdhsa_exception_fp_denorm_src 0
		.amdhsa_exception_fp_ieee_div_zero 0
		.amdhsa_exception_fp_ieee_overflow 0
		.amdhsa_exception_fp_ieee_underflow 0
		.amdhsa_exception_fp_ieee_inexact 0
		.amdhsa_exception_int_div_zero 0
	.end_amdhsa_kernel
	.section	.text._ZN7rocprim17ROCPRIM_400000_NS6detail17trampoline_kernelINS0_14default_configENS1_38merge_sort_block_merge_config_selectorIxNS0_10empty_typeEEEZZNS1_27merge_sort_block_merge_implIS3_N6thrust23THRUST_200600_302600_NS6detail15normal_iteratorINS9_10device_ptrIxEEEEPS5_m9comp_mod3IxEEE10hipError_tT0_T1_T2_jT3_P12ihipStream_tbPNSt15iterator_traitsISJ_E10value_typeEPNSP_ISK_E10value_typeEPSL_NS1_7vsmem_tEENKUlT_SJ_SK_SL_E_clISE_PxSF_SF_EESI_SY_SJ_SK_SL_EUlSY_E1_NS1_11comp_targetILNS1_3genE4ELNS1_11target_archE910ELNS1_3gpuE8ELNS1_3repE0EEENS1_36merge_oddeven_config_static_selectorELNS0_4arch9wavefront6targetE0EEEvSK_,"axG",@progbits,_ZN7rocprim17ROCPRIM_400000_NS6detail17trampoline_kernelINS0_14default_configENS1_38merge_sort_block_merge_config_selectorIxNS0_10empty_typeEEEZZNS1_27merge_sort_block_merge_implIS3_N6thrust23THRUST_200600_302600_NS6detail15normal_iteratorINS9_10device_ptrIxEEEEPS5_m9comp_mod3IxEEE10hipError_tT0_T1_T2_jT3_P12ihipStream_tbPNSt15iterator_traitsISJ_E10value_typeEPNSP_ISK_E10value_typeEPSL_NS1_7vsmem_tEENKUlT_SJ_SK_SL_E_clISE_PxSF_SF_EESI_SY_SJ_SK_SL_EUlSY_E1_NS1_11comp_targetILNS1_3genE4ELNS1_11target_archE910ELNS1_3gpuE8ELNS1_3repE0EEENS1_36merge_oddeven_config_static_selectorELNS0_4arch9wavefront6targetE0EEEvSK_,comdat
.Lfunc_end974:
	.size	_ZN7rocprim17ROCPRIM_400000_NS6detail17trampoline_kernelINS0_14default_configENS1_38merge_sort_block_merge_config_selectorIxNS0_10empty_typeEEEZZNS1_27merge_sort_block_merge_implIS3_N6thrust23THRUST_200600_302600_NS6detail15normal_iteratorINS9_10device_ptrIxEEEEPS5_m9comp_mod3IxEEE10hipError_tT0_T1_T2_jT3_P12ihipStream_tbPNSt15iterator_traitsISJ_E10value_typeEPNSP_ISK_E10value_typeEPSL_NS1_7vsmem_tEENKUlT_SJ_SK_SL_E_clISE_PxSF_SF_EESI_SY_SJ_SK_SL_EUlSY_E1_NS1_11comp_targetILNS1_3genE4ELNS1_11target_archE910ELNS1_3gpuE8ELNS1_3repE0EEENS1_36merge_oddeven_config_static_selectorELNS0_4arch9wavefront6targetE0EEEvSK_, .Lfunc_end974-_ZN7rocprim17ROCPRIM_400000_NS6detail17trampoline_kernelINS0_14default_configENS1_38merge_sort_block_merge_config_selectorIxNS0_10empty_typeEEEZZNS1_27merge_sort_block_merge_implIS3_N6thrust23THRUST_200600_302600_NS6detail15normal_iteratorINS9_10device_ptrIxEEEEPS5_m9comp_mod3IxEEE10hipError_tT0_T1_T2_jT3_P12ihipStream_tbPNSt15iterator_traitsISJ_E10value_typeEPNSP_ISK_E10value_typeEPSL_NS1_7vsmem_tEENKUlT_SJ_SK_SL_E_clISE_PxSF_SF_EESI_SY_SJ_SK_SL_EUlSY_E1_NS1_11comp_targetILNS1_3genE4ELNS1_11target_archE910ELNS1_3gpuE8ELNS1_3repE0EEENS1_36merge_oddeven_config_static_selectorELNS0_4arch9wavefront6targetE0EEEvSK_
                                        ; -- End function
	.set _ZN7rocprim17ROCPRIM_400000_NS6detail17trampoline_kernelINS0_14default_configENS1_38merge_sort_block_merge_config_selectorIxNS0_10empty_typeEEEZZNS1_27merge_sort_block_merge_implIS3_N6thrust23THRUST_200600_302600_NS6detail15normal_iteratorINS9_10device_ptrIxEEEEPS5_m9comp_mod3IxEEE10hipError_tT0_T1_T2_jT3_P12ihipStream_tbPNSt15iterator_traitsISJ_E10value_typeEPNSP_ISK_E10value_typeEPSL_NS1_7vsmem_tEENKUlT_SJ_SK_SL_E_clISE_PxSF_SF_EESI_SY_SJ_SK_SL_EUlSY_E1_NS1_11comp_targetILNS1_3genE4ELNS1_11target_archE910ELNS1_3gpuE8ELNS1_3repE0EEENS1_36merge_oddeven_config_static_selectorELNS0_4arch9wavefront6targetE0EEEvSK_.num_vgpr, 0
	.set _ZN7rocprim17ROCPRIM_400000_NS6detail17trampoline_kernelINS0_14default_configENS1_38merge_sort_block_merge_config_selectorIxNS0_10empty_typeEEEZZNS1_27merge_sort_block_merge_implIS3_N6thrust23THRUST_200600_302600_NS6detail15normal_iteratorINS9_10device_ptrIxEEEEPS5_m9comp_mod3IxEEE10hipError_tT0_T1_T2_jT3_P12ihipStream_tbPNSt15iterator_traitsISJ_E10value_typeEPNSP_ISK_E10value_typeEPSL_NS1_7vsmem_tEENKUlT_SJ_SK_SL_E_clISE_PxSF_SF_EESI_SY_SJ_SK_SL_EUlSY_E1_NS1_11comp_targetILNS1_3genE4ELNS1_11target_archE910ELNS1_3gpuE8ELNS1_3repE0EEENS1_36merge_oddeven_config_static_selectorELNS0_4arch9wavefront6targetE0EEEvSK_.num_agpr, 0
	.set _ZN7rocprim17ROCPRIM_400000_NS6detail17trampoline_kernelINS0_14default_configENS1_38merge_sort_block_merge_config_selectorIxNS0_10empty_typeEEEZZNS1_27merge_sort_block_merge_implIS3_N6thrust23THRUST_200600_302600_NS6detail15normal_iteratorINS9_10device_ptrIxEEEEPS5_m9comp_mod3IxEEE10hipError_tT0_T1_T2_jT3_P12ihipStream_tbPNSt15iterator_traitsISJ_E10value_typeEPNSP_ISK_E10value_typeEPSL_NS1_7vsmem_tEENKUlT_SJ_SK_SL_E_clISE_PxSF_SF_EESI_SY_SJ_SK_SL_EUlSY_E1_NS1_11comp_targetILNS1_3genE4ELNS1_11target_archE910ELNS1_3gpuE8ELNS1_3repE0EEENS1_36merge_oddeven_config_static_selectorELNS0_4arch9wavefront6targetE0EEEvSK_.numbered_sgpr, 0
	.set _ZN7rocprim17ROCPRIM_400000_NS6detail17trampoline_kernelINS0_14default_configENS1_38merge_sort_block_merge_config_selectorIxNS0_10empty_typeEEEZZNS1_27merge_sort_block_merge_implIS3_N6thrust23THRUST_200600_302600_NS6detail15normal_iteratorINS9_10device_ptrIxEEEEPS5_m9comp_mod3IxEEE10hipError_tT0_T1_T2_jT3_P12ihipStream_tbPNSt15iterator_traitsISJ_E10value_typeEPNSP_ISK_E10value_typeEPSL_NS1_7vsmem_tEENKUlT_SJ_SK_SL_E_clISE_PxSF_SF_EESI_SY_SJ_SK_SL_EUlSY_E1_NS1_11comp_targetILNS1_3genE4ELNS1_11target_archE910ELNS1_3gpuE8ELNS1_3repE0EEENS1_36merge_oddeven_config_static_selectorELNS0_4arch9wavefront6targetE0EEEvSK_.num_named_barrier, 0
	.set _ZN7rocprim17ROCPRIM_400000_NS6detail17trampoline_kernelINS0_14default_configENS1_38merge_sort_block_merge_config_selectorIxNS0_10empty_typeEEEZZNS1_27merge_sort_block_merge_implIS3_N6thrust23THRUST_200600_302600_NS6detail15normal_iteratorINS9_10device_ptrIxEEEEPS5_m9comp_mod3IxEEE10hipError_tT0_T1_T2_jT3_P12ihipStream_tbPNSt15iterator_traitsISJ_E10value_typeEPNSP_ISK_E10value_typeEPSL_NS1_7vsmem_tEENKUlT_SJ_SK_SL_E_clISE_PxSF_SF_EESI_SY_SJ_SK_SL_EUlSY_E1_NS1_11comp_targetILNS1_3genE4ELNS1_11target_archE910ELNS1_3gpuE8ELNS1_3repE0EEENS1_36merge_oddeven_config_static_selectorELNS0_4arch9wavefront6targetE0EEEvSK_.private_seg_size, 0
	.set _ZN7rocprim17ROCPRIM_400000_NS6detail17trampoline_kernelINS0_14default_configENS1_38merge_sort_block_merge_config_selectorIxNS0_10empty_typeEEEZZNS1_27merge_sort_block_merge_implIS3_N6thrust23THRUST_200600_302600_NS6detail15normal_iteratorINS9_10device_ptrIxEEEEPS5_m9comp_mod3IxEEE10hipError_tT0_T1_T2_jT3_P12ihipStream_tbPNSt15iterator_traitsISJ_E10value_typeEPNSP_ISK_E10value_typeEPSL_NS1_7vsmem_tEENKUlT_SJ_SK_SL_E_clISE_PxSF_SF_EESI_SY_SJ_SK_SL_EUlSY_E1_NS1_11comp_targetILNS1_3genE4ELNS1_11target_archE910ELNS1_3gpuE8ELNS1_3repE0EEENS1_36merge_oddeven_config_static_selectorELNS0_4arch9wavefront6targetE0EEEvSK_.uses_vcc, 0
	.set _ZN7rocprim17ROCPRIM_400000_NS6detail17trampoline_kernelINS0_14default_configENS1_38merge_sort_block_merge_config_selectorIxNS0_10empty_typeEEEZZNS1_27merge_sort_block_merge_implIS3_N6thrust23THRUST_200600_302600_NS6detail15normal_iteratorINS9_10device_ptrIxEEEEPS5_m9comp_mod3IxEEE10hipError_tT0_T1_T2_jT3_P12ihipStream_tbPNSt15iterator_traitsISJ_E10value_typeEPNSP_ISK_E10value_typeEPSL_NS1_7vsmem_tEENKUlT_SJ_SK_SL_E_clISE_PxSF_SF_EESI_SY_SJ_SK_SL_EUlSY_E1_NS1_11comp_targetILNS1_3genE4ELNS1_11target_archE910ELNS1_3gpuE8ELNS1_3repE0EEENS1_36merge_oddeven_config_static_selectorELNS0_4arch9wavefront6targetE0EEEvSK_.uses_flat_scratch, 0
	.set _ZN7rocprim17ROCPRIM_400000_NS6detail17trampoline_kernelINS0_14default_configENS1_38merge_sort_block_merge_config_selectorIxNS0_10empty_typeEEEZZNS1_27merge_sort_block_merge_implIS3_N6thrust23THRUST_200600_302600_NS6detail15normal_iteratorINS9_10device_ptrIxEEEEPS5_m9comp_mod3IxEEE10hipError_tT0_T1_T2_jT3_P12ihipStream_tbPNSt15iterator_traitsISJ_E10value_typeEPNSP_ISK_E10value_typeEPSL_NS1_7vsmem_tEENKUlT_SJ_SK_SL_E_clISE_PxSF_SF_EESI_SY_SJ_SK_SL_EUlSY_E1_NS1_11comp_targetILNS1_3genE4ELNS1_11target_archE910ELNS1_3gpuE8ELNS1_3repE0EEENS1_36merge_oddeven_config_static_selectorELNS0_4arch9wavefront6targetE0EEEvSK_.has_dyn_sized_stack, 0
	.set _ZN7rocprim17ROCPRIM_400000_NS6detail17trampoline_kernelINS0_14default_configENS1_38merge_sort_block_merge_config_selectorIxNS0_10empty_typeEEEZZNS1_27merge_sort_block_merge_implIS3_N6thrust23THRUST_200600_302600_NS6detail15normal_iteratorINS9_10device_ptrIxEEEEPS5_m9comp_mod3IxEEE10hipError_tT0_T1_T2_jT3_P12ihipStream_tbPNSt15iterator_traitsISJ_E10value_typeEPNSP_ISK_E10value_typeEPSL_NS1_7vsmem_tEENKUlT_SJ_SK_SL_E_clISE_PxSF_SF_EESI_SY_SJ_SK_SL_EUlSY_E1_NS1_11comp_targetILNS1_3genE4ELNS1_11target_archE910ELNS1_3gpuE8ELNS1_3repE0EEENS1_36merge_oddeven_config_static_selectorELNS0_4arch9wavefront6targetE0EEEvSK_.has_recursion, 0
	.set _ZN7rocprim17ROCPRIM_400000_NS6detail17trampoline_kernelINS0_14default_configENS1_38merge_sort_block_merge_config_selectorIxNS0_10empty_typeEEEZZNS1_27merge_sort_block_merge_implIS3_N6thrust23THRUST_200600_302600_NS6detail15normal_iteratorINS9_10device_ptrIxEEEEPS5_m9comp_mod3IxEEE10hipError_tT0_T1_T2_jT3_P12ihipStream_tbPNSt15iterator_traitsISJ_E10value_typeEPNSP_ISK_E10value_typeEPSL_NS1_7vsmem_tEENKUlT_SJ_SK_SL_E_clISE_PxSF_SF_EESI_SY_SJ_SK_SL_EUlSY_E1_NS1_11comp_targetILNS1_3genE4ELNS1_11target_archE910ELNS1_3gpuE8ELNS1_3repE0EEENS1_36merge_oddeven_config_static_selectorELNS0_4arch9wavefront6targetE0EEEvSK_.has_indirect_call, 0
	.section	.AMDGPU.csdata,"",@progbits
; Kernel info:
; codeLenInByte = 0
; TotalNumSgprs: 0
; NumVgprs: 0
; ScratchSize: 0
; MemoryBound: 0
; FloatMode: 240
; IeeeMode: 1
; LDSByteSize: 0 bytes/workgroup (compile time only)
; SGPRBlocks: 0
; VGPRBlocks: 0
; NumSGPRsForWavesPerEU: 1
; NumVGPRsForWavesPerEU: 1
; Occupancy: 16
; WaveLimiterHint : 0
; COMPUTE_PGM_RSRC2:SCRATCH_EN: 0
; COMPUTE_PGM_RSRC2:USER_SGPR: 6
; COMPUTE_PGM_RSRC2:TRAP_HANDLER: 0
; COMPUTE_PGM_RSRC2:TGID_X_EN: 1
; COMPUTE_PGM_RSRC2:TGID_Y_EN: 0
; COMPUTE_PGM_RSRC2:TGID_Z_EN: 0
; COMPUTE_PGM_RSRC2:TIDIG_COMP_CNT: 0
	.section	.text._ZN7rocprim17ROCPRIM_400000_NS6detail17trampoline_kernelINS0_14default_configENS1_38merge_sort_block_merge_config_selectorIxNS0_10empty_typeEEEZZNS1_27merge_sort_block_merge_implIS3_N6thrust23THRUST_200600_302600_NS6detail15normal_iteratorINS9_10device_ptrIxEEEEPS5_m9comp_mod3IxEEE10hipError_tT0_T1_T2_jT3_P12ihipStream_tbPNSt15iterator_traitsISJ_E10value_typeEPNSP_ISK_E10value_typeEPSL_NS1_7vsmem_tEENKUlT_SJ_SK_SL_E_clISE_PxSF_SF_EESI_SY_SJ_SK_SL_EUlSY_E1_NS1_11comp_targetILNS1_3genE3ELNS1_11target_archE908ELNS1_3gpuE7ELNS1_3repE0EEENS1_36merge_oddeven_config_static_selectorELNS0_4arch9wavefront6targetE0EEEvSK_,"axG",@progbits,_ZN7rocprim17ROCPRIM_400000_NS6detail17trampoline_kernelINS0_14default_configENS1_38merge_sort_block_merge_config_selectorIxNS0_10empty_typeEEEZZNS1_27merge_sort_block_merge_implIS3_N6thrust23THRUST_200600_302600_NS6detail15normal_iteratorINS9_10device_ptrIxEEEEPS5_m9comp_mod3IxEEE10hipError_tT0_T1_T2_jT3_P12ihipStream_tbPNSt15iterator_traitsISJ_E10value_typeEPNSP_ISK_E10value_typeEPSL_NS1_7vsmem_tEENKUlT_SJ_SK_SL_E_clISE_PxSF_SF_EESI_SY_SJ_SK_SL_EUlSY_E1_NS1_11comp_targetILNS1_3genE3ELNS1_11target_archE908ELNS1_3gpuE7ELNS1_3repE0EEENS1_36merge_oddeven_config_static_selectorELNS0_4arch9wavefront6targetE0EEEvSK_,comdat
	.protected	_ZN7rocprim17ROCPRIM_400000_NS6detail17trampoline_kernelINS0_14default_configENS1_38merge_sort_block_merge_config_selectorIxNS0_10empty_typeEEEZZNS1_27merge_sort_block_merge_implIS3_N6thrust23THRUST_200600_302600_NS6detail15normal_iteratorINS9_10device_ptrIxEEEEPS5_m9comp_mod3IxEEE10hipError_tT0_T1_T2_jT3_P12ihipStream_tbPNSt15iterator_traitsISJ_E10value_typeEPNSP_ISK_E10value_typeEPSL_NS1_7vsmem_tEENKUlT_SJ_SK_SL_E_clISE_PxSF_SF_EESI_SY_SJ_SK_SL_EUlSY_E1_NS1_11comp_targetILNS1_3genE3ELNS1_11target_archE908ELNS1_3gpuE7ELNS1_3repE0EEENS1_36merge_oddeven_config_static_selectorELNS0_4arch9wavefront6targetE0EEEvSK_ ; -- Begin function _ZN7rocprim17ROCPRIM_400000_NS6detail17trampoline_kernelINS0_14default_configENS1_38merge_sort_block_merge_config_selectorIxNS0_10empty_typeEEEZZNS1_27merge_sort_block_merge_implIS3_N6thrust23THRUST_200600_302600_NS6detail15normal_iteratorINS9_10device_ptrIxEEEEPS5_m9comp_mod3IxEEE10hipError_tT0_T1_T2_jT3_P12ihipStream_tbPNSt15iterator_traitsISJ_E10value_typeEPNSP_ISK_E10value_typeEPSL_NS1_7vsmem_tEENKUlT_SJ_SK_SL_E_clISE_PxSF_SF_EESI_SY_SJ_SK_SL_EUlSY_E1_NS1_11comp_targetILNS1_3genE3ELNS1_11target_archE908ELNS1_3gpuE7ELNS1_3repE0EEENS1_36merge_oddeven_config_static_selectorELNS0_4arch9wavefront6targetE0EEEvSK_
	.globl	_ZN7rocprim17ROCPRIM_400000_NS6detail17trampoline_kernelINS0_14default_configENS1_38merge_sort_block_merge_config_selectorIxNS0_10empty_typeEEEZZNS1_27merge_sort_block_merge_implIS3_N6thrust23THRUST_200600_302600_NS6detail15normal_iteratorINS9_10device_ptrIxEEEEPS5_m9comp_mod3IxEEE10hipError_tT0_T1_T2_jT3_P12ihipStream_tbPNSt15iterator_traitsISJ_E10value_typeEPNSP_ISK_E10value_typeEPSL_NS1_7vsmem_tEENKUlT_SJ_SK_SL_E_clISE_PxSF_SF_EESI_SY_SJ_SK_SL_EUlSY_E1_NS1_11comp_targetILNS1_3genE3ELNS1_11target_archE908ELNS1_3gpuE7ELNS1_3repE0EEENS1_36merge_oddeven_config_static_selectorELNS0_4arch9wavefront6targetE0EEEvSK_
	.p2align	8
	.type	_ZN7rocprim17ROCPRIM_400000_NS6detail17trampoline_kernelINS0_14default_configENS1_38merge_sort_block_merge_config_selectorIxNS0_10empty_typeEEEZZNS1_27merge_sort_block_merge_implIS3_N6thrust23THRUST_200600_302600_NS6detail15normal_iteratorINS9_10device_ptrIxEEEEPS5_m9comp_mod3IxEEE10hipError_tT0_T1_T2_jT3_P12ihipStream_tbPNSt15iterator_traitsISJ_E10value_typeEPNSP_ISK_E10value_typeEPSL_NS1_7vsmem_tEENKUlT_SJ_SK_SL_E_clISE_PxSF_SF_EESI_SY_SJ_SK_SL_EUlSY_E1_NS1_11comp_targetILNS1_3genE3ELNS1_11target_archE908ELNS1_3gpuE7ELNS1_3repE0EEENS1_36merge_oddeven_config_static_selectorELNS0_4arch9wavefront6targetE0EEEvSK_,@function
_ZN7rocprim17ROCPRIM_400000_NS6detail17trampoline_kernelINS0_14default_configENS1_38merge_sort_block_merge_config_selectorIxNS0_10empty_typeEEEZZNS1_27merge_sort_block_merge_implIS3_N6thrust23THRUST_200600_302600_NS6detail15normal_iteratorINS9_10device_ptrIxEEEEPS5_m9comp_mod3IxEEE10hipError_tT0_T1_T2_jT3_P12ihipStream_tbPNSt15iterator_traitsISJ_E10value_typeEPNSP_ISK_E10value_typeEPSL_NS1_7vsmem_tEENKUlT_SJ_SK_SL_E_clISE_PxSF_SF_EESI_SY_SJ_SK_SL_EUlSY_E1_NS1_11comp_targetILNS1_3genE3ELNS1_11target_archE908ELNS1_3gpuE7ELNS1_3repE0EEENS1_36merge_oddeven_config_static_selectorELNS0_4arch9wavefront6targetE0EEEvSK_: ; @_ZN7rocprim17ROCPRIM_400000_NS6detail17trampoline_kernelINS0_14default_configENS1_38merge_sort_block_merge_config_selectorIxNS0_10empty_typeEEEZZNS1_27merge_sort_block_merge_implIS3_N6thrust23THRUST_200600_302600_NS6detail15normal_iteratorINS9_10device_ptrIxEEEEPS5_m9comp_mod3IxEEE10hipError_tT0_T1_T2_jT3_P12ihipStream_tbPNSt15iterator_traitsISJ_E10value_typeEPNSP_ISK_E10value_typeEPSL_NS1_7vsmem_tEENKUlT_SJ_SK_SL_E_clISE_PxSF_SF_EESI_SY_SJ_SK_SL_EUlSY_E1_NS1_11comp_targetILNS1_3genE3ELNS1_11target_archE908ELNS1_3gpuE7ELNS1_3repE0EEENS1_36merge_oddeven_config_static_selectorELNS0_4arch9wavefront6targetE0EEEvSK_
; %bb.0:
	.section	.rodata,"a",@progbits
	.p2align	6, 0x0
	.amdhsa_kernel _ZN7rocprim17ROCPRIM_400000_NS6detail17trampoline_kernelINS0_14default_configENS1_38merge_sort_block_merge_config_selectorIxNS0_10empty_typeEEEZZNS1_27merge_sort_block_merge_implIS3_N6thrust23THRUST_200600_302600_NS6detail15normal_iteratorINS9_10device_ptrIxEEEEPS5_m9comp_mod3IxEEE10hipError_tT0_T1_T2_jT3_P12ihipStream_tbPNSt15iterator_traitsISJ_E10value_typeEPNSP_ISK_E10value_typeEPSL_NS1_7vsmem_tEENKUlT_SJ_SK_SL_E_clISE_PxSF_SF_EESI_SY_SJ_SK_SL_EUlSY_E1_NS1_11comp_targetILNS1_3genE3ELNS1_11target_archE908ELNS1_3gpuE7ELNS1_3repE0EEENS1_36merge_oddeven_config_static_selectorELNS0_4arch9wavefront6targetE0EEEvSK_
		.amdhsa_group_segment_fixed_size 0
		.amdhsa_private_segment_fixed_size 0
		.amdhsa_kernarg_size 56
		.amdhsa_user_sgpr_count 6
		.amdhsa_user_sgpr_private_segment_buffer 1
		.amdhsa_user_sgpr_dispatch_ptr 0
		.amdhsa_user_sgpr_queue_ptr 0
		.amdhsa_user_sgpr_kernarg_segment_ptr 1
		.amdhsa_user_sgpr_dispatch_id 0
		.amdhsa_user_sgpr_flat_scratch_init 0
		.amdhsa_user_sgpr_private_segment_size 0
		.amdhsa_wavefront_size32 1
		.amdhsa_uses_dynamic_stack 0
		.amdhsa_system_sgpr_private_segment_wavefront_offset 0
		.amdhsa_system_sgpr_workgroup_id_x 1
		.amdhsa_system_sgpr_workgroup_id_y 0
		.amdhsa_system_sgpr_workgroup_id_z 0
		.amdhsa_system_sgpr_workgroup_info 0
		.amdhsa_system_vgpr_workitem_id 0
		.amdhsa_next_free_vgpr 1
		.amdhsa_next_free_sgpr 1
		.amdhsa_reserve_vcc 0
		.amdhsa_reserve_flat_scratch 0
		.amdhsa_float_round_mode_32 0
		.amdhsa_float_round_mode_16_64 0
		.amdhsa_float_denorm_mode_32 3
		.amdhsa_float_denorm_mode_16_64 3
		.amdhsa_dx10_clamp 1
		.amdhsa_ieee_mode 1
		.amdhsa_fp16_overflow 0
		.amdhsa_workgroup_processor_mode 1
		.amdhsa_memory_ordered 1
		.amdhsa_forward_progress 1
		.amdhsa_shared_vgpr_count 0
		.amdhsa_exception_fp_ieee_invalid_op 0
		.amdhsa_exception_fp_denorm_src 0
		.amdhsa_exception_fp_ieee_div_zero 0
		.amdhsa_exception_fp_ieee_overflow 0
		.amdhsa_exception_fp_ieee_underflow 0
		.amdhsa_exception_fp_ieee_inexact 0
		.amdhsa_exception_int_div_zero 0
	.end_amdhsa_kernel
	.section	.text._ZN7rocprim17ROCPRIM_400000_NS6detail17trampoline_kernelINS0_14default_configENS1_38merge_sort_block_merge_config_selectorIxNS0_10empty_typeEEEZZNS1_27merge_sort_block_merge_implIS3_N6thrust23THRUST_200600_302600_NS6detail15normal_iteratorINS9_10device_ptrIxEEEEPS5_m9comp_mod3IxEEE10hipError_tT0_T1_T2_jT3_P12ihipStream_tbPNSt15iterator_traitsISJ_E10value_typeEPNSP_ISK_E10value_typeEPSL_NS1_7vsmem_tEENKUlT_SJ_SK_SL_E_clISE_PxSF_SF_EESI_SY_SJ_SK_SL_EUlSY_E1_NS1_11comp_targetILNS1_3genE3ELNS1_11target_archE908ELNS1_3gpuE7ELNS1_3repE0EEENS1_36merge_oddeven_config_static_selectorELNS0_4arch9wavefront6targetE0EEEvSK_,"axG",@progbits,_ZN7rocprim17ROCPRIM_400000_NS6detail17trampoline_kernelINS0_14default_configENS1_38merge_sort_block_merge_config_selectorIxNS0_10empty_typeEEEZZNS1_27merge_sort_block_merge_implIS3_N6thrust23THRUST_200600_302600_NS6detail15normal_iteratorINS9_10device_ptrIxEEEEPS5_m9comp_mod3IxEEE10hipError_tT0_T1_T2_jT3_P12ihipStream_tbPNSt15iterator_traitsISJ_E10value_typeEPNSP_ISK_E10value_typeEPSL_NS1_7vsmem_tEENKUlT_SJ_SK_SL_E_clISE_PxSF_SF_EESI_SY_SJ_SK_SL_EUlSY_E1_NS1_11comp_targetILNS1_3genE3ELNS1_11target_archE908ELNS1_3gpuE7ELNS1_3repE0EEENS1_36merge_oddeven_config_static_selectorELNS0_4arch9wavefront6targetE0EEEvSK_,comdat
.Lfunc_end975:
	.size	_ZN7rocprim17ROCPRIM_400000_NS6detail17trampoline_kernelINS0_14default_configENS1_38merge_sort_block_merge_config_selectorIxNS0_10empty_typeEEEZZNS1_27merge_sort_block_merge_implIS3_N6thrust23THRUST_200600_302600_NS6detail15normal_iteratorINS9_10device_ptrIxEEEEPS5_m9comp_mod3IxEEE10hipError_tT0_T1_T2_jT3_P12ihipStream_tbPNSt15iterator_traitsISJ_E10value_typeEPNSP_ISK_E10value_typeEPSL_NS1_7vsmem_tEENKUlT_SJ_SK_SL_E_clISE_PxSF_SF_EESI_SY_SJ_SK_SL_EUlSY_E1_NS1_11comp_targetILNS1_3genE3ELNS1_11target_archE908ELNS1_3gpuE7ELNS1_3repE0EEENS1_36merge_oddeven_config_static_selectorELNS0_4arch9wavefront6targetE0EEEvSK_, .Lfunc_end975-_ZN7rocprim17ROCPRIM_400000_NS6detail17trampoline_kernelINS0_14default_configENS1_38merge_sort_block_merge_config_selectorIxNS0_10empty_typeEEEZZNS1_27merge_sort_block_merge_implIS3_N6thrust23THRUST_200600_302600_NS6detail15normal_iteratorINS9_10device_ptrIxEEEEPS5_m9comp_mod3IxEEE10hipError_tT0_T1_T2_jT3_P12ihipStream_tbPNSt15iterator_traitsISJ_E10value_typeEPNSP_ISK_E10value_typeEPSL_NS1_7vsmem_tEENKUlT_SJ_SK_SL_E_clISE_PxSF_SF_EESI_SY_SJ_SK_SL_EUlSY_E1_NS1_11comp_targetILNS1_3genE3ELNS1_11target_archE908ELNS1_3gpuE7ELNS1_3repE0EEENS1_36merge_oddeven_config_static_selectorELNS0_4arch9wavefront6targetE0EEEvSK_
                                        ; -- End function
	.set _ZN7rocprim17ROCPRIM_400000_NS6detail17trampoline_kernelINS0_14default_configENS1_38merge_sort_block_merge_config_selectorIxNS0_10empty_typeEEEZZNS1_27merge_sort_block_merge_implIS3_N6thrust23THRUST_200600_302600_NS6detail15normal_iteratorINS9_10device_ptrIxEEEEPS5_m9comp_mod3IxEEE10hipError_tT0_T1_T2_jT3_P12ihipStream_tbPNSt15iterator_traitsISJ_E10value_typeEPNSP_ISK_E10value_typeEPSL_NS1_7vsmem_tEENKUlT_SJ_SK_SL_E_clISE_PxSF_SF_EESI_SY_SJ_SK_SL_EUlSY_E1_NS1_11comp_targetILNS1_3genE3ELNS1_11target_archE908ELNS1_3gpuE7ELNS1_3repE0EEENS1_36merge_oddeven_config_static_selectorELNS0_4arch9wavefront6targetE0EEEvSK_.num_vgpr, 0
	.set _ZN7rocprim17ROCPRIM_400000_NS6detail17trampoline_kernelINS0_14default_configENS1_38merge_sort_block_merge_config_selectorIxNS0_10empty_typeEEEZZNS1_27merge_sort_block_merge_implIS3_N6thrust23THRUST_200600_302600_NS6detail15normal_iteratorINS9_10device_ptrIxEEEEPS5_m9comp_mod3IxEEE10hipError_tT0_T1_T2_jT3_P12ihipStream_tbPNSt15iterator_traitsISJ_E10value_typeEPNSP_ISK_E10value_typeEPSL_NS1_7vsmem_tEENKUlT_SJ_SK_SL_E_clISE_PxSF_SF_EESI_SY_SJ_SK_SL_EUlSY_E1_NS1_11comp_targetILNS1_3genE3ELNS1_11target_archE908ELNS1_3gpuE7ELNS1_3repE0EEENS1_36merge_oddeven_config_static_selectorELNS0_4arch9wavefront6targetE0EEEvSK_.num_agpr, 0
	.set _ZN7rocprim17ROCPRIM_400000_NS6detail17trampoline_kernelINS0_14default_configENS1_38merge_sort_block_merge_config_selectorIxNS0_10empty_typeEEEZZNS1_27merge_sort_block_merge_implIS3_N6thrust23THRUST_200600_302600_NS6detail15normal_iteratorINS9_10device_ptrIxEEEEPS5_m9comp_mod3IxEEE10hipError_tT0_T1_T2_jT3_P12ihipStream_tbPNSt15iterator_traitsISJ_E10value_typeEPNSP_ISK_E10value_typeEPSL_NS1_7vsmem_tEENKUlT_SJ_SK_SL_E_clISE_PxSF_SF_EESI_SY_SJ_SK_SL_EUlSY_E1_NS1_11comp_targetILNS1_3genE3ELNS1_11target_archE908ELNS1_3gpuE7ELNS1_3repE0EEENS1_36merge_oddeven_config_static_selectorELNS0_4arch9wavefront6targetE0EEEvSK_.numbered_sgpr, 0
	.set _ZN7rocprim17ROCPRIM_400000_NS6detail17trampoline_kernelINS0_14default_configENS1_38merge_sort_block_merge_config_selectorIxNS0_10empty_typeEEEZZNS1_27merge_sort_block_merge_implIS3_N6thrust23THRUST_200600_302600_NS6detail15normal_iteratorINS9_10device_ptrIxEEEEPS5_m9comp_mod3IxEEE10hipError_tT0_T1_T2_jT3_P12ihipStream_tbPNSt15iterator_traitsISJ_E10value_typeEPNSP_ISK_E10value_typeEPSL_NS1_7vsmem_tEENKUlT_SJ_SK_SL_E_clISE_PxSF_SF_EESI_SY_SJ_SK_SL_EUlSY_E1_NS1_11comp_targetILNS1_3genE3ELNS1_11target_archE908ELNS1_3gpuE7ELNS1_3repE0EEENS1_36merge_oddeven_config_static_selectorELNS0_4arch9wavefront6targetE0EEEvSK_.num_named_barrier, 0
	.set _ZN7rocprim17ROCPRIM_400000_NS6detail17trampoline_kernelINS0_14default_configENS1_38merge_sort_block_merge_config_selectorIxNS0_10empty_typeEEEZZNS1_27merge_sort_block_merge_implIS3_N6thrust23THRUST_200600_302600_NS6detail15normal_iteratorINS9_10device_ptrIxEEEEPS5_m9comp_mod3IxEEE10hipError_tT0_T1_T2_jT3_P12ihipStream_tbPNSt15iterator_traitsISJ_E10value_typeEPNSP_ISK_E10value_typeEPSL_NS1_7vsmem_tEENKUlT_SJ_SK_SL_E_clISE_PxSF_SF_EESI_SY_SJ_SK_SL_EUlSY_E1_NS1_11comp_targetILNS1_3genE3ELNS1_11target_archE908ELNS1_3gpuE7ELNS1_3repE0EEENS1_36merge_oddeven_config_static_selectorELNS0_4arch9wavefront6targetE0EEEvSK_.private_seg_size, 0
	.set _ZN7rocprim17ROCPRIM_400000_NS6detail17trampoline_kernelINS0_14default_configENS1_38merge_sort_block_merge_config_selectorIxNS0_10empty_typeEEEZZNS1_27merge_sort_block_merge_implIS3_N6thrust23THRUST_200600_302600_NS6detail15normal_iteratorINS9_10device_ptrIxEEEEPS5_m9comp_mod3IxEEE10hipError_tT0_T1_T2_jT3_P12ihipStream_tbPNSt15iterator_traitsISJ_E10value_typeEPNSP_ISK_E10value_typeEPSL_NS1_7vsmem_tEENKUlT_SJ_SK_SL_E_clISE_PxSF_SF_EESI_SY_SJ_SK_SL_EUlSY_E1_NS1_11comp_targetILNS1_3genE3ELNS1_11target_archE908ELNS1_3gpuE7ELNS1_3repE0EEENS1_36merge_oddeven_config_static_selectorELNS0_4arch9wavefront6targetE0EEEvSK_.uses_vcc, 0
	.set _ZN7rocprim17ROCPRIM_400000_NS6detail17trampoline_kernelINS0_14default_configENS1_38merge_sort_block_merge_config_selectorIxNS0_10empty_typeEEEZZNS1_27merge_sort_block_merge_implIS3_N6thrust23THRUST_200600_302600_NS6detail15normal_iteratorINS9_10device_ptrIxEEEEPS5_m9comp_mod3IxEEE10hipError_tT0_T1_T2_jT3_P12ihipStream_tbPNSt15iterator_traitsISJ_E10value_typeEPNSP_ISK_E10value_typeEPSL_NS1_7vsmem_tEENKUlT_SJ_SK_SL_E_clISE_PxSF_SF_EESI_SY_SJ_SK_SL_EUlSY_E1_NS1_11comp_targetILNS1_3genE3ELNS1_11target_archE908ELNS1_3gpuE7ELNS1_3repE0EEENS1_36merge_oddeven_config_static_selectorELNS0_4arch9wavefront6targetE0EEEvSK_.uses_flat_scratch, 0
	.set _ZN7rocprim17ROCPRIM_400000_NS6detail17trampoline_kernelINS0_14default_configENS1_38merge_sort_block_merge_config_selectorIxNS0_10empty_typeEEEZZNS1_27merge_sort_block_merge_implIS3_N6thrust23THRUST_200600_302600_NS6detail15normal_iteratorINS9_10device_ptrIxEEEEPS5_m9comp_mod3IxEEE10hipError_tT0_T1_T2_jT3_P12ihipStream_tbPNSt15iterator_traitsISJ_E10value_typeEPNSP_ISK_E10value_typeEPSL_NS1_7vsmem_tEENKUlT_SJ_SK_SL_E_clISE_PxSF_SF_EESI_SY_SJ_SK_SL_EUlSY_E1_NS1_11comp_targetILNS1_3genE3ELNS1_11target_archE908ELNS1_3gpuE7ELNS1_3repE0EEENS1_36merge_oddeven_config_static_selectorELNS0_4arch9wavefront6targetE0EEEvSK_.has_dyn_sized_stack, 0
	.set _ZN7rocprim17ROCPRIM_400000_NS6detail17trampoline_kernelINS0_14default_configENS1_38merge_sort_block_merge_config_selectorIxNS0_10empty_typeEEEZZNS1_27merge_sort_block_merge_implIS3_N6thrust23THRUST_200600_302600_NS6detail15normal_iteratorINS9_10device_ptrIxEEEEPS5_m9comp_mod3IxEEE10hipError_tT0_T1_T2_jT3_P12ihipStream_tbPNSt15iterator_traitsISJ_E10value_typeEPNSP_ISK_E10value_typeEPSL_NS1_7vsmem_tEENKUlT_SJ_SK_SL_E_clISE_PxSF_SF_EESI_SY_SJ_SK_SL_EUlSY_E1_NS1_11comp_targetILNS1_3genE3ELNS1_11target_archE908ELNS1_3gpuE7ELNS1_3repE0EEENS1_36merge_oddeven_config_static_selectorELNS0_4arch9wavefront6targetE0EEEvSK_.has_recursion, 0
	.set _ZN7rocprim17ROCPRIM_400000_NS6detail17trampoline_kernelINS0_14default_configENS1_38merge_sort_block_merge_config_selectorIxNS0_10empty_typeEEEZZNS1_27merge_sort_block_merge_implIS3_N6thrust23THRUST_200600_302600_NS6detail15normal_iteratorINS9_10device_ptrIxEEEEPS5_m9comp_mod3IxEEE10hipError_tT0_T1_T2_jT3_P12ihipStream_tbPNSt15iterator_traitsISJ_E10value_typeEPNSP_ISK_E10value_typeEPSL_NS1_7vsmem_tEENKUlT_SJ_SK_SL_E_clISE_PxSF_SF_EESI_SY_SJ_SK_SL_EUlSY_E1_NS1_11comp_targetILNS1_3genE3ELNS1_11target_archE908ELNS1_3gpuE7ELNS1_3repE0EEENS1_36merge_oddeven_config_static_selectorELNS0_4arch9wavefront6targetE0EEEvSK_.has_indirect_call, 0
	.section	.AMDGPU.csdata,"",@progbits
; Kernel info:
; codeLenInByte = 0
; TotalNumSgprs: 0
; NumVgprs: 0
; ScratchSize: 0
; MemoryBound: 0
; FloatMode: 240
; IeeeMode: 1
; LDSByteSize: 0 bytes/workgroup (compile time only)
; SGPRBlocks: 0
; VGPRBlocks: 0
; NumSGPRsForWavesPerEU: 1
; NumVGPRsForWavesPerEU: 1
; Occupancy: 16
; WaveLimiterHint : 0
; COMPUTE_PGM_RSRC2:SCRATCH_EN: 0
; COMPUTE_PGM_RSRC2:USER_SGPR: 6
; COMPUTE_PGM_RSRC2:TRAP_HANDLER: 0
; COMPUTE_PGM_RSRC2:TGID_X_EN: 1
; COMPUTE_PGM_RSRC2:TGID_Y_EN: 0
; COMPUTE_PGM_RSRC2:TGID_Z_EN: 0
; COMPUTE_PGM_RSRC2:TIDIG_COMP_CNT: 0
	.section	.text._ZN7rocprim17ROCPRIM_400000_NS6detail17trampoline_kernelINS0_14default_configENS1_38merge_sort_block_merge_config_selectorIxNS0_10empty_typeEEEZZNS1_27merge_sort_block_merge_implIS3_N6thrust23THRUST_200600_302600_NS6detail15normal_iteratorINS9_10device_ptrIxEEEEPS5_m9comp_mod3IxEEE10hipError_tT0_T1_T2_jT3_P12ihipStream_tbPNSt15iterator_traitsISJ_E10value_typeEPNSP_ISK_E10value_typeEPSL_NS1_7vsmem_tEENKUlT_SJ_SK_SL_E_clISE_PxSF_SF_EESI_SY_SJ_SK_SL_EUlSY_E1_NS1_11comp_targetILNS1_3genE2ELNS1_11target_archE906ELNS1_3gpuE6ELNS1_3repE0EEENS1_36merge_oddeven_config_static_selectorELNS0_4arch9wavefront6targetE0EEEvSK_,"axG",@progbits,_ZN7rocprim17ROCPRIM_400000_NS6detail17trampoline_kernelINS0_14default_configENS1_38merge_sort_block_merge_config_selectorIxNS0_10empty_typeEEEZZNS1_27merge_sort_block_merge_implIS3_N6thrust23THRUST_200600_302600_NS6detail15normal_iteratorINS9_10device_ptrIxEEEEPS5_m9comp_mod3IxEEE10hipError_tT0_T1_T2_jT3_P12ihipStream_tbPNSt15iterator_traitsISJ_E10value_typeEPNSP_ISK_E10value_typeEPSL_NS1_7vsmem_tEENKUlT_SJ_SK_SL_E_clISE_PxSF_SF_EESI_SY_SJ_SK_SL_EUlSY_E1_NS1_11comp_targetILNS1_3genE2ELNS1_11target_archE906ELNS1_3gpuE6ELNS1_3repE0EEENS1_36merge_oddeven_config_static_selectorELNS0_4arch9wavefront6targetE0EEEvSK_,comdat
	.protected	_ZN7rocprim17ROCPRIM_400000_NS6detail17trampoline_kernelINS0_14default_configENS1_38merge_sort_block_merge_config_selectorIxNS0_10empty_typeEEEZZNS1_27merge_sort_block_merge_implIS3_N6thrust23THRUST_200600_302600_NS6detail15normal_iteratorINS9_10device_ptrIxEEEEPS5_m9comp_mod3IxEEE10hipError_tT0_T1_T2_jT3_P12ihipStream_tbPNSt15iterator_traitsISJ_E10value_typeEPNSP_ISK_E10value_typeEPSL_NS1_7vsmem_tEENKUlT_SJ_SK_SL_E_clISE_PxSF_SF_EESI_SY_SJ_SK_SL_EUlSY_E1_NS1_11comp_targetILNS1_3genE2ELNS1_11target_archE906ELNS1_3gpuE6ELNS1_3repE0EEENS1_36merge_oddeven_config_static_selectorELNS0_4arch9wavefront6targetE0EEEvSK_ ; -- Begin function _ZN7rocprim17ROCPRIM_400000_NS6detail17trampoline_kernelINS0_14default_configENS1_38merge_sort_block_merge_config_selectorIxNS0_10empty_typeEEEZZNS1_27merge_sort_block_merge_implIS3_N6thrust23THRUST_200600_302600_NS6detail15normal_iteratorINS9_10device_ptrIxEEEEPS5_m9comp_mod3IxEEE10hipError_tT0_T1_T2_jT3_P12ihipStream_tbPNSt15iterator_traitsISJ_E10value_typeEPNSP_ISK_E10value_typeEPSL_NS1_7vsmem_tEENKUlT_SJ_SK_SL_E_clISE_PxSF_SF_EESI_SY_SJ_SK_SL_EUlSY_E1_NS1_11comp_targetILNS1_3genE2ELNS1_11target_archE906ELNS1_3gpuE6ELNS1_3repE0EEENS1_36merge_oddeven_config_static_selectorELNS0_4arch9wavefront6targetE0EEEvSK_
	.globl	_ZN7rocprim17ROCPRIM_400000_NS6detail17trampoline_kernelINS0_14default_configENS1_38merge_sort_block_merge_config_selectorIxNS0_10empty_typeEEEZZNS1_27merge_sort_block_merge_implIS3_N6thrust23THRUST_200600_302600_NS6detail15normal_iteratorINS9_10device_ptrIxEEEEPS5_m9comp_mod3IxEEE10hipError_tT0_T1_T2_jT3_P12ihipStream_tbPNSt15iterator_traitsISJ_E10value_typeEPNSP_ISK_E10value_typeEPSL_NS1_7vsmem_tEENKUlT_SJ_SK_SL_E_clISE_PxSF_SF_EESI_SY_SJ_SK_SL_EUlSY_E1_NS1_11comp_targetILNS1_3genE2ELNS1_11target_archE906ELNS1_3gpuE6ELNS1_3repE0EEENS1_36merge_oddeven_config_static_selectorELNS0_4arch9wavefront6targetE0EEEvSK_
	.p2align	8
	.type	_ZN7rocprim17ROCPRIM_400000_NS6detail17trampoline_kernelINS0_14default_configENS1_38merge_sort_block_merge_config_selectorIxNS0_10empty_typeEEEZZNS1_27merge_sort_block_merge_implIS3_N6thrust23THRUST_200600_302600_NS6detail15normal_iteratorINS9_10device_ptrIxEEEEPS5_m9comp_mod3IxEEE10hipError_tT0_T1_T2_jT3_P12ihipStream_tbPNSt15iterator_traitsISJ_E10value_typeEPNSP_ISK_E10value_typeEPSL_NS1_7vsmem_tEENKUlT_SJ_SK_SL_E_clISE_PxSF_SF_EESI_SY_SJ_SK_SL_EUlSY_E1_NS1_11comp_targetILNS1_3genE2ELNS1_11target_archE906ELNS1_3gpuE6ELNS1_3repE0EEENS1_36merge_oddeven_config_static_selectorELNS0_4arch9wavefront6targetE0EEEvSK_,@function
_ZN7rocprim17ROCPRIM_400000_NS6detail17trampoline_kernelINS0_14default_configENS1_38merge_sort_block_merge_config_selectorIxNS0_10empty_typeEEEZZNS1_27merge_sort_block_merge_implIS3_N6thrust23THRUST_200600_302600_NS6detail15normal_iteratorINS9_10device_ptrIxEEEEPS5_m9comp_mod3IxEEE10hipError_tT0_T1_T2_jT3_P12ihipStream_tbPNSt15iterator_traitsISJ_E10value_typeEPNSP_ISK_E10value_typeEPSL_NS1_7vsmem_tEENKUlT_SJ_SK_SL_E_clISE_PxSF_SF_EESI_SY_SJ_SK_SL_EUlSY_E1_NS1_11comp_targetILNS1_3genE2ELNS1_11target_archE906ELNS1_3gpuE6ELNS1_3repE0EEENS1_36merge_oddeven_config_static_selectorELNS0_4arch9wavefront6targetE0EEEvSK_: ; @_ZN7rocprim17ROCPRIM_400000_NS6detail17trampoline_kernelINS0_14default_configENS1_38merge_sort_block_merge_config_selectorIxNS0_10empty_typeEEEZZNS1_27merge_sort_block_merge_implIS3_N6thrust23THRUST_200600_302600_NS6detail15normal_iteratorINS9_10device_ptrIxEEEEPS5_m9comp_mod3IxEEE10hipError_tT0_T1_T2_jT3_P12ihipStream_tbPNSt15iterator_traitsISJ_E10value_typeEPNSP_ISK_E10value_typeEPSL_NS1_7vsmem_tEENKUlT_SJ_SK_SL_E_clISE_PxSF_SF_EESI_SY_SJ_SK_SL_EUlSY_E1_NS1_11comp_targetILNS1_3genE2ELNS1_11target_archE906ELNS1_3gpuE6ELNS1_3repE0EEENS1_36merge_oddeven_config_static_selectorELNS0_4arch9wavefront6targetE0EEEvSK_
; %bb.0:
	.section	.rodata,"a",@progbits
	.p2align	6, 0x0
	.amdhsa_kernel _ZN7rocprim17ROCPRIM_400000_NS6detail17trampoline_kernelINS0_14default_configENS1_38merge_sort_block_merge_config_selectorIxNS0_10empty_typeEEEZZNS1_27merge_sort_block_merge_implIS3_N6thrust23THRUST_200600_302600_NS6detail15normal_iteratorINS9_10device_ptrIxEEEEPS5_m9comp_mod3IxEEE10hipError_tT0_T1_T2_jT3_P12ihipStream_tbPNSt15iterator_traitsISJ_E10value_typeEPNSP_ISK_E10value_typeEPSL_NS1_7vsmem_tEENKUlT_SJ_SK_SL_E_clISE_PxSF_SF_EESI_SY_SJ_SK_SL_EUlSY_E1_NS1_11comp_targetILNS1_3genE2ELNS1_11target_archE906ELNS1_3gpuE6ELNS1_3repE0EEENS1_36merge_oddeven_config_static_selectorELNS0_4arch9wavefront6targetE0EEEvSK_
		.amdhsa_group_segment_fixed_size 0
		.amdhsa_private_segment_fixed_size 0
		.amdhsa_kernarg_size 56
		.amdhsa_user_sgpr_count 6
		.amdhsa_user_sgpr_private_segment_buffer 1
		.amdhsa_user_sgpr_dispatch_ptr 0
		.amdhsa_user_sgpr_queue_ptr 0
		.amdhsa_user_sgpr_kernarg_segment_ptr 1
		.amdhsa_user_sgpr_dispatch_id 0
		.amdhsa_user_sgpr_flat_scratch_init 0
		.amdhsa_user_sgpr_private_segment_size 0
		.amdhsa_wavefront_size32 1
		.amdhsa_uses_dynamic_stack 0
		.amdhsa_system_sgpr_private_segment_wavefront_offset 0
		.amdhsa_system_sgpr_workgroup_id_x 1
		.amdhsa_system_sgpr_workgroup_id_y 0
		.amdhsa_system_sgpr_workgroup_id_z 0
		.amdhsa_system_sgpr_workgroup_info 0
		.amdhsa_system_vgpr_workitem_id 0
		.amdhsa_next_free_vgpr 1
		.amdhsa_next_free_sgpr 1
		.amdhsa_reserve_vcc 0
		.amdhsa_reserve_flat_scratch 0
		.amdhsa_float_round_mode_32 0
		.amdhsa_float_round_mode_16_64 0
		.amdhsa_float_denorm_mode_32 3
		.amdhsa_float_denorm_mode_16_64 3
		.amdhsa_dx10_clamp 1
		.amdhsa_ieee_mode 1
		.amdhsa_fp16_overflow 0
		.amdhsa_workgroup_processor_mode 1
		.amdhsa_memory_ordered 1
		.amdhsa_forward_progress 1
		.amdhsa_shared_vgpr_count 0
		.amdhsa_exception_fp_ieee_invalid_op 0
		.amdhsa_exception_fp_denorm_src 0
		.amdhsa_exception_fp_ieee_div_zero 0
		.amdhsa_exception_fp_ieee_overflow 0
		.amdhsa_exception_fp_ieee_underflow 0
		.amdhsa_exception_fp_ieee_inexact 0
		.amdhsa_exception_int_div_zero 0
	.end_amdhsa_kernel
	.section	.text._ZN7rocprim17ROCPRIM_400000_NS6detail17trampoline_kernelINS0_14default_configENS1_38merge_sort_block_merge_config_selectorIxNS0_10empty_typeEEEZZNS1_27merge_sort_block_merge_implIS3_N6thrust23THRUST_200600_302600_NS6detail15normal_iteratorINS9_10device_ptrIxEEEEPS5_m9comp_mod3IxEEE10hipError_tT0_T1_T2_jT3_P12ihipStream_tbPNSt15iterator_traitsISJ_E10value_typeEPNSP_ISK_E10value_typeEPSL_NS1_7vsmem_tEENKUlT_SJ_SK_SL_E_clISE_PxSF_SF_EESI_SY_SJ_SK_SL_EUlSY_E1_NS1_11comp_targetILNS1_3genE2ELNS1_11target_archE906ELNS1_3gpuE6ELNS1_3repE0EEENS1_36merge_oddeven_config_static_selectorELNS0_4arch9wavefront6targetE0EEEvSK_,"axG",@progbits,_ZN7rocprim17ROCPRIM_400000_NS6detail17trampoline_kernelINS0_14default_configENS1_38merge_sort_block_merge_config_selectorIxNS0_10empty_typeEEEZZNS1_27merge_sort_block_merge_implIS3_N6thrust23THRUST_200600_302600_NS6detail15normal_iteratorINS9_10device_ptrIxEEEEPS5_m9comp_mod3IxEEE10hipError_tT0_T1_T2_jT3_P12ihipStream_tbPNSt15iterator_traitsISJ_E10value_typeEPNSP_ISK_E10value_typeEPSL_NS1_7vsmem_tEENKUlT_SJ_SK_SL_E_clISE_PxSF_SF_EESI_SY_SJ_SK_SL_EUlSY_E1_NS1_11comp_targetILNS1_3genE2ELNS1_11target_archE906ELNS1_3gpuE6ELNS1_3repE0EEENS1_36merge_oddeven_config_static_selectorELNS0_4arch9wavefront6targetE0EEEvSK_,comdat
.Lfunc_end976:
	.size	_ZN7rocprim17ROCPRIM_400000_NS6detail17trampoline_kernelINS0_14default_configENS1_38merge_sort_block_merge_config_selectorIxNS0_10empty_typeEEEZZNS1_27merge_sort_block_merge_implIS3_N6thrust23THRUST_200600_302600_NS6detail15normal_iteratorINS9_10device_ptrIxEEEEPS5_m9comp_mod3IxEEE10hipError_tT0_T1_T2_jT3_P12ihipStream_tbPNSt15iterator_traitsISJ_E10value_typeEPNSP_ISK_E10value_typeEPSL_NS1_7vsmem_tEENKUlT_SJ_SK_SL_E_clISE_PxSF_SF_EESI_SY_SJ_SK_SL_EUlSY_E1_NS1_11comp_targetILNS1_3genE2ELNS1_11target_archE906ELNS1_3gpuE6ELNS1_3repE0EEENS1_36merge_oddeven_config_static_selectorELNS0_4arch9wavefront6targetE0EEEvSK_, .Lfunc_end976-_ZN7rocprim17ROCPRIM_400000_NS6detail17trampoline_kernelINS0_14default_configENS1_38merge_sort_block_merge_config_selectorIxNS0_10empty_typeEEEZZNS1_27merge_sort_block_merge_implIS3_N6thrust23THRUST_200600_302600_NS6detail15normal_iteratorINS9_10device_ptrIxEEEEPS5_m9comp_mod3IxEEE10hipError_tT0_T1_T2_jT3_P12ihipStream_tbPNSt15iterator_traitsISJ_E10value_typeEPNSP_ISK_E10value_typeEPSL_NS1_7vsmem_tEENKUlT_SJ_SK_SL_E_clISE_PxSF_SF_EESI_SY_SJ_SK_SL_EUlSY_E1_NS1_11comp_targetILNS1_3genE2ELNS1_11target_archE906ELNS1_3gpuE6ELNS1_3repE0EEENS1_36merge_oddeven_config_static_selectorELNS0_4arch9wavefront6targetE0EEEvSK_
                                        ; -- End function
	.set _ZN7rocprim17ROCPRIM_400000_NS6detail17trampoline_kernelINS0_14default_configENS1_38merge_sort_block_merge_config_selectorIxNS0_10empty_typeEEEZZNS1_27merge_sort_block_merge_implIS3_N6thrust23THRUST_200600_302600_NS6detail15normal_iteratorINS9_10device_ptrIxEEEEPS5_m9comp_mod3IxEEE10hipError_tT0_T1_T2_jT3_P12ihipStream_tbPNSt15iterator_traitsISJ_E10value_typeEPNSP_ISK_E10value_typeEPSL_NS1_7vsmem_tEENKUlT_SJ_SK_SL_E_clISE_PxSF_SF_EESI_SY_SJ_SK_SL_EUlSY_E1_NS1_11comp_targetILNS1_3genE2ELNS1_11target_archE906ELNS1_3gpuE6ELNS1_3repE0EEENS1_36merge_oddeven_config_static_selectorELNS0_4arch9wavefront6targetE0EEEvSK_.num_vgpr, 0
	.set _ZN7rocprim17ROCPRIM_400000_NS6detail17trampoline_kernelINS0_14default_configENS1_38merge_sort_block_merge_config_selectorIxNS0_10empty_typeEEEZZNS1_27merge_sort_block_merge_implIS3_N6thrust23THRUST_200600_302600_NS6detail15normal_iteratorINS9_10device_ptrIxEEEEPS5_m9comp_mod3IxEEE10hipError_tT0_T1_T2_jT3_P12ihipStream_tbPNSt15iterator_traitsISJ_E10value_typeEPNSP_ISK_E10value_typeEPSL_NS1_7vsmem_tEENKUlT_SJ_SK_SL_E_clISE_PxSF_SF_EESI_SY_SJ_SK_SL_EUlSY_E1_NS1_11comp_targetILNS1_3genE2ELNS1_11target_archE906ELNS1_3gpuE6ELNS1_3repE0EEENS1_36merge_oddeven_config_static_selectorELNS0_4arch9wavefront6targetE0EEEvSK_.num_agpr, 0
	.set _ZN7rocprim17ROCPRIM_400000_NS6detail17trampoline_kernelINS0_14default_configENS1_38merge_sort_block_merge_config_selectorIxNS0_10empty_typeEEEZZNS1_27merge_sort_block_merge_implIS3_N6thrust23THRUST_200600_302600_NS6detail15normal_iteratorINS9_10device_ptrIxEEEEPS5_m9comp_mod3IxEEE10hipError_tT0_T1_T2_jT3_P12ihipStream_tbPNSt15iterator_traitsISJ_E10value_typeEPNSP_ISK_E10value_typeEPSL_NS1_7vsmem_tEENKUlT_SJ_SK_SL_E_clISE_PxSF_SF_EESI_SY_SJ_SK_SL_EUlSY_E1_NS1_11comp_targetILNS1_3genE2ELNS1_11target_archE906ELNS1_3gpuE6ELNS1_3repE0EEENS1_36merge_oddeven_config_static_selectorELNS0_4arch9wavefront6targetE0EEEvSK_.numbered_sgpr, 0
	.set _ZN7rocprim17ROCPRIM_400000_NS6detail17trampoline_kernelINS0_14default_configENS1_38merge_sort_block_merge_config_selectorIxNS0_10empty_typeEEEZZNS1_27merge_sort_block_merge_implIS3_N6thrust23THRUST_200600_302600_NS6detail15normal_iteratorINS9_10device_ptrIxEEEEPS5_m9comp_mod3IxEEE10hipError_tT0_T1_T2_jT3_P12ihipStream_tbPNSt15iterator_traitsISJ_E10value_typeEPNSP_ISK_E10value_typeEPSL_NS1_7vsmem_tEENKUlT_SJ_SK_SL_E_clISE_PxSF_SF_EESI_SY_SJ_SK_SL_EUlSY_E1_NS1_11comp_targetILNS1_3genE2ELNS1_11target_archE906ELNS1_3gpuE6ELNS1_3repE0EEENS1_36merge_oddeven_config_static_selectorELNS0_4arch9wavefront6targetE0EEEvSK_.num_named_barrier, 0
	.set _ZN7rocprim17ROCPRIM_400000_NS6detail17trampoline_kernelINS0_14default_configENS1_38merge_sort_block_merge_config_selectorIxNS0_10empty_typeEEEZZNS1_27merge_sort_block_merge_implIS3_N6thrust23THRUST_200600_302600_NS6detail15normal_iteratorINS9_10device_ptrIxEEEEPS5_m9comp_mod3IxEEE10hipError_tT0_T1_T2_jT3_P12ihipStream_tbPNSt15iterator_traitsISJ_E10value_typeEPNSP_ISK_E10value_typeEPSL_NS1_7vsmem_tEENKUlT_SJ_SK_SL_E_clISE_PxSF_SF_EESI_SY_SJ_SK_SL_EUlSY_E1_NS1_11comp_targetILNS1_3genE2ELNS1_11target_archE906ELNS1_3gpuE6ELNS1_3repE0EEENS1_36merge_oddeven_config_static_selectorELNS0_4arch9wavefront6targetE0EEEvSK_.private_seg_size, 0
	.set _ZN7rocprim17ROCPRIM_400000_NS6detail17trampoline_kernelINS0_14default_configENS1_38merge_sort_block_merge_config_selectorIxNS0_10empty_typeEEEZZNS1_27merge_sort_block_merge_implIS3_N6thrust23THRUST_200600_302600_NS6detail15normal_iteratorINS9_10device_ptrIxEEEEPS5_m9comp_mod3IxEEE10hipError_tT0_T1_T2_jT3_P12ihipStream_tbPNSt15iterator_traitsISJ_E10value_typeEPNSP_ISK_E10value_typeEPSL_NS1_7vsmem_tEENKUlT_SJ_SK_SL_E_clISE_PxSF_SF_EESI_SY_SJ_SK_SL_EUlSY_E1_NS1_11comp_targetILNS1_3genE2ELNS1_11target_archE906ELNS1_3gpuE6ELNS1_3repE0EEENS1_36merge_oddeven_config_static_selectorELNS0_4arch9wavefront6targetE0EEEvSK_.uses_vcc, 0
	.set _ZN7rocprim17ROCPRIM_400000_NS6detail17trampoline_kernelINS0_14default_configENS1_38merge_sort_block_merge_config_selectorIxNS0_10empty_typeEEEZZNS1_27merge_sort_block_merge_implIS3_N6thrust23THRUST_200600_302600_NS6detail15normal_iteratorINS9_10device_ptrIxEEEEPS5_m9comp_mod3IxEEE10hipError_tT0_T1_T2_jT3_P12ihipStream_tbPNSt15iterator_traitsISJ_E10value_typeEPNSP_ISK_E10value_typeEPSL_NS1_7vsmem_tEENKUlT_SJ_SK_SL_E_clISE_PxSF_SF_EESI_SY_SJ_SK_SL_EUlSY_E1_NS1_11comp_targetILNS1_3genE2ELNS1_11target_archE906ELNS1_3gpuE6ELNS1_3repE0EEENS1_36merge_oddeven_config_static_selectorELNS0_4arch9wavefront6targetE0EEEvSK_.uses_flat_scratch, 0
	.set _ZN7rocprim17ROCPRIM_400000_NS6detail17trampoline_kernelINS0_14default_configENS1_38merge_sort_block_merge_config_selectorIxNS0_10empty_typeEEEZZNS1_27merge_sort_block_merge_implIS3_N6thrust23THRUST_200600_302600_NS6detail15normal_iteratorINS9_10device_ptrIxEEEEPS5_m9comp_mod3IxEEE10hipError_tT0_T1_T2_jT3_P12ihipStream_tbPNSt15iterator_traitsISJ_E10value_typeEPNSP_ISK_E10value_typeEPSL_NS1_7vsmem_tEENKUlT_SJ_SK_SL_E_clISE_PxSF_SF_EESI_SY_SJ_SK_SL_EUlSY_E1_NS1_11comp_targetILNS1_3genE2ELNS1_11target_archE906ELNS1_3gpuE6ELNS1_3repE0EEENS1_36merge_oddeven_config_static_selectorELNS0_4arch9wavefront6targetE0EEEvSK_.has_dyn_sized_stack, 0
	.set _ZN7rocprim17ROCPRIM_400000_NS6detail17trampoline_kernelINS0_14default_configENS1_38merge_sort_block_merge_config_selectorIxNS0_10empty_typeEEEZZNS1_27merge_sort_block_merge_implIS3_N6thrust23THRUST_200600_302600_NS6detail15normal_iteratorINS9_10device_ptrIxEEEEPS5_m9comp_mod3IxEEE10hipError_tT0_T1_T2_jT3_P12ihipStream_tbPNSt15iterator_traitsISJ_E10value_typeEPNSP_ISK_E10value_typeEPSL_NS1_7vsmem_tEENKUlT_SJ_SK_SL_E_clISE_PxSF_SF_EESI_SY_SJ_SK_SL_EUlSY_E1_NS1_11comp_targetILNS1_3genE2ELNS1_11target_archE906ELNS1_3gpuE6ELNS1_3repE0EEENS1_36merge_oddeven_config_static_selectorELNS0_4arch9wavefront6targetE0EEEvSK_.has_recursion, 0
	.set _ZN7rocprim17ROCPRIM_400000_NS6detail17trampoline_kernelINS0_14default_configENS1_38merge_sort_block_merge_config_selectorIxNS0_10empty_typeEEEZZNS1_27merge_sort_block_merge_implIS3_N6thrust23THRUST_200600_302600_NS6detail15normal_iteratorINS9_10device_ptrIxEEEEPS5_m9comp_mod3IxEEE10hipError_tT0_T1_T2_jT3_P12ihipStream_tbPNSt15iterator_traitsISJ_E10value_typeEPNSP_ISK_E10value_typeEPSL_NS1_7vsmem_tEENKUlT_SJ_SK_SL_E_clISE_PxSF_SF_EESI_SY_SJ_SK_SL_EUlSY_E1_NS1_11comp_targetILNS1_3genE2ELNS1_11target_archE906ELNS1_3gpuE6ELNS1_3repE0EEENS1_36merge_oddeven_config_static_selectorELNS0_4arch9wavefront6targetE0EEEvSK_.has_indirect_call, 0
	.section	.AMDGPU.csdata,"",@progbits
; Kernel info:
; codeLenInByte = 0
; TotalNumSgprs: 0
; NumVgprs: 0
; ScratchSize: 0
; MemoryBound: 0
; FloatMode: 240
; IeeeMode: 1
; LDSByteSize: 0 bytes/workgroup (compile time only)
; SGPRBlocks: 0
; VGPRBlocks: 0
; NumSGPRsForWavesPerEU: 1
; NumVGPRsForWavesPerEU: 1
; Occupancy: 16
; WaveLimiterHint : 0
; COMPUTE_PGM_RSRC2:SCRATCH_EN: 0
; COMPUTE_PGM_RSRC2:USER_SGPR: 6
; COMPUTE_PGM_RSRC2:TRAP_HANDLER: 0
; COMPUTE_PGM_RSRC2:TGID_X_EN: 1
; COMPUTE_PGM_RSRC2:TGID_Y_EN: 0
; COMPUTE_PGM_RSRC2:TGID_Z_EN: 0
; COMPUTE_PGM_RSRC2:TIDIG_COMP_CNT: 0
	.section	.text._ZN7rocprim17ROCPRIM_400000_NS6detail17trampoline_kernelINS0_14default_configENS1_38merge_sort_block_merge_config_selectorIxNS0_10empty_typeEEEZZNS1_27merge_sort_block_merge_implIS3_N6thrust23THRUST_200600_302600_NS6detail15normal_iteratorINS9_10device_ptrIxEEEEPS5_m9comp_mod3IxEEE10hipError_tT0_T1_T2_jT3_P12ihipStream_tbPNSt15iterator_traitsISJ_E10value_typeEPNSP_ISK_E10value_typeEPSL_NS1_7vsmem_tEENKUlT_SJ_SK_SL_E_clISE_PxSF_SF_EESI_SY_SJ_SK_SL_EUlSY_E1_NS1_11comp_targetILNS1_3genE9ELNS1_11target_archE1100ELNS1_3gpuE3ELNS1_3repE0EEENS1_36merge_oddeven_config_static_selectorELNS0_4arch9wavefront6targetE0EEEvSK_,"axG",@progbits,_ZN7rocprim17ROCPRIM_400000_NS6detail17trampoline_kernelINS0_14default_configENS1_38merge_sort_block_merge_config_selectorIxNS0_10empty_typeEEEZZNS1_27merge_sort_block_merge_implIS3_N6thrust23THRUST_200600_302600_NS6detail15normal_iteratorINS9_10device_ptrIxEEEEPS5_m9comp_mod3IxEEE10hipError_tT0_T1_T2_jT3_P12ihipStream_tbPNSt15iterator_traitsISJ_E10value_typeEPNSP_ISK_E10value_typeEPSL_NS1_7vsmem_tEENKUlT_SJ_SK_SL_E_clISE_PxSF_SF_EESI_SY_SJ_SK_SL_EUlSY_E1_NS1_11comp_targetILNS1_3genE9ELNS1_11target_archE1100ELNS1_3gpuE3ELNS1_3repE0EEENS1_36merge_oddeven_config_static_selectorELNS0_4arch9wavefront6targetE0EEEvSK_,comdat
	.protected	_ZN7rocprim17ROCPRIM_400000_NS6detail17trampoline_kernelINS0_14default_configENS1_38merge_sort_block_merge_config_selectorIxNS0_10empty_typeEEEZZNS1_27merge_sort_block_merge_implIS3_N6thrust23THRUST_200600_302600_NS6detail15normal_iteratorINS9_10device_ptrIxEEEEPS5_m9comp_mod3IxEEE10hipError_tT0_T1_T2_jT3_P12ihipStream_tbPNSt15iterator_traitsISJ_E10value_typeEPNSP_ISK_E10value_typeEPSL_NS1_7vsmem_tEENKUlT_SJ_SK_SL_E_clISE_PxSF_SF_EESI_SY_SJ_SK_SL_EUlSY_E1_NS1_11comp_targetILNS1_3genE9ELNS1_11target_archE1100ELNS1_3gpuE3ELNS1_3repE0EEENS1_36merge_oddeven_config_static_selectorELNS0_4arch9wavefront6targetE0EEEvSK_ ; -- Begin function _ZN7rocprim17ROCPRIM_400000_NS6detail17trampoline_kernelINS0_14default_configENS1_38merge_sort_block_merge_config_selectorIxNS0_10empty_typeEEEZZNS1_27merge_sort_block_merge_implIS3_N6thrust23THRUST_200600_302600_NS6detail15normal_iteratorINS9_10device_ptrIxEEEEPS5_m9comp_mod3IxEEE10hipError_tT0_T1_T2_jT3_P12ihipStream_tbPNSt15iterator_traitsISJ_E10value_typeEPNSP_ISK_E10value_typeEPSL_NS1_7vsmem_tEENKUlT_SJ_SK_SL_E_clISE_PxSF_SF_EESI_SY_SJ_SK_SL_EUlSY_E1_NS1_11comp_targetILNS1_3genE9ELNS1_11target_archE1100ELNS1_3gpuE3ELNS1_3repE0EEENS1_36merge_oddeven_config_static_selectorELNS0_4arch9wavefront6targetE0EEEvSK_
	.globl	_ZN7rocprim17ROCPRIM_400000_NS6detail17trampoline_kernelINS0_14default_configENS1_38merge_sort_block_merge_config_selectorIxNS0_10empty_typeEEEZZNS1_27merge_sort_block_merge_implIS3_N6thrust23THRUST_200600_302600_NS6detail15normal_iteratorINS9_10device_ptrIxEEEEPS5_m9comp_mod3IxEEE10hipError_tT0_T1_T2_jT3_P12ihipStream_tbPNSt15iterator_traitsISJ_E10value_typeEPNSP_ISK_E10value_typeEPSL_NS1_7vsmem_tEENKUlT_SJ_SK_SL_E_clISE_PxSF_SF_EESI_SY_SJ_SK_SL_EUlSY_E1_NS1_11comp_targetILNS1_3genE9ELNS1_11target_archE1100ELNS1_3gpuE3ELNS1_3repE0EEENS1_36merge_oddeven_config_static_selectorELNS0_4arch9wavefront6targetE0EEEvSK_
	.p2align	8
	.type	_ZN7rocprim17ROCPRIM_400000_NS6detail17trampoline_kernelINS0_14default_configENS1_38merge_sort_block_merge_config_selectorIxNS0_10empty_typeEEEZZNS1_27merge_sort_block_merge_implIS3_N6thrust23THRUST_200600_302600_NS6detail15normal_iteratorINS9_10device_ptrIxEEEEPS5_m9comp_mod3IxEEE10hipError_tT0_T1_T2_jT3_P12ihipStream_tbPNSt15iterator_traitsISJ_E10value_typeEPNSP_ISK_E10value_typeEPSL_NS1_7vsmem_tEENKUlT_SJ_SK_SL_E_clISE_PxSF_SF_EESI_SY_SJ_SK_SL_EUlSY_E1_NS1_11comp_targetILNS1_3genE9ELNS1_11target_archE1100ELNS1_3gpuE3ELNS1_3repE0EEENS1_36merge_oddeven_config_static_selectorELNS0_4arch9wavefront6targetE0EEEvSK_,@function
_ZN7rocprim17ROCPRIM_400000_NS6detail17trampoline_kernelINS0_14default_configENS1_38merge_sort_block_merge_config_selectorIxNS0_10empty_typeEEEZZNS1_27merge_sort_block_merge_implIS3_N6thrust23THRUST_200600_302600_NS6detail15normal_iteratorINS9_10device_ptrIxEEEEPS5_m9comp_mod3IxEEE10hipError_tT0_T1_T2_jT3_P12ihipStream_tbPNSt15iterator_traitsISJ_E10value_typeEPNSP_ISK_E10value_typeEPSL_NS1_7vsmem_tEENKUlT_SJ_SK_SL_E_clISE_PxSF_SF_EESI_SY_SJ_SK_SL_EUlSY_E1_NS1_11comp_targetILNS1_3genE9ELNS1_11target_archE1100ELNS1_3gpuE3ELNS1_3repE0EEENS1_36merge_oddeven_config_static_selectorELNS0_4arch9wavefront6targetE0EEEvSK_: ; @_ZN7rocprim17ROCPRIM_400000_NS6detail17trampoline_kernelINS0_14default_configENS1_38merge_sort_block_merge_config_selectorIxNS0_10empty_typeEEEZZNS1_27merge_sort_block_merge_implIS3_N6thrust23THRUST_200600_302600_NS6detail15normal_iteratorINS9_10device_ptrIxEEEEPS5_m9comp_mod3IxEEE10hipError_tT0_T1_T2_jT3_P12ihipStream_tbPNSt15iterator_traitsISJ_E10value_typeEPNSP_ISK_E10value_typeEPSL_NS1_7vsmem_tEENKUlT_SJ_SK_SL_E_clISE_PxSF_SF_EESI_SY_SJ_SK_SL_EUlSY_E1_NS1_11comp_targetILNS1_3genE9ELNS1_11target_archE1100ELNS1_3gpuE3ELNS1_3repE0EEENS1_36merge_oddeven_config_static_selectorELNS0_4arch9wavefront6targetE0EEEvSK_
; %bb.0:
	.section	.rodata,"a",@progbits
	.p2align	6, 0x0
	.amdhsa_kernel _ZN7rocprim17ROCPRIM_400000_NS6detail17trampoline_kernelINS0_14default_configENS1_38merge_sort_block_merge_config_selectorIxNS0_10empty_typeEEEZZNS1_27merge_sort_block_merge_implIS3_N6thrust23THRUST_200600_302600_NS6detail15normal_iteratorINS9_10device_ptrIxEEEEPS5_m9comp_mod3IxEEE10hipError_tT0_T1_T2_jT3_P12ihipStream_tbPNSt15iterator_traitsISJ_E10value_typeEPNSP_ISK_E10value_typeEPSL_NS1_7vsmem_tEENKUlT_SJ_SK_SL_E_clISE_PxSF_SF_EESI_SY_SJ_SK_SL_EUlSY_E1_NS1_11comp_targetILNS1_3genE9ELNS1_11target_archE1100ELNS1_3gpuE3ELNS1_3repE0EEENS1_36merge_oddeven_config_static_selectorELNS0_4arch9wavefront6targetE0EEEvSK_
		.amdhsa_group_segment_fixed_size 0
		.amdhsa_private_segment_fixed_size 0
		.amdhsa_kernarg_size 56
		.amdhsa_user_sgpr_count 6
		.amdhsa_user_sgpr_private_segment_buffer 1
		.amdhsa_user_sgpr_dispatch_ptr 0
		.amdhsa_user_sgpr_queue_ptr 0
		.amdhsa_user_sgpr_kernarg_segment_ptr 1
		.amdhsa_user_sgpr_dispatch_id 0
		.amdhsa_user_sgpr_flat_scratch_init 0
		.amdhsa_user_sgpr_private_segment_size 0
		.amdhsa_wavefront_size32 1
		.amdhsa_uses_dynamic_stack 0
		.amdhsa_system_sgpr_private_segment_wavefront_offset 0
		.amdhsa_system_sgpr_workgroup_id_x 1
		.amdhsa_system_sgpr_workgroup_id_y 0
		.amdhsa_system_sgpr_workgroup_id_z 0
		.amdhsa_system_sgpr_workgroup_info 0
		.amdhsa_system_vgpr_workitem_id 0
		.amdhsa_next_free_vgpr 1
		.amdhsa_next_free_sgpr 1
		.amdhsa_reserve_vcc 0
		.amdhsa_reserve_flat_scratch 0
		.amdhsa_float_round_mode_32 0
		.amdhsa_float_round_mode_16_64 0
		.amdhsa_float_denorm_mode_32 3
		.amdhsa_float_denorm_mode_16_64 3
		.amdhsa_dx10_clamp 1
		.amdhsa_ieee_mode 1
		.amdhsa_fp16_overflow 0
		.amdhsa_workgroup_processor_mode 1
		.amdhsa_memory_ordered 1
		.amdhsa_forward_progress 1
		.amdhsa_shared_vgpr_count 0
		.amdhsa_exception_fp_ieee_invalid_op 0
		.amdhsa_exception_fp_denorm_src 0
		.amdhsa_exception_fp_ieee_div_zero 0
		.amdhsa_exception_fp_ieee_overflow 0
		.amdhsa_exception_fp_ieee_underflow 0
		.amdhsa_exception_fp_ieee_inexact 0
		.amdhsa_exception_int_div_zero 0
	.end_amdhsa_kernel
	.section	.text._ZN7rocprim17ROCPRIM_400000_NS6detail17trampoline_kernelINS0_14default_configENS1_38merge_sort_block_merge_config_selectorIxNS0_10empty_typeEEEZZNS1_27merge_sort_block_merge_implIS3_N6thrust23THRUST_200600_302600_NS6detail15normal_iteratorINS9_10device_ptrIxEEEEPS5_m9comp_mod3IxEEE10hipError_tT0_T1_T2_jT3_P12ihipStream_tbPNSt15iterator_traitsISJ_E10value_typeEPNSP_ISK_E10value_typeEPSL_NS1_7vsmem_tEENKUlT_SJ_SK_SL_E_clISE_PxSF_SF_EESI_SY_SJ_SK_SL_EUlSY_E1_NS1_11comp_targetILNS1_3genE9ELNS1_11target_archE1100ELNS1_3gpuE3ELNS1_3repE0EEENS1_36merge_oddeven_config_static_selectorELNS0_4arch9wavefront6targetE0EEEvSK_,"axG",@progbits,_ZN7rocprim17ROCPRIM_400000_NS6detail17trampoline_kernelINS0_14default_configENS1_38merge_sort_block_merge_config_selectorIxNS0_10empty_typeEEEZZNS1_27merge_sort_block_merge_implIS3_N6thrust23THRUST_200600_302600_NS6detail15normal_iteratorINS9_10device_ptrIxEEEEPS5_m9comp_mod3IxEEE10hipError_tT0_T1_T2_jT3_P12ihipStream_tbPNSt15iterator_traitsISJ_E10value_typeEPNSP_ISK_E10value_typeEPSL_NS1_7vsmem_tEENKUlT_SJ_SK_SL_E_clISE_PxSF_SF_EESI_SY_SJ_SK_SL_EUlSY_E1_NS1_11comp_targetILNS1_3genE9ELNS1_11target_archE1100ELNS1_3gpuE3ELNS1_3repE0EEENS1_36merge_oddeven_config_static_selectorELNS0_4arch9wavefront6targetE0EEEvSK_,comdat
.Lfunc_end977:
	.size	_ZN7rocprim17ROCPRIM_400000_NS6detail17trampoline_kernelINS0_14default_configENS1_38merge_sort_block_merge_config_selectorIxNS0_10empty_typeEEEZZNS1_27merge_sort_block_merge_implIS3_N6thrust23THRUST_200600_302600_NS6detail15normal_iteratorINS9_10device_ptrIxEEEEPS5_m9comp_mod3IxEEE10hipError_tT0_T1_T2_jT3_P12ihipStream_tbPNSt15iterator_traitsISJ_E10value_typeEPNSP_ISK_E10value_typeEPSL_NS1_7vsmem_tEENKUlT_SJ_SK_SL_E_clISE_PxSF_SF_EESI_SY_SJ_SK_SL_EUlSY_E1_NS1_11comp_targetILNS1_3genE9ELNS1_11target_archE1100ELNS1_3gpuE3ELNS1_3repE0EEENS1_36merge_oddeven_config_static_selectorELNS0_4arch9wavefront6targetE0EEEvSK_, .Lfunc_end977-_ZN7rocprim17ROCPRIM_400000_NS6detail17trampoline_kernelINS0_14default_configENS1_38merge_sort_block_merge_config_selectorIxNS0_10empty_typeEEEZZNS1_27merge_sort_block_merge_implIS3_N6thrust23THRUST_200600_302600_NS6detail15normal_iteratorINS9_10device_ptrIxEEEEPS5_m9comp_mod3IxEEE10hipError_tT0_T1_T2_jT3_P12ihipStream_tbPNSt15iterator_traitsISJ_E10value_typeEPNSP_ISK_E10value_typeEPSL_NS1_7vsmem_tEENKUlT_SJ_SK_SL_E_clISE_PxSF_SF_EESI_SY_SJ_SK_SL_EUlSY_E1_NS1_11comp_targetILNS1_3genE9ELNS1_11target_archE1100ELNS1_3gpuE3ELNS1_3repE0EEENS1_36merge_oddeven_config_static_selectorELNS0_4arch9wavefront6targetE0EEEvSK_
                                        ; -- End function
	.set _ZN7rocprim17ROCPRIM_400000_NS6detail17trampoline_kernelINS0_14default_configENS1_38merge_sort_block_merge_config_selectorIxNS0_10empty_typeEEEZZNS1_27merge_sort_block_merge_implIS3_N6thrust23THRUST_200600_302600_NS6detail15normal_iteratorINS9_10device_ptrIxEEEEPS5_m9comp_mod3IxEEE10hipError_tT0_T1_T2_jT3_P12ihipStream_tbPNSt15iterator_traitsISJ_E10value_typeEPNSP_ISK_E10value_typeEPSL_NS1_7vsmem_tEENKUlT_SJ_SK_SL_E_clISE_PxSF_SF_EESI_SY_SJ_SK_SL_EUlSY_E1_NS1_11comp_targetILNS1_3genE9ELNS1_11target_archE1100ELNS1_3gpuE3ELNS1_3repE0EEENS1_36merge_oddeven_config_static_selectorELNS0_4arch9wavefront6targetE0EEEvSK_.num_vgpr, 0
	.set _ZN7rocprim17ROCPRIM_400000_NS6detail17trampoline_kernelINS0_14default_configENS1_38merge_sort_block_merge_config_selectorIxNS0_10empty_typeEEEZZNS1_27merge_sort_block_merge_implIS3_N6thrust23THRUST_200600_302600_NS6detail15normal_iteratorINS9_10device_ptrIxEEEEPS5_m9comp_mod3IxEEE10hipError_tT0_T1_T2_jT3_P12ihipStream_tbPNSt15iterator_traitsISJ_E10value_typeEPNSP_ISK_E10value_typeEPSL_NS1_7vsmem_tEENKUlT_SJ_SK_SL_E_clISE_PxSF_SF_EESI_SY_SJ_SK_SL_EUlSY_E1_NS1_11comp_targetILNS1_3genE9ELNS1_11target_archE1100ELNS1_3gpuE3ELNS1_3repE0EEENS1_36merge_oddeven_config_static_selectorELNS0_4arch9wavefront6targetE0EEEvSK_.num_agpr, 0
	.set _ZN7rocprim17ROCPRIM_400000_NS6detail17trampoline_kernelINS0_14default_configENS1_38merge_sort_block_merge_config_selectorIxNS0_10empty_typeEEEZZNS1_27merge_sort_block_merge_implIS3_N6thrust23THRUST_200600_302600_NS6detail15normal_iteratorINS9_10device_ptrIxEEEEPS5_m9comp_mod3IxEEE10hipError_tT0_T1_T2_jT3_P12ihipStream_tbPNSt15iterator_traitsISJ_E10value_typeEPNSP_ISK_E10value_typeEPSL_NS1_7vsmem_tEENKUlT_SJ_SK_SL_E_clISE_PxSF_SF_EESI_SY_SJ_SK_SL_EUlSY_E1_NS1_11comp_targetILNS1_3genE9ELNS1_11target_archE1100ELNS1_3gpuE3ELNS1_3repE0EEENS1_36merge_oddeven_config_static_selectorELNS0_4arch9wavefront6targetE0EEEvSK_.numbered_sgpr, 0
	.set _ZN7rocprim17ROCPRIM_400000_NS6detail17trampoline_kernelINS0_14default_configENS1_38merge_sort_block_merge_config_selectorIxNS0_10empty_typeEEEZZNS1_27merge_sort_block_merge_implIS3_N6thrust23THRUST_200600_302600_NS6detail15normal_iteratorINS9_10device_ptrIxEEEEPS5_m9comp_mod3IxEEE10hipError_tT0_T1_T2_jT3_P12ihipStream_tbPNSt15iterator_traitsISJ_E10value_typeEPNSP_ISK_E10value_typeEPSL_NS1_7vsmem_tEENKUlT_SJ_SK_SL_E_clISE_PxSF_SF_EESI_SY_SJ_SK_SL_EUlSY_E1_NS1_11comp_targetILNS1_3genE9ELNS1_11target_archE1100ELNS1_3gpuE3ELNS1_3repE0EEENS1_36merge_oddeven_config_static_selectorELNS0_4arch9wavefront6targetE0EEEvSK_.num_named_barrier, 0
	.set _ZN7rocprim17ROCPRIM_400000_NS6detail17trampoline_kernelINS0_14default_configENS1_38merge_sort_block_merge_config_selectorIxNS0_10empty_typeEEEZZNS1_27merge_sort_block_merge_implIS3_N6thrust23THRUST_200600_302600_NS6detail15normal_iteratorINS9_10device_ptrIxEEEEPS5_m9comp_mod3IxEEE10hipError_tT0_T1_T2_jT3_P12ihipStream_tbPNSt15iterator_traitsISJ_E10value_typeEPNSP_ISK_E10value_typeEPSL_NS1_7vsmem_tEENKUlT_SJ_SK_SL_E_clISE_PxSF_SF_EESI_SY_SJ_SK_SL_EUlSY_E1_NS1_11comp_targetILNS1_3genE9ELNS1_11target_archE1100ELNS1_3gpuE3ELNS1_3repE0EEENS1_36merge_oddeven_config_static_selectorELNS0_4arch9wavefront6targetE0EEEvSK_.private_seg_size, 0
	.set _ZN7rocprim17ROCPRIM_400000_NS6detail17trampoline_kernelINS0_14default_configENS1_38merge_sort_block_merge_config_selectorIxNS0_10empty_typeEEEZZNS1_27merge_sort_block_merge_implIS3_N6thrust23THRUST_200600_302600_NS6detail15normal_iteratorINS9_10device_ptrIxEEEEPS5_m9comp_mod3IxEEE10hipError_tT0_T1_T2_jT3_P12ihipStream_tbPNSt15iterator_traitsISJ_E10value_typeEPNSP_ISK_E10value_typeEPSL_NS1_7vsmem_tEENKUlT_SJ_SK_SL_E_clISE_PxSF_SF_EESI_SY_SJ_SK_SL_EUlSY_E1_NS1_11comp_targetILNS1_3genE9ELNS1_11target_archE1100ELNS1_3gpuE3ELNS1_3repE0EEENS1_36merge_oddeven_config_static_selectorELNS0_4arch9wavefront6targetE0EEEvSK_.uses_vcc, 0
	.set _ZN7rocprim17ROCPRIM_400000_NS6detail17trampoline_kernelINS0_14default_configENS1_38merge_sort_block_merge_config_selectorIxNS0_10empty_typeEEEZZNS1_27merge_sort_block_merge_implIS3_N6thrust23THRUST_200600_302600_NS6detail15normal_iteratorINS9_10device_ptrIxEEEEPS5_m9comp_mod3IxEEE10hipError_tT0_T1_T2_jT3_P12ihipStream_tbPNSt15iterator_traitsISJ_E10value_typeEPNSP_ISK_E10value_typeEPSL_NS1_7vsmem_tEENKUlT_SJ_SK_SL_E_clISE_PxSF_SF_EESI_SY_SJ_SK_SL_EUlSY_E1_NS1_11comp_targetILNS1_3genE9ELNS1_11target_archE1100ELNS1_3gpuE3ELNS1_3repE0EEENS1_36merge_oddeven_config_static_selectorELNS0_4arch9wavefront6targetE0EEEvSK_.uses_flat_scratch, 0
	.set _ZN7rocprim17ROCPRIM_400000_NS6detail17trampoline_kernelINS0_14default_configENS1_38merge_sort_block_merge_config_selectorIxNS0_10empty_typeEEEZZNS1_27merge_sort_block_merge_implIS3_N6thrust23THRUST_200600_302600_NS6detail15normal_iteratorINS9_10device_ptrIxEEEEPS5_m9comp_mod3IxEEE10hipError_tT0_T1_T2_jT3_P12ihipStream_tbPNSt15iterator_traitsISJ_E10value_typeEPNSP_ISK_E10value_typeEPSL_NS1_7vsmem_tEENKUlT_SJ_SK_SL_E_clISE_PxSF_SF_EESI_SY_SJ_SK_SL_EUlSY_E1_NS1_11comp_targetILNS1_3genE9ELNS1_11target_archE1100ELNS1_3gpuE3ELNS1_3repE0EEENS1_36merge_oddeven_config_static_selectorELNS0_4arch9wavefront6targetE0EEEvSK_.has_dyn_sized_stack, 0
	.set _ZN7rocprim17ROCPRIM_400000_NS6detail17trampoline_kernelINS0_14default_configENS1_38merge_sort_block_merge_config_selectorIxNS0_10empty_typeEEEZZNS1_27merge_sort_block_merge_implIS3_N6thrust23THRUST_200600_302600_NS6detail15normal_iteratorINS9_10device_ptrIxEEEEPS5_m9comp_mod3IxEEE10hipError_tT0_T1_T2_jT3_P12ihipStream_tbPNSt15iterator_traitsISJ_E10value_typeEPNSP_ISK_E10value_typeEPSL_NS1_7vsmem_tEENKUlT_SJ_SK_SL_E_clISE_PxSF_SF_EESI_SY_SJ_SK_SL_EUlSY_E1_NS1_11comp_targetILNS1_3genE9ELNS1_11target_archE1100ELNS1_3gpuE3ELNS1_3repE0EEENS1_36merge_oddeven_config_static_selectorELNS0_4arch9wavefront6targetE0EEEvSK_.has_recursion, 0
	.set _ZN7rocprim17ROCPRIM_400000_NS6detail17trampoline_kernelINS0_14default_configENS1_38merge_sort_block_merge_config_selectorIxNS0_10empty_typeEEEZZNS1_27merge_sort_block_merge_implIS3_N6thrust23THRUST_200600_302600_NS6detail15normal_iteratorINS9_10device_ptrIxEEEEPS5_m9comp_mod3IxEEE10hipError_tT0_T1_T2_jT3_P12ihipStream_tbPNSt15iterator_traitsISJ_E10value_typeEPNSP_ISK_E10value_typeEPSL_NS1_7vsmem_tEENKUlT_SJ_SK_SL_E_clISE_PxSF_SF_EESI_SY_SJ_SK_SL_EUlSY_E1_NS1_11comp_targetILNS1_3genE9ELNS1_11target_archE1100ELNS1_3gpuE3ELNS1_3repE0EEENS1_36merge_oddeven_config_static_selectorELNS0_4arch9wavefront6targetE0EEEvSK_.has_indirect_call, 0
	.section	.AMDGPU.csdata,"",@progbits
; Kernel info:
; codeLenInByte = 0
; TotalNumSgprs: 0
; NumVgprs: 0
; ScratchSize: 0
; MemoryBound: 0
; FloatMode: 240
; IeeeMode: 1
; LDSByteSize: 0 bytes/workgroup (compile time only)
; SGPRBlocks: 0
; VGPRBlocks: 0
; NumSGPRsForWavesPerEU: 1
; NumVGPRsForWavesPerEU: 1
; Occupancy: 16
; WaveLimiterHint : 0
; COMPUTE_PGM_RSRC2:SCRATCH_EN: 0
; COMPUTE_PGM_RSRC2:USER_SGPR: 6
; COMPUTE_PGM_RSRC2:TRAP_HANDLER: 0
; COMPUTE_PGM_RSRC2:TGID_X_EN: 1
; COMPUTE_PGM_RSRC2:TGID_Y_EN: 0
; COMPUTE_PGM_RSRC2:TGID_Z_EN: 0
; COMPUTE_PGM_RSRC2:TIDIG_COMP_CNT: 0
	.section	.text._ZN7rocprim17ROCPRIM_400000_NS6detail17trampoline_kernelINS0_14default_configENS1_38merge_sort_block_merge_config_selectorIxNS0_10empty_typeEEEZZNS1_27merge_sort_block_merge_implIS3_N6thrust23THRUST_200600_302600_NS6detail15normal_iteratorINS9_10device_ptrIxEEEEPS5_m9comp_mod3IxEEE10hipError_tT0_T1_T2_jT3_P12ihipStream_tbPNSt15iterator_traitsISJ_E10value_typeEPNSP_ISK_E10value_typeEPSL_NS1_7vsmem_tEENKUlT_SJ_SK_SL_E_clISE_PxSF_SF_EESI_SY_SJ_SK_SL_EUlSY_E1_NS1_11comp_targetILNS1_3genE8ELNS1_11target_archE1030ELNS1_3gpuE2ELNS1_3repE0EEENS1_36merge_oddeven_config_static_selectorELNS0_4arch9wavefront6targetE0EEEvSK_,"axG",@progbits,_ZN7rocprim17ROCPRIM_400000_NS6detail17trampoline_kernelINS0_14default_configENS1_38merge_sort_block_merge_config_selectorIxNS0_10empty_typeEEEZZNS1_27merge_sort_block_merge_implIS3_N6thrust23THRUST_200600_302600_NS6detail15normal_iteratorINS9_10device_ptrIxEEEEPS5_m9comp_mod3IxEEE10hipError_tT0_T1_T2_jT3_P12ihipStream_tbPNSt15iterator_traitsISJ_E10value_typeEPNSP_ISK_E10value_typeEPSL_NS1_7vsmem_tEENKUlT_SJ_SK_SL_E_clISE_PxSF_SF_EESI_SY_SJ_SK_SL_EUlSY_E1_NS1_11comp_targetILNS1_3genE8ELNS1_11target_archE1030ELNS1_3gpuE2ELNS1_3repE0EEENS1_36merge_oddeven_config_static_selectorELNS0_4arch9wavefront6targetE0EEEvSK_,comdat
	.protected	_ZN7rocprim17ROCPRIM_400000_NS6detail17trampoline_kernelINS0_14default_configENS1_38merge_sort_block_merge_config_selectorIxNS0_10empty_typeEEEZZNS1_27merge_sort_block_merge_implIS3_N6thrust23THRUST_200600_302600_NS6detail15normal_iteratorINS9_10device_ptrIxEEEEPS5_m9comp_mod3IxEEE10hipError_tT0_T1_T2_jT3_P12ihipStream_tbPNSt15iterator_traitsISJ_E10value_typeEPNSP_ISK_E10value_typeEPSL_NS1_7vsmem_tEENKUlT_SJ_SK_SL_E_clISE_PxSF_SF_EESI_SY_SJ_SK_SL_EUlSY_E1_NS1_11comp_targetILNS1_3genE8ELNS1_11target_archE1030ELNS1_3gpuE2ELNS1_3repE0EEENS1_36merge_oddeven_config_static_selectorELNS0_4arch9wavefront6targetE0EEEvSK_ ; -- Begin function _ZN7rocprim17ROCPRIM_400000_NS6detail17trampoline_kernelINS0_14default_configENS1_38merge_sort_block_merge_config_selectorIxNS0_10empty_typeEEEZZNS1_27merge_sort_block_merge_implIS3_N6thrust23THRUST_200600_302600_NS6detail15normal_iteratorINS9_10device_ptrIxEEEEPS5_m9comp_mod3IxEEE10hipError_tT0_T1_T2_jT3_P12ihipStream_tbPNSt15iterator_traitsISJ_E10value_typeEPNSP_ISK_E10value_typeEPSL_NS1_7vsmem_tEENKUlT_SJ_SK_SL_E_clISE_PxSF_SF_EESI_SY_SJ_SK_SL_EUlSY_E1_NS1_11comp_targetILNS1_3genE8ELNS1_11target_archE1030ELNS1_3gpuE2ELNS1_3repE0EEENS1_36merge_oddeven_config_static_selectorELNS0_4arch9wavefront6targetE0EEEvSK_
	.globl	_ZN7rocprim17ROCPRIM_400000_NS6detail17trampoline_kernelINS0_14default_configENS1_38merge_sort_block_merge_config_selectorIxNS0_10empty_typeEEEZZNS1_27merge_sort_block_merge_implIS3_N6thrust23THRUST_200600_302600_NS6detail15normal_iteratorINS9_10device_ptrIxEEEEPS5_m9comp_mod3IxEEE10hipError_tT0_T1_T2_jT3_P12ihipStream_tbPNSt15iterator_traitsISJ_E10value_typeEPNSP_ISK_E10value_typeEPSL_NS1_7vsmem_tEENKUlT_SJ_SK_SL_E_clISE_PxSF_SF_EESI_SY_SJ_SK_SL_EUlSY_E1_NS1_11comp_targetILNS1_3genE8ELNS1_11target_archE1030ELNS1_3gpuE2ELNS1_3repE0EEENS1_36merge_oddeven_config_static_selectorELNS0_4arch9wavefront6targetE0EEEvSK_
	.p2align	8
	.type	_ZN7rocprim17ROCPRIM_400000_NS6detail17trampoline_kernelINS0_14default_configENS1_38merge_sort_block_merge_config_selectorIxNS0_10empty_typeEEEZZNS1_27merge_sort_block_merge_implIS3_N6thrust23THRUST_200600_302600_NS6detail15normal_iteratorINS9_10device_ptrIxEEEEPS5_m9comp_mod3IxEEE10hipError_tT0_T1_T2_jT3_P12ihipStream_tbPNSt15iterator_traitsISJ_E10value_typeEPNSP_ISK_E10value_typeEPSL_NS1_7vsmem_tEENKUlT_SJ_SK_SL_E_clISE_PxSF_SF_EESI_SY_SJ_SK_SL_EUlSY_E1_NS1_11comp_targetILNS1_3genE8ELNS1_11target_archE1030ELNS1_3gpuE2ELNS1_3repE0EEENS1_36merge_oddeven_config_static_selectorELNS0_4arch9wavefront6targetE0EEEvSK_,@function
_ZN7rocprim17ROCPRIM_400000_NS6detail17trampoline_kernelINS0_14default_configENS1_38merge_sort_block_merge_config_selectorIxNS0_10empty_typeEEEZZNS1_27merge_sort_block_merge_implIS3_N6thrust23THRUST_200600_302600_NS6detail15normal_iteratorINS9_10device_ptrIxEEEEPS5_m9comp_mod3IxEEE10hipError_tT0_T1_T2_jT3_P12ihipStream_tbPNSt15iterator_traitsISJ_E10value_typeEPNSP_ISK_E10value_typeEPSL_NS1_7vsmem_tEENKUlT_SJ_SK_SL_E_clISE_PxSF_SF_EESI_SY_SJ_SK_SL_EUlSY_E1_NS1_11comp_targetILNS1_3genE8ELNS1_11target_archE1030ELNS1_3gpuE2ELNS1_3repE0EEENS1_36merge_oddeven_config_static_selectorELNS0_4arch9wavefront6targetE0EEEvSK_: ; @_ZN7rocprim17ROCPRIM_400000_NS6detail17trampoline_kernelINS0_14default_configENS1_38merge_sort_block_merge_config_selectorIxNS0_10empty_typeEEEZZNS1_27merge_sort_block_merge_implIS3_N6thrust23THRUST_200600_302600_NS6detail15normal_iteratorINS9_10device_ptrIxEEEEPS5_m9comp_mod3IxEEE10hipError_tT0_T1_T2_jT3_P12ihipStream_tbPNSt15iterator_traitsISJ_E10value_typeEPNSP_ISK_E10value_typeEPSL_NS1_7vsmem_tEENKUlT_SJ_SK_SL_E_clISE_PxSF_SF_EESI_SY_SJ_SK_SL_EUlSY_E1_NS1_11comp_targetILNS1_3genE8ELNS1_11target_archE1030ELNS1_3gpuE2ELNS1_3repE0EEENS1_36merge_oddeven_config_static_selectorELNS0_4arch9wavefront6targetE0EEEvSK_
; %bb.0:
	s_load_dword s7, s[4:5], 0x20
	s_waitcnt lgkmcnt(0)
	s_lshr_b32 s0, s7, 8
	s_cmp_lg_u32 s6, s0
	s_cselect_b32 s2, -1, 0
	s_cmp_eq_u32 s6, s0
	s_cselect_b32 s14, -1, 0
	s_lshl_b32 s12, s6, 8
	s_sub_i32 s0, s7, s12
	v_cmp_gt_u32_e64 s0, s0, v0
	s_or_b32 s1, s2, s0
	s_and_saveexec_b32 s3, s1
	s_cbranch_execz .LBB978_28
; %bb.1:
	s_clause 0x1
	s_load_dwordx4 s[8:11], s[4:5], 0x0
	s_load_dword s15, s[4:5], 0x28
	s_mov_b32 s13, 0
	v_lshlrev_b32_e32 v1, 3, v0
	s_lshl_b64 s[16:17], s[12:13], 3
	v_add_nc_u32_e32 v5, s12, v0
	s_waitcnt lgkmcnt(0)
	s_add_u32 s16, s8, s16
	s_addc_u32 s17, s9, s17
	s_lshr_b32 s1, s15, 8
	global_load_dwordx2 v[1:2], v1, s[16:17]
	s_sub_i32 s3, 0, s1
	s_and_b32 s3, s6, s3
	s_and_b32 s6, s3, s1
	s_cmp_lg_u32 s6, 0
	s_cselect_b32 s1, -1, 0
	s_lshl_b32 s16, s3, 8
	s_sub_i32 s3, 0, s15
	s_cmp_eq_u32 s6, 0
	s_cselect_b32 s6, s15, s3
	s_add_i32 s6, s6, s16
	s_cmp_lt_u32 s6, s7
	s_cbranch_scc1 .LBB978_3
; %bb.2:
	v_cmp_gt_u32_e32 vcc_lo, s7, v5
	s_or_b32 s3, vcc_lo, s2
	s_and_b32 s13, s3, exec_lo
	s_cbranch_execz .LBB978_4
	s_branch .LBB978_26
.LBB978_3:
.LBB978_4:
	s_load_dwordx2 s[2:3], s[4:5], 0x30
	v_mov_b32_e32 v3, 0
	s_waitcnt vmcnt(0)
	v_mov_b32_e32 v4, v1
	s_min_u32 s4, s6, s7
	s_add_i32 s5, s16, s4
	s_add_i32 s12, s4, s15
	v_ashrrev_i64 v[3:4], 29, v[3:4]
	v_subrev_nc_u32_e32 v0, s5, v5
	s_min_u32 s5, s16, s4
	v_add_nc_u32_e32 v0, s5, v0
	s_min_u32 s5, s12, s7
	s_waitcnt lgkmcnt(0)
	v_add_co_u32 v3, vcc_lo, s2, v3
	v_add_co_ci_u32_e64 v4, null, s3, v4, vcc_lo
	s_and_b32 vcc_lo, exec_lo, s14
	s_cbranch_vccz .LBB978_13
; %bb.5:
                                        ; implicit-def: $vgpr5
	s_and_saveexec_b32 s7, s0
	s_cbranch_execz .LBB978_16
; %bb.6:
	v_mov_b32_e32 v9, s4
	s_cmp_ge_u32 s6, s5
	s_cbranch_scc1 .LBB978_15
; %bb.7:
	v_mov_b32_e32 v10, s5
	v_mov_b32_e32 v9, s4
	;; [unrolled: 1-line block ×3, first 2 shown]
	s_mov_b32 s0, 0
	s_branch .LBB978_9
.LBB978_8:                              ;   in Loop: Header=BB978_9 Depth=1
	s_waitcnt vmcnt(0)
	v_add_nc_u32_e32 v7, 1, v5
	v_cndmask_b32_e64 v10, v5, v10, s12
	v_cndmask_b32_e64 v9, v9, v7, s12
	v_cmp_ge_u32_e32 vcc_lo, v9, v10
	s_or_b32 s0, vcc_lo, s0
	s_andn2_b32 exec_lo, exec_lo, s0
	s_cbranch_execz .LBB978_14
.LBB978_9:                              ; =>This Inner Loop Header: Depth=1
	v_add_nc_u32_e32 v5, v9, v10
	s_mov_b32 s14, -1
                                        ; implicit-def: $sgpr12
	v_lshrrev_b32_e32 v5, 1, v5
	v_lshlrev_b64 v[7:8], 3, v[5:6]
	v_add_co_u32 v7, vcc_lo, s8, v7
	v_add_co_ci_u32_e64 v8, null, s9, v8, vcc_lo
	s_andn2_b32 vcc_lo, exec_lo, s1
	global_load_dwordx2 v[7:8], v[7:8], off
	s_cbranch_vccnz .LBB978_11
; %bb.10:                               ;   in Loop: Header=BB978_9 Depth=1
	v_mov_b32_e32 v11, v6
	s_waitcnt vmcnt(0)
	v_mov_b32_e32 v12, v7
	s_mov_b32 s14, 0
	v_ashrrev_i64 v[11:12], 29, v[11:12]
	v_add_co_u32 v11, vcc_lo, s2, v11
	v_add_co_ci_u32_e64 v12, null, s3, v12, vcc_lo
	s_clause 0x1
	global_load_dwordx2 v[13:14], v[3:4], off
	global_load_dwordx2 v[11:12], v[11:12], off
	s_waitcnt vmcnt(0)
	v_cmp_ge_i64_e64 s12, v[13:14], v[11:12]
.LBB978_11:                             ;   in Loop: Header=BB978_9 Depth=1
	s_andn2_b32 vcc_lo, exec_lo, s14
	s_cbranch_vccnz .LBB978_8
; %bb.12:                               ;   in Loop: Header=BB978_9 Depth=1
	v_mov_b32_e32 v11, v6
	s_waitcnt vmcnt(0)
	v_mov_b32_e32 v12, v7
	s_andn2_b32 s12, s12, exec_lo
	v_ashrrev_i64 v[7:8], 29, v[11:12]
	v_add_co_u32 v7, vcc_lo, s2, v7
	v_add_co_ci_u32_e64 v8, null, s3, v8, vcc_lo
	s_clause 0x1
	global_load_dwordx2 v[7:8], v[7:8], off
	global_load_dwordx2 v[11:12], v[3:4], off
	s_waitcnt vmcnt(0)
	v_cmp_lt_i64_e32 vcc_lo, v[7:8], v[11:12]
	s_and_b32 s14, vcc_lo, exec_lo
	s_or_b32 s12, s12, s14
	s_branch .LBB978_8
.LBB978_13:
                                        ; implicit-def: $vgpr5
	s_cbranch_execnz .LBB978_17
	s_branch .LBB978_26
.LBB978_14:
	s_or_b32 exec_lo, exec_lo, s0
.LBB978_15:
	v_add_nc_u32_e32 v5, v9, v0
	s_or_b32 s13, s13, exec_lo
.LBB978_16:
	s_or_b32 exec_lo, exec_lo, s7
	s_branch .LBB978_26
.LBB978_17:
	v_mov_b32_e32 v9, s4
	s_cmp_ge_u32 s6, s5
	s_cbranch_scc1 .LBB978_25
; %bb.18:
	v_mov_b32_e32 v10, s5
	v_mov_b32_e32 v9, s4
	;; [unrolled: 1-line block ×3, first 2 shown]
	s_mov_b32 s0, 0
	s_branch .LBB978_20
.LBB978_19:                             ;   in Loop: Header=BB978_20 Depth=1
	s_waitcnt vmcnt(0)
	v_add_nc_u32_e32 v7, 1, v5
	v_cndmask_b32_e64 v10, v5, v10, s4
	v_cndmask_b32_e64 v9, v9, v7, s4
	v_cmp_ge_u32_e32 vcc_lo, v9, v10
	s_or_b32 s0, vcc_lo, s0
	s_andn2_b32 exec_lo, exec_lo, s0
	s_cbranch_execz .LBB978_24
.LBB978_20:                             ; =>This Inner Loop Header: Depth=1
	v_add_nc_u32_e32 v5, v9, v10
	s_mov_b32 s5, -1
                                        ; implicit-def: $sgpr4
	v_lshrrev_b32_e32 v5, 1, v5
	v_lshlrev_b64 v[7:8], 3, v[5:6]
	v_add_co_u32 v7, vcc_lo, s8, v7
	v_add_co_ci_u32_e64 v8, null, s9, v8, vcc_lo
	s_andn2_b32 vcc_lo, exec_lo, s1
	global_load_dwordx2 v[7:8], v[7:8], off
	s_cbranch_vccnz .LBB978_22
; %bb.21:                               ;   in Loop: Header=BB978_20 Depth=1
	v_mov_b32_e32 v11, v6
	s_waitcnt vmcnt(0)
	v_mov_b32_e32 v12, v7
	s_mov_b32 s5, 0
	v_ashrrev_i64 v[11:12], 29, v[11:12]
	v_add_co_u32 v11, vcc_lo, s2, v11
	v_add_co_ci_u32_e64 v12, null, s3, v12, vcc_lo
	s_clause 0x1
	global_load_dwordx2 v[13:14], v[3:4], off
	global_load_dwordx2 v[11:12], v[11:12], off
	s_waitcnt vmcnt(0)
	v_cmp_ge_i64_e64 s4, v[13:14], v[11:12]
.LBB978_22:                             ;   in Loop: Header=BB978_20 Depth=1
	s_andn2_b32 vcc_lo, exec_lo, s5
	s_cbranch_vccnz .LBB978_19
; %bb.23:                               ;   in Loop: Header=BB978_20 Depth=1
	v_mov_b32_e32 v11, v6
	s_waitcnt vmcnt(0)
	v_mov_b32_e32 v12, v7
	s_andn2_b32 s4, s4, exec_lo
	v_ashrrev_i64 v[7:8], 29, v[11:12]
	v_add_co_u32 v7, vcc_lo, s2, v7
	v_add_co_ci_u32_e64 v8, null, s3, v8, vcc_lo
	s_clause 0x1
	global_load_dwordx2 v[7:8], v[7:8], off
	global_load_dwordx2 v[11:12], v[3:4], off
	s_waitcnt vmcnt(0)
	v_cmp_lt_i64_e32 vcc_lo, v[7:8], v[11:12]
	s_and_b32 s5, vcc_lo, exec_lo
	s_or_b32 s4, s4, s5
	s_branch .LBB978_19
.LBB978_24:
	s_or_b32 exec_lo, exec_lo, s0
.LBB978_25:
	v_add_nc_u32_e32 v5, v9, v0
	s_mov_b32 s13, -1
.LBB978_26:
	s_and_b32 exec_lo, exec_lo, s13
	s_cbranch_execz .LBB978_28
; %bb.27:
	v_mov_b32_e32 v6, 0
	v_lshlrev_b64 v[3:4], 3, v[5:6]
	v_add_co_u32 v3, vcc_lo, s10, v3
	v_add_co_ci_u32_e64 v4, null, s11, v4, vcc_lo
	s_waitcnt vmcnt(0)
	global_store_dwordx2 v[3:4], v[1:2], off
.LBB978_28:
	s_endpgm
	.section	.rodata,"a",@progbits
	.p2align	6, 0x0
	.amdhsa_kernel _ZN7rocprim17ROCPRIM_400000_NS6detail17trampoline_kernelINS0_14default_configENS1_38merge_sort_block_merge_config_selectorIxNS0_10empty_typeEEEZZNS1_27merge_sort_block_merge_implIS3_N6thrust23THRUST_200600_302600_NS6detail15normal_iteratorINS9_10device_ptrIxEEEEPS5_m9comp_mod3IxEEE10hipError_tT0_T1_T2_jT3_P12ihipStream_tbPNSt15iterator_traitsISJ_E10value_typeEPNSP_ISK_E10value_typeEPSL_NS1_7vsmem_tEENKUlT_SJ_SK_SL_E_clISE_PxSF_SF_EESI_SY_SJ_SK_SL_EUlSY_E1_NS1_11comp_targetILNS1_3genE8ELNS1_11target_archE1030ELNS1_3gpuE2ELNS1_3repE0EEENS1_36merge_oddeven_config_static_selectorELNS0_4arch9wavefront6targetE0EEEvSK_
		.amdhsa_group_segment_fixed_size 0
		.amdhsa_private_segment_fixed_size 0
		.amdhsa_kernarg_size 56
		.amdhsa_user_sgpr_count 6
		.amdhsa_user_sgpr_private_segment_buffer 1
		.amdhsa_user_sgpr_dispatch_ptr 0
		.amdhsa_user_sgpr_queue_ptr 0
		.amdhsa_user_sgpr_kernarg_segment_ptr 1
		.amdhsa_user_sgpr_dispatch_id 0
		.amdhsa_user_sgpr_flat_scratch_init 0
		.amdhsa_user_sgpr_private_segment_size 0
		.amdhsa_wavefront_size32 1
		.amdhsa_uses_dynamic_stack 0
		.amdhsa_system_sgpr_private_segment_wavefront_offset 0
		.amdhsa_system_sgpr_workgroup_id_x 1
		.amdhsa_system_sgpr_workgroup_id_y 0
		.amdhsa_system_sgpr_workgroup_id_z 0
		.amdhsa_system_sgpr_workgroup_info 0
		.amdhsa_system_vgpr_workitem_id 0
		.amdhsa_next_free_vgpr 15
		.amdhsa_next_free_sgpr 18
		.amdhsa_reserve_vcc 1
		.amdhsa_reserve_flat_scratch 0
		.amdhsa_float_round_mode_32 0
		.amdhsa_float_round_mode_16_64 0
		.amdhsa_float_denorm_mode_32 3
		.amdhsa_float_denorm_mode_16_64 3
		.amdhsa_dx10_clamp 1
		.amdhsa_ieee_mode 1
		.amdhsa_fp16_overflow 0
		.amdhsa_workgroup_processor_mode 1
		.amdhsa_memory_ordered 1
		.amdhsa_forward_progress 1
		.amdhsa_shared_vgpr_count 0
		.amdhsa_exception_fp_ieee_invalid_op 0
		.amdhsa_exception_fp_denorm_src 0
		.amdhsa_exception_fp_ieee_div_zero 0
		.amdhsa_exception_fp_ieee_overflow 0
		.amdhsa_exception_fp_ieee_underflow 0
		.amdhsa_exception_fp_ieee_inexact 0
		.amdhsa_exception_int_div_zero 0
	.end_amdhsa_kernel
	.section	.text._ZN7rocprim17ROCPRIM_400000_NS6detail17trampoline_kernelINS0_14default_configENS1_38merge_sort_block_merge_config_selectorIxNS0_10empty_typeEEEZZNS1_27merge_sort_block_merge_implIS3_N6thrust23THRUST_200600_302600_NS6detail15normal_iteratorINS9_10device_ptrIxEEEEPS5_m9comp_mod3IxEEE10hipError_tT0_T1_T2_jT3_P12ihipStream_tbPNSt15iterator_traitsISJ_E10value_typeEPNSP_ISK_E10value_typeEPSL_NS1_7vsmem_tEENKUlT_SJ_SK_SL_E_clISE_PxSF_SF_EESI_SY_SJ_SK_SL_EUlSY_E1_NS1_11comp_targetILNS1_3genE8ELNS1_11target_archE1030ELNS1_3gpuE2ELNS1_3repE0EEENS1_36merge_oddeven_config_static_selectorELNS0_4arch9wavefront6targetE0EEEvSK_,"axG",@progbits,_ZN7rocprim17ROCPRIM_400000_NS6detail17trampoline_kernelINS0_14default_configENS1_38merge_sort_block_merge_config_selectorIxNS0_10empty_typeEEEZZNS1_27merge_sort_block_merge_implIS3_N6thrust23THRUST_200600_302600_NS6detail15normal_iteratorINS9_10device_ptrIxEEEEPS5_m9comp_mod3IxEEE10hipError_tT0_T1_T2_jT3_P12ihipStream_tbPNSt15iterator_traitsISJ_E10value_typeEPNSP_ISK_E10value_typeEPSL_NS1_7vsmem_tEENKUlT_SJ_SK_SL_E_clISE_PxSF_SF_EESI_SY_SJ_SK_SL_EUlSY_E1_NS1_11comp_targetILNS1_3genE8ELNS1_11target_archE1030ELNS1_3gpuE2ELNS1_3repE0EEENS1_36merge_oddeven_config_static_selectorELNS0_4arch9wavefront6targetE0EEEvSK_,comdat
.Lfunc_end978:
	.size	_ZN7rocprim17ROCPRIM_400000_NS6detail17trampoline_kernelINS0_14default_configENS1_38merge_sort_block_merge_config_selectorIxNS0_10empty_typeEEEZZNS1_27merge_sort_block_merge_implIS3_N6thrust23THRUST_200600_302600_NS6detail15normal_iteratorINS9_10device_ptrIxEEEEPS5_m9comp_mod3IxEEE10hipError_tT0_T1_T2_jT3_P12ihipStream_tbPNSt15iterator_traitsISJ_E10value_typeEPNSP_ISK_E10value_typeEPSL_NS1_7vsmem_tEENKUlT_SJ_SK_SL_E_clISE_PxSF_SF_EESI_SY_SJ_SK_SL_EUlSY_E1_NS1_11comp_targetILNS1_3genE8ELNS1_11target_archE1030ELNS1_3gpuE2ELNS1_3repE0EEENS1_36merge_oddeven_config_static_selectorELNS0_4arch9wavefront6targetE0EEEvSK_, .Lfunc_end978-_ZN7rocprim17ROCPRIM_400000_NS6detail17trampoline_kernelINS0_14default_configENS1_38merge_sort_block_merge_config_selectorIxNS0_10empty_typeEEEZZNS1_27merge_sort_block_merge_implIS3_N6thrust23THRUST_200600_302600_NS6detail15normal_iteratorINS9_10device_ptrIxEEEEPS5_m9comp_mod3IxEEE10hipError_tT0_T1_T2_jT3_P12ihipStream_tbPNSt15iterator_traitsISJ_E10value_typeEPNSP_ISK_E10value_typeEPSL_NS1_7vsmem_tEENKUlT_SJ_SK_SL_E_clISE_PxSF_SF_EESI_SY_SJ_SK_SL_EUlSY_E1_NS1_11comp_targetILNS1_3genE8ELNS1_11target_archE1030ELNS1_3gpuE2ELNS1_3repE0EEENS1_36merge_oddeven_config_static_selectorELNS0_4arch9wavefront6targetE0EEEvSK_
                                        ; -- End function
	.set _ZN7rocprim17ROCPRIM_400000_NS6detail17trampoline_kernelINS0_14default_configENS1_38merge_sort_block_merge_config_selectorIxNS0_10empty_typeEEEZZNS1_27merge_sort_block_merge_implIS3_N6thrust23THRUST_200600_302600_NS6detail15normal_iteratorINS9_10device_ptrIxEEEEPS5_m9comp_mod3IxEEE10hipError_tT0_T1_T2_jT3_P12ihipStream_tbPNSt15iterator_traitsISJ_E10value_typeEPNSP_ISK_E10value_typeEPSL_NS1_7vsmem_tEENKUlT_SJ_SK_SL_E_clISE_PxSF_SF_EESI_SY_SJ_SK_SL_EUlSY_E1_NS1_11comp_targetILNS1_3genE8ELNS1_11target_archE1030ELNS1_3gpuE2ELNS1_3repE0EEENS1_36merge_oddeven_config_static_selectorELNS0_4arch9wavefront6targetE0EEEvSK_.num_vgpr, 15
	.set _ZN7rocprim17ROCPRIM_400000_NS6detail17trampoline_kernelINS0_14default_configENS1_38merge_sort_block_merge_config_selectorIxNS0_10empty_typeEEEZZNS1_27merge_sort_block_merge_implIS3_N6thrust23THRUST_200600_302600_NS6detail15normal_iteratorINS9_10device_ptrIxEEEEPS5_m9comp_mod3IxEEE10hipError_tT0_T1_T2_jT3_P12ihipStream_tbPNSt15iterator_traitsISJ_E10value_typeEPNSP_ISK_E10value_typeEPSL_NS1_7vsmem_tEENKUlT_SJ_SK_SL_E_clISE_PxSF_SF_EESI_SY_SJ_SK_SL_EUlSY_E1_NS1_11comp_targetILNS1_3genE8ELNS1_11target_archE1030ELNS1_3gpuE2ELNS1_3repE0EEENS1_36merge_oddeven_config_static_selectorELNS0_4arch9wavefront6targetE0EEEvSK_.num_agpr, 0
	.set _ZN7rocprim17ROCPRIM_400000_NS6detail17trampoline_kernelINS0_14default_configENS1_38merge_sort_block_merge_config_selectorIxNS0_10empty_typeEEEZZNS1_27merge_sort_block_merge_implIS3_N6thrust23THRUST_200600_302600_NS6detail15normal_iteratorINS9_10device_ptrIxEEEEPS5_m9comp_mod3IxEEE10hipError_tT0_T1_T2_jT3_P12ihipStream_tbPNSt15iterator_traitsISJ_E10value_typeEPNSP_ISK_E10value_typeEPSL_NS1_7vsmem_tEENKUlT_SJ_SK_SL_E_clISE_PxSF_SF_EESI_SY_SJ_SK_SL_EUlSY_E1_NS1_11comp_targetILNS1_3genE8ELNS1_11target_archE1030ELNS1_3gpuE2ELNS1_3repE0EEENS1_36merge_oddeven_config_static_selectorELNS0_4arch9wavefront6targetE0EEEvSK_.numbered_sgpr, 18
	.set _ZN7rocprim17ROCPRIM_400000_NS6detail17trampoline_kernelINS0_14default_configENS1_38merge_sort_block_merge_config_selectorIxNS0_10empty_typeEEEZZNS1_27merge_sort_block_merge_implIS3_N6thrust23THRUST_200600_302600_NS6detail15normal_iteratorINS9_10device_ptrIxEEEEPS5_m9comp_mod3IxEEE10hipError_tT0_T1_T2_jT3_P12ihipStream_tbPNSt15iterator_traitsISJ_E10value_typeEPNSP_ISK_E10value_typeEPSL_NS1_7vsmem_tEENKUlT_SJ_SK_SL_E_clISE_PxSF_SF_EESI_SY_SJ_SK_SL_EUlSY_E1_NS1_11comp_targetILNS1_3genE8ELNS1_11target_archE1030ELNS1_3gpuE2ELNS1_3repE0EEENS1_36merge_oddeven_config_static_selectorELNS0_4arch9wavefront6targetE0EEEvSK_.num_named_barrier, 0
	.set _ZN7rocprim17ROCPRIM_400000_NS6detail17trampoline_kernelINS0_14default_configENS1_38merge_sort_block_merge_config_selectorIxNS0_10empty_typeEEEZZNS1_27merge_sort_block_merge_implIS3_N6thrust23THRUST_200600_302600_NS6detail15normal_iteratorINS9_10device_ptrIxEEEEPS5_m9comp_mod3IxEEE10hipError_tT0_T1_T2_jT3_P12ihipStream_tbPNSt15iterator_traitsISJ_E10value_typeEPNSP_ISK_E10value_typeEPSL_NS1_7vsmem_tEENKUlT_SJ_SK_SL_E_clISE_PxSF_SF_EESI_SY_SJ_SK_SL_EUlSY_E1_NS1_11comp_targetILNS1_3genE8ELNS1_11target_archE1030ELNS1_3gpuE2ELNS1_3repE0EEENS1_36merge_oddeven_config_static_selectorELNS0_4arch9wavefront6targetE0EEEvSK_.private_seg_size, 0
	.set _ZN7rocprim17ROCPRIM_400000_NS6detail17trampoline_kernelINS0_14default_configENS1_38merge_sort_block_merge_config_selectorIxNS0_10empty_typeEEEZZNS1_27merge_sort_block_merge_implIS3_N6thrust23THRUST_200600_302600_NS6detail15normal_iteratorINS9_10device_ptrIxEEEEPS5_m9comp_mod3IxEEE10hipError_tT0_T1_T2_jT3_P12ihipStream_tbPNSt15iterator_traitsISJ_E10value_typeEPNSP_ISK_E10value_typeEPSL_NS1_7vsmem_tEENKUlT_SJ_SK_SL_E_clISE_PxSF_SF_EESI_SY_SJ_SK_SL_EUlSY_E1_NS1_11comp_targetILNS1_3genE8ELNS1_11target_archE1030ELNS1_3gpuE2ELNS1_3repE0EEENS1_36merge_oddeven_config_static_selectorELNS0_4arch9wavefront6targetE0EEEvSK_.uses_vcc, 1
	.set _ZN7rocprim17ROCPRIM_400000_NS6detail17trampoline_kernelINS0_14default_configENS1_38merge_sort_block_merge_config_selectorIxNS0_10empty_typeEEEZZNS1_27merge_sort_block_merge_implIS3_N6thrust23THRUST_200600_302600_NS6detail15normal_iteratorINS9_10device_ptrIxEEEEPS5_m9comp_mod3IxEEE10hipError_tT0_T1_T2_jT3_P12ihipStream_tbPNSt15iterator_traitsISJ_E10value_typeEPNSP_ISK_E10value_typeEPSL_NS1_7vsmem_tEENKUlT_SJ_SK_SL_E_clISE_PxSF_SF_EESI_SY_SJ_SK_SL_EUlSY_E1_NS1_11comp_targetILNS1_3genE8ELNS1_11target_archE1030ELNS1_3gpuE2ELNS1_3repE0EEENS1_36merge_oddeven_config_static_selectorELNS0_4arch9wavefront6targetE0EEEvSK_.uses_flat_scratch, 0
	.set _ZN7rocprim17ROCPRIM_400000_NS6detail17trampoline_kernelINS0_14default_configENS1_38merge_sort_block_merge_config_selectorIxNS0_10empty_typeEEEZZNS1_27merge_sort_block_merge_implIS3_N6thrust23THRUST_200600_302600_NS6detail15normal_iteratorINS9_10device_ptrIxEEEEPS5_m9comp_mod3IxEEE10hipError_tT0_T1_T2_jT3_P12ihipStream_tbPNSt15iterator_traitsISJ_E10value_typeEPNSP_ISK_E10value_typeEPSL_NS1_7vsmem_tEENKUlT_SJ_SK_SL_E_clISE_PxSF_SF_EESI_SY_SJ_SK_SL_EUlSY_E1_NS1_11comp_targetILNS1_3genE8ELNS1_11target_archE1030ELNS1_3gpuE2ELNS1_3repE0EEENS1_36merge_oddeven_config_static_selectorELNS0_4arch9wavefront6targetE0EEEvSK_.has_dyn_sized_stack, 0
	.set _ZN7rocprim17ROCPRIM_400000_NS6detail17trampoline_kernelINS0_14default_configENS1_38merge_sort_block_merge_config_selectorIxNS0_10empty_typeEEEZZNS1_27merge_sort_block_merge_implIS3_N6thrust23THRUST_200600_302600_NS6detail15normal_iteratorINS9_10device_ptrIxEEEEPS5_m9comp_mod3IxEEE10hipError_tT0_T1_T2_jT3_P12ihipStream_tbPNSt15iterator_traitsISJ_E10value_typeEPNSP_ISK_E10value_typeEPSL_NS1_7vsmem_tEENKUlT_SJ_SK_SL_E_clISE_PxSF_SF_EESI_SY_SJ_SK_SL_EUlSY_E1_NS1_11comp_targetILNS1_3genE8ELNS1_11target_archE1030ELNS1_3gpuE2ELNS1_3repE0EEENS1_36merge_oddeven_config_static_selectorELNS0_4arch9wavefront6targetE0EEEvSK_.has_recursion, 0
	.set _ZN7rocprim17ROCPRIM_400000_NS6detail17trampoline_kernelINS0_14default_configENS1_38merge_sort_block_merge_config_selectorIxNS0_10empty_typeEEEZZNS1_27merge_sort_block_merge_implIS3_N6thrust23THRUST_200600_302600_NS6detail15normal_iteratorINS9_10device_ptrIxEEEEPS5_m9comp_mod3IxEEE10hipError_tT0_T1_T2_jT3_P12ihipStream_tbPNSt15iterator_traitsISJ_E10value_typeEPNSP_ISK_E10value_typeEPSL_NS1_7vsmem_tEENKUlT_SJ_SK_SL_E_clISE_PxSF_SF_EESI_SY_SJ_SK_SL_EUlSY_E1_NS1_11comp_targetILNS1_3genE8ELNS1_11target_archE1030ELNS1_3gpuE2ELNS1_3repE0EEENS1_36merge_oddeven_config_static_selectorELNS0_4arch9wavefront6targetE0EEEvSK_.has_indirect_call, 0
	.section	.AMDGPU.csdata,"",@progbits
; Kernel info:
; codeLenInByte = 940
; TotalNumSgprs: 20
; NumVgprs: 15
; ScratchSize: 0
; MemoryBound: 0
; FloatMode: 240
; IeeeMode: 1
; LDSByteSize: 0 bytes/workgroup (compile time only)
; SGPRBlocks: 0
; VGPRBlocks: 1
; NumSGPRsForWavesPerEU: 20
; NumVGPRsForWavesPerEU: 15
; Occupancy: 16
; WaveLimiterHint : 1
; COMPUTE_PGM_RSRC2:SCRATCH_EN: 0
; COMPUTE_PGM_RSRC2:USER_SGPR: 6
; COMPUTE_PGM_RSRC2:TRAP_HANDLER: 0
; COMPUTE_PGM_RSRC2:TGID_X_EN: 1
; COMPUTE_PGM_RSRC2:TGID_Y_EN: 0
; COMPUTE_PGM_RSRC2:TGID_Z_EN: 0
; COMPUTE_PGM_RSRC2:TIDIG_COMP_CNT: 0
	.section	.text._ZN7rocprim17ROCPRIM_400000_NS6detail17trampoline_kernelINS0_14default_configENS1_37merge_sort_block_sort_config_selectorIiNS0_10empty_typeEEEZNS1_21merge_sort_block_sortIS3_N6thrust23THRUST_200600_302600_NS6detail15normal_iteratorINS9_10device_ptrIiEEEESE_PS5_SF_9comp_mod3IiEEE10hipError_tT0_T1_T2_T3_mRjT4_P12ihipStream_tbNS1_7vsmem_tEEUlT_E_NS1_11comp_targetILNS1_3genE0ELNS1_11target_archE4294967295ELNS1_3gpuE0ELNS1_3repE0EEENS1_30default_config_static_selectorELNS0_4arch9wavefront6targetE0EEEvSK_,"axG",@progbits,_ZN7rocprim17ROCPRIM_400000_NS6detail17trampoline_kernelINS0_14default_configENS1_37merge_sort_block_sort_config_selectorIiNS0_10empty_typeEEEZNS1_21merge_sort_block_sortIS3_N6thrust23THRUST_200600_302600_NS6detail15normal_iteratorINS9_10device_ptrIiEEEESE_PS5_SF_9comp_mod3IiEEE10hipError_tT0_T1_T2_T3_mRjT4_P12ihipStream_tbNS1_7vsmem_tEEUlT_E_NS1_11comp_targetILNS1_3genE0ELNS1_11target_archE4294967295ELNS1_3gpuE0ELNS1_3repE0EEENS1_30default_config_static_selectorELNS0_4arch9wavefront6targetE0EEEvSK_,comdat
	.protected	_ZN7rocprim17ROCPRIM_400000_NS6detail17trampoline_kernelINS0_14default_configENS1_37merge_sort_block_sort_config_selectorIiNS0_10empty_typeEEEZNS1_21merge_sort_block_sortIS3_N6thrust23THRUST_200600_302600_NS6detail15normal_iteratorINS9_10device_ptrIiEEEESE_PS5_SF_9comp_mod3IiEEE10hipError_tT0_T1_T2_T3_mRjT4_P12ihipStream_tbNS1_7vsmem_tEEUlT_E_NS1_11comp_targetILNS1_3genE0ELNS1_11target_archE4294967295ELNS1_3gpuE0ELNS1_3repE0EEENS1_30default_config_static_selectorELNS0_4arch9wavefront6targetE0EEEvSK_ ; -- Begin function _ZN7rocprim17ROCPRIM_400000_NS6detail17trampoline_kernelINS0_14default_configENS1_37merge_sort_block_sort_config_selectorIiNS0_10empty_typeEEEZNS1_21merge_sort_block_sortIS3_N6thrust23THRUST_200600_302600_NS6detail15normal_iteratorINS9_10device_ptrIiEEEESE_PS5_SF_9comp_mod3IiEEE10hipError_tT0_T1_T2_T3_mRjT4_P12ihipStream_tbNS1_7vsmem_tEEUlT_E_NS1_11comp_targetILNS1_3genE0ELNS1_11target_archE4294967295ELNS1_3gpuE0ELNS1_3repE0EEENS1_30default_config_static_selectorELNS0_4arch9wavefront6targetE0EEEvSK_
	.globl	_ZN7rocprim17ROCPRIM_400000_NS6detail17trampoline_kernelINS0_14default_configENS1_37merge_sort_block_sort_config_selectorIiNS0_10empty_typeEEEZNS1_21merge_sort_block_sortIS3_N6thrust23THRUST_200600_302600_NS6detail15normal_iteratorINS9_10device_ptrIiEEEESE_PS5_SF_9comp_mod3IiEEE10hipError_tT0_T1_T2_T3_mRjT4_P12ihipStream_tbNS1_7vsmem_tEEUlT_E_NS1_11comp_targetILNS1_3genE0ELNS1_11target_archE4294967295ELNS1_3gpuE0ELNS1_3repE0EEENS1_30default_config_static_selectorELNS0_4arch9wavefront6targetE0EEEvSK_
	.p2align	8
	.type	_ZN7rocprim17ROCPRIM_400000_NS6detail17trampoline_kernelINS0_14default_configENS1_37merge_sort_block_sort_config_selectorIiNS0_10empty_typeEEEZNS1_21merge_sort_block_sortIS3_N6thrust23THRUST_200600_302600_NS6detail15normal_iteratorINS9_10device_ptrIiEEEESE_PS5_SF_9comp_mod3IiEEE10hipError_tT0_T1_T2_T3_mRjT4_P12ihipStream_tbNS1_7vsmem_tEEUlT_E_NS1_11comp_targetILNS1_3genE0ELNS1_11target_archE4294967295ELNS1_3gpuE0ELNS1_3repE0EEENS1_30default_config_static_selectorELNS0_4arch9wavefront6targetE0EEEvSK_,@function
_ZN7rocprim17ROCPRIM_400000_NS6detail17trampoline_kernelINS0_14default_configENS1_37merge_sort_block_sort_config_selectorIiNS0_10empty_typeEEEZNS1_21merge_sort_block_sortIS3_N6thrust23THRUST_200600_302600_NS6detail15normal_iteratorINS9_10device_ptrIiEEEESE_PS5_SF_9comp_mod3IiEEE10hipError_tT0_T1_T2_T3_mRjT4_P12ihipStream_tbNS1_7vsmem_tEEUlT_E_NS1_11comp_targetILNS1_3genE0ELNS1_11target_archE4294967295ELNS1_3gpuE0ELNS1_3repE0EEENS1_30default_config_static_selectorELNS0_4arch9wavefront6targetE0EEEvSK_: ; @_ZN7rocprim17ROCPRIM_400000_NS6detail17trampoline_kernelINS0_14default_configENS1_37merge_sort_block_sort_config_selectorIiNS0_10empty_typeEEEZNS1_21merge_sort_block_sortIS3_N6thrust23THRUST_200600_302600_NS6detail15normal_iteratorINS9_10device_ptrIiEEEESE_PS5_SF_9comp_mod3IiEEE10hipError_tT0_T1_T2_T3_mRjT4_P12ihipStream_tbNS1_7vsmem_tEEUlT_E_NS1_11comp_targetILNS1_3genE0ELNS1_11target_archE4294967295ELNS1_3gpuE0ELNS1_3repE0EEENS1_30default_config_static_selectorELNS0_4arch9wavefront6targetE0EEEvSK_
; %bb.0:
	.section	.rodata,"a",@progbits
	.p2align	6, 0x0
	.amdhsa_kernel _ZN7rocprim17ROCPRIM_400000_NS6detail17trampoline_kernelINS0_14default_configENS1_37merge_sort_block_sort_config_selectorIiNS0_10empty_typeEEEZNS1_21merge_sort_block_sortIS3_N6thrust23THRUST_200600_302600_NS6detail15normal_iteratorINS9_10device_ptrIiEEEESE_PS5_SF_9comp_mod3IiEEE10hipError_tT0_T1_T2_T3_mRjT4_P12ihipStream_tbNS1_7vsmem_tEEUlT_E_NS1_11comp_targetILNS1_3genE0ELNS1_11target_archE4294967295ELNS1_3gpuE0ELNS1_3repE0EEENS1_30default_config_static_selectorELNS0_4arch9wavefront6targetE0EEEvSK_
		.amdhsa_group_segment_fixed_size 0
		.amdhsa_private_segment_fixed_size 0
		.amdhsa_kernarg_size 64
		.amdhsa_user_sgpr_count 6
		.amdhsa_user_sgpr_private_segment_buffer 1
		.amdhsa_user_sgpr_dispatch_ptr 0
		.amdhsa_user_sgpr_queue_ptr 0
		.amdhsa_user_sgpr_kernarg_segment_ptr 1
		.amdhsa_user_sgpr_dispatch_id 0
		.amdhsa_user_sgpr_flat_scratch_init 0
		.amdhsa_user_sgpr_private_segment_size 0
		.amdhsa_wavefront_size32 1
		.amdhsa_uses_dynamic_stack 0
		.amdhsa_system_sgpr_private_segment_wavefront_offset 0
		.amdhsa_system_sgpr_workgroup_id_x 1
		.amdhsa_system_sgpr_workgroup_id_y 0
		.amdhsa_system_sgpr_workgroup_id_z 0
		.amdhsa_system_sgpr_workgroup_info 0
		.amdhsa_system_vgpr_workitem_id 0
		.amdhsa_next_free_vgpr 1
		.amdhsa_next_free_sgpr 1
		.amdhsa_reserve_vcc 0
		.amdhsa_reserve_flat_scratch 0
		.amdhsa_float_round_mode_32 0
		.amdhsa_float_round_mode_16_64 0
		.amdhsa_float_denorm_mode_32 3
		.amdhsa_float_denorm_mode_16_64 3
		.amdhsa_dx10_clamp 1
		.amdhsa_ieee_mode 1
		.amdhsa_fp16_overflow 0
		.amdhsa_workgroup_processor_mode 1
		.amdhsa_memory_ordered 1
		.amdhsa_forward_progress 1
		.amdhsa_shared_vgpr_count 0
		.amdhsa_exception_fp_ieee_invalid_op 0
		.amdhsa_exception_fp_denorm_src 0
		.amdhsa_exception_fp_ieee_div_zero 0
		.amdhsa_exception_fp_ieee_overflow 0
		.amdhsa_exception_fp_ieee_underflow 0
		.amdhsa_exception_fp_ieee_inexact 0
		.amdhsa_exception_int_div_zero 0
	.end_amdhsa_kernel
	.section	.text._ZN7rocprim17ROCPRIM_400000_NS6detail17trampoline_kernelINS0_14default_configENS1_37merge_sort_block_sort_config_selectorIiNS0_10empty_typeEEEZNS1_21merge_sort_block_sortIS3_N6thrust23THRUST_200600_302600_NS6detail15normal_iteratorINS9_10device_ptrIiEEEESE_PS5_SF_9comp_mod3IiEEE10hipError_tT0_T1_T2_T3_mRjT4_P12ihipStream_tbNS1_7vsmem_tEEUlT_E_NS1_11comp_targetILNS1_3genE0ELNS1_11target_archE4294967295ELNS1_3gpuE0ELNS1_3repE0EEENS1_30default_config_static_selectorELNS0_4arch9wavefront6targetE0EEEvSK_,"axG",@progbits,_ZN7rocprim17ROCPRIM_400000_NS6detail17trampoline_kernelINS0_14default_configENS1_37merge_sort_block_sort_config_selectorIiNS0_10empty_typeEEEZNS1_21merge_sort_block_sortIS3_N6thrust23THRUST_200600_302600_NS6detail15normal_iteratorINS9_10device_ptrIiEEEESE_PS5_SF_9comp_mod3IiEEE10hipError_tT0_T1_T2_T3_mRjT4_P12ihipStream_tbNS1_7vsmem_tEEUlT_E_NS1_11comp_targetILNS1_3genE0ELNS1_11target_archE4294967295ELNS1_3gpuE0ELNS1_3repE0EEENS1_30default_config_static_selectorELNS0_4arch9wavefront6targetE0EEEvSK_,comdat
.Lfunc_end979:
	.size	_ZN7rocprim17ROCPRIM_400000_NS6detail17trampoline_kernelINS0_14default_configENS1_37merge_sort_block_sort_config_selectorIiNS0_10empty_typeEEEZNS1_21merge_sort_block_sortIS3_N6thrust23THRUST_200600_302600_NS6detail15normal_iteratorINS9_10device_ptrIiEEEESE_PS5_SF_9comp_mod3IiEEE10hipError_tT0_T1_T2_T3_mRjT4_P12ihipStream_tbNS1_7vsmem_tEEUlT_E_NS1_11comp_targetILNS1_3genE0ELNS1_11target_archE4294967295ELNS1_3gpuE0ELNS1_3repE0EEENS1_30default_config_static_selectorELNS0_4arch9wavefront6targetE0EEEvSK_, .Lfunc_end979-_ZN7rocprim17ROCPRIM_400000_NS6detail17trampoline_kernelINS0_14default_configENS1_37merge_sort_block_sort_config_selectorIiNS0_10empty_typeEEEZNS1_21merge_sort_block_sortIS3_N6thrust23THRUST_200600_302600_NS6detail15normal_iteratorINS9_10device_ptrIiEEEESE_PS5_SF_9comp_mod3IiEEE10hipError_tT0_T1_T2_T3_mRjT4_P12ihipStream_tbNS1_7vsmem_tEEUlT_E_NS1_11comp_targetILNS1_3genE0ELNS1_11target_archE4294967295ELNS1_3gpuE0ELNS1_3repE0EEENS1_30default_config_static_selectorELNS0_4arch9wavefront6targetE0EEEvSK_
                                        ; -- End function
	.set _ZN7rocprim17ROCPRIM_400000_NS6detail17trampoline_kernelINS0_14default_configENS1_37merge_sort_block_sort_config_selectorIiNS0_10empty_typeEEEZNS1_21merge_sort_block_sortIS3_N6thrust23THRUST_200600_302600_NS6detail15normal_iteratorINS9_10device_ptrIiEEEESE_PS5_SF_9comp_mod3IiEEE10hipError_tT0_T1_T2_T3_mRjT4_P12ihipStream_tbNS1_7vsmem_tEEUlT_E_NS1_11comp_targetILNS1_3genE0ELNS1_11target_archE4294967295ELNS1_3gpuE0ELNS1_3repE0EEENS1_30default_config_static_selectorELNS0_4arch9wavefront6targetE0EEEvSK_.num_vgpr, 0
	.set _ZN7rocprim17ROCPRIM_400000_NS6detail17trampoline_kernelINS0_14default_configENS1_37merge_sort_block_sort_config_selectorIiNS0_10empty_typeEEEZNS1_21merge_sort_block_sortIS3_N6thrust23THRUST_200600_302600_NS6detail15normal_iteratorINS9_10device_ptrIiEEEESE_PS5_SF_9comp_mod3IiEEE10hipError_tT0_T1_T2_T3_mRjT4_P12ihipStream_tbNS1_7vsmem_tEEUlT_E_NS1_11comp_targetILNS1_3genE0ELNS1_11target_archE4294967295ELNS1_3gpuE0ELNS1_3repE0EEENS1_30default_config_static_selectorELNS0_4arch9wavefront6targetE0EEEvSK_.num_agpr, 0
	.set _ZN7rocprim17ROCPRIM_400000_NS6detail17trampoline_kernelINS0_14default_configENS1_37merge_sort_block_sort_config_selectorIiNS0_10empty_typeEEEZNS1_21merge_sort_block_sortIS3_N6thrust23THRUST_200600_302600_NS6detail15normal_iteratorINS9_10device_ptrIiEEEESE_PS5_SF_9comp_mod3IiEEE10hipError_tT0_T1_T2_T3_mRjT4_P12ihipStream_tbNS1_7vsmem_tEEUlT_E_NS1_11comp_targetILNS1_3genE0ELNS1_11target_archE4294967295ELNS1_3gpuE0ELNS1_3repE0EEENS1_30default_config_static_selectorELNS0_4arch9wavefront6targetE0EEEvSK_.numbered_sgpr, 0
	.set _ZN7rocprim17ROCPRIM_400000_NS6detail17trampoline_kernelINS0_14default_configENS1_37merge_sort_block_sort_config_selectorIiNS0_10empty_typeEEEZNS1_21merge_sort_block_sortIS3_N6thrust23THRUST_200600_302600_NS6detail15normal_iteratorINS9_10device_ptrIiEEEESE_PS5_SF_9comp_mod3IiEEE10hipError_tT0_T1_T2_T3_mRjT4_P12ihipStream_tbNS1_7vsmem_tEEUlT_E_NS1_11comp_targetILNS1_3genE0ELNS1_11target_archE4294967295ELNS1_3gpuE0ELNS1_3repE0EEENS1_30default_config_static_selectorELNS0_4arch9wavefront6targetE0EEEvSK_.num_named_barrier, 0
	.set _ZN7rocprim17ROCPRIM_400000_NS6detail17trampoline_kernelINS0_14default_configENS1_37merge_sort_block_sort_config_selectorIiNS0_10empty_typeEEEZNS1_21merge_sort_block_sortIS3_N6thrust23THRUST_200600_302600_NS6detail15normal_iteratorINS9_10device_ptrIiEEEESE_PS5_SF_9comp_mod3IiEEE10hipError_tT0_T1_T2_T3_mRjT4_P12ihipStream_tbNS1_7vsmem_tEEUlT_E_NS1_11comp_targetILNS1_3genE0ELNS1_11target_archE4294967295ELNS1_3gpuE0ELNS1_3repE0EEENS1_30default_config_static_selectorELNS0_4arch9wavefront6targetE0EEEvSK_.private_seg_size, 0
	.set _ZN7rocprim17ROCPRIM_400000_NS6detail17trampoline_kernelINS0_14default_configENS1_37merge_sort_block_sort_config_selectorIiNS0_10empty_typeEEEZNS1_21merge_sort_block_sortIS3_N6thrust23THRUST_200600_302600_NS6detail15normal_iteratorINS9_10device_ptrIiEEEESE_PS5_SF_9comp_mod3IiEEE10hipError_tT0_T1_T2_T3_mRjT4_P12ihipStream_tbNS1_7vsmem_tEEUlT_E_NS1_11comp_targetILNS1_3genE0ELNS1_11target_archE4294967295ELNS1_3gpuE0ELNS1_3repE0EEENS1_30default_config_static_selectorELNS0_4arch9wavefront6targetE0EEEvSK_.uses_vcc, 0
	.set _ZN7rocprim17ROCPRIM_400000_NS6detail17trampoline_kernelINS0_14default_configENS1_37merge_sort_block_sort_config_selectorIiNS0_10empty_typeEEEZNS1_21merge_sort_block_sortIS3_N6thrust23THRUST_200600_302600_NS6detail15normal_iteratorINS9_10device_ptrIiEEEESE_PS5_SF_9comp_mod3IiEEE10hipError_tT0_T1_T2_T3_mRjT4_P12ihipStream_tbNS1_7vsmem_tEEUlT_E_NS1_11comp_targetILNS1_3genE0ELNS1_11target_archE4294967295ELNS1_3gpuE0ELNS1_3repE0EEENS1_30default_config_static_selectorELNS0_4arch9wavefront6targetE0EEEvSK_.uses_flat_scratch, 0
	.set _ZN7rocprim17ROCPRIM_400000_NS6detail17trampoline_kernelINS0_14default_configENS1_37merge_sort_block_sort_config_selectorIiNS0_10empty_typeEEEZNS1_21merge_sort_block_sortIS3_N6thrust23THRUST_200600_302600_NS6detail15normal_iteratorINS9_10device_ptrIiEEEESE_PS5_SF_9comp_mod3IiEEE10hipError_tT0_T1_T2_T3_mRjT4_P12ihipStream_tbNS1_7vsmem_tEEUlT_E_NS1_11comp_targetILNS1_3genE0ELNS1_11target_archE4294967295ELNS1_3gpuE0ELNS1_3repE0EEENS1_30default_config_static_selectorELNS0_4arch9wavefront6targetE0EEEvSK_.has_dyn_sized_stack, 0
	.set _ZN7rocprim17ROCPRIM_400000_NS6detail17trampoline_kernelINS0_14default_configENS1_37merge_sort_block_sort_config_selectorIiNS0_10empty_typeEEEZNS1_21merge_sort_block_sortIS3_N6thrust23THRUST_200600_302600_NS6detail15normal_iteratorINS9_10device_ptrIiEEEESE_PS5_SF_9comp_mod3IiEEE10hipError_tT0_T1_T2_T3_mRjT4_P12ihipStream_tbNS1_7vsmem_tEEUlT_E_NS1_11comp_targetILNS1_3genE0ELNS1_11target_archE4294967295ELNS1_3gpuE0ELNS1_3repE0EEENS1_30default_config_static_selectorELNS0_4arch9wavefront6targetE0EEEvSK_.has_recursion, 0
	.set _ZN7rocprim17ROCPRIM_400000_NS6detail17trampoline_kernelINS0_14default_configENS1_37merge_sort_block_sort_config_selectorIiNS0_10empty_typeEEEZNS1_21merge_sort_block_sortIS3_N6thrust23THRUST_200600_302600_NS6detail15normal_iteratorINS9_10device_ptrIiEEEESE_PS5_SF_9comp_mod3IiEEE10hipError_tT0_T1_T2_T3_mRjT4_P12ihipStream_tbNS1_7vsmem_tEEUlT_E_NS1_11comp_targetILNS1_3genE0ELNS1_11target_archE4294967295ELNS1_3gpuE0ELNS1_3repE0EEENS1_30default_config_static_selectorELNS0_4arch9wavefront6targetE0EEEvSK_.has_indirect_call, 0
	.section	.AMDGPU.csdata,"",@progbits
; Kernel info:
; codeLenInByte = 0
; TotalNumSgprs: 0
; NumVgprs: 0
; ScratchSize: 0
; MemoryBound: 0
; FloatMode: 240
; IeeeMode: 1
; LDSByteSize: 0 bytes/workgroup (compile time only)
; SGPRBlocks: 0
; VGPRBlocks: 0
; NumSGPRsForWavesPerEU: 1
; NumVGPRsForWavesPerEU: 1
; Occupancy: 16
; WaveLimiterHint : 0
; COMPUTE_PGM_RSRC2:SCRATCH_EN: 0
; COMPUTE_PGM_RSRC2:USER_SGPR: 6
; COMPUTE_PGM_RSRC2:TRAP_HANDLER: 0
; COMPUTE_PGM_RSRC2:TGID_X_EN: 1
; COMPUTE_PGM_RSRC2:TGID_Y_EN: 0
; COMPUTE_PGM_RSRC2:TGID_Z_EN: 0
; COMPUTE_PGM_RSRC2:TIDIG_COMP_CNT: 0
	.section	.text._ZN7rocprim17ROCPRIM_400000_NS6detail17trampoline_kernelINS0_14default_configENS1_37merge_sort_block_sort_config_selectorIiNS0_10empty_typeEEEZNS1_21merge_sort_block_sortIS3_N6thrust23THRUST_200600_302600_NS6detail15normal_iteratorINS9_10device_ptrIiEEEESE_PS5_SF_9comp_mod3IiEEE10hipError_tT0_T1_T2_T3_mRjT4_P12ihipStream_tbNS1_7vsmem_tEEUlT_E_NS1_11comp_targetILNS1_3genE5ELNS1_11target_archE942ELNS1_3gpuE9ELNS1_3repE0EEENS1_30default_config_static_selectorELNS0_4arch9wavefront6targetE0EEEvSK_,"axG",@progbits,_ZN7rocprim17ROCPRIM_400000_NS6detail17trampoline_kernelINS0_14default_configENS1_37merge_sort_block_sort_config_selectorIiNS0_10empty_typeEEEZNS1_21merge_sort_block_sortIS3_N6thrust23THRUST_200600_302600_NS6detail15normal_iteratorINS9_10device_ptrIiEEEESE_PS5_SF_9comp_mod3IiEEE10hipError_tT0_T1_T2_T3_mRjT4_P12ihipStream_tbNS1_7vsmem_tEEUlT_E_NS1_11comp_targetILNS1_3genE5ELNS1_11target_archE942ELNS1_3gpuE9ELNS1_3repE0EEENS1_30default_config_static_selectorELNS0_4arch9wavefront6targetE0EEEvSK_,comdat
	.protected	_ZN7rocprim17ROCPRIM_400000_NS6detail17trampoline_kernelINS0_14default_configENS1_37merge_sort_block_sort_config_selectorIiNS0_10empty_typeEEEZNS1_21merge_sort_block_sortIS3_N6thrust23THRUST_200600_302600_NS6detail15normal_iteratorINS9_10device_ptrIiEEEESE_PS5_SF_9comp_mod3IiEEE10hipError_tT0_T1_T2_T3_mRjT4_P12ihipStream_tbNS1_7vsmem_tEEUlT_E_NS1_11comp_targetILNS1_3genE5ELNS1_11target_archE942ELNS1_3gpuE9ELNS1_3repE0EEENS1_30default_config_static_selectorELNS0_4arch9wavefront6targetE0EEEvSK_ ; -- Begin function _ZN7rocprim17ROCPRIM_400000_NS6detail17trampoline_kernelINS0_14default_configENS1_37merge_sort_block_sort_config_selectorIiNS0_10empty_typeEEEZNS1_21merge_sort_block_sortIS3_N6thrust23THRUST_200600_302600_NS6detail15normal_iteratorINS9_10device_ptrIiEEEESE_PS5_SF_9comp_mod3IiEEE10hipError_tT0_T1_T2_T3_mRjT4_P12ihipStream_tbNS1_7vsmem_tEEUlT_E_NS1_11comp_targetILNS1_3genE5ELNS1_11target_archE942ELNS1_3gpuE9ELNS1_3repE0EEENS1_30default_config_static_selectorELNS0_4arch9wavefront6targetE0EEEvSK_
	.globl	_ZN7rocprim17ROCPRIM_400000_NS6detail17trampoline_kernelINS0_14default_configENS1_37merge_sort_block_sort_config_selectorIiNS0_10empty_typeEEEZNS1_21merge_sort_block_sortIS3_N6thrust23THRUST_200600_302600_NS6detail15normal_iteratorINS9_10device_ptrIiEEEESE_PS5_SF_9comp_mod3IiEEE10hipError_tT0_T1_T2_T3_mRjT4_P12ihipStream_tbNS1_7vsmem_tEEUlT_E_NS1_11comp_targetILNS1_3genE5ELNS1_11target_archE942ELNS1_3gpuE9ELNS1_3repE0EEENS1_30default_config_static_selectorELNS0_4arch9wavefront6targetE0EEEvSK_
	.p2align	8
	.type	_ZN7rocprim17ROCPRIM_400000_NS6detail17trampoline_kernelINS0_14default_configENS1_37merge_sort_block_sort_config_selectorIiNS0_10empty_typeEEEZNS1_21merge_sort_block_sortIS3_N6thrust23THRUST_200600_302600_NS6detail15normal_iteratorINS9_10device_ptrIiEEEESE_PS5_SF_9comp_mod3IiEEE10hipError_tT0_T1_T2_T3_mRjT4_P12ihipStream_tbNS1_7vsmem_tEEUlT_E_NS1_11comp_targetILNS1_3genE5ELNS1_11target_archE942ELNS1_3gpuE9ELNS1_3repE0EEENS1_30default_config_static_selectorELNS0_4arch9wavefront6targetE0EEEvSK_,@function
_ZN7rocprim17ROCPRIM_400000_NS6detail17trampoline_kernelINS0_14default_configENS1_37merge_sort_block_sort_config_selectorIiNS0_10empty_typeEEEZNS1_21merge_sort_block_sortIS3_N6thrust23THRUST_200600_302600_NS6detail15normal_iteratorINS9_10device_ptrIiEEEESE_PS5_SF_9comp_mod3IiEEE10hipError_tT0_T1_T2_T3_mRjT4_P12ihipStream_tbNS1_7vsmem_tEEUlT_E_NS1_11comp_targetILNS1_3genE5ELNS1_11target_archE942ELNS1_3gpuE9ELNS1_3repE0EEENS1_30default_config_static_selectorELNS0_4arch9wavefront6targetE0EEEvSK_: ; @_ZN7rocprim17ROCPRIM_400000_NS6detail17trampoline_kernelINS0_14default_configENS1_37merge_sort_block_sort_config_selectorIiNS0_10empty_typeEEEZNS1_21merge_sort_block_sortIS3_N6thrust23THRUST_200600_302600_NS6detail15normal_iteratorINS9_10device_ptrIiEEEESE_PS5_SF_9comp_mod3IiEEE10hipError_tT0_T1_T2_T3_mRjT4_P12ihipStream_tbNS1_7vsmem_tEEUlT_E_NS1_11comp_targetILNS1_3genE5ELNS1_11target_archE942ELNS1_3gpuE9ELNS1_3repE0EEENS1_30default_config_static_selectorELNS0_4arch9wavefront6targetE0EEEvSK_
; %bb.0:
	.section	.rodata,"a",@progbits
	.p2align	6, 0x0
	.amdhsa_kernel _ZN7rocprim17ROCPRIM_400000_NS6detail17trampoline_kernelINS0_14default_configENS1_37merge_sort_block_sort_config_selectorIiNS0_10empty_typeEEEZNS1_21merge_sort_block_sortIS3_N6thrust23THRUST_200600_302600_NS6detail15normal_iteratorINS9_10device_ptrIiEEEESE_PS5_SF_9comp_mod3IiEEE10hipError_tT0_T1_T2_T3_mRjT4_P12ihipStream_tbNS1_7vsmem_tEEUlT_E_NS1_11comp_targetILNS1_3genE5ELNS1_11target_archE942ELNS1_3gpuE9ELNS1_3repE0EEENS1_30default_config_static_selectorELNS0_4arch9wavefront6targetE0EEEvSK_
		.amdhsa_group_segment_fixed_size 0
		.amdhsa_private_segment_fixed_size 0
		.amdhsa_kernarg_size 64
		.amdhsa_user_sgpr_count 6
		.amdhsa_user_sgpr_private_segment_buffer 1
		.amdhsa_user_sgpr_dispatch_ptr 0
		.amdhsa_user_sgpr_queue_ptr 0
		.amdhsa_user_sgpr_kernarg_segment_ptr 1
		.amdhsa_user_sgpr_dispatch_id 0
		.amdhsa_user_sgpr_flat_scratch_init 0
		.amdhsa_user_sgpr_private_segment_size 0
		.amdhsa_wavefront_size32 1
		.amdhsa_uses_dynamic_stack 0
		.amdhsa_system_sgpr_private_segment_wavefront_offset 0
		.amdhsa_system_sgpr_workgroup_id_x 1
		.amdhsa_system_sgpr_workgroup_id_y 0
		.amdhsa_system_sgpr_workgroup_id_z 0
		.amdhsa_system_sgpr_workgroup_info 0
		.amdhsa_system_vgpr_workitem_id 0
		.amdhsa_next_free_vgpr 1
		.amdhsa_next_free_sgpr 1
		.amdhsa_reserve_vcc 0
		.amdhsa_reserve_flat_scratch 0
		.amdhsa_float_round_mode_32 0
		.amdhsa_float_round_mode_16_64 0
		.amdhsa_float_denorm_mode_32 3
		.amdhsa_float_denorm_mode_16_64 3
		.amdhsa_dx10_clamp 1
		.amdhsa_ieee_mode 1
		.amdhsa_fp16_overflow 0
		.amdhsa_workgroup_processor_mode 1
		.amdhsa_memory_ordered 1
		.amdhsa_forward_progress 1
		.amdhsa_shared_vgpr_count 0
		.amdhsa_exception_fp_ieee_invalid_op 0
		.amdhsa_exception_fp_denorm_src 0
		.amdhsa_exception_fp_ieee_div_zero 0
		.amdhsa_exception_fp_ieee_overflow 0
		.amdhsa_exception_fp_ieee_underflow 0
		.amdhsa_exception_fp_ieee_inexact 0
		.amdhsa_exception_int_div_zero 0
	.end_amdhsa_kernel
	.section	.text._ZN7rocprim17ROCPRIM_400000_NS6detail17trampoline_kernelINS0_14default_configENS1_37merge_sort_block_sort_config_selectorIiNS0_10empty_typeEEEZNS1_21merge_sort_block_sortIS3_N6thrust23THRUST_200600_302600_NS6detail15normal_iteratorINS9_10device_ptrIiEEEESE_PS5_SF_9comp_mod3IiEEE10hipError_tT0_T1_T2_T3_mRjT4_P12ihipStream_tbNS1_7vsmem_tEEUlT_E_NS1_11comp_targetILNS1_3genE5ELNS1_11target_archE942ELNS1_3gpuE9ELNS1_3repE0EEENS1_30default_config_static_selectorELNS0_4arch9wavefront6targetE0EEEvSK_,"axG",@progbits,_ZN7rocprim17ROCPRIM_400000_NS6detail17trampoline_kernelINS0_14default_configENS1_37merge_sort_block_sort_config_selectorIiNS0_10empty_typeEEEZNS1_21merge_sort_block_sortIS3_N6thrust23THRUST_200600_302600_NS6detail15normal_iteratorINS9_10device_ptrIiEEEESE_PS5_SF_9comp_mod3IiEEE10hipError_tT0_T1_T2_T3_mRjT4_P12ihipStream_tbNS1_7vsmem_tEEUlT_E_NS1_11comp_targetILNS1_3genE5ELNS1_11target_archE942ELNS1_3gpuE9ELNS1_3repE0EEENS1_30default_config_static_selectorELNS0_4arch9wavefront6targetE0EEEvSK_,comdat
.Lfunc_end980:
	.size	_ZN7rocprim17ROCPRIM_400000_NS6detail17trampoline_kernelINS0_14default_configENS1_37merge_sort_block_sort_config_selectorIiNS0_10empty_typeEEEZNS1_21merge_sort_block_sortIS3_N6thrust23THRUST_200600_302600_NS6detail15normal_iteratorINS9_10device_ptrIiEEEESE_PS5_SF_9comp_mod3IiEEE10hipError_tT0_T1_T2_T3_mRjT4_P12ihipStream_tbNS1_7vsmem_tEEUlT_E_NS1_11comp_targetILNS1_3genE5ELNS1_11target_archE942ELNS1_3gpuE9ELNS1_3repE0EEENS1_30default_config_static_selectorELNS0_4arch9wavefront6targetE0EEEvSK_, .Lfunc_end980-_ZN7rocprim17ROCPRIM_400000_NS6detail17trampoline_kernelINS0_14default_configENS1_37merge_sort_block_sort_config_selectorIiNS0_10empty_typeEEEZNS1_21merge_sort_block_sortIS3_N6thrust23THRUST_200600_302600_NS6detail15normal_iteratorINS9_10device_ptrIiEEEESE_PS5_SF_9comp_mod3IiEEE10hipError_tT0_T1_T2_T3_mRjT4_P12ihipStream_tbNS1_7vsmem_tEEUlT_E_NS1_11comp_targetILNS1_3genE5ELNS1_11target_archE942ELNS1_3gpuE9ELNS1_3repE0EEENS1_30default_config_static_selectorELNS0_4arch9wavefront6targetE0EEEvSK_
                                        ; -- End function
	.set _ZN7rocprim17ROCPRIM_400000_NS6detail17trampoline_kernelINS0_14default_configENS1_37merge_sort_block_sort_config_selectorIiNS0_10empty_typeEEEZNS1_21merge_sort_block_sortIS3_N6thrust23THRUST_200600_302600_NS6detail15normal_iteratorINS9_10device_ptrIiEEEESE_PS5_SF_9comp_mod3IiEEE10hipError_tT0_T1_T2_T3_mRjT4_P12ihipStream_tbNS1_7vsmem_tEEUlT_E_NS1_11comp_targetILNS1_3genE5ELNS1_11target_archE942ELNS1_3gpuE9ELNS1_3repE0EEENS1_30default_config_static_selectorELNS0_4arch9wavefront6targetE0EEEvSK_.num_vgpr, 0
	.set _ZN7rocprim17ROCPRIM_400000_NS6detail17trampoline_kernelINS0_14default_configENS1_37merge_sort_block_sort_config_selectorIiNS0_10empty_typeEEEZNS1_21merge_sort_block_sortIS3_N6thrust23THRUST_200600_302600_NS6detail15normal_iteratorINS9_10device_ptrIiEEEESE_PS5_SF_9comp_mod3IiEEE10hipError_tT0_T1_T2_T3_mRjT4_P12ihipStream_tbNS1_7vsmem_tEEUlT_E_NS1_11comp_targetILNS1_3genE5ELNS1_11target_archE942ELNS1_3gpuE9ELNS1_3repE0EEENS1_30default_config_static_selectorELNS0_4arch9wavefront6targetE0EEEvSK_.num_agpr, 0
	.set _ZN7rocprim17ROCPRIM_400000_NS6detail17trampoline_kernelINS0_14default_configENS1_37merge_sort_block_sort_config_selectorIiNS0_10empty_typeEEEZNS1_21merge_sort_block_sortIS3_N6thrust23THRUST_200600_302600_NS6detail15normal_iteratorINS9_10device_ptrIiEEEESE_PS5_SF_9comp_mod3IiEEE10hipError_tT0_T1_T2_T3_mRjT4_P12ihipStream_tbNS1_7vsmem_tEEUlT_E_NS1_11comp_targetILNS1_3genE5ELNS1_11target_archE942ELNS1_3gpuE9ELNS1_3repE0EEENS1_30default_config_static_selectorELNS0_4arch9wavefront6targetE0EEEvSK_.numbered_sgpr, 0
	.set _ZN7rocprim17ROCPRIM_400000_NS6detail17trampoline_kernelINS0_14default_configENS1_37merge_sort_block_sort_config_selectorIiNS0_10empty_typeEEEZNS1_21merge_sort_block_sortIS3_N6thrust23THRUST_200600_302600_NS6detail15normal_iteratorINS9_10device_ptrIiEEEESE_PS5_SF_9comp_mod3IiEEE10hipError_tT0_T1_T2_T3_mRjT4_P12ihipStream_tbNS1_7vsmem_tEEUlT_E_NS1_11comp_targetILNS1_3genE5ELNS1_11target_archE942ELNS1_3gpuE9ELNS1_3repE0EEENS1_30default_config_static_selectorELNS0_4arch9wavefront6targetE0EEEvSK_.num_named_barrier, 0
	.set _ZN7rocprim17ROCPRIM_400000_NS6detail17trampoline_kernelINS0_14default_configENS1_37merge_sort_block_sort_config_selectorIiNS0_10empty_typeEEEZNS1_21merge_sort_block_sortIS3_N6thrust23THRUST_200600_302600_NS6detail15normal_iteratorINS9_10device_ptrIiEEEESE_PS5_SF_9comp_mod3IiEEE10hipError_tT0_T1_T2_T3_mRjT4_P12ihipStream_tbNS1_7vsmem_tEEUlT_E_NS1_11comp_targetILNS1_3genE5ELNS1_11target_archE942ELNS1_3gpuE9ELNS1_3repE0EEENS1_30default_config_static_selectorELNS0_4arch9wavefront6targetE0EEEvSK_.private_seg_size, 0
	.set _ZN7rocprim17ROCPRIM_400000_NS6detail17trampoline_kernelINS0_14default_configENS1_37merge_sort_block_sort_config_selectorIiNS0_10empty_typeEEEZNS1_21merge_sort_block_sortIS3_N6thrust23THRUST_200600_302600_NS6detail15normal_iteratorINS9_10device_ptrIiEEEESE_PS5_SF_9comp_mod3IiEEE10hipError_tT0_T1_T2_T3_mRjT4_P12ihipStream_tbNS1_7vsmem_tEEUlT_E_NS1_11comp_targetILNS1_3genE5ELNS1_11target_archE942ELNS1_3gpuE9ELNS1_3repE0EEENS1_30default_config_static_selectorELNS0_4arch9wavefront6targetE0EEEvSK_.uses_vcc, 0
	.set _ZN7rocprim17ROCPRIM_400000_NS6detail17trampoline_kernelINS0_14default_configENS1_37merge_sort_block_sort_config_selectorIiNS0_10empty_typeEEEZNS1_21merge_sort_block_sortIS3_N6thrust23THRUST_200600_302600_NS6detail15normal_iteratorINS9_10device_ptrIiEEEESE_PS5_SF_9comp_mod3IiEEE10hipError_tT0_T1_T2_T3_mRjT4_P12ihipStream_tbNS1_7vsmem_tEEUlT_E_NS1_11comp_targetILNS1_3genE5ELNS1_11target_archE942ELNS1_3gpuE9ELNS1_3repE0EEENS1_30default_config_static_selectorELNS0_4arch9wavefront6targetE0EEEvSK_.uses_flat_scratch, 0
	.set _ZN7rocprim17ROCPRIM_400000_NS6detail17trampoline_kernelINS0_14default_configENS1_37merge_sort_block_sort_config_selectorIiNS0_10empty_typeEEEZNS1_21merge_sort_block_sortIS3_N6thrust23THRUST_200600_302600_NS6detail15normal_iteratorINS9_10device_ptrIiEEEESE_PS5_SF_9comp_mod3IiEEE10hipError_tT0_T1_T2_T3_mRjT4_P12ihipStream_tbNS1_7vsmem_tEEUlT_E_NS1_11comp_targetILNS1_3genE5ELNS1_11target_archE942ELNS1_3gpuE9ELNS1_3repE0EEENS1_30default_config_static_selectorELNS0_4arch9wavefront6targetE0EEEvSK_.has_dyn_sized_stack, 0
	.set _ZN7rocprim17ROCPRIM_400000_NS6detail17trampoline_kernelINS0_14default_configENS1_37merge_sort_block_sort_config_selectorIiNS0_10empty_typeEEEZNS1_21merge_sort_block_sortIS3_N6thrust23THRUST_200600_302600_NS6detail15normal_iteratorINS9_10device_ptrIiEEEESE_PS5_SF_9comp_mod3IiEEE10hipError_tT0_T1_T2_T3_mRjT4_P12ihipStream_tbNS1_7vsmem_tEEUlT_E_NS1_11comp_targetILNS1_3genE5ELNS1_11target_archE942ELNS1_3gpuE9ELNS1_3repE0EEENS1_30default_config_static_selectorELNS0_4arch9wavefront6targetE0EEEvSK_.has_recursion, 0
	.set _ZN7rocprim17ROCPRIM_400000_NS6detail17trampoline_kernelINS0_14default_configENS1_37merge_sort_block_sort_config_selectorIiNS0_10empty_typeEEEZNS1_21merge_sort_block_sortIS3_N6thrust23THRUST_200600_302600_NS6detail15normal_iteratorINS9_10device_ptrIiEEEESE_PS5_SF_9comp_mod3IiEEE10hipError_tT0_T1_T2_T3_mRjT4_P12ihipStream_tbNS1_7vsmem_tEEUlT_E_NS1_11comp_targetILNS1_3genE5ELNS1_11target_archE942ELNS1_3gpuE9ELNS1_3repE0EEENS1_30default_config_static_selectorELNS0_4arch9wavefront6targetE0EEEvSK_.has_indirect_call, 0
	.section	.AMDGPU.csdata,"",@progbits
; Kernel info:
; codeLenInByte = 0
; TotalNumSgprs: 0
; NumVgprs: 0
; ScratchSize: 0
; MemoryBound: 0
; FloatMode: 240
; IeeeMode: 1
; LDSByteSize: 0 bytes/workgroup (compile time only)
; SGPRBlocks: 0
; VGPRBlocks: 0
; NumSGPRsForWavesPerEU: 1
; NumVGPRsForWavesPerEU: 1
; Occupancy: 16
; WaveLimiterHint : 0
; COMPUTE_PGM_RSRC2:SCRATCH_EN: 0
; COMPUTE_PGM_RSRC2:USER_SGPR: 6
; COMPUTE_PGM_RSRC2:TRAP_HANDLER: 0
; COMPUTE_PGM_RSRC2:TGID_X_EN: 1
; COMPUTE_PGM_RSRC2:TGID_Y_EN: 0
; COMPUTE_PGM_RSRC2:TGID_Z_EN: 0
; COMPUTE_PGM_RSRC2:TIDIG_COMP_CNT: 0
	.section	.text._ZN7rocprim17ROCPRIM_400000_NS6detail17trampoline_kernelINS0_14default_configENS1_37merge_sort_block_sort_config_selectorIiNS0_10empty_typeEEEZNS1_21merge_sort_block_sortIS3_N6thrust23THRUST_200600_302600_NS6detail15normal_iteratorINS9_10device_ptrIiEEEESE_PS5_SF_9comp_mod3IiEEE10hipError_tT0_T1_T2_T3_mRjT4_P12ihipStream_tbNS1_7vsmem_tEEUlT_E_NS1_11comp_targetILNS1_3genE4ELNS1_11target_archE910ELNS1_3gpuE8ELNS1_3repE0EEENS1_30default_config_static_selectorELNS0_4arch9wavefront6targetE0EEEvSK_,"axG",@progbits,_ZN7rocprim17ROCPRIM_400000_NS6detail17trampoline_kernelINS0_14default_configENS1_37merge_sort_block_sort_config_selectorIiNS0_10empty_typeEEEZNS1_21merge_sort_block_sortIS3_N6thrust23THRUST_200600_302600_NS6detail15normal_iteratorINS9_10device_ptrIiEEEESE_PS5_SF_9comp_mod3IiEEE10hipError_tT0_T1_T2_T3_mRjT4_P12ihipStream_tbNS1_7vsmem_tEEUlT_E_NS1_11comp_targetILNS1_3genE4ELNS1_11target_archE910ELNS1_3gpuE8ELNS1_3repE0EEENS1_30default_config_static_selectorELNS0_4arch9wavefront6targetE0EEEvSK_,comdat
	.protected	_ZN7rocprim17ROCPRIM_400000_NS6detail17trampoline_kernelINS0_14default_configENS1_37merge_sort_block_sort_config_selectorIiNS0_10empty_typeEEEZNS1_21merge_sort_block_sortIS3_N6thrust23THRUST_200600_302600_NS6detail15normal_iteratorINS9_10device_ptrIiEEEESE_PS5_SF_9comp_mod3IiEEE10hipError_tT0_T1_T2_T3_mRjT4_P12ihipStream_tbNS1_7vsmem_tEEUlT_E_NS1_11comp_targetILNS1_3genE4ELNS1_11target_archE910ELNS1_3gpuE8ELNS1_3repE0EEENS1_30default_config_static_selectorELNS0_4arch9wavefront6targetE0EEEvSK_ ; -- Begin function _ZN7rocprim17ROCPRIM_400000_NS6detail17trampoline_kernelINS0_14default_configENS1_37merge_sort_block_sort_config_selectorIiNS0_10empty_typeEEEZNS1_21merge_sort_block_sortIS3_N6thrust23THRUST_200600_302600_NS6detail15normal_iteratorINS9_10device_ptrIiEEEESE_PS5_SF_9comp_mod3IiEEE10hipError_tT0_T1_T2_T3_mRjT4_P12ihipStream_tbNS1_7vsmem_tEEUlT_E_NS1_11comp_targetILNS1_3genE4ELNS1_11target_archE910ELNS1_3gpuE8ELNS1_3repE0EEENS1_30default_config_static_selectorELNS0_4arch9wavefront6targetE0EEEvSK_
	.globl	_ZN7rocprim17ROCPRIM_400000_NS6detail17trampoline_kernelINS0_14default_configENS1_37merge_sort_block_sort_config_selectorIiNS0_10empty_typeEEEZNS1_21merge_sort_block_sortIS3_N6thrust23THRUST_200600_302600_NS6detail15normal_iteratorINS9_10device_ptrIiEEEESE_PS5_SF_9comp_mod3IiEEE10hipError_tT0_T1_T2_T3_mRjT4_P12ihipStream_tbNS1_7vsmem_tEEUlT_E_NS1_11comp_targetILNS1_3genE4ELNS1_11target_archE910ELNS1_3gpuE8ELNS1_3repE0EEENS1_30default_config_static_selectorELNS0_4arch9wavefront6targetE0EEEvSK_
	.p2align	8
	.type	_ZN7rocprim17ROCPRIM_400000_NS6detail17trampoline_kernelINS0_14default_configENS1_37merge_sort_block_sort_config_selectorIiNS0_10empty_typeEEEZNS1_21merge_sort_block_sortIS3_N6thrust23THRUST_200600_302600_NS6detail15normal_iteratorINS9_10device_ptrIiEEEESE_PS5_SF_9comp_mod3IiEEE10hipError_tT0_T1_T2_T3_mRjT4_P12ihipStream_tbNS1_7vsmem_tEEUlT_E_NS1_11comp_targetILNS1_3genE4ELNS1_11target_archE910ELNS1_3gpuE8ELNS1_3repE0EEENS1_30default_config_static_selectorELNS0_4arch9wavefront6targetE0EEEvSK_,@function
_ZN7rocprim17ROCPRIM_400000_NS6detail17trampoline_kernelINS0_14default_configENS1_37merge_sort_block_sort_config_selectorIiNS0_10empty_typeEEEZNS1_21merge_sort_block_sortIS3_N6thrust23THRUST_200600_302600_NS6detail15normal_iteratorINS9_10device_ptrIiEEEESE_PS5_SF_9comp_mod3IiEEE10hipError_tT0_T1_T2_T3_mRjT4_P12ihipStream_tbNS1_7vsmem_tEEUlT_E_NS1_11comp_targetILNS1_3genE4ELNS1_11target_archE910ELNS1_3gpuE8ELNS1_3repE0EEENS1_30default_config_static_selectorELNS0_4arch9wavefront6targetE0EEEvSK_: ; @_ZN7rocprim17ROCPRIM_400000_NS6detail17trampoline_kernelINS0_14default_configENS1_37merge_sort_block_sort_config_selectorIiNS0_10empty_typeEEEZNS1_21merge_sort_block_sortIS3_N6thrust23THRUST_200600_302600_NS6detail15normal_iteratorINS9_10device_ptrIiEEEESE_PS5_SF_9comp_mod3IiEEE10hipError_tT0_T1_T2_T3_mRjT4_P12ihipStream_tbNS1_7vsmem_tEEUlT_E_NS1_11comp_targetILNS1_3genE4ELNS1_11target_archE910ELNS1_3gpuE8ELNS1_3repE0EEENS1_30default_config_static_selectorELNS0_4arch9wavefront6targetE0EEEvSK_
; %bb.0:
	.section	.rodata,"a",@progbits
	.p2align	6, 0x0
	.amdhsa_kernel _ZN7rocprim17ROCPRIM_400000_NS6detail17trampoline_kernelINS0_14default_configENS1_37merge_sort_block_sort_config_selectorIiNS0_10empty_typeEEEZNS1_21merge_sort_block_sortIS3_N6thrust23THRUST_200600_302600_NS6detail15normal_iteratorINS9_10device_ptrIiEEEESE_PS5_SF_9comp_mod3IiEEE10hipError_tT0_T1_T2_T3_mRjT4_P12ihipStream_tbNS1_7vsmem_tEEUlT_E_NS1_11comp_targetILNS1_3genE4ELNS1_11target_archE910ELNS1_3gpuE8ELNS1_3repE0EEENS1_30default_config_static_selectorELNS0_4arch9wavefront6targetE0EEEvSK_
		.amdhsa_group_segment_fixed_size 0
		.amdhsa_private_segment_fixed_size 0
		.amdhsa_kernarg_size 64
		.amdhsa_user_sgpr_count 6
		.amdhsa_user_sgpr_private_segment_buffer 1
		.amdhsa_user_sgpr_dispatch_ptr 0
		.amdhsa_user_sgpr_queue_ptr 0
		.amdhsa_user_sgpr_kernarg_segment_ptr 1
		.amdhsa_user_sgpr_dispatch_id 0
		.amdhsa_user_sgpr_flat_scratch_init 0
		.amdhsa_user_sgpr_private_segment_size 0
		.amdhsa_wavefront_size32 1
		.amdhsa_uses_dynamic_stack 0
		.amdhsa_system_sgpr_private_segment_wavefront_offset 0
		.amdhsa_system_sgpr_workgroup_id_x 1
		.amdhsa_system_sgpr_workgroup_id_y 0
		.amdhsa_system_sgpr_workgroup_id_z 0
		.amdhsa_system_sgpr_workgroup_info 0
		.amdhsa_system_vgpr_workitem_id 0
		.amdhsa_next_free_vgpr 1
		.amdhsa_next_free_sgpr 1
		.amdhsa_reserve_vcc 0
		.amdhsa_reserve_flat_scratch 0
		.amdhsa_float_round_mode_32 0
		.amdhsa_float_round_mode_16_64 0
		.amdhsa_float_denorm_mode_32 3
		.amdhsa_float_denorm_mode_16_64 3
		.amdhsa_dx10_clamp 1
		.amdhsa_ieee_mode 1
		.amdhsa_fp16_overflow 0
		.amdhsa_workgroup_processor_mode 1
		.amdhsa_memory_ordered 1
		.amdhsa_forward_progress 1
		.amdhsa_shared_vgpr_count 0
		.amdhsa_exception_fp_ieee_invalid_op 0
		.amdhsa_exception_fp_denorm_src 0
		.amdhsa_exception_fp_ieee_div_zero 0
		.amdhsa_exception_fp_ieee_overflow 0
		.amdhsa_exception_fp_ieee_underflow 0
		.amdhsa_exception_fp_ieee_inexact 0
		.amdhsa_exception_int_div_zero 0
	.end_amdhsa_kernel
	.section	.text._ZN7rocprim17ROCPRIM_400000_NS6detail17trampoline_kernelINS0_14default_configENS1_37merge_sort_block_sort_config_selectorIiNS0_10empty_typeEEEZNS1_21merge_sort_block_sortIS3_N6thrust23THRUST_200600_302600_NS6detail15normal_iteratorINS9_10device_ptrIiEEEESE_PS5_SF_9comp_mod3IiEEE10hipError_tT0_T1_T2_T3_mRjT4_P12ihipStream_tbNS1_7vsmem_tEEUlT_E_NS1_11comp_targetILNS1_3genE4ELNS1_11target_archE910ELNS1_3gpuE8ELNS1_3repE0EEENS1_30default_config_static_selectorELNS0_4arch9wavefront6targetE0EEEvSK_,"axG",@progbits,_ZN7rocprim17ROCPRIM_400000_NS6detail17trampoline_kernelINS0_14default_configENS1_37merge_sort_block_sort_config_selectorIiNS0_10empty_typeEEEZNS1_21merge_sort_block_sortIS3_N6thrust23THRUST_200600_302600_NS6detail15normal_iteratorINS9_10device_ptrIiEEEESE_PS5_SF_9comp_mod3IiEEE10hipError_tT0_T1_T2_T3_mRjT4_P12ihipStream_tbNS1_7vsmem_tEEUlT_E_NS1_11comp_targetILNS1_3genE4ELNS1_11target_archE910ELNS1_3gpuE8ELNS1_3repE0EEENS1_30default_config_static_selectorELNS0_4arch9wavefront6targetE0EEEvSK_,comdat
.Lfunc_end981:
	.size	_ZN7rocprim17ROCPRIM_400000_NS6detail17trampoline_kernelINS0_14default_configENS1_37merge_sort_block_sort_config_selectorIiNS0_10empty_typeEEEZNS1_21merge_sort_block_sortIS3_N6thrust23THRUST_200600_302600_NS6detail15normal_iteratorINS9_10device_ptrIiEEEESE_PS5_SF_9comp_mod3IiEEE10hipError_tT0_T1_T2_T3_mRjT4_P12ihipStream_tbNS1_7vsmem_tEEUlT_E_NS1_11comp_targetILNS1_3genE4ELNS1_11target_archE910ELNS1_3gpuE8ELNS1_3repE0EEENS1_30default_config_static_selectorELNS0_4arch9wavefront6targetE0EEEvSK_, .Lfunc_end981-_ZN7rocprim17ROCPRIM_400000_NS6detail17trampoline_kernelINS0_14default_configENS1_37merge_sort_block_sort_config_selectorIiNS0_10empty_typeEEEZNS1_21merge_sort_block_sortIS3_N6thrust23THRUST_200600_302600_NS6detail15normal_iteratorINS9_10device_ptrIiEEEESE_PS5_SF_9comp_mod3IiEEE10hipError_tT0_T1_T2_T3_mRjT4_P12ihipStream_tbNS1_7vsmem_tEEUlT_E_NS1_11comp_targetILNS1_3genE4ELNS1_11target_archE910ELNS1_3gpuE8ELNS1_3repE0EEENS1_30default_config_static_selectorELNS0_4arch9wavefront6targetE0EEEvSK_
                                        ; -- End function
	.set _ZN7rocprim17ROCPRIM_400000_NS6detail17trampoline_kernelINS0_14default_configENS1_37merge_sort_block_sort_config_selectorIiNS0_10empty_typeEEEZNS1_21merge_sort_block_sortIS3_N6thrust23THRUST_200600_302600_NS6detail15normal_iteratorINS9_10device_ptrIiEEEESE_PS5_SF_9comp_mod3IiEEE10hipError_tT0_T1_T2_T3_mRjT4_P12ihipStream_tbNS1_7vsmem_tEEUlT_E_NS1_11comp_targetILNS1_3genE4ELNS1_11target_archE910ELNS1_3gpuE8ELNS1_3repE0EEENS1_30default_config_static_selectorELNS0_4arch9wavefront6targetE0EEEvSK_.num_vgpr, 0
	.set _ZN7rocprim17ROCPRIM_400000_NS6detail17trampoline_kernelINS0_14default_configENS1_37merge_sort_block_sort_config_selectorIiNS0_10empty_typeEEEZNS1_21merge_sort_block_sortIS3_N6thrust23THRUST_200600_302600_NS6detail15normal_iteratorINS9_10device_ptrIiEEEESE_PS5_SF_9comp_mod3IiEEE10hipError_tT0_T1_T2_T3_mRjT4_P12ihipStream_tbNS1_7vsmem_tEEUlT_E_NS1_11comp_targetILNS1_3genE4ELNS1_11target_archE910ELNS1_3gpuE8ELNS1_3repE0EEENS1_30default_config_static_selectorELNS0_4arch9wavefront6targetE0EEEvSK_.num_agpr, 0
	.set _ZN7rocprim17ROCPRIM_400000_NS6detail17trampoline_kernelINS0_14default_configENS1_37merge_sort_block_sort_config_selectorIiNS0_10empty_typeEEEZNS1_21merge_sort_block_sortIS3_N6thrust23THRUST_200600_302600_NS6detail15normal_iteratorINS9_10device_ptrIiEEEESE_PS5_SF_9comp_mod3IiEEE10hipError_tT0_T1_T2_T3_mRjT4_P12ihipStream_tbNS1_7vsmem_tEEUlT_E_NS1_11comp_targetILNS1_3genE4ELNS1_11target_archE910ELNS1_3gpuE8ELNS1_3repE0EEENS1_30default_config_static_selectorELNS0_4arch9wavefront6targetE0EEEvSK_.numbered_sgpr, 0
	.set _ZN7rocprim17ROCPRIM_400000_NS6detail17trampoline_kernelINS0_14default_configENS1_37merge_sort_block_sort_config_selectorIiNS0_10empty_typeEEEZNS1_21merge_sort_block_sortIS3_N6thrust23THRUST_200600_302600_NS6detail15normal_iteratorINS9_10device_ptrIiEEEESE_PS5_SF_9comp_mod3IiEEE10hipError_tT0_T1_T2_T3_mRjT4_P12ihipStream_tbNS1_7vsmem_tEEUlT_E_NS1_11comp_targetILNS1_3genE4ELNS1_11target_archE910ELNS1_3gpuE8ELNS1_3repE0EEENS1_30default_config_static_selectorELNS0_4arch9wavefront6targetE0EEEvSK_.num_named_barrier, 0
	.set _ZN7rocprim17ROCPRIM_400000_NS6detail17trampoline_kernelINS0_14default_configENS1_37merge_sort_block_sort_config_selectorIiNS0_10empty_typeEEEZNS1_21merge_sort_block_sortIS3_N6thrust23THRUST_200600_302600_NS6detail15normal_iteratorINS9_10device_ptrIiEEEESE_PS5_SF_9comp_mod3IiEEE10hipError_tT0_T1_T2_T3_mRjT4_P12ihipStream_tbNS1_7vsmem_tEEUlT_E_NS1_11comp_targetILNS1_3genE4ELNS1_11target_archE910ELNS1_3gpuE8ELNS1_3repE0EEENS1_30default_config_static_selectorELNS0_4arch9wavefront6targetE0EEEvSK_.private_seg_size, 0
	.set _ZN7rocprim17ROCPRIM_400000_NS6detail17trampoline_kernelINS0_14default_configENS1_37merge_sort_block_sort_config_selectorIiNS0_10empty_typeEEEZNS1_21merge_sort_block_sortIS3_N6thrust23THRUST_200600_302600_NS6detail15normal_iteratorINS9_10device_ptrIiEEEESE_PS5_SF_9comp_mod3IiEEE10hipError_tT0_T1_T2_T3_mRjT4_P12ihipStream_tbNS1_7vsmem_tEEUlT_E_NS1_11comp_targetILNS1_3genE4ELNS1_11target_archE910ELNS1_3gpuE8ELNS1_3repE0EEENS1_30default_config_static_selectorELNS0_4arch9wavefront6targetE0EEEvSK_.uses_vcc, 0
	.set _ZN7rocprim17ROCPRIM_400000_NS6detail17trampoline_kernelINS0_14default_configENS1_37merge_sort_block_sort_config_selectorIiNS0_10empty_typeEEEZNS1_21merge_sort_block_sortIS3_N6thrust23THRUST_200600_302600_NS6detail15normal_iteratorINS9_10device_ptrIiEEEESE_PS5_SF_9comp_mod3IiEEE10hipError_tT0_T1_T2_T3_mRjT4_P12ihipStream_tbNS1_7vsmem_tEEUlT_E_NS1_11comp_targetILNS1_3genE4ELNS1_11target_archE910ELNS1_3gpuE8ELNS1_3repE0EEENS1_30default_config_static_selectorELNS0_4arch9wavefront6targetE0EEEvSK_.uses_flat_scratch, 0
	.set _ZN7rocprim17ROCPRIM_400000_NS6detail17trampoline_kernelINS0_14default_configENS1_37merge_sort_block_sort_config_selectorIiNS0_10empty_typeEEEZNS1_21merge_sort_block_sortIS3_N6thrust23THRUST_200600_302600_NS6detail15normal_iteratorINS9_10device_ptrIiEEEESE_PS5_SF_9comp_mod3IiEEE10hipError_tT0_T1_T2_T3_mRjT4_P12ihipStream_tbNS1_7vsmem_tEEUlT_E_NS1_11comp_targetILNS1_3genE4ELNS1_11target_archE910ELNS1_3gpuE8ELNS1_3repE0EEENS1_30default_config_static_selectorELNS0_4arch9wavefront6targetE0EEEvSK_.has_dyn_sized_stack, 0
	.set _ZN7rocprim17ROCPRIM_400000_NS6detail17trampoline_kernelINS0_14default_configENS1_37merge_sort_block_sort_config_selectorIiNS0_10empty_typeEEEZNS1_21merge_sort_block_sortIS3_N6thrust23THRUST_200600_302600_NS6detail15normal_iteratorINS9_10device_ptrIiEEEESE_PS5_SF_9comp_mod3IiEEE10hipError_tT0_T1_T2_T3_mRjT4_P12ihipStream_tbNS1_7vsmem_tEEUlT_E_NS1_11comp_targetILNS1_3genE4ELNS1_11target_archE910ELNS1_3gpuE8ELNS1_3repE0EEENS1_30default_config_static_selectorELNS0_4arch9wavefront6targetE0EEEvSK_.has_recursion, 0
	.set _ZN7rocprim17ROCPRIM_400000_NS6detail17trampoline_kernelINS0_14default_configENS1_37merge_sort_block_sort_config_selectorIiNS0_10empty_typeEEEZNS1_21merge_sort_block_sortIS3_N6thrust23THRUST_200600_302600_NS6detail15normal_iteratorINS9_10device_ptrIiEEEESE_PS5_SF_9comp_mod3IiEEE10hipError_tT0_T1_T2_T3_mRjT4_P12ihipStream_tbNS1_7vsmem_tEEUlT_E_NS1_11comp_targetILNS1_3genE4ELNS1_11target_archE910ELNS1_3gpuE8ELNS1_3repE0EEENS1_30default_config_static_selectorELNS0_4arch9wavefront6targetE0EEEvSK_.has_indirect_call, 0
	.section	.AMDGPU.csdata,"",@progbits
; Kernel info:
; codeLenInByte = 0
; TotalNumSgprs: 0
; NumVgprs: 0
; ScratchSize: 0
; MemoryBound: 0
; FloatMode: 240
; IeeeMode: 1
; LDSByteSize: 0 bytes/workgroup (compile time only)
; SGPRBlocks: 0
; VGPRBlocks: 0
; NumSGPRsForWavesPerEU: 1
; NumVGPRsForWavesPerEU: 1
; Occupancy: 16
; WaveLimiterHint : 0
; COMPUTE_PGM_RSRC2:SCRATCH_EN: 0
; COMPUTE_PGM_RSRC2:USER_SGPR: 6
; COMPUTE_PGM_RSRC2:TRAP_HANDLER: 0
; COMPUTE_PGM_RSRC2:TGID_X_EN: 1
; COMPUTE_PGM_RSRC2:TGID_Y_EN: 0
; COMPUTE_PGM_RSRC2:TGID_Z_EN: 0
; COMPUTE_PGM_RSRC2:TIDIG_COMP_CNT: 0
	.section	.text._ZN7rocprim17ROCPRIM_400000_NS6detail17trampoline_kernelINS0_14default_configENS1_37merge_sort_block_sort_config_selectorIiNS0_10empty_typeEEEZNS1_21merge_sort_block_sortIS3_N6thrust23THRUST_200600_302600_NS6detail15normal_iteratorINS9_10device_ptrIiEEEESE_PS5_SF_9comp_mod3IiEEE10hipError_tT0_T1_T2_T3_mRjT4_P12ihipStream_tbNS1_7vsmem_tEEUlT_E_NS1_11comp_targetILNS1_3genE3ELNS1_11target_archE908ELNS1_3gpuE7ELNS1_3repE0EEENS1_30default_config_static_selectorELNS0_4arch9wavefront6targetE0EEEvSK_,"axG",@progbits,_ZN7rocprim17ROCPRIM_400000_NS6detail17trampoline_kernelINS0_14default_configENS1_37merge_sort_block_sort_config_selectorIiNS0_10empty_typeEEEZNS1_21merge_sort_block_sortIS3_N6thrust23THRUST_200600_302600_NS6detail15normal_iteratorINS9_10device_ptrIiEEEESE_PS5_SF_9comp_mod3IiEEE10hipError_tT0_T1_T2_T3_mRjT4_P12ihipStream_tbNS1_7vsmem_tEEUlT_E_NS1_11comp_targetILNS1_3genE3ELNS1_11target_archE908ELNS1_3gpuE7ELNS1_3repE0EEENS1_30default_config_static_selectorELNS0_4arch9wavefront6targetE0EEEvSK_,comdat
	.protected	_ZN7rocprim17ROCPRIM_400000_NS6detail17trampoline_kernelINS0_14default_configENS1_37merge_sort_block_sort_config_selectorIiNS0_10empty_typeEEEZNS1_21merge_sort_block_sortIS3_N6thrust23THRUST_200600_302600_NS6detail15normal_iteratorINS9_10device_ptrIiEEEESE_PS5_SF_9comp_mod3IiEEE10hipError_tT0_T1_T2_T3_mRjT4_P12ihipStream_tbNS1_7vsmem_tEEUlT_E_NS1_11comp_targetILNS1_3genE3ELNS1_11target_archE908ELNS1_3gpuE7ELNS1_3repE0EEENS1_30default_config_static_selectorELNS0_4arch9wavefront6targetE0EEEvSK_ ; -- Begin function _ZN7rocprim17ROCPRIM_400000_NS6detail17trampoline_kernelINS0_14default_configENS1_37merge_sort_block_sort_config_selectorIiNS0_10empty_typeEEEZNS1_21merge_sort_block_sortIS3_N6thrust23THRUST_200600_302600_NS6detail15normal_iteratorINS9_10device_ptrIiEEEESE_PS5_SF_9comp_mod3IiEEE10hipError_tT0_T1_T2_T3_mRjT4_P12ihipStream_tbNS1_7vsmem_tEEUlT_E_NS1_11comp_targetILNS1_3genE3ELNS1_11target_archE908ELNS1_3gpuE7ELNS1_3repE0EEENS1_30default_config_static_selectorELNS0_4arch9wavefront6targetE0EEEvSK_
	.globl	_ZN7rocprim17ROCPRIM_400000_NS6detail17trampoline_kernelINS0_14default_configENS1_37merge_sort_block_sort_config_selectorIiNS0_10empty_typeEEEZNS1_21merge_sort_block_sortIS3_N6thrust23THRUST_200600_302600_NS6detail15normal_iteratorINS9_10device_ptrIiEEEESE_PS5_SF_9comp_mod3IiEEE10hipError_tT0_T1_T2_T3_mRjT4_P12ihipStream_tbNS1_7vsmem_tEEUlT_E_NS1_11comp_targetILNS1_3genE3ELNS1_11target_archE908ELNS1_3gpuE7ELNS1_3repE0EEENS1_30default_config_static_selectorELNS0_4arch9wavefront6targetE0EEEvSK_
	.p2align	8
	.type	_ZN7rocprim17ROCPRIM_400000_NS6detail17trampoline_kernelINS0_14default_configENS1_37merge_sort_block_sort_config_selectorIiNS0_10empty_typeEEEZNS1_21merge_sort_block_sortIS3_N6thrust23THRUST_200600_302600_NS6detail15normal_iteratorINS9_10device_ptrIiEEEESE_PS5_SF_9comp_mod3IiEEE10hipError_tT0_T1_T2_T3_mRjT4_P12ihipStream_tbNS1_7vsmem_tEEUlT_E_NS1_11comp_targetILNS1_3genE3ELNS1_11target_archE908ELNS1_3gpuE7ELNS1_3repE0EEENS1_30default_config_static_selectorELNS0_4arch9wavefront6targetE0EEEvSK_,@function
_ZN7rocprim17ROCPRIM_400000_NS6detail17trampoline_kernelINS0_14default_configENS1_37merge_sort_block_sort_config_selectorIiNS0_10empty_typeEEEZNS1_21merge_sort_block_sortIS3_N6thrust23THRUST_200600_302600_NS6detail15normal_iteratorINS9_10device_ptrIiEEEESE_PS5_SF_9comp_mod3IiEEE10hipError_tT0_T1_T2_T3_mRjT4_P12ihipStream_tbNS1_7vsmem_tEEUlT_E_NS1_11comp_targetILNS1_3genE3ELNS1_11target_archE908ELNS1_3gpuE7ELNS1_3repE0EEENS1_30default_config_static_selectorELNS0_4arch9wavefront6targetE0EEEvSK_: ; @_ZN7rocprim17ROCPRIM_400000_NS6detail17trampoline_kernelINS0_14default_configENS1_37merge_sort_block_sort_config_selectorIiNS0_10empty_typeEEEZNS1_21merge_sort_block_sortIS3_N6thrust23THRUST_200600_302600_NS6detail15normal_iteratorINS9_10device_ptrIiEEEESE_PS5_SF_9comp_mod3IiEEE10hipError_tT0_T1_T2_T3_mRjT4_P12ihipStream_tbNS1_7vsmem_tEEUlT_E_NS1_11comp_targetILNS1_3genE3ELNS1_11target_archE908ELNS1_3gpuE7ELNS1_3repE0EEENS1_30default_config_static_selectorELNS0_4arch9wavefront6targetE0EEEvSK_
; %bb.0:
	.section	.rodata,"a",@progbits
	.p2align	6, 0x0
	.amdhsa_kernel _ZN7rocprim17ROCPRIM_400000_NS6detail17trampoline_kernelINS0_14default_configENS1_37merge_sort_block_sort_config_selectorIiNS0_10empty_typeEEEZNS1_21merge_sort_block_sortIS3_N6thrust23THRUST_200600_302600_NS6detail15normal_iteratorINS9_10device_ptrIiEEEESE_PS5_SF_9comp_mod3IiEEE10hipError_tT0_T1_T2_T3_mRjT4_P12ihipStream_tbNS1_7vsmem_tEEUlT_E_NS1_11comp_targetILNS1_3genE3ELNS1_11target_archE908ELNS1_3gpuE7ELNS1_3repE0EEENS1_30default_config_static_selectorELNS0_4arch9wavefront6targetE0EEEvSK_
		.amdhsa_group_segment_fixed_size 0
		.amdhsa_private_segment_fixed_size 0
		.amdhsa_kernarg_size 64
		.amdhsa_user_sgpr_count 6
		.amdhsa_user_sgpr_private_segment_buffer 1
		.amdhsa_user_sgpr_dispatch_ptr 0
		.amdhsa_user_sgpr_queue_ptr 0
		.amdhsa_user_sgpr_kernarg_segment_ptr 1
		.amdhsa_user_sgpr_dispatch_id 0
		.amdhsa_user_sgpr_flat_scratch_init 0
		.amdhsa_user_sgpr_private_segment_size 0
		.amdhsa_wavefront_size32 1
		.amdhsa_uses_dynamic_stack 0
		.amdhsa_system_sgpr_private_segment_wavefront_offset 0
		.amdhsa_system_sgpr_workgroup_id_x 1
		.amdhsa_system_sgpr_workgroup_id_y 0
		.amdhsa_system_sgpr_workgroup_id_z 0
		.amdhsa_system_sgpr_workgroup_info 0
		.amdhsa_system_vgpr_workitem_id 0
		.amdhsa_next_free_vgpr 1
		.amdhsa_next_free_sgpr 1
		.amdhsa_reserve_vcc 0
		.amdhsa_reserve_flat_scratch 0
		.amdhsa_float_round_mode_32 0
		.amdhsa_float_round_mode_16_64 0
		.amdhsa_float_denorm_mode_32 3
		.amdhsa_float_denorm_mode_16_64 3
		.amdhsa_dx10_clamp 1
		.amdhsa_ieee_mode 1
		.amdhsa_fp16_overflow 0
		.amdhsa_workgroup_processor_mode 1
		.amdhsa_memory_ordered 1
		.amdhsa_forward_progress 1
		.amdhsa_shared_vgpr_count 0
		.amdhsa_exception_fp_ieee_invalid_op 0
		.amdhsa_exception_fp_denorm_src 0
		.amdhsa_exception_fp_ieee_div_zero 0
		.amdhsa_exception_fp_ieee_overflow 0
		.amdhsa_exception_fp_ieee_underflow 0
		.amdhsa_exception_fp_ieee_inexact 0
		.amdhsa_exception_int_div_zero 0
	.end_amdhsa_kernel
	.section	.text._ZN7rocprim17ROCPRIM_400000_NS6detail17trampoline_kernelINS0_14default_configENS1_37merge_sort_block_sort_config_selectorIiNS0_10empty_typeEEEZNS1_21merge_sort_block_sortIS3_N6thrust23THRUST_200600_302600_NS6detail15normal_iteratorINS9_10device_ptrIiEEEESE_PS5_SF_9comp_mod3IiEEE10hipError_tT0_T1_T2_T3_mRjT4_P12ihipStream_tbNS1_7vsmem_tEEUlT_E_NS1_11comp_targetILNS1_3genE3ELNS1_11target_archE908ELNS1_3gpuE7ELNS1_3repE0EEENS1_30default_config_static_selectorELNS0_4arch9wavefront6targetE0EEEvSK_,"axG",@progbits,_ZN7rocprim17ROCPRIM_400000_NS6detail17trampoline_kernelINS0_14default_configENS1_37merge_sort_block_sort_config_selectorIiNS0_10empty_typeEEEZNS1_21merge_sort_block_sortIS3_N6thrust23THRUST_200600_302600_NS6detail15normal_iteratorINS9_10device_ptrIiEEEESE_PS5_SF_9comp_mod3IiEEE10hipError_tT0_T1_T2_T3_mRjT4_P12ihipStream_tbNS1_7vsmem_tEEUlT_E_NS1_11comp_targetILNS1_3genE3ELNS1_11target_archE908ELNS1_3gpuE7ELNS1_3repE0EEENS1_30default_config_static_selectorELNS0_4arch9wavefront6targetE0EEEvSK_,comdat
.Lfunc_end982:
	.size	_ZN7rocprim17ROCPRIM_400000_NS6detail17trampoline_kernelINS0_14default_configENS1_37merge_sort_block_sort_config_selectorIiNS0_10empty_typeEEEZNS1_21merge_sort_block_sortIS3_N6thrust23THRUST_200600_302600_NS6detail15normal_iteratorINS9_10device_ptrIiEEEESE_PS5_SF_9comp_mod3IiEEE10hipError_tT0_T1_T2_T3_mRjT4_P12ihipStream_tbNS1_7vsmem_tEEUlT_E_NS1_11comp_targetILNS1_3genE3ELNS1_11target_archE908ELNS1_3gpuE7ELNS1_3repE0EEENS1_30default_config_static_selectorELNS0_4arch9wavefront6targetE0EEEvSK_, .Lfunc_end982-_ZN7rocprim17ROCPRIM_400000_NS6detail17trampoline_kernelINS0_14default_configENS1_37merge_sort_block_sort_config_selectorIiNS0_10empty_typeEEEZNS1_21merge_sort_block_sortIS3_N6thrust23THRUST_200600_302600_NS6detail15normal_iteratorINS9_10device_ptrIiEEEESE_PS5_SF_9comp_mod3IiEEE10hipError_tT0_T1_T2_T3_mRjT4_P12ihipStream_tbNS1_7vsmem_tEEUlT_E_NS1_11comp_targetILNS1_3genE3ELNS1_11target_archE908ELNS1_3gpuE7ELNS1_3repE0EEENS1_30default_config_static_selectorELNS0_4arch9wavefront6targetE0EEEvSK_
                                        ; -- End function
	.set _ZN7rocprim17ROCPRIM_400000_NS6detail17trampoline_kernelINS0_14default_configENS1_37merge_sort_block_sort_config_selectorIiNS0_10empty_typeEEEZNS1_21merge_sort_block_sortIS3_N6thrust23THRUST_200600_302600_NS6detail15normal_iteratorINS9_10device_ptrIiEEEESE_PS5_SF_9comp_mod3IiEEE10hipError_tT0_T1_T2_T3_mRjT4_P12ihipStream_tbNS1_7vsmem_tEEUlT_E_NS1_11comp_targetILNS1_3genE3ELNS1_11target_archE908ELNS1_3gpuE7ELNS1_3repE0EEENS1_30default_config_static_selectorELNS0_4arch9wavefront6targetE0EEEvSK_.num_vgpr, 0
	.set _ZN7rocprim17ROCPRIM_400000_NS6detail17trampoline_kernelINS0_14default_configENS1_37merge_sort_block_sort_config_selectorIiNS0_10empty_typeEEEZNS1_21merge_sort_block_sortIS3_N6thrust23THRUST_200600_302600_NS6detail15normal_iteratorINS9_10device_ptrIiEEEESE_PS5_SF_9comp_mod3IiEEE10hipError_tT0_T1_T2_T3_mRjT4_P12ihipStream_tbNS1_7vsmem_tEEUlT_E_NS1_11comp_targetILNS1_3genE3ELNS1_11target_archE908ELNS1_3gpuE7ELNS1_3repE0EEENS1_30default_config_static_selectorELNS0_4arch9wavefront6targetE0EEEvSK_.num_agpr, 0
	.set _ZN7rocprim17ROCPRIM_400000_NS6detail17trampoline_kernelINS0_14default_configENS1_37merge_sort_block_sort_config_selectorIiNS0_10empty_typeEEEZNS1_21merge_sort_block_sortIS3_N6thrust23THRUST_200600_302600_NS6detail15normal_iteratorINS9_10device_ptrIiEEEESE_PS5_SF_9comp_mod3IiEEE10hipError_tT0_T1_T2_T3_mRjT4_P12ihipStream_tbNS1_7vsmem_tEEUlT_E_NS1_11comp_targetILNS1_3genE3ELNS1_11target_archE908ELNS1_3gpuE7ELNS1_3repE0EEENS1_30default_config_static_selectorELNS0_4arch9wavefront6targetE0EEEvSK_.numbered_sgpr, 0
	.set _ZN7rocprim17ROCPRIM_400000_NS6detail17trampoline_kernelINS0_14default_configENS1_37merge_sort_block_sort_config_selectorIiNS0_10empty_typeEEEZNS1_21merge_sort_block_sortIS3_N6thrust23THRUST_200600_302600_NS6detail15normal_iteratorINS9_10device_ptrIiEEEESE_PS5_SF_9comp_mod3IiEEE10hipError_tT0_T1_T2_T3_mRjT4_P12ihipStream_tbNS1_7vsmem_tEEUlT_E_NS1_11comp_targetILNS1_3genE3ELNS1_11target_archE908ELNS1_3gpuE7ELNS1_3repE0EEENS1_30default_config_static_selectorELNS0_4arch9wavefront6targetE0EEEvSK_.num_named_barrier, 0
	.set _ZN7rocprim17ROCPRIM_400000_NS6detail17trampoline_kernelINS0_14default_configENS1_37merge_sort_block_sort_config_selectorIiNS0_10empty_typeEEEZNS1_21merge_sort_block_sortIS3_N6thrust23THRUST_200600_302600_NS6detail15normal_iteratorINS9_10device_ptrIiEEEESE_PS5_SF_9comp_mod3IiEEE10hipError_tT0_T1_T2_T3_mRjT4_P12ihipStream_tbNS1_7vsmem_tEEUlT_E_NS1_11comp_targetILNS1_3genE3ELNS1_11target_archE908ELNS1_3gpuE7ELNS1_3repE0EEENS1_30default_config_static_selectorELNS0_4arch9wavefront6targetE0EEEvSK_.private_seg_size, 0
	.set _ZN7rocprim17ROCPRIM_400000_NS6detail17trampoline_kernelINS0_14default_configENS1_37merge_sort_block_sort_config_selectorIiNS0_10empty_typeEEEZNS1_21merge_sort_block_sortIS3_N6thrust23THRUST_200600_302600_NS6detail15normal_iteratorINS9_10device_ptrIiEEEESE_PS5_SF_9comp_mod3IiEEE10hipError_tT0_T1_T2_T3_mRjT4_P12ihipStream_tbNS1_7vsmem_tEEUlT_E_NS1_11comp_targetILNS1_3genE3ELNS1_11target_archE908ELNS1_3gpuE7ELNS1_3repE0EEENS1_30default_config_static_selectorELNS0_4arch9wavefront6targetE0EEEvSK_.uses_vcc, 0
	.set _ZN7rocprim17ROCPRIM_400000_NS6detail17trampoline_kernelINS0_14default_configENS1_37merge_sort_block_sort_config_selectorIiNS0_10empty_typeEEEZNS1_21merge_sort_block_sortIS3_N6thrust23THRUST_200600_302600_NS6detail15normal_iteratorINS9_10device_ptrIiEEEESE_PS5_SF_9comp_mod3IiEEE10hipError_tT0_T1_T2_T3_mRjT4_P12ihipStream_tbNS1_7vsmem_tEEUlT_E_NS1_11comp_targetILNS1_3genE3ELNS1_11target_archE908ELNS1_3gpuE7ELNS1_3repE0EEENS1_30default_config_static_selectorELNS0_4arch9wavefront6targetE0EEEvSK_.uses_flat_scratch, 0
	.set _ZN7rocprim17ROCPRIM_400000_NS6detail17trampoline_kernelINS0_14default_configENS1_37merge_sort_block_sort_config_selectorIiNS0_10empty_typeEEEZNS1_21merge_sort_block_sortIS3_N6thrust23THRUST_200600_302600_NS6detail15normal_iteratorINS9_10device_ptrIiEEEESE_PS5_SF_9comp_mod3IiEEE10hipError_tT0_T1_T2_T3_mRjT4_P12ihipStream_tbNS1_7vsmem_tEEUlT_E_NS1_11comp_targetILNS1_3genE3ELNS1_11target_archE908ELNS1_3gpuE7ELNS1_3repE0EEENS1_30default_config_static_selectorELNS0_4arch9wavefront6targetE0EEEvSK_.has_dyn_sized_stack, 0
	.set _ZN7rocprim17ROCPRIM_400000_NS6detail17trampoline_kernelINS0_14default_configENS1_37merge_sort_block_sort_config_selectorIiNS0_10empty_typeEEEZNS1_21merge_sort_block_sortIS3_N6thrust23THRUST_200600_302600_NS6detail15normal_iteratorINS9_10device_ptrIiEEEESE_PS5_SF_9comp_mod3IiEEE10hipError_tT0_T1_T2_T3_mRjT4_P12ihipStream_tbNS1_7vsmem_tEEUlT_E_NS1_11comp_targetILNS1_3genE3ELNS1_11target_archE908ELNS1_3gpuE7ELNS1_3repE0EEENS1_30default_config_static_selectorELNS0_4arch9wavefront6targetE0EEEvSK_.has_recursion, 0
	.set _ZN7rocprim17ROCPRIM_400000_NS6detail17trampoline_kernelINS0_14default_configENS1_37merge_sort_block_sort_config_selectorIiNS0_10empty_typeEEEZNS1_21merge_sort_block_sortIS3_N6thrust23THRUST_200600_302600_NS6detail15normal_iteratorINS9_10device_ptrIiEEEESE_PS5_SF_9comp_mod3IiEEE10hipError_tT0_T1_T2_T3_mRjT4_P12ihipStream_tbNS1_7vsmem_tEEUlT_E_NS1_11comp_targetILNS1_3genE3ELNS1_11target_archE908ELNS1_3gpuE7ELNS1_3repE0EEENS1_30default_config_static_selectorELNS0_4arch9wavefront6targetE0EEEvSK_.has_indirect_call, 0
	.section	.AMDGPU.csdata,"",@progbits
; Kernel info:
; codeLenInByte = 0
; TotalNumSgprs: 0
; NumVgprs: 0
; ScratchSize: 0
; MemoryBound: 0
; FloatMode: 240
; IeeeMode: 1
; LDSByteSize: 0 bytes/workgroup (compile time only)
; SGPRBlocks: 0
; VGPRBlocks: 0
; NumSGPRsForWavesPerEU: 1
; NumVGPRsForWavesPerEU: 1
; Occupancy: 16
; WaveLimiterHint : 0
; COMPUTE_PGM_RSRC2:SCRATCH_EN: 0
; COMPUTE_PGM_RSRC2:USER_SGPR: 6
; COMPUTE_PGM_RSRC2:TRAP_HANDLER: 0
; COMPUTE_PGM_RSRC2:TGID_X_EN: 1
; COMPUTE_PGM_RSRC2:TGID_Y_EN: 0
; COMPUTE_PGM_RSRC2:TGID_Z_EN: 0
; COMPUTE_PGM_RSRC2:TIDIG_COMP_CNT: 0
	.section	.text._ZN7rocprim17ROCPRIM_400000_NS6detail17trampoline_kernelINS0_14default_configENS1_37merge_sort_block_sort_config_selectorIiNS0_10empty_typeEEEZNS1_21merge_sort_block_sortIS3_N6thrust23THRUST_200600_302600_NS6detail15normal_iteratorINS9_10device_ptrIiEEEESE_PS5_SF_9comp_mod3IiEEE10hipError_tT0_T1_T2_T3_mRjT4_P12ihipStream_tbNS1_7vsmem_tEEUlT_E_NS1_11comp_targetILNS1_3genE2ELNS1_11target_archE906ELNS1_3gpuE6ELNS1_3repE0EEENS1_30default_config_static_selectorELNS0_4arch9wavefront6targetE0EEEvSK_,"axG",@progbits,_ZN7rocprim17ROCPRIM_400000_NS6detail17trampoline_kernelINS0_14default_configENS1_37merge_sort_block_sort_config_selectorIiNS0_10empty_typeEEEZNS1_21merge_sort_block_sortIS3_N6thrust23THRUST_200600_302600_NS6detail15normal_iteratorINS9_10device_ptrIiEEEESE_PS5_SF_9comp_mod3IiEEE10hipError_tT0_T1_T2_T3_mRjT4_P12ihipStream_tbNS1_7vsmem_tEEUlT_E_NS1_11comp_targetILNS1_3genE2ELNS1_11target_archE906ELNS1_3gpuE6ELNS1_3repE0EEENS1_30default_config_static_selectorELNS0_4arch9wavefront6targetE0EEEvSK_,comdat
	.protected	_ZN7rocprim17ROCPRIM_400000_NS6detail17trampoline_kernelINS0_14default_configENS1_37merge_sort_block_sort_config_selectorIiNS0_10empty_typeEEEZNS1_21merge_sort_block_sortIS3_N6thrust23THRUST_200600_302600_NS6detail15normal_iteratorINS9_10device_ptrIiEEEESE_PS5_SF_9comp_mod3IiEEE10hipError_tT0_T1_T2_T3_mRjT4_P12ihipStream_tbNS1_7vsmem_tEEUlT_E_NS1_11comp_targetILNS1_3genE2ELNS1_11target_archE906ELNS1_3gpuE6ELNS1_3repE0EEENS1_30default_config_static_selectorELNS0_4arch9wavefront6targetE0EEEvSK_ ; -- Begin function _ZN7rocprim17ROCPRIM_400000_NS6detail17trampoline_kernelINS0_14default_configENS1_37merge_sort_block_sort_config_selectorIiNS0_10empty_typeEEEZNS1_21merge_sort_block_sortIS3_N6thrust23THRUST_200600_302600_NS6detail15normal_iteratorINS9_10device_ptrIiEEEESE_PS5_SF_9comp_mod3IiEEE10hipError_tT0_T1_T2_T3_mRjT4_P12ihipStream_tbNS1_7vsmem_tEEUlT_E_NS1_11comp_targetILNS1_3genE2ELNS1_11target_archE906ELNS1_3gpuE6ELNS1_3repE0EEENS1_30default_config_static_selectorELNS0_4arch9wavefront6targetE0EEEvSK_
	.globl	_ZN7rocprim17ROCPRIM_400000_NS6detail17trampoline_kernelINS0_14default_configENS1_37merge_sort_block_sort_config_selectorIiNS0_10empty_typeEEEZNS1_21merge_sort_block_sortIS3_N6thrust23THRUST_200600_302600_NS6detail15normal_iteratorINS9_10device_ptrIiEEEESE_PS5_SF_9comp_mod3IiEEE10hipError_tT0_T1_T2_T3_mRjT4_P12ihipStream_tbNS1_7vsmem_tEEUlT_E_NS1_11comp_targetILNS1_3genE2ELNS1_11target_archE906ELNS1_3gpuE6ELNS1_3repE0EEENS1_30default_config_static_selectorELNS0_4arch9wavefront6targetE0EEEvSK_
	.p2align	8
	.type	_ZN7rocprim17ROCPRIM_400000_NS6detail17trampoline_kernelINS0_14default_configENS1_37merge_sort_block_sort_config_selectorIiNS0_10empty_typeEEEZNS1_21merge_sort_block_sortIS3_N6thrust23THRUST_200600_302600_NS6detail15normal_iteratorINS9_10device_ptrIiEEEESE_PS5_SF_9comp_mod3IiEEE10hipError_tT0_T1_T2_T3_mRjT4_P12ihipStream_tbNS1_7vsmem_tEEUlT_E_NS1_11comp_targetILNS1_3genE2ELNS1_11target_archE906ELNS1_3gpuE6ELNS1_3repE0EEENS1_30default_config_static_selectorELNS0_4arch9wavefront6targetE0EEEvSK_,@function
_ZN7rocprim17ROCPRIM_400000_NS6detail17trampoline_kernelINS0_14default_configENS1_37merge_sort_block_sort_config_selectorIiNS0_10empty_typeEEEZNS1_21merge_sort_block_sortIS3_N6thrust23THRUST_200600_302600_NS6detail15normal_iteratorINS9_10device_ptrIiEEEESE_PS5_SF_9comp_mod3IiEEE10hipError_tT0_T1_T2_T3_mRjT4_P12ihipStream_tbNS1_7vsmem_tEEUlT_E_NS1_11comp_targetILNS1_3genE2ELNS1_11target_archE906ELNS1_3gpuE6ELNS1_3repE0EEENS1_30default_config_static_selectorELNS0_4arch9wavefront6targetE0EEEvSK_: ; @_ZN7rocprim17ROCPRIM_400000_NS6detail17trampoline_kernelINS0_14default_configENS1_37merge_sort_block_sort_config_selectorIiNS0_10empty_typeEEEZNS1_21merge_sort_block_sortIS3_N6thrust23THRUST_200600_302600_NS6detail15normal_iteratorINS9_10device_ptrIiEEEESE_PS5_SF_9comp_mod3IiEEE10hipError_tT0_T1_T2_T3_mRjT4_P12ihipStream_tbNS1_7vsmem_tEEUlT_E_NS1_11comp_targetILNS1_3genE2ELNS1_11target_archE906ELNS1_3gpuE6ELNS1_3repE0EEENS1_30default_config_static_selectorELNS0_4arch9wavefront6targetE0EEEvSK_
; %bb.0:
	.section	.rodata,"a",@progbits
	.p2align	6, 0x0
	.amdhsa_kernel _ZN7rocprim17ROCPRIM_400000_NS6detail17trampoline_kernelINS0_14default_configENS1_37merge_sort_block_sort_config_selectorIiNS0_10empty_typeEEEZNS1_21merge_sort_block_sortIS3_N6thrust23THRUST_200600_302600_NS6detail15normal_iteratorINS9_10device_ptrIiEEEESE_PS5_SF_9comp_mod3IiEEE10hipError_tT0_T1_T2_T3_mRjT4_P12ihipStream_tbNS1_7vsmem_tEEUlT_E_NS1_11comp_targetILNS1_3genE2ELNS1_11target_archE906ELNS1_3gpuE6ELNS1_3repE0EEENS1_30default_config_static_selectorELNS0_4arch9wavefront6targetE0EEEvSK_
		.amdhsa_group_segment_fixed_size 0
		.amdhsa_private_segment_fixed_size 0
		.amdhsa_kernarg_size 64
		.amdhsa_user_sgpr_count 6
		.amdhsa_user_sgpr_private_segment_buffer 1
		.amdhsa_user_sgpr_dispatch_ptr 0
		.amdhsa_user_sgpr_queue_ptr 0
		.amdhsa_user_sgpr_kernarg_segment_ptr 1
		.amdhsa_user_sgpr_dispatch_id 0
		.amdhsa_user_sgpr_flat_scratch_init 0
		.amdhsa_user_sgpr_private_segment_size 0
		.amdhsa_wavefront_size32 1
		.amdhsa_uses_dynamic_stack 0
		.amdhsa_system_sgpr_private_segment_wavefront_offset 0
		.amdhsa_system_sgpr_workgroup_id_x 1
		.amdhsa_system_sgpr_workgroup_id_y 0
		.amdhsa_system_sgpr_workgroup_id_z 0
		.amdhsa_system_sgpr_workgroup_info 0
		.amdhsa_system_vgpr_workitem_id 0
		.amdhsa_next_free_vgpr 1
		.amdhsa_next_free_sgpr 1
		.amdhsa_reserve_vcc 0
		.amdhsa_reserve_flat_scratch 0
		.amdhsa_float_round_mode_32 0
		.amdhsa_float_round_mode_16_64 0
		.amdhsa_float_denorm_mode_32 3
		.amdhsa_float_denorm_mode_16_64 3
		.amdhsa_dx10_clamp 1
		.amdhsa_ieee_mode 1
		.amdhsa_fp16_overflow 0
		.amdhsa_workgroup_processor_mode 1
		.amdhsa_memory_ordered 1
		.amdhsa_forward_progress 1
		.amdhsa_shared_vgpr_count 0
		.amdhsa_exception_fp_ieee_invalid_op 0
		.amdhsa_exception_fp_denorm_src 0
		.amdhsa_exception_fp_ieee_div_zero 0
		.amdhsa_exception_fp_ieee_overflow 0
		.amdhsa_exception_fp_ieee_underflow 0
		.amdhsa_exception_fp_ieee_inexact 0
		.amdhsa_exception_int_div_zero 0
	.end_amdhsa_kernel
	.section	.text._ZN7rocprim17ROCPRIM_400000_NS6detail17trampoline_kernelINS0_14default_configENS1_37merge_sort_block_sort_config_selectorIiNS0_10empty_typeEEEZNS1_21merge_sort_block_sortIS3_N6thrust23THRUST_200600_302600_NS6detail15normal_iteratorINS9_10device_ptrIiEEEESE_PS5_SF_9comp_mod3IiEEE10hipError_tT0_T1_T2_T3_mRjT4_P12ihipStream_tbNS1_7vsmem_tEEUlT_E_NS1_11comp_targetILNS1_3genE2ELNS1_11target_archE906ELNS1_3gpuE6ELNS1_3repE0EEENS1_30default_config_static_selectorELNS0_4arch9wavefront6targetE0EEEvSK_,"axG",@progbits,_ZN7rocprim17ROCPRIM_400000_NS6detail17trampoline_kernelINS0_14default_configENS1_37merge_sort_block_sort_config_selectorIiNS0_10empty_typeEEEZNS1_21merge_sort_block_sortIS3_N6thrust23THRUST_200600_302600_NS6detail15normal_iteratorINS9_10device_ptrIiEEEESE_PS5_SF_9comp_mod3IiEEE10hipError_tT0_T1_T2_T3_mRjT4_P12ihipStream_tbNS1_7vsmem_tEEUlT_E_NS1_11comp_targetILNS1_3genE2ELNS1_11target_archE906ELNS1_3gpuE6ELNS1_3repE0EEENS1_30default_config_static_selectorELNS0_4arch9wavefront6targetE0EEEvSK_,comdat
.Lfunc_end983:
	.size	_ZN7rocprim17ROCPRIM_400000_NS6detail17trampoline_kernelINS0_14default_configENS1_37merge_sort_block_sort_config_selectorIiNS0_10empty_typeEEEZNS1_21merge_sort_block_sortIS3_N6thrust23THRUST_200600_302600_NS6detail15normal_iteratorINS9_10device_ptrIiEEEESE_PS5_SF_9comp_mod3IiEEE10hipError_tT0_T1_T2_T3_mRjT4_P12ihipStream_tbNS1_7vsmem_tEEUlT_E_NS1_11comp_targetILNS1_3genE2ELNS1_11target_archE906ELNS1_3gpuE6ELNS1_3repE0EEENS1_30default_config_static_selectorELNS0_4arch9wavefront6targetE0EEEvSK_, .Lfunc_end983-_ZN7rocprim17ROCPRIM_400000_NS6detail17trampoline_kernelINS0_14default_configENS1_37merge_sort_block_sort_config_selectorIiNS0_10empty_typeEEEZNS1_21merge_sort_block_sortIS3_N6thrust23THRUST_200600_302600_NS6detail15normal_iteratorINS9_10device_ptrIiEEEESE_PS5_SF_9comp_mod3IiEEE10hipError_tT0_T1_T2_T3_mRjT4_P12ihipStream_tbNS1_7vsmem_tEEUlT_E_NS1_11comp_targetILNS1_3genE2ELNS1_11target_archE906ELNS1_3gpuE6ELNS1_3repE0EEENS1_30default_config_static_selectorELNS0_4arch9wavefront6targetE0EEEvSK_
                                        ; -- End function
	.set _ZN7rocprim17ROCPRIM_400000_NS6detail17trampoline_kernelINS0_14default_configENS1_37merge_sort_block_sort_config_selectorIiNS0_10empty_typeEEEZNS1_21merge_sort_block_sortIS3_N6thrust23THRUST_200600_302600_NS6detail15normal_iteratorINS9_10device_ptrIiEEEESE_PS5_SF_9comp_mod3IiEEE10hipError_tT0_T1_T2_T3_mRjT4_P12ihipStream_tbNS1_7vsmem_tEEUlT_E_NS1_11comp_targetILNS1_3genE2ELNS1_11target_archE906ELNS1_3gpuE6ELNS1_3repE0EEENS1_30default_config_static_selectorELNS0_4arch9wavefront6targetE0EEEvSK_.num_vgpr, 0
	.set _ZN7rocprim17ROCPRIM_400000_NS6detail17trampoline_kernelINS0_14default_configENS1_37merge_sort_block_sort_config_selectorIiNS0_10empty_typeEEEZNS1_21merge_sort_block_sortIS3_N6thrust23THRUST_200600_302600_NS6detail15normal_iteratorINS9_10device_ptrIiEEEESE_PS5_SF_9comp_mod3IiEEE10hipError_tT0_T1_T2_T3_mRjT4_P12ihipStream_tbNS1_7vsmem_tEEUlT_E_NS1_11comp_targetILNS1_3genE2ELNS1_11target_archE906ELNS1_3gpuE6ELNS1_3repE0EEENS1_30default_config_static_selectorELNS0_4arch9wavefront6targetE0EEEvSK_.num_agpr, 0
	.set _ZN7rocprim17ROCPRIM_400000_NS6detail17trampoline_kernelINS0_14default_configENS1_37merge_sort_block_sort_config_selectorIiNS0_10empty_typeEEEZNS1_21merge_sort_block_sortIS3_N6thrust23THRUST_200600_302600_NS6detail15normal_iteratorINS9_10device_ptrIiEEEESE_PS5_SF_9comp_mod3IiEEE10hipError_tT0_T1_T2_T3_mRjT4_P12ihipStream_tbNS1_7vsmem_tEEUlT_E_NS1_11comp_targetILNS1_3genE2ELNS1_11target_archE906ELNS1_3gpuE6ELNS1_3repE0EEENS1_30default_config_static_selectorELNS0_4arch9wavefront6targetE0EEEvSK_.numbered_sgpr, 0
	.set _ZN7rocprim17ROCPRIM_400000_NS6detail17trampoline_kernelINS0_14default_configENS1_37merge_sort_block_sort_config_selectorIiNS0_10empty_typeEEEZNS1_21merge_sort_block_sortIS3_N6thrust23THRUST_200600_302600_NS6detail15normal_iteratorINS9_10device_ptrIiEEEESE_PS5_SF_9comp_mod3IiEEE10hipError_tT0_T1_T2_T3_mRjT4_P12ihipStream_tbNS1_7vsmem_tEEUlT_E_NS1_11comp_targetILNS1_3genE2ELNS1_11target_archE906ELNS1_3gpuE6ELNS1_3repE0EEENS1_30default_config_static_selectorELNS0_4arch9wavefront6targetE0EEEvSK_.num_named_barrier, 0
	.set _ZN7rocprim17ROCPRIM_400000_NS6detail17trampoline_kernelINS0_14default_configENS1_37merge_sort_block_sort_config_selectorIiNS0_10empty_typeEEEZNS1_21merge_sort_block_sortIS3_N6thrust23THRUST_200600_302600_NS6detail15normal_iteratorINS9_10device_ptrIiEEEESE_PS5_SF_9comp_mod3IiEEE10hipError_tT0_T1_T2_T3_mRjT4_P12ihipStream_tbNS1_7vsmem_tEEUlT_E_NS1_11comp_targetILNS1_3genE2ELNS1_11target_archE906ELNS1_3gpuE6ELNS1_3repE0EEENS1_30default_config_static_selectorELNS0_4arch9wavefront6targetE0EEEvSK_.private_seg_size, 0
	.set _ZN7rocprim17ROCPRIM_400000_NS6detail17trampoline_kernelINS0_14default_configENS1_37merge_sort_block_sort_config_selectorIiNS0_10empty_typeEEEZNS1_21merge_sort_block_sortIS3_N6thrust23THRUST_200600_302600_NS6detail15normal_iteratorINS9_10device_ptrIiEEEESE_PS5_SF_9comp_mod3IiEEE10hipError_tT0_T1_T2_T3_mRjT4_P12ihipStream_tbNS1_7vsmem_tEEUlT_E_NS1_11comp_targetILNS1_3genE2ELNS1_11target_archE906ELNS1_3gpuE6ELNS1_3repE0EEENS1_30default_config_static_selectorELNS0_4arch9wavefront6targetE0EEEvSK_.uses_vcc, 0
	.set _ZN7rocprim17ROCPRIM_400000_NS6detail17trampoline_kernelINS0_14default_configENS1_37merge_sort_block_sort_config_selectorIiNS0_10empty_typeEEEZNS1_21merge_sort_block_sortIS3_N6thrust23THRUST_200600_302600_NS6detail15normal_iteratorINS9_10device_ptrIiEEEESE_PS5_SF_9comp_mod3IiEEE10hipError_tT0_T1_T2_T3_mRjT4_P12ihipStream_tbNS1_7vsmem_tEEUlT_E_NS1_11comp_targetILNS1_3genE2ELNS1_11target_archE906ELNS1_3gpuE6ELNS1_3repE0EEENS1_30default_config_static_selectorELNS0_4arch9wavefront6targetE0EEEvSK_.uses_flat_scratch, 0
	.set _ZN7rocprim17ROCPRIM_400000_NS6detail17trampoline_kernelINS0_14default_configENS1_37merge_sort_block_sort_config_selectorIiNS0_10empty_typeEEEZNS1_21merge_sort_block_sortIS3_N6thrust23THRUST_200600_302600_NS6detail15normal_iteratorINS9_10device_ptrIiEEEESE_PS5_SF_9comp_mod3IiEEE10hipError_tT0_T1_T2_T3_mRjT4_P12ihipStream_tbNS1_7vsmem_tEEUlT_E_NS1_11comp_targetILNS1_3genE2ELNS1_11target_archE906ELNS1_3gpuE6ELNS1_3repE0EEENS1_30default_config_static_selectorELNS0_4arch9wavefront6targetE0EEEvSK_.has_dyn_sized_stack, 0
	.set _ZN7rocprim17ROCPRIM_400000_NS6detail17trampoline_kernelINS0_14default_configENS1_37merge_sort_block_sort_config_selectorIiNS0_10empty_typeEEEZNS1_21merge_sort_block_sortIS3_N6thrust23THRUST_200600_302600_NS6detail15normal_iteratorINS9_10device_ptrIiEEEESE_PS5_SF_9comp_mod3IiEEE10hipError_tT0_T1_T2_T3_mRjT4_P12ihipStream_tbNS1_7vsmem_tEEUlT_E_NS1_11comp_targetILNS1_3genE2ELNS1_11target_archE906ELNS1_3gpuE6ELNS1_3repE0EEENS1_30default_config_static_selectorELNS0_4arch9wavefront6targetE0EEEvSK_.has_recursion, 0
	.set _ZN7rocprim17ROCPRIM_400000_NS6detail17trampoline_kernelINS0_14default_configENS1_37merge_sort_block_sort_config_selectorIiNS0_10empty_typeEEEZNS1_21merge_sort_block_sortIS3_N6thrust23THRUST_200600_302600_NS6detail15normal_iteratorINS9_10device_ptrIiEEEESE_PS5_SF_9comp_mod3IiEEE10hipError_tT0_T1_T2_T3_mRjT4_P12ihipStream_tbNS1_7vsmem_tEEUlT_E_NS1_11comp_targetILNS1_3genE2ELNS1_11target_archE906ELNS1_3gpuE6ELNS1_3repE0EEENS1_30default_config_static_selectorELNS0_4arch9wavefront6targetE0EEEvSK_.has_indirect_call, 0
	.section	.AMDGPU.csdata,"",@progbits
; Kernel info:
; codeLenInByte = 0
; TotalNumSgprs: 0
; NumVgprs: 0
; ScratchSize: 0
; MemoryBound: 0
; FloatMode: 240
; IeeeMode: 1
; LDSByteSize: 0 bytes/workgroup (compile time only)
; SGPRBlocks: 0
; VGPRBlocks: 0
; NumSGPRsForWavesPerEU: 1
; NumVGPRsForWavesPerEU: 1
; Occupancy: 16
; WaveLimiterHint : 0
; COMPUTE_PGM_RSRC2:SCRATCH_EN: 0
; COMPUTE_PGM_RSRC2:USER_SGPR: 6
; COMPUTE_PGM_RSRC2:TRAP_HANDLER: 0
; COMPUTE_PGM_RSRC2:TGID_X_EN: 1
; COMPUTE_PGM_RSRC2:TGID_Y_EN: 0
; COMPUTE_PGM_RSRC2:TGID_Z_EN: 0
; COMPUTE_PGM_RSRC2:TIDIG_COMP_CNT: 0
	.section	.text._ZN7rocprim17ROCPRIM_400000_NS6detail17trampoline_kernelINS0_14default_configENS1_37merge_sort_block_sort_config_selectorIiNS0_10empty_typeEEEZNS1_21merge_sort_block_sortIS3_N6thrust23THRUST_200600_302600_NS6detail15normal_iteratorINS9_10device_ptrIiEEEESE_PS5_SF_9comp_mod3IiEEE10hipError_tT0_T1_T2_T3_mRjT4_P12ihipStream_tbNS1_7vsmem_tEEUlT_E_NS1_11comp_targetILNS1_3genE10ELNS1_11target_archE1201ELNS1_3gpuE5ELNS1_3repE0EEENS1_30default_config_static_selectorELNS0_4arch9wavefront6targetE0EEEvSK_,"axG",@progbits,_ZN7rocprim17ROCPRIM_400000_NS6detail17trampoline_kernelINS0_14default_configENS1_37merge_sort_block_sort_config_selectorIiNS0_10empty_typeEEEZNS1_21merge_sort_block_sortIS3_N6thrust23THRUST_200600_302600_NS6detail15normal_iteratorINS9_10device_ptrIiEEEESE_PS5_SF_9comp_mod3IiEEE10hipError_tT0_T1_T2_T3_mRjT4_P12ihipStream_tbNS1_7vsmem_tEEUlT_E_NS1_11comp_targetILNS1_3genE10ELNS1_11target_archE1201ELNS1_3gpuE5ELNS1_3repE0EEENS1_30default_config_static_selectorELNS0_4arch9wavefront6targetE0EEEvSK_,comdat
	.protected	_ZN7rocprim17ROCPRIM_400000_NS6detail17trampoline_kernelINS0_14default_configENS1_37merge_sort_block_sort_config_selectorIiNS0_10empty_typeEEEZNS1_21merge_sort_block_sortIS3_N6thrust23THRUST_200600_302600_NS6detail15normal_iteratorINS9_10device_ptrIiEEEESE_PS5_SF_9comp_mod3IiEEE10hipError_tT0_T1_T2_T3_mRjT4_P12ihipStream_tbNS1_7vsmem_tEEUlT_E_NS1_11comp_targetILNS1_3genE10ELNS1_11target_archE1201ELNS1_3gpuE5ELNS1_3repE0EEENS1_30default_config_static_selectorELNS0_4arch9wavefront6targetE0EEEvSK_ ; -- Begin function _ZN7rocprim17ROCPRIM_400000_NS6detail17trampoline_kernelINS0_14default_configENS1_37merge_sort_block_sort_config_selectorIiNS0_10empty_typeEEEZNS1_21merge_sort_block_sortIS3_N6thrust23THRUST_200600_302600_NS6detail15normal_iteratorINS9_10device_ptrIiEEEESE_PS5_SF_9comp_mod3IiEEE10hipError_tT0_T1_T2_T3_mRjT4_P12ihipStream_tbNS1_7vsmem_tEEUlT_E_NS1_11comp_targetILNS1_3genE10ELNS1_11target_archE1201ELNS1_3gpuE5ELNS1_3repE0EEENS1_30default_config_static_selectorELNS0_4arch9wavefront6targetE0EEEvSK_
	.globl	_ZN7rocprim17ROCPRIM_400000_NS6detail17trampoline_kernelINS0_14default_configENS1_37merge_sort_block_sort_config_selectorIiNS0_10empty_typeEEEZNS1_21merge_sort_block_sortIS3_N6thrust23THRUST_200600_302600_NS6detail15normal_iteratorINS9_10device_ptrIiEEEESE_PS5_SF_9comp_mod3IiEEE10hipError_tT0_T1_T2_T3_mRjT4_P12ihipStream_tbNS1_7vsmem_tEEUlT_E_NS1_11comp_targetILNS1_3genE10ELNS1_11target_archE1201ELNS1_3gpuE5ELNS1_3repE0EEENS1_30default_config_static_selectorELNS0_4arch9wavefront6targetE0EEEvSK_
	.p2align	8
	.type	_ZN7rocprim17ROCPRIM_400000_NS6detail17trampoline_kernelINS0_14default_configENS1_37merge_sort_block_sort_config_selectorIiNS0_10empty_typeEEEZNS1_21merge_sort_block_sortIS3_N6thrust23THRUST_200600_302600_NS6detail15normal_iteratorINS9_10device_ptrIiEEEESE_PS5_SF_9comp_mod3IiEEE10hipError_tT0_T1_T2_T3_mRjT4_P12ihipStream_tbNS1_7vsmem_tEEUlT_E_NS1_11comp_targetILNS1_3genE10ELNS1_11target_archE1201ELNS1_3gpuE5ELNS1_3repE0EEENS1_30default_config_static_selectorELNS0_4arch9wavefront6targetE0EEEvSK_,@function
_ZN7rocprim17ROCPRIM_400000_NS6detail17trampoline_kernelINS0_14default_configENS1_37merge_sort_block_sort_config_selectorIiNS0_10empty_typeEEEZNS1_21merge_sort_block_sortIS3_N6thrust23THRUST_200600_302600_NS6detail15normal_iteratorINS9_10device_ptrIiEEEESE_PS5_SF_9comp_mod3IiEEE10hipError_tT0_T1_T2_T3_mRjT4_P12ihipStream_tbNS1_7vsmem_tEEUlT_E_NS1_11comp_targetILNS1_3genE10ELNS1_11target_archE1201ELNS1_3gpuE5ELNS1_3repE0EEENS1_30default_config_static_selectorELNS0_4arch9wavefront6targetE0EEEvSK_: ; @_ZN7rocprim17ROCPRIM_400000_NS6detail17trampoline_kernelINS0_14default_configENS1_37merge_sort_block_sort_config_selectorIiNS0_10empty_typeEEEZNS1_21merge_sort_block_sortIS3_N6thrust23THRUST_200600_302600_NS6detail15normal_iteratorINS9_10device_ptrIiEEEESE_PS5_SF_9comp_mod3IiEEE10hipError_tT0_T1_T2_T3_mRjT4_P12ihipStream_tbNS1_7vsmem_tEEUlT_E_NS1_11comp_targetILNS1_3genE10ELNS1_11target_archE1201ELNS1_3gpuE5ELNS1_3repE0EEENS1_30default_config_static_selectorELNS0_4arch9wavefront6targetE0EEEvSK_
; %bb.0:
	.section	.rodata,"a",@progbits
	.p2align	6, 0x0
	.amdhsa_kernel _ZN7rocprim17ROCPRIM_400000_NS6detail17trampoline_kernelINS0_14default_configENS1_37merge_sort_block_sort_config_selectorIiNS0_10empty_typeEEEZNS1_21merge_sort_block_sortIS3_N6thrust23THRUST_200600_302600_NS6detail15normal_iteratorINS9_10device_ptrIiEEEESE_PS5_SF_9comp_mod3IiEEE10hipError_tT0_T1_T2_T3_mRjT4_P12ihipStream_tbNS1_7vsmem_tEEUlT_E_NS1_11comp_targetILNS1_3genE10ELNS1_11target_archE1201ELNS1_3gpuE5ELNS1_3repE0EEENS1_30default_config_static_selectorELNS0_4arch9wavefront6targetE0EEEvSK_
		.amdhsa_group_segment_fixed_size 0
		.amdhsa_private_segment_fixed_size 0
		.amdhsa_kernarg_size 64
		.amdhsa_user_sgpr_count 6
		.amdhsa_user_sgpr_private_segment_buffer 1
		.amdhsa_user_sgpr_dispatch_ptr 0
		.amdhsa_user_sgpr_queue_ptr 0
		.amdhsa_user_sgpr_kernarg_segment_ptr 1
		.amdhsa_user_sgpr_dispatch_id 0
		.amdhsa_user_sgpr_flat_scratch_init 0
		.amdhsa_user_sgpr_private_segment_size 0
		.amdhsa_wavefront_size32 1
		.amdhsa_uses_dynamic_stack 0
		.amdhsa_system_sgpr_private_segment_wavefront_offset 0
		.amdhsa_system_sgpr_workgroup_id_x 1
		.amdhsa_system_sgpr_workgroup_id_y 0
		.amdhsa_system_sgpr_workgroup_id_z 0
		.amdhsa_system_sgpr_workgroup_info 0
		.amdhsa_system_vgpr_workitem_id 0
		.amdhsa_next_free_vgpr 1
		.amdhsa_next_free_sgpr 1
		.amdhsa_reserve_vcc 0
		.amdhsa_reserve_flat_scratch 0
		.amdhsa_float_round_mode_32 0
		.amdhsa_float_round_mode_16_64 0
		.amdhsa_float_denorm_mode_32 3
		.amdhsa_float_denorm_mode_16_64 3
		.amdhsa_dx10_clamp 1
		.amdhsa_ieee_mode 1
		.amdhsa_fp16_overflow 0
		.amdhsa_workgroup_processor_mode 1
		.amdhsa_memory_ordered 1
		.amdhsa_forward_progress 1
		.amdhsa_shared_vgpr_count 0
		.amdhsa_exception_fp_ieee_invalid_op 0
		.amdhsa_exception_fp_denorm_src 0
		.amdhsa_exception_fp_ieee_div_zero 0
		.amdhsa_exception_fp_ieee_overflow 0
		.amdhsa_exception_fp_ieee_underflow 0
		.amdhsa_exception_fp_ieee_inexact 0
		.amdhsa_exception_int_div_zero 0
	.end_amdhsa_kernel
	.section	.text._ZN7rocprim17ROCPRIM_400000_NS6detail17trampoline_kernelINS0_14default_configENS1_37merge_sort_block_sort_config_selectorIiNS0_10empty_typeEEEZNS1_21merge_sort_block_sortIS3_N6thrust23THRUST_200600_302600_NS6detail15normal_iteratorINS9_10device_ptrIiEEEESE_PS5_SF_9comp_mod3IiEEE10hipError_tT0_T1_T2_T3_mRjT4_P12ihipStream_tbNS1_7vsmem_tEEUlT_E_NS1_11comp_targetILNS1_3genE10ELNS1_11target_archE1201ELNS1_3gpuE5ELNS1_3repE0EEENS1_30default_config_static_selectorELNS0_4arch9wavefront6targetE0EEEvSK_,"axG",@progbits,_ZN7rocprim17ROCPRIM_400000_NS6detail17trampoline_kernelINS0_14default_configENS1_37merge_sort_block_sort_config_selectorIiNS0_10empty_typeEEEZNS1_21merge_sort_block_sortIS3_N6thrust23THRUST_200600_302600_NS6detail15normal_iteratorINS9_10device_ptrIiEEEESE_PS5_SF_9comp_mod3IiEEE10hipError_tT0_T1_T2_T3_mRjT4_P12ihipStream_tbNS1_7vsmem_tEEUlT_E_NS1_11comp_targetILNS1_3genE10ELNS1_11target_archE1201ELNS1_3gpuE5ELNS1_3repE0EEENS1_30default_config_static_selectorELNS0_4arch9wavefront6targetE0EEEvSK_,comdat
.Lfunc_end984:
	.size	_ZN7rocprim17ROCPRIM_400000_NS6detail17trampoline_kernelINS0_14default_configENS1_37merge_sort_block_sort_config_selectorIiNS0_10empty_typeEEEZNS1_21merge_sort_block_sortIS3_N6thrust23THRUST_200600_302600_NS6detail15normal_iteratorINS9_10device_ptrIiEEEESE_PS5_SF_9comp_mod3IiEEE10hipError_tT0_T1_T2_T3_mRjT4_P12ihipStream_tbNS1_7vsmem_tEEUlT_E_NS1_11comp_targetILNS1_3genE10ELNS1_11target_archE1201ELNS1_3gpuE5ELNS1_3repE0EEENS1_30default_config_static_selectorELNS0_4arch9wavefront6targetE0EEEvSK_, .Lfunc_end984-_ZN7rocprim17ROCPRIM_400000_NS6detail17trampoline_kernelINS0_14default_configENS1_37merge_sort_block_sort_config_selectorIiNS0_10empty_typeEEEZNS1_21merge_sort_block_sortIS3_N6thrust23THRUST_200600_302600_NS6detail15normal_iteratorINS9_10device_ptrIiEEEESE_PS5_SF_9comp_mod3IiEEE10hipError_tT0_T1_T2_T3_mRjT4_P12ihipStream_tbNS1_7vsmem_tEEUlT_E_NS1_11comp_targetILNS1_3genE10ELNS1_11target_archE1201ELNS1_3gpuE5ELNS1_3repE0EEENS1_30default_config_static_selectorELNS0_4arch9wavefront6targetE0EEEvSK_
                                        ; -- End function
	.set _ZN7rocprim17ROCPRIM_400000_NS6detail17trampoline_kernelINS0_14default_configENS1_37merge_sort_block_sort_config_selectorIiNS0_10empty_typeEEEZNS1_21merge_sort_block_sortIS3_N6thrust23THRUST_200600_302600_NS6detail15normal_iteratorINS9_10device_ptrIiEEEESE_PS5_SF_9comp_mod3IiEEE10hipError_tT0_T1_T2_T3_mRjT4_P12ihipStream_tbNS1_7vsmem_tEEUlT_E_NS1_11comp_targetILNS1_3genE10ELNS1_11target_archE1201ELNS1_3gpuE5ELNS1_3repE0EEENS1_30default_config_static_selectorELNS0_4arch9wavefront6targetE0EEEvSK_.num_vgpr, 0
	.set _ZN7rocprim17ROCPRIM_400000_NS6detail17trampoline_kernelINS0_14default_configENS1_37merge_sort_block_sort_config_selectorIiNS0_10empty_typeEEEZNS1_21merge_sort_block_sortIS3_N6thrust23THRUST_200600_302600_NS6detail15normal_iteratorINS9_10device_ptrIiEEEESE_PS5_SF_9comp_mod3IiEEE10hipError_tT0_T1_T2_T3_mRjT4_P12ihipStream_tbNS1_7vsmem_tEEUlT_E_NS1_11comp_targetILNS1_3genE10ELNS1_11target_archE1201ELNS1_3gpuE5ELNS1_3repE0EEENS1_30default_config_static_selectorELNS0_4arch9wavefront6targetE0EEEvSK_.num_agpr, 0
	.set _ZN7rocprim17ROCPRIM_400000_NS6detail17trampoline_kernelINS0_14default_configENS1_37merge_sort_block_sort_config_selectorIiNS0_10empty_typeEEEZNS1_21merge_sort_block_sortIS3_N6thrust23THRUST_200600_302600_NS6detail15normal_iteratorINS9_10device_ptrIiEEEESE_PS5_SF_9comp_mod3IiEEE10hipError_tT0_T1_T2_T3_mRjT4_P12ihipStream_tbNS1_7vsmem_tEEUlT_E_NS1_11comp_targetILNS1_3genE10ELNS1_11target_archE1201ELNS1_3gpuE5ELNS1_3repE0EEENS1_30default_config_static_selectorELNS0_4arch9wavefront6targetE0EEEvSK_.numbered_sgpr, 0
	.set _ZN7rocprim17ROCPRIM_400000_NS6detail17trampoline_kernelINS0_14default_configENS1_37merge_sort_block_sort_config_selectorIiNS0_10empty_typeEEEZNS1_21merge_sort_block_sortIS3_N6thrust23THRUST_200600_302600_NS6detail15normal_iteratorINS9_10device_ptrIiEEEESE_PS5_SF_9comp_mod3IiEEE10hipError_tT0_T1_T2_T3_mRjT4_P12ihipStream_tbNS1_7vsmem_tEEUlT_E_NS1_11comp_targetILNS1_3genE10ELNS1_11target_archE1201ELNS1_3gpuE5ELNS1_3repE0EEENS1_30default_config_static_selectorELNS0_4arch9wavefront6targetE0EEEvSK_.num_named_barrier, 0
	.set _ZN7rocprim17ROCPRIM_400000_NS6detail17trampoline_kernelINS0_14default_configENS1_37merge_sort_block_sort_config_selectorIiNS0_10empty_typeEEEZNS1_21merge_sort_block_sortIS3_N6thrust23THRUST_200600_302600_NS6detail15normal_iteratorINS9_10device_ptrIiEEEESE_PS5_SF_9comp_mod3IiEEE10hipError_tT0_T1_T2_T3_mRjT4_P12ihipStream_tbNS1_7vsmem_tEEUlT_E_NS1_11comp_targetILNS1_3genE10ELNS1_11target_archE1201ELNS1_3gpuE5ELNS1_3repE0EEENS1_30default_config_static_selectorELNS0_4arch9wavefront6targetE0EEEvSK_.private_seg_size, 0
	.set _ZN7rocprim17ROCPRIM_400000_NS6detail17trampoline_kernelINS0_14default_configENS1_37merge_sort_block_sort_config_selectorIiNS0_10empty_typeEEEZNS1_21merge_sort_block_sortIS3_N6thrust23THRUST_200600_302600_NS6detail15normal_iteratorINS9_10device_ptrIiEEEESE_PS5_SF_9comp_mod3IiEEE10hipError_tT0_T1_T2_T3_mRjT4_P12ihipStream_tbNS1_7vsmem_tEEUlT_E_NS1_11comp_targetILNS1_3genE10ELNS1_11target_archE1201ELNS1_3gpuE5ELNS1_3repE0EEENS1_30default_config_static_selectorELNS0_4arch9wavefront6targetE0EEEvSK_.uses_vcc, 0
	.set _ZN7rocprim17ROCPRIM_400000_NS6detail17trampoline_kernelINS0_14default_configENS1_37merge_sort_block_sort_config_selectorIiNS0_10empty_typeEEEZNS1_21merge_sort_block_sortIS3_N6thrust23THRUST_200600_302600_NS6detail15normal_iteratorINS9_10device_ptrIiEEEESE_PS5_SF_9comp_mod3IiEEE10hipError_tT0_T1_T2_T3_mRjT4_P12ihipStream_tbNS1_7vsmem_tEEUlT_E_NS1_11comp_targetILNS1_3genE10ELNS1_11target_archE1201ELNS1_3gpuE5ELNS1_3repE0EEENS1_30default_config_static_selectorELNS0_4arch9wavefront6targetE0EEEvSK_.uses_flat_scratch, 0
	.set _ZN7rocprim17ROCPRIM_400000_NS6detail17trampoline_kernelINS0_14default_configENS1_37merge_sort_block_sort_config_selectorIiNS0_10empty_typeEEEZNS1_21merge_sort_block_sortIS3_N6thrust23THRUST_200600_302600_NS6detail15normal_iteratorINS9_10device_ptrIiEEEESE_PS5_SF_9comp_mod3IiEEE10hipError_tT0_T1_T2_T3_mRjT4_P12ihipStream_tbNS1_7vsmem_tEEUlT_E_NS1_11comp_targetILNS1_3genE10ELNS1_11target_archE1201ELNS1_3gpuE5ELNS1_3repE0EEENS1_30default_config_static_selectorELNS0_4arch9wavefront6targetE0EEEvSK_.has_dyn_sized_stack, 0
	.set _ZN7rocprim17ROCPRIM_400000_NS6detail17trampoline_kernelINS0_14default_configENS1_37merge_sort_block_sort_config_selectorIiNS0_10empty_typeEEEZNS1_21merge_sort_block_sortIS3_N6thrust23THRUST_200600_302600_NS6detail15normal_iteratorINS9_10device_ptrIiEEEESE_PS5_SF_9comp_mod3IiEEE10hipError_tT0_T1_T2_T3_mRjT4_P12ihipStream_tbNS1_7vsmem_tEEUlT_E_NS1_11comp_targetILNS1_3genE10ELNS1_11target_archE1201ELNS1_3gpuE5ELNS1_3repE0EEENS1_30default_config_static_selectorELNS0_4arch9wavefront6targetE0EEEvSK_.has_recursion, 0
	.set _ZN7rocprim17ROCPRIM_400000_NS6detail17trampoline_kernelINS0_14default_configENS1_37merge_sort_block_sort_config_selectorIiNS0_10empty_typeEEEZNS1_21merge_sort_block_sortIS3_N6thrust23THRUST_200600_302600_NS6detail15normal_iteratorINS9_10device_ptrIiEEEESE_PS5_SF_9comp_mod3IiEEE10hipError_tT0_T1_T2_T3_mRjT4_P12ihipStream_tbNS1_7vsmem_tEEUlT_E_NS1_11comp_targetILNS1_3genE10ELNS1_11target_archE1201ELNS1_3gpuE5ELNS1_3repE0EEENS1_30default_config_static_selectorELNS0_4arch9wavefront6targetE0EEEvSK_.has_indirect_call, 0
	.section	.AMDGPU.csdata,"",@progbits
; Kernel info:
; codeLenInByte = 0
; TotalNumSgprs: 0
; NumVgprs: 0
; ScratchSize: 0
; MemoryBound: 0
; FloatMode: 240
; IeeeMode: 1
; LDSByteSize: 0 bytes/workgroup (compile time only)
; SGPRBlocks: 0
; VGPRBlocks: 0
; NumSGPRsForWavesPerEU: 1
; NumVGPRsForWavesPerEU: 1
; Occupancy: 16
; WaveLimiterHint : 0
; COMPUTE_PGM_RSRC2:SCRATCH_EN: 0
; COMPUTE_PGM_RSRC2:USER_SGPR: 6
; COMPUTE_PGM_RSRC2:TRAP_HANDLER: 0
; COMPUTE_PGM_RSRC2:TGID_X_EN: 1
; COMPUTE_PGM_RSRC2:TGID_Y_EN: 0
; COMPUTE_PGM_RSRC2:TGID_Z_EN: 0
; COMPUTE_PGM_RSRC2:TIDIG_COMP_CNT: 0
	.section	.text._ZN7rocprim17ROCPRIM_400000_NS6detail17trampoline_kernelINS0_14default_configENS1_37merge_sort_block_sort_config_selectorIiNS0_10empty_typeEEEZNS1_21merge_sort_block_sortIS3_N6thrust23THRUST_200600_302600_NS6detail15normal_iteratorINS9_10device_ptrIiEEEESE_PS5_SF_9comp_mod3IiEEE10hipError_tT0_T1_T2_T3_mRjT4_P12ihipStream_tbNS1_7vsmem_tEEUlT_E_NS1_11comp_targetILNS1_3genE10ELNS1_11target_archE1200ELNS1_3gpuE4ELNS1_3repE0EEENS1_30default_config_static_selectorELNS0_4arch9wavefront6targetE0EEEvSK_,"axG",@progbits,_ZN7rocprim17ROCPRIM_400000_NS6detail17trampoline_kernelINS0_14default_configENS1_37merge_sort_block_sort_config_selectorIiNS0_10empty_typeEEEZNS1_21merge_sort_block_sortIS3_N6thrust23THRUST_200600_302600_NS6detail15normal_iteratorINS9_10device_ptrIiEEEESE_PS5_SF_9comp_mod3IiEEE10hipError_tT0_T1_T2_T3_mRjT4_P12ihipStream_tbNS1_7vsmem_tEEUlT_E_NS1_11comp_targetILNS1_3genE10ELNS1_11target_archE1200ELNS1_3gpuE4ELNS1_3repE0EEENS1_30default_config_static_selectorELNS0_4arch9wavefront6targetE0EEEvSK_,comdat
	.protected	_ZN7rocprim17ROCPRIM_400000_NS6detail17trampoline_kernelINS0_14default_configENS1_37merge_sort_block_sort_config_selectorIiNS0_10empty_typeEEEZNS1_21merge_sort_block_sortIS3_N6thrust23THRUST_200600_302600_NS6detail15normal_iteratorINS9_10device_ptrIiEEEESE_PS5_SF_9comp_mod3IiEEE10hipError_tT0_T1_T2_T3_mRjT4_P12ihipStream_tbNS1_7vsmem_tEEUlT_E_NS1_11comp_targetILNS1_3genE10ELNS1_11target_archE1200ELNS1_3gpuE4ELNS1_3repE0EEENS1_30default_config_static_selectorELNS0_4arch9wavefront6targetE0EEEvSK_ ; -- Begin function _ZN7rocprim17ROCPRIM_400000_NS6detail17trampoline_kernelINS0_14default_configENS1_37merge_sort_block_sort_config_selectorIiNS0_10empty_typeEEEZNS1_21merge_sort_block_sortIS3_N6thrust23THRUST_200600_302600_NS6detail15normal_iteratorINS9_10device_ptrIiEEEESE_PS5_SF_9comp_mod3IiEEE10hipError_tT0_T1_T2_T3_mRjT4_P12ihipStream_tbNS1_7vsmem_tEEUlT_E_NS1_11comp_targetILNS1_3genE10ELNS1_11target_archE1200ELNS1_3gpuE4ELNS1_3repE0EEENS1_30default_config_static_selectorELNS0_4arch9wavefront6targetE0EEEvSK_
	.globl	_ZN7rocprim17ROCPRIM_400000_NS6detail17trampoline_kernelINS0_14default_configENS1_37merge_sort_block_sort_config_selectorIiNS0_10empty_typeEEEZNS1_21merge_sort_block_sortIS3_N6thrust23THRUST_200600_302600_NS6detail15normal_iteratorINS9_10device_ptrIiEEEESE_PS5_SF_9comp_mod3IiEEE10hipError_tT0_T1_T2_T3_mRjT4_P12ihipStream_tbNS1_7vsmem_tEEUlT_E_NS1_11comp_targetILNS1_3genE10ELNS1_11target_archE1200ELNS1_3gpuE4ELNS1_3repE0EEENS1_30default_config_static_selectorELNS0_4arch9wavefront6targetE0EEEvSK_
	.p2align	8
	.type	_ZN7rocprim17ROCPRIM_400000_NS6detail17trampoline_kernelINS0_14default_configENS1_37merge_sort_block_sort_config_selectorIiNS0_10empty_typeEEEZNS1_21merge_sort_block_sortIS3_N6thrust23THRUST_200600_302600_NS6detail15normal_iteratorINS9_10device_ptrIiEEEESE_PS5_SF_9comp_mod3IiEEE10hipError_tT0_T1_T2_T3_mRjT4_P12ihipStream_tbNS1_7vsmem_tEEUlT_E_NS1_11comp_targetILNS1_3genE10ELNS1_11target_archE1200ELNS1_3gpuE4ELNS1_3repE0EEENS1_30default_config_static_selectorELNS0_4arch9wavefront6targetE0EEEvSK_,@function
_ZN7rocprim17ROCPRIM_400000_NS6detail17trampoline_kernelINS0_14default_configENS1_37merge_sort_block_sort_config_selectorIiNS0_10empty_typeEEEZNS1_21merge_sort_block_sortIS3_N6thrust23THRUST_200600_302600_NS6detail15normal_iteratorINS9_10device_ptrIiEEEESE_PS5_SF_9comp_mod3IiEEE10hipError_tT0_T1_T2_T3_mRjT4_P12ihipStream_tbNS1_7vsmem_tEEUlT_E_NS1_11comp_targetILNS1_3genE10ELNS1_11target_archE1200ELNS1_3gpuE4ELNS1_3repE0EEENS1_30default_config_static_selectorELNS0_4arch9wavefront6targetE0EEEvSK_: ; @_ZN7rocprim17ROCPRIM_400000_NS6detail17trampoline_kernelINS0_14default_configENS1_37merge_sort_block_sort_config_selectorIiNS0_10empty_typeEEEZNS1_21merge_sort_block_sortIS3_N6thrust23THRUST_200600_302600_NS6detail15normal_iteratorINS9_10device_ptrIiEEEESE_PS5_SF_9comp_mod3IiEEE10hipError_tT0_T1_T2_T3_mRjT4_P12ihipStream_tbNS1_7vsmem_tEEUlT_E_NS1_11comp_targetILNS1_3genE10ELNS1_11target_archE1200ELNS1_3gpuE4ELNS1_3repE0EEENS1_30default_config_static_selectorELNS0_4arch9wavefront6targetE0EEEvSK_
; %bb.0:
	.section	.rodata,"a",@progbits
	.p2align	6, 0x0
	.amdhsa_kernel _ZN7rocprim17ROCPRIM_400000_NS6detail17trampoline_kernelINS0_14default_configENS1_37merge_sort_block_sort_config_selectorIiNS0_10empty_typeEEEZNS1_21merge_sort_block_sortIS3_N6thrust23THRUST_200600_302600_NS6detail15normal_iteratorINS9_10device_ptrIiEEEESE_PS5_SF_9comp_mod3IiEEE10hipError_tT0_T1_T2_T3_mRjT4_P12ihipStream_tbNS1_7vsmem_tEEUlT_E_NS1_11comp_targetILNS1_3genE10ELNS1_11target_archE1200ELNS1_3gpuE4ELNS1_3repE0EEENS1_30default_config_static_selectorELNS0_4arch9wavefront6targetE0EEEvSK_
		.amdhsa_group_segment_fixed_size 0
		.amdhsa_private_segment_fixed_size 0
		.amdhsa_kernarg_size 64
		.amdhsa_user_sgpr_count 6
		.amdhsa_user_sgpr_private_segment_buffer 1
		.amdhsa_user_sgpr_dispatch_ptr 0
		.amdhsa_user_sgpr_queue_ptr 0
		.amdhsa_user_sgpr_kernarg_segment_ptr 1
		.amdhsa_user_sgpr_dispatch_id 0
		.amdhsa_user_sgpr_flat_scratch_init 0
		.amdhsa_user_sgpr_private_segment_size 0
		.amdhsa_wavefront_size32 1
		.amdhsa_uses_dynamic_stack 0
		.amdhsa_system_sgpr_private_segment_wavefront_offset 0
		.amdhsa_system_sgpr_workgroup_id_x 1
		.amdhsa_system_sgpr_workgroup_id_y 0
		.amdhsa_system_sgpr_workgroup_id_z 0
		.amdhsa_system_sgpr_workgroup_info 0
		.amdhsa_system_vgpr_workitem_id 0
		.amdhsa_next_free_vgpr 1
		.amdhsa_next_free_sgpr 1
		.amdhsa_reserve_vcc 0
		.amdhsa_reserve_flat_scratch 0
		.amdhsa_float_round_mode_32 0
		.amdhsa_float_round_mode_16_64 0
		.amdhsa_float_denorm_mode_32 3
		.amdhsa_float_denorm_mode_16_64 3
		.amdhsa_dx10_clamp 1
		.amdhsa_ieee_mode 1
		.amdhsa_fp16_overflow 0
		.amdhsa_workgroup_processor_mode 1
		.amdhsa_memory_ordered 1
		.amdhsa_forward_progress 1
		.amdhsa_shared_vgpr_count 0
		.amdhsa_exception_fp_ieee_invalid_op 0
		.amdhsa_exception_fp_denorm_src 0
		.amdhsa_exception_fp_ieee_div_zero 0
		.amdhsa_exception_fp_ieee_overflow 0
		.amdhsa_exception_fp_ieee_underflow 0
		.amdhsa_exception_fp_ieee_inexact 0
		.amdhsa_exception_int_div_zero 0
	.end_amdhsa_kernel
	.section	.text._ZN7rocprim17ROCPRIM_400000_NS6detail17trampoline_kernelINS0_14default_configENS1_37merge_sort_block_sort_config_selectorIiNS0_10empty_typeEEEZNS1_21merge_sort_block_sortIS3_N6thrust23THRUST_200600_302600_NS6detail15normal_iteratorINS9_10device_ptrIiEEEESE_PS5_SF_9comp_mod3IiEEE10hipError_tT0_T1_T2_T3_mRjT4_P12ihipStream_tbNS1_7vsmem_tEEUlT_E_NS1_11comp_targetILNS1_3genE10ELNS1_11target_archE1200ELNS1_3gpuE4ELNS1_3repE0EEENS1_30default_config_static_selectorELNS0_4arch9wavefront6targetE0EEEvSK_,"axG",@progbits,_ZN7rocprim17ROCPRIM_400000_NS6detail17trampoline_kernelINS0_14default_configENS1_37merge_sort_block_sort_config_selectorIiNS0_10empty_typeEEEZNS1_21merge_sort_block_sortIS3_N6thrust23THRUST_200600_302600_NS6detail15normal_iteratorINS9_10device_ptrIiEEEESE_PS5_SF_9comp_mod3IiEEE10hipError_tT0_T1_T2_T3_mRjT4_P12ihipStream_tbNS1_7vsmem_tEEUlT_E_NS1_11comp_targetILNS1_3genE10ELNS1_11target_archE1200ELNS1_3gpuE4ELNS1_3repE0EEENS1_30default_config_static_selectorELNS0_4arch9wavefront6targetE0EEEvSK_,comdat
.Lfunc_end985:
	.size	_ZN7rocprim17ROCPRIM_400000_NS6detail17trampoline_kernelINS0_14default_configENS1_37merge_sort_block_sort_config_selectorIiNS0_10empty_typeEEEZNS1_21merge_sort_block_sortIS3_N6thrust23THRUST_200600_302600_NS6detail15normal_iteratorINS9_10device_ptrIiEEEESE_PS5_SF_9comp_mod3IiEEE10hipError_tT0_T1_T2_T3_mRjT4_P12ihipStream_tbNS1_7vsmem_tEEUlT_E_NS1_11comp_targetILNS1_3genE10ELNS1_11target_archE1200ELNS1_3gpuE4ELNS1_3repE0EEENS1_30default_config_static_selectorELNS0_4arch9wavefront6targetE0EEEvSK_, .Lfunc_end985-_ZN7rocprim17ROCPRIM_400000_NS6detail17trampoline_kernelINS0_14default_configENS1_37merge_sort_block_sort_config_selectorIiNS0_10empty_typeEEEZNS1_21merge_sort_block_sortIS3_N6thrust23THRUST_200600_302600_NS6detail15normal_iteratorINS9_10device_ptrIiEEEESE_PS5_SF_9comp_mod3IiEEE10hipError_tT0_T1_T2_T3_mRjT4_P12ihipStream_tbNS1_7vsmem_tEEUlT_E_NS1_11comp_targetILNS1_3genE10ELNS1_11target_archE1200ELNS1_3gpuE4ELNS1_3repE0EEENS1_30default_config_static_selectorELNS0_4arch9wavefront6targetE0EEEvSK_
                                        ; -- End function
	.set _ZN7rocprim17ROCPRIM_400000_NS6detail17trampoline_kernelINS0_14default_configENS1_37merge_sort_block_sort_config_selectorIiNS0_10empty_typeEEEZNS1_21merge_sort_block_sortIS3_N6thrust23THRUST_200600_302600_NS6detail15normal_iteratorINS9_10device_ptrIiEEEESE_PS5_SF_9comp_mod3IiEEE10hipError_tT0_T1_T2_T3_mRjT4_P12ihipStream_tbNS1_7vsmem_tEEUlT_E_NS1_11comp_targetILNS1_3genE10ELNS1_11target_archE1200ELNS1_3gpuE4ELNS1_3repE0EEENS1_30default_config_static_selectorELNS0_4arch9wavefront6targetE0EEEvSK_.num_vgpr, 0
	.set _ZN7rocprim17ROCPRIM_400000_NS6detail17trampoline_kernelINS0_14default_configENS1_37merge_sort_block_sort_config_selectorIiNS0_10empty_typeEEEZNS1_21merge_sort_block_sortIS3_N6thrust23THRUST_200600_302600_NS6detail15normal_iteratorINS9_10device_ptrIiEEEESE_PS5_SF_9comp_mod3IiEEE10hipError_tT0_T1_T2_T3_mRjT4_P12ihipStream_tbNS1_7vsmem_tEEUlT_E_NS1_11comp_targetILNS1_3genE10ELNS1_11target_archE1200ELNS1_3gpuE4ELNS1_3repE0EEENS1_30default_config_static_selectorELNS0_4arch9wavefront6targetE0EEEvSK_.num_agpr, 0
	.set _ZN7rocprim17ROCPRIM_400000_NS6detail17trampoline_kernelINS0_14default_configENS1_37merge_sort_block_sort_config_selectorIiNS0_10empty_typeEEEZNS1_21merge_sort_block_sortIS3_N6thrust23THRUST_200600_302600_NS6detail15normal_iteratorINS9_10device_ptrIiEEEESE_PS5_SF_9comp_mod3IiEEE10hipError_tT0_T1_T2_T3_mRjT4_P12ihipStream_tbNS1_7vsmem_tEEUlT_E_NS1_11comp_targetILNS1_3genE10ELNS1_11target_archE1200ELNS1_3gpuE4ELNS1_3repE0EEENS1_30default_config_static_selectorELNS0_4arch9wavefront6targetE0EEEvSK_.numbered_sgpr, 0
	.set _ZN7rocprim17ROCPRIM_400000_NS6detail17trampoline_kernelINS0_14default_configENS1_37merge_sort_block_sort_config_selectorIiNS0_10empty_typeEEEZNS1_21merge_sort_block_sortIS3_N6thrust23THRUST_200600_302600_NS6detail15normal_iteratorINS9_10device_ptrIiEEEESE_PS5_SF_9comp_mod3IiEEE10hipError_tT0_T1_T2_T3_mRjT4_P12ihipStream_tbNS1_7vsmem_tEEUlT_E_NS1_11comp_targetILNS1_3genE10ELNS1_11target_archE1200ELNS1_3gpuE4ELNS1_3repE0EEENS1_30default_config_static_selectorELNS0_4arch9wavefront6targetE0EEEvSK_.num_named_barrier, 0
	.set _ZN7rocprim17ROCPRIM_400000_NS6detail17trampoline_kernelINS0_14default_configENS1_37merge_sort_block_sort_config_selectorIiNS0_10empty_typeEEEZNS1_21merge_sort_block_sortIS3_N6thrust23THRUST_200600_302600_NS6detail15normal_iteratorINS9_10device_ptrIiEEEESE_PS5_SF_9comp_mod3IiEEE10hipError_tT0_T1_T2_T3_mRjT4_P12ihipStream_tbNS1_7vsmem_tEEUlT_E_NS1_11comp_targetILNS1_3genE10ELNS1_11target_archE1200ELNS1_3gpuE4ELNS1_3repE0EEENS1_30default_config_static_selectorELNS0_4arch9wavefront6targetE0EEEvSK_.private_seg_size, 0
	.set _ZN7rocprim17ROCPRIM_400000_NS6detail17trampoline_kernelINS0_14default_configENS1_37merge_sort_block_sort_config_selectorIiNS0_10empty_typeEEEZNS1_21merge_sort_block_sortIS3_N6thrust23THRUST_200600_302600_NS6detail15normal_iteratorINS9_10device_ptrIiEEEESE_PS5_SF_9comp_mod3IiEEE10hipError_tT0_T1_T2_T3_mRjT4_P12ihipStream_tbNS1_7vsmem_tEEUlT_E_NS1_11comp_targetILNS1_3genE10ELNS1_11target_archE1200ELNS1_3gpuE4ELNS1_3repE0EEENS1_30default_config_static_selectorELNS0_4arch9wavefront6targetE0EEEvSK_.uses_vcc, 0
	.set _ZN7rocprim17ROCPRIM_400000_NS6detail17trampoline_kernelINS0_14default_configENS1_37merge_sort_block_sort_config_selectorIiNS0_10empty_typeEEEZNS1_21merge_sort_block_sortIS3_N6thrust23THRUST_200600_302600_NS6detail15normal_iteratorINS9_10device_ptrIiEEEESE_PS5_SF_9comp_mod3IiEEE10hipError_tT0_T1_T2_T3_mRjT4_P12ihipStream_tbNS1_7vsmem_tEEUlT_E_NS1_11comp_targetILNS1_3genE10ELNS1_11target_archE1200ELNS1_3gpuE4ELNS1_3repE0EEENS1_30default_config_static_selectorELNS0_4arch9wavefront6targetE0EEEvSK_.uses_flat_scratch, 0
	.set _ZN7rocprim17ROCPRIM_400000_NS6detail17trampoline_kernelINS0_14default_configENS1_37merge_sort_block_sort_config_selectorIiNS0_10empty_typeEEEZNS1_21merge_sort_block_sortIS3_N6thrust23THRUST_200600_302600_NS6detail15normal_iteratorINS9_10device_ptrIiEEEESE_PS5_SF_9comp_mod3IiEEE10hipError_tT0_T1_T2_T3_mRjT4_P12ihipStream_tbNS1_7vsmem_tEEUlT_E_NS1_11comp_targetILNS1_3genE10ELNS1_11target_archE1200ELNS1_3gpuE4ELNS1_3repE0EEENS1_30default_config_static_selectorELNS0_4arch9wavefront6targetE0EEEvSK_.has_dyn_sized_stack, 0
	.set _ZN7rocprim17ROCPRIM_400000_NS6detail17trampoline_kernelINS0_14default_configENS1_37merge_sort_block_sort_config_selectorIiNS0_10empty_typeEEEZNS1_21merge_sort_block_sortIS3_N6thrust23THRUST_200600_302600_NS6detail15normal_iteratorINS9_10device_ptrIiEEEESE_PS5_SF_9comp_mod3IiEEE10hipError_tT0_T1_T2_T3_mRjT4_P12ihipStream_tbNS1_7vsmem_tEEUlT_E_NS1_11comp_targetILNS1_3genE10ELNS1_11target_archE1200ELNS1_3gpuE4ELNS1_3repE0EEENS1_30default_config_static_selectorELNS0_4arch9wavefront6targetE0EEEvSK_.has_recursion, 0
	.set _ZN7rocprim17ROCPRIM_400000_NS6detail17trampoline_kernelINS0_14default_configENS1_37merge_sort_block_sort_config_selectorIiNS0_10empty_typeEEEZNS1_21merge_sort_block_sortIS3_N6thrust23THRUST_200600_302600_NS6detail15normal_iteratorINS9_10device_ptrIiEEEESE_PS5_SF_9comp_mod3IiEEE10hipError_tT0_T1_T2_T3_mRjT4_P12ihipStream_tbNS1_7vsmem_tEEUlT_E_NS1_11comp_targetILNS1_3genE10ELNS1_11target_archE1200ELNS1_3gpuE4ELNS1_3repE0EEENS1_30default_config_static_selectorELNS0_4arch9wavefront6targetE0EEEvSK_.has_indirect_call, 0
	.section	.AMDGPU.csdata,"",@progbits
; Kernel info:
; codeLenInByte = 0
; TotalNumSgprs: 0
; NumVgprs: 0
; ScratchSize: 0
; MemoryBound: 0
; FloatMode: 240
; IeeeMode: 1
; LDSByteSize: 0 bytes/workgroup (compile time only)
; SGPRBlocks: 0
; VGPRBlocks: 0
; NumSGPRsForWavesPerEU: 1
; NumVGPRsForWavesPerEU: 1
; Occupancy: 16
; WaveLimiterHint : 0
; COMPUTE_PGM_RSRC2:SCRATCH_EN: 0
; COMPUTE_PGM_RSRC2:USER_SGPR: 6
; COMPUTE_PGM_RSRC2:TRAP_HANDLER: 0
; COMPUTE_PGM_RSRC2:TGID_X_EN: 1
; COMPUTE_PGM_RSRC2:TGID_Y_EN: 0
; COMPUTE_PGM_RSRC2:TGID_Z_EN: 0
; COMPUTE_PGM_RSRC2:TIDIG_COMP_CNT: 0
	.section	.text._ZN7rocprim17ROCPRIM_400000_NS6detail17trampoline_kernelINS0_14default_configENS1_37merge_sort_block_sort_config_selectorIiNS0_10empty_typeEEEZNS1_21merge_sort_block_sortIS3_N6thrust23THRUST_200600_302600_NS6detail15normal_iteratorINS9_10device_ptrIiEEEESE_PS5_SF_9comp_mod3IiEEE10hipError_tT0_T1_T2_T3_mRjT4_P12ihipStream_tbNS1_7vsmem_tEEUlT_E_NS1_11comp_targetILNS1_3genE9ELNS1_11target_archE1100ELNS1_3gpuE3ELNS1_3repE0EEENS1_30default_config_static_selectorELNS0_4arch9wavefront6targetE0EEEvSK_,"axG",@progbits,_ZN7rocprim17ROCPRIM_400000_NS6detail17trampoline_kernelINS0_14default_configENS1_37merge_sort_block_sort_config_selectorIiNS0_10empty_typeEEEZNS1_21merge_sort_block_sortIS3_N6thrust23THRUST_200600_302600_NS6detail15normal_iteratorINS9_10device_ptrIiEEEESE_PS5_SF_9comp_mod3IiEEE10hipError_tT0_T1_T2_T3_mRjT4_P12ihipStream_tbNS1_7vsmem_tEEUlT_E_NS1_11comp_targetILNS1_3genE9ELNS1_11target_archE1100ELNS1_3gpuE3ELNS1_3repE0EEENS1_30default_config_static_selectorELNS0_4arch9wavefront6targetE0EEEvSK_,comdat
	.protected	_ZN7rocprim17ROCPRIM_400000_NS6detail17trampoline_kernelINS0_14default_configENS1_37merge_sort_block_sort_config_selectorIiNS0_10empty_typeEEEZNS1_21merge_sort_block_sortIS3_N6thrust23THRUST_200600_302600_NS6detail15normal_iteratorINS9_10device_ptrIiEEEESE_PS5_SF_9comp_mod3IiEEE10hipError_tT0_T1_T2_T3_mRjT4_P12ihipStream_tbNS1_7vsmem_tEEUlT_E_NS1_11comp_targetILNS1_3genE9ELNS1_11target_archE1100ELNS1_3gpuE3ELNS1_3repE0EEENS1_30default_config_static_selectorELNS0_4arch9wavefront6targetE0EEEvSK_ ; -- Begin function _ZN7rocprim17ROCPRIM_400000_NS6detail17trampoline_kernelINS0_14default_configENS1_37merge_sort_block_sort_config_selectorIiNS0_10empty_typeEEEZNS1_21merge_sort_block_sortIS3_N6thrust23THRUST_200600_302600_NS6detail15normal_iteratorINS9_10device_ptrIiEEEESE_PS5_SF_9comp_mod3IiEEE10hipError_tT0_T1_T2_T3_mRjT4_P12ihipStream_tbNS1_7vsmem_tEEUlT_E_NS1_11comp_targetILNS1_3genE9ELNS1_11target_archE1100ELNS1_3gpuE3ELNS1_3repE0EEENS1_30default_config_static_selectorELNS0_4arch9wavefront6targetE0EEEvSK_
	.globl	_ZN7rocprim17ROCPRIM_400000_NS6detail17trampoline_kernelINS0_14default_configENS1_37merge_sort_block_sort_config_selectorIiNS0_10empty_typeEEEZNS1_21merge_sort_block_sortIS3_N6thrust23THRUST_200600_302600_NS6detail15normal_iteratorINS9_10device_ptrIiEEEESE_PS5_SF_9comp_mod3IiEEE10hipError_tT0_T1_T2_T3_mRjT4_P12ihipStream_tbNS1_7vsmem_tEEUlT_E_NS1_11comp_targetILNS1_3genE9ELNS1_11target_archE1100ELNS1_3gpuE3ELNS1_3repE0EEENS1_30default_config_static_selectorELNS0_4arch9wavefront6targetE0EEEvSK_
	.p2align	8
	.type	_ZN7rocprim17ROCPRIM_400000_NS6detail17trampoline_kernelINS0_14default_configENS1_37merge_sort_block_sort_config_selectorIiNS0_10empty_typeEEEZNS1_21merge_sort_block_sortIS3_N6thrust23THRUST_200600_302600_NS6detail15normal_iteratorINS9_10device_ptrIiEEEESE_PS5_SF_9comp_mod3IiEEE10hipError_tT0_T1_T2_T3_mRjT4_P12ihipStream_tbNS1_7vsmem_tEEUlT_E_NS1_11comp_targetILNS1_3genE9ELNS1_11target_archE1100ELNS1_3gpuE3ELNS1_3repE0EEENS1_30default_config_static_selectorELNS0_4arch9wavefront6targetE0EEEvSK_,@function
_ZN7rocprim17ROCPRIM_400000_NS6detail17trampoline_kernelINS0_14default_configENS1_37merge_sort_block_sort_config_selectorIiNS0_10empty_typeEEEZNS1_21merge_sort_block_sortIS3_N6thrust23THRUST_200600_302600_NS6detail15normal_iteratorINS9_10device_ptrIiEEEESE_PS5_SF_9comp_mod3IiEEE10hipError_tT0_T1_T2_T3_mRjT4_P12ihipStream_tbNS1_7vsmem_tEEUlT_E_NS1_11comp_targetILNS1_3genE9ELNS1_11target_archE1100ELNS1_3gpuE3ELNS1_3repE0EEENS1_30default_config_static_selectorELNS0_4arch9wavefront6targetE0EEEvSK_: ; @_ZN7rocprim17ROCPRIM_400000_NS6detail17trampoline_kernelINS0_14default_configENS1_37merge_sort_block_sort_config_selectorIiNS0_10empty_typeEEEZNS1_21merge_sort_block_sortIS3_N6thrust23THRUST_200600_302600_NS6detail15normal_iteratorINS9_10device_ptrIiEEEESE_PS5_SF_9comp_mod3IiEEE10hipError_tT0_T1_T2_T3_mRjT4_P12ihipStream_tbNS1_7vsmem_tEEUlT_E_NS1_11comp_targetILNS1_3genE9ELNS1_11target_archE1100ELNS1_3gpuE3ELNS1_3repE0EEENS1_30default_config_static_selectorELNS0_4arch9wavefront6targetE0EEEvSK_
; %bb.0:
	.section	.rodata,"a",@progbits
	.p2align	6, 0x0
	.amdhsa_kernel _ZN7rocprim17ROCPRIM_400000_NS6detail17trampoline_kernelINS0_14default_configENS1_37merge_sort_block_sort_config_selectorIiNS0_10empty_typeEEEZNS1_21merge_sort_block_sortIS3_N6thrust23THRUST_200600_302600_NS6detail15normal_iteratorINS9_10device_ptrIiEEEESE_PS5_SF_9comp_mod3IiEEE10hipError_tT0_T1_T2_T3_mRjT4_P12ihipStream_tbNS1_7vsmem_tEEUlT_E_NS1_11comp_targetILNS1_3genE9ELNS1_11target_archE1100ELNS1_3gpuE3ELNS1_3repE0EEENS1_30default_config_static_selectorELNS0_4arch9wavefront6targetE0EEEvSK_
		.amdhsa_group_segment_fixed_size 0
		.amdhsa_private_segment_fixed_size 0
		.amdhsa_kernarg_size 64
		.amdhsa_user_sgpr_count 6
		.amdhsa_user_sgpr_private_segment_buffer 1
		.amdhsa_user_sgpr_dispatch_ptr 0
		.amdhsa_user_sgpr_queue_ptr 0
		.amdhsa_user_sgpr_kernarg_segment_ptr 1
		.amdhsa_user_sgpr_dispatch_id 0
		.amdhsa_user_sgpr_flat_scratch_init 0
		.amdhsa_user_sgpr_private_segment_size 0
		.amdhsa_wavefront_size32 1
		.amdhsa_uses_dynamic_stack 0
		.amdhsa_system_sgpr_private_segment_wavefront_offset 0
		.amdhsa_system_sgpr_workgroup_id_x 1
		.amdhsa_system_sgpr_workgroup_id_y 0
		.amdhsa_system_sgpr_workgroup_id_z 0
		.amdhsa_system_sgpr_workgroup_info 0
		.amdhsa_system_vgpr_workitem_id 0
		.amdhsa_next_free_vgpr 1
		.amdhsa_next_free_sgpr 1
		.amdhsa_reserve_vcc 0
		.amdhsa_reserve_flat_scratch 0
		.amdhsa_float_round_mode_32 0
		.amdhsa_float_round_mode_16_64 0
		.amdhsa_float_denorm_mode_32 3
		.amdhsa_float_denorm_mode_16_64 3
		.amdhsa_dx10_clamp 1
		.amdhsa_ieee_mode 1
		.amdhsa_fp16_overflow 0
		.amdhsa_workgroup_processor_mode 1
		.amdhsa_memory_ordered 1
		.amdhsa_forward_progress 1
		.amdhsa_shared_vgpr_count 0
		.amdhsa_exception_fp_ieee_invalid_op 0
		.amdhsa_exception_fp_denorm_src 0
		.amdhsa_exception_fp_ieee_div_zero 0
		.amdhsa_exception_fp_ieee_overflow 0
		.amdhsa_exception_fp_ieee_underflow 0
		.amdhsa_exception_fp_ieee_inexact 0
		.amdhsa_exception_int_div_zero 0
	.end_amdhsa_kernel
	.section	.text._ZN7rocprim17ROCPRIM_400000_NS6detail17trampoline_kernelINS0_14default_configENS1_37merge_sort_block_sort_config_selectorIiNS0_10empty_typeEEEZNS1_21merge_sort_block_sortIS3_N6thrust23THRUST_200600_302600_NS6detail15normal_iteratorINS9_10device_ptrIiEEEESE_PS5_SF_9comp_mod3IiEEE10hipError_tT0_T1_T2_T3_mRjT4_P12ihipStream_tbNS1_7vsmem_tEEUlT_E_NS1_11comp_targetILNS1_3genE9ELNS1_11target_archE1100ELNS1_3gpuE3ELNS1_3repE0EEENS1_30default_config_static_selectorELNS0_4arch9wavefront6targetE0EEEvSK_,"axG",@progbits,_ZN7rocprim17ROCPRIM_400000_NS6detail17trampoline_kernelINS0_14default_configENS1_37merge_sort_block_sort_config_selectorIiNS0_10empty_typeEEEZNS1_21merge_sort_block_sortIS3_N6thrust23THRUST_200600_302600_NS6detail15normal_iteratorINS9_10device_ptrIiEEEESE_PS5_SF_9comp_mod3IiEEE10hipError_tT0_T1_T2_T3_mRjT4_P12ihipStream_tbNS1_7vsmem_tEEUlT_E_NS1_11comp_targetILNS1_3genE9ELNS1_11target_archE1100ELNS1_3gpuE3ELNS1_3repE0EEENS1_30default_config_static_selectorELNS0_4arch9wavefront6targetE0EEEvSK_,comdat
.Lfunc_end986:
	.size	_ZN7rocprim17ROCPRIM_400000_NS6detail17trampoline_kernelINS0_14default_configENS1_37merge_sort_block_sort_config_selectorIiNS0_10empty_typeEEEZNS1_21merge_sort_block_sortIS3_N6thrust23THRUST_200600_302600_NS6detail15normal_iteratorINS9_10device_ptrIiEEEESE_PS5_SF_9comp_mod3IiEEE10hipError_tT0_T1_T2_T3_mRjT4_P12ihipStream_tbNS1_7vsmem_tEEUlT_E_NS1_11comp_targetILNS1_3genE9ELNS1_11target_archE1100ELNS1_3gpuE3ELNS1_3repE0EEENS1_30default_config_static_selectorELNS0_4arch9wavefront6targetE0EEEvSK_, .Lfunc_end986-_ZN7rocprim17ROCPRIM_400000_NS6detail17trampoline_kernelINS0_14default_configENS1_37merge_sort_block_sort_config_selectorIiNS0_10empty_typeEEEZNS1_21merge_sort_block_sortIS3_N6thrust23THRUST_200600_302600_NS6detail15normal_iteratorINS9_10device_ptrIiEEEESE_PS5_SF_9comp_mod3IiEEE10hipError_tT0_T1_T2_T3_mRjT4_P12ihipStream_tbNS1_7vsmem_tEEUlT_E_NS1_11comp_targetILNS1_3genE9ELNS1_11target_archE1100ELNS1_3gpuE3ELNS1_3repE0EEENS1_30default_config_static_selectorELNS0_4arch9wavefront6targetE0EEEvSK_
                                        ; -- End function
	.set _ZN7rocprim17ROCPRIM_400000_NS6detail17trampoline_kernelINS0_14default_configENS1_37merge_sort_block_sort_config_selectorIiNS0_10empty_typeEEEZNS1_21merge_sort_block_sortIS3_N6thrust23THRUST_200600_302600_NS6detail15normal_iteratorINS9_10device_ptrIiEEEESE_PS5_SF_9comp_mod3IiEEE10hipError_tT0_T1_T2_T3_mRjT4_P12ihipStream_tbNS1_7vsmem_tEEUlT_E_NS1_11comp_targetILNS1_3genE9ELNS1_11target_archE1100ELNS1_3gpuE3ELNS1_3repE0EEENS1_30default_config_static_selectorELNS0_4arch9wavefront6targetE0EEEvSK_.num_vgpr, 0
	.set _ZN7rocprim17ROCPRIM_400000_NS6detail17trampoline_kernelINS0_14default_configENS1_37merge_sort_block_sort_config_selectorIiNS0_10empty_typeEEEZNS1_21merge_sort_block_sortIS3_N6thrust23THRUST_200600_302600_NS6detail15normal_iteratorINS9_10device_ptrIiEEEESE_PS5_SF_9comp_mod3IiEEE10hipError_tT0_T1_T2_T3_mRjT4_P12ihipStream_tbNS1_7vsmem_tEEUlT_E_NS1_11comp_targetILNS1_3genE9ELNS1_11target_archE1100ELNS1_3gpuE3ELNS1_3repE0EEENS1_30default_config_static_selectorELNS0_4arch9wavefront6targetE0EEEvSK_.num_agpr, 0
	.set _ZN7rocprim17ROCPRIM_400000_NS6detail17trampoline_kernelINS0_14default_configENS1_37merge_sort_block_sort_config_selectorIiNS0_10empty_typeEEEZNS1_21merge_sort_block_sortIS3_N6thrust23THRUST_200600_302600_NS6detail15normal_iteratorINS9_10device_ptrIiEEEESE_PS5_SF_9comp_mod3IiEEE10hipError_tT0_T1_T2_T3_mRjT4_P12ihipStream_tbNS1_7vsmem_tEEUlT_E_NS1_11comp_targetILNS1_3genE9ELNS1_11target_archE1100ELNS1_3gpuE3ELNS1_3repE0EEENS1_30default_config_static_selectorELNS0_4arch9wavefront6targetE0EEEvSK_.numbered_sgpr, 0
	.set _ZN7rocprim17ROCPRIM_400000_NS6detail17trampoline_kernelINS0_14default_configENS1_37merge_sort_block_sort_config_selectorIiNS0_10empty_typeEEEZNS1_21merge_sort_block_sortIS3_N6thrust23THRUST_200600_302600_NS6detail15normal_iteratorINS9_10device_ptrIiEEEESE_PS5_SF_9comp_mod3IiEEE10hipError_tT0_T1_T2_T3_mRjT4_P12ihipStream_tbNS1_7vsmem_tEEUlT_E_NS1_11comp_targetILNS1_3genE9ELNS1_11target_archE1100ELNS1_3gpuE3ELNS1_3repE0EEENS1_30default_config_static_selectorELNS0_4arch9wavefront6targetE0EEEvSK_.num_named_barrier, 0
	.set _ZN7rocprim17ROCPRIM_400000_NS6detail17trampoline_kernelINS0_14default_configENS1_37merge_sort_block_sort_config_selectorIiNS0_10empty_typeEEEZNS1_21merge_sort_block_sortIS3_N6thrust23THRUST_200600_302600_NS6detail15normal_iteratorINS9_10device_ptrIiEEEESE_PS5_SF_9comp_mod3IiEEE10hipError_tT0_T1_T2_T3_mRjT4_P12ihipStream_tbNS1_7vsmem_tEEUlT_E_NS1_11comp_targetILNS1_3genE9ELNS1_11target_archE1100ELNS1_3gpuE3ELNS1_3repE0EEENS1_30default_config_static_selectorELNS0_4arch9wavefront6targetE0EEEvSK_.private_seg_size, 0
	.set _ZN7rocprim17ROCPRIM_400000_NS6detail17trampoline_kernelINS0_14default_configENS1_37merge_sort_block_sort_config_selectorIiNS0_10empty_typeEEEZNS1_21merge_sort_block_sortIS3_N6thrust23THRUST_200600_302600_NS6detail15normal_iteratorINS9_10device_ptrIiEEEESE_PS5_SF_9comp_mod3IiEEE10hipError_tT0_T1_T2_T3_mRjT4_P12ihipStream_tbNS1_7vsmem_tEEUlT_E_NS1_11comp_targetILNS1_3genE9ELNS1_11target_archE1100ELNS1_3gpuE3ELNS1_3repE0EEENS1_30default_config_static_selectorELNS0_4arch9wavefront6targetE0EEEvSK_.uses_vcc, 0
	.set _ZN7rocprim17ROCPRIM_400000_NS6detail17trampoline_kernelINS0_14default_configENS1_37merge_sort_block_sort_config_selectorIiNS0_10empty_typeEEEZNS1_21merge_sort_block_sortIS3_N6thrust23THRUST_200600_302600_NS6detail15normal_iteratorINS9_10device_ptrIiEEEESE_PS5_SF_9comp_mod3IiEEE10hipError_tT0_T1_T2_T3_mRjT4_P12ihipStream_tbNS1_7vsmem_tEEUlT_E_NS1_11comp_targetILNS1_3genE9ELNS1_11target_archE1100ELNS1_3gpuE3ELNS1_3repE0EEENS1_30default_config_static_selectorELNS0_4arch9wavefront6targetE0EEEvSK_.uses_flat_scratch, 0
	.set _ZN7rocprim17ROCPRIM_400000_NS6detail17trampoline_kernelINS0_14default_configENS1_37merge_sort_block_sort_config_selectorIiNS0_10empty_typeEEEZNS1_21merge_sort_block_sortIS3_N6thrust23THRUST_200600_302600_NS6detail15normal_iteratorINS9_10device_ptrIiEEEESE_PS5_SF_9comp_mod3IiEEE10hipError_tT0_T1_T2_T3_mRjT4_P12ihipStream_tbNS1_7vsmem_tEEUlT_E_NS1_11comp_targetILNS1_3genE9ELNS1_11target_archE1100ELNS1_3gpuE3ELNS1_3repE0EEENS1_30default_config_static_selectorELNS0_4arch9wavefront6targetE0EEEvSK_.has_dyn_sized_stack, 0
	.set _ZN7rocprim17ROCPRIM_400000_NS6detail17trampoline_kernelINS0_14default_configENS1_37merge_sort_block_sort_config_selectorIiNS0_10empty_typeEEEZNS1_21merge_sort_block_sortIS3_N6thrust23THRUST_200600_302600_NS6detail15normal_iteratorINS9_10device_ptrIiEEEESE_PS5_SF_9comp_mod3IiEEE10hipError_tT0_T1_T2_T3_mRjT4_P12ihipStream_tbNS1_7vsmem_tEEUlT_E_NS1_11comp_targetILNS1_3genE9ELNS1_11target_archE1100ELNS1_3gpuE3ELNS1_3repE0EEENS1_30default_config_static_selectorELNS0_4arch9wavefront6targetE0EEEvSK_.has_recursion, 0
	.set _ZN7rocprim17ROCPRIM_400000_NS6detail17trampoline_kernelINS0_14default_configENS1_37merge_sort_block_sort_config_selectorIiNS0_10empty_typeEEEZNS1_21merge_sort_block_sortIS3_N6thrust23THRUST_200600_302600_NS6detail15normal_iteratorINS9_10device_ptrIiEEEESE_PS5_SF_9comp_mod3IiEEE10hipError_tT0_T1_T2_T3_mRjT4_P12ihipStream_tbNS1_7vsmem_tEEUlT_E_NS1_11comp_targetILNS1_3genE9ELNS1_11target_archE1100ELNS1_3gpuE3ELNS1_3repE0EEENS1_30default_config_static_selectorELNS0_4arch9wavefront6targetE0EEEvSK_.has_indirect_call, 0
	.section	.AMDGPU.csdata,"",@progbits
; Kernel info:
; codeLenInByte = 0
; TotalNumSgprs: 0
; NumVgprs: 0
; ScratchSize: 0
; MemoryBound: 0
; FloatMode: 240
; IeeeMode: 1
; LDSByteSize: 0 bytes/workgroup (compile time only)
; SGPRBlocks: 0
; VGPRBlocks: 0
; NumSGPRsForWavesPerEU: 1
; NumVGPRsForWavesPerEU: 1
; Occupancy: 16
; WaveLimiterHint : 0
; COMPUTE_PGM_RSRC2:SCRATCH_EN: 0
; COMPUTE_PGM_RSRC2:USER_SGPR: 6
; COMPUTE_PGM_RSRC2:TRAP_HANDLER: 0
; COMPUTE_PGM_RSRC2:TGID_X_EN: 1
; COMPUTE_PGM_RSRC2:TGID_Y_EN: 0
; COMPUTE_PGM_RSRC2:TGID_Z_EN: 0
; COMPUTE_PGM_RSRC2:TIDIG_COMP_CNT: 0
	.section	.text._ZN7rocprim17ROCPRIM_400000_NS6detail17trampoline_kernelINS0_14default_configENS1_37merge_sort_block_sort_config_selectorIiNS0_10empty_typeEEEZNS1_21merge_sort_block_sortIS3_N6thrust23THRUST_200600_302600_NS6detail15normal_iteratorINS9_10device_ptrIiEEEESE_PS5_SF_9comp_mod3IiEEE10hipError_tT0_T1_T2_T3_mRjT4_P12ihipStream_tbNS1_7vsmem_tEEUlT_E_NS1_11comp_targetILNS1_3genE8ELNS1_11target_archE1030ELNS1_3gpuE2ELNS1_3repE0EEENS1_30default_config_static_selectorELNS0_4arch9wavefront6targetE0EEEvSK_,"axG",@progbits,_ZN7rocprim17ROCPRIM_400000_NS6detail17trampoline_kernelINS0_14default_configENS1_37merge_sort_block_sort_config_selectorIiNS0_10empty_typeEEEZNS1_21merge_sort_block_sortIS3_N6thrust23THRUST_200600_302600_NS6detail15normal_iteratorINS9_10device_ptrIiEEEESE_PS5_SF_9comp_mod3IiEEE10hipError_tT0_T1_T2_T3_mRjT4_P12ihipStream_tbNS1_7vsmem_tEEUlT_E_NS1_11comp_targetILNS1_3genE8ELNS1_11target_archE1030ELNS1_3gpuE2ELNS1_3repE0EEENS1_30default_config_static_selectorELNS0_4arch9wavefront6targetE0EEEvSK_,comdat
	.protected	_ZN7rocprim17ROCPRIM_400000_NS6detail17trampoline_kernelINS0_14default_configENS1_37merge_sort_block_sort_config_selectorIiNS0_10empty_typeEEEZNS1_21merge_sort_block_sortIS3_N6thrust23THRUST_200600_302600_NS6detail15normal_iteratorINS9_10device_ptrIiEEEESE_PS5_SF_9comp_mod3IiEEE10hipError_tT0_T1_T2_T3_mRjT4_P12ihipStream_tbNS1_7vsmem_tEEUlT_E_NS1_11comp_targetILNS1_3genE8ELNS1_11target_archE1030ELNS1_3gpuE2ELNS1_3repE0EEENS1_30default_config_static_selectorELNS0_4arch9wavefront6targetE0EEEvSK_ ; -- Begin function _ZN7rocprim17ROCPRIM_400000_NS6detail17trampoline_kernelINS0_14default_configENS1_37merge_sort_block_sort_config_selectorIiNS0_10empty_typeEEEZNS1_21merge_sort_block_sortIS3_N6thrust23THRUST_200600_302600_NS6detail15normal_iteratorINS9_10device_ptrIiEEEESE_PS5_SF_9comp_mod3IiEEE10hipError_tT0_T1_T2_T3_mRjT4_P12ihipStream_tbNS1_7vsmem_tEEUlT_E_NS1_11comp_targetILNS1_3genE8ELNS1_11target_archE1030ELNS1_3gpuE2ELNS1_3repE0EEENS1_30default_config_static_selectorELNS0_4arch9wavefront6targetE0EEEvSK_
	.globl	_ZN7rocprim17ROCPRIM_400000_NS6detail17trampoline_kernelINS0_14default_configENS1_37merge_sort_block_sort_config_selectorIiNS0_10empty_typeEEEZNS1_21merge_sort_block_sortIS3_N6thrust23THRUST_200600_302600_NS6detail15normal_iteratorINS9_10device_ptrIiEEEESE_PS5_SF_9comp_mod3IiEEE10hipError_tT0_T1_T2_T3_mRjT4_P12ihipStream_tbNS1_7vsmem_tEEUlT_E_NS1_11comp_targetILNS1_3genE8ELNS1_11target_archE1030ELNS1_3gpuE2ELNS1_3repE0EEENS1_30default_config_static_selectorELNS0_4arch9wavefront6targetE0EEEvSK_
	.p2align	8
	.type	_ZN7rocprim17ROCPRIM_400000_NS6detail17trampoline_kernelINS0_14default_configENS1_37merge_sort_block_sort_config_selectorIiNS0_10empty_typeEEEZNS1_21merge_sort_block_sortIS3_N6thrust23THRUST_200600_302600_NS6detail15normal_iteratorINS9_10device_ptrIiEEEESE_PS5_SF_9comp_mod3IiEEE10hipError_tT0_T1_T2_T3_mRjT4_P12ihipStream_tbNS1_7vsmem_tEEUlT_E_NS1_11comp_targetILNS1_3genE8ELNS1_11target_archE1030ELNS1_3gpuE2ELNS1_3repE0EEENS1_30default_config_static_selectorELNS0_4arch9wavefront6targetE0EEEvSK_,@function
_ZN7rocprim17ROCPRIM_400000_NS6detail17trampoline_kernelINS0_14default_configENS1_37merge_sort_block_sort_config_selectorIiNS0_10empty_typeEEEZNS1_21merge_sort_block_sortIS3_N6thrust23THRUST_200600_302600_NS6detail15normal_iteratorINS9_10device_ptrIiEEEESE_PS5_SF_9comp_mod3IiEEE10hipError_tT0_T1_T2_T3_mRjT4_P12ihipStream_tbNS1_7vsmem_tEEUlT_E_NS1_11comp_targetILNS1_3genE8ELNS1_11target_archE1030ELNS1_3gpuE2ELNS1_3repE0EEENS1_30default_config_static_selectorELNS0_4arch9wavefront6targetE0EEEvSK_: ; @_ZN7rocprim17ROCPRIM_400000_NS6detail17trampoline_kernelINS0_14default_configENS1_37merge_sort_block_sort_config_selectorIiNS0_10empty_typeEEEZNS1_21merge_sort_block_sortIS3_N6thrust23THRUST_200600_302600_NS6detail15normal_iteratorINS9_10device_ptrIiEEEESE_PS5_SF_9comp_mod3IiEEE10hipError_tT0_T1_T2_T3_mRjT4_P12ihipStream_tbNS1_7vsmem_tEEUlT_E_NS1_11comp_targetILNS1_3genE8ELNS1_11target_archE1030ELNS1_3gpuE2ELNS1_3repE0EEENS1_30default_config_static_selectorELNS0_4arch9wavefront6targetE0EEEvSK_
; %bb.0:
	s_clause 0x1
	s_load_dwordx2 s[12:13], s[4:5], 0x40
	s_load_dword s0, s[4:5], 0x0
	s_add_u32 s10, s4, 64
	s_addc_u32 s11, s5, 0
	s_waitcnt lgkmcnt(0)
	s_mul_i32 s1, s13, s8
	s_add_i32 s1, s1, s7
	s_mul_i32 s1, s1, s12
	s_add_i32 s8, s1, s6
	s_cmp_ge_u32 s8, s0
	s_cbranch_scc1 .LBB987_670
; %bb.1:
	s_clause 0x2
	s_load_dwordx2 s[16:17], s[4:5], 0x8
	s_load_dwordx4 s[0:3], s[4:5], 0x18
	s_load_dwordx2 s[14:15], s[4:5], 0x38
	s_mov_b32 s9, 0
	v_mov_b32_e32 v3, v1
	s_lshl_b64 s[4:5], s[8:9], 13
	v_lshlrev_b32_e32 v27, 2, v0
	v_lshrrev_b32_e32 v34, 3, v0
	v_or_b32_e32 v36, 0x100, v0
	v_or_b32_e32 v35, 0x200, v0
	;; [unrolled: 1-line block ×7, first 2 shown]
	v_and_b32_e32 v28, 0xfc, v0
	s_waitcnt lgkmcnt(0)
	s_lshr_b64 s[20:21], s[16:17], 11
	s_add_u32 s7, s0, s4
	s_addc_u32 s13, s1, s5
	s_add_u32 s17, s2, s4
	s_addc_u32 s18, s3, s5
	s_cmp_lg_u64 s[20:21], s[8:9]
	s_cbranch_scc0 .LBB987_327
; %bb.2:
	v_add_co_u32 v4, s0, s7, v27
	v_add_co_ci_u32_e64 v5, null, s13, 0, s0
	v_lshrrev_b32_e32 v12, 3, v36
	v_add_co_u32 v6, vcc_lo, 0x800, v4
	v_add_co_ci_u32_e64 v7, null, 0, v5, vcc_lo
	v_add_co_u32 v8, vcc_lo, 0x1000, v4
	v_add_co_ci_u32_e64 v9, null, 0, v5, vcc_lo
	;; [unrolled: 2-line block ×3, first 2 shown]
	s_clause 0x7
	flat_load_dword v1, v[4:5]
	flat_load_dword v4, v[4:5] offset:1024
	flat_load_dword v5, v[6:7]
	flat_load_dword v6, v[6:7] offset:1024
	;; [unrolled: 2-line block ×4, first 2 shown]
	v_and_b32_e32 v11, 28, v34
	v_lshrrev_b32_e32 v13, 3, v35
	v_lshrrev_b32_e32 v14, 3, v33
	;; [unrolled: 1-line block ×6, first 2 shown]
	v_add_nc_u32_e32 v37, v11, v27
	v_and_b32_e32 v11, 60, v12
	v_and_b32_e32 v12, 0x5c, v13
	;; [unrolled: 1-line block ×4, first 2 shown]
	v_lshl_add_u32 v43, v0, 5, v28
	v_and_b32_e32 v15, 0xbc, v16
	v_and_b32_e32 v16, 0xdc, v17
	;; [unrolled: 1-line block ×3, first 2 shown]
	v_add_nc_u32_e32 v44, v11, v27
	v_add_nc_u32_e32 v45, v12, v27
	;; [unrolled: 1-line block ×7, first 2 shown]
	s_mov_b32 s3, exec_lo
	s_waitcnt vmcnt(7) lgkmcnt(7)
	ds_write_b32 v37, v1
	s_waitcnt vmcnt(6) lgkmcnt(7)
	ds_write_b32 v44, v4 offset:1024
	s_waitcnt vmcnt(5) lgkmcnt(7)
	ds_write_b32 v45, v5 offset:2048
	s_waitcnt vmcnt(4) lgkmcnt(7)
	ds_write_b32 v38, v6 offset:3072
	s_waitcnt vmcnt(3) lgkmcnt(7)
	ds_write_b32 v39, v7 offset:4096
	s_waitcnt vmcnt(2) lgkmcnt(7)
	ds_write_b32 v40, v8 offset:5120
	s_waitcnt vmcnt(1) lgkmcnt(7)
	ds_write_b32 v41, v9 offset:6144
	s_waitcnt vmcnt(0) lgkmcnt(7)
	ds_write_b32 v42, v10 offset:7168
	s_waitcnt lgkmcnt(0)
	s_barrier
	buffer_gl0_inv
	ds_read2_b32 v[4:5], v43 offset1:1
	ds_read2_b32 v[6:7], v43 offset0:2 offset1:3
	ds_read2_b32 v[8:9], v43 offset0:4 offset1:5
	;; [unrolled: 1-line block ×3, first 2 shown]
	s_waitcnt lgkmcnt(0)
	s_barrier
	buffer_gl0_inv
	s_load_dword s0, s[10:11], 0xc
	v_mov_b32_e32 v1, 0
	s_waitcnt lgkmcnt(0)
	s_lshr_b32 s2, s0, 16
	s_cmp_lt_u32 s6, s12
	v_mad_u32_u24 v13, v2, s2, v3
	s_cselect_b32 s0, 12, 18
	s_add_u32 s0, s10, s0
	s_addc_u32 s1, s11, 0
	global_load_ushort v12, v1, s[0:1]
	s_waitcnt vmcnt(0)
	v_mul_lo_u32 v12, v13, v12
	v_add_lshl_u32 v20, v12, v0, 3
	v_mov_b32_e32 v12, v4
	v_cmpx_gt_u32_e32 0x800, v20
	s_cbranch_execz .LBB987_6
; %bb.3:
	v_ashrrev_i32_e32 v13, 31, v5
	v_mov_b32_e32 v12, v5
	v_ashrrev_i32_e32 v15, 31, v4
	v_mov_b32_e32 v14, v4
	;; [unrolled: 2-line block ×3, first 2 shown]
	v_lshlrev_b64 v[12:13], 2, v[12:13]
	v_ashrrev_i32_e32 v19, 31, v6
	v_mov_b32_e32 v18, v6
	v_lshlrev_b64 v[14:15], 2, v[14:15]
	v_ashrrev_i32_e32 v22, 31, v9
	v_mov_b32_e32 v21, v9
	;; [unrolled: 3-line block ×3, first 2 shown]
	v_add_co_u32 v12, vcc_lo, s14, v12
	v_lshlrev_b64 v[18:19], 2, v[18:19]
	v_ashrrev_i32_e32 v26, 31, v11
	v_mov_b32_e32 v25, v11
	v_add_co_ci_u32_e64 v13, null, s15, v13, vcc_lo
	v_add_co_u32 v14, vcc_lo, s14, v14
	v_lshlrev_b64 v[21:22], 2, v[21:22]
	v_ashrrev_i32_e32 v47, 31, v10
	v_mov_b32_e32 v46, v10
	v_add_co_ci_u32_e64 v15, null, s15, v15, vcc_lo
	v_add_co_u32 v16, vcc_lo, s14, v16
	v_lshlrev_b64 v[23:24], 2, v[23:24]
	v_add_co_ci_u32_e64 v17, null, s15, v17, vcc_lo
	v_add_co_u32 v18, vcc_lo, s14, v18
	v_lshlrev_b64 v[25:26], 2, v[25:26]
	;; [unrolled: 3-line block ×3, first 2 shown]
	v_add_co_ci_u32_e64 v22, null, s15, v22, vcc_lo
	v_add_co_u32 v23, vcc_lo, s14, v23
	v_add_co_ci_u32_e64 v24, null, s15, v24, vcc_lo
	v_add_co_u32 v25, vcc_lo, s14, v25
	;; [unrolled: 2-line block ×3, first 2 shown]
	v_add_co_ci_u32_e64 v47, null, s15, v47, vcc_lo
	s_clause 0x7
	global_load_dword v12, v[12:13], off
	global_load_dword v13, v[14:15], off
	;; [unrolled: 1-line block ×8, first 2 shown]
	s_waitcnt vmcnt(6)
	v_cmp_lt_i32_e32 vcc_lo, v12, v13
	s_waitcnt vmcnt(4)
	v_cmp_lt_i32_e64 s0, v14, v15
	s_waitcnt vmcnt(2)
	v_cmp_lt_i32_e64 s1, v16, v17
	v_cndmask_b32_e32 v12, v4, v5, vcc_lo
	s_waitcnt vmcnt(0)
	v_cmp_lt_i32_e64 s2, v18, v19
	v_cndmask_b32_e64 v14, v7, v6, s0
	v_cndmask_b32_e64 v6, v6, v7, s0
	;; [unrolled: 1-line block ×3, first 2 shown]
	v_cndmask_b32_e32 v4, v5, v4, vcc_lo
	v_cndmask_b32_e64 v8, v8, v9, s1
	v_ashrrev_i32_e32 v15, 31, v14
	v_ashrrev_i32_e32 v7, 31, v6
	;; [unrolled: 1-line block ×3, first 2 shown]
	v_cndmask_b32_e64 v18, v11, v10, s2
	v_cndmask_b32_e64 v10, v10, v11, s2
	v_lshlrev_b64 v[21:22], 2, v[14:15]
	v_ashrrev_i32_e32 v5, 31, v4
	v_lshlrev_b64 v[23:24], 2, v[16:17]
	v_ashrrev_i32_e32 v9, 31, v8
	;; [unrolled: 2-line block ×3, first 2 shown]
	v_lshlrev_b64 v[46:47], 2, v[4:5]
	v_add_co_u32 v21, vcc_lo, s14, v21
	v_lshlrev_b64 v[48:49], 2, v[8:9]
	v_add_co_ci_u32_e64 v22, null, s15, v22, vcc_lo
	v_add_co_u32 v23, vcc_lo, s14, v23
	v_lshlrev_b64 v[50:51], 2, v[10:11]
	v_add_co_ci_u32_e64 v24, null, s15, v24, vcc_lo
	v_add_co_u32 v25, vcc_lo, s14, v25
	v_add_co_ci_u32_e64 v26, null, s15, v26, vcc_lo
	v_add_co_u32 v46, vcc_lo, s14, v46
	;; [unrolled: 2-line block ×4, first 2 shown]
	v_add_co_ci_u32_e64 v51, null, s15, v51, vcc_lo
	s_clause 0x5
	global_load_dword v5, v[25:26], off
	global_load_dword v7, v[46:47], off
	;; [unrolled: 1-line block ×6, first 2 shown]
	v_ashrrev_i32_e32 v13, 31, v12
	v_ashrrev_i32_e32 v19, 31, v18
	v_lshlrev_b64 v[21:22], 2, v[12:13]
	v_lshlrev_b64 v[23:24], 2, v[18:19]
	v_add_co_u32 v21, vcc_lo, s14, v21
	v_add_co_ci_u32_e64 v22, null, s15, v22, vcc_lo
	v_add_co_u32 v23, vcc_lo, s14, v23
	v_add_co_ci_u32_e64 v24, null, s15, v24, vcc_lo
	s_clause 0x1
	global_load_dword v19, v[21:22], off
	global_load_dword v50, v[23:24], off
	s_waitcnt vmcnt(6)
	v_cmp_lt_i32_e32 vcc_lo, v5, v7
	s_waitcnt vmcnt(4)
	v_cmp_lt_i32_e64 s0, v9, v11
	s_waitcnt vmcnt(2)
	v_cmp_lt_i32_e64 s1, v15, v17
	v_cndmask_b32_e32 v5, v6, v4, vcc_lo
	v_cndmask_b32_e32 v13, v4, v6, vcc_lo
	v_cndmask_b32_e64 v7, v8, v14, s0
	v_cndmask_b32_e64 v15, v14, v8, s0
	;; [unrolled: 1-line block ×3, first 2 shown]
	v_ashrrev_i32_e32 v6, 31, v5
	v_ashrrev_i32_e32 v14, 31, v13
	;; [unrolled: 1-line block ×3, first 2 shown]
	v_cndmask_b32_e64 v9, v10, v16, s1
	v_ashrrev_i32_e32 v16, 31, v15
	v_lshlrev_b64 v[23:24], 2, v[5:6]
	v_ashrrev_i32_e32 v22, 31, v21
	v_lshlrev_b64 v[25:26], 2, v[7:8]
	v_lshlrev_b64 v[46:47], 2, v[13:14]
	v_ashrrev_i32_e32 v10, 31, v9
	v_lshlrev_b64 v[16:17], 2, v[15:16]
	v_lshlrev_b64 v[48:49], 2, v[21:22]
	v_add_co_u32 v22, vcc_lo, s14, v23
	v_add_co_ci_u32_e64 v23, null, s15, v24, vcc_lo
	v_add_co_u32 v24, vcc_lo, s14, v25
	v_lshlrev_b64 v[10:11], 2, v[9:10]
	v_add_co_ci_u32_e64 v25, null, s15, v26, vcc_lo
	v_add_co_u32 v46, vcc_lo, s14, v46
	v_add_co_ci_u32_e64 v47, null, s15, v47, vcc_lo
	v_add_co_u32 v16, vcc_lo, s14, v16
	;; [unrolled: 2-line block ×4, first 2 shown]
	v_add_co_ci_u32_e64 v11, null, s15, v11, vcc_lo
	s_clause 0x5
	global_load_dword v4, v[46:47], off
	global_load_dword v6, v[16:17], off
	;; [unrolled: 1-line block ×6, first 2 shown]
	s_waitcnt vmcnt(5)
	v_cmp_lt_i32_e32 vcc_lo, v4, v19
	s_waitcnt vmcnt(3)
	v_cmp_lt_i32_e64 s0, v6, v8
	s_waitcnt vmcnt(1)
	v_cmp_lt_i32_e64 s1, v14, v16
	;; [unrolled: 2-line block ×3, first 2 shown]
	v_cndmask_b32_e32 v4, v12, v13, vcc_lo
	v_cndmask_b32_e64 v6, v15, v5, s0
	v_cndmask_b32_e64 v14, v5, v15, s0
	;; [unrolled: 1-line block ×4, first 2 shown]
	v_cndmask_b32_e32 v12, v13, v12, vcc_lo
	v_ashrrev_i32_e32 v7, 31, v6
	v_cndmask_b32_e64 v10, v18, v9, s2
	v_cndmask_b32_e64 v18, v9, v18, s2
	v_ashrrev_i32_e32 v9, 31, v8
	v_ashrrev_i32_e32 v15, 31, v14
	v_lshlrev_b64 v[21:22], 2, v[6:7]
	v_ashrrev_i32_e32 v13, 31, v12
	v_ashrrev_i32_e32 v17, 31, v16
	v_lshlrev_b64 v[23:24], 2, v[8:9]
	v_lshlrev_b64 v[25:26], 2, v[14:15]
	v_ashrrev_i32_e32 v19, 31, v18
	v_lshlrev_b64 v[46:47], 2, v[12:13]
	v_add_co_u32 v21, vcc_lo, s14, v21
	v_lshlrev_b64 v[48:49], 2, v[16:17]
	v_add_co_ci_u32_e64 v22, null, s15, v22, vcc_lo
	v_add_co_u32 v23, vcc_lo, s14, v23
	v_lshlrev_b64 v[50:51], 2, v[18:19]
	v_add_co_ci_u32_e64 v24, null, s15, v24, vcc_lo
	v_add_co_u32 v25, vcc_lo, s14, v25
	v_add_co_ci_u32_e64 v26, null, s15, v26, vcc_lo
	v_add_co_u32 v46, vcc_lo, s14, v46
	;; [unrolled: 2-line block ×4, first 2 shown]
	v_add_co_ci_u32_e64 v51, null, s15, v51, vcc_lo
	s_clause 0x5
	global_load_dword v7, v[25:26], off
	global_load_dword v9, v[46:47], off
	;; [unrolled: 1-line block ×6, first 2 shown]
	v_ashrrev_i32_e32 v5, 31, v4
	v_ashrrev_i32_e32 v11, 31, v10
	v_lshlrev_b64 v[21:22], 2, v[4:5]
	v_lshlrev_b64 v[23:24], 2, v[10:11]
	v_add_co_u32 v21, vcc_lo, s14, v21
	v_add_co_ci_u32_e64 v22, null, s15, v22, vcc_lo
	v_add_co_u32 v23, vcc_lo, s14, v23
	v_add_co_ci_u32_e64 v24, null, s15, v24, vcc_lo
	s_clause 0x1
	global_load_dword v48, v[21:22], off
	global_load_dword v49, v[23:24], off
	s_waitcnt vmcnt(6)
	v_cmp_lt_i32_e32 vcc_lo, v7, v9
	s_waitcnt vmcnt(4)
	v_cmp_lt_i32_e64 s0, v13, v15
	s_waitcnt vmcnt(2)
	v_cmp_lt_i32_e64 s1, v17, v19
	v_cndmask_b32_e32 v5, v14, v12, vcc_lo
	v_cndmask_b32_e32 v13, v12, v14, vcc_lo
	v_cndmask_b32_e64 v7, v16, v6, s0
	v_cndmask_b32_e64 v15, v6, v16, s0
	;; [unrolled: 1-line block ×3, first 2 shown]
	v_ashrrev_i32_e32 v6, 31, v5
	v_cndmask_b32_e64 v17, v8, v18, s1
	v_ashrrev_i32_e32 v8, 31, v7
	v_ashrrev_i32_e32 v14, 31, v13
	v_ashrrev_i32_e32 v16, 31, v15
	v_lshlrev_b64 v[21:22], 2, v[5:6]
	v_ashrrev_i32_e32 v18, 31, v17
	v_lshlrev_b64 v[8:9], 2, v[7:8]
	v_lshlrev_b64 v[25:26], 2, v[13:14]
	v_ashrrev_i32_e32 v12, 31, v11
	v_lshlrev_b64 v[46:47], 2, v[15:16]
	v_add_co_u32 v21, vcc_lo, s14, v21
	v_lshlrev_b64 v[18:19], 2, v[17:18]
	v_add_co_ci_u32_e64 v22, null, s15, v22, vcc_lo
	v_add_co_u32 v8, vcc_lo, s14, v8
	v_lshlrev_b64 v[23:24], 2, v[11:12]
	v_add_co_ci_u32_e64 v9, null, s15, v9, vcc_lo
	v_add_co_u32 v25, vcc_lo, s14, v25
	v_add_co_ci_u32_e64 v26, null, s15, v26, vcc_lo
	v_add_co_u32 v46, vcc_lo, s14, v46
	;; [unrolled: 2-line block ×4, first 2 shown]
	v_add_co_ci_u32_e64 v24, null, s15, v24, vcc_lo
	s_clause 0x5
	global_load_dword v6, v[25:26], off
	global_load_dword v12, v[46:47], off
	;; [unrolled: 1-line block ×6, first 2 shown]
	s_waitcnt vmcnt(5)
	v_cmp_lt_i32_e32 vcc_lo, v6, v48
	s_waitcnt vmcnt(3)
	v_cmp_lt_i32_e64 s0, v12, v14
	s_waitcnt vmcnt(1)
	v_cmp_lt_i32_e64 s1, v16, v9
	;; [unrolled: 2-line block ×3, first 2 shown]
	v_cndmask_b32_e32 v6, v4, v13, vcc_lo
	v_cndmask_b32_e64 v8, v15, v5, s0
	v_cndmask_b32_e64 v16, v5, v15, s0
	;; [unrolled: 1-line block ×3, first 2 shown]
	v_cndmask_b32_e32 v4, v13, v4, vcc_lo
	v_cndmask_b32_e64 v18, v7, v17, s1
	v_ashrrev_i32_e32 v9, 31, v8
	v_ashrrev_i32_e32 v17, 31, v16
	;; [unrolled: 1-line block ×3, first 2 shown]
	v_cndmask_b32_e64 v14, v10, v11, s2
	v_cndmask_b32_e64 v10, v11, v10, s2
	v_lshlrev_b64 v[21:22], 2, v[8:9]
	v_ashrrev_i32_e32 v5, 31, v4
	v_lshlrev_b64 v[23:24], 2, v[12:13]
	v_ashrrev_i32_e32 v19, 31, v18
	;; [unrolled: 2-line block ×3, first 2 shown]
	v_lshlrev_b64 v[46:47], 2, v[4:5]
	v_add_co_u32 v21, vcc_lo, s14, v21
	v_lshlrev_b64 v[48:49], 2, v[18:19]
	v_add_co_ci_u32_e64 v22, null, s15, v22, vcc_lo
	v_add_co_u32 v23, vcc_lo, s14, v23
	v_lshlrev_b64 v[50:51], 2, v[10:11]
	v_add_co_ci_u32_e64 v24, null, s15, v24, vcc_lo
	v_add_co_u32 v25, vcc_lo, s14, v25
	v_add_co_ci_u32_e64 v26, null, s15, v26, vcc_lo
	v_add_co_u32 v46, vcc_lo, s14, v46
	;; [unrolled: 2-line block ×4, first 2 shown]
	v_add_co_ci_u32_e64 v51, null, s15, v51, vcc_lo
	s_clause 0x5
	global_load_dword v5, v[25:26], off
	global_load_dword v9, v[46:47], off
	global_load_dword v11, v[48:49], off
	global_load_dword v13, v[21:22], off
	global_load_dword v17, v[50:51], off
	global_load_dword v19, v[23:24], off
	v_ashrrev_i32_e32 v7, 31, v6
	v_ashrrev_i32_e32 v15, 31, v14
	v_lshlrev_b64 v[21:22], 2, v[6:7]
	v_lshlrev_b64 v[23:24], 2, v[14:15]
	v_add_co_u32 v21, vcc_lo, s14, v21
	v_add_co_ci_u32_e64 v22, null, s15, v22, vcc_lo
	v_add_co_u32 v23, vcc_lo, s14, v23
	v_add_co_ci_u32_e64 v24, null, s15, v24, vcc_lo
	s_clause 0x1
	global_load_dword v50, v[21:22], off
	global_load_dword v51, v[23:24], off
	s_waitcnt vmcnt(6)
	v_cmp_lt_i32_e32 vcc_lo, v5, v9
	s_waitcnt vmcnt(4)
	v_cmp_lt_i32_e64 s0, v11, v13
	s_waitcnt vmcnt(2)
	v_cmp_lt_i32_e64 s1, v17, v19
	v_cndmask_b32_e32 v7, v16, v4, vcc_lo
	v_cndmask_b32_e32 v4, v4, v16, vcc_lo
	v_cndmask_b32_e64 v9, v18, v8, s0
	v_cndmask_b32_e64 v15, v8, v18, s0
	;; [unrolled: 1-line block ×3, first 2 shown]
	v_ashrrev_i32_e32 v8, 31, v7
	v_cndmask_b32_e64 v21, v12, v10, s1
	v_ashrrev_i32_e32 v10, 31, v9
	v_ashrrev_i32_e32 v5, 31, v4
	;; [unrolled: 1-line block ×3, first 2 shown]
	v_lshlrev_b64 v[17:18], 2, v[7:8]
	v_ashrrev_i32_e32 v22, 31, v21
	v_lshlrev_b64 v[23:24], 2, v[9:10]
	v_lshlrev_b64 v[25:26], 2, v[4:5]
	v_ashrrev_i32_e32 v12, 31, v11
	v_lshlrev_b64 v[46:47], 2, v[15:16]
	v_add_co_u32 v16, vcc_lo, s14, v17
	v_lshlrev_b64 v[48:49], 2, v[21:22]
	v_add_co_ci_u32_e64 v17, null, s15, v18, vcc_lo
	v_add_co_u32 v18, vcc_lo, s14, v23
	v_lshlrev_b64 v[12:13], 2, v[11:12]
	v_add_co_ci_u32_e64 v19, null, s15, v24, vcc_lo
	v_add_co_u32 v22, vcc_lo, s14, v25
	v_add_co_ci_u32_e64 v23, null, s15, v26, vcc_lo
	v_add_co_u32 v24, vcc_lo, s14, v46
	;; [unrolled: 2-line block ×4, first 2 shown]
	v_add_co_ci_u32_e64 v13, null, s15, v13, vcc_lo
	s_clause 0x5
	global_load_dword v5, v[22:23], off
	global_load_dword v8, v[24:25], off
	;; [unrolled: 1-line block ×6, first 2 shown]
	s_waitcnt vmcnt(5)
	v_cmp_lt_i32_e32 vcc_lo, v5, v50
	s_waitcnt vmcnt(3)
	v_cmp_lt_i32_e64 s0, v8, v10
	s_waitcnt vmcnt(1)
	v_cmp_lt_i32_e64 s1, v16, v17
	v_cndmask_b32_e32 v8, v4, v6, vcc_lo
	v_cndmask_b32_e32 v12, v6, v4, vcc_lo
	v_cndmask_b32_e64 v5, v15, v7, s0
	v_cndmask_b32_e64 v15, v7, v15, s0
	;; [unrolled: 1-line block ×4, first 2 shown]
	s_waitcnt vmcnt(0)
	v_cmp_lt_i32_e64 s2, v51, v13
	v_ashrrev_i32_e32 v6, 31, v5
	v_ashrrev_i32_e32 v16, 31, v15
	;; [unrolled: 1-line block ×4, first 2 shown]
	v_cndmask_b32_e64 v18, v11, v14, s2
	v_lshlrev_b64 v[6:7], 2, v[5:6]
	v_lshlrev_b64 v[46:47], 2, v[15:16]
	;; [unrolled: 1-line block ×4, first 2 shown]
	v_ashrrev_i32_e32 v24, 31, v18
	v_mov_b32_e32 v23, v18
	v_add_co_u32 v6, vcc_lo, s14, v6
	v_add_co_ci_u32_e64 v7, null, s15, v7, vcc_lo
	v_add_co_u32 v46, vcc_lo, s14, v46
	v_ashrrev_i32_e32 v26, 31, v17
	v_mov_b32_e32 v25, v17
	v_add_co_ci_u32_e64 v47, null, s15, v47, vcc_lo
	v_add_co_u32 v9, vcc_lo, s14, v9
	v_lshlrev_b64 v[23:24], 2, v[23:24]
	v_add_co_ci_u32_e64 v10, null, s15, v10, vcc_lo
	v_add_co_u32 v48, vcc_lo, s14, v48
	v_lshlrev_b64 v[25:26], 2, v[25:26]
	v_add_co_ci_u32_e64 v49, null, s15, v49, vcc_lo
	s_clause 0x3
	global_load_dword v4, v[46:47], off
	global_load_dword v9, v[9:10], off
	;; [unrolled: 1-line block ×4, first 2 shown]
	v_add_co_u32 v22, vcc_lo, s14, v23
	v_add_co_ci_u32_e64 v23, null, s15, v24, vcc_lo
	v_add_co_u32 v6, vcc_lo, s14, v25
	v_add_co_ci_u32_e64 v7, null, s15, v26, vcc_lo
	s_clause 0x1
	global_load_dword v22, v[22:23], off
	global_load_dword v6, v[6:7], off
	v_cndmask_b32_e64 v19, v14, v11, s2
	s_waitcnt vmcnt(4)
	v_cmp_lt_i32_e32 vcc_lo, v4, v9
	s_waitcnt vmcnt(2)
	v_cmp_lt_i32_e64 s0, v10, v13
	v_cndmask_b32_e32 v14, v15, v8, vcc_lo
	v_cndmask_b32_e32 v13, v8, v15, vcc_lo
	v_cndmask_b32_e64 v16, v21, v5, s0
	v_cndmask_b32_e64 v15, v5, v21, s0
	s_waitcnt vmcnt(0)
	v_cmp_lt_i32_e32 vcc_lo, v22, v6
	v_mov_b32_e32 v4, v12
	v_mov_b32_e32 v5, v13
	;; [unrolled: 1-line block ×8, first 2 shown]
	s_and_saveexec_b32 s0, vcc_lo
	s_cbranch_execz .LBB987_5
; %bb.4:
	v_mov_b32_e32 v4, v12
	v_mov_b32_e32 v9, v17
	;; [unrolled: 1-line block ×10, first 2 shown]
.LBB987_5:
	s_or_b32 exec_lo, exec_lo, s0
.LBB987_6:
	s_or_b32 exec_lo, exec_lo, s3
	v_mbcnt_lo_u32_b32 v15, -1, 0
	v_and_b32_e32 v13, 0xffffff00, v20
	s_mov_b32 s0, exec_lo
	v_lshlrev_b32_e32 v49, 3, v15
	v_sub_nc_u32_e64 v48, 0x800, v13 clamp
	v_lshlrev_b32_e32 v47, 2, v13
	v_mov_b32_e32 v13, v5
	v_or_b32_e32 v14, 8, v49
	v_and_b32_e32 v16, 8, v49
	v_and_b32_e32 v18, 0xf0, v49
	v_lshl_or_b32 v50, v15, 5, v47
	v_mov_b32_e32 v15, v7
	v_min_u32_e32 v26, v48, v14
	v_min_u32_e32 v19, v48, v16
	v_add_nc_u32_e32 v14, 8, v26
	v_sub_nc_u32_e32 v17, v26, v18
	v_min_u32_e32 v51, v48, v14
	v_mov_b32_e32 v14, v6
	v_min_u32_e32 v20, v19, v17
	v_lshl_or_b32 v17, v18, 2, v47
	ds_write_b128 v50, v[12:15]
	ds_write_b128 v50, v[8:11] offset:16
	v_sub_nc_u32_e32 v16, v51, v26
	; wave barrier
	v_sub_nc_u32_e64 v16, v19, v16 clamp
	v_cmpx_lt_u32_e64 v16, v20
	s_cbranch_execz .LBB987_10
; %bb.7:
	v_lshlrev_b32_e32 v12, 2, v26
	v_lshlrev_b32_e32 v13, 2, v19
	s_mov_b32 s1, 0
	v_add3_u32 v12, v47, v12, v13
	s_inst_prefetch 0x1
	.p2align	6
.LBB987_8:                              ; =>This Inner Loop Header: Depth=1
	v_add_nc_u32_e32 v13, v20, v16
	v_lshrrev_b32_e32 v15, 1, v13
	v_not_b32_e32 v13, v15
	v_lshl_add_u32 v14, v15, 2, v17
	v_lshl_add_u32 v21, v13, 2, v12
	ds_read_b32 v13, v14
	ds_read_b32 v21, v21
	s_waitcnt lgkmcnt(1)
	v_ashrrev_i32_e32 v14, 31, v13
	s_waitcnt lgkmcnt(0)
	v_ashrrev_i32_e32 v22, 31, v21
	v_lshlrev_b64 v[13:14], 2, v[13:14]
	v_lshlrev_b64 v[21:22], 2, v[21:22]
	v_add_co_u32 v13, vcc_lo, s14, v13
	v_add_co_ci_u32_e64 v14, null, s15, v14, vcc_lo
	v_add_co_u32 v21, vcc_lo, s14, v21
	v_add_co_ci_u32_e64 v22, null, s15, v22, vcc_lo
	s_clause 0x1
	global_load_dword v21, v[21:22], off
	global_load_dword v13, v[13:14], off
	v_add_nc_u32_e32 v14, 1, v15
	s_waitcnt vmcnt(0)
	v_cmp_lt_i32_e32 vcc_lo, v21, v13
	v_cndmask_b32_e32 v20, v20, v15, vcc_lo
	v_cndmask_b32_e32 v16, v14, v16, vcc_lo
	v_cmp_ge_u32_e32 vcc_lo, v16, v20
	s_or_b32 s1, vcc_lo, s1
	s_andn2_b32 exec_lo, exec_lo, s1
	s_cbranch_execnz .LBB987_8
; %bb.9:
	s_inst_prefetch 0x2
	s_or_b32 exec_lo, exec_lo, s1
.LBB987_10:
	s_or_b32 exec_lo, exec_lo, s0
	v_add_nc_u32_e32 v13, v26, v19
	v_add_nc_u32_e32 v12, v16, v18
	v_lshlrev_b32_e32 v46, 3, v0
	v_sub_nc_u32_e32 v13, v13, v16
	v_cmp_le_u32_e32 vcc_lo, v12, v26
	v_cmp_le_u32_e64 s0, v13, v51
	s_or_b32 s0, vcc_lo, s0
	s_and_saveexec_b32 s1, s0
	s_cbranch_execz .LBB987_46
; %bb.11:
	s_mov_b32 s2, exec_lo
	v_cmp_ge_u32_e32 vcc_lo, v12, v26
                                        ; implicit-def: $vgpr4
	v_cmpx_lt_u32_e64 v12, v26
; %bb.12:
	v_lshl_add_u32 v4, v16, 2, v17
	ds_read_b32 v4, v4
; %bb.13:
	s_or_b32 exec_lo, exec_lo, s2
	v_cmp_ge_u32_e64 s2, v13, v51
	s_mov_b32 s3, exec_lo
                                        ; implicit-def: $vgpr6
	v_cmpx_lt_u32_e64 v13, v51
; %bb.14:
	v_lshl_add_u32 v5, v13, 2, v47
	ds_read_b32 v6, v5
; %bb.15:
	s_or_b32 exec_lo, exec_lo, s3
	s_nor_b32 s3, vcc_lo, s2
	s_and_saveexec_b32 s0, s3
	s_cbranch_execz .LBB987_17
; %bb.16:
	s_waitcnt lgkmcnt(0)
	v_ashrrev_i32_e32 v7, 31, v6
	v_ashrrev_i32_e32 v5, 31, v4
	s_andn2_b32 s2, s2, exec_lo
	v_lshlrev_b64 v[7:8], 2, v[6:7]
	v_lshlrev_b64 v[9:10], 2, v[4:5]
	v_add_co_u32 v7, vcc_lo, s14, v7
	v_add_co_ci_u32_e64 v8, null, s15, v8, vcc_lo
	v_add_co_u32 v9, vcc_lo, s14, v9
	v_add_co_ci_u32_e64 v10, null, s15, v10, vcc_lo
	s_clause 0x1
	global_load_dword v5, v[7:8], off
	global_load_dword v7, v[9:10], off
	s_waitcnt vmcnt(0)
	v_cmp_ge_i32_e32 vcc_lo, v5, v7
	s_and_b32 s3, vcc_lo, exec_lo
	s_or_b32 s2, s2, s3
.LBB987_17:
	s_or_b32 exec_lo, exec_lo, s0
	v_cndmask_b32_e64 v5, v13, v12, s2
	v_cndmask_b32_e64 v7, v51, v26, s2
	s_mov_b32 s0, -1
	s_mov_b32 s3, -1
	s_mov_b32 s4, exec_lo
	v_add_nc_u32_e32 v8, 1, v5
	v_add_nc_u32_e32 v5, -1, v7
	v_cndmask_b32_e64 v11, v12, v8, s2
	v_min_u32_e32 v5, v8, v5
	v_lshl_add_u32 v5, v5, 2, v47
	ds_read_b32 v9, v5
	v_cndmask_b32_e64 v5, v8, v13, s2
	s_waitcnt lgkmcnt(0)
	v_cndmask_b32_e64 v7, v9, v6, s2
	v_cndmask_b32_e64 v9, v4, v9, s2
	v_cmpx_lt_u32_e64 v5, v51
	s_cbranch_execz .LBB987_21
; %bb.18:
	s_mov_b32 s5, 0
	s_mov_b32 s3, exec_lo
	v_cmpx_lt_u32_e64 v11, v26
	s_cbranch_execz .LBB987_20
; %bb.19:
	v_ashrrev_i32_e32 v8, 31, v7
	v_ashrrev_i32_e32 v10, 31, v9
	v_lshlrev_b64 v[12:13], 2, v[7:8]
	v_lshlrev_b64 v[14:15], 2, v[9:10]
	v_add_co_u32 v12, vcc_lo, s14, v12
	v_add_co_ci_u32_e64 v13, null, s15, v13, vcc_lo
	v_add_co_u32 v14, vcc_lo, s14, v14
	v_add_co_ci_u32_e64 v15, null, s15, v15, vcc_lo
	s_clause 0x1
	global_load_dword v8, v[12:13], off
	global_load_dword v10, v[14:15], off
	s_waitcnt vmcnt(0)
	v_cmp_ge_i32_e32 vcc_lo, v8, v10
	s_and_b32 s5, vcc_lo, exec_lo
.LBB987_20:
	s_or_b32 exec_lo, exec_lo, s3
	s_orn2_b32 s3, s5, exec_lo
.LBB987_21:
	s_or_b32 exec_lo, exec_lo, s4
	v_cndmask_b32_e64 v8, v5, v11, s3
	v_cndmask_b32_e64 v10, v51, v26, s3
	s_mov_b32 s4, exec_lo
	v_add_nc_u32_e32 v8, 1, v8
	v_add_nc_u32_e32 v10, -1, v10
	v_cndmask_b32_e64 v5, v8, v5, s3
	v_min_u32_e32 v10, v8, v10
	v_cndmask_b32_e64 v8, v11, v8, s3
	v_lshl_add_u32 v10, v10, 2, v47
	ds_read_b32 v12, v10
	s_waitcnt lgkmcnt(0)
	v_cndmask_b32_e64 v10, v12, v7, s3
	v_cndmask_b32_e64 v12, v9, v12, s3
	v_cmpx_lt_u32_e64 v5, v51
	s_cbranch_execz .LBB987_25
; %bb.22:
	s_mov_b32 s5, 0
	s_mov_b32 s0, exec_lo
	v_cmpx_lt_u32_e64 v8, v26
	s_cbranch_execz .LBB987_24
; %bb.23:
	v_ashrrev_i32_e32 v11, 31, v10
	v_ashrrev_i32_e32 v13, 31, v12
	v_lshlrev_b64 v[14:15], 2, v[10:11]
	v_lshlrev_b64 v[16:17], 2, v[12:13]
	v_add_co_u32 v13, vcc_lo, s14, v14
	v_add_co_ci_u32_e64 v14, null, s15, v15, vcc_lo
	v_add_co_u32 v15, vcc_lo, s14, v16
	v_add_co_ci_u32_e64 v16, null, s15, v17, vcc_lo
	s_clause 0x1
	global_load_dword v11, v[13:14], off
	global_load_dword v13, v[15:16], off
	s_waitcnt vmcnt(0)
	v_cmp_ge_i32_e32 vcc_lo, v11, v13
	s_and_b32 s5, vcc_lo, exec_lo
.LBB987_24:
	s_or_b32 exec_lo, exec_lo, s0
	s_orn2_b32 s0, s5, exec_lo
.LBB987_25:
	s_or_b32 exec_lo, exec_lo, s4
	v_cndmask_b32_e64 v11, v5, v8, s0
	v_cndmask_b32_e64 v13, v51, v26, s0
	s_mov_b32 s4, -1
	s_mov_b32 s5, -1
	s_mov_b32 s19, exec_lo
	v_add_nc_u32_e32 v11, 1, v11
	v_add_nc_u32_e32 v13, -1, v13
	v_cndmask_b32_e64 v5, v11, v5, s0
	v_min_u32_e32 v13, v11, v13
	v_cndmask_b32_e64 v8, v8, v11, s0
	v_lshl_add_u32 v13, v13, 2, v47
	ds_read_b32 v14, v13
	s_waitcnt lgkmcnt(0)
	v_cndmask_b32_e64 v13, v14, v10, s0
	v_cndmask_b32_e64 v15, v12, v14, s0
	v_cmpx_lt_u32_e64 v5, v51
	s_cbranch_execz .LBB987_29
; %bb.26:
	s_mov_b32 s20, 0
	s_mov_b32 s5, exec_lo
	v_cmpx_lt_u32_e64 v8, v26
	s_cbranch_execz .LBB987_28
; %bb.27:
	v_ashrrev_i32_e32 v14, 31, v13
	v_ashrrev_i32_e32 v16, 31, v15
	v_lshlrev_b64 v[17:18], 2, v[13:14]
	v_lshlrev_b64 v[19:20], 2, v[15:16]
	v_add_co_u32 v16, vcc_lo, s14, v17
	v_add_co_ci_u32_e64 v17, null, s15, v18, vcc_lo
	v_add_co_u32 v18, vcc_lo, s14, v19
	v_add_co_ci_u32_e64 v19, null, s15, v20, vcc_lo
	s_clause 0x1
	global_load_dword v11, v[16:17], off
	global_load_dword v14, v[18:19], off
	s_waitcnt vmcnt(0)
	v_cmp_ge_i32_e32 vcc_lo, v11, v14
	s_and_b32 s20, vcc_lo, exec_lo
.LBB987_28:
	s_or_b32 exec_lo, exec_lo, s5
	s_orn2_b32 s5, s20, exec_lo
.LBB987_29:
	s_or_b32 exec_lo, exec_lo, s19
	v_cndmask_b32_e64 v11, v5, v8, s5
	v_cndmask_b32_e64 v14, v51, v26, s5
	s_mov_b32 s19, exec_lo
	v_add_nc_u32_e32 v11, 1, v11
	v_add_nc_u32_e32 v14, -1, v14
	v_cndmask_b32_e64 v5, v11, v5, s5
	v_min_u32_e32 v14, v11, v14
	v_cndmask_b32_e64 v8, v8, v11, s5
	v_lshl_add_u32 v14, v14, 2, v47
	ds_read_b32 v14, v14
	s_waitcnt lgkmcnt(0)
	v_cndmask_b32_e64 v16, v14, v13, s5
	v_cndmask_b32_e64 v18, v15, v14, s5
	v_cmpx_lt_u32_e64 v5, v51
	s_cbranch_execz .LBB987_33
; %bb.30:
	s_mov_b32 s20, 0
	s_mov_b32 s4, exec_lo
	v_cmpx_lt_u32_e64 v8, v26
	s_cbranch_execz .LBB987_32
; %bb.31:
	v_ashrrev_i32_e32 v17, 31, v16
	v_ashrrev_i32_e32 v19, 31, v18
	v_lshlrev_b64 v[20:21], 2, v[16:17]
	v_lshlrev_b64 v[22:23], 2, v[18:19]
	v_add_co_u32 v19, vcc_lo, s14, v20
	v_add_co_ci_u32_e64 v20, null, s15, v21, vcc_lo
	v_add_co_u32 v21, vcc_lo, s14, v22
	v_add_co_ci_u32_e64 v22, null, s15, v23, vcc_lo
	s_clause 0x1
	global_load_dword v11, v[19:20], off
	global_load_dword v14, v[21:22], off
	s_waitcnt vmcnt(0)
	v_cmp_ge_i32_e32 vcc_lo, v11, v14
	s_and_b32 s20, vcc_lo, exec_lo
.LBB987_32:
	s_or_b32 exec_lo, exec_lo, s4
	s_orn2_b32 s4, s20, exec_lo
.LBB987_33:
	s_or_b32 exec_lo, exec_lo, s19
	v_cndmask_b32_e64 v11, v5, v8, s4
	v_cndmask_b32_e64 v14, v51, v26, s4
	s_mov_b32 s19, -1
	s_mov_b32 s20, -1
	s_mov_b32 s21, exec_lo
	v_add_nc_u32_e32 v11, 1, v11
	v_add_nc_u32_e32 v14, -1, v14
	v_cndmask_b32_e64 v5, v11, v5, s4
	v_min_u32_e32 v14, v11, v14
	v_cndmask_b32_e64 v8, v8, v11, s4
	v_lshl_add_u32 v14, v14, 2, v47
	ds_read_b32 v14, v14
	s_waitcnt lgkmcnt(0)
	v_cndmask_b32_e64 v19, v14, v16, s4
	v_cndmask_b32_e64 v21, v18, v14, s4
	v_cmpx_lt_u32_e64 v5, v51
	s_cbranch_execz .LBB987_37
; %bb.34:
	s_mov_b32 s22, 0
	s_mov_b32 s20, exec_lo
	v_cmpx_lt_u32_e64 v8, v26
	s_cbranch_execz .LBB987_36
; %bb.35:
	v_ashrrev_i32_e32 v20, 31, v19
	v_ashrrev_i32_e32 v22, 31, v21
	v_lshlrev_b64 v[23:24], 2, v[19:20]
	v_lshlrev_b64 v[52:53], 2, v[21:22]
	v_add_co_u32 v22, vcc_lo, s14, v23
	v_add_co_ci_u32_e64 v23, null, s15, v24, vcc_lo
	v_add_co_u32 v24, vcc_lo, s14, v52
	v_add_co_ci_u32_e64 v25, null, s15, v53, vcc_lo
	s_clause 0x1
	global_load_dword v11, v[22:23], off
	global_load_dword v14, v[24:25], off
	s_waitcnt vmcnt(0)
	v_cmp_ge_i32_e32 vcc_lo, v11, v14
	s_and_b32 s22, vcc_lo, exec_lo
.LBB987_36:
	s_or_b32 exec_lo, exec_lo, s20
	s_orn2_b32 s20, s22, exec_lo
.LBB987_37:
	s_or_b32 exec_lo, exec_lo, s21
	v_cndmask_b32_e64 v11, v5, v8, s20
	v_cndmask_b32_e64 v14, v51, v26, s20
	s_mov_b32 s21, exec_lo
	v_add_nc_u32_e32 v17, 1, v11
	v_add_nc_u32_e32 v11, -1, v14
	v_min_u32_e32 v11, v17, v11
	v_lshl_add_u32 v11, v11, 2, v47
	ds_read_b32 v14, v11
	v_cndmask_b32_e64 v11, v17, v5, s20
	v_cndmask_b32_e64 v5, v8, v17, s20
	s_waitcnt lgkmcnt(0)
	v_cndmask_b32_e64 v22, v14, v19, s20
	v_cndmask_b32_e64 v24, v21, v14, s20
	v_cmpx_lt_u32_e64 v11, v51
	s_cbranch_execz .LBB987_41
; %bb.38:
	s_mov_b32 s22, 0
	s_mov_b32 s19, exec_lo
	v_cmpx_lt_u32_e64 v5, v26
	s_cbranch_execz .LBB987_40
; %bb.39:
	v_ashrrev_i32_e32 v23, 31, v22
	v_ashrrev_i32_e32 v25, 31, v24
	v_lshlrev_b64 v[52:53], 2, v[22:23]
	v_lshlrev_b64 v[54:55], 2, v[24:25]
	v_add_co_u32 v52, vcc_lo, s14, v52
	v_add_co_ci_u32_e64 v53, null, s15, v53, vcc_lo
	v_add_co_u32 v54, vcc_lo, s14, v54
	v_add_co_ci_u32_e64 v55, null, s15, v55, vcc_lo
	s_clause 0x1
	global_load_dword v8, v[52:53], off
	global_load_dword v14, v[54:55], off
	s_waitcnt vmcnt(0)
	v_cmp_ge_i32_e32 vcc_lo, v8, v14
	s_and_b32 s22, vcc_lo, exec_lo
.LBB987_40:
	s_or_b32 exec_lo, exec_lo, s19
	s_orn2_b32 s19, s22, exec_lo
.LBB987_41:
	s_or_b32 exec_lo, exec_lo, s21
	v_cndmask_b32_e64 v8, v11, v5, s19
	v_cndmask_b32_e64 v14, v51, v26, s19
	s_mov_b32 s21, exec_lo
	v_add_nc_u32_e32 v8, 1, v8
	v_add_nc_u32_e32 v14, -1, v14
	v_cndmask_b32_e64 v17, v8, v11, s19
	v_min_u32_e32 v14, v8, v14
	v_lshl_add_u32 v14, v14, 2, v47
	ds_read_b32 v14, v14
	s_waitcnt lgkmcnt(0)
	v_cndmask_b32_e64 v11, v24, v14, s19
	v_cmpx_lt_u32_e64 v17, v51
	s_cbranch_execz .LBB987_45
; %bb.42:
	v_cndmask_b32_e64 v5, v5, v8, s19
	v_cndmask_b32_e64 v25, v14, v22, s19
	s_mov_b32 s22, exec_lo
	v_cmpx_lt_u32_e64 v5, v26
	s_cbranch_execz .LBB987_44
; %bb.43:
	v_ashrrev_i32_e32 v26, 31, v25
	v_ashrrev_i32_e32 v52, 31, v11
	v_mov_b32_e32 v51, v11
	v_lshlrev_b64 v[53:54], 2, v[25:26]
	v_lshlrev_b64 v[51:52], 2, v[51:52]
	v_add_co_u32 v53, vcc_lo, s14, v53
	v_add_co_ci_u32_e64 v54, null, s15, v54, vcc_lo
	v_add_co_u32 v51, vcc_lo, s14, v51
	v_add_co_ci_u32_e64 v52, null, s15, v52, vcc_lo
	s_clause 0x1
	global_load_dword v5, v[53:54], off
	global_load_dword v8, v[51:52], off
	s_waitcnt vmcnt(0)
	v_cmp_lt_i32_e32 vcc_lo, v5, v8
	v_cndmask_b32_e32 v25, v11, v25, vcc_lo
.LBB987_44:
	s_or_b32 exec_lo, exec_lo, s22
	v_mov_b32_e32 v11, v25
.LBB987_45:
	s_or_b32 exec_lo, exec_lo, s21
	v_cndmask_b32_e64 v4, v6, v4, s2
	v_cndmask_b32_e64 v5, v7, v9, s3
	;; [unrolled: 1-line block ×7, first 2 shown]
.LBB987_46:
	s_or_b32 exec_lo, exec_lo, s1
	v_and_b32_e32 v14, 0xe0, v49
	v_and_b32_e32 v13, 24, v49
	s_mov_b32 s0, exec_lo
	; wave barrier
	v_or_b32_e32 v12, 16, v14
	v_min_u32_e32 v15, v48, v13
	ds_write_b128 v50, v[4:7]
	ds_write_b128 v50, v[8:11] offset:16
	; wave barrier
	v_min_u32_e32 v23, v48, v12
	v_add_nc_u32_e32 v12, 16, v23
	v_sub_nc_u32_e32 v13, v23, v14
	v_min_u32_e32 v24, v48, v12
	v_min_u32_e32 v16, v15, v13
	v_lshl_add_u32 v13, v14, 2, v47
	v_sub_nc_u32_e32 v12, v24, v23
	v_sub_nc_u32_e64 v12, v15, v12 clamp
	v_cmpx_lt_u32_e64 v12, v16
	s_cbranch_execz .LBB987_50
; %bb.47:
	v_lshlrev_b32_e32 v17, 2, v23
	v_lshlrev_b32_e32 v18, 2, v15
	s_mov_b32 s1, 0
	v_add3_u32 v17, v47, v17, v18
	s_inst_prefetch 0x1
	.p2align	6
.LBB987_48:                             ; =>This Inner Loop Header: Depth=1
	v_add_nc_u32_e32 v18, v16, v12
	v_lshrrev_b32_e32 v22, 1, v18
	v_not_b32_e32 v18, v22
	v_lshl_add_u32 v19, v22, 2, v13
	v_lshl_add_u32 v20, v18, 2, v17
	ds_read_b32 v18, v19
	ds_read_b32 v20, v20
	s_waitcnt lgkmcnt(1)
	v_ashrrev_i32_e32 v19, 31, v18
	s_waitcnt lgkmcnt(0)
	v_ashrrev_i32_e32 v21, 31, v20
	v_lshlrev_b64 v[18:19], 2, v[18:19]
	v_lshlrev_b64 v[20:21], 2, v[20:21]
	v_add_co_u32 v18, vcc_lo, s14, v18
	v_add_co_ci_u32_e64 v19, null, s15, v19, vcc_lo
	v_add_co_u32 v20, vcc_lo, s14, v20
	v_add_co_ci_u32_e64 v21, null, s15, v21, vcc_lo
	s_clause 0x1
	global_load_dword v20, v[20:21], off
	global_load_dword v18, v[18:19], off
	v_add_nc_u32_e32 v19, 1, v22
	s_waitcnt vmcnt(0)
	v_cmp_lt_i32_e32 vcc_lo, v20, v18
	v_cndmask_b32_e32 v16, v16, v22, vcc_lo
	v_cndmask_b32_e32 v12, v19, v12, vcc_lo
	v_cmp_ge_u32_e32 vcc_lo, v12, v16
	s_or_b32 s1, vcc_lo, s1
	s_andn2_b32 exec_lo, exec_lo, s1
	s_cbranch_execnz .LBB987_48
; %bb.49:
	s_inst_prefetch 0x2
	s_or_b32 exec_lo, exec_lo, s1
.LBB987_50:
	s_or_b32 exec_lo, exec_lo, s0
	v_add_nc_u32_e32 v15, v23, v15
	v_add_nc_u32_e32 v14, v12, v14
	v_sub_nc_u32_e32 v15, v15, v12
	v_cmp_le_u32_e32 vcc_lo, v14, v23
	v_cmp_le_u32_e64 s0, v15, v24
	s_or_b32 s0, vcc_lo, s0
	s_and_saveexec_b32 s1, s0
	s_cbranch_execz .LBB987_86
; %bb.51:
	s_mov_b32 s2, exec_lo
	v_cmp_ge_u32_e32 vcc_lo, v14, v23
                                        ; implicit-def: $vgpr4
	v_cmpx_lt_u32_e64 v14, v23
; %bb.52:
	v_lshl_add_u32 v4, v12, 2, v13
	ds_read_b32 v4, v4
; %bb.53:
	s_or_b32 exec_lo, exec_lo, s2
	v_cmp_ge_u32_e64 s2, v15, v24
	s_mov_b32 s3, exec_lo
                                        ; implicit-def: $vgpr10
	v_cmpx_lt_u32_e64 v15, v24
; %bb.54:
	v_lshl_add_u32 v5, v15, 2, v47
	ds_read_b32 v10, v5
; %bb.55:
	s_or_b32 exec_lo, exec_lo, s3
	s_nor_b32 s3, vcc_lo, s2
	s_and_saveexec_b32 s0, s3
	s_cbranch_execz .LBB987_57
; %bb.56:
	s_waitcnt lgkmcnt(0)
	v_ashrrev_i32_e32 v11, 31, v10
	v_ashrrev_i32_e32 v5, 31, v4
	s_andn2_b32 s2, s2, exec_lo
	v_lshlrev_b64 v[6:7], 2, v[10:11]
	v_lshlrev_b64 v[8:9], 2, v[4:5]
	v_add_co_u32 v5, vcc_lo, s14, v6
	v_add_co_ci_u32_e64 v6, null, s15, v7, vcc_lo
	v_add_co_u32 v7, vcc_lo, s14, v8
	v_add_co_ci_u32_e64 v8, null, s15, v9, vcc_lo
	s_clause 0x1
	global_load_dword v5, v[5:6], off
	global_load_dword v6, v[7:8], off
	s_waitcnt vmcnt(0)
	v_cmp_ge_i32_e32 vcc_lo, v5, v6
	s_and_b32 s3, vcc_lo, exec_lo
	s_or_b32 s2, s2, s3
.LBB987_57:
	s_or_b32 exec_lo, exec_lo, s0
	v_cndmask_b32_e64 v5, v15, v14, s2
	v_cndmask_b32_e64 v6, v24, v23, s2
	s_mov_b32 s3, -1
	s_mov_b32 s0, -1
	s_mov_b32 s4, exec_lo
	v_add_nc_u32_e32 v5, 1, v5
	v_add_nc_u32_e32 v6, -1, v6
	v_cndmask_b32_e64 v7, v5, v15, s2
	v_min_u32_e32 v6, v5, v6
	v_cndmask_b32_e64 v8, v14, v5, s2
	v_lshl_add_u32 v6, v6, 2, v47
	ds_read_b32 v6, v6
	s_waitcnt lgkmcnt(0)
	v_cndmask_b32_e64 v5, v6, v10, s2
	v_cndmask_b32_e64 v12, v4, v6, s2
	v_cmpx_lt_u32_e64 v7, v24
	s_cbranch_execz .LBB987_61
; %bb.58:
	s_mov_b32 s5, 0
	s_mov_b32 s0, exec_lo
	v_cmpx_lt_u32_e64 v8, v23
	s_cbranch_execz .LBB987_60
; %bb.59:
	v_ashrrev_i32_e32 v6, 31, v5
	v_ashrrev_i32_e32 v13, 31, v12
	v_lshlrev_b64 v[14:15], 2, v[5:6]
	v_lshlrev_b64 v[16:17], 2, v[12:13]
	v_add_co_u32 v13, vcc_lo, s14, v14
	v_add_co_ci_u32_e64 v14, null, s15, v15, vcc_lo
	v_add_co_u32 v15, vcc_lo, s14, v16
	v_add_co_ci_u32_e64 v16, null, s15, v17, vcc_lo
	s_clause 0x1
	global_load_dword v6, v[13:14], off
	global_load_dword v9, v[15:16], off
	s_waitcnt vmcnt(0)
	v_cmp_ge_i32_e32 vcc_lo, v6, v9
	s_and_b32 s5, vcc_lo, exec_lo
.LBB987_60:
	s_or_b32 exec_lo, exec_lo, s0
	s_orn2_b32 s0, s5, exec_lo
.LBB987_61:
	s_or_b32 exec_lo, exec_lo, s4
	v_cndmask_b32_e64 v6, v7, v8, s0
	v_cndmask_b32_e64 v9, v24, v23, s0
	s_mov_b32 s4, exec_lo
	v_add_nc_u32_e32 v6, 1, v6
	v_add_nc_u32_e32 v9, -1, v9
	v_cndmask_b32_e64 v8, v8, v6, s0
	v_min_u32_e32 v9, v6, v9
	v_lshl_add_u32 v9, v9, 2, v47
	ds_read_b32 v11, v9
	v_cndmask_b32_e64 v9, v6, v7, s0
	s_waitcnt lgkmcnt(0)
	v_cndmask_b32_e64 v6, v11, v5, s0
	v_cndmask_b32_e64 v13, v12, v11, s0
	v_cmpx_lt_u32_e64 v9, v24
	s_cbranch_execz .LBB987_65
; %bb.62:
	s_mov_b32 s5, 0
	s_mov_b32 s3, exec_lo
	v_cmpx_lt_u32_e64 v8, v23
	s_cbranch_execz .LBB987_64
; %bb.63:
	v_ashrrev_i32_e32 v7, 31, v6
	v_ashrrev_i32_e32 v14, 31, v13
	v_lshlrev_b64 v[15:16], 2, v[6:7]
	v_lshlrev_b64 v[17:18], 2, v[13:14]
	v_add_co_u32 v14, vcc_lo, s14, v15
	v_add_co_ci_u32_e64 v15, null, s15, v16, vcc_lo
	v_add_co_u32 v16, vcc_lo, s14, v17
	v_add_co_ci_u32_e64 v17, null, s15, v18, vcc_lo
	s_clause 0x1
	global_load_dword v7, v[14:15], off
	global_load_dword v11, v[16:17], off
	s_waitcnt vmcnt(0)
	v_cmp_ge_i32_e32 vcc_lo, v7, v11
	s_and_b32 s5, vcc_lo, exec_lo
.LBB987_64:
	s_or_b32 exec_lo, exec_lo, s3
	s_orn2_b32 s3, s5, exec_lo
.LBB987_65:
	s_or_b32 exec_lo, exec_lo, s4
	v_cndmask_b32_e64 v7, v9, v8, s3
	v_cndmask_b32_e64 v11, v24, v23, s3
	s_mov_b32 s5, -1
	s_mov_b32 s4, -1
	s_mov_b32 s19, exec_lo
	v_add_nc_u32_e32 v7, 1, v7
	v_add_nc_u32_e32 v11, -1, v11
	v_cndmask_b32_e64 v9, v7, v9, s3
	v_min_u32_e32 v11, v7, v11
	v_lshl_add_u32 v11, v11, 2, v47
	ds_read_b32 v14, v11
	v_cndmask_b32_e64 v11, v8, v7, s3
	s_waitcnt lgkmcnt(0)
	v_cndmask_b32_e64 v7, v14, v6, s3
	v_cndmask_b32_e64 v14, v13, v14, s3
	v_cmpx_lt_u32_e64 v9, v24
	s_cbranch_execz .LBB987_69
; %bb.66:
	s_mov_b32 s20, 0
	s_mov_b32 s4, exec_lo
	v_cmpx_lt_u32_e64 v11, v23
	s_cbranch_execz .LBB987_68
; %bb.67:
	v_ashrrev_i32_e32 v8, 31, v7
	v_ashrrev_i32_e32 v15, 31, v14
	v_lshlrev_b64 v[16:17], 2, v[7:8]
	v_lshlrev_b64 v[18:19], 2, v[14:15]
	v_add_co_u32 v15, vcc_lo, s14, v16
	v_add_co_ci_u32_e64 v16, null, s15, v17, vcc_lo
	v_add_co_u32 v17, vcc_lo, s14, v18
	v_add_co_ci_u32_e64 v18, null, s15, v19, vcc_lo
	s_clause 0x1
	global_load_dword v8, v[15:16], off
	global_load_dword v15, v[17:18], off
	s_waitcnt vmcnt(0)
	v_cmp_ge_i32_e32 vcc_lo, v8, v15
	s_and_b32 s20, vcc_lo, exec_lo
.LBB987_68:
	s_or_b32 exec_lo, exec_lo, s4
	s_orn2_b32 s4, s20, exec_lo
.LBB987_69:
	s_or_b32 exec_lo, exec_lo, s19
	v_cndmask_b32_e64 v8, v9, v11, s4
	v_cndmask_b32_e64 v15, v24, v23, s4
	s_mov_b32 s19, exec_lo
	v_add_nc_u32_e32 v8, 1, v8
	v_add_nc_u32_e32 v15, -1, v15
	v_cndmask_b32_e64 v17, v8, v9, s4
	v_min_u32_e32 v15, v8, v15
	v_cndmask_b32_e64 v11, v11, v8, s4
	v_lshl_add_u32 v15, v15, 2, v47
	ds_read_b32 v15, v15
	s_waitcnt lgkmcnt(0)
	v_cndmask_b32_e64 v8, v15, v7, s4
	v_cndmask_b32_e64 v15, v14, v15, s4
	v_cmpx_lt_u32_e64 v17, v24
	s_cbranch_execz .LBB987_73
; %bb.70:
	s_mov_b32 s20, 0
	s_mov_b32 s5, exec_lo
	v_cmpx_lt_u32_e64 v11, v23
	s_cbranch_execz .LBB987_72
; %bb.71:
	v_ashrrev_i32_e32 v9, 31, v8
	v_ashrrev_i32_e32 v16, 31, v15
	v_lshlrev_b64 v[18:19], 2, v[8:9]
	v_lshlrev_b64 v[20:21], 2, v[15:16]
	v_add_co_u32 v18, vcc_lo, s14, v18
	v_add_co_ci_u32_e64 v19, null, s15, v19, vcc_lo
	v_add_co_u32 v20, vcc_lo, s14, v20
	v_add_co_ci_u32_e64 v21, null, s15, v21, vcc_lo
	s_clause 0x1
	global_load_dword v9, v[18:19], off
	global_load_dword v16, v[20:21], off
	s_waitcnt vmcnt(0)
	v_cmp_ge_i32_e32 vcc_lo, v9, v16
	s_and_b32 s20, vcc_lo, exec_lo
.LBB987_72:
	s_or_b32 exec_lo, exec_lo, s5
	s_orn2_b32 s5, s20, exec_lo
.LBB987_73:
	s_or_b32 exec_lo, exec_lo, s19
	v_cndmask_b32_e64 v9, v17, v11, s5
	v_cndmask_b32_e64 v16, v24, v23, s5
	s_mov_b32 s19, -1
	s_mov_b32 s20, -1
	s_mov_b32 s21, exec_lo
	v_add_nc_u32_e32 v18, 1, v9
	v_add_nc_u32_e32 v9, -1, v16
	v_cndmask_b32_e64 v11, v11, v18, s5
	v_min_u32_e32 v9, v18, v9
	v_lshl_add_u32 v9, v9, 2, v47
	ds_read_b32 v19, v9
	v_cndmask_b32_e64 v9, v18, v17, s5
	s_waitcnt lgkmcnt(0)
	v_cndmask_b32_e64 v16, v19, v8, s5
	v_cndmask_b32_e64 v18, v15, v19, s5
	v_cmpx_lt_u32_e64 v9, v24
	s_cbranch_execz .LBB987_77
; %bb.74:
	s_mov_b32 s22, 0
	s_mov_b32 s20, exec_lo
	v_cmpx_lt_u32_e64 v11, v23
	s_cbranch_execz .LBB987_76
; %bb.75:
	v_ashrrev_i32_e32 v17, 31, v16
	v_ashrrev_i32_e32 v19, 31, v18
	v_lshlrev_b64 v[20:21], 2, v[16:17]
	v_lshlrev_b64 v[25:26], 2, v[18:19]
	v_add_co_u32 v19, vcc_lo, s14, v20
	v_add_co_ci_u32_e64 v20, null, s15, v21, vcc_lo
	v_add_co_u32 v21, vcc_lo, s14, v25
	v_add_co_ci_u32_e64 v22, null, s15, v26, vcc_lo
	s_clause 0x1
	global_load_dword v17, v[19:20], off
	global_load_dword v19, v[21:22], off
	s_waitcnt vmcnt(0)
	v_cmp_ge_i32_e32 vcc_lo, v17, v19
	s_and_b32 s22, vcc_lo, exec_lo
.LBB987_76:
	s_or_b32 exec_lo, exec_lo, s20
	s_orn2_b32 s20, s22, exec_lo
.LBB987_77:
	s_or_b32 exec_lo, exec_lo, s21
	v_cndmask_b32_e64 v17, v9, v11, s20
	v_cndmask_b32_e64 v19, v24, v23, s20
	s_mov_b32 s21, exec_lo
	v_add_nc_u32_e32 v20, 1, v17
	v_add_nc_u32_e32 v17, -1, v19
	v_min_u32_e32 v17, v20, v17
	v_lshl_add_u32 v17, v17, 2, v47
	ds_read_b32 v21, v17
	v_cndmask_b32_e64 v17, v20, v9, s20
	v_cndmask_b32_e64 v9, v11, v20, s20
	s_waitcnt lgkmcnt(0)
	v_cndmask_b32_e64 v19, v21, v16, s20
	v_cndmask_b32_e64 v21, v18, v21, s20
	v_cmpx_lt_u32_e64 v17, v24
	s_cbranch_execz .LBB987_81
; %bb.78:
	s_mov_b32 s22, 0
	s_mov_b32 s19, exec_lo
	v_cmpx_lt_u32_e64 v9, v23
	s_cbranch_execz .LBB987_80
; %bb.79:
	v_ashrrev_i32_e32 v20, 31, v19
	v_ashrrev_i32_e32 v22, 31, v21
	v_lshlrev_b64 v[25:26], 2, v[19:20]
	v_lshlrev_b64 v[51:52], 2, v[21:22]
	v_add_co_u32 v25, vcc_lo, s14, v25
	v_add_co_ci_u32_e64 v26, null, s15, v26, vcc_lo
	v_add_co_u32 v51, vcc_lo, s14, v51
	v_add_co_ci_u32_e64 v52, null, s15, v52, vcc_lo
	s_clause 0x1
	global_load_dword v11, v[25:26], off
	global_load_dword v20, v[51:52], off
	s_waitcnt vmcnt(0)
	v_cmp_ge_i32_e32 vcc_lo, v11, v20
	s_and_b32 s22, vcc_lo, exec_lo
.LBB987_80:
	s_or_b32 exec_lo, exec_lo, s19
	s_orn2_b32 s19, s22, exec_lo
.LBB987_81:
	s_or_b32 exec_lo, exec_lo, s21
	v_cndmask_b32_e64 v11, v17, v9, s19
	v_cndmask_b32_e64 v22, v24, v23, s19
	s_mov_b32 s21, exec_lo
	v_add_nc_u32_e32 v20, 1, v11
	v_add_nc_u32_e32 v11, -1, v22
	v_cndmask_b32_e64 v17, v20, v17, s19
	v_min_u32_e32 v11, v20, v11
	v_lshl_add_u32 v11, v11, 2, v47
	ds_read_b32 v22, v11
	s_waitcnt lgkmcnt(0)
	v_cndmask_b32_e64 v11, v21, v22, s19
	v_cmpx_lt_u32_e64 v17, v24
	s_cbranch_execz .LBB987_85
; %bb.82:
	v_cndmask_b32_e64 v9, v9, v20, s19
	v_cndmask_b32_e64 v22, v22, v19, s19
	s_mov_b32 s22, exec_lo
	v_cmpx_lt_u32_e64 v9, v23
	s_cbranch_execz .LBB987_84
; %bb.83:
	v_ashrrev_i32_e32 v23, 31, v22
	v_ashrrev_i32_e32 v25, 31, v11
	v_mov_b32_e32 v24, v11
	v_lshlrev_b64 v[51:52], 2, v[22:23]
	v_lshlrev_b64 v[23:24], 2, v[24:25]
	v_add_co_u32 v25, vcc_lo, s14, v51
	v_add_co_ci_u32_e64 v26, null, s15, v52, vcc_lo
	v_add_co_u32 v23, vcc_lo, s14, v23
	v_add_co_ci_u32_e64 v24, null, s15, v24, vcc_lo
	s_clause 0x1
	global_load_dword v9, v[25:26], off
	global_load_dword v17, v[23:24], off
	s_waitcnt vmcnt(0)
	v_cmp_lt_i32_e32 vcc_lo, v9, v17
	v_cndmask_b32_e32 v22, v11, v22, vcc_lo
.LBB987_84:
	s_or_b32 exec_lo, exec_lo, s22
	v_mov_b32_e32 v11, v22
.LBB987_85:
	s_or_b32 exec_lo, exec_lo, s21
	v_cndmask_b32_e64 v9, v16, v18, s20
	v_cndmask_b32_e64 v8, v8, v15, s5
	;; [unrolled: 1-line block ×7, first 2 shown]
.LBB987_86:
	s_or_b32 exec_lo, exec_lo, s1
	v_and_b32_e32 v14, 0xc0, v49
	v_and_b32_e32 v13, 56, v49
	s_mov_b32 s0, exec_lo
	; wave barrier
	v_or_b32_e32 v12, 32, v14
	v_min_u32_e32 v15, v48, v13
	ds_write_b128 v50, v[4:7]
	ds_write_b128 v50, v[8:11] offset:16
	; wave barrier
	v_min_u32_e32 v23, v48, v12
	v_add_nc_u32_e32 v12, 32, v23
	v_sub_nc_u32_e32 v13, v23, v14
	v_min_u32_e32 v24, v48, v12
	v_min_u32_e32 v16, v15, v13
	v_lshl_add_u32 v13, v14, 2, v47
	v_sub_nc_u32_e32 v12, v24, v23
	v_sub_nc_u32_e64 v12, v15, v12 clamp
	v_cmpx_lt_u32_e64 v12, v16
	s_cbranch_execz .LBB987_90
; %bb.87:
	v_lshlrev_b32_e32 v17, 2, v23
	v_lshlrev_b32_e32 v18, 2, v15
	s_mov_b32 s1, 0
	v_add3_u32 v17, v47, v17, v18
	s_inst_prefetch 0x1
	.p2align	6
.LBB987_88:                             ; =>This Inner Loop Header: Depth=1
	v_add_nc_u32_e32 v18, v16, v12
	v_lshrrev_b32_e32 v22, 1, v18
	v_not_b32_e32 v18, v22
	v_lshl_add_u32 v19, v22, 2, v13
	v_lshl_add_u32 v20, v18, 2, v17
	ds_read_b32 v18, v19
	ds_read_b32 v20, v20
	s_waitcnt lgkmcnt(1)
	v_ashrrev_i32_e32 v19, 31, v18
	s_waitcnt lgkmcnt(0)
	v_ashrrev_i32_e32 v21, 31, v20
	v_lshlrev_b64 v[18:19], 2, v[18:19]
	v_lshlrev_b64 v[20:21], 2, v[20:21]
	v_add_co_u32 v18, vcc_lo, s14, v18
	v_add_co_ci_u32_e64 v19, null, s15, v19, vcc_lo
	v_add_co_u32 v20, vcc_lo, s14, v20
	v_add_co_ci_u32_e64 v21, null, s15, v21, vcc_lo
	s_clause 0x1
	global_load_dword v20, v[20:21], off
	global_load_dword v18, v[18:19], off
	v_add_nc_u32_e32 v19, 1, v22
	s_waitcnt vmcnt(0)
	v_cmp_lt_i32_e32 vcc_lo, v20, v18
	v_cndmask_b32_e32 v16, v16, v22, vcc_lo
	v_cndmask_b32_e32 v12, v19, v12, vcc_lo
	v_cmp_ge_u32_e32 vcc_lo, v12, v16
	s_or_b32 s1, vcc_lo, s1
	s_andn2_b32 exec_lo, exec_lo, s1
	s_cbranch_execnz .LBB987_88
; %bb.89:
	s_inst_prefetch 0x2
	s_or_b32 exec_lo, exec_lo, s1
.LBB987_90:
	s_or_b32 exec_lo, exec_lo, s0
	v_add_nc_u32_e32 v15, v23, v15
	v_add_nc_u32_e32 v14, v12, v14
	v_sub_nc_u32_e32 v15, v15, v12
	v_cmp_le_u32_e32 vcc_lo, v14, v23
	v_cmp_le_u32_e64 s0, v15, v24
	s_or_b32 s0, vcc_lo, s0
	s_and_saveexec_b32 s1, s0
	s_cbranch_execz .LBB987_126
; %bb.91:
	s_mov_b32 s2, exec_lo
	v_cmp_ge_u32_e32 vcc_lo, v14, v23
                                        ; implicit-def: $vgpr4
	v_cmpx_lt_u32_e64 v14, v23
; %bb.92:
	v_lshl_add_u32 v4, v12, 2, v13
	ds_read_b32 v4, v4
; %bb.93:
	s_or_b32 exec_lo, exec_lo, s2
	v_cmp_ge_u32_e64 s2, v15, v24
	s_mov_b32 s3, exec_lo
                                        ; implicit-def: $vgpr10
	v_cmpx_lt_u32_e64 v15, v24
; %bb.94:
	v_lshl_add_u32 v5, v15, 2, v47
	ds_read_b32 v10, v5
; %bb.95:
	s_or_b32 exec_lo, exec_lo, s3
	s_nor_b32 s3, vcc_lo, s2
	s_and_saveexec_b32 s0, s3
	s_cbranch_execz .LBB987_97
; %bb.96:
	s_waitcnt lgkmcnt(0)
	v_ashrrev_i32_e32 v11, 31, v10
	v_ashrrev_i32_e32 v5, 31, v4
	s_andn2_b32 s2, s2, exec_lo
	v_lshlrev_b64 v[6:7], 2, v[10:11]
	v_lshlrev_b64 v[8:9], 2, v[4:5]
	v_add_co_u32 v5, vcc_lo, s14, v6
	v_add_co_ci_u32_e64 v6, null, s15, v7, vcc_lo
	v_add_co_u32 v7, vcc_lo, s14, v8
	v_add_co_ci_u32_e64 v8, null, s15, v9, vcc_lo
	s_clause 0x1
	global_load_dword v5, v[5:6], off
	global_load_dword v6, v[7:8], off
	s_waitcnt vmcnt(0)
	v_cmp_ge_i32_e32 vcc_lo, v5, v6
	s_and_b32 s3, vcc_lo, exec_lo
	s_or_b32 s2, s2, s3
.LBB987_97:
	s_or_b32 exec_lo, exec_lo, s0
	v_cndmask_b32_e64 v5, v15, v14, s2
	v_cndmask_b32_e64 v6, v24, v23, s2
	s_mov_b32 s3, -1
	s_mov_b32 s0, -1
	s_mov_b32 s4, exec_lo
	v_add_nc_u32_e32 v5, 1, v5
	v_add_nc_u32_e32 v6, -1, v6
	v_cndmask_b32_e64 v7, v5, v15, s2
	v_min_u32_e32 v6, v5, v6
	v_cndmask_b32_e64 v8, v14, v5, s2
	v_lshl_add_u32 v6, v6, 2, v47
	ds_read_b32 v6, v6
	s_waitcnt lgkmcnt(0)
	v_cndmask_b32_e64 v5, v6, v10, s2
	v_cndmask_b32_e64 v12, v4, v6, s2
	v_cmpx_lt_u32_e64 v7, v24
	s_cbranch_execz .LBB987_101
; %bb.98:
	s_mov_b32 s5, 0
	s_mov_b32 s0, exec_lo
	v_cmpx_lt_u32_e64 v8, v23
	s_cbranch_execz .LBB987_100
; %bb.99:
	v_ashrrev_i32_e32 v6, 31, v5
	v_ashrrev_i32_e32 v13, 31, v12
	v_lshlrev_b64 v[14:15], 2, v[5:6]
	v_lshlrev_b64 v[16:17], 2, v[12:13]
	v_add_co_u32 v13, vcc_lo, s14, v14
	v_add_co_ci_u32_e64 v14, null, s15, v15, vcc_lo
	v_add_co_u32 v15, vcc_lo, s14, v16
	v_add_co_ci_u32_e64 v16, null, s15, v17, vcc_lo
	s_clause 0x1
	global_load_dword v6, v[13:14], off
	global_load_dword v9, v[15:16], off
	s_waitcnt vmcnt(0)
	v_cmp_ge_i32_e32 vcc_lo, v6, v9
	s_and_b32 s5, vcc_lo, exec_lo
.LBB987_100:
	s_or_b32 exec_lo, exec_lo, s0
	s_orn2_b32 s0, s5, exec_lo
.LBB987_101:
	s_or_b32 exec_lo, exec_lo, s4
	v_cndmask_b32_e64 v6, v7, v8, s0
	v_cndmask_b32_e64 v9, v24, v23, s0
	s_mov_b32 s4, exec_lo
	v_add_nc_u32_e32 v6, 1, v6
	v_add_nc_u32_e32 v9, -1, v9
	v_cndmask_b32_e64 v8, v8, v6, s0
	v_min_u32_e32 v9, v6, v9
	v_lshl_add_u32 v9, v9, 2, v47
	ds_read_b32 v11, v9
	v_cndmask_b32_e64 v9, v6, v7, s0
	s_waitcnt lgkmcnt(0)
	v_cndmask_b32_e64 v6, v11, v5, s0
	v_cndmask_b32_e64 v13, v12, v11, s0
	v_cmpx_lt_u32_e64 v9, v24
	s_cbranch_execz .LBB987_105
; %bb.102:
	s_mov_b32 s5, 0
	s_mov_b32 s3, exec_lo
	v_cmpx_lt_u32_e64 v8, v23
	s_cbranch_execz .LBB987_104
; %bb.103:
	v_ashrrev_i32_e32 v7, 31, v6
	v_ashrrev_i32_e32 v14, 31, v13
	v_lshlrev_b64 v[15:16], 2, v[6:7]
	v_lshlrev_b64 v[17:18], 2, v[13:14]
	v_add_co_u32 v14, vcc_lo, s14, v15
	v_add_co_ci_u32_e64 v15, null, s15, v16, vcc_lo
	v_add_co_u32 v16, vcc_lo, s14, v17
	v_add_co_ci_u32_e64 v17, null, s15, v18, vcc_lo
	s_clause 0x1
	global_load_dword v7, v[14:15], off
	global_load_dword v11, v[16:17], off
	s_waitcnt vmcnt(0)
	v_cmp_ge_i32_e32 vcc_lo, v7, v11
	s_and_b32 s5, vcc_lo, exec_lo
.LBB987_104:
	s_or_b32 exec_lo, exec_lo, s3
	s_orn2_b32 s3, s5, exec_lo
.LBB987_105:
	s_or_b32 exec_lo, exec_lo, s4
	v_cndmask_b32_e64 v7, v9, v8, s3
	v_cndmask_b32_e64 v11, v24, v23, s3
	s_mov_b32 s5, -1
	s_mov_b32 s4, -1
	s_mov_b32 s19, exec_lo
	v_add_nc_u32_e32 v7, 1, v7
	v_add_nc_u32_e32 v11, -1, v11
	v_cndmask_b32_e64 v9, v7, v9, s3
	v_min_u32_e32 v11, v7, v11
	v_lshl_add_u32 v11, v11, 2, v47
	ds_read_b32 v14, v11
	v_cndmask_b32_e64 v11, v8, v7, s3
	s_waitcnt lgkmcnt(0)
	v_cndmask_b32_e64 v7, v14, v6, s3
	v_cndmask_b32_e64 v14, v13, v14, s3
	v_cmpx_lt_u32_e64 v9, v24
	s_cbranch_execz .LBB987_109
; %bb.106:
	s_mov_b32 s20, 0
	s_mov_b32 s4, exec_lo
	v_cmpx_lt_u32_e64 v11, v23
	s_cbranch_execz .LBB987_108
; %bb.107:
	v_ashrrev_i32_e32 v8, 31, v7
	v_ashrrev_i32_e32 v15, 31, v14
	v_lshlrev_b64 v[16:17], 2, v[7:8]
	v_lshlrev_b64 v[18:19], 2, v[14:15]
	v_add_co_u32 v15, vcc_lo, s14, v16
	v_add_co_ci_u32_e64 v16, null, s15, v17, vcc_lo
	v_add_co_u32 v17, vcc_lo, s14, v18
	v_add_co_ci_u32_e64 v18, null, s15, v19, vcc_lo
	s_clause 0x1
	global_load_dword v8, v[15:16], off
	global_load_dword v15, v[17:18], off
	s_waitcnt vmcnt(0)
	v_cmp_ge_i32_e32 vcc_lo, v8, v15
	s_and_b32 s20, vcc_lo, exec_lo
.LBB987_108:
	s_or_b32 exec_lo, exec_lo, s4
	s_orn2_b32 s4, s20, exec_lo
.LBB987_109:
	s_or_b32 exec_lo, exec_lo, s19
	v_cndmask_b32_e64 v8, v9, v11, s4
	v_cndmask_b32_e64 v15, v24, v23, s4
	s_mov_b32 s19, exec_lo
	v_add_nc_u32_e32 v8, 1, v8
	v_add_nc_u32_e32 v15, -1, v15
	v_cndmask_b32_e64 v17, v8, v9, s4
	v_min_u32_e32 v15, v8, v15
	v_cndmask_b32_e64 v11, v11, v8, s4
	v_lshl_add_u32 v15, v15, 2, v47
	ds_read_b32 v15, v15
	s_waitcnt lgkmcnt(0)
	v_cndmask_b32_e64 v8, v15, v7, s4
	v_cndmask_b32_e64 v15, v14, v15, s4
	v_cmpx_lt_u32_e64 v17, v24
	s_cbranch_execz .LBB987_113
; %bb.110:
	s_mov_b32 s20, 0
	s_mov_b32 s5, exec_lo
	v_cmpx_lt_u32_e64 v11, v23
	s_cbranch_execz .LBB987_112
; %bb.111:
	v_ashrrev_i32_e32 v9, 31, v8
	v_ashrrev_i32_e32 v16, 31, v15
	v_lshlrev_b64 v[18:19], 2, v[8:9]
	v_lshlrev_b64 v[20:21], 2, v[15:16]
	v_add_co_u32 v18, vcc_lo, s14, v18
	v_add_co_ci_u32_e64 v19, null, s15, v19, vcc_lo
	v_add_co_u32 v20, vcc_lo, s14, v20
	v_add_co_ci_u32_e64 v21, null, s15, v21, vcc_lo
	s_clause 0x1
	global_load_dword v9, v[18:19], off
	global_load_dword v16, v[20:21], off
	s_waitcnt vmcnt(0)
	v_cmp_ge_i32_e32 vcc_lo, v9, v16
	s_and_b32 s20, vcc_lo, exec_lo
.LBB987_112:
	s_or_b32 exec_lo, exec_lo, s5
	s_orn2_b32 s5, s20, exec_lo
.LBB987_113:
	s_or_b32 exec_lo, exec_lo, s19
	v_cndmask_b32_e64 v9, v17, v11, s5
	v_cndmask_b32_e64 v16, v24, v23, s5
	s_mov_b32 s19, -1
	s_mov_b32 s20, -1
	s_mov_b32 s21, exec_lo
	v_add_nc_u32_e32 v18, 1, v9
	v_add_nc_u32_e32 v9, -1, v16
	v_cndmask_b32_e64 v11, v11, v18, s5
	v_min_u32_e32 v9, v18, v9
	v_lshl_add_u32 v9, v9, 2, v47
	ds_read_b32 v19, v9
	v_cndmask_b32_e64 v9, v18, v17, s5
	s_waitcnt lgkmcnt(0)
	v_cndmask_b32_e64 v16, v19, v8, s5
	v_cndmask_b32_e64 v18, v15, v19, s5
	v_cmpx_lt_u32_e64 v9, v24
	s_cbranch_execz .LBB987_117
; %bb.114:
	s_mov_b32 s22, 0
	s_mov_b32 s20, exec_lo
	v_cmpx_lt_u32_e64 v11, v23
	s_cbranch_execz .LBB987_116
; %bb.115:
	v_ashrrev_i32_e32 v17, 31, v16
	v_ashrrev_i32_e32 v19, 31, v18
	v_lshlrev_b64 v[20:21], 2, v[16:17]
	v_lshlrev_b64 v[25:26], 2, v[18:19]
	v_add_co_u32 v19, vcc_lo, s14, v20
	v_add_co_ci_u32_e64 v20, null, s15, v21, vcc_lo
	v_add_co_u32 v21, vcc_lo, s14, v25
	v_add_co_ci_u32_e64 v22, null, s15, v26, vcc_lo
	s_clause 0x1
	global_load_dword v17, v[19:20], off
	global_load_dword v19, v[21:22], off
	s_waitcnt vmcnt(0)
	v_cmp_ge_i32_e32 vcc_lo, v17, v19
	s_and_b32 s22, vcc_lo, exec_lo
.LBB987_116:
	s_or_b32 exec_lo, exec_lo, s20
	s_orn2_b32 s20, s22, exec_lo
.LBB987_117:
	s_or_b32 exec_lo, exec_lo, s21
	v_cndmask_b32_e64 v17, v9, v11, s20
	v_cndmask_b32_e64 v19, v24, v23, s20
	s_mov_b32 s21, exec_lo
	v_add_nc_u32_e32 v20, 1, v17
	v_add_nc_u32_e32 v17, -1, v19
	v_min_u32_e32 v17, v20, v17
	v_lshl_add_u32 v17, v17, 2, v47
	ds_read_b32 v21, v17
	v_cndmask_b32_e64 v17, v20, v9, s20
	v_cndmask_b32_e64 v9, v11, v20, s20
	s_waitcnt lgkmcnt(0)
	v_cndmask_b32_e64 v19, v21, v16, s20
	v_cndmask_b32_e64 v21, v18, v21, s20
	v_cmpx_lt_u32_e64 v17, v24
	s_cbranch_execz .LBB987_121
; %bb.118:
	s_mov_b32 s22, 0
	s_mov_b32 s19, exec_lo
	v_cmpx_lt_u32_e64 v9, v23
	s_cbranch_execz .LBB987_120
; %bb.119:
	v_ashrrev_i32_e32 v20, 31, v19
	v_ashrrev_i32_e32 v22, 31, v21
	v_lshlrev_b64 v[25:26], 2, v[19:20]
	v_lshlrev_b64 v[51:52], 2, v[21:22]
	v_add_co_u32 v25, vcc_lo, s14, v25
	v_add_co_ci_u32_e64 v26, null, s15, v26, vcc_lo
	v_add_co_u32 v51, vcc_lo, s14, v51
	v_add_co_ci_u32_e64 v52, null, s15, v52, vcc_lo
	s_clause 0x1
	global_load_dword v11, v[25:26], off
	global_load_dword v20, v[51:52], off
	s_waitcnt vmcnt(0)
	v_cmp_ge_i32_e32 vcc_lo, v11, v20
	s_and_b32 s22, vcc_lo, exec_lo
.LBB987_120:
	s_or_b32 exec_lo, exec_lo, s19
	s_orn2_b32 s19, s22, exec_lo
.LBB987_121:
	s_or_b32 exec_lo, exec_lo, s21
	v_cndmask_b32_e64 v11, v17, v9, s19
	v_cndmask_b32_e64 v22, v24, v23, s19
	s_mov_b32 s21, exec_lo
	v_add_nc_u32_e32 v20, 1, v11
	v_add_nc_u32_e32 v11, -1, v22
	v_cndmask_b32_e64 v17, v20, v17, s19
	v_min_u32_e32 v11, v20, v11
	v_lshl_add_u32 v11, v11, 2, v47
	ds_read_b32 v22, v11
	s_waitcnt lgkmcnt(0)
	v_cndmask_b32_e64 v11, v21, v22, s19
	v_cmpx_lt_u32_e64 v17, v24
	s_cbranch_execz .LBB987_125
; %bb.122:
	v_cndmask_b32_e64 v9, v9, v20, s19
	v_cndmask_b32_e64 v22, v22, v19, s19
	s_mov_b32 s22, exec_lo
	v_cmpx_lt_u32_e64 v9, v23
	s_cbranch_execz .LBB987_124
; %bb.123:
	v_ashrrev_i32_e32 v23, 31, v22
	v_ashrrev_i32_e32 v25, 31, v11
	v_mov_b32_e32 v24, v11
	v_lshlrev_b64 v[51:52], 2, v[22:23]
	v_lshlrev_b64 v[23:24], 2, v[24:25]
	v_add_co_u32 v25, vcc_lo, s14, v51
	v_add_co_ci_u32_e64 v26, null, s15, v52, vcc_lo
	v_add_co_u32 v23, vcc_lo, s14, v23
	v_add_co_ci_u32_e64 v24, null, s15, v24, vcc_lo
	s_clause 0x1
	global_load_dword v9, v[25:26], off
	global_load_dword v17, v[23:24], off
	s_waitcnt vmcnt(0)
	v_cmp_lt_i32_e32 vcc_lo, v9, v17
	v_cndmask_b32_e32 v22, v11, v22, vcc_lo
.LBB987_124:
	s_or_b32 exec_lo, exec_lo, s22
	v_mov_b32_e32 v11, v22
.LBB987_125:
	s_or_b32 exec_lo, exec_lo, s21
	v_cndmask_b32_e64 v9, v16, v18, s20
	v_cndmask_b32_e64 v8, v8, v15, s5
	;; [unrolled: 1-line block ×7, first 2 shown]
.LBB987_126:
	s_or_b32 exec_lo, exec_lo, s1
	v_and_b32_e32 v14, 0x80, v49
	v_and_b32_e32 v13, 0x78, v49
	s_mov_b32 s0, exec_lo
	; wave barrier
	v_or_b32_e32 v12, 64, v14
	v_min_u32_e32 v15, v48, v13
	ds_write_b128 v50, v[4:7]
	ds_write_b128 v50, v[8:11] offset:16
	; wave barrier
	v_min_u32_e32 v23, v48, v12
	v_add_nc_u32_e32 v12, 64, v23
	v_sub_nc_u32_e32 v13, v23, v14
	v_min_u32_e32 v24, v48, v12
	v_min_u32_e32 v16, v15, v13
	v_lshl_add_u32 v13, v14, 2, v47
	v_sub_nc_u32_e32 v12, v24, v23
	v_sub_nc_u32_e64 v12, v15, v12 clamp
	v_cmpx_lt_u32_e64 v12, v16
	s_cbranch_execz .LBB987_130
; %bb.127:
	v_lshlrev_b32_e32 v17, 2, v23
	v_lshlrev_b32_e32 v18, 2, v15
	s_mov_b32 s1, 0
	v_add3_u32 v17, v47, v17, v18
	s_inst_prefetch 0x1
	.p2align	6
.LBB987_128:                            ; =>This Inner Loop Header: Depth=1
	v_add_nc_u32_e32 v18, v16, v12
	v_lshrrev_b32_e32 v22, 1, v18
	v_not_b32_e32 v18, v22
	v_lshl_add_u32 v19, v22, 2, v13
	v_lshl_add_u32 v20, v18, 2, v17
	ds_read_b32 v18, v19
	ds_read_b32 v20, v20
	s_waitcnt lgkmcnt(1)
	v_ashrrev_i32_e32 v19, 31, v18
	s_waitcnt lgkmcnt(0)
	v_ashrrev_i32_e32 v21, 31, v20
	v_lshlrev_b64 v[18:19], 2, v[18:19]
	v_lshlrev_b64 v[20:21], 2, v[20:21]
	v_add_co_u32 v18, vcc_lo, s14, v18
	v_add_co_ci_u32_e64 v19, null, s15, v19, vcc_lo
	v_add_co_u32 v20, vcc_lo, s14, v20
	v_add_co_ci_u32_e64 v21, null, s15, v21, vcc_lo
	s_clause 0x1
	global_load_dword v20, v[20:21], off
	global_load_dword v18, v[18:19], off
	v_add_nc_u32_e32 v19, 1, v22
	s_waitcnt vmcnt(0)
	v_cmp_lt_i32_e32 vcc_lo, v20, v18
	v_cndmask_b32_e32 v16, v16, v22, vcc_lo
	v_cndmask_b32_e32 v12, v19, v12, vcc_lo
	v_cmp_ge_u32_e32 vcc_lo, v12, v16
	s_or_b32 s1, vcc_lo, s1
	s_andn2_b32 exec_lo, exec_lo, s1
	s_cbranch_execnz .LBB987_128
; %bb.129:
	s_inst_prefetch 0x2
	s_or_b32 exec_lo, exec_lo, s1
.LBB987_130:
	s_or_b32 exec_lo, exec_lo, s0
	v_add_nc_u32_e32 v15, v23, v15
	v_add_nc_u32_e32 v14, v12, v14
	v_sub_nc_u32_e32 v15, v15, v12
	v_cmp_le_u32_e32 vcc_lo, v14, v23
	v_cmp_le_u32_e64 s0, v15, v24
	s_or_b32 s0, vcc_lo, s0
	s_and_saveexec_b32 s1, s0
	s_cbranch_execz .LBB987_166
; %bb.131:
	s_mov_b32 s2, exec_lo
	v_cmp_ge_u32_e32 vcc_lo, v14, v23
                                        ; implicit-def: $vgpr4
	v_cmpx_lt_u32_e64 v14, v23
; %bb.132:
	v_lshl_add_u32 v4, v12, 2, v13
	ds_read_b32 v4, v4
; %bb.133:
	s_or_b32 exec_lo, exec_lo, s2
	v_cmp_ge_u32_e64 s2, v15, v24
	s_mov_b32 s3, exec_lo
                                        ; implicit-def: $vgpr10
	v_cmpx_lt_u32_e64 v15, v24
; %bb.134:
	v_lshl_add_u32 v5, v15, 2, v47
	ds_read_b32 v10, v5
; %bb.135:
	s_or_b32 exec_lo, exec_lo, s3
	s_nor_b32 s3, vcc_lo, s2
	s_and_saveexec_b32 s0, s3
	s_cbranch_execz .LBB987_137
; %bb.136:
	s_waitcnt lgkmcnt(0)
	v_ashrrev_i32_e32 v11, 31, v10
	v_ashrrev_i32_e32 v5, 31, v4
	s_andn2_b32 s2, s2, exec_lo
	v_lshlrev_b64 v[6:7], 2, v[10:11]
	v_lshlrev_b64 v[8:9], 2, v[4:5]
	v_add_co_u32 v5, vcc_lo, s14, v6
	v_add_co_ci_u32_e64 v6, null, s15, v7, vcc_lo
	v_add_co_u32 v7, vcc_lo, s14, v8
	v_add_co_ci_u32_e64 v8, null, s15, v9, vcc_lo
	s_clause 0x1
	global_load_dword v5, v[5:6], off
	global_load_dword v6, v[7:8], off
	s_waitcnt vmcnt(0)
	v_cmp_ge_i32_e32 vcc_lo, v5, v6
	s_and_b32 s3, vcc_lo, exec_lo
	s_or_b32 s2, s2, s3
.LBB987_137:
	s_or_b32 exec_lo, exec_lo, s0
	v_cndmask_b32_e64 v5, v15, v14, s2
	v_cndmask_b32_e64 v6, v24, v23, s2
	s_mov_b32 s3, -1
	s_mov_b32 s0, -1
	s_mov_b32 s4, exec_lo
	v_add_nc_u32_e32 v5, 1, v5
	v_add_nc_u32_e32 v6, -1, v6
	v_cndmask_b32_e64 v7, v5, v15, s2
	v_min_u32_e32 v6, v5, v6
	v_cndmask_b32_e64 v8, v14, v5, s2
	v_lshl_add_u32 v6, v6, 2, v47
	ds_read_b32 v6, v6
	s_waitcnt lgkmcnt(0)
	v_cndmask_b32_e64 v5, v6, v10, s2
	v_cndmask_b32_e64 v12, v4, v6, s2
	v_cmpx_lt_u32_e64 v7, v24
	s_cbranch_execz .LBB987_141
; %bb.138:
	s_mov_b32 s5, 0
	s_mov_b32 s0, exec_lo
	v_cmpx_lt_u32_e64 v8, v23
	s_cbranch_execz .LBB987_140
; %bb.139:
	v_ashrrev_i32_e32 v6, 31, v5
	v_ashrrev_i32_e32 v13, 31, v12
	v_lshlrev_b64 v[14:15], 2, v[5:6]
	v_lshlrev_b64 v[16:17], 2, v[12:13]
	v_add_co_u32 v13, vcc_lo, s14, v14
	v_add_co_ci_u32_e64 v14, null, s15, v15, vcc_lo
	v_add_co_u32 v15, vcc_lo, s14, v16
	v_add_co_ci_u32_e64 v16, null, s15, v17, vcc_lo
	s_clause 0x1
	global_load_dword v6, v[13:14], off
	global_load_dword v9, v[15:16], off
	s_waitcnt vmcnt(0)
	v_cmp_ge_i32_e32 vcc_lo, v6, v9
	s_and_b32 s5, vcc_lo, exec_lo
.LBB987_140:
	s_or_b32 exec_lo, exec_lo, s0
	s_orn2_b32 s0, s5, exec_lo
.LBB987_141:
	s_or_b32 exec_lo, exec_lo, s4
	v_cndmask_b32_e64 v6, v7, v8, s0
	v_cndmask_b32_e64 v9, v24, v23, s0
	s_mov_b32 s4, exec_lo
	v_add_nc_u32_e32 v6, 1, v6
	v_add_nc_u32_e32 v9, -1, v9
	v_cndmask_b32_e64 v8, v8, v6, s0
	v_min_u32_e32 v9, v6, v9
	v_lshl_add_u32 v9, v9, 2, v47
	ds_read_b32 v11, v9
	v_cndmask_b32_e64 v9, v6, v7, s0
	s_waitcnt lgkmcnt(0)
	v_cndmask_b32_e64 v6, v11, v5, s0
	v_cndmask_b32_e64 v13, v12, v11, s0
	v_cmpx_lt_u32_e64 v9, v24
	s_cbranch_execz .LBB987_145
; %bb.142:
	s_mov_b32 s5, 0
	s_mov_b32 s3, exec_lo
	v_cmpx_lt_u32_e64 v8, v23
	s_cbranch_execz .LBB987_144
; %bb.143:
	v_ashrrev_i32_e32 v7, 31, v6
	v_ashrrev_i32_e32 v14, 31, v13
	v_lshlrev_b64 v[15:16], 2, v[6:7]
	v_lshlrev_b64 v[17:18], 2, v[13:14]
	v_add_co_u32 v14, vcc_lo, s14, v15
	v_add_co_ci_u32_e64 v15, null, s15, v16, vcc_lo
	v_add_co_u32 v16, vcc_lo, s14, v17
	v_add_co_ci_u32_e64 v17, null, s15, v18, vcc_lo
	s_clause 0x1
	global_load_dword v7, v[14:15], off
	global_load_dword v11, v[16:17], off
	s_waitcnt vmcnt(0)
	v_cmp_ge_i32_e32 vcc_lo, v7, v11
	s_and_b32 s5, vcc_lo, exec_lo
.LBB987_144:
	s_or_b32 exec_lo, exec_lo, s3
	s_orn2_b32 s3, s5, exec_lo
.LBB987_145:
	s_or_b32 exec_lo, exec_lo, s4
	v_cndmask_b32_e64 v7, v9, v8, s3
	v_cndmask_b32_e64 v11, v24, v23, s3
	s_mov_b32 s5, -1
	s_mov_b32 s4, -1
	s_mov_b32 s19, exec_lo
	v_add_nc_u32_e32 v7, 1, v7
	v_add_nc_u32_e32 v11, -1, v11
	v_cndmask_b32_e64 v9, v7, v9, s3
	v_min_u32_e32 v11, v7, v11
	v_lshl_add_u32 v11, v11, 2, v47
	ds_read_b32 v14, v11
	v_cndmask_b32_e64 v11, v8, v7, s3
	s_waitcnt lgkmcnt(0)
	v_cndmask_b32_e64 v7, v14, v6, s3
	v_cndmask_b32_e64 v14, v13, v14, s3
	v_cmpx_lt_u32_e64 v9, v24
	s_cbranch_execz .LBB987_149
; %bb.146:
	s_mov_b32 s20, 0
	s_mov_b32 s4, exec_lo
	v_cmpx_lt_u32_e64 v11, v23
	s_cbranch_execz .LBB987_148
; %bb.147:
	v_ashrrev_i32_e32 v8, 31, v7
	v_ashrrev_i32_e32 v15, 31, v14
	v_lshlrev_b64 v[16:17], 2, v[7:8]
	v_lshlrev_b64 v[18:19], 2, v[14:15]
	v_add_co_u32 v15, vcc_lo, s14, v16
	v_add_co_ci_u32_e64 v16, null, s15, v17, vcc_lo
	v_add_co_u32 v17, vcc_lo, s14, v18
	v_add_co_ci_u32_e64 v18, null, s15, v19, vcc_lo
	s_clause 0x1
	global_load_dword v8, v[15:16], off
	global_load_dword v15, v[17:18], off
	s_waitcnt vmcnt(0)
	v_cmp_ge_i32_e32 vcc_lo, v8, v15
	s_and_b32 s20, vcc_lo, exec_lo
.LBB987_148:
	s_or_b32 exec_lo, exec_lo, s4
	s_orn2_b32 s4, s20, exec_lo
.LBB987_149:
	s_or_b32 exec_lo, exec_lo, s19
	v_cndmask_b32_e64 v8, v9, v11, s4
	v_cndmask_b32_e64 v15, v24, v23, s4
	s_mov_b32 s19, exec_lo
	v_add_nc_u32_e32 v8, 1, v8
	v_add_nc_u32_e32 v15, -1, v15
	v_cndmask_b32_e64 v17, v8, v9, s4
	v_min_u32_e32 v15, v8, v15
	v_cndmask_b32_e64 v11, v11, v8, s4
	v_lshl_add_u32 v15, v15, 2, v47
	ds_read_b32 v15, v15
	s_waitcnt lgkmcnt(0)
	v_cndmask_b32_e64 v8, v15, v7, s4
	v_cndmask_b32_e64 v15, v14, v15, s4
	v_cmpx_lt_u32_e64 v17, v24
	s_cbranch_execz .LBB987_153
; %bb.150:
	s_mov_b32 s20, 0
	s_mov_b32 s5, exec_lo
	v_cmpx_lt_u32_e64 v11, v23
	s_cbranch_execz .LBB987_152
; %bb.151:
	v_ashrrev_i32_e32 v9, 31, v8
	v_ashrrev_i32_e32 v16, 31, v15
	v_lshlrev_b64 v[18:19], 2, v[8:9]
	v_lshlrev_b64 v[20:21], 2, v[15:16]
	v_add_co_u32 v18, vcc_lo, s14, v18
	v_add_co_ci_u32_e64 v19, null, s15, v19, vcc_lo
	v_add_co_u32 v20, vcc_lo, s14, v20
	v_add_co_ci_u32_e64 v21, null, s15, v21, vcc_lo
	s_clause 0x1
	global_load_dword v9, v[18:19], off
	global_load_dword v16, v[20:21], off
	s_waitcnt vmcnt(0)
	v_cmp_ge_i32_e32 vcc_lo, v9, v16
	s_and_b32 s20, vcc_lo, exec_lo
.LBB987_152:
	s_or_b32 exec_lo, exec_lo, s5
	s_orn2_b32 s5, s20, exec_lo
.LBB987_153:
	s_or_b32 exec_lo, exec_lo, s19
	v_cndmask_b32_e64 v9, v17, v11, s5
	v_cndmask_b32_e64 v16, v24, v23, s5
	s_mov_b32 s19, -1
	s_mov_b32 s20, -1
	s_mov_b32 s21, exec_lo
	v_add_nc_u32_e32 v18, 1, v9
	v_add_nc_u32_e32 v9, -1, v16
	v_cndmask_b32_e64 v11, v11, v18, s5
	v_min_u32_e32 v9, v18, v9
	v_lshl_add_u32 v9, v9, 2, v47
	ds_read_b32 v19, v9
	v_cndmask_b32_e64 v9, v18, v17, s5
	s_waitcnt lgkmcnt(0)
	v_cndmask_b32_e64 v16, v19, v8, s5
	v_cndmask_b32_e64 v18, v15, v19, s5
	v_cmpx_lt_u32_e64 v9, v24
	s_cbranch_execz .LBB987_157
; %bb.154:
	s_mov_b32 s22, 0
	s_mov_b32 s20, exec_lo
	v_cmpx_lt_u32_e64 v11, v23
	s_cbranch_execz .LBB987_156
; %bb.155:
	v_ashrrev_i32_e32 v17, 31, v16
	v_ashrrev_i32_e32 v19, 31, v18
	v_lshlrev_b64 v[20:21], 2, v[16:17]
	v_lshlrev_b64 v[25:26], 2, v[18:19]
	v_add_co_u32 v19, vcc_lo, s14, v20
	v_add_co_ci_u32_e64 v20, null, s15, v21, vcc_lo
	v_add_co_u32 v21, vcc_lo, s14, v25
	v_add_co_ci_u32_e64 v22, null, s15, v26, vcc_lo
	s_clause 0x1
	global_load_dword v17, v[19:20], off
	global_load_dword v19, v[21:22], off
	s_waitcnt vmcnt(0)
	v_cmp_ge_i32_e32 vcc_lo, v17, v19
	s_and_b32 s22, vcc_lo, exec_lo
.LBB987_156:
	s_or_b32 exec_lo, exec_lo, s20
	s_orn2_b32 s20, s22, exec_lo
.LBB987_157:
	s_or_b32 exec_lo, exec_lo, s21
	v_cndmask_b32_e64 v17, v9, v11, s20
	v_cndmask_b32_e64 v19, v24, v23, s20
	s_mov_b32 s21, exec_lo
	v_add_nc_u32_e32 v20, 1, v17
	v_add_nc_u32_e32 v17, -1, v19
	v_min_u32_e32 v17, v20, v17
	v_lshl_add_u32 v17, v17, 2, v47
	ds_read_b32 v21, v17
	v_cndmask_b32_e64 v17, v20, v9, s20
	v_cndmask_b32_e64 v9, v11, v20, s20
	s_waitcnt lgkmcnt(0)
	v_cndmask_b32_e64 v19, v21, v16, s20
	v_cndmask_b32_e64 v21, v18, v21, s20
	v_cmpx_lt_u32_e64 v17, v24
	s_cbranch_execz .LBB987_161
; %bb.158:
	s_mov_b32 s22, 0
	s_mov_b32 s19, exec_lo
	v_cmpx_lt_u32_e64 v9, v23
	s_cbranch_execz .LBB987_160
; %bb.159:
	v_ashrrev_i32_e32 v20, 31, v19
	v_ashrrev_i32_e32 v22, 31, v21
	v_lshlrev_b64 v[25:26], 2, v[19:20]
	v_lshlrev_b64 v[48:49], 2, v[21:22]
	v_add_co_u32 v25, vcc_lo, s14, v25
	v_add_co_ci_u32_e64 v26, null, s15, v26, vcc_lo
	v_add_co_u32 v48, vcc_lo, s14, v48
	v_add_co_ci_u32_e64 v49, null, s15, v49, vcc_lo
	s_clause 0x1
	global_load_dword v11, v[25:26], off
	global_load_dword v20, v[48:49], off
	s_waitcnt vmcnt(0)
	v_cmp_ge_i32_e32 vcc_lo, v11, v20
	s_and_b32 s22, vcc_lo, exec_lo
.LBB987_160:
	s_or_b32 exec_lo, exec_lo, s19
	s_orn2_b32 s19, s22, exec_lo
.LBB987_161:
	s_or_b32 exec_lo, exec_lo, s21
	v_cndmask_b32_e64 v11, v17, v9, s19
	v_cndmask_b32_e64 v22, v24, v23, s19
	s_mov_b32 s21, exec_lo
	v_add_nc_u32_e32 v20, 1, v11
	v_add_nc_u32_e32 v11, -1, v22
	v_cndmask_b32_e64 v17, v20, v17, s19
	v_min_u32_e32 v11, v20, v11
	v_lshl_add_u32 v11, v11, 2, v47
	ds_read_b32 v22, v11
	s_waitcnt lgkmcnt(0)
	v_cndmask_b32_e64 v11, v21, v22, s19
	v_cmpx_lt_u32_e64 v17, v24
	s_cbranch_execz .LBB987_165
; %bb.162:
	v_cndmask_b32_e64 v9, v9, v20, s19
	v_cndmask_b32_e64 v22, v22, v19, s19
	s_mov_b32 s22, exec_lo
	v_cmpx_lt_u32_e64 v9, v23
	s_cbranch_execz .LBB987_164
; %bb.163:
	v_ashrrev_i32_e32 v23, 31, v22
	v_ashrrev_i32_e32 v25, 31, v11
	v_mov_b32_e32 v24, v11
	v_lshlrev_b64 v[47:48], 2, v[22:23]
	v_lshlrev_b64 v[23:24], 2, v[24:25]
	v_add_co_u32 v25, vcc_lo, s14, v47
	v_add_co_ci_u32_e64 v26, null, s15, v48, vcc_lo
	v_add_co_u32 v23, vcc_lo, s14, v23
	v_add_co_ci_u32_e64 v24, null, s15, v24, vcc_lo
	s_clause 0x1
	global_load_dword v9, v[25:26], off
	global_load_dword v17, v[23:24], off
	s_waitcnt vmcnt(0)
	v_cmp_lt_i32_e32 vcc_lo, v9, v17
	v_cndmask_b32_e32 v22, v11, v22, vcc_lo
.LBB987_164:
	s_or_b32 exec_lo, exec_lo, s22
	v_mov_b32_e32 v11, v22
.LBB987_165:
	s_or_b32 exec_lo, exec_lo, s21
	v_cndmask_b32_e64 v9, v16, v18, s20
	v_cndmask_b32_e64 v8, v8, v15, s5
	;; [unrolled: 1-line block ×7, first 2 shown]
.LBB987_166:
	s_or_b32 exec_lo, exec_lo, s1
	v_and_b32_e32 v14, 0x700, v46
	v_and_b32_e32 v15, 0xf8, v46
	v_lshlrev_b32_e32 v24, 2, v46
	s_mov_b32 s0, exec_lo
	v_or_b32_e32 v23, 0x80, v14
	v_add_nc_u32_e32 v25, 0x100, v14
	; wave barrier
	s_waitcnt lgkmcnt(0)
	s_barrier
	v_sub_nc_u32_e32 v13, v23, v14
	v_sub_nc_u32_e32 v12, v25, v23
	buffer_gl0_inv
	ds_write_b128 v24, v[4:7]
	ds_write_b128 v24, v[8:11] offset:16
	v_min_u32_e32 v16, v15, v13
	v_sub_nc_u32_e64 v12, v15, v12 clamp
	v_lshlrev_b32_e32 v13, 2, v14
	s_waitcnt lgkmcnt(0)
	s_barrier
	buffer_gl0_inv
	v_cmpx_lt_u32_e64 v12, v16
	s_cbranch_execz .LBB987_170
; %bb.167:
	v_lshlrev_b32_e32 v17, 2, v15
	s_mov_b32 s1, 0
	v_lshl_add_u32 v17, v23, 2, v17
	s_inst_prefetch 0x1
	.p2align	6
.LBB987_168:                            ; =>This Inner Loop Header: Depth=1
	v_add_nc_u32_e32 v18, v16, v12
	v_lshrrev_b32_e32 v22, 1, v18
	v_not_b32_e32 v18, v22
	v_lshl_add_u32 v19, v22, 2, v13
	v_lshl_add_u32 v20, v18, 2, v17
	ds_read_b32 v18, v19
	ds_read_b32 v20, v20
	s_waitcnt lgkmcnt(1)
	v_ashrrev_i32_e32 v19, 31, v18
	s_waitcnt lgkmcnt(0)
	v_ashrrev_i32_e32 v21, 31, v20
	v_lshlrev_b64 v[18:19], 2, v[18:19]
	v_lshlrev_b64 v[20:21], 2, v[20:21]
	v_add_co_u32 v18, vcc_lo, s14, v18
	v_add_co_ci_u32_e64 v19, null, s15, v19, vcc_lo
	v_add_co_u32 v20, vcc_lo, s14, v20
	v_add_co_ci_u32_e64 v21, null, s15, v21, vcc_lo
	s_clause 0x1
	global_load_dword v20, v[20:21], off
	global_load_dword v18, v[18:19], off
	v_add_nc_u32_e32 v19, 1, v22
	s_waitcnt vmcnt(0)
	v_cmp_lt_i32_e32 vcc_lo, v20, v18
	v_cndmask_b32_e32 v16, v16, v22, vcc_lo
	v_cndmask_b32_e32 v12, v19, v12, vcc_lo
	v_cmp_ge_u32_e32 vcc_lo, v12, v16
	s_or_b32 s1, vcc_lo, s1
	s_andn2_b32 exec_lo, exec_lo, s1
	s_cbranch_execnz .LBB987_168
; %bb.169:
	s_inst_prefetch 0x2
	s_or_b32 exec_lo, exec_lo, s1
.LBB987_170:
	s_or_b32 exec_lo, exec_lo, s0
	v_sub_nc_u32_e32 v15, v15, v12
	v_add_nc_u32_e32 v14, v12, v14
	v_add_nc_u32_e32 v15, v15, v23
	v_cmp_le_u32_e32 vcc_lo, v14, v23
	v_cmp_le_u32_e64 s0, v15, v25
	s_or_b32 s0, vcc_lo, s0
	s_and_saveexec_b32 s1, s0
	s_cbranch_execz .LBB987_206
; %bb.171:
	s_mov_b32 s2, exec_lo
	v_cmp_ge_u32_e32 vcc_lo, v14, v23
                                        ; implicit-def: $vgpr4
	v_cmpx_lt_u32_e64 v14, v23
; %bb.172:
	v_lshl_add_u32 v4, v12, 2, v13
	ds_read_b32 v4, v4
; %bb.173:
	s_or_b32 exec_lo, exec_lo, s2
	v_cmp_ge_u32_e64 s2, v15, v25
	s_mov_b32 s3, exec_lo
                                        ; implicit-def: $vgpr10
	v_cmpx_lt_u32_e64 v15, v25
; %bb.174:
	v_lshlrev_b32_e32 v5, 2, v15
	ds_read_b32 v10, v5
; %bb.175:
	s_or_b32 exec_lo, exec_lo, s3
	s_nor_b32 s3, vcc_lo, s2
	s_and_saveexec_b32 s0, s3
	s_cbranch_execz .LBB987_177
; %bb.176:
	s_waitcnt lgkmcnt(0)
	v_ashrrev_i32_e32 v11, 31, v10
	v_ashrrev_i32_e32 v5, 31, v4
	s_andn2_b32 s2, s2, exec_lo
	v_lshlrev_b64 v[6:7], 2, v[10:11]
	v_lshlrev_b64 v[8:9], 2, v[4:5]
	v_add_co_u32 v5, vcc_lo, s14, v6
	v_add_co_ci_u32_e64 v6, null, s15, v7, vcc_lo
	v_add_co_u32 v7, vcc_lo, s14, v8
	v_add_co_ci_u32_e64 v8, null, s15, v9, vcc_lo
	s_clause 0x1
	global_load_dword v5, v[5:6], off
	global_load_dword v6, v[7:8], off
	s_waitcnt vmcnt(0)
	v_cmp_ge_i32_e32 vcc_lo, v5, v6
	s_and_b32 s3, vcc_lo, exec_lo
	s_or_b32 s2, s2, s3
.LBB987_177:
	s_or_b32 exec_lo, exec_lo, s0
	v_cndmask_b32_e64 v5, v15, v14, s2
	v_cndmask_b32_e64 v6, v25, v23, s2
	s_mov_b32 s3, -1
	s_mov_b32 s0, -1
	s_mov_b32 s4, exec_lo
	v_add_nc_u32_e32 v5, 1, v5
	v_add_nc_u32_e32 v6, -1, v6
	v_cndmask_b32_e64 v7, v5, v15, s2
	v_min_u32_e32 v6, v5, v6
	v_cndmask_b32_e64 v8, v14, v5, s2
	v_lshlrev_b32_e32 v6, 2, v6
	ds_read_b32 v6, v6
	s_waitcnt lgkmcnt(0)
	v_cndmask_b32_e64 v5, v6, v10, s2
	v_cndmask_b32_e64 v12, v4, v6, s2
	v_cmpx_lt_u32_e64 v7, v25
	s_cbranch_execz .LBB987_181
; %bb.178:
	s_mov_b32 s5, 0
	s_mov_b32 s0, exec_lo
	v_cmpx_lt_u32_e64 v8, v23
	s_cbranch_execz .LBB987_180
; %bb.179:
	v_ashrrev_i32_e32 v6, 31, v5
	v_ashrrev_i32_e32 v13, 31, v12
	v_lshlrev_b64 v[14:15], 2, v[5:6]
	v_lshlrev_b64 v[16:17], 2, v[12:13]
	v_add_co_u32 v13, vcc_lo, s14, v14
	v_add_co_ci_u32_e64 v14, null, s15, v15, vcc_lo
	v_add_co_u32 v15, vcc_lo, s14, v16
	v_add_co_ci_u32_e64 v16, null, s15, v17, vcc_lo
	s_clause 0x1
	global_load_dword v6, v[13:14], off
	global_load_dword v9, v[15:16], off
	s_waitcnt vmcnt(0)
	v_cmp_ge_i32_e32 vcc_lo, v6, v9
	s_and_b32 s5, vcc_lo, exec_lo
.LBB987_180:
	s_or_b32 exec_lo, exec_lo, s0
	s_orn2_b32 s0, s5, exec_lo
.LBB987_181:
	s_or_b32 exec_lo, exec_lo, s4
	v_cndmask_b32_e64 v6, v7, v8, s0
	v_cndmask_b32_e64 v9, v25, v23, s0
	s_mov_b32 s4, exec_lo
	v_add_nc_u32_e32 v6, 1, v6
	v_add_nc_u32_e32 v9, -1, v9
	v_cndmask_b32_e64 v8, v8, v6, s0
	v_min_u32_e32 v9, v6, v9
	v_lshlrev_b32_e32 v9, 2, v9
	ds_read_b32 v11, v9
	v_cndmask_b32_e64 v9, v6, v7, s0
	s_waitcnt lgkmcnt(0)
	v_cndmask_b32_e64 v6, v11, v5, s0
	v_cndmask_b32_e64 v13, v12, v11, s0
	v_cmpx_lt_u32_e64 v9, v25
	s_cbranch_execz .LBB987_185
; %bb.182:
	s_mov_b32 s5, 0
	s_mov_b32 s3, exec_lo
	v_cmpx_lt_u32_e64 v8, v23
	s_cbranch_execz .LBB987_184
; %bb.183:
	v_ashrrev_i32_e32 v7, 31, v6
	v_ashrrev_i32_e32 v14, 31, v13
	v_lshlrev_b64 v[15:16], 2, v[6:7]
	v_lshlrev_b64 v[17:18], 2, v[13:14]
	v_add_co_u32 v14, vcc_lo, s14, v15
	v_add_co_ci_u32_e64 v15, null, s15, v16, vcc_lo
	v_add_co_u32 v16, vcc_lo, s14, v17
	v_add_co_ci_u32_e64 v17, null, s15, v18, vcc_lo
	s_clause 0x1
	global_load_dword v7, v[14:15], off
	global_load_dword v11, v[16:17], off
	s_waitcnt vmcnt(0)
	v_cmp_ge_i32_e32 vcc_lo, v7, v11
	s_and_b32 s5, vcc_lo, exec_lo
.LBB987_184:
	s_or_b32 exec_lo, exec_lo, s3
	s_orn2_b32 s3, s5, exec_lo
.LBB987_185:
	s_or_b32 exec_lo, exec_lo, s4
	v_cndmask_b32_e64 v7, v9, v8, s3
	v_cndmask_b32_e64 v11, v25, v23, s3
	s_mov_b32 s5, -1
	s_mov_b32 s4, -1
	s_mov_b32 s19, exec_lo
	v_add_nc_u32_e32 v7, 1, v7
	v_add_nc_u32_e32 v11, -1, v11
	v_cndmask_b32_e64 v9, v7, v9, s3
	v_min_u32_e32 v11, v7, v11
	v_lshlrev_b32_e32 v11, 2, v11
	ds_read_b32 v14, v11
	v_cndmask_b32_e64 v11, v8, v7, s3
	s_waitcnt lgkmcnt(0)
	v_cndmask_b32_e64 v7, v14, v6, s3
	v_cndmask_b32_e64 v14, v13, v14, s3
	v_cmpx_lt_u32_e64 v9, v25
	s_cbranch_execz .LBB987_189
; %bb.186:
	s_mov_b32 s20, 0
	s_mov_b32 s4, exec_lo
	v_cmpx_lt_u32_e64 v11, v23
	s_cbranch_execz .LBB987_188
; %bb.187:
	v_ashrrev_i32_e32 v8, 31, v7
	v_ashrrev_i32_e32 v15, 31, v14
	v_lshlrev_b64 v[16:17], 2, v[7:8]
	v_lshlrev_b64 v[18:19], 2, v[14:15]
	v_add_co_u32 v15, vcc_lo, s14, v16
	v_add_co_ci_u32_e64 v16, null, s15, v17, vcc_lo
	v_add_co_u32 v17, vcc_lo, s14, v18
	v_add_co_ci_u32_e64 v18, null, s15, v19, vcc_lo
	s_clause 0x1
	global_load_dword v8, v[15:16], off
	global_load_dword v15, v[17:18], off
	s_waitcnt vmcnt(0)
	v_cmp_ge_i32_e32 vcc_lo, v8, v15
	s_and_b32 s20, vcc_lo, exec_lo
.LBB987_188:
	s_or_b32 exec_lo, exec_lo, s4
	s_orn2_b32 s4, s20, exec_lo
.LBB987_189:
	s_or_b32 exec_lo, exec_lo, s19
	v_cndmask_b32_e64 v8, v9, v11, s4
	v_cndmask_b32_e64 v15, v25, v23, s4
	s_mov_b32 s19, exec_lo
	v_add_nc_u32_e32 v8, 1, v8
	v_add_nc_u32_e32 v15, -1, v15
	v_cndmask_b32_e64 v17, v8, v9, s4
	v_min_u32_e32 v15, v8, v15
	v_cndmask_b32_e64 v11, v11, v8, s4
	v_lshlrev_b32_e32 v15, 2, v15
	ds_read_b32 v15, v15
	s_waitcnt lgkmcnt(0)
	v_cndmask_b32_e64 v8, v15, v7, s4
	v_cndmask_b32_e64 v15, v14, v15, s4
	v_cmpx_lt_u32_e64 v17, v25
	s_cbranch_execz .LBB987_193
; %bb.190:
	s_mov_b32 s20, 0
	s_mov_b32 s5, exec_lo
	v_cmpx_lt_u32_e64 v11, v23
	s_cbranch_execz .LBB987_192
; %bb.191:
	v_ashrrev_i32_e32 v9, 31, v8
	v_ashrrev_i32_e32 v16, 31, v15
	v_lshlrev_b64 v[18:19], 2, v[8:9]
	v_lshlrev_b64 v[20:21], 2, v[15:16]
	v_add_co_u32 v18, vcc_lo, s14, v18
	v_add_co_ci_u32_e64 v19, null, s15, v19, vcc_lo
	v_add_co_u32 v20, vcc_lo, s14, v20
	v_add_co_ci_u32_e64 v21, null, s15, v21, vcc_lo
	s_clause 0x1
	global_load_dword v9, v[18:19], off
	global_load_dword v16, v[20:21], off
	s_waitcnt vmcnt(0)
	v_cmp_ge_i32_e32 vcc_lo, v9, v16
	s_and_b32 s20, vcc_lo, exec_lo
.LBB987_192:
	s_or_b32 exec_lo, exec_lo, s5
	s_orn2_b32 s5, s20, exec_lo
.LBB987_193:
	s_or_b32 exec_lo, exec_lo, s19
	v_cndmask_b32_e64 v9, v17, v11, s5
	v_cndmask_b32_e64 v16, v25, v23, s5
	s_mov_b32 s19, -1
	s_mov_b32 s20, -1
	s_mov_b32 s21, exec_lo
	v_add_nc_u32_e32 v18, 1, v9
	v_add_nc_u32_e32 v9, -1, v16
	v_cndmask_b32_e64 v11, v11, v18, s5
	v_min_u32_e32 v9, v18, v9
	v_lshlrev_b32_e32 v9, 2, v9
	ds_read_b32 v19, v9
	v_cndmask_b32_e64 v9, v18, v17, s5
	s_waitcnt lgkmcnt(0)
	v_cndmask_b32_e64 v16, v19, v8, s5
	v_cndmask_b32_e64 v18, v15, v19, s5
	v_cmpx_lt_u32_e64 v9, v25
	s_cbranch_execz .LBB987_197
; %bb.194:
	s_mov_b32 s22, 0
	s_mov_b32 s20, exec_lo
	v_cmpx_lt_u32_e64 v11, v23
	s_cbranch_execz .LBB987_196
; %bb.195:
	v_ashrrev_i32_e32 v17, 31, v16
	v_ashrrev_i32_e32 v19, 31, v18
	v_lshlrev_b64 v[20:21], 2, v[16:17]
	v_lshlrev_b64 v[47:48], 2, v[18:19]
	v_add_co_u32 v19, vcc_lo, s14, v20
	v_add_co_ci_u32_e64 v20, null, s15, v21, vcc_lo
	v_add_co_u32 v21, vcc_lo, s14, v47
	v_add_co_ci_u32_e64 v22, null, s15, v48, vcc_lo
	s_clause 0x1
	global_load_dword v17, v[19:20], off
	global_load_dword v19, v[21:22], off
	s_waitcnt vmcnt(0)
	v_cmp_ge_i32_e32 vcc_lo, v17, v19
	s_and_b32 s22, vcc_lo, exec_lo
.LBB987_196:
	s_or_b32 exec_lo, exec_lo, s20
	s_orn2_b32 s20, s22, exec_lo
.LBB987_197:
	s_or_b32 exec_lo, exec_lo, s21
	v_cndmask_b32_e64 v17, v9, v11, s20
	v_cndmask_b32_e64 v19, v25, v23, s20
	s_mov_b32 s21, exec_lo
	v_add_nc_u32_e32 v20, 1, v17
	v_add_nc_u32_e32 v17, -1, v19
	v_min_u32_e32 v17, v20, v17
	v_lshlrev_b32_e32 v17, 2, v17
	ds_read_b32 v21, v17
	v_cndmask_b32_e64 v17, v20, v9, s20
	v_cndmask_b32_e64 v9, v11, v20, s20
	s_waitcnt lgkmcnt(0)
	v_cndmask_b32_e64 v19, v21, v16, s20
	v_cndmask_b32_e64 v21, v18, v21, s20
	v_cmpx_lt_u32_e64 v17, v25
	s_cbranch_execz .LBB987_201
; %bb.198:
	s_mov_b32 s22, 0
	s_mov_b32 s19, exec_lo
	v_cmpx_lt_u32_e64 v9, v23
	s_cbranch_execz .LBB987_200
; %bb.199:
	v_ashrrev_i32_e32 v20, 31, v19
	v_ashrrev_i32_e32 v22, 31, v21
	v_lshlrev_b64 v[47:48], 2, v[19:20]
	v_lshlrev_b64 v[49:50], 2, v[21:22]
	v_add_co_u32 v47, vcc_lo, s14, v47
	v_add_co_ci_u32_e64 v48, null, s15, v48, vcc_lo
	v_add_co_u32 v49, vcc_lo, s14, v49
	v_add_co_ci_u32_e64 v50, null, s15, v50, vcc_lo
	s_clause 0x1
	global_load_dword v11, v[47:48], off
	global_load_dword v20, v[49:50], off
	s_waitcnt vmcnt(0)
	v_cmp_ge_i32_e32 vcc_lo, v11, v20
	s_and_b32 s22, vcc_lo, exec_lo
.LBB987_200:
	s_or_b32 exec_lo, exec_lo, s19
	s_orn2_b32 s19, s22, exec_lo
.LBB987_201:
	s_or_b32 exec_lo, exec_lo, s21
	v_cndmask_b32_e64 v11, v17, v9, s19
	v_cndmask_b32_e64 v22, v25, v23, s19
	s_mov_b32 s21, exec_lo
	v_add_nc_u32_e32 v20, 1, v11
	v_add_nc_u32_e32 v11, -1, v22
	v_cndmask_b32_e64 v17, v20, v17, s19
	v_min_u32_e32 v11, v20, v11
	v_lshlrev_b32_e32 v11, 2, v11
	ds_read_b32 v22, v11
	s_waitcnt lgkmcnt(0)
	v_cndmask_b32_e64 v11, v21, v22, s19
	v_cmpx_lt_u32_e64 v17, v25
	s_cbranch_execz .LBB987_205
; %bb.202:
	v_cndmask_b32_e64 v9, v9, v20, s19
	v_cndmask_b32_e64 v22, v22, v19, s19
	s_mov_b32 s22, exec_lo
	v_cmpx_lt_u32_e64 v9, v23
	s_cbranch_execz .LBB987_204
; %bb.203:
	v_ashrrev_i32_e32 v23, 31, v22
	v_ashrrev_i32_e32 v26, 31, v11
	v_mov_b32_e32 v25, v11
	v_lshlrev_b64 v[47:48], 2, v[22:23]
	v_lshlrev_b64 v[25:26], 2, v[25:26]
	v_add_co_u32 v47, vcc_lo, s14, v47
	v_add_co_ci_u32_e64 v48, null, s15, v48, vcc_lo
	v_add_co_u32 v25, vcc_lo, s14, v25
	v_add_co_ci_u32_e64 v26, null, s15, v26, vcc_lo
	s_clause 0x1
	global_load_dword v9, v[47:48], off
	global_load_dword v17, v[25:26], off
	s_waitcnt vmcnt(0)
	v_cmp_lt_i32_e32 vcc_lo, v9, v17
	v_cndmask_b32_e32 v22, v11, v22, vcc_lo
.LBB987_204:
	s_or_b32 exec_lo, exec_lo, s22
	v_mov_b32_e32 v11, v22
.LBB987_205:
	s_or_b32 exec_lo, exec_lo, s21
	v_cndmask_b32_e64 v9, v16, v18, s20
	v_cndmask_b32_e64 v8, v8, v15, s5
	;; [unrolled: 1-line block ×7, first 2 shown]
.LBB987_206:
	s_or_b32 exec_lo, exec_lo, s1
	v_and_b32_e32 v14, 0x600, v46
	v_and_b32_e32 v15, 0x1f8, v46
	s_mov_b32 s0, exec_lo
	s_barrier
	v_or_b32_e32 v23, 0x100, v14
	v_add_nc_u32_e32 v25, 0x200, v14
	buffer_gl0_inv
	ds_write_b128 v24, v[4:7]
	ds_write_b128 v24, v[8:11] offset:16
	v_sub_nc_u32_e32 v13, v23, v14
	v_sub_nc_u32_e32 v12, v25, v23
	s_waitcnt lgkmcnt(0)
	s_barrier
	buffer_gl0_inv
	v_min_u32_e32 v16, v15, v13
	v_sub_nc_u32_e64 v12, v15, v12 clamp
	v_lshlrev_b32_e32 v13, 2, v14
	v_cmpx_lt_u32_e64 v12, v16
	s_cbranch_execz .LBB987_210
; %bb.207:
	v_lshlrev_b32_e32 v17, 2, v15
	s_mov_b32 s1, 0
	v_lshl_add_u32 v17, v23, 2, v17
	s_inst_prefetch 0x1
	.p2align	6
.LBB987_208:                            ; =>This Inner Loop Header: Depth=1
	v_add_nc_u32_e32 v18, v16, v12
	v_lshrrev_b32_e32 v22, 1, v18
	v_not_b32_e32 v18, v22
	v_lshl_add_u32 v19, v22, 2, v13
	v_lshl_add_u32 v20, v18, 2, v17
	ds_read_b32 v18, v19
	ds_read_b32 v20, v20
	s_waitcnt lgkmcnt(1)
	v_ashrrev_i32_e32 v19, 31, v18
	s_waitcnt lgkmcnt(0)
	v_ashrrev_i32_e32 v21, 31, v20
	v_lshlrev_b64 v[18:19], 2, v[18:19]
	v_lshlrev_b64 v[20:21], 2, v[20:21]
	v_add_co_u32 v18, vcc_lo, s14, v18
	v_add_co_ci_u32_e64 v19, null, s15, v19, vcc_lo
	v_add_co_u32 v20, vcc_lo, s14, v20
	v_add_co_ci_u32_e64 v21, null, s15, v21, vcc_lo
	s_clause 0x1
	global_load_dword v20, v[20:21], off
	global_load_dword v18, v[18:19], off
	v_add_nc_u32_e32 v19, 1, v22
	s_waitcnt vmcnt(0)
	v_cmp_lt_i32_e32 vcc_lo, v20, v18
	v_cndmask_b32_e32 v16, v16, v22, vcc_lo
	v_cndmask_b32_e32 v12, v19, v12, vcc_lo
	v_cmp_ge_u32_e32 vcc_lo, v12, v16
	s_or_b32 s1, vcc_lo, s1
	s_andn2_b32 exec_lo, exec_lo, s1
	s_cbranch_execnz .LBB987_208
; %bb.209:
	s_inst_prefetch 0x2
	s_or_b32 exec_lo, exec_lo, s1
.LBB987_210:
	s_or_b32 exec_lo, exec_lo, s0
	v_sub_nc_u32_e32 v15, v15, v12
	v_add_nc_u32_e32 v14, v12, v14
	v_add_nc_u32_e32 v15, v15, v23
	v_cmp_le_u32_e32 vcc_lo, v14, v23
	v_cmp_le_u32_e64 s0, v15, v25
	s_or_b32 s0, vcc_lo, s0
	s_and_saveexec_b32 s1, s0
	s_cbranch_execz .LBB987_246
; %bb.211:
	s_mov_b32 s2, exec_lo
	v_cmp_ge_u32_e32 vcc_lo, v14, v23
                                        ; implicit-def: $vgpr4
	v_cmpx_lt_u32_e64 v14, v23
; %bb.212:
	v_lshl_add_u32 v4, v12, 2, v13
	ds_read_b32 v4, v4
; %bb.213:
	s_or_b32 exec_lo, exec_lo, s2
	v_cmp_ge_u32_e64 s2, v15, v25
	s_mov_b32 s3, exec_lo
                                        ; implicit-def: $vgpr10
	v_cmpx_lt_u32_e64 v15, v25
; %bb.214:
	v_lshlrev_b32_e32 v5, 2, v15
	ds_read_b32 v10, v5
; %bb.215:
	s_or_b32 exec_lo, exec_lo, s3
	s_nor_b32 s3, vcc_lo, s2
	s_and_saveexec_b32 s0, s3
	s_cbranch_execz .LBB987_217
; %bb.216:
	s_waitcnt lgkmcnt(0)
	v_ashrrev_i32_e32 v11, 31, v10
	v_ashrrev_i32_e32 v5, 31, v4
	s_andn2_b32 s2, s2, exec_lo
	v_lshlrev_b64 v[6:7], 2, v[10:11]
	v_lshlrev_b64 v[8:9], 2, v[4:5]
	v_add_co_u32 v5, vcc_lo, s14, v6
	v_add_co_ci_u32_e64 v6, null, s15, v7, vcc_lo
	v_add_co_u32 v7, vcc_lo, s14, v8
	v_add_co_ci_u32_e64 v8, null, s15, v9, vcc_lo
	s_clause 0x1
	global_load_dword v5, v[5:6], off
	global_load_dword v6, v[7:8], off
	s_waitcnt vmcnt(0)
	v_cmp_ge_i32_e32 vcc_lo, v5, v6
	s_and_b32 s3, vcc_lo, exec_lo
	s_or_b32 s2, s2, s3
.LBB987_217:
	s_or_b32 exec_lo, exec_lo, s0
	v_cndmask_b32_e64 v5, v15, v14, s2
	v_cndmask_b32_e64 v6, v25, v23, s2
	s_mov_b32 s3, -1
	s_mov_b32 s0, -1
	s_mov_b32 s4, exec_lo
	v_add_nc_u32_e32 v5, 1, v5
	v_add_nc_u32_e32 v6, -1, v6
	v_cndmask_b32_e64 v7, v5, v15, s2
	v_min_u32_e32 v6, v5, v6
	v_cndmask_b32_e64 v8, v14, v5, s2
	v_lshlrev_b32_e32 v6, 2, v6
	ds_read_b32 v6, v6
	s_waitcnt lgkmcnt(0)
	v_cndmask_b32_e64 v5, v6, v10, s2
	v_cndmask_b32_e64 v12, v4, v6, s2
	v_cmpx_lt_u32_e64 v7, v25
	s_cbranch_execz .LBB987_221
; %bb.218:
	s_mov_b32 s5, 0
	s_mov_b32 s0, exec_lo
	v_cmpx_lt_u32_e64 v8, v23
	s_cbranch_execz .LBB987_220
; %bb.219:
	v_ashrrev_i32_e32 v6, 31, v5
	v_ashrrev_i32_e32 v13, 31, v12
	v_lshlrev_b64 v[14:15], 2, v[5:6]
	v_lshlrev_b64 v[16:17], 2, v[12:13]
	v_add_co_u32 v13, vcc_lo, s14, v14
	v_add_co_ci_u32_e64 v14, null, s15, v15, vcc_lo
	v_add_co_u32 v15, vcc_lo, s14, v16
	v_add_co_ci_u32_e64 v16, null, s15, v17, vcc_lo
	s_clause 0x1
	global_load_dword v6, v[13:14], off
	global_load_dword v9, v[15:16], off
	s_waitcnt vmcnt(0)
	v_cmp_ge_i32_e32 vcc_lo, v6, v9
	s_and_b32 s5, vcc_lo, exec_lo
.LBB987_220:
	s_or_b32 exec_lo, exec_lo, s0
	s_orn2_b32 s0, s5, exec_lo
.LBB987_221:
	s_or_b32 exec_lo, exec_lo, s4
	v_cndmask_b32_e64 v6, v7, v8, s0
	v_cndmask_b32_e64 v9, v25, v23, s0
	s_mov_b32 s4, exec_lo
	v_add_nc_u32_e32 v6, 1, v6
	v_add_nc_u32_e32 v9, -1, v9
	v_cndmask_b32_e64 v8, v8, v6, s0
	v_min_u32_e32 v9, v6, v9
	v_lshlrev_b32_e32 v9, 2, v9
	ds_read_b32 v11, v9
	v_cndmask_b32_e64 v9, v6, v7, s0
	s_waitcnt lgkmcnt(0)
	v_cndmask_b32_e64 v6, v11, v5, s0
	v_cndmask_b32_e64 v13, v12, v11, s0
	v_cmpx_lt_u32_e64 v9, v25
	s_cbranch_execz .LBB987_225
; %bb.222:
	s_mov_b32 s5, 0
	s_mov_b32 s3, exec_lo
	v_cmpx_lt_u32_e64 v8, v23
	s_cbranch_execz .LBB987_224
; %bb.223:
	v_ashrrev_i32_e32 v7, 31, v6
	v_ashrrev_i32_e32 v14, 31, v13
	v_lshlrev_b64 v[15:16], 2, v[6:7]
	v_lshlrev_b64 v[17:18], 2, v[13:14]
	v_add_co_u32 v14, vcc_lo, s14, v15
	v_add_co_ci_u32_e64 v15, null, s15, v16, vcc_lo
	v_add_co_u32 v16, vcc_lo, s14, v17
	v_add_co_ci_u32_e64 v17, null, s15, v18, vcc_lo
	s_clause 0x1
	global_load_dword v7, v[14:15], off
	global_load_dword v11, v[16:17], off
	s_waitcnt vmcnt(0)
	v_cmp_ge_i32_e32 vcc_lo, v7, v11
	s_and_b32 s5, vcc_lo, exec_lo
.LBB987_224:
	s_or_b32 exec_lo, exec_lo, s3
	s_orn2_b32 s3, s5, exec_lo
.LBB987_225:
	s_or_b32 exec_lo, exec_lo, s4
	v_cndmask_b32_e64 v7, v9, v8, s3
	v_cndmask_b32_e64 v11, v25, v23, s3
	s_mov_b32 s5, -1
	s_mov_b32 s4, -1
	s_mov_b32 s19, exec_lo
	v_add_nc_u32_e32 v7, 1, v7
	v_add_nc_u32_e32 v11, -1, v11
	v_cndmask_b32_e64 v9, v7, v9, s3
	v_min_u32_e32 v11, v7, v11
	v_lshlrev_b32_e32 v11, 2, v11
	ds_read_b32 v14, v11
	v_cndmask_b32_e64 v11, v8, v7, s3
	s_waitcnt lgkmcnt(0)
	v_cndmask_b32_e64 v7, v14, v6, s3
	v_cndmask_b32_e64 v14, v13, v14, s3
	v_cmpx_lt_u32_e64 v9, v25
	s_cbranch_execz .LBB987_229
; %bb.226:
	s_mov_b32 s20, 0
	s_mov_b32 s4, exec_lo
	v_cmpx_lt_u32_e64 v11, v23
	s_cbranch_execz .LBB987_228
; %bb.227:
	v_ashrrev_i32_e32 v8, 31, v7
	v_ashrrev_i32_e32 v15, 31, v14
	v_lshlrev_b64 v[16:17], 2, v[7:8]
	v_lshlrev_b64 v[18:19], 2, v[14:15]
	v_add_co_u32 v15, vcc_lo, s14, v16
	v_add_co_ci_u32_e64 v16, null, s15, v17, vcc_lo
	v_add_co_u32 v17, vcc_lo, s14, v18
	v_add_co_ci_u32_e64 v18, null, s15, v19, vcc_lo
	s_clause 0x1
	global_load_dword v8, v[15:16], off
	global_load_dword v15, v[17:18], off
	s_waitcnt vmcnt(0)
	v_cmp_ge_i32_e32 vcc_lo, v8, v15
	s_and_b32 s20, vcc_lo, exec_lo
.LBB987_228:
	s_or_b32 exec_lo, exec_lo, s4
	s_orn2_b32 s4, s20, exec_lo
.LBB987_229:
	s_or_b32 exec_lo, exec_lo, s19
	v_cndmask_b32_e64 v8, v9, v11, s4
	v_cndmask_b32_e64 v15, v25, v23, s4
	s_mov_b32 s19, exec_lo
	v_add_nc_u32_e32 v8, 1, v8
	v_add_nc_u32_e32 v15, -1, v15
	v_cndmask_b32_e64 v17, v8, v9, s4
	v_min_u32_e32 v15, v8, v15
	v_cndmask_b32_e64 v11, v11, v8, s4
	v_lshlrev_b32_e32 v15, 2, v15
	ds_read_b32 v15, v15
	s_waitcnt lgkmcnt(0)
	v_cndmask_b32_e64 v8, v15, v7, s4
	v_cndmask_b32_e64 v15, v14, v15, s4
	v_cmpx_lt_u32_e64 v17, v25
	s_cbranch_execz .LBB987_233
; %bb.230:
	s_mov_b32 s20, 0
	s_mov_b32 s5, exec_lo
	v_cmpx_lt_u32_e64 v11, v23
	s_cbranch_execz .LBB987_232
; %bb.231:
	v_ashrrev_i32_e32 v9, 31, v8
	v_ashrrev_i32_e32 v16, 31, v15
	v_lshlrev_b64 v[18:19], 2, v[8:9]
	v_lshlrev_b64 v[20:21], 2, v[15:16]
	v_add_co_u32 v18, vcc_lo, s14, v18
	v_add_co_ci_u32_e64 v19, null, s15, v19, vcc_lo
	v_add_co_u32 v20, vcc_lo, s14, v20
	v_add_co_ci_u32_e64 v21, null, s15, v21, vcc_lo
	s_clause 0x1
	global_load_dword v9, v[18:19], off
	global_load_dword v16, v[20:21], off
	s_waitcnt vmcnt(0)
	v_cmp_ge_i32_e32 vcc_lo, v9, v16
	s_and_b32 s20, vcc_lo, exec_lo
.LBB987_232:
	s_or_b32 exec_lo, exec_lo, s5
	s_orn2_b32 s5, s20, exec_lo
.LBB987_233:
	s_or_b32 exec_lo, exec_lo, s19
	v_cndmask_b32_e64 v9, v17, v11, s5
	v_cndmask_b32_e64 v16, v25, v23, s5
	s_mov_b32 s19, -1
	s_mov_b32 s20, -1
	s_mov_b32 s21, exec_lo
	v_add_nc_u32_e32 v18, 1, v9
	v_add_nc_u32_e32 v9, -1, v16
	v_cndmask_b32_e64 v11, v11, v18, s5
	v_min_u32_e32 v9, v18, v9
	v_lshlrev_b32_e32 v9, 2, v9
	ds_read_b32 v19, v9
	v_cndmask_b32_e64 v9, v18, v17, s5
	s_waitcnt lgkmcnt(0)
	v_cndmask_b32_e64 v16, v19, v8, s5
	v_cndmask_b32_e64 v18, v15, v19, s5
	v_cmpx_lt_u32_e64 v9, v25
	s_cbranch_execz .LBB987_237
; %bb.234:
	s_mov_b32 s22, 0
	s_mov_b32 s20, exec_lo
	v_cmpx_lt_u32_e64 v11, v23
	s_cbranch_execz .LBB987_236
; %bb.235:
	v_ashrrev_i32_e32 v17, 31, v16
	v_ashrrev_i32_e32 v19, 31, v18
	v_lshlrev_b64 v[20:21], 2, v[16:17]
	v_lshlrev_b64 v[47:48], 2, v[18:19]
	v_add_co_u32 v19, vcc_lo, s14, v20
	v_add_co_ci_u32_e64 v20, null, s15, v21, vcc_lo
	v_add_co_u32 v21, vcc_lo, s14, v47
	v_add_co_ci_u32_e64 v22, null, s15, v48, vcc_lo
	s_clause 0x1
	global_load_dword v17, v[19:20], off
	global_load_dword v19, v[21:22], off
	s_waitcnt vmcnt(0)
	v_cmp_ge_i32_e32 vcc_lo, v17, v19
	s_and_b32 s22, vcc_lo, exec_lo
.LBB987_236:
	s_or_b32 exec_lo, exec_lo, s20
	s_orn2_b32 s20, s22, exec_lo
.LBB987_237:
	s_or_b32 exec_lo, exec_lo, s21
	v_cndmask_b32_e64 v17, v9, v11, s20
	v_cndmask_b32_e64 v19, v25, v23, s20
	s_mov_b32 s21, exec_lo
	v_add_nc_u32_e32 v20, 1, v17
	v_add_nc_u32_e32 v17, -1, v19
	v_min_u32_e32 v17, v20, v17
	v_lshlrev_b32_e32 v17, 2, v17
	ds_read_b32 v21, v17
	v_cndmask_b32_e64 v17, v20, v9, s20
	v_cndmask_b32_e64 v9, v11, v20, s20
	s_waitcnt lgkmcnt(0)
	v_cndmask_b32_e64 v19, v21, v16, s20
	v_cndmask_b32_e64 v21, v18, v21, s20
	v_cmpx_lt_u32_e64 v17, v25
	s_cbranch_execz .LBB987_241
; %bb.238:
	s_mov_b32 s22, 0
	s_mov_b32 s19, exec_lo
	v_cmpx_lt_u32_e64 v9, v23
	s_cbranch_execz .LBB987_240
; %bb.239:
	v_ashrrev_i32_e32 v20, 31, v19
	v_ashrrev_i32_e32 v22, 31, v21
	v_lshlrev_b64 v[47:48], 2, v[19:20]
	v_lshlrev_b64 v[49:50], 2, v[21:22]
	v_add_co_u32 v47, vcc_lo, s14, v47
	v_add_co_ci_u32_e64 v48, null, s15, v48, vcc_lo
	v_add_co_u32 v49, vcc_lo, s14, v49
	v_add_co_ci_u32_e64 v50, null, s15, v50, vcc_lo
	s_clause 0x1
	global_load_dword v11, v[47:48], off
	global_load_dword v20, v[49:50], off
	s_waitcnt vmcnt(0)
	v_cmp_ge_i32_e32 vcc_lo, v11, v20
	s_and_b32 s22, vcc_lo, exec_lo
.LBB987_240:
	s_or_b32 exec_lo, exec_lo, s19
	s_orn2_b32 s19, s22, exec_lo
.LBB987_241:
	s_or_b32 exec_lo, exec_lo, s21
	v_cndmask_b32_e64 v11, v17, v9, s19
	v_cndmask_b32_e64 v22, v25, v23, s19
	s_mov_b32 s21, exec_lo
	v_add_nc_u32_e32 v20, 1, v11
	v_add_nc_u32_e32 v11, -1, v22
	v_cndmask_b32_e64 v17, v20, v17, s19
	v_min_u32_e32 v11, v20, v11
	v_lshlrev_b32_e32 v11, 2, v11
	ds_read_b32 v22, v11
	s_waitcnt lgkmcnt(0)
	v_cndmask_b32_e64 v11, v21, v22, s19
	v_cmpx_lt_u32_e64 v17, v25
	s_cbranch_execz .LBB987_245
; %bb.242:
	v_cndmask_b32_e64 v9, v9, v20, s19
	v_cndmask_b32_e64 v22, v22, v19, s19
	s_mov_b32 s22, exec_lo
	v_cmpx_lt_u32_e64 v9, v23
	s_cbranch_execz .LBB987_244
; %bb.243:
	v_ashrrev_i32_e32 v23, 31, v22
	v_ashrrev_i32_e32 v26, 31, v11
	v_mov_b32_e32 v25, v11
	v_lshlrev_b64 v[47:48], 2, v[22:23]
	v_lshlrev_b64 v[25:26], 2, v[25:26]
	v_add_co_u32 v47, vcc_lo, s14, v47
	v_add_co_ci_u32_e64 v48, null, s15, v48, vcc_lo
	v_add_co_u32 v25, vcc_lo, s14, v25
	v_add_co_ci_u32_e64 v26, null, s15, v26, vcc_lo
	s_clause 0x1
	global_load_dword v9, v[47:48], off
	global_load_dword v17, v[25:26], off
	s_waitcnt vmcnt(0)
	v_cmp_lt_i32_e32 vcc_lo, v9, v17
	v_cndmask_b32_e32 v22, v11, v22, vcc_lo
.LBB987_244:
	s_or_b32 exec_lo, exec_lo, s22
	v_mov_b32_e32 v11, v22
.LBB987_245:
	s_or_b32 exec_lo, exec_lo, s21
	v_cndmask_b32_e64 v9, v16, v18, s20
	v_cndmask_b32_e64 v8, v8, v15, s5
	;; [unrolled: 1-line block ×7, first 2 shown]
.LBB987_246:
	s_or_b32 exec_lo, exec_lo, s1
	v_and_b32_e32 v14, 0x400, v46
	v_and_b32_e32 v15, 0x3f8, v46
	s_mov_b32 s0, exec_lo
	s_barrier
	v_or_b32_e32 v23, 0x200, v14
	v_add_nc_u32_e32 v25, 0x400, v14
	buffer_gl0_inv
	ds_write_b128 v24, v[4:7]
	ds_write_b128 v24, v[8:11] offset:16
	v_sub_nc_u32_e32 v13, v23, v14
	v_sub_nc_u32_e32 v12, v25, v23
	s_waitcnt lgkmcnt(0)
	s_barrier
	buffer_gl0_inv
	v_min_u32_e32 v16, v15, v13
	v_sub_nc_u32_e64 v12, v15, v12 clamp
	v_lshlrev_b32_e32 v13, 2, v14
	v_cmpx_lt_u32_e64 v12, v16
	s_cbranch_execz .LBB987_250
; %bb.247:
	v_lshlrev_b32_e32 v17, 2, v15
	s_mov_b32 s1, 0
	v_lshl_add_u32 v17, v23, 2, v17
	s_inst_prefetch 0x1
	.p2align	6
.LBB987_248:                            ; =>This Inner Loop Header: Depth=1
	v_add_nc_u32_e32 v18, v16, v12
	v_lshrrev_b32_e32 v22, 1, v18
	v_not_b32_e32 v18, v22
	v_lshl_add_u32 v19, v22, 2, v13
	v_lshl_add_u32 v20, v18, 2, v17
	ds_read_b32 v18, v19
	ds_read_b32 v20, v20
	s_waitcnt lgkmcnt(1)
	v_ashrrev_i32_e32 v19, 31, v18
	s_waitcnt lgkmcnt(0)
	v_ashrrev_i32_e32 v21, 31, v20
	v_lshlrev_b64 v[18:19], 2, v[18:19]
	v_lshlrev_b64 v[20:21], 2, v[20:21]
	v_add_co_u32 v18, vcc_lo, s14, v18
	v_add_co_ci_u32_e64 v19, null, s15, v19, vcc_lo
	v_add_co_u32 v20, vcc_lo, s14, v20
	v_add_co_ci_u32_e64 v21, null, s15, v21, vcc_lo
	s_clause 0x1
	global_load_dword v20, v[20:21], off
	global_load_dword v18, v[18:19], off
	v_add_nc_u32_e32 v19, 1, v22
	s_waitcnt vmcnt(0)
	v_cmp_lt_i32_e32 vcc_lo, v20, v18
	v_cndmask_b32_e32 v16, v16, v22, vcc_lo
	v_cndmask_b32_e32 v12, v19, v12, vcc_lo
	v_cmp_ge_u32_e32 vcc_lo, v12, v16
	s_or_b32 s1, vcc_lo, s1
	s_andn2_b32 exec_lo, exec_lo, s1
	s_cbranch_execnz .LBB987_248
; %bb.249:
	s_inst_prefetch 0x2
	s_or_b32 exec_lo, exec_lo, s1
.LBB987_250:
	s_or_b32 exec_lo, exec_lo, s0
	v_sub_nc_u32_e32 v15, v15, v12
	v_add_nc_u32_e32 v14, v12, v14
	v_add_nc_u32_e32 v15, v15, v23
	v_cmp_le_u32_e32 vcc_lo, v14, v23
	v_cmp_le_u32_e64 s0, v15, v25
	s_or_b32 s0, vcc_lo, s0
	s_and_saveexec_b32 s1, s0
	s_cbranch_execz .LBB987_286
; %bb.251:
	s_mov_b32 s2, exec_lo
	v_cmp_ge_u32_e32 vcc_lo, v14, v23
                                        ; implicit-def: $vgpr4
	v_cmpx_lt_u32_e64 v14, v23
; %bb.252:
	v_lshl_add_u32 v4, v12, 2, v13
	ds_read_b32 v4, v4
; %bb.253:
	s_or_b32 exec_lo, exec_lo, s2
	v_cmp_ge_u32_e64 s2, v15, v25
	s_mov_b32 s3, exec_lo
                                        ; implicit-def: $vgpr10
	v_cmpx_lt_u32_e64 v15, v25
; %bb.254:
	v_lshlrev_b32_e32 v5, 2, v15
	ds_read_b32 v10, v5
; %bb.255:
	s_or_b32 exec_lo, exec_lo, s3
	s_nor_b32 s3, vcc_lo, s2
	s_and_saveexec_b32 s0, s3
	s_cbranch_execz .LBB987_257
; %bb.256:
	s_waitcnt lgkmcnt(0)
	v_ashrrev_i32_e32 v11, 31, v10
	v_ashrrev_i32_e32 v5, 31, v4
	s_andn2_b32 s2, s2, exec_lo
	v_lshlrev_b64 v[6:7], 2, v[10:11]
	v_lshlrev_b64 v[8:9], 2, v[4:5]
	v_add_co_u32 v5, vcc_lo, s14, v6
	v_add_co_ci_u32_e64 v6, null, s15, v7, vcc_lo
	v_add_co_u32 v7, vcc_lo, s14, v8
	v_add_co_ci_u32_e64 v8, null, s15, v9, vcc_lo
	s_clause 0x1
	global_load_dword v5, v[5:6], off
	global_load_dword v6, v[7:8], off
	s_waitcnt vmcnt(0)
	v_cmp_ge_i32_e32 vcc_lo, v5, v6
	s_and_b32 s3, vcc_lo, exec_lo
	s_or_b32 s2, s2, s3
.LBB987_257:
	s_or_b32 exec_lo, exec_lo, s0
	v_cndmask_b32_e64 v5, v15, v14, s2
	v_cndmask_b32_e64 v6, v25, v23, s2
	s_mov_b32 s3, -1
	s_mov_b32 s0, -1
	s_mov_b32 s4, exec_lo
	v_add_nc_u32_e32 v5, 1, v5
	v_add_nc_u32_e32 v6, -1, v6
	v_cndmask_b32_e64 v7, v5, v15, s2
	v_min_u32_e32 v6, v5, v6
	v_cndmask_b32_e64 v8, v14, v5, s2
	v_lshlrev_b32_e32 v6, 2, v6
	ds_read_b32 v6, v6
	s_waitcnt lgkmcnt(0)
	v_cndmask_b32_e64 v5, v6, v10, s2
	v_cndmask_b32_e64 v12, v4, v6, s2
	v_cmpx_lt_u32_e64 v7, v25
	s_cbranch_execz .LBB987_261
; %bb.258:
	s_mov_b32 s5, 0
	s_mov_b32 s0, exec_lo
	v_cmpx_lt_u32_e64 v8, v23
	s_cbranch_execz .LBB987_260
; %bb.259:
	v_ashrrev_i32_e32 v6, 31, v5
	v_ashrrev_i32_e32 v13, 31, v12
	v_lshlrev_b64 v[14:15], 2, v[5:6]
	v_lshlrev_b64 v[16:17], 2, v[12:13]
	v_add_co_u32 v13, vcc_lo, s14, v14
	v_add_co_ci_u32_e64 v14, null, s15, v15, vcc_lo
	v_add_co_u32 v15, vcc_lo, s14, v16
	v_add_co_ci_u32_e64 v16, null, s15, v17, vcc_lo
	s_clause 0x1
	global_load_dword v6, v[13:14], off
	global_load_dword v9, v[15:16], off
	s_waitcnt vmcnt(0)
	v_cmp_ge_i32_e32 vcc_lo, v6, v9
	s_and_b32 s5, vcc_lo, exec_lo
.LBB987_260:
	s_or_b32 exec_lo, exec_lo, s0
	s_orn2_b32 s0, s5, exec_lo
.LBB987_261:
	s_or_b32 exec_lo, exec_lo, s4
	v_cndmask_b32_e64 v6, v7, v8, s0
	v_cndmask_b32_e64 v9, v25, v23, s0
	s_mov_b32 s4, exec_lo
	v_add_nc_u32_e32 v6, 1, v6
	v_add_nc_u32_e32 v9, -1, v9
	v_cndmask_b32_e64 v8, v8, v6, s0
	v_min_u32_e32 v9, v6, v9
	v_lshlrev_b32_e32 v9, 2, v9
	ds_read_b32 v11, v9
	v_cndmask_b32_e64 v9, v6, v7, s0
	s_waitcnt lgkmcnt(0)
	v_cndmask_b32_e64 v6, v11, v5, s0
	v_cndmask_b32_e64 v13, v12, v11, s0
	v_cmpx_lt_u32_e64 v9, v25
	s_cbranch_execz .LBB987_265
; %bb.262:
	s_mov_b32 s5, 0
	s_mov_b32 s3, exec_lo
	v_cmpx_lt_u32_e64 v8, v23
	s_cbranch_execz .LBB987_264
; %bb.263:
	v_ashrrev_i32_e32 v7, 31, v6
	v_ashrrev_i32_e32 v14, 31, v13
	v_lshlrev_b64 v[15:16], 2, v[6:7]
	v_lshlrev_b64 v[17:18], 2, v[13:14]
	v_add_co_u32 v14, vcc_lo, s14, v15
	v_add_co_ci_u32_e64 v15, null, s15, v16, vcc_lo
	v_add_co_u32 v16, vcc_lo, s14, v17
	v_add_co_ci_u32_e64 v17, null, s15, v18, vcc_lo
	s_clause 0x1
	global_load_dword v7, v[14:15], off
	global_load_dword v11, v[16:17], off
	s_waitcnt vmcnt(0)
	v_cmp_ge_i32_e32 vcc_lo, v7, v11
	s_and_b32 s5, vcc_lo, exec_lo
.LBB987_264:
	s_or_b32 exec_lo, exec_lo, s3
	s_orn2_b32 s3, s5, exec_lo
.LBB987_265:
	s_or_b32 exec_lo, exec_lo, s4
	v_cndmask_b32_e64 v7, v9, v8, s3
	v_cndmask_b32_e64 v11, v25, v23, s3
	s_mov_b32 s5, -1
	s_mov_b32 s4, -1
	s_mov_b32 s19, exec_lo
	v_add_nc_u32_e32 v7, 1, v7
	v_add_nc_u32_e32 v11, -1, v11
	v_cndmask_b32_e64 v9, v7, v9, s3
	v_min_u32_e32 v11, v7, v11
	v_lshlrev_b32_e32 v11, 2, v11
	ds_read_b32 v14, v11
	v_cndmask_b32_e64 v11, v8, v7, s3
	s_waitcnt lgkmcnt(0)
	v_cndmask_b32_e64 v7, v14, v6, s3
	v_cndmask_b32_e64 v14, v13, v14, s3
	v_cmpx_lt_u32_e64 v9, v25
	s_cbranch_execz .LBB987_269
; %bb.266:
	s_mov_b32 s20, 0
	s_mov_b32 s4, exec_lo
	v_cmpx_lt_u32_e64 v11, v23
	s_cbranch_execz .LBB987_268
; %bb.267:
	v_ashrrev_i32_e32 v8, 31, v7
	v_ashrrev_i32_e32 v15, 31, v14
	v_lshlrev_b64 v[16:17], 2, v[7:8]
	v_lshlrev_b64 v[18:19], 2, v[14:15]
	v_add_co_u32 v15, vcc_lo, s14, v16
	v_add_co_ci_u32_e64 v16, null, s15, v17, vcc_lo
	v_add_co_u32 v17, vcc_lo, s14, v18
	v_add_co_ci_u32_e64 v18, null, s15, v19, vcc_lo
	s_clause 0x1
	global_load_dword v8, v[15:16], off
	global_load_dword v15, v[17:18], off
	s_waitcnt vmcnt(0)
	v_cmp_ge_i32_e32 vcc_lo, v8, v15
	s_and_b32 s20, vcc_lo, exec_lo
.LBB987_268:
	s_or_b32 exec_lo, exec_lo, s4
	s_orn2_b32 s4, s20, exec_lo
.LBB987_269:
	s_or_b32 exec_lo, exec_lo, s19
	v_cndmask_b32_e64 v8, v9, v11, s4
	v_cndmask_b32_e64 v15, v25, v23, s4
	s_mov_b32 s19, exec_lo
	v_add_nc_u32_e32 v8, 1, v8
	v_add_nc_u32_e32 v15, -1, v15
	v_cndmask_b32_e64 v17, v8, v9, s4
	v_min_u32_e32 v15, v8, v15
	v_cndmask_b32_e64 v11, v11, v8, s4
	v_lshlrev_b32_e32 v15, 2, v15
	ds_read_b32 v15, v15
	s_waitcnt lgkmcnt(0)
	v_cndmask_b32_e64 v8, v15, v7, s4
	v_cndmask_b32_e64 v15, v14, v15, s4
	v_cmpx_lt_u32_e64 v17, v25
	s_cbranch_execz .LBB987_273
; %bb.270:
	s_mov_b32 s20, 0
	s_mov_b32 s5, exec_lo
	v_cmpx_lt_u32_e64 v11, v23
	s_cbranch_execz .LBB987_272
; %bb.271:
	v_ashrrev_i32_e32 v9, 31, v8
	v_ashrrev_i32_e32 v16, 31, v15
	v_lshlrev_b64 v[18:19], 2, v[8:9]
	v_lshlrev_b64 v[20:21], 2, v[15:16]
	v_add_co_u32 v18, vcc_lo, s14, v18
	v_add_co_ci_u32_e64 v19, null, s15, v19, vcc_lo
	v_add_co_u32 v20, vcc_lo, s14, v20
	v_add_co_ci_u32_e64 v21, null, s15, v21, vcc_lo
	s_clause 0x1
	global_load_dword v9, v[18:19], off
	global_load_dword v16, v[20:21], off
	s_waitcnt vmcnt(0)
	v_cmp_ge_i32_e32 vcc_lo, v9, v16
	s_and_b32 s20, vcc_lo, exec_lo
.LBB987_272:
	s_or_b32 exec_lo, exec_lo, s5
	s_orn2_b32 s5, s20, exec_lo
.LBB987_273:
	s_or_b32 exec_lo, exec_lo, s19
	v_cndmask_b32_e64 v9, v17, v11, s5
	v_cndmask_b32_e64 v16, v25, v23, s5
	s_mov_b32 s19, -1
	s_mov_b32 s20, -1
	s_mov_b32 s21, exec_lo
	v_add_nc_u32_e32 v18, 1, v9
	v_add_nc_u32_e32 v9, -1, v16
	v_cndmask_b32_e64 v11, v11, v18, s5
	v_min_u32_e32 v9, v18, v9
	v_lshlrev_b32_e32 v9, 2, v9
	ds_read_b32 v19, v9
	v_cndmask_b32_e64 v9, v18, v17, s5
	s_waitcnt lgkmcnt(0)
	v_cndmask_b32_e64 v16, v19, v8, s5
	v_cndmask_b32_e64 v18, v15, v19, s5
	v_cmpx_lt_u32_e64 v9, v25
	s_cbranch_execz .LBB987_277
; %bb.274:
	s_mov_b32 s22, 0
	s_mov_b32 s20, exec_lo
	v_cmpx_lt_u32_e64 v11, v23
	s_cbranch_execz .LBB987_276
; %bb.275:
	v_ashrrev_i32_e32 v17, 31, v16
	v_ashrrev_i32_e32 v19, 31, v18
	v_lshlrev_b64 v[20:21], 2, v[16:17]
	v_lshlrev_b64 v[47:48], 2, v[18:19]
	v_add_co_u32 v19, vcc_lo, s14, v20
	v_add_co_ci_u32_e64 v20, null, s15, v21, vcc_lo
	v_add_co_u32 v21, vcc_lo, s14, v47
	v_add_co_ci_u32_e64 v22, null, s15, v48, vcc_lo
	s_clause 0x1
	global_load_dword v17, v[19:20], off
	global_load_dword v19, v[21:22], off
	s_waitcnt vmcnt(0)
	v_cmp_ge_i32_e32 vcc_lo, v17, v19
	s_and_b32 s22, vcc_lo, exec_lo
.LBB987_276:
	s_or_b32 exec_lo, exec_lo, s20
	s_orn2_b32 s20, s22, exec_lo
.LBB987_277:
	s_or_b32 exec_lo, exec_lo, s21
	v_cndmask_b32_e64 v17, v9, v11, s20
	v_cndmask_b32_e64 v19, v25, v23, s20
	s_mov_b32 s21, exec_lo
	v_add_nc_u32_e32 v20, 1, v17
	v_add_nc_u32_e32 v17, -1, v19
	v_min_u32_e32 v17, v20, v17
	v_lshlrev_b32_e32 v17, 2, v17
	ds_read_b32 v21, v17
	v_cndmask_b32_e64 v17, v20, v9, s20
	v_cndmask_b32_e64 v9, v11, v20, s20
	s_waitcnt lgkmcnt(0)
	v_cndmask_b32_e64 v19, v21, v16, s20
	v_cndmask_b32_e64 v21, v18, v21, s20
	v_cmpx_lt_u32_e64 v17, v25
	s_cbranch_execz .LBB987_281
; %bb.278:
	s_mov_b32 s22, 0
	s_mov_b32 s19, exec_lo
	v_cmpx_lt_u32_e64 v9, v23
	s_cbranch_execz .LBB987_280
; %bb.279:
	v_ashrrev_i32_e32 v20, 31, v19
	v_ashrrev_i32_e32 v22, 31, v21
	v_lshlrev_b64 v[47:48], 2, v[19:20]
	v_lshlrev_b64 v[49:50], 2, v[21:22]
	v_add_co_u32 v47, vcc_lo, s14, v47
	v_add_co_ci_u32_e64 v48, null, s15, v48, vcc_lo
	v_add_co_u32 v49, vcc_lo, s14, v49
	v_add_co_ci_u32_e64 v50, null, s15, v50, vcc_lo
	s_clause 0x1
	global_load_dword v11, v[47:48], off
	global_load_dword v20, v[49:50], off
	s_waitcnt vmcnt(0)
	v_cmp_ge_i32_e32 vcc_lo, v11, v20
	s_and_b32 s22, vcc_lo, exec_lo
.LBB987_280:
	s_or_b32 exec_lo, exec_lo, s19
	s_orn2_b32 s19, s22, exec_lo
.LBB987_281:
	s_or_b32 exec_lo, exec_lo, s21
	v_cndmask_b32_e64 v11, v17, v9, s19
	v_cndmask_b32_e64 v22, v25, v23, s19
	s_mov_b32 s21, exec_lo
	v_add_nc_u32_e32 v20, 1, v11
	v_add_nc_u32_e32 v11, -1, v22
	v_cndmask_b32_e64 v17, v20, v17, s19
	v_min_u32_e32 v11, v20, v11
	v_lshlrev_b32_e32 v11, 2, v11
	ds_read_b32 v22, v11
	s_waitcnt lgkmcnt(0)
	v_cndmask_b32_e64 v11, v21, v22, s19
	v_cmpx_lt_u32_e64 v17, v25
	s_cbranch_execz .LBB987_285
; %bb.282:
	v_cndmask_b32_e64 v9, v9, v20, s19
	v_cndmask_b32_e64 v22, v22, v19, s19
	s_mov_b32 s22, exec_lo
	v_cmpx_lt_u32_e64 v9, v23
	s_cbranch_execz .LBB987_284
; %bb.283:
	v_ashrrev_i32_e32 v23, 31, v22
	v_ashrrev_i32_e32 v26, 31, v11
	v_mov_b32_e32 v25, v11
	v_lshlrev_b64 v[47:48], 2, v[22:23]
	v_lshlrev_b64 v[25:26], 2, v[25:26]
	v_add_co_u32 v47, vcc_lo, s14, v47
	v_add_co_ci_u32_e64 v48, null, s15, v48, vcc_lo
	v_add_co_u32 v25, vcc_lo, s14, v25
	v_add_co_ci_u32_e64 v26, null, s15, v26, vcc_lo
	s_clause 0x1
	global_load_dword v9, v[47:48], off
	global_load_dword v17, v[25:26], off
	s_waitcnt vmcnt(0)
	v_cmp_lt_i32_e32 vcc_lo, v9, v17
	v_cndmask_b32_e32 v22, v11, v22, vcc_lo
.LBB987_284:
	s_or_b32 exec_lo, exec_lo, s22
	v_mov_b32_e32 v11, v22
.LBB987_285:
	s_or_b32 exec_lo, exec_lo, s21
	v_cndmask_b32_e64 v9, v16, v18, s20
	v_cndmask_b32_e64 v8, v8, v15, s5
	;; [unrolled: 1-line block ×7, first 2 shown]
.LBB987_286:
	s_or_b32 exec_lo, exec_lo, s1
	v_and_b32_e32 v13, 0x7f8, v46
	s_mov_b32 s0, exec_lo
	s_barrier
	buffer_gl0_inv
	v_subrev_nc_u32_e64 v12, 0x400, v13 clamp
	v_min_u32_e32 v14, 0x400, v13
	ds_write_b128 v24, v[4:7]
	ds_write_b128 v24, v[8:11] offset:16
	s_waitcnt lgkmcnt(0)
	s_barrier
	buffer_gl0_inv
	v_cmpx_lt_u32_e64 v12, v14
	s_cbranch_execz .LBB987_290
; %bb.287:
	v_lshlrev_b32_e32 v15, 2, v13
	s_mov_b32 s1, 0
	v_lshl_add_u32 v15, 0x400, 2, v15
	s_inst_prefetch 0x1
	.p2align	6
.LBB987_288:                            ; =>This Inner Loop Header: Depth=1
	v_add_nc_u32_e32 v16, v14, v12
	v_lshrrev_b32_e32 v20, 1, v16
	v_not_b32_e32 v16, v20
	v_lshlrev_b32_e32 v17, 2, v20
	v_lshl_add_u32 v18, v16, 2, v15
	ds_read_b32 v16, v17
	ds_read_b32 v18, v18
	s_waitcnt lgkmcnt(1)
	v_ashrrev_i32_e32 v17, 31, v16
	s_waitcnt lgkmcnt(0)
	v_ashrrev_i32_e32 v19, 31, v18
	v_lshlrev_b64 v[16:17], 2, v[16:17]
	v_lshlrev_b64 v[18:19], 2, v[18:19]
	v_add_co_u32 v16, vcc_lo, s14, v16
	v_add_co_ci_u32_e64 v17, null, s15, v17, vcc_lo
	v_add_co_u32 v18, vcc_lo, s14, v18
	v_add_co_ci_u32_e64 v19, null, s15, v19, vcc_lo
	s_clause 0x1
	global_load_dword v18, v[18:19], off
	global_load_dword v16, v[16:17], off
	v_add_nc_u32_e32 v17, 1, v20
	s_waitcnt vmcnt(0)
	v_cmp_lt_i32_e32 vcc_lo, v18, v16
	v_cndmask_b32_e32 v14, v14, v20, vcc_lo
	v_cndmask_b32_e32 v12, v17, v12, vcc_lo
	v_cmp_ge_u32_e32 vcc_lo, v12, v14
	s_or_b32 s1, vcc_lo, s1
	s_andn2_b32 exec_lo, exec_lo, s1
	s_cbranch_execnz .LBB987_288
; %bb.289:
	s_inst_prefetch 0x2
	s_or_b32 exec_lo, exec_lo, s1
.LBB987_290:
	s_or_b32 exec_lo, exec_lo, s0
	v_sub_nc_u32_e32 v13, v13, v12
	v_cmp_ge_u32_e32 vcc_lo, 0x400, v12
	v_add_nc_u32_e32 v13, 0x400, v13
	v_cmp_gt_u32_e64 s0, 0x801, v13
	s_or_b32 s0, vcc_lo, s0
	s_and_saveexec_b32 s1, s0
	s_cbranch_execz .LBB987_326
; %bb.291:
	s_mov_b32 s2, exec_lo
	v_cmp_le_u32_e32 vcc_lo, 0x400, v12
                                        ; implicit-def: $vgpr4
	v_cmpx_gt_u32_e32 0x400, v12
; %bb.292:
	v_lshlrev_b32_e32 v4, 2, v12
	ds_read_b32 v4, v4
; %bb.293:
	s_or_b32 exec_lo, exec_lo, s2
	v_cmp_lt_u32_e64 s2, 0x7ff, v13
	s_mov_b32 s3, exec_lo
                                        ; implicit-def: $vgpr10
	v_cmpx_gt_u32_e32 0x800, v13
; %bb.294:
	v_lshlrev_b32_e32 v5, 2, v13
	ds_read_b32 v10, v5
; %bb.295:
	s_or_b32 exec_lo, exec_lo, s3
	s_nor_b32 s3, vcc_lo, s2
	s_and_saveexec_b32 s0, s3
	s_cbranch_execz .LBB987_297
; %bb.296:
	s_waitcnt lgkmcnt(0)
	v_ashrrev_i32_e32 v11, 31, v10
	v_ashrrev_i32_e32 v5, 31, v4
	s_andn2_b32 s2, s2, exec_lo
	v_lshlrev_b64 v[6:7], 2, v[10:11]
	v_lshlrev_b64 v[8:9], 2, v[4:5]
	v_add_co_u32 v5, vcc_lo, s14, v6
	v_add_co_ci_u32_e64 v6, null, s15, v7, vcc_lo
	v_add_co_u32 v7, vcc_lo, s14, v8
	v_add_co_ci_u32_e64 v8, null, s15, v9, vcc_lo
	s_clause 0x1
	global_load_dword v5, v[5:6], off
	global_load_dword v6, v[7:8], off
	s_waitcnt vmcnt(0)
	v_cmp_ge_i32_e32 vcc_lo, v5, v6
	s_and_b32 s3, vcc_lo, exec_lo
	s_or_b32 s2, s2, s3
.LBB987_297:
	s_or_b32 exec_lo, exec_lo, s0
	v_cndmask_b32_e64 v5, v13, v12, s2
	v_add_nc_u32_e64 v11, 0x400, -1
	s_mov_b32 s3, -1
	s_mov_b32 s0, -1
	s_mov_b32 s4, exec_lo
	v_add_nc_u32_e32 v5, 1, v5
	v_cndmask_b32_e64 v6, 0x7ff, v11, s2
	v_cndmask_b32_e64 v7, v5, v13, s2
	v_min_u32_e32 v6, v5, v6
	v_cndmask_b32_e64 v8, v12, v5, s2
	v_lshlrev_b32_e32 v6, 2, v6
	ds_read_b32 v6, v6
	s_waitcnt lgkmcnt(0)
	v_cndmask_b32_e64 v5, v6, v10, s2
	v_cndmask_b32_e64 v12, v4, v6, s2
	v_cmpx_gt_u32_e32 0x800, v7
	s_cbranch_execz .LBB987_301
; %bb.298:
	s_mov_b32 s5, 0
	s_mov_b32 s0, exec_lo
	v_cmpx_gt_u32_e32 0x400, v8
	s_cbranch_execz .LBB987_300
; %bb.299:
	v_ashrrev_i32_e32 v6, 31, v5
	v_ashrrev_i32_e32 v13, 31, v12
	v_lshlrev_b64 v[14:15], 2, v[5:6]
	v_lshlrev_b64 v[16:17], 2, v[12:13]
	v_add_co_u32 v13, vcc_lo, s14, v14
	v_add_co_ci_u32_e64 v14, null, s15, v15, vcc_lo
	v_add_co_u32 v15, vcc_lo, s14, v16
	v_add_co_ci_u32_e64 v16, null, s15, v17, vcc_lo
	s_clause 0x1
	global_load_dword v6, v[13:14], off
	global_load_dword v9, v[15:16], off
	s_waitcnt vmcnt(0)
	v_cmp_ge_i32_e32 vcc_lo, v6, v9
	s_and_b32 s5, vcc_lo, exec_lo
.LBB987_300:
	s_or_b32 exec_lo, exec_lo, s0
	s_orn2_b32 s0, s5, exec_lo
.LBB987_301:
	s_or_b32 exec_lo, exec_lo, s4
	v_cndmask_b32_e64 v6, v7, v8, s0
	v_cndmask_b32_e64 v9, 0x7ff, v11, s0
	s_mov_b32 s4, exec_lo
	v_add_nc_u32_e32 v6, 1, v6
	v_min_u32_e32 v9, v6, v9
	v_cndmask_b32_e64 v8, v8, v6, s0
	v_lshlrev_b32_e32 v9, 2, v9
	ds_read_b32 v13, v9
	v_cndmask_b32_e64 v9, v6, v7, s0
	s_waitcnt lgkmcnt(0)
	v_cndmask_b32_e64 v6, v13, v5, s0
	v_cndmask_b32_e64 v13, v12, v13, s0
	v_cmpx_gt_u32_e32 0x800, v9
	s_cbranch_execz .LBB987_305
; %bb.302:
	s_mov_b32 s5, 0
	s_mov_b32 s3, exec_lo
	v_cmpx_gt_u32_e32 0x400, v8
	s_cbranch_execz .LBB987_304
; %bb.303:
	v_ashrrev_i32_e32 v7, 31, v6
	v_ashrrev_i32_e32 v14, 31, v13
	v_lshlrev_b64 v[15:16], 2, v[6:7]
	v_lshlrev_b64 v[17:18], 2, v[13:14]
	v_add_co_u32 v14, vcc_lo, s14, v15
	v_add_co_ci_u32_e64 v15, null, s15, v16, vcc_lo
	v_add_co_u32 v16, vcc_lo, s14, v17
	v_add_co_ci_u32_e64 v17, null, s15, v18, vcc_lo
	s_clause 0x1
	global_load_dword v7, v[14:15], off
	global_load_dword v14, v[16:17], off
	s_waitcnt vmcnt(0)
	v_cmp_ge_i32_e32 vcc_lo, v7, v14
	s_and_b32 s5, vcc_lo, exec_lo
.LBB987_304:
	s_or_b32 exec_lo, exec_lo, s3
	s_orn2_b32 s3, s5, exec_lo
.LBB987_305:
	s_or_b32 exec_lo, exec_lo, s4
	v_cndmask_b32_e64 v7, v9, v8, s3
	v_cndmask_b32_e64 v14, 0x7ff, v11, s3
	s_mov_b32 s5, -1
	s_mov_b32 s4, -1
	s_mov_b32 s19, exec_lo
	v_add_nc_u32_e32 v7, 1, v7
	v_min_u32_e32 v14, v7, v14
	v_cndmask_b32_e64 v9, v7, v9, s3
	v_cndmask_b32_e64 v16, v8, v7, s3
	v_lshlrev_b32_e32 v14, 2, v14
	ds_read_b32 v14, v14
	s_waitcnt lgkmcnt(0)
	v_cndmask_b32_e64 v7, v14, v6, s3
	v_cndmask_b32_e64 v14, v13, v14, s3
	v_cmpx_gt_u32_e32 0x800, v9
	s_cbranch_execz .LBB987_309
; %bb.306:
	s_mov_b32 s20, 0
	s_mov_b32 s4, exec_lo
	v_cmpx_gt_u32_e32 0x400, v16
	s_cbranch_execz .LBB987_308
; %bb.307:
	v_ashrrev_i32_e32 v8, 31, v7
	v_ashrrev_i32_e32 v15, 31, v14
	v_lshlrev_b64 v[17:18], 2, v[7:8]
	v_lshlrev_b64 v[19:20], 2, v[14:15]
	v_add_co_u32 v17, vcc_lo, s14, v17
	v_add_co_ci_u32_e64 v18, null, s15, v18, vcc_lo
	v_add_co_u32 v19, vcc_lo, s14, v19
	v_add_co_ci_u32_e64 v20, null, s15, v20, vcc_lo
	s_clause 0x1
	global_load_dword v8, v[17:18], off
	global_load_dword v15, v[19:20], off
	s_waitcnt vmcnt(0)
	v_cmp_ge_i32_e32 vcc_lo, v8, v15
	s_and_b32 s20, vcc_lo, exec_lo
.LBB987_308:
	s_or_b32 exec_lo, exec_lo, s4
	s_orn2_b32 s4, s20, exec_lo
.LBB987_309:
	s_or_b32 exec_lo, exec_lo, s19
	v_cndmask_b32_e64 v8, v9, v16, s4
	v_cndmask_b32_e64 v15, 0x7ff, v11, s4
	s_mov_b32 s19, exec_lo
	v_add_nc_u32_e32 v8, 1, v8
	v_min_u32_e32 v15, v8, v15
	v_cndmask_b32_e64 v17, v8, v9, s4
	v_cndmask_b32_e64 v18, v16, v8, s4
	v_lshlrev_b32_e32 v15, 2, v15
	ds_read_b32 v15, v15
	s_waitcnt lgkmcnt(0)
	v_cndmask_b32_e64 v8, v15, v7, s4
	v_cndmask_b32_e64 v15, v14, v15, s4
	v_cmpx_gt_u32_e32 0x800, v17
	s_cbranch_execz .LBB987_313
; %bb.310:
	s_mov_b32 s20, 0
	s_mov_b32 s5, exec_lo
	v_cmpx_gt_u32_e32 0x400, v18
	s_cbranch_execz .LBB987_312
; %bb.311:
	v_ashrrev_i32_e32 v9, 31, v8
	v_ashrrev_i32_e32 v16, 31, v15
	v_lshlrev_b64 v[19:20], 2, v[8:9]
	v_lshlrev_b64 v[21:22], 2, v[15:16]
	v_add_co_u32 v19, vcc_lo, s14, v19
	v_add_co_ci_u32_e64 v20, null, s15, v20, vcc_lo
	v_add_co_u32 v21, vcc_lo, s14, v21
	v_add_co_ci_u32_e64 v22, null, s15, v22, vcc_lo
	s_clause 0x1
	global_load_dword v9, v[19:20], off
	global_load_dword v16, v[21:22], off
	s_waitcnt vmcnt(0)
	v_cmp_ge_i32_e32 vcc_lo, v9, v16
	s_and_b32 s20, vcc_lo, exec_lo
.LBB987_312:
	s_or_b32 exec_lo, exec_lo, s5
	s_orn2_b32 s5, s20, exec_lo
.LBB987_313:
	s_or_b32 exec_lo, exec_lo, s19
	v_cndmask_b32_e64 v9, v17, v18, s5
	v_cndmask_b32_e64 v16, 0x7ff, v11, s5
	s_mov_b32 s19, -1
	s_mov_b32 s20, -1
	s_mov_b32 s21, exec_lo
	v_add_nc_u32_e32 v19, 1, v9
	v_min_u32_e32 v9, v19, v16
	v_cndmask_b32_e64 v20, v18, v19, s5
	v_lshlrev_b32_e32 v9, 2, v9
	ds_read_b32 v21, v9
	v_cndmask_b32_e64 v9, v19, v17, s5
	s_waitcnt lgkmcnt(0)
	v_cndmask_b32_e64 v16, v21, v8, s5
	v_cndmask_b32_e64 v18, v15, v21, s5
	v_cmpx_gt_u32_e32 0x800, v9
	s_cbranch_execz .LBB987_317
; %bb.314:
	s_mov_b32 s22, 0
	s_mov_b32 s20, exec_lo
	v_cmpx_gt_u32_e32 0x400, v20
	s_cbranch_execz .LBB987_316
; %bb.315:
	v_ashrrev_i32_e32 v17, 31, v16
	v_ashrrev_i32_e32 v19, 31, v18
	v_lshlrev_b64 v[21:22], 2, v[16:17]
	v_lshlrev_b64 v[23:24], 2, v[18:19]
	v_add_co_u32 v21, vcc_lo, s14, v21
	v_add_co_ci_u32_e64 v22, null, s15, v22, vcc_lo
	v_add_co_u32 v23, vcc_lo, s14, v23
	v_add_co_ci_u32_e64 v24, null, s15, v24, vcc_lo
	s_clause 0x1
	global_load_dword v17, v[21:22], off
	global_load_dword v19, v[23:24], off
	s_waitcnt vmcnt(0)
	v_cmp_ge_i32_e32 vcc_lo, v17, v19
	s_and_b32 s22, vcc_lo, exec_lo
.LBB987_316:
	s_or_b32 exec_lo, exec_lo, s20
	s_orn2_b32 s20, s22, exec_lo
.LBB987_317:
	s_or_b32 exec_lo, exec_lo, s21
	v_cndmask_b32_e64 v17, v9, v20, s20
	v_cndmask_b32_e64 v19, 0x7ff, v11, s20
	s_mov_b32 s21, exec_lo
	v_add_nc_u32_e32 v21, 1, v17
	v_min_u32_e32 v17, v21, v19
	v_lshlrev_b32_e32 v17, 2, v17
	ds_read_b32 v22, v17
	v_cndmask_b32_e64 v17, v21, v9, s20
	v_cndmask_b32_e64 v9, v20, v21, s20
	s_waitcnt lgkmcnt(0)
	v_cndmask_b32_e64 v19, v22, v16, s20
	v_cndmask_b32_e64 v21, v18, v22, s20
	v_cmpx_gt_u32_e32 0x800, v17
	s_cbranch_execz .LBB987_321
; %bb.318:
	s_mov_b32 s22, 0
	s_mov_b32 s19, exec_lo
	v_cmpx_gt_u32_e32 0x400, v9
	s_cbranch_execz .LBB987_320
; %bb.319:
	v_ashrrev_i32_e32 v20, 31, v19
	v_ashrrev_i32_e32 v22, 31, v21
	v_lshlrev_b64 v[23:24], 2, v[19:20]
	v_lshlrev_b64 v[25:26], 2, v[21:22]
	v_add_co_u32 v22, vcc_lo, s14, v23
	v_add_co_ci_u32_e64 v23, null, s15, v24, vcc_lo
	v_add_co_u32 v24, vcc_lo, s14, v25
	v_add_co_ci_u32_e64 v25, null, s15, v26, vcc_lo
	s_clause 0x1
	global_load_dword v20, v[22:23], off
	global_load_dword v22, v[24:25], off
	s_waitcnt vmcnt(0)
	v_cmp_ge_i32_e32 vcc_lo, v20, v22
	s_and_b32 s22, vcc_lo, exec_lo
.LBB987_320:
	s_or_b32 exec_lo, exec_lo, s19
	s_orn2_b32 s19, s22, exec_lo
.LBB987_321:
	s_or_b32 exec_lo, exec_lo, s21
	v_cndmask_b32_e64 v20, v17, v9, s19
	v_cndmask_b32_e64 v11, 0x7ff, v11, s19
	s_mov_b32 s21, exec_lo
	v_add_nc_u32_e32 v20, 1, v20
	v_min_u32_e32 v11, v20, v11
	v_cndmask_b32_e64 v17, v20, v17, s19
	v_lshlrev_b32_e32 v11, 2, v11
	ds_read_b32 v22, v11
	s_waitcnt lgkmcnt(0)
	v_cndmask_b32_e64 v11, v21, v22, s19
	v_cmpx_gt_u32_e32 0x800, v17
	s_cbranch_execz .LBB987_325
; %bb.322:
	v_cndmask_b32_e64 v9, v9, v20, s19
	v_cndmask_b32_e64 v22, v22, v19, s19
	s_mov_b32 s22, exec_lo
	v_cmpx_gt_u32_e32 0x400, v9
	s_cbranch_execz .LBB987_324
; %bb.323:
	v_ashrrev_i32_e32 v23, 31, v22
	v_ashrrev_i32_e32 v25, 31, v11
	v_mov_b32_e32 v24, v11
	v_lshlrev_b64 v[46:47], 2, v[22:23]
	v_lshlrev_b64 v[23:24], 2, v[24:25]
	v_add_co_u32 v25, vcc_lo, s14, v46
	v_add_co_ci_u32_e64 v26, null, s15, v47, vcc_lo
	v_add_co_u32 v23, vcc_lo, s14, v23
	v_add_co_ci_u32_e64 v24, null, s15, v24, vcc_lo
	s_clause 0x1
	global_load_dword v9, v[25:26], off
	global_load_dword v17, v[23:24], off
	s_waitcnt vmcnt(0)
	v_cmp_lt_i32_e32 vcc_lo, v9, v17
	v_cndmask_b32_e32 v22, v11, v22, vcc_lo
.LBB987_324:
	s_or_b32 exec_lo, exec_lo, s22
	v_mov_b32_e32 v11, v22
.LBB987_325:
	s_or_b32 exec_lo, exec_lo, s21
	v_cndmask_b32_e64 v9, v16, v18, s20
	v_cndmask_b32_e64 v8, v8, v15, s5
	v_cndmask_b32_e64 v7, v7, v14, s4
	v_cndmask_b32_e64 v6, v6, v13, s3
	v_cndmask_b32_e64 v5, v5, v12, s0
	v_cndmask_b32_e64 v4, v10, v4, s2
	v_cndmask_b32_e64 v10, v19, v21, s19
.LBB987_326:
	s_or_b32 exec_lo, exec_lo, s1
	s_barrier
	buffer_gl0_inv
	s_barrier
	buffer_gl0_inv
	ds_write2_b32 v43, v4, v5 offset1:1
	ds_write2_b32 v43, v6, v7 offset0:2 offset1:3
	ds_write2_b32 v43, v8, v9 offset0:4 offset1:5
	;; [unrolled: 1-line block ×3, first 2 shown]
	s_waitcnt lgkmcnt(0)
	s_barrier
	buffer_gl0_inv
	ds_read_b32 v9, v37
	ds_read_b32 v10, v44 offset:1024
	ds_read_b32 v11, v45 offset:2048
	;; [unrolled: 1-line block ×7, first 2 shown]
	v_add_co_u32 v5, s0, s17, v27
	v_add_co_ci_u32_e64 v6, null, s18, 0, s0
	v_add_co_u32 v7, vcc_lo, 0x800, v5
	v_add_co_ci_u32_e64 v8, null, 0, v6, vcc_lo
	s_waitcnt lgkmcnt(7)
	flat_store_dword v[5:6], v9
	s_waitcnt lgkmcnt(7)
	flat_store_dword v[5:6], v10 offset:1024
	v_add_co_u32 v9, vcc_lo, 0x1000, v5
	v_add_co_ci_u32_e64 v10, null, 0, v6, vcc_lo
	v_add_co_u32 v5, vcc_lo, 0x1800, v5
	v_add_co_ci_u32_e64 v6, null, 0, v6, vcc_lo
	s_waitcnt lgkmcnt(7)
	flat_store_dword v[7:8], v11
	s_waitcnt lgkmcnt(7)
	flat_store_dword v[7:8], v12 offset:1024
	s_waitcnt lgkmcnt(7)
	flat_store_dword v[9:10], v13
	s_waitcnt lgkmcnt(7)
	flat_store_dword v[9:10], v14 offset:1024
	s_mov_b32 s19, -1
	s_waitcnt lgkmcnt(7)
	flat_store_dword v[5:6], v15
	s_branch .LBB987_668
.LBB987_327:
	s_mov_b32 s19, s9
                                        ; implicit-def: $vgpr4
	s_cbranch_execz .LBB987_668
; %bb.328:
	s_waitcnt lgkmcnt(7)
	v_mov_b32_e32 v4, 0
	s_lshl_b64 s[0:1], s[8:9], 11
	s_sub_i32 s16, s16, s0
	v_cmp_gt_u32_e32 vcc_lo, s16, v0
	v_mov_b32_e32 v5, v4
	v_mov_b32_e32 v6, v4
	;; [unrolled: 1-line block ×7, first 2 shown]
	s_and_saveexec_b32 s0, vcc_lo
	s_cbranch_execz .LBB987_336
; %bb.329:
	v_add_co_u32 v5, s1, s7, v27
	v_add_co_ci_u32_e64 v6, null, s13, 0, s1
	v_mov_b32_e32 v12, v4
	v_mov_b32_e32 v7, v4
	;; [unrolled: 1-line block ×3, first 2 shown]
	flat_load_dword v5, v[5:6]
	v_mov_b32_e32 v6, v4
	v_mov_b32_e32 v9, v4
	;; [unrolled: 1-line block ×4, first 2 shown]
	s_waitcnt vmcnt(0) lgkmcnt(0)
	v_mov_b32_e32 v4, v5
	v_mov_b32_e32 v5, v6
	;; [unrolled: 1-line block ×8, first 2 shown]
	s_or_b32 exec_lo, exec_lo, s0
	v_cmp_gt_u32_e64 s0, s16, v36
	s_and_saveexec_b32 s1, s0
	s_cbranch_execnz .LBB987_337
.LBB987_330:
	s_or_b32 exec_lo, exec_lo, s1
	v_cmp_gt_u32_e64 s1, s16, v35
	s_and_saveexec_b32 s2, s1
	s_cbranch_execz .LBB987_338
.LBB987_331:
	v_lshlrev_b32_e32 v1, 2, v35
	v_add_co_u32 v12, s3, s7, v1
	v_add_co_ci_u32_e64 v13, null, s13, 0, s3
	flat_load_dword v6, v[12:13]
	s_or_b32 exec_lo, exec_lo, s2
	v_cmp_gt_u32_e64 s2, s16, v33
	s_and_saveexec_b32 s3, s2
	s_cbranch_execnz .LBB987_339
.LBB987_332:
	s_or_b32 exec_lo, exec_lo, s3
	v_cmp_gt_u32_e64 s3, s16, v32
	s_and_saveexec_b32 s4, s3
	s_cbranch_execz .LBB987_340
.LBB987_333:
	v_lshlrev_b32_e32 v1, 2, v32
	v_add_co_u32 v12, s5, s7, v1
	v_add_co_ci_u32_e64 v13, null, s13, 0, s5
	flat_load_dword v8, v[12:13]
	s_or_b32 exec_lo, exec_lo, s4
	v_cmp_gt_u32_e64 s4, s16, v31
	s_and_saveexec_b32 s5, s4
	s_cbranch_execnz .LBB987_341
.LBB987_334:
	s_or_b32 exec_lo, exec_lo, s5
	v_cmp_gt_u32_e64 s5, s16, v30
	s_and_saveexec_b32 s8, s5
	s_cbranch_execz .LBB987_342
.LBB987_335:
	v_lshlrev_b32_e32 v1, 2, v30
	v_add_co_u32 v12, s9, s7, v1
	v_add_co_ci_u32_e64 v13, null, s13, 0, s9
	flat_load_dword v10, v[12:13]
	s_or_b32 exec_lo, exec_lo, s8
	v_cmp_gt_u32_e64 s19, s16, v29
	s_and_saveexec_b32 s8, s19
	s_cbranch_execnz .LBB987_343
	s_branch .LBB987_344
.LBB987_336:
	s_or_b32 exec_lo, exec_lo, s0
	v_cmp_gt_u32_e64 s0, s16, v36
	s_and_saveexec_b32 s1, s0
	s_cbranch_execz .LBB987_330
.LBB987_337:
	v_add_co_u32 v12, s2, s7, v27
	v_add_co_ci_u32_e64 v13, null, s13, 0, s2
	flat_load_dword v5, v[12:13] offset:1024
	s_or_b32 exec_lo, exec_lo, s1
	v_cmp_gt_u32_e64 s1, s16, v35
	s_and_saveexec_b32 s2, s1
	s_cbranch_execnz .LBB987_331
.LBB987_338:
	s_or_b32 exec_lo, exec_lo, s2
	v_cmp_gt_u32_e64 s2, s16, v33
	s_and_saveexec_b32 s3, s2
	s_cbranch_execz .LBB987_332
.LBB987_339:
	v_lshlrev_b32_e32 v1, 2, v33
	v_add_co_u32 v12, s4, s7, v1
	v_add_co_ci_u32_e64 v13, null, s13, 0, s4
	flat_load_dword v7, v[12:13]
	s_or_b32 exec_lo, exec_lo, s3
	v_cmp_gt_u32_e64 s3, s16, v32
	s_and_saveexec_b32 s4, s3
	s_cbranch_execnz .LBB987_333
.LBB987_340:
	s_or_b32 exec_lo, exec_lo, s4
	v_cmp_gt_u32_e64 s4, s16, v31
	s_and_saveexec_b32 s5, s4
	s_cbranch_execz .LBB987_334
.LBB987_341:
	v_lshlrev_b32_e32 v1, 2, v31
	v_add_co_u32 v12, s8, s7, v1
	v_add_co_ci_u32_e64 v13, null, s13, 0, s8
	flat_load_dword v9, v[12:13]
	s_or_b32 exec_lo, exec_lo, s5
	v_cmp_gt_u32_e64 s5, s16, v30
	s_and_saveexec_b32 s8, s5
	s_cbranch_execnz .LBB987_335
.LBB987_342:
	s_or_b32 exec_lo, exec_lo, s8
	v_cmp_gt_u32_e64 s19, s16, v29
	s_and_saveexec_b32 s8, s19
	s_cbranch_execz .LBB987_344
.LBB987_343:
	v_lshlrev_b32_e32 v1, 2, v29
	v_add_co_u32 v11, s7, s7, v1
	v_add_co_ci_u32_e64 v12, null, s13, 0, s7
	flat_load_dword v11, v[11:12]
.LBB987_344:
	s_or_b32 exec_lo, exec_lo, s8
	v_lshrrev_b32_e32 v1, 3, v36
	v_lshrrev_b32_e32 v12, 3, v35
	v_and_b32_e32 v13, 28, v34
	v_lshrrev_b32_e32 v14, 3, v33
	v_lshrrev_b32_e32 v15, 3, v32
	v_and_b32_e32 v1, 60, v1
	v_and_b32_e32 v12, 0x7c, v12
	v_add_nc_u32_e32 v23, v13, v27
	v_lshrrev_b32_e32 v16, 3, v31
	v_lshl_add_u32 v28, v0, 5, v28
	v_add_nc_u32_e32 v24, v1, v27
	v_add_nc_u32_e32 v25, v12, v27
	v_lshrrev_b32_e32 v1, 3, v30
	v_and_b32_e32 v12, 0x7c, v14
	ds_write_b32 v23, v4
	s_waitcnt vmcnt(0) lgkmcnt(1)
	ds_write_b32 v24, v5 offset:1024
	ds_write_b32 v25, v6 offset:2048
	v_lshrrev_b32_e32 v4, 3, v29
	v_and_b32_e32 v5, 0xfc, v15
	v_and_b32_e32 v6, 0xfc, v16
	v_and_b32_e32 v1, 0xfc, v1
	v_add_nc_u32_e32 v26, v12, v27
	v_and_b32_e32 v4, 0xfc, v4
	v_add_nc_u32_e32 v29, v5, v27
	v_add_nc_u32_e32 v30, v6, v27
	;; [unrolled: 1-line block ×3, first 2 shown]
	ds_write_b32 v26, v7 offset:3072
	v_add_nc_u32_e32 v32, v4, v27
	ds_write_b32 v29, v8 offset:4096
	ds_write_b32 v30, v9 offset:5120
	;; [unrolled: 1-line block ×3, first 2 shown]
	v_mov_b32_e32 v1, 0
	ds_write_b32 v32, v11 offset:7168
	s_waitcnt lgkmcnt(0)
	s_waitcnt_vscnt null, 0x0
	s_barrier
	buffer_gl0_inv
	ds_read2_b32 v[8:9], v28 offset1:1
	ds_read2_b32 v[10:11], v28 offset0:2 offset1:3
	ds_read2_b32 v[4:5], v28 offset0:4 offset1:5
	;; [unrolled: 1-line block ×3, first 2 shown]
	s_waitcnt lgkmcnt(0)
	s_barrier
	buffer_gl0_inv
	s_load_dword s7, s[10:11], 0xc
	s_waitcnt lgkmcnt(0)
	s_lshr_b32 s8, s7, 16
	s_cmp_lt_u32 s6, s12
	v_mad_u32_u24 v2, v2, s8, v3
	s_cselect_b32 s6, 12, 18
	s_add_u32 s6, s10, s6
	s_addc_u32 s7, s11, 0
	global_load_ushort v1, v1, s[6:7]
	s_waitcnt vmcnt(0)
	v_mul_lo_u32 v1, v2, v1
	v_add_lshl_u32 v1, v1, v0, 3
	v_sub_nc_u32_e64 v2, s16, v1 clamp
	v_cmp_lt_u32_e64 s6, 1, v2
	s_and_saveexec_b32 s8, s6
	s_cbranch_execz .LBB987_352
; %bb.345:
	v_ashrrev_i32_e32 v13, 31, v9
	v_mov_b32_e32 v12, v9
	v_ashrrev_i32_e32 v15, 31, v8
	v_mov_b32_e32 v14, v8
	v_lshlrev_b64 v[12:13], 2, v[12:13]
	v_lshlrev_b64 v[14:15], 2, v[14:15]
	v_add_co_u32 v12, s7, s14, v12
	v_add_co_ci_u32_e64 v13, null, s15, v13, s7
	v_add_co_u32 v14, s7, s14, v14
	v_add_co_ci_u32_e64 v15, null, s15, v15, s7
	s_clause 0x1
	global_load_dword v3, v[12:13], off
	global_load_dword v12, v[14:15], off
	s_waitcnt vmcnt(0)
	v_cmp_lt_i32_e64 s7, v3, v12
	v_mov_b32_e32 v3, v9
	s_and_saveexec_b32 s9, s7
; %bb.346:
	v_mov_b32_e32 v3, v8
	v_mov_b32_e32 v8, v9
; %bb.347:
	s_or_b32 exec_lo, exec_lo, s9
	v_mov_b32_e32 v9, v3
	s_or_b32 exec_lo, exec_lo, s8
	v_cmp_lt_u32_e64 s7, 3, v2
	s_and_saveexec_b32 s9, s7
	s_cbranch_execnz .LBB987_353
.LBB987_348:
	s_or_b32 exec_lo, exec_lo, s9
	v_cmp_lt_u32_e64 s8, 5, v2
	s_and_saveexec_b32 s10, s8
	s_cbranch_execz .LBB987_356
.LBB987_349:
	v_ashrrev_i32_e32 v13, 31, v5
	v_mov_b32_e32 v12, v5
	v_ashrrev_i32_e32 v15, 31, v4
	v_mov_b32_e32 v14, v4
	v_lshlrev_b64 v[12:13], 2, v[12:13]
	v_lshlrev_b64 v[14:15], 2, v[14:15]
	v_add_co_u32 v12, s9, s14, v12
	v_add_co_ci_u32_e64 v13, null, s15, v13, s9
	v_add_co_u32 v14, s9, s14, v14
	v_add_co_ci_u32_e64 v15, null, s15, v15, s9
	s_clause 0x1
	global_load_dword v3, v[12:13], off
	global_load_dword v12, v[14:15], off
	s_waitcnt vmcnt(0)
	v_cmp_lt_i32_e64 s9, v3, v12
	v_mov_b32_e32 v3, v5
	s_and_saveexec_b32 s11, s9
; %bb.350:
	v_mov_b32_e32 v3, v4
	v_mov_b32_e32 v4, v5
; %bb.351:
	s_or_b32 exec_lo, exec_lo, s11
	v_mov_b32_e32 v5, v3
	s_or_b32 exec_lo, exec_lo, s10
	v_cmp_lt_u32_e64 s9, 7, v2
	s_and_saveexec_b32 s11, s9
	s_cbranch_execz .LBB987_360
	s_branch .LBB987_357
.LBB987_352:
	s_or_b32 exec_lo, exec_lo, s8
	v_cmp_lt_u32_e64 s7, 3, v2
	s_and_saveexec_b32 s9, s7
	s_cbranch_execz .LBB987_348
.LBB987_353:
	v_ashrrev_i32_e32 v13, 31, v11
	v_mov_b32_e32 v12, v11
	v_ashrrev_i32_e32 v15, 31, v10
	v_mov_b32_e32 v14, v10
	v_lshlrev_b64 v[12:13], 2, v[12:13]
	v_lshlrev_b64 v[14:15], 2, v[14:15]
	v_add_co_u32 v12, s8, s14, v12
	v_add_co_ci_u32_e64 v13, null, s15, v13, s8
	v_add_co_u32 v14, s8, s14, v14
	v_add_co_ci_u32_e64 v15, null, s15, v15, s8
	s_clause 0x1
	global_load_dword v3, v[12:13], off
	global_load_dword v12, v[14:15], off
	s_waitcnt vmcnt(0)
	v_cmp_lt_i32_e64 s8, v3, v12
	v_mov_b32_e32 v3, v11
	s_and_saveexec_b32 s10, s8
; %bb.354:
	v_mov_b32_e32 v3, v10
	v_mov_b32_e32 v10, v11
; %bb.355:
	s_or_b32 exec_lo, exec_lo, s10
	v_mov_b32_e32 v11, v3
	s_or_b32 exec_lo, exec_lo, s9
	v_cmp_lt_u32_e64 s8, 5, v2
	s_and_saveexec_b32 s10, s8
	s_cbranch_execnz .LBB987_349
.LBB987_356:
	s_or_b32 exec_lo, exec_lo, s10
	v_cmp_lt_u32_e64 s9, 7, v2
	s_and_saveexec_b32 s11, s9
	s_cbranch_execz .LBB987_360
.LBB987_357:
	v_ashrrev_i32_e32 v13, 31, v7
	v_mov_b32_e32 v12, v7
	v_ashrrev_i32_e32 v15, 31, v6
	v_mov_b32_e32 v14, v6
	v_lshlrev_b64 v[12:13], 2, v[12:13]
	v_lshlrev_b64 v[14:15], 2, v[14:15]
	v_add_co_u32 v12, s10, s14, v12
	v_add_co_ci_u32_e64 v13, null, s15, v13, s10
	v_add_co_u32 v14, s10, s14, v14
	v_add_co_ci_u32_e64 v15, null, s15, v15, s10
	s_clause 0x1
	global_load_dword v3, v[12:13], off
	global_load_dword v12, v[14:15], off
	s_waitcnt vmcnt(0)
	v_cmp_lt_i32_e64 s10, v3, v12
	v_mov_b32_e32 v3, v7
	s_and_saveexec_b32 s12, s10
; %bb.358:
	v_mov_b32_e32 v3, v6
	v_mov_b32_e32 v6, v7
; %bb.359:
	s_or_b32 exec_lo, exec_lo, s12
	v_mov_b32_e32 v7, v3
.LBB987_360:
	s_or_b32 exec_lo, exec_lo, s11
	v_cmp_lt_u32_e64 s10, 2, v2
	s_and_saveexec_b32 s11, s10
	s_xor_b32 s12, exec_lo, s11
	s_cbranch_execz .LBB987_408
; %bb.361:
	v_ashrrev_i32_e32 v13, 31, v10
	v_mov_b32_e32 v12, v10
	v_ashrrev_i32_e32 v15, 31, v9
	v_mov_b32_e32 v14, v9
	v_lshlrev_b64 v[12:13], 2, v[12:13]
	v_lshlrev_b64 v[14:15], 2, v[14:15]
	v_add_co_u32 v12, s11, s14, v12
	v_add_co_ci_u32_e64 v13, null, s15, v13, s11
	v_add_co_u32 v14, s11, s14, v14
	v_add_co_ci_u32_e64 v15, null, s15, v15, s11
	s_clause 0x1
	global_load_dword v3, v[12:13], off
	global_load_dword v12, v[14:15], off
	s_waitcnt vmcnt(0)
	v_cmp_lt_i32_e64 s11, v3, v12
	v_mov_b32_e32 v3, v10
	s_and_saveexec_b32 s13, s11
; %bb.362:
	v_mov_b32_e32 v3, v9
	v_mov_b32_e32 v9, v10
; %bb.363:
	s_or_b32 exec_lo, exec_lo, s13
	v_mov_b32_e32 v10, v3
	s_or_b32 exec_lo, exec_lo, s12
	v_cmp_lt_u32_e64 s11, 4, v2
	s_and_saveexec_b32 s13, s11
	s_cbranch_execnz .LBB987_409
.LBB987_364:
	s_or_b32 exec_lo, exec_lo, s13
	v_cmp_lt_u32_e64 s12, 6, v2
	s_and_saveexec_b32 s20, s12
	s_cbranch_execz .LBB987_412
.LBB987_365:
	v_ashrrev_i32_e32 v3, 31, v6
	v_mov_b32_e32 v2, v6
	v_ashrrev_i32_e32 v13, 31, v5
	v_mov_b32_e32 v12, v5
	v_lshlrev_b64 v[2:3], 2, v[2:3]
	v_lshlrev_b64 v[12:13], 2, v[12:13]
	v_add_co_u32 v2, s13, s14, v2
	v_add_co_ci_u32_e64 v3, null, s15, v3, s13
	v_add_co_u32 v12, s13, s14, v12
	v_add_co_ci_u32_e64 v13, null, s15, v13, s13
	s_clause 0x1
	global_load_dword v2, v[2:3], off
	global_load_dword v3, v[12:13], off
	s_waitcnt vmcnt(0)
	v_cmp_lt_i32_e64 s13, v2, v3
	v_mov_b32_e32 v2, v6
	s_and_saveexec_b32 s21, s13
; %bb.366:
	v_mov_b32_e32 v2, v5
	v_mov_b32_e32 v5, v6
; %bb.367:
	s_or_b32 exec_lo, exec_lo, s21
	v_mov_b32_e32 v6, v2
	s_or_b32 exec_lo, exec_lo, s20
	s_and_saveexec_b32 s20, s6
	s_cbranch_execnz .LBB987_413
.LBB987_368:
	s_or_b32 exec_lo, exec_lo, s20
	s_and_saveexec_b32 s20, s7
	s_cbranch_execz .LBB987_416
.LBB987_369:
	v_ashrrev_i32_e32 v3, 31, v11
	v_mov_b32_e32 v2, v11
	v_ashrrev_i32_e32 v13, 31, v10
	v_mov_b32_e32 v12, v10
	v_lshlrev_b64 v[2:3], 2, v[2:3]
	v_lshlrev_b64 v[12:13], 2, v[12:13]
	v_add_co_u32 v2, s13, s14, v2
	v_add_co_ci_u32_e64 v3, null, s15, v3, s13
	v_add_co_u32 v12, s13, s14, v12
	v_add_co_ci_u32_e64 v13, null, s15, v13, s13
	s_clause 0x1
	global_load_dword v2, v[2:3], off
	global_load_dword v3, v[12:13], off
	s_waitcnt vmcnt(0)
	v_cmp_lt_i32_e64 s13, v2, v3
	v_mov_b32_e32 v2, v11
	s_and_saveexec_b32 s21, s13
; %bb.370:
	v_mov_b32_e32 v2, v10
	v_mov_b32_e32 v10, v11
; %bb.371:
	s_or_b32 exec_lo, exec_lo, s21
	v_mov_b32_e32 v11, v2
	s_or_b32 exec_lo, exec_lo, s20
	s_and_saveexec_b32 s20, s8
	s_cbranch_execnz .LBB987_417
.LBB987_372:
	s_or_b32 exec_lo, exec_lo, s20
	s_and_saveexec_b32 s20, s9
	s_cbranch_execz .LBB987_420
.LBB987_373:
	v_ashrrev_i32_e32 v3, 31, v7
	v_mov_b32_e32 v2, v7
	v_ashrrev_i32_e32 v13, 31, v6
	v_mov_b32_e32 v12, v6
	v_lshlrev_b64 v[2:3], 2, v[2:3]
	v_lshlrev_b64 v[12:13], 2, v[12:13]
	v_add_co_u32 v2, s13, s14, v2
	v_add_co_ci_u32_e64 v3, null, s15, v3, s13
	v_add_co_u32 v12, s13, s14, v12
	v_add_co_ci_u32_e64 v13, null, s15, v13, s13
	s_clause 0x1
	global_load_dword v2, v[2:3], off
	global_load_dword v3, v[12:13], off
	s_waitcnt vmcnt(0)
	v_cmp_lt_i32_e64 s13, v2, v3
	v_mov_b32_e32 v2, v7
	s_and_saveexec_b32 s21, s13
; %bb.374:
	v_mov_b32_e32 v2, v6
	v_mov_b32_e32 v6, v7
; %bb.375:
	s_or_b32 exec_lo, exec_lo, s21
	v_mov_b32_e32 v7, v2
	s_or_b32 exec_lo, exec_lo, s20
	s_and_saveexec_b32 s20, s10
	s_cbranch_execnz .LBB987_421
.LBB987_376:
	s_or_b32 exec_lo, exec_lo, s20
	s_and_saveexec_b32 s20, s11
	s_cbranch_execz .LBB987_424
.LBB987_377:
	v_ashrrev_i32_e32 v3, 31, v4
	v_mov_b32_e32 v2, v4
	v_ashrrev_i32_e32 v13, 31, v11
	v_mov_b32_e32 v12, v11
	v_lshlrev_b64 v[2:3], 2, v[2:3]
	v_lshlrev_b64 v[12:13], 2, v[12:13]
	v_add_co_u32 v2, s13, s14, v2
	v_add_co_ci_u32_e64 v3, null, s15, v3, s13
	v_add_co_u32 v12, s13, s14, v12
	v_add_co_ci_u32_e64 v13, null, s15, v13, s13
	s_clause 0x1
	global_load_dword v2, v[2:3], off
	global_load_dword v3, v[12:13], off
	s_waitcnt vmcnt(0)
	v_cmp_lt_i32_e64 s13, v2, v3
	v_mov_b32_e32 v2, v4
	s_and_saveexec_b32 s21, s13
; %bb.378:
	v_mov_b32_e32 v2, v11
	v_mov_b32_e32 v11, v4
; %bb.379:
	s_or_b32 exec_lo, exec_lo, s21
	v_mov_b32_e32 v4, v2
	s_or_b32 exec_lo, exec_lo, s20
	s_and_saveexec_b32 s20, s12
	s_cbranch_execnz .LBB987_425
.LBB987_380:
	s_or_b32 exec_lo, exec_lo, s20
	s_and_saveexec_b32 s20, s6
	s_cbranch_execz .LBB987_428
.LBB987_381:
	v_ashrrev_i32_e32 v3, 31, v9
	v_mov_b32_e32 v2, v9
	v_ashrrev_i32_e32 v13, 31, v8
	v_mov_b32_e32 v12, v8
	v_lshlrev_b64 v[2:3], 2, v[2:3]
	v_lshlrev_b64 v[12:13], 2, v[12:13]
	v_add_co_u32 v2, s13, s14, v2
	v_add_co_ci_u32_e64 v3, null, s15, v3, s13
	v_add_co_u32 v12, s13, s14, v12
	v_add_co_ci_u32_e64 v13, null, s15, v13, s13
	s_clause 0x1
	global_load_dword v2, v[2:3], off
	global_load_dword v3, v[12:13], off
	s_waitcnt vmcnt(0)
	v_cmp_lt_i32_e64 s13, v2, v3
	v_mov_b32_e32 v2, v9
	s_and_saveexec_b32 s21, s13
; %bb.382:
	v_mov_b32_e32 v2, v8
	v_mov_b32_e32 v8, v9
; %bb.383:
	s_or_b32 exec_lo, exec_lo, s21
	v_mov_b32_e32 v9, v2
	s_or_b32 exec_lo, exec_lo, s20
	s_and_saveexec_b32 s20, s7
	s_cbranch_execnz .LBB987_429
.LBB987_384:
	s_or_b32 exec_lo, exec_lo, s20
	s_and_saveexec_b32 s20, s8
	s_cbranch_execz .LBB987_432
.LBB987_385:
	v_ashrrev_i32_e32 v3, 31, v5
	v_mov_b32_e32 v2, v5
	v_ashrrev_i32_e32 v13, 31, v4
	v_mov_b32_e32 v12, v4
	v_lshlrev_b64 v[2:3], 2, v[2:3]
	v_lshlrev_b64 v[12:13], 2, v[12:13]
	v_add_co_u32 v2, s13, s14, v2
	v_add_co_ci_u32_e64 v3, null, s15, v3, s13
	v_add_co_u32 v12, s13, s14, v12
	v_add_co_ci_u32_e64 v13, null, s15, v13, s13
	s_clause 0x1
	global_load_dword v2, v[2:3], off
	global_load_dword v3, v[12:13], off
	s_waitcnt vmcnt(0)
	v_cmp_lt_i32_e64 s13, v2, v3
	v_mov_b32_e32 v2, v5
	s_and_saveexec_b32 s21, s13
; %bb.386:
	v_mov_b32_e32 v2, v4
	v_mov_b32_e32 v4, v5
; %bb.387:
	s_or_b32 exec_lo, exec_lo, s21
	v_mov_b32_e32 v5, v2
	s_or_b32 exec_lo, exec_lo, s20
	s_and_saveexec_b32 s20, s9
	s_cbranch_execnz .LBB987_433
.LBB987_388:
	s_or_b32 exec_lo, exec_lo, s20
	s_and_saveexec_b32 s20, s10
	s_cbranch_execz .LBB987_436
.LBB987_389:
	v_ashrrev_i32_e32 v3, 31, v10
	v_mov_b32_e32 v2, v10
	v_ashrrev_i32_e32 v13, 31, v9
	v_mov_b32_e32 v12, v9
	v_lshlrev_b64 v[2:3], 2, v[2:3]
	v_lshlrev_b64 v[12:13], 2, v[12:13]
	v_add_co_u32 v2, s13, s14, v2
	v_add_co_ci_u32_e64 v3, null, s15, v3, s13
	v_add_co_u32 v12, s13, s14, v12
	v_add_co_ci_u32_e64 v13, null, s15, v13, s13
	s_clause 0x1
	global_load_dword v2, v[2:3], off
	global_load_dword v3, v[12:13], off
	s_waitcnt vmcnt(0)
	v_cmp_lt_i32_e64 s13, v2, v3
	v_mov_b32_e32 v2, v10
	s_and_saveexec_b32 s21, s13
; %bb.390:
	v_mov_b32_e32 v2, v9
	v_mov_b32_e32 v9, v10
; %bb.391:
	s_or_b32 exec_lo, exec_lo, s21
	v_mov_b32_e32 v10, v2
	s_or_b32 exec_lo, exec_lo, s20
	s_and_saveexec_b32 s20, s11
	s_cbranch_execnz .LBB987_437
.LBB987_392:
	s_or_b32 exec_lo, exec_lo, s20
	s_and_saveexec_b32 s20, s12
	s_cbranch_execz .LBB987_440
.LBB987_393:
	v_ashrrev_i32_e32 v3, 31, v6
	v_mov_b32_e32 v2, v6
	v_ashrrev_i32_e32 v13, 31, v5
	v_mov_b32_e32 v12, v5
	v_lshlrev_b64 v[2:3], 2, v[2:3]
	v_lshlrev_b64 v[12:13], 2, v[12:13]
	v_add_co_u32 v2, s13, s14, v2
	v_add_co_ci_u32_e64 v3, null, s15, v3, s13
	v_add_co_u32 v12, s13, s14, v12
	v_add_co_ci_u32_e64 v13, null, s15, v13, s13
	s_clause 0x1
	global_load_dword v2, v[2:3], off
	global_load_dword v3, v[12:13], off
	s_waitcnt vmcnt(0)
	v_cmp_lt_i32_e64 s13, v2, v3
	v_mov_b32_e32 v2, v6
	s_and_saveexec_b32 s21, s13
; %bb.394:
	v_mov_b32_e32 v2, v5
	v_mov_b32_e32 v5, v6
; %bb.395:
	s_or_b32 exec_lo, exec_lo, s21
	v_mov_b32_e32 v6, v2
	s_or_b32 exec_lo, exec_lo, s20
	s_and_saveexec_b32 s13, s6
	s_cbranch_execnz .LBB987_441
.LBB987_396:
	s_or_b32 exec_lo, exec_lo, s13
	s_and_saveexec_b32 s13, s7
	s_cbranch_execz .LBB987_444
.LBB987_397:
	v_ashrrev_i32_e32 v3, 31, v11
	v_mov_b32_e32 v2, v11
	v_ashrrev_i32_e32 v13, 31, v10
	v_mov_b32_e32 v12, v10
	v_lshlrev_b64 v[2:3], 2, v[2:3]
	v_lshlrev_b64 v[12:13], 2, v[12:13]
	v_add_co_u32 v2, s6, s14, v2
	v_add_co_ci_u32_e64 v3, null, s15, v3, s6
	v_add_co_u32 v12, s6, s14, v12
	v_add_co_ci_u32_e64 v13, null, s15, v13, s6
	s_clause 0x1
	global_load_dword v2, v[2:3], off
	global_load_dword v3, v[12:13], off
	s_waitcnt vmcnt(0)
	v_cmp_lt_i32_e64 s6, v2, v3
	v_mov_b32_e32 v2, v11
	s_and_saveexec_b32 s7, s6
; %bb.398:
	v_mov_b32_e32 v2, v10
	v_mov_b32_e32 v10, v11
; %bb.399:
	s_or_b32 exec_lo, exec_lo, s7
	v_mov_b32_e32 v11, v2
	s_or_b32 exec_lo, exec_lo, s13
	s_and_saveexec_b32 s7, s8
	s_cbranch_execnz .LBB987_445
.LBB987_400:
	s_or_b32 exec_lo, exec_lo, s7
	s_and_saveexec_b32 s7, s9
	s_cbranch_execz .LBB987_448
.LBB987_401:
	v_ashrrev_i32_e32 v3, 31, v7
	v_mov_b32_e32 v2, v7
	v_ashrrev_i32_e32 v13, 31, v6
	v_mov_b32_e32 v12, v6
	v_lshlrev_b64 v[2:3], 2, v[2:3]
	v_lshlrev_b64 v[12:13], 2, v[12:13]
	v_add_co_u32 v2, s6, s14, v2
	v_add_co_ci_u32_e64 v3, null, s15, v3, s6
	v_add_co_u32 v12, s6, s14, v12
	v_add_co_ci_u32_e64 v13, null, s15, v13, s6
	s_clause 0x1
	global_load_dword v2, v[2:3], off
	global_load_dword v3, v[12:13], off
	s_waitcnt vmcnt(0)
	v_cmp_lt_i32_e64 s6, v2, v3
	v_mov_b32_e32 v2, v7
	s_and_saveexec_b32 s8, s6
; %bb.402:
	v_mov_b32_e32 v2, v6
	v_mov_b32_e32 v6, v7
; %bb.403:
	s_or_b32 exec_lo, exec_lo, s8
	v_mov_b32_e32 v7, v2
	s_or_b32 exec_lo, exec_lo, s7
	s_and_saveexec_b32 s7, s10
	s_cbranch_execnz .LBB987_449
.LBB987_404:
	s_or_b32 exec_lo, exec_lo, s7
	s_and_saveexec_b32 s7, s11
	s_cbranch_execz .LBB987_452
.LBB987_405:
	v_ashrrev_i32_e32 v3, 31, v4
	v_mov_b32_e32 v2, v4
	v_ashrrev_i32_e32 v13, 31, v11
	v_mov_b32_e32 v12, v11
	v_lshlrev_b64 v[2:3], 2, v[2:3]
	v_lshlrev_b64 v[12:13], 2, v[12:13]
	v_add_co_u32 v2, s6, s14, v2
	v_add_co_ci_u32_e64 v3, null, s15, v3, s6
	v_add_co_u32 v12, s6, s14, v12
	v_add_co_ci_u32_e64 v13, null, s15, v13, s6
	s_clause 0x1
	global_load_dword v2, v[2:3], off
	global_load_dword v3, v[12:13], off
	s_waitcnt vmcnt(0)
	v_cmp_lt_i32_e64 s6, v2, v3
	v_mov_b32_e32 v2, v4
	s_and_saveexec_b32 s8, s6
; %bb.406:
	v_mov_b32_e32 v2, v11
	v_mov_b32_e32 v11, v4
; %bb.407:
	s_or_b32 exec_lo, exec_lo, s8
	v_mov_b32_e32 v4, v2
	s_or_b32 exec_lo, exec_lo, s7
	s_and_saveexec_b32 s7, s12
	s_cbranch_execz .LBB987_456
	s_branch .LBB987_453
.LBB987_408:
	s_or_b32 exec_lo, exec_lo, s12
	v_cmp_lt_u32_e64 s11, 4, v2
	s_and_saveexec_b32 s13, s11
	s_cbranch_execz .LBB987_364
.LBB987_409:
	v_ashrrev_i32_e32 v13, 31, v4
	v_mov_b32_e32 v12, v4
	v_ashrrev_i32_e32 v15, 31, v11
	v_mov_b32_e32 v14, v11
	v_lshlrev_b64 v[12:13], 2, v[12:13]
	v_lshlrev_b64 v[14:15], 2, v[14:15]
	v_add_co_u32 v12, s12, s14, v12
	v_add_co_ci_u32_e64 v13, null, s15, v13, s12
	v_add_co_u32 v14, s12, s14, v14
	v_add_co_ci_u32_e64 v15, null, s15, v15, s12
	s_clause 0x1
	global_load_dword v3, v[12:13], off
	global_load_dword v12, v[14:15], off
	s_waitcnt vmcnt(0)
	v_cmp_lt_i32_e64 s12, v3, v12
	v_mov_b32_e32 v3, v4
	s_and_saveexec_b32 s20, s12
; %bb.410:
	v_mov_b32_e32 v3, v11
	v_mov_b32_e32 v11, v4
; %bb.411:
	s_or_b32 exec_lo, exec_lo, s20
	v_mov_b32_e32 v4, v3
	s_or_b32 exec_lo, exec_lo, s13
	v_cmp_lt_u32_e64 s12, 6, v2
	s_and_saveexec_b32 s20, s12
	s_cbranch_execnz .LBB987_365
.LBB987_412:
	s_or_b32 exec_lo, exec_lo, s20
	s_and_saveexec_b32 s20, s6
	s_cbranch_execz .LBB987_368
.LBB987_413:
	v_ashrrev_i32_e32 v3, 31, v9
	v_mov_b32_e32 v2, v9
	v_ashrrev_i32_e32 v13, 31, v8
	v_mov_b32_e32 v12, v8
	v_lshlrev_b64 v[2:3], 2, v[2:3]
	v_lshlrev_b64 v[12:13], 2, v[12:13]
	v_add_co_u32 v2, s13, s14, v2
	v_add_co_ci_u32_e64 v3, null, s15, v3, s13
	v_add_co_u32 v12, s13, s14, v12
	v_add_co_ci_u32_e64 v13, null, s15, v13, s13
	s_clause 0x1
	global_load_dword v2, v[2:3], off
	global_load_dword v3, v[12:13], off
	s_waitcnt vmcnt(0)
	v_cmp_lt_i32_e64 s13, v2, v3
	v_mov_b32_e32 v2, v9
	s_and_saveexec_b32 s21, s13
; %bb.414:
	v_mov_b32_e32 v2, v8
	v_mov_b32_e32 v8, v9
; %bb.415:
	s_or_b32 exec_lo, exec_lo, s21
	v_mov_b32_e32 v9, v2
	s_or_b32 exec_lo, exec_lo, s20
	s_and_saveexec_b32 s20, s7
	s_cbranch_execnz .LBB987_369
.LBB987_416:
	s_or_b32 exec_lo, exec_lo, s20
	s_and_saveexec_b32 s20, s8
	s_cbranch_execz .LBB987_372
.LBB987_417:
	v_ashrrev_i32_e32 v3, 31, v5
	v_mov_b32_e32 v2, v5
	v_ashrrev_i32_e32 v13, 31, v4
	v_mov_b32_e32 v12, v4
	v_lshlrev_b64 v[2:3], 2, v[2:3]
	v_lshlrev_b64 v[12:13], 2, v[12:13]
	v_add_co_u32 v2, s13, s14, v2
	v_add_co_ci_u32_e64 v3, null, s15, v3, s13
	v_add_co_u32 v12, s13, s14, v12
	v_add_co_ci_u32_e64 v13, null, s15, v13, s13
	s_clause 0x1
	global_load_dword v2, v[2:3], off
	global_load_dword v3, v[12:13], off
	s_waitcnt vmcnt(0)
	v_cmp_lt_i32_e64 s13, v2, v3
	v_mov_b32_e32 v2, v5
	s_and_saveexec_b32 s21, s13
; %bb.418:
	v_mov_b32_e32 v2, v4
	v_mov_b32_e32 v4, v5
; %bb.419:
	s_or_b32 exec_lo, exec_lo, s21
	v_mov_b32_e32 v5, v2
	s_or_b32 exec_lo, exec_lo, s20
	s_and_saveexec_b32 s20, s9
	s_cbranch_execnz .LBB987_373
.LBB987_420:
	s_or_b32 exec_lo, exec_lo, s20
	s_and_saveexec_b32 s20, s10
	s_cbranch_execz .LBB987_376
.LBB987_421:
	v_ashrrev_i32_e32 v3, 31, v10
	v_mov_b32_e32 v2, v10
	v_ashrrev_i32_e32 v13, 31, v9
	v_mov_b32_e32 v12, v9
	v_lshlrev_b64 v[2:3], 2, v[2:3]
	v_lshlrev_b64 v[12:13], 2, v[12:13]
	v_add_co_u32 v2, s13, s14, v2
	v_add_co_ci_u32_e64 v3, null, s15, v3, s13
	v_add_co_u32 v12, s13, s14, v12
	v_add_co_ci_u32_e64 v13, null, s15, v13, s13
	s_clause 0x1
	global_load_dword v2, v[2:3], off
	global_load_dword v3, v[12:13], off
	s_waitcnt vmcnt(0)
	v_cmp_lt_i32_e64 s13, v2, v3
	v_mov_b32_e32 v2, v10
	s_and_saveexec_b32 s21, s13
; %bb.422:
	v_mov_b32_e32 v2, v9
	v_mov_b32_e32 v9, v10
; %bb.423:
	s_or_b32 exec_lo, exec_lo, s21
	v_mov_b32_e32 v10, v2
	s_or_b32 exec_lo, exec_lo, s20
	s_and_saveexec_b32 s20, s11
	s_cbranch_execnz .LBB987_377
.LBB987_424:
	s_or_b32 exec_lo, exec_lo, s20
	s_and_saveexec_b32 s20, s12
	s_cbranch_execz .LBB987_380
.LBB987_425:
	v_ashrrev_i32_e32 v3, 31, v6
	v_mov_b32_e32 v2, v6
	v_ashrrev_i32_e32 v13, 31, v5
	v_mov_b32_e32 v12, v5
	v_lshlrev_b64 v[2:3], 2, v[2:3]
	v_lshlrev_b64 v[12:13], 2, v[12:13]
	v_add_co_u32 v2, s13, s14, v2
	v_add_co_ci_u32_e64 v3, null, s15, v3, s13
	v_add_co_u32 v12, s13, s14, v12
	v_add_co_ci_u32_e64 v13, null, s15, v13, s13
	s_clause 0x1
	global_load_dword v2, v[2:3], off
	global_load_dword v3, v[12:13], off
	s_waitcnt vmcnt(0)
	v_cmp_lt_i32_e64 s13, v2, v3
	v_mov_b32_e32 v2, v6
	s_and_saveexec_b32 s21, s13
; %bb.426:
	v_mov_b32_e32 v2, v5
	v_mov_b32_e32 v5, v6
; %bb.427:
	s_or_b32 exec_lo, exec_lo, s21
	v_mov_b32_e32 v6, v2
	s_or_b32 exec_lo, exec_lo, s20
	s_and_saveexec_b32 s20, s6
	s_cbranch_execnz .LBB987_381
.LBB987_428:
	s_or_b32 exec_lo, exec_lo, s20
	s_and_saveexec_b32 s20, s7
	s_cbranch_execz .LBB987_384
.LBB987_429:
	v_ashrrev_i32_e32 v3, 31, v11
	v_mov_b32_e32 v2, v11
	v_ashrrev_i32_e32 v13, 31, v10
	v_mov_b32_e32 v12, v10
	v_lshlrev_b64 v[2:3], 2, v[2:3]
	v_lshlrev_b64 v[12:13], 2, v[12:13]
	v_add_co_u32 v2, s13, s14, v2
	v_add_co_ci_u32_e64 v3, null, s15, v3, s13
	v_add_co_u32 v12, s13, s14, v12
	v_add_co_ci_u32_e64 v13, null, s15, v13, s13
	s_clause 0x1
	global_load_dword v2, v[2:3], off
	global_load_dword v3, v[12:13], off
	s_waitcnt vmcnt(0)
	v_cmp_lt_i32_e64 s13, v2, v3
	v_mov_b32_e32 v2, v11
	s_and_saveexec_b32 s21, s13
; %bb.430:
	v_mov_b32_e32 v2, v10
	v_mov_b32_e32 v10, v11
; %bb.431:
	s_or_b32 exec_lo, exec_lo, s21
	v_mov_b32_e32 v11, v2
	s_or_b32 exec_lo, exec_lo, s20
	s_and_saveexec_b32 s20, s8
	s_cbranch_execnz .LBB987_385
.LBB987_432:
	s_or_b32 exec_lo, exec_lo, s20
	s_and_saveexec_b32 s20, s9
	s_cbranch_execz .LBB987_388
.LBB987_433:
	v_ashrrev_i32_e32 v3, 31, v7
	v_mov_b32_e32 v2, v7
	v_ashrrev_i32_e32 v13, 31, v6
	v_mov_b32_e32 v12, v6
	v_lshlrev_b64 v[2:3], 2, v[2:3]
	v_lshlrev_b64 v[12:13], 2, v[12:13]
	v_add_co_u32 v2, s13, s14, v2
	v_add_co_ci_u32_e64 v3, null, s15, v3, s13
	v_add_co_u32 v12, s13, s14, v12
	v_add_co_ci_u32_e64 v13, null, s15, v13, s13
	s_clause 0x1
	global_load_dword v2, v[2:3], off
	global_load_dword v3, v[12:13], off
	s_waitcnt vmcnt(0)
	v_cmp_lt_i32_e64 s13, v2, v3
	v_mov_b32_e32 v2, v7
	s_and_saveexec_b32 s21, s13
; %bb.434:
	v_mov_b32_e32 v2, v6
	v_mov_b32_e32 v6, v7
; %bb.435:
	s_or_b32 exec_lo, exec_lo, s21
	v_mov_b32_e32 v7, v2
	s_or_b32 exec_lo, exec_lo, s20
	s_and_saveexec_b32 s20, s10
	s_cbranch_execnz .LBB987_389
.LBB987_436:
	s_or_b32 exec_lo, exec_lo, s20
	s_and_saveexec_b32 s20, s11
	s_cbranch_execz .LBB987_392
.LBB987_437:
	v_ashrrev_i32_e32 v3, 31, v4
	v_mov_b32_e32 v2, v4
	v_ashrrev_i32_e32 v13, 31, v11
	v_mov_b32_e32 v12, v11
	v_lshlrev_b64 v[2:3], 2, v[2:3]
	v_lshlrev_b64 v[12:13], 2, v[12:13]
	v_add_co_u32 v2, s13, s14, v2
	v_add_co_ci_u32_e64 v3, null, s15, v3, s13
	v_add_co_u32 v12, s13, s14, v12
	v_add_co_ci_u32_e64 v13, null, s15, v13, s13
	s_clause 0x1
	global_load_dword v2, v[2:3], off
	global_load_dword v3, v[12:13], off
	s_waitcnt vmcnt(0)
	v_cmp_lt_i32_e64 s13, v2, v3
	v_mov_b32_e32 v2, v4
	s_and_saveexec_b32 s21, s13
; %bb.438:
	v_mov_b32_e32 v2, v11
	v_mov_b32_e32 v11, v4
; %bb.439:
	s_or_b32 exec_lo, exec_lo, s21
	v_mov_b32_e32 v4, v2
	s_or_b32 exec_lo, exec_lo, s20
	s_and_saveexec_b32 s20, s12
	s_cbranch_execnz .LBB987_393
.LBB987_440:
	s_or_b32 exec_lo, exec_lo, s20
	s_and_saveexec_b32 s13, s6
	s_cbranch_execz .LBB987_396
.LBB987_441:
	v_ashrrev_i32_e32 v3, 31, v9
	v_mov_b32_e32 v2, v9
	v_ashrrev_i32_e32 v13, 31, v8
	v_mov_b32_e32 v12, v8
	v_lshlrev_b64 v[2:3], 2, v[2:3]
	v_lshlrev_b64 v[12:13], 2, v[12:13]
	v_add_co_u32 v2, s6, s14, v2
	v_add_co_ci_u32_e64 v3, null, s15, v3, s6
	v_add_co_u32 v12, s6, s14, v12
	v_add_co_ci_u32_e64 v13, null, s15, v13, s6
	s_clause 0x1
	global_load_dword v2, v[2:3], off
	global_load_dword v3, v[12:13], off
	s_waitcnt vmcnt(0)
	v_cmp_lt_i32_e64 s6, v2, v3
	v_mov_b32_e32 v2, v9
	s_and_saveexec_b32 s20, s6
; %bb.442:
	v_mov_b32_e32 v2, v8
	v_mov_b32_e32 v8, v9
; %bb.443:
	s_or_b32 exec_lo, exec_lo, s20
	v_mov_b32_e32 v9, v2
	s_or_b32 exec_lo, exec_lo, s13
	s_and_saveexec_b32 s13, s7
	s_cbranch_execnz .LBB987_397
.LBB987_444:
	s_or_b32 exec_lo, exec_lo, s13
	s_and_saveexec_b32 s7, s8
	s_cbranch_execz .LBB987_400
.LBB987_445:
	v_ashrrev_i32_e32 v3, 31, v5
	v_mov_b32_e32 v2, v5
	v_ashrrev_i32_e32 v13, 31, v4
	v_mov_b32_e32 v12, v4
	v_lshlrev_b64 v[2:3], 2, v[2:3]
	v_lshlrev_b64 v[12:13], 2, v[12:13]
	v_add_co_u32 v2, s6, s14, v2
	v_add_co_ci_u32_e64 v3, null, s15, v3, s6
	v_add_co_u32 v12, s6, s14, v12
	v_add_co_ci_u32_e64 v13, null, s15, v13, s6
	s_clause 0x1
	global_load_dword v2, v[2:3], off
	global_load_dword v3, v[12:13], off
	s_waitcnt vmcnt(0)
	v_cmp_lt_i32_e64 s6, v2, v3
	v_mov_b32_e32 v2, v5
	s_and_saveexec_b32 s8, s6
; %bb.446:
	v_mov_b32_e32 v2, v4
	v_mov_b32_e32 v4, v5
; %bb.447:
	s_or_b32 exec_lo, exec_lo, s8
	v_mov_b32_e32 v5, v2
	s_or_b32 exec_lo, exec_lo, s7
	s_and_saveexec_b32 s7, s9
	s_cbranch_execnz .LBB987_401
.LBB987_448:
	s_or_b32 exec_lo, exec_lo, s7
	s_and_saveexec_b32 s7, s10
	s_cbranch_execz .LBB987_404
.LBB987_449:
	v_ashrrev_i32_e32 v3, 31, v10
	v_mov_b32_e32 v2, v10
	v_ashrrev_i32_e32 v13, 31, v9
	v_mov_b32_e32 v12, v9
	v_lshlrev_b64 v[2:3], 2, v[2:3]
	v_lshlrev_b64 v[12:13], 2, v[12:13]
	v_add_co_u32 v2, s6, s14, v2
	v_add_co_ci_u32_e64 v3, null, s15, v3, s6
	v_add_co_u32 v12, s6, s14, v12
	v_add_co_ci_u32_e64 v13, null, s15, v13, s6
	s_clause 0x1
	global_load_dword v2, v[2:3], off
	global_load_dword v3, v[12:13], off
	s_waitcnt vmcnt(0)
	v_cmp_lt_i32_e64 s6, v2, v3
	v_mov_b32_e32 v2, v10
	s_and_saveexec_b32 s8, s6
; %bb.450:
	v_mov_b32_e32 v2, v9
	v_mov_b32_e32 v9, v10
; %bb.451:
	s_or_b32 exec_lo, exec_lo, s8
	v_mov_b32_e32 v10, v2
	s_or_b32 exec_lo, exec_lo, s7
	s_and_saveexec_b32 s7, s11
	s_cbranch_execnz .LBB987_405
.LBB987_452:
	s_or_b32 exec_lo, exec_lo, s7
	s_and_saveexec_b32 s7, s12
	s_cbranch_execz .LBB987_456
.LBB987_453:
	v_ashrrev_i32_e32 v3, 31, v6
	v_mov_b32_e32 v2, v6
	v_ashrrev_i32_e32 v13, 31, v5
	v_mov_b32_e32 v12, v5
	v_lshlrev_b64 v[2:3], 2, v[2:3]
	v_lshlrev_b64 v[12:13], 2, v[12:13]
	v_add_co_u32 v2, s6, s14, v2
	v_add_co_ci_u32_e64 v3, null, s15, v3, s6
	v_add_co_u32 v12, s6, s14, v12
	v_add_co_ci_u32_e64 v13, null, s15, v13, s6
	s_clause 0x1
	global_load_dword v2, v[2:3], off
	global_load_dword v3, v[12:13], off
	s_waitcnt vmcnt(0)
	v_cmp_lt_i32_e64 s6, v2, v3
	v_mov_b32_e32 v2, v6
	s_and_saveexec_b32 s8, s6
; %bb.454:
	v_mov_b32_e32 v2, v5
	v_mov_b32_e32 v5, v6
; %bb.455:
	s_or_b32 exec_lo, exec_lo, s8
	v_mov_b32_e32 v6, v2
.LBB987_456:
	s_or_b32 exec_lo, exec_lo, s7
	v_mbcnt_lo_u32_b32 v3, -1, 0
	v_and_b32_e32 v2, 0xffffff00, v1
	s_mov_b32 s7, 0
	s_mov_b32 s8, exec_lo
	v_lshlrev_b32_e32 v36, 3, v3
	v_sub_nc_u32_e64 v35, s16, v2 clamp
	v_lshlrev_b32_e32 v34, 2, v2
	v_or_b32_e32 v1, 8, v36
	v_and_b32_e32 v12, 8, v36
	v_lshl_or_b32 v37, v3, 5, v34
	ds_write_b128 v37, v[8:11]
	ds_write_b128 v37, v[4:7] offset:16
	v_min_u32_e32 v22, v35, v1
	v_min_u32_e32 v12, v35, v12
	; wave barrier
	v_add_nc_u32_e32 v1, 8, v22
	v_min_u32_e32 v38, v35, v1
	v_and_b32_e32 v1, 0xf0, v36
	v_sub_nc_u32_e32 v13, v38, v22
	v_sub_nc_u32_e32 v14, v22, v1
	v_lshl_or_b32 v3, v1, 2, v34
	v_sub_nc_u32_e64 v2, v12, v13 clamp
	v_min_u32_e32 v13, v12, v14
	v_cmpx_lt_u32_e64 v2, v13
	s_cbranch_execz .LBB987_460
; %bb.457:
	v_lshlrev_b32_e32 v14, 2, v22
	v_lshlrev_b32_e32 v15, 2, v12
	v_add3_u32 v14, v34, v14, v15
	s_inst_prefetch 0x1
	.p2align	6
.LBB987_458:                            ; =>This Inner Loop Header: Depth=1
	v_add_nc_u32_e32 v15, v13, v2
	v_lshrrev_b32_e32 v19, 1, v15
	v_not_b32_e32 v15, v19
	v_lshl_add_u32 v16, v19, 2, v3
	v_lshl_add_u32 v17, v15, 2, v14
	ds_read_b32 v15, v16
	ds_read_b32 v17, v17
	s_waitcnt lgkmcnt(1)
	v_ashrrev_i32_e32 v16, 31, v15
	s_waitcnt lgkmcnt(0)
	v_ashrrev_i32_e32 v18, 31, v17
	v_lshlrev_b64 v[15:16], 2, v[15:16]
	v_lshlrev_b64 v[17:18], 2, v[17:18]
	v_add_co_u32 v15, s6, s14, v15
	v_add_co_ci_u32_e64 v16, null, s15, v16, s6
	v_add_co_u32 v17, s6, s14, v17
	v_add_co_ci_u32_e64 v18, null, s15, v18, s6
	s_clause 0x1
	global_load_dword v17, v[17:18], off
	global_load_dword v15, v[15:16], off
	v_add_nc_u32_e32 v16, 1, v19
	s_waitcnt vmcnt(0)
	v_cmp_lt_i32_e64 s6, v17, v15
	v_cndmask_b32_e64 v13, v13, v19, s6
	v_cndmask_b32_e64 v2, v16, v2, s6
	v_cmp_ge_u32_e64 s6, v2, v13
	s_or_b32 s7, s6, s7
	s_andn2_b32 exec_lo, exec_lo, s7
	s_cbranch_execnz .LBB987_458
; %bb.459:
	s_inst_prefetch 0x2
	s_or_b32 exec_lo, exec_lo, s7
.LBB987_460:
	s_or_b32 exec_lo, exec_lo, s8
	v_add_nc_u32_e32 v13, v22, v12
	v_add_nc_u32_e32 v12, v2, v1
	v_lshlrev_b32_e32 v33, 3, v0
	v_sub_nc_u32_e32 v13, v13, v2
	v_cmp_le_u32_e64 s6, v12, v22
	v_cmp_le_u32_e64 s7, v13, v38
	s_or_b32 s6, s6, s7
	s_and_saveexec_b32 s8, s6
	s_cbranch_execz .LBB987_496
; %bb.461:
	v_cmp_ge_u32_e64 s6, v12, v22
	s_mov_b32 s9, exec_lo
                                        ; implicit-def: $vgpr1
	v_cmpx_lt_u32_e64 v12, v22
; %bb.462:
	v_lshl_add_u32 v1, v2, 2, v3
	ds_read_b32 v1, v1
; %bb.463:
	s_or_b32 exec_lo, exec_lo, s9
	v_cmp_ge_u32_e64 s9, v13, v38
	s_mov_b32 s10, exec_lo
                                        ; implicit-def: $vgpr3
	v_cmpx_lt_u32_e64 v13, v38
; %bb.464:
	v_lshl_add_u32 v2, v13, 2, v34
	ds_read_b32 v3, v2
; %bb.465:
	s_or_b32 exec_lo, exec_lo, s10
	s_nor_b32 s6, s6, s9
	s_and_saveexec_b32 s7, s6
	s_cbranch_execz .LBB987_467
; %bb.466:
	s_waitcnt lgkmcnt(0)
	v_ashrrev_i32_e32 v4, 31, v3
	v_ashrrev_i32_e32 v2, 31, v1
	s_andn2_b32 s9, s9, exec_lo
	v_lshlrev_b64 v[4:5], 2, v[3:4]
	v_lshlrev_b64 v[6:7], 2, v[1:2]
	v_add_co_u32 v4, s6, s14, v4
	v_add_co_ci_u32_e64 v5, null, s15, v5, s6
	v_add_co_u32 v6, s6, s14, v6
	v_add_co_ci_u32_e64 v7, null, s15, v7, s6
	s_clause 0x1
	global_load_dword v2, v[4:5], off
	global_load_dword v4, v[6:7], off
	s_waitcnt vmcnt(0)
	v_cmp_ge_i32_e64 s6, v2, v4
	s_and_b32 s6, s6, exec_lo
	s_or_b32 s9, s9, s6
.LBB987_467:
	s_or_b32 exec_lo, exec_lo, s7
	v_cndmask_b32_e64 v2, v13, v12, s9
	v_cndmask_b32_e64 v4, v38, v22, s9
	s_mov_b32 s10, -1
	s_mov_b32 s7, -1
	s_mov_b32 s11, exec_lo
	v_add_nc_u32_e32 v5, 1, v2
	v_add_nc_u32_e32 v2, -1, v4
	v_cndmask_b32_e64 v4, v12, v5, s9
	v_min_u32_e32 v2, v5, v2
	v_lshl_add_u32 v2, v2, 2, v34
	ds_read_b32 v7, v2
	v_cndmask_b32_e64 v2, v5, v13, s9
	s_waitcnt lgkmcnt(0)
	v_cndmask_b32_e64 v6, v7, v3, s9
	v_cndmask_b32_e64 v8, v1, v7, s9
	v_cmpx_lt_u32_e64 v2, v38
	s_cbranch_execz .LBB987_471
; %bb.468:
	s_mov_b32 s12, 0
	s_mov_b32 s7, exec_lo
	v_cmpx_lt_u32_e64 v4, v22
	s_cbranch_execz .LBB987_470
; %bb.469:
	v_ashrrev_i32_e32 v7, 31, v6
	v_ashrrev_i32_e32 v9, 31, v8
	v_lshlrev_b64 v[10:11], 2, v[6:7]
	v_lshlrev_b64 v[12:13], 2, v[8:9]
	v_add_co_u32 v9, s6, s14, v10
	v_add_co_ci_u32_e64 v10, null, s15, v11, s6
	v_add_co_u32 v11, s6, s14, v12
	v_add_co_ci_u32_e64 v12, null, s15, v13, s6
	s_clause 0x1
	global_load_dword v5, v[9:10], off
	global_load_dword v7, v[11:12], off
	s_waitcnt vmcnt(0)
	v_cmp_ge_i32_e64 s6, v5, v7
	s_and_b32 s12, s6, exec_lo
.LBB987_470:
	s_or_b32 exec_lo, exec_lo, s7
	s_orn2_b32 s7, s12, exec_lo
.LBB987_471:
	s_or_b32 exec_lo, exec_lo, s11
	v_cndmask_b32_e64 v5, v2, v4, s7
	v_cndmask_b32_e64 v7, v38, v22, s7
	s_mov_b32 s11, exec_lo
	v_add_nc_u32_e32 v5, 1, v5
	v_add_nc_u32_e32 v7, -1, v7
	v_cndmask_b32_e64 v2, v5, v2, s7
	v_min_u32_e32 v7, v5, v7
	v_cndmask_b32_e64 v4, v4, v5, s7
	v_lshl_add_u32 v7, v7, 2, v34
	ds_read_b32 v7, v7
	s_waitcnt lgkmcnt(0)
	v_cndmask_b32_e64 v9, v7, v6, s7
	v_cndmask_b32_e64 v12, v8, v7, s7
	v_cmpx_lt_u32_e64 v2, v38
	s_cbranch_execz .LBB987_475
; %bb.472:
	s_mov_b32 s12, 0
	s_mov_b32 s10, exec_lo
	v_cmpx_lt_u32_e64 v4, v22
	s_cbranch_execz .LBB987_474
; %bb.473:
	v_ashrrev_i32_e32 v10, 31, v9
	v_ashrrev_i32_e32 v13, 31, v12
	v_lshlrev_b64 v[10:11], 2, v[9:10]
	v_lshlrev_b64 v[13:14], 2, v[12:13]
	v_add_co_u32 v10, s6, s14, v10
	v_add_co_ci_u32_e64 v11, null, s15, v11, s6
	v_add_co_u32 v13, s6, s14, v13
	v_add_co_ci_u32_e64 v14, null, s15, v14, s6
	s_clause 0x1
	global_load_dword v5, v[10:11], off
	global_load_dword v7, v[13:14], off
	s_waitcnt vmcnt(0)
	v_cmp_ge_i32_e64 s6, v5, v7
	s_and_b32 s12, s6, exec_lo
.LBB987_474:
	s_or_b32 exec_lo, exec_lo, s10
	s_orn2_b32 s10, s12, exec_lo
.LBB987_475:
	s_or_b32 exec_lo, exec_lo, s11
	v_cndmask_b32_e64 v5, v2, v4, s10
	v_cndmask_b32_e64 v7, v38, v22, s10
	s_mov_b32 s12, -1
	s_mov_b32 s11, -1
	s_mov_b32 s13, exec_lo
	v_add_nc_u32_e32 v5, 1, v5
	v_add_nc_u32_e32 v7, -1, v7
	v_cndmask_b32_e64 v2, v5, v2, s10
	v_min_u32_e32 v7, v5, v7
	v_cndmask_b32_e64 v4, v4, v5, s10
	v_lshl_add_u32 v7, v7, 2, v34
	ds_read_b32 v7, v7
	s_waitcnt lgkmcnt(0)
	v_cndmask_b32_e64 v10, v7, v9, s10
	v_cndmask_b32_e64 v13, v12, v7, s10
	v_cmpx_lt_u32_e64 v2, v38
	s_cbranch_execz .LBB987_479
; %bb.476:
	s_mov_b32 s20, 0
	s_mov_b32 s11, exec_lo
	v_cmpx_lt_u32_e64 v4, v22
	s_cbranch_execz .LBB987_478
; %bb.477:
	v_ashrrev_i32_e32 v11, 31, v10
	v_ashrrev_i32_e32 v14, 31, v13
	v_lshlrev_b64 v[15:16], 2, v[10:11]
	v_lshlrev_b64 v[17:18], 2, v[13:14]
	v_add_co_u32 v14, s6, s14, v15
	v_add_co_ci_u32_e64 v15, null, s15, v16, s6
	v_add_co_u32 v16, s6, s14, v17
	v_add_co_ci_u32_e64 v17, null, s15, v18, s6
	s_clause 0x1
	global_load_dword v5, v[14:15], off
	global_load_dword v7, v[16:17], off
	s_waitcnt vmcnt(0)
	v_cmp_ge_i32_e64 s6, v5, v7
	s_and_b32 s20, s6, exec_lo
.LBB987_478:
	s_or_b32 exec_lo, exec_lo, s11
	s_orn2_b32 s11, s20, exec_lo
.LBB987_479:
	s_or_b32 exec_lo, exec_lo, s13
	v_cndmask_b32_e64 v5, v2, v4, s11
	v_cndmask_b32_e64 v7, v38, v22, s11
	s_mov_b32 s13, exec_lo
	v_add_nc_u32_e32 v5, 1, v5
	v_add_nc_u32_e32 v7, -1, v7
	v_cndmask_b32_e64 v2, v5, v2, s11
	v_min_u32_e32 v7, v5, v7
	v_lshl_add_u32 v7, v7, 2, v34
	ds_read_b32 v11, v7
	v_cndmask_b32_e64 v7, v4, v5, s11
	s_waitcnt lgkmcnt(0)
	v_cndmask_b32_e64 v4, v11, v10, s11
	v_cndmask_b32_e64 v14, v13, v11, s11
	v_cmpx_lt_u32_e64 v2, v38
	s_cbranch_execz .LBB987_483
; %bb.480:
	s_mov_b32 s20, 0
	s_mov_b32 s12, exec_lo
	v_cmpx_lt_u32_e64 v7, v22
	s_cbranch_execz .LBB987_482
; %bb.481:
	v_ashrrev_i32_e32 v5, 31, v4
	v_ashrrev_i32_e32 v15, 31, v14
	v_lshlrev_b64 v[16:17], 2, v[4:5]
	v_lshlrev_b64 v[18:19], 2, v[14:15]
	v_add_co_u32 v15, s6, s14, v16
	v_add_co_ci_u32_e64 v16, null, s15, v17, s6
	v_add_co_u32 v17, s6, s14, v18
	v_add_co_ci_u32_e64 v18, null, s15, v19, s6
	s_clause 0x1
	global_load_dword v5, v[15:16], off
	global_load_dword v11, v[17:18], off
	s_waitcnt vmcnt(0)
	v_cmp_ge_i32_e64 s6, v5, v11
	s_and_b32 s20, s6, exec_lo
.LBB987_482:
	s_or_b32 exec_lo, exec_lo, s12
	s_orn2_b32 s12, s20, exec_lo
.LBB987_483:
	s_or_b32 exec_lo, exec_lo, s13
	v_cndmask_b32_e64 v5, v2, v7, s12
	v_cndmask_b32_e64 v11, v38, v22, s12
	s_mov_b32 s13, -1
	s_mov_b32 s20, -1
	s_mov_b32 s21, exec_lo
	v_add_nc_u32_e32 v5, 1, v5
	v_add_nc_u32_e32 v11, -1, v11
	v_cndmask_b32_e64 v2, v5, v2, s12
	v_min_u32_e32 v11, v5, v11
	v_cndmask_b32_e64 v5, v7, v5, s12
	v_lshl_add_u32 v11, v11, 2, v34
	ds_read_b32 v11, v11
	s_waitcnt lgkmcnt(0)
	v_cndmask_b32_e64 v15, v11, v4, s12
	v_cndmask_b32_e64 v17, v14, v11, s12
	v_cmpx_lt_u32_e64 v2, v38
	s_cbranch_execz .LBB987_487
; %bb.484:
	s_mov_b32 s22, 0
	s_mov_b32 s20, exec_lo
	v_cmpx_lt_u32_e64 v5, v22
	s_cbranch_execz .LBB987_486
; %bb.485:
	v_ashrrev_i32_e32 v16, 31, v15
	v_ashrrev_i32_e32 v18, 31, v17
	v_lshlrev_b64 v[19:20], 2, v[15:16]
	v_lshlrev_b64 v[39:40], 2, v[17:18]
	v_add_co_u32 v18, s6, s14, v19
	v_add_co_ci_u32_e64 v19, null, s15, v20, s6
	v_add_co_u32 v20, s6, s14, v39
	v_add_co_ci_u32_e64 v21, null, s15, v40, s6
	s_clause 0x1
	global_load_dword v7, v[18:19], off
	global_load_dword v11, v[20:21], off
	s_waitcnt vmcnt(0)
	v_cmp_ge_i32_e64 s6, v7, v11
	s_and_b32 s22, s6, exec_lo
.LBB987_486:
	s_or_b32 exec_lo, exec_lo, s20
	s_orn2_b32 s20, s22, exec_lo
.LBB987_487:
	s_or_b32 exec_lo, exec_lo, s21
	v_cndmask_b32_e64 v7, v2, v5, s20
	v_cndmask_b32_e64 v11, v38, v22, s20
	s_mov_b32 s21, exec_lo
	v_add_nc_u32_e32 v16, 1, v7
	v_add_nc_u32_e32 v7, -1, v11
	v_min_u32_e32 v7, v16, v7
	v_lshl_add_u32 v7, v7, 2, v34
	ds_read_b32 v11, v7
	v_cndmask_b32_e64 v7, v16, v2, s20
	v_cndmask_b32_e64 v2, v5, v16, s20
	s_waitcnt lgkmcnt(0)
	v_cndmask_b32_e64 v18, v11, v15, s20
	v_cndmask_b32_e64 v20, v17, v11, s20
	v_cmpx_lt_u32_e64 v7, v38
	s_cbranch_execz .LBB987_491
; %bb.488:
	s_mov_b32 s22, 0
	s_mov_b32 s13, exec_lo
	v_cmpx_lt_u32_e64 v2, v22
	s_cbranch_execz .LBB987_490
; %bb.489:
	v_ashrrev_i32_e32 v19, 31, v18
	v_ashrrev_i32_e32 v21, 31, v20
	v_lshlrev_b64 v[39:40], 2, v[18:19]
	v_lshlrev_b64 v[41:42], 2, v[20:21]
	v_add_co_u32 v39, s6, s14, v39
	v_add_co_ci_u32_e64 v40, null, s15, v40, s6
	v_add_co_u32 v41, s6, s14, v41
	v_add_co_ci_u32_e64 v42, null, s15, v42, s6
	s_clause 0x1
	global_load_dword v5, v[39:40], off
	global_load_dword v11, v[41:42], off
	s_waitcnt vmcnt(0)
	v_cmp_ge_i32_e64 s6, v5, v11
	s_and_b32 s22, s6, exec_lo
.LBB987_490:
	s_or_b32 exec_lo, exec_lo, s13
	s_orn2_b32 s13, s22, exec_lo
.LBB987_491:
	s_or_b32 exec_lo, exec_lo, s21
	v_cndmask_b32_e64 v5, v7, v2, s13
	v_cndmask_b32_e64 v11, v38, v22, s13
	s_mov_b32 s21, exec_lo
	v_add_nc_u32_e32 v5, 1, v5
	v_add_nc_u32_e32 v11, -1, v11
	v_cndmask_b32_e64 v16, v5, v7, s13
	v_min_u32_e32 v11, v5, v11
	v_lshl_add_u32 v11, v11, 2, v34
	ds_read_b32 v11, v11
	s_waitcnt lgkmcnt(0)
	v_cndmask_b32_e64 v7, v20, v11, s13
	v_cmpx_lt_u32_e64 v16, v38
	s_cbranch_execz .LBB987_495
; %bb.492:
	v_cndmask_b32_e64 v2, v2, v5, s13
	v_cndmask_b32_e64 v21, v11, v18, s13
	s_mov_b32 s22, exec_lo
	v_cmpx_lt_u32_e64 v2, v22
	s_cbranch_execz .LBB987_494
; %bb.493:
	v_ashrrev_i32_e32 v22, 31, v21
	v_ashrrev_i32_e32 v39, 31, v7
	v_mov_b32_e32 v38, v7
	v_lshlrev_b64 v[40:41], 2, v[21:22]
	v_lshlrev_b64 v[38:39], 2, v[38:39]
	v_add_co_u32 v40, s6, s14, v40
	v_add_co_ci_u32_e64 v41, null, s15, v41, s6
	v_add_co_u32 v38, s6, s14, v38
	v_add_co_ci_u32_e64 v39, null, s15, v39, s6
	s_clause 0x1
	global_load_dword v2, v[40:41], off
	global_load_dword v5, v[38:39], off
	s_waitcnt vmcnt(0)
	v_cmp_lt_i32_e64 s6, v2, v5
	v_cndmask_b32_e64 v21, v7, v21, s6
.LBB987_494:
	s_or_b32 exec_lo, exec_lo, s22
	v_mov_b32_e32 v7, v21
.LBB987_495:
	s_or_b32 exec_lo, exec_lo, s21
	v_cndmask_b32_e64 v5, v15, v17, s20
	v_cndmask_b32_e64 v4, v4, v14, s12
	;; [unrolled: 1-line block ×7, first 2 shown]
.LBB987_496:
	s_or_b32 exec_lo, exec_lo, s8
	v_and_b32_e32 v1, 0xe0, v36
	v_and_b32_e32 v3, 24, v36
	s_mov_b32 s7, exec_lo
	; wave barrier
	v_or_b32_e32 v2, 16, v1
	v_min_u32_e32 v12, v35, v3
	ds_write_b128 v37, v[8:11]
	ds_write_b128 v37, v[4:7] offset:16
	; wave barrier
	v_min_u32_e32 v22, v35, v2
	v_add_nc_u32_e32 v2, 16, v22
	v_sub_nc_u32_e32 v3, v22, v1
	v_min_u32_e32 v38, v35, v2
	v_min_u32_e32 v13, v12, v3
	v_lshl_add_u32 v3, v1, 2, v34
	v_sub_nc_u32_e32 v2, v38, v22
	v_sub_nc_u32_e64 v2, v12, v2 clamp
	v_cmpx_lt_u32_e64 v2, v13
	s_cbranch_execz .LBB987_500
; %bb.497:
	v_lshlrev_b32_e32 v14, 2, v22
	v_lshlrev_b32_e32 v15, 2, v12
	s_mov_b32 s8, 0
	v_add3_u32 v14, v34, v14, v15
	s_inst_prefetch 0x1
	.p2align	6
.LBB987_498:                            ; =>This Inner Loop Header: Depth=1
	v_add_nc_u32_e32 v15, v13, v2
	v_lshrrev_b32_e32 v19, 1, v15
	v_not_b32_e32 v15, v19
	v_lshl_add_u32 v16, v19, 2, v3
	v_lshl_add_u32 v17, v15, 2, v14
	ds_read_b32 v15, v16
	ds_read_b32 v17, v17
	s_waitcnt lgkmcnt(1)
	v_ashrrev_i32_e32 v16, 31, v15
	s_waitcnt lgkmcnt(0)
	v_ashrrev_i32_e32 v18, 31, v17
	v_lshlrev_b64 v[15:16], 2, v[15:16]
	v_lshlrev_b64 v[17:18], 2, v[17:18]
	v_add_co_u32 v15, s6, s14, v15
	v_add_co_ci_u32_e64 v16, null, s15, v16, s6
	v_add_co_u32 v17, s6, s14, v17
	v_add_co_ci_u32_e64 v18, null, s15, v18, s6
	s_clause 0x1
	global_load_dword v17, v[17:18], off
	global_load_dword v15, v[15:16], off
	v_add_nc_u32_e32 v16, 1, v19
	s_waitcnt vmcnt(0)
	v_cmp_lt_i32_e64 s6, v17, v15
	v_cndmask_b32_e64 v13, v13, v19, s6
	v_cndmask_b32_e64 v2, v16, v2, s6
	v_cmp_ge_u32_e64 s6, v2, v13
	s_or_b32 s8, s6, s8
	s_andn2_b32 exec_lo, exec_lo, s8
	s_cbranch_execnz .LBB987_498
; %bb.499:
	s_inst_prefetch 0x2
	s_or_b32 exec_lo, exec_lo, s8
.LBB987_500:
	s_or_b32 exec_lo, exec_lo, s7
	v_add_nc_u32_e32 v13, v22, v12
	v_add_nc_u32_e32 v12, v2, v1
	v_sub_nc_u32_e32 v13, v13, v2
	v_cmp_le_u32_e64 s6, v12, v22
	v_cmp_le_u32_e64 s7, v13, v38
	s_or_b32 s6, s6, s7
	s_and_saveexec_b32 s8, s6
	s_cbranch_execz .LBB987_536
; %bb.501:
	v_cmp_ge_u32_e64 s6, v12, v22
	s_mov_b32 s9, exec_lo
                                        ; implicit-def: $vgpr1
	v_cmpx_lt_u32_e64 v12, v22
; %bb.502:
	v_lshl_add_u32 v1, v2, 2, v3
	ds_read_b32 v1, v1
; %bb.503:
	s_or_b32 exec_lo, exec_lo, s9
	v_cmp_ge_u32_e64 s9, v13, v38
	s_mov_b32 s10, exec_lo
                                        ; implicit-def: $vgpr3
	v_cmpx_lt_u32_e64 v13, v38
; %bb.504:
	v_lshl_add_u32 v2, v13, 2, v34
	ds_read_b32 v3, v2
; %bb.505:
	s_or_b32 exec_lo, exec_lo, s10
	s_nor_b32 s6, s6, s9
	s_and_saveexec_b32 s7, s6
	s_cbranch_execz .LBB987_507
; %bb.506:
	s_waitcnt lgkmcnt(0)
	v_ashrrev_i32_e32 v4, 31, v3
	v_ashrrev_i32_e32 v2, 31, v1
	s_andn2_b32 s9, s9, exec_lo
	v_lshlrev_b64 v[4:5], 2, v[3:4]
	v_lshlrev_b64 v[6:7], 2, v[1:2]
	v_add_co_u32 v4, s6, s14, v4
	v_add_co_ci_u32_e64 v5, null, s15, v5, s6
	v_add_co_u32 v6, s6, s14, v6
	v_add_co_ci_u32_e64 v7, null, s15, v7, s6
	s_clause 0x1
	global_load_dword v2, v[4:5], off
	global_load_dword v4, v[6:7], off
	s_waitcnt vmcnt(0)
	v_cmp_ge_i32_e64 s6, v2, v4
	s_and_b32 s6, s6, exec_lo
	s_or_b32 s9, s9, s6
.LBB987_507:
	s_or_b32 exec_lo, exec_lo, s7
	v_cndmask_b32_e64 v2, v13, v12, s9
	v_cndmask_b32_e64 v4, v38, v22, s9
	s_mov_b32 s10, -1
	s_mov_b32 s7, -1
	s_mov_b32 s11, exec_lo
	v_add_nc_u32_e32 v5, 1, v2
	v_add_nc_u32_e32 v2, -1, v4
	v_cndmask_b32_e64 v4, v12, v5, s9
	v_min_u32_e32 v2, v5, v2
	v_lshl_add_u32 v2, v2, 2, v34
	ds_read_b32 v7, v2
	v_cndmask_b32_e64 v2, v5, v13, s9
	s_waitcnt lgkmcnt(0)
	v_cndmask_b32_e64 v6, v7, v3, s9
	v_cndmask_b32_e64 v8, v1, v7, s9
	v_cmpx_lt_u32_e64 v2, v38
	s_cbranch_execz .LBB987_511
; %bb.508:
	s_mov_b32 s12, 0
	s_mov_b32 s7, exec_lo
	v_cmpx_lt_u32_e64 v4, v22
	s_cbranch_execz .LBB987_510
; %bb.509:
	v_ashrrev_i32_e32 v7, 31, v6
	v_ashrrev_i32_e32 v9, 31, v8
	v_lshlrev_b64 v[10:11], 2, v[6:7]
	v_lshlrev_b64 v[12:13], 2, v[8:9]
	v_add_co_u32 v9, s6, s14, v10
	v_add_co_ci_u32_e64 v10, null, s15, v11, s6
	v_add_co_u32 v11, s6, s14, v12
	v_add_co_ci_u32_e64 v12, null, s15, v13, s6
	s_clause 0x1
	global_load_dword v5, v[9:10], off
	global_load_dword v7, v[11:12], off
	s_waitcnt vmcnt(0)
	v_cmp_ge_i32_e64 s6, v5, v7
	s_and_b32 s12, s6, exec_lo
.LBB987_510:
	s_or_b32 exec_lo, exec_lo, s7
	s_orn2_b32 s7, s12, exec_lo
.LBB987_511:
	s_or_b32 exec_lo, exec_lo, s11
	v_cndmask_b32_e64 v5, v2, v4, s7
	v_cndmask_b32_e64 v7, v38, v22, s7
	s_mov_b32 s11, exec_lo
	v_add_nc_u32_e32 v5, 1, v5
	v_add_nc_u32_e32 v7, -1, v7
	v_cndmask_b32_e64 v2, v5, v2, s7
	v_min_u32_e32 v7, v5, v7
	v_cndmask_b32_e64 v4, v4, v5, s7
	v_lshl_add_u32 v7, v7, 2, v34
	ds_read_b32 v7, v7
	s_waitcnt lgkmcnt(0)
	v_cndmask_b32_e64 v9, v7, v6, s7
	v_cndmask_b32_e64 v12, v8, v7, s7
	v_cmpx_lt_u32_e64 v2, v38
	s_cbranch_execz .LBB987_515
; %bb.512:
	s_mov_b32 s12, 0
	s_mov_b32 s10, exec_lo
	v_cmpx_lt_u32_e64 v4, v22
	s_cbranch_execz .LBB987_514
; %bb.513:
	v_ashrrev_i32_e32 v10, 31, v9
	v_ashrrev_i32_e32 v13, 31, v12
	v_lshlrev_b64 v[10:11], 2, v[9:10]
	v_lshlrev_b64 v[13:14], 2, v[12:13]
	v_add_co_u32 v10, s6, s14, v10
	v_add_co_ci_u32_e64 v11, null, s15, v11, s6
	v_add_co_u32 v13, s6, s14, v13
	v_add_co_ci_u32_e64 v14, null, s15, v14, s6
	s_clause 0x1
	global_load_dword v5, v[10:11], off
	global_load_dword v7, v[13:14], off
	s_waitcnt vmcnt(0)
	v_cmp_ge_i32_e64 s6, v5, v7
	s_and_b32 s12, s6, exec_lo
.LBB987_514:
	s_or_b32 exec_lo, exec_lo, s10
	s_orn2_b32 s10, s12, exec_lo
.LBB987_515:
	s_or_b32 exec_lo, exec_lo, s11
	v_cndmask_b32_e64 v5, v2, v4, s10
	v_cndmask_b32_e64 v7, v38, v22, s10
	s_mov_b32 s12, -1
	s_mov_b32 s11, -1
	s_mov_b32 s13, exec_lo
	v_add_nc_u32_e32 v5, 1, v5
	v_add_nc_u32_e32 v7, -1, v7
	v_cndmask_b32_e64 v2, v5, v2, s10
	v_min_u32_e32 v7, v5, v7
	v_cndmask_b32_e64 v4, v4, v5, s10
	v_lshl_add_u32 v7, v7, 2, v34
	ds_read_b32 v7, v7
	s_waitcnt lgkmcnt(0)
	v_cndmask_b32_e64 v10, v7, v9, s10
	v_cndmask_b32_e64 v13, v12, v7, s10
	v_cmpx_lt_u32_e64 v2, v38
	s_cbranch_execz .LBB987_519
; %bb.516:
	s_mov_b32 s20, 0
	s_mov_b32 s11, exec_lo
	v_cmpx_lt_u32_e64 v4, v22
	s_cbranch_execz .LBB987_518
; %bb.517:
	v_ashrrev_i32_e32 v11, 31, v10
	v_ashrrev_i32_e32 v14, 31, v13
	v_lshlrev_b64 v[15:16], 2, v[10:11]
	v_lshlrev_b64 v[17:18], 2, v[13:14]
	v_add_co_u32 v14, s6, s14, v15
	v_add_co_ci_u32_e64 v15, null, s15, v16, s6
	v_add_co_u32 v16, s6, s14, v17
	v_add_co_ci_u32_e64 v17, null, s15, v18, s6
	s_clause 0x1
	global_load_dword v5, v[14:15], off
	global_load_dword v7, v[16:17], off
	s_waitcnt vmcnt(0)
	v_cmp_ge_i32_e64 s6, v5, v7
	s_and_b32 s20, s6, exec_lo
.LBB987_518:
	s_or_b32 exec_lo, exec_lo, s11
	s_orn2_b32 s11, s20, exec_lo
.LBB987_519:
	s_or_b32 exec_lo, exec_lo, s13
	v_cndmask_b32_e64 v5, v2, v4, s11
	v_cndmask_b32_e64 v7, v38, v22, s11
	s_mov_b32 s13, exec_lo
	v_add_nc_u32_e32 v5, 1, v5
	v_add_nc_u32_e32 v7, -1, v7
	v_cndmask_b32_e64 v2, v5, v2, s11
	v_min_u32_e32 v7, v5, v7
	v_lshl_add_u32 v7, v7, 2, v34
	ds_read_b32 v11, v7
	v_cndmask_b32_e64 v7, v4, v5, s11
	s_waitcnt lgkmcnt(0)
	v_cndmask_b32_e64 v4, v11, v10, s11
	v_cndmask_b32_e64 v14, v13, v11, s11
	v_cmpx_lt_u32_e64 v2, v38
	s_cbranch_execz .LBB987_523
; %bb.520:
	s_mov_b32 s20, 0
	s_mov_b32 s12, exec_lo
	v_cmpx_lt_u32_e64 v7, v22
	s_cbranch_execz .LBB987_522
; %bb.521:
	v_ashrrev_i32_e32 v5, 31, v4
	v_ashrrev_i32_e32 v15, 31, v14
	v_lshlrev_b64 v[16:17], 2, v[4:5]
	v_lshlrev_b64 v[18:19], 2, v[14:15]
	v_add_co_u32 v15, s6, s14, v16
	v_add_co_ci_u32_e64 v16, null, s15, v17, s6
	v_add_co_u32 v17, s6, s14, v18
	v_add_co_ci_u32_e64 v18, null, s15, v19, s6
	s_clause 0x1
	global_load_dword v5, v[15:16], off
	global_load_dword v11, v[17:18], off
	s_waitcnt vmcnt(0)
	v_cmp_ge_i32_e64 s6, v5, v11
	s_and_b32 s20, s6, exec_lo
.LBB987_522:
	s_or_b32 exec_lo, exec_lo, s12
	s_orn2_b32 s12, s20, exec_lo
.LBB987_523:
	s_or_b32 exec_lo, exec_lo, s13
	v_cndmask_b32_e64 v5, v2, v7, s12
	v_cndmask_b32_e64 v11, v38, v22, s12
	s_mov_b32 s13, -1
	s_mov_b32 s20, -1
	s_mov_b32 s21, exec_lo
	v_add_nc_u32_e32 v5, 1, v5
	v_add_nc_u32_e32 v11, -1, v11
	v_cndmask_b32_e64 v2, v5, v2, s12
	v_min_u32_e32 v11, v5, v11
	v_cndmask_b32_e64 v5, v7, v5, s12
	v_lshl_add_u32 v11, v11, 2, v34
	ds_read_b32 v11, v11
	s_waitcnt lgkmcnt(0)
	v_cndmask_b32_e64 v15, v11, v4, s12
	v_cndmask_b32_e64 v17, v14, v11, s12
	v_cmpx_lt_u32_e64 v2, v38
	s_cbranch_execz .LBB987_527
; %bb.524:
	s_mov_b32 s22, 0
	s_mov_b32 s20, exec_lo
	v_cmpx_lt_u32_e64 v5, v22
	s_cbranch_execz .LBB987_526
; %bb.525:
	v_ashrrev_i32_e32 v16, 31, v15
	v_ashrrev_i32_e32 v18, 31, v17
	v_lshlrev_b64 v[19:20], 2, v[15:16]
	v_lshlrev_b64 v[39:40], 2, v[17:18]
	v_add_co_u32 v18, s6, s14, v19
	v_add_co_ci_u32_e64 v19, null, s15, v20, s6
	v_add_co_u32 v20, s6, s14, v39
	v_add_co_ci_u32_e64 v21, null, s15, v40, s6
	s_clause 0x1
	global_load_dword v7, v[18:19], off
	global_load_dword v11, v[20:21], off
	s_waitcnt vmcnt(0)
	v_cmp_ge_i32_e64 s6, v7, v11
	s_and_b32 s22, s6, exec_lo
.LBB987_526:
	s_or_b32 exec_lo, exec_lo, s20
	s_orn2_b32 s20, s22, exec_lo
.LBB987_527:
	s_or_b32 exec_lo, exec_lo, s21
	v_cndmask_b32_e64 v7, v2, v5, s20
	v_cndmask_b32_e64 v11, v38, v22, s20
	s_mov_b32 s21, exec_lo
	v_add_nc_u32_e32 v16, 1, v7
	v_add_nc_u32_e32 v7, -1, v11
	v_min_u32_e32 v7, v16, v7
	v_lshl_add_u32 v7, v7, 2, v34
	ds_read_b32 v11, v7
	v_cndmask_b32_e64 v7, v16, v2, s20
	v_cndmask_b32_e64 v2, v5, v16, s20
	s_waitcnt lgkmcnt(0)
	v_cndmask_b32_e64 v18, v11, v15, s20
	v_cndmask_b32_e64 v20, v17, v11, s20
	v_cmpx_lt_u32_e64 v7, v38
	s_cbranch_execz .LBB987_531
; %bb.528:
	s_mov_b32 s22, 0
	s_mov_b32 s13, exec_lo
	v_cmpx_lt_u32_e64 v2, v22
	s_cbranch_execz .LBB987_530
; %bb.529:
	v_ashrrev_i32_e32 v19, 31, v18
	v_ashrrev_i32_e32 v21, 31, v20
	v_lshlrev_b64 v[39:40], 2, v[18:19]
	v_lshlrev_b64 v[41:42], 2, v[20:21]
	v_add_co_u32 v39, s6, s14, v39
	v_add_co_ci_u32_e64 v40, null, s15, v40, s6
	v_add_co_u32 v41, s6, s14, v41
	v_add_co_ci_u32_e64 v42, null, s15, v42, s6
	s_clause 0x1
	global_load_dword v5, v[39:40], off
	global_load_dword v11, v[41:42], off
	s_waitcnt vmcnt(0)
	v_cmp_ge_i32_e64 s6, v5, v11
	s_and_b32 s22, s6, exec_lo
.LBB987_530:
	s_or_b32 exec_lo, exec_lo, s13
	s_orn2_b32 s13, s22, exec_lo
.LBB987_531:
	s_or_b32 exec_lo, exec_lo, s21
	v_cndmask_b32_e64 v5, v7, v2, s13
	v_cndmask_b32_e64 v11, v38, v22, s13
	s_mov_b32 s21, exec_lo
	v_add_nc_u32_e32 v5, 1, v5
	v_add_nc_u32_e32 v11, -1, v11
	v_cndmask_b32_e64 v16, v5, v7, s13
	v_min_u32_e32 v11, v5, v11
	v_lshl_add_u32 v11, v11, 2, v34
	ds_read_b32 v11, v11
	s_waitcnt lgkmcnt(0)
	v_cndmask_b32_e64 v7, v20, v11, s13
	v_cmpx_lt_u32_e64 v16, v38
	s_cbranch_execz .LBB987_535
; %bb.532:
	v_cndmask_b32_e64 v2, v2, v5, s13
	v_cndmask_b32_e64 v21, v11, v18, s13
	s_mov_b32 s22, exec_lo
	v_cmpx_lt_u32_e64 v2, v22
	s_cbranch_execz .LBB987_534
; %bb.533:
	v_ashrrev_i32_e32 v22, 31, v21
	v_ashrrev_i32_e32 v39, 31, v7
	v_mov_b32_e32 v38, v7
	v_lshlrev_b64 v[40:41], 2, v[21:22]
	v_lshlrev_b64 v[38:39], 2, v[38:39]
	v_add_co_u32 v40, s6, s14, v40
	v_add_co_ci_u32_e64 v41, null, s15, v41, s6
	v_add_co_u32 v38, s6, s14, v38
	v_add_co_ci_u32_e64 v39, null, s15, v39, s6
	s_clause 0x1
	global_load_dword v2, v[40:41], off
	global_load_dword v5, v[38:39], off
	s_waitcnt vmcnt(0)
	v_cmp_lt_i32_e64 s6, v2, v5
	v_cndmask_b32_e64 v21, v7, v21, s6
.LBB987_534:
	s_or_b32 exec_lo, exec_lo, s22
	v_mov_b32_e32 v7, v21
.LBB987_535:
	s_or_b32 exec_lo, exec_lo, s21
	v_cndmask_b32_e64 v5, v15, v17, s20
	v_cndmask_b32_e64 v4, v4, v14, s12
	;; [unrolled: 1-line block ×7, first 2 shown]
.LBB987_536:
	s_or_b32 exec_lo, exec_lo, s8
	v_and_b32_e32 v1, 0xc0, v36
	v_and_b32_e32 v3, 56, v36
	s_mov_b32 s7, exec_lo
	; wave barrier
	v_or_b32_e32 v2, 32, v1
	v_min_u32_e32 v12, v35, v3
	ds_write_b128 v37, v[8:11]
	ds_write_b128 v37, v[4:7] offset:16
	; wave barrier
	v_min_u32_e32 v22, v35, v2
	v_add_nc_u32_e32 v2, 32, v22
	v_sub_nc_u32_e32 v3, v22, v1
	v_min_u32_e32 v38, v35, v2
	v_min_u32_e32 v13, v12, v3
	v_lshl_add_u32 v3, v1, 2, v34
	v_sub_nc_u32_e32 v2, v38, v22
	v_sub_nc_u32_e64 v2, v12, v2 clamp
	v_cmpx_lt_u32_e64 v2, v13
	s_cbranch_execz .LBB987_540
; %bb.537:
	v_lshlrev_b32_e32 v14, 2, v22
	v_lshlrev_b32_e32 v15, 2, v12
	s_mov_b32 s8, 0
	v_add3_u32 v14, v34, v14, v15
	s_inst_prefetch 0x1
	.p2align	6
.LBB987_538:                            ; =>This Inner Loop Header: Depth=1
	v_add_nc_u32_e32 v15, v13, v2
	v_lshrrev_b32_e32 v19, 1, v15
	v_not_b32_e32 v15, v19
	v_lshl_add_u32 v16, v19, 2, v3
	v_lshl_add_u32 v17, v15, 2, v14
	ds_read_b32 v15, v16
	ds_read_b32 v17, v17
	s_waitcnt lgkmcnt(1)
	v_ashrrev_i32_e32 v16, 31, v15
	s_waitcnt lgkmcnt(0)
	v_ashrrev_i32_e32 v18, 31, v17
	v_lshlrev_b64 v[15:16], 2, v[15:16]
	v_lshlrev_b64 v[17:18], 2, v[17:18]
	v_add_co_u32 v15, s6, s14, v15
	v_add_co_ci_u32_e64 v16, null, s15, v16, s6
	v_add_co_u32 v17, s6, s14, v17
	v_add_co_ci_u32_e64 v18, null, s15, v18, s6
	s_clause 0x1
	global_load_dword v17, v[17:18], off
	global_load_dword v15, v[15:16], off
	v_add_nc_u32_e32 v16, 1, v19
	s_waitcnt vmcnt(0)
	v_cmp_lt_i32_e64 s6, v17, v15
	v_cndmask_b32_e64 v13, v13, v19, s6
	v_cndmask_b32_e64 v2, v16, v2, s6
	v_cmp_ge_u32_e64 s6, v2, v13
	s_or_b32 s8, s6, s8
	s_andn2_b32 exec_lo, exec_lo, s8
	s_cbranch_execnz .LBB987_538
; %bb.539:
	s_inst_prefetch 0x2
	s_or_b32 exec_lo, exec_lo, s8
.LBB987_540:
	s_or_b32 exec_lo, exec_lo, s7
	v_add_nc_u32_e32 v13, v22, v12
	v_add_nc_u32_e32 v12, v2, v1
	v_sub_nc_u32_e32 v13, v13, v2
	v_cmp_le_u32_e64 s6, v12, v22
	v_cmp_le_u32_e64 s7, v13, v38
	s_or_b32 s6, s6, s7
	s_and_saveexec_b32 s8, s6
	s_cbranch_execz .LBB987_576
; %bb.541:
	v_cmp_ge_u32_e64 s6, v12, v22
	s_mov_b32 s9, exec_lo
                                        ; implicit-def: $vgpr1
	v_cmpx_lt_u32_e64 v12, v22
; %bb.542:
	v_lshl_add_u32 v1, v2, 2, v3
	ds_read_b32 v1, v1
; %bb.543:
	s_or_b32 exec_lo, exec_lo, s9
	v_cmp_ge_u32_e64 s9, v13, v38
	s_mov_b32 s10, exec_lo
                                        ; implicit-def: $vgpr3
	v_cmpx_lt_u32_e64 v13, v38
; %bb.544:
	v_lshl_add_u32 v2, v13, 2, v34
	ds_read_b32 v3, v2
; %bb.545:
	s_or_b32 exec_lo, exec_lo, s10
	s_nor_b32 s6, s6, s9
	s_and_saveexec_b32 s7, s6
	s_cbranch_execz .LBB987_547
; %bb.546:
	s_waitcnt lgkmcnt(0)
	v_ashrrev_i32_e32 v4, 31, v3
	v_ashrrev_i32_e32 v2, 31, v1
	s_andn2_b32 s9, s9, exec_lo
	v_lshlrev_b64 v[4:5], 2, v[3:4]
	v_lshlrev_b64 v[6:7], 2, v[1:2]
	v_add_co_u32 v4, s6, s14, v4
	v_add_co_ci_u32_e64 v5, null, s15, v5, s6
	v_add_co_u32 v6, s6, s14, v6
	v_add_co_ci_u32_e64 v7, null, s15, v7, s6
	s_clause 0x1
	global_load_dword v2, v[4:5], off
	global_load_dword v4, v[6:7], off
	s_waitcnt vmcnt(0)
	v_cmp_ge_i32_e64 s6, v2, v4
	s_and_b32 s6, s6, exec_lo
	s_or_b32 s9, s9, s6
.LBB987_547:
	s_or_b32 exec_lo, exec_lo, s7
	v_cndmask_b32_e64 v2, v13, v12, s9
	v_cndmask_b32_e64 v4, v38, v22, s9
	s_mov_b32 s10, -1
	s_mov_b32 s7, -1
	s_mov_b32 s11, exec_lo
	v_add_nc_u32_e32 v5, 1, v2
	v_add_nc_u32_e32 v2, -1, v4
	v_cndmask_b32_e64 v4, v12, v5, s9
	v_min_u32_e32 v2, v5, v2
	v_lshl_add_u32 v2, v2, 2, v34
	ds_read_b32 v7, v2
	v_cndmask_b32_e64 v2, v5, v13, s9
	s_waitcnt lgkmcnt(0)
	v_cndmask_b32_e64 v6, v7, v3, s9
	v_cndmask_b32_e64 v8, v1, v7, s9
	v_cmpx_lt_u32_e64 v2, v38
	s_cbranch_execz .LBB987_551
; %bb.548:
	s_mov_b32 s12, 0
	s_mov_b32 s7, exec_lo
	v_cmpx_lt_u32_e64 v4, v22
	s_cbranch_execz .LBB987_550
; %bb.549:
	v_ashrrev_i32_e32 v7, 31, v6
	v_ashrrev_i32_e32 v9, 31, v8
	v_lshlrev_b64 v[10:11], 2, v[6:7]
	v_lshlrev_b64 v[12:13], 2, v[8:9]
	v_add_co_u32 v9, s6, s14, v10
	v_add_co_ci_u32_e64 v10, null, s15, v11, s6
	v_add_co_u32 v11, s6, s14, v12
	v_add_co_ci_u32_e64 v12, null, s15, v13, s6
	s_clause 0x1
	global_load_dword v5, v[9:10], off
	global_load_dword v7, v[11:12], off
	s_waitcnt vmcnt(0)
	v_cmp_ge_i32_e64 s6, v5, v7
	s_and_b32 s12, s6, exec_lo
.LBB987_550:
	s_or_b32 exec_lo, exec_lo, s7
	s_orn2_b32 s7, s12, exec_lo
.LBB987_551:
	s_or_b32 exec_lo, exec_lo, s11
	v_cndmask_b32_e64 v5, v2, v4, s7
	v_cndmask_b32_e64 v7, v38, v22, s7
	s_mov_b32 s11, exec_lo
	v_add_nc_u32_e32 v5, 1, v5
	v_add_nc_u32_e32 v7, -1, v7
	v_cndmask_b32_e64 v2, v5, v2, s7
	v_min_u32_e32 v7, v5, v7
	v_cndmask_b32_e64 v4, v4, v5, s7
	v_lshl_add_u32 v7, v7, 2, v34
	ds_read_b32 v7, v7
	s_waitcnt lgkmcnt(0)
	v_cndmask_b32_e64 v9, v7, v6, s7
	v_cndmask_b32_e64 v12, v8, v7, s7
	v_cmpx_lt_u32_e64 v2, v38
	s_cbranch_execz .LBB987_555
; %bb.552:
	s_mov_b32 s12, 0
	s_mov_b32 s10, exec_lo
	v_cmpx_lt_u32_e64 v4, v22
	s_cbranch_execz .LBB987_554
; %bb.553:
	v_ashrrev_i32_e32 v10, 31, v9
	v_ashrrev_i32_e32 v13, 31, v12
	v_lshlrev_b64 v[10:11], 2, v[9:10]
	v_lshlrev_b64 v[13:14], 2, v[12:13]
	v_add_co_u32 v10, s6, s14, v10
	v_add_co_ci_u32_e64 v11, null, s15, v11, s6
	v_add_co_u32 v13, s6, s14, v13
	v_add_co_ci_u32_e64 v14, null, s15, v14, s6
	s_clause 0x1
	global_load_dword v5, v[10:11], off
	global_load_dword v7, v[13:14], off
	s_waitcnt vmcnt(0)
	v_cmp_ge_i32_e64 s6, v5, v7
	s_and_b32 s12, s6, exec_lo
.LBB987_554:
	s_or_b32 exec_lo, exec_lo, s10
	s_orn2_b32 s10, s12, exec_lo
.LBB987_555:
	s_or_b32 exec_lo, exec_lo, s11
	v_cndmask_b32_e64 v5, v2, v4, s10
	v_cndmask_b32_e64 v7, v38, v22, s10
	s_mov_b32 s12, -1
	s_mov_b32 s11, -1
	s_mov_b32 s13, exec_lo
	v_add_nc_u32_e32 v5, 1, v5
	v_add_nc_u32_e32 v7, -1, v7
	v_cndmask_b32_e64 v2, v5, v2, s10
	v_min_u32_e32 v7, v5, v7
	v_cndmask_b32_e64 v4, v4, v5, s10
	v_lshl_add_u32 v7, v7, 2, v34
	ds_read_b32 v7, v7
	s_waitcnt lgkmcnt(0)
	v_cndmask_b32_e64 v10, v7, v9, s10
	v_cndmask_b32_e64 v13, v12, v7, s10
	v_cmpx_lt_u32_e64 v2, v38
	s_cbranch_execz .LBB987_559
; %bb.556:
	s_mov_b32 s20, 0
	s_mov_b32 s11, exec_lo
	v_cmpx_lt_u32_e64 v4, v22
	s_cbranch_execz .LBB987_558
; %bb.557:
	v_ashrrev_i32_e32 v11, 31, v10
	v_ashrrev_i32_e32 v14, 31, v13
	v_lshlrev_b64 v[15:16], 2, v[10:11]
	v_lshlrev_b64 v[17:18], 2, v[13:14]
	v_add_co_u32 v14, s6, s14, v15
	v_add_co_ci_u32_e64 v15, null, s15, v16, s6
	v_add_co_u32 v16, s6, s14, v17
	v_add_co_ci_u32_e64 v17, null, s15, v18, s6
	s_clause 0x1
	global_load_dword v5, v[14:15], off
	global_load_dword v7, v[16:17], off
	s_waitcnt vmcnt(0)
	v_cmp_ge_i32_e64 s6, v5, v7
	s_and_b32 s20, s6, exec_lo
.LBB987_558:
	s_or_b32 exec_lo, exec_lo, s11
	s_orn2_b32 s11, s20, exec_lo
.LBB987_559:
	s_or_b32 exec_lo, exec_lo, s13
	v_cndmask_b32_e64 v5, v2, v4, s11
	v_cndmask_b32_e64 v7, v38, v22, s11
	s_mov_b32 s13, exec_lo
	v_add_nc_u32_e32 v5, 1, v5
	v_add_nc_u32_e32 v7, -1, v7
	v_cndmask_b32_e64 v2, v5, v2, s11
	v_min_u32_e32 v7, v5, v7
	v_lshl_add_u32 v7, v7, 2, v34
	ds_read_b32 v11, v7
	v_cndmask_b32_e64 v7, v4, v5, s11
	s_waitcnt lgkmcnt(0)
	v_cndmask_b32_e64 v4, v11, v10, s11
	v_cndmask_b32_e64 v14, v13, v11, s11
	v_cmpx_lt_u32_e64 v2, v38
	s_cbranch_execz .LBB987_563
; %bb.560:
	s_mov_b32 s20, 0
	s_mov_b32 s12, exec_lo
	v_cmpx_lt_u32_e64 v7, v22
	s_cbranch_execz .LBB987_562
; %bb.561:
	v_ashrrev_i32_e32 v5, 31, v4
	v_ashrrev_i32_e32 v15, 31, v14
	v_lshlrev_b64 v[16:17], 2, v[4:5]
	v_lshlrev_b64 v[18:19], 2, v[14:15]
	v_add_co_u32 v15, s6, s14, v16
	v_add_co_ci_u32_e64 v16, null, s15, v17, s6
	v_add_co_u32 v17, s6, s14, v18
	v_add_co_ci_u32_e64 v18, null, s15, v19, s6
	s_clause 0x1
	global_load_dword v5, v[15:16], off
	global_load_dword v11, v[17:18], off
	s_waitcnt vmcnt(0)
	v_cmp_ge_i32_e64 s6, v5, v11
	s_and_b32 s20, s6, exec_lo
.LBB987_562:
	s_or_b32 exec_lo, exec_lo, s12
	s_orn2_b32 s12, s20, exec_lo
.LBB987_563:
	s_or_b32 exec_lo, exec_lo, s13
	v_cndmask_b32_e64 v5, v2, v7, s12
	v_cndmask_b32_e64 v11, v38, v22, s12
	s_mov_b32 s13, -1
	s_mov_b32 s20, -1
	s_mov_b32 s21, exec_lo
	v_add_nc_u32_e32 v5, 1, v5
	v_add_nc_u32_e32 v11, -1, v11
	v_cndmask_b32_e64 v2, v5, v2, s12
	v_min_u32_e32 v11, v5, v11
	v_cndmask_b32_e64 v5, v7, v5, s12
	v_lshl_add_u32 v11, v11, 2, v34
	ds_read_b32 v11, v11
	s_waitcnt lgkmcnt(0)
	v_cndmask_b32_e64 v15, v11, v4, s12
	v_cndmask_b32_e64 v17, v14, v11, s12
	v_cmpx_lt_u32_e64 v2, v38
	s_cbranch_execz .LBB987_567
; %bb.564:
	s_mov_b32 s22, 0
	s_mov_b32 s20, exec_lo
	v_cmpx_lt_u32_e64 v5, v22
	s_cbranch_execz .LBB987_566
; %bb.565:
	v_ashrrev_i32_e32 v16, 31, v15
	v_ashrrev_i32_e32 v18, 31, v17
	v_lshlrev_b64 v[19:20], 2, v[15:16]
	v_lshlrev_b64 v[39:40], 2, v[17:18]
	v_add_co_u32 v18, s6, s14, v19
	v_add_co_ci_u32_e64 v19, null, s15, v20, s6
	v_add_co_u32 v20, s6, s14, v39
	v_add_co_ci_u32_e64 v21, null, s15, v40, s6
	s_clause 0x1
	global_load_dword v7, v[18:19], off
	global_load_dword v11, v[20:21], off
	s_waitcnt vmcnt(0)
	v_cmp_ge_i32_e64 s6, v7, v11
	s_and_b32 s22, s6, exec_lo
.LBB987_566:
	s_or_b32 exec_lo, exec_lo, s20
	s_orn2_b32 s20, s22, exec_lo
.LBB987_567:
	s_or_b32 exec_lo, exec_lo, s21
	v_cndmask_b32_e64 v7, v2, v5, s20
	v_cndmask_b32_e64 v11, v38, v22, s20
	s_mov_b32 s21, exec_lo
	v_add_nc_u32_e32 v16, 1, v7
	v_add_nc_u32_e32 v7, -1, v11
	v_min_u32_e32 v7, v16, v7
	v_lshl_add_u32 v7, v7, 2, v34
	ds_read_b32 v11, v7
	v_cndmask_b32_e64 v7, v16, v2, s20
	v_cndmask_b32_e64 v2, v5, v16, s20
	s_waitcnt lgkmcnt(0)
	v_cndmask_b32_e64 v18, v11, v15, s20
	v_cndmask_b32_e64 v20, v17, v11, s20
	v_cmpx_lt_u32_e64 v7, v38
	s_cbranch_execz .LBB987_571
; %bb.568:
	s_mov_b32 s22, 0
	s_mov_b32 s13, exec_lo
	v_cmpx_lt_u32_e64 v2, v22
	s_cbranch_execz .LBB987_570
; %bb.569:
	v_ashrrev_i32_e32 v19, 31, v18
	v_ashrrev_i32_e32 v21, 31, v20
	v_lshlrev_b64 v[39:40], 2, v[18:19]
	v_lshlrev_b64 v[41:42], 2, v[20:21]
	v_add_co_u32 v39, s6, s14, v39
	v_add_co_ci_u32_e64 v40, null, s15, v40, s6
	v_add_co_u32 v41, s6, s14, v41
	v_add_co_ci_u32_e64 v42, null, s15, v42, s6
	s_clause 0x1
	global_load_dword v5, v[39:40], off
	global_load_dword v11, v[41:42], off
	s_waitcnt vmcnt(0)
	v_cmp_ge_i32_e64 s6, v5, v11
	s_and_b32 s22, s6, exec_lo
.LBB987_570:
	s_or_b32 exec_lo, exec_lo, s13
	s_orn2_b32 s13, s22, exec_lo
.LBB987_571:
	s_or_b32 exec_lo, exec_lo, s21
	v_cndmask_b32_e64 v5, v7, v2, s13
	v_cndmask_b32_e64 v11, v38, v22, s13
	s_mov_b32 s21, exec_lo
	v_add_nc_u32_e32 v5, 1, v5
	v_add_nc_u32_e32 v11, -1, v11
	v_cndmask_b32_e64 v16, v5, v7, s13
	v_min_u32_e32 v11, v5, v11
	v_lshl_add_u32 v11, v11, 2, v34
	ds_read_b32 v11, v11
	s_waitcnt lgkmcnt(0)
	v_cndmask_b32_e64 v7, v20, v11, s13
	v_cmpx_lt_u32_e64 v16, v38
	s_cbranch_execz .LBB987_575
; %bb.572:
	v_cndmask_b32_e64 v2, v2, v5, s13
	v_cndmask_b32_e64 v21, v11, v18, s13
	s_mov_b32 s22, exec_lo
	v_cmpx_lt_u32_e64 v2, v22
	s_cbranch_execz .LBB987_574
; %bb.573:
	v_ashrrev_i32_e32 v22, 31, v21
	v_ashrrev_i32_e32 v39, 31, v7
	v_mov_b32_e32 v38, v7
	v_lshlrev_b64 v[40:41], 2, v[21:22]
	v_lshlrev_b64 v[38:39], 2, v[38:39]
	v_add_co_u32 v40, s6, s14, v40
	v_add_co_ci_u32_e64 v41, null, s15, v41, s6
	v_add_co_u32 v38, s6, s14, v38
	v_add_co_ci_u32_e64 v39, null, s15, v39, s6
	s_clause 0x1
	global_load_dword v2, v[40:41], off
	global_load_dword v5, v[38:39], off
	s_waitcnt vmcnt(0)
	v_cmp_lt_i32_e64 s6, v2, v5
	v_cndmask_b32_e64 v21, v7, v21, s6
.LBB987_574:
	s_or_b32 exec_lo, exec_lo, s22
	v_mov_b32_e32 v7, v21
.LBB987_575:
	s_or_b32 exec_lo, exec_lo, s21
	v_cndmask_b32_e64 v5, v15, v17, s20
	v_cndmask_b32_e64 v4, v4, v14, s12
	;; [unrolled: 1-line block ×7, first 2 shown]
.LBB987_576:
	s_or_b32 exec_lo, exec_lo, s8
	v_and_b32_e32 v1, 0x80, v36
	v_and_b32_e32 v3, 0x78, v36
	s_mov_b32 s7, exec_lo
	; wave barrier
	v_or_b32_e32 v2, 64, v1
	v_min_u32_e32 v12, v35, v3
	ds_write_b128 v37, v[8:11]
	ds_write_b128 v37, v[4:7] offset:16
	; wave barrier
	v_min_u32_e32 v22, v35, v2
	v_add_nc_u32_e32 v2, 64, v22
	v_sub_nc_u32_e32 v3, v22, v1
	v_min_u32_e32 v36, v35, v2
	v_min_u32_e32 v13, v12, v3
	v_lshl_add_u32 v3, v1, 2, v34
	v_sub_nc_u32_e32 v2, v36, v22
	v_sub_nc_u32_e64 v2, v12, v2 clamp
	v_cmpx_lt_u32_e64 v2, v13
	s_cbranch_execz .LBB987_580
; %bb.577:
	v_lshlrev_b32_e32 v14, 2, v22
	v_lshlrev_b32_e32 v15, 2, v12
	s_mov_b32 s8, 0
	v_add3_u32 v14, v34, v14, v15
	s_inst_prefetch 0x1
	.p2align	6
.LBB987_578:                            ; =>This Inner Loop Header: Depth=1
	v_add_nc_u32_e32 v15, v13, v2
	v_lshrrev_b32_e32 v19, 1, v15
	v_not_b32_e32 v15, v19
	v_lshl_add_u32 v16, v19, 2, v3
	v_lshl_add_u32 v17, v15, 2, v14
	ds_read_b32 v15, v16
	ds_read_b32 v17, v17
	s_waitcnt lgkmcnt(1)
	v_ashrrev_i32_e32 v16, 31, v15
	s_waitcnt lgkmcnt(0)
	v_ashrrev_i32_e32 v18, 31, v17
	v_lshlrev_b64 v[15:16], 2, v[15:16]
	v_lshlrev_b64 v[17:18], 2, v[17:18]
	v_add_co_u32 v15, s6, s14, v15
	v_add_co_ci_u32_e64 v16, null, s15, v16, s6
	v_add_co_u32 v17, s6, s14, v17
	v_add_co_ci_u32_e64 v18, null, s15, v18, s6
	s_clause 0x1
	global_load_dword v17, v[17:18], off
	global_load_dword v15, v[15:16], off
	v_add_nc_u32_e32 v16, 1, v19
	s_waitcnt vmcnt(0)
	v_cmp_lt_i32_e64 s6, v17, v15
	v_cndmask_b32_e64 v13, v13, v19, s6
	v_cndmask_b32_e64 v2, v16, v2, s6
	v_cmp_ge_u32_e64 s6, v2, v13
	s_or_b32 s8, s6, s8
	s_andn2_b32 exec_lo, exec_lo, s8
	s_cbranch_execnz .LBB987_578
; %bb.579:
	s_inst_prefetch 0x2
	s_or_b32 exec_lo, exec_lo, s8
.LBB987_580:
	s_or_b32 exec_lo, exec_lo, s7
	v_add_nc_u32_e32 v13, v22, v12
	v_add_nc_u32_e32 v12, v2, v1
	v_sub_nc_u32_e32 v13, v13, v2
	v_cmp_le_u32_e64 s6, v12, v22
	v_cmp_le_u32_e64 s7, v13, v36
	s_or_b32 s6, s6, s7
	s_and_saveexec_b32 s8, s6
	s_cbranch_execz .LBB987_616
; %bb.581:
	v_cmp_ge_u32_e64 s6, v12, v22
	s_mov_b32 s9, exec_lo
                                        ; implicit-def: $vgpr1
	v_cmpx_lt_u32_e64 v12, v22
; %bb.582:
	v_lshl_add_u32 v1, v2, 2, v3
	ds_read_b32 v1, v1
; %bb.583:
	s_or_b32 exec_lo, exec_lo, s9
	v_cmp_ge_u32_e64 s9, v13, v36
	s_mov_b32 s10, exec_lo
                                        ; implicit-def: $vgpr3
	v_cmpx_lt_u32_e64 v13, v36
; %bb.584:
	v_lshl_add_u32 v2, v13, 2, v34
	ds_read_b32 v3, v2
; %bb.585:
	s_or_b32 exec_lo, exec_lo, s10
	s_nor_b32 s6, s6, s9
	s_and_saveexec_b32 s7, s6
	s_cbranch_execz .LBB987_587
; %bb.586:
	s_waitcnt lgkmcnt(0)
	v_ashrrev_i32_e32 v4, 31, v3
	v_ashrrev_i32_e32 v2, 31, v1
	s_andn2_b32 s9, s9, exec_lo
	v_lshlrev_b64 v[4:5], 2, v[3:4]
	v_lshlrev_b64 v[6:7], 2, v[1:2]
	v_add_co_u32 v4, s6, s14, v4
	v_add_co_ci_u32_e64 v5, null, s15, v5, s6
	v_add_co_u32 v6, s6, s14, v6
	v_add_co_ci_u32_e64 v7, null, s15, v7, s6
	s_clause 0x1
	global_load_dword v2, v[4:5], off
	global_load_dword v4, v[6:7], off
	s_waitcnt vmcnt(0)
	v_cmp_ge_i32_e64 s6, v2, v4
	s_and_b32 s6, s6, exec_lo
	s_or_b32 s9, s9, s6
.LBB987_587:
	s_or_b32 exec_lo, exec_lo, s7
	v_cndmask_b32_e64 v2, v13, v12, s9
	v_cndmask_b32_e64 v4, v36, v22, s9
	s_mov_b32 s10, -1
	s_mov_b32 s7, -1
	s_mov_b32 s11, exec_lo
	v_add_nc_u32_e32 v5, 1, v2
	v_add_nc_u32_e32 v2, -1, v4
	v_cndmask_b32_e64 v4, v12, v5, s9
	v_min_u32_e32 v2, v5, v2
	v_lshl_add_u32 v2, v2, 2, v34
	ds_read_b32 v7, v2
	v_cndmask_b32_e64 v2, v5, v13, s9
	s_waitcnt lgkmcnt(0)
	v_cndmask_b32_e64 v6, v7, v3, s9
	v_cndmask_b32_e64 v8, v1, v7, s9
	v_cmpx_lt_u32_e64 v2, v36
	s_cbranch_execz .LBB987_591
; %bb.588:
	s_mov_b32 s12, 0
	s_mov_b32 s7, exec_lo
	v_cmpx_lt_u32_e64 v4, v22
	s_cbranch_execz .LBB987_590
; %bb.589:
	v_ashrrev_i32_e32 v7, 31, v6
	v_ashrrev_i32_e32 v9, 31, v8
	v_lshlrev_b64 v[10:11], 2, v[6:7]
	v_lshlrev_b64 v[12:13], 2, v[8:9]
	v_add_co_u32 v9, s6, s14, v10
	v_add_co_ci_u32_e64 v10, null, s15, v11, s6
	v_add_co_u32 v11, s6, s14, v12
	v_add_co_ci_u32_e64 v12, null, s15, v13, s6
	s_clause 0x1
	global_load_dword v5, v[9:10], off
	global_load_dword v7, v[11:12], off
	s_waitcnt vmcnt(0)
	v_cmp_ge_i32_e64 s6, v5, v7
	s_and_b32 s12, s6, exec_lo
.LBB987_590:
	s_or_b32 exec_lo, exec_lo, s7
	s_orn2_b32 s7, s12, exec_lo
.LBB987_591:
	s_or_b32 exec_lo, exec_lo, s11
	v_cndmask_b32_e64 v5, v2, v4, s7
	v_cndmask_b32_e64 v7, v36, v22, s7
	s_mov_b32 s11, exec_lo
	v_add_nc_u32_e32 v5, 1, v5
	v_add_nc_u32_e32 v7, -1, v7
	v_cndmask_b32_e64 v2, v5, v2, s7
	v_min_u32_e32 v7, v5, v7
	v_cndmask_b32_e64 v4, v4, v5, s7
	v_lshl_add_u32 v7, v7, 2, v34
	ds_read_b32 v7, v7
	s_waitcnt lgkmcnt(0)
	v_cndmask_b32_e64 v9, v7, v6, s7
	v_cndmask_b32_e64 v12, v8, v7, s7
	v_cmpx_lt_u32_e64 v2, v36
	s_cbranch_execz .LBB987_595
; %bb.592:
	s_mov_b32 s12, 0
	s_mov_b32 s10, exec_lo
	v_cmpx_lt_u32_e64 v4, v22
	s_cbranch_execz .LBB987_594
; %bb.593:
	v_ashrrev_i32_e32 v10, 31, v9
	v_ashrrev_i32_e32 v13, 31, v12
	v_lshlrev_b64 v[10:11], 2, v[9:10]
	v_lshlrev_b64 v[13:14], 2, v[12:13]
	v_add_co_u32 v10, s6, s14, v10
	v_add_co_ci_u32_e64 v11, null, s15, v11, s6
	v_add_co_u32 v13, s6, s14, v13
	v_add_co_ci_u32_e64 v14, null, s15, v14, s6
	s_clause 0x1
	global_load_dword v5, v[10:11], off
	global_load_dword v7, v[13:14], off
	s_waitcnt vmcnt(0)
	v_cmp_ge_i32_e64 s6, v5, v7
	s_and_b32 s12, s6, exec_lo
.LBB987_594:
	s_or_b32 exec_lo, exec_lo, s10
	s_orn2_b32 s10, s12, exec_lo
.LBB987_595:
	s_or_b32 exec_lo, exec_lo, s11
	v_cndmask_b32_e64 v5, v2, v4, s10
	v_cndmask_b32_e64 v7, v36, v22, s10
	s_mov_b32 s12, -1
	s_mov_b32 s11, -1
	s_mov_b32 s13, exec_lo
	v_add_nc_u32_e32 v5, 1, v5
	v_add_nc_u32_e32 v7, -1, v7
	v_cndmask_b32_e64 v2, v5, v2, s10
	v_min_u32_e32 v7, v5, v7
	v_cndmask_b32_e64 v4, v4, v5, s10
	v_lshl_add_u32 v7, v7, 2, v34
	ds_read_b32 v7, v7
	s_waitcnt lgkmcnt(0)
	v_cndmask_b32_e64 v10, v7, v9, s10
	v_cndmask_b32_e64 v13, v12, v7, s10
	v_cmpx_lt_u32_e64 v2, v36
	s_cbranch_execz .LBB987_599
; %bb.596:
	s_mov_b32 s20, 0
	s_mov_b32 s11, exec_lo
	v_cmpx_lt_u32_e64 v4, v22
	s_cbranch_execz .LBB987_598
; %bb.597:
	v_ashrrev_i32_e32 v11, 31, v10
	v_ashrrev_i32_e32 v14, 31, v13
	v_lshlrev_b64 v[15:16], 2, v[10:11]
	v_lshlrev_b64 v[17:18], 2, v[13:14]
	v_add_co_u32 v14, s6, s14, v15
	v_add_co_ci_u32_e64 v15, null, s15, v16, s6
	v_add_co_u32 v16, s6, s14, v17
	v_add_co_ci_u32_e64 v17, null, s15, v18, s6
	s_clause 0x1
	global_load_dword v5, v[14:15], off
	global_load_dword v7, v[16:17], off
	s_waitcnt vmcnt(0)
	v_cmp_ge_i32_e64 s6, v5, v7
	s_and_b32 s20, s6, exec_lo
.LBB987_598:
	s_or_b32 exec_lo, exec_lo, s11
	s_orn2_b32 s11, s20, exec_lo
.LBB987_599:
	s_or_b32 exec_lo, exec_lo, s13
	v_cndmask_b32_e64 v5, v2, v4, s11
	v_cndmask_b32_e64 v7, v36, v22, s11
	s_mov_b32 s13, exec_lo
	v_add_nc_u32_e32 v5, 1, v5
	v_add_nc_u32_e32 v7, -1, v7
	v_cndmask_b32_e64 v2, v5, v2, s11
	v_min_u32_e32 v7, v5, v7
	v_lshl_add_u32 v7, v7, 2, v34
	ds_read_b32 v11, v7
	v_cndmask_b32_e64 v7, v4, v5, s11
	s_waitcnt lgkmcnt(0)
	v_cndmask_b32_e64 v4, v11, v10, s11
	v_cndmask_b32_e64 v14, v13, v11, s11
	v_cmpx_lt_u32_e64 v2, v36
	s_cbranch_execz .LBB987_603
; %bb.600:
	s_mov_b32 s20, 0
	s_mov_b32 s12, exec_lo
	v_cmpx_lt_u32_e64 v7, v22
	s_cbranch_execz .LBB987_602
; %bb.601:
	v_ashrrev_i32_e32 v5, 31, v4
	v_ashrrev_i32_e32 v15, 31, v14
	v_lshlrev_b64 v[16:17], 2, v[4:5]
	v_lshlrev_b64 v[18:19], 2, v[14:15]
	v_add_co_u32 v15, s6, s14, v16
	v_add_co_ci_u32_e64 v16, null, s15, v17, s6
	v_add_co_u32 v17, s6, s14, v18
	v_add_co_ci_u32_e64 v18, null, s15, v19, s6
	s_clause 0x1
	global_load_dword v5, v[15:16], off
	global_load_dword v11, v[17:18], off
	s_waitcnt vmcnt(0)
	v_cmp_ge_i32_e64 s6, v5, v11
	s_and_b32 s20, s6, exec_lo
.LBB987_602:
	s_or_b32 exec_lo, exec_lo, s12
	s_orn2_b32 s12, s20, exec_lo
.LBB987_603:
	s_or_b32 exec_lo, exec_lo, s13
	v_cndmask_b32_e64 v5, v2, v7, s12
	v_cndmask_b32_e64 v11, v36, v22, s12
	s_mov_b32 s13, -1
	s_mov_b32 s20, -1
	s_mov_b32 s21, exec_lo
	v_add_nc_u32_e32 v5, 1, v5
	v_add_nc_u32_e32 v11, -1, v11
	v_cndmask_b32_e64 v2, v5, v2, s12
	v_min_u32_e32 v11, v5, v11
	v_cndmask_b32_e64 v5, v7, v5, s12
	v_lshl_add_u32 v11, v11, 2, v34
	ds_read_b32 v11, v11
	s_waitcnt lgkmcnt(0)
	v_cndmask_b32_e64 v15, v11, v4, s12
	v_cndmask_b32_e64 v17, v14, v11, s12
	v_cmpx_lt_u32_e64 v2, v36
	s_cbranch_execz .LBB987_607
; %bb.604:
	s_mov_b32 s22, 0
	s_mov_b32 s20, exec_lo
	v_cmpx_lt_u32_e64 v5, v22
	s_cbranch_execz .LBB987_606
; %bb.605:
	v_ashrrev_i32_e32 v16, 31, v15
	v_ashrrev_i32_e32 v18, 31, v17
	v_lshlrev_b64 v[19:20], 2, v[15:16]
	v_lshlrev_b64 v[37:38], 2, v[17:18]
	v_add_co_u32 v18, s6, s14, v19
	v_add_co_ci_u32_e64 v19, null, s15, v20, s6
	v_add_co_u32 v20, s6, s14, v37
	v_add_co_ci_u32_e64 v21, null, s15, v38, s6
	s_clause 0x1
	global_load_dword v7, v[18:19], off
	global_load_dword v11, v[20:21], off
	s_waitcnt vmcnt(0)
	v_cmp_ge_i32_e64 s6, v7, v11
	s_and_b32 s22, s6, exec_lo
.LBB987_606:
	s_or_b32 exec_lo, exec_lo, s20
	s_orn2_b32 s20, s22, exec_lo
.LBB987_607:
	s_or_b32 exec_lo, exec_lo, s21
	v_cndmask_b32_e64 v7, v2, v5, s20
	v_cndmask_b32_e64 v11, v36, v22, s20
	s_mov_b32 s21, exec_lo
	v_add_nc_u32_e32 v16, 1, v7
	v_add_nc_u32_e32 v7, -1, v11
	v_min_u32_e32 v7, v16, v7
	v_lshl_add_u32 v7, v7, 2, v34
	ds_read_b32 v11, v7
	v_cndmask_b32_e64 v7, v16, v2, s20
	v_cndmask_b32_e64 v2, v5, v16, s20
	s_waitcnt lgkmcnt(0)
	v_cndmask_b32_e64 v18, v11, v15, s20
	v_cndmask_b32_e64 v20, v17, v11, s20
	v_cmpx_lt_u32_e64 v7, v36
	s_cbranch_execz .LBB987_611
; %bb.608:
	s_mov_b32 s22, 0
	s_mov_b32 s13, exec_lo
	v_cmpx_lt_u32_e64 v2, v22
	s_cbranch_execz .LBB987_610
; %bb.609:
	v_ashrrev_i32_e32 v19, 31, v18
	v_ashrrev_i32_e32 v21, 31, v20
	v_lshlrev_b64 v[37:38], 2, v[18:19]
	v_lshlrev_b64 v[39:40], 2, v[20:21]
	v_add_co_u32 v37, s6, s14, v37
	v_add_co_ci_u32_e64 v38, null, s15, v38, s6
	v_add_co_u32 v39, s6, s14, v39
	v_add_co_ci_u32_e64 v40, null, s15, v40, s6
	s_clause 0x1
	global_load_dword v5, v[37:38], off
	global_load_dword v11, v[39:40], off
	s_waitcnt vmcnt(0)
	v_cmp_ge_i32_e64 s6, v5, v11
	s_and_b32 s22, s6, exec_lo
.LBB987_610:
	s_or_b32 exec_lo, exec_lo, s13
	s_orn2_b32 s13, s22, exec_lo
.LBB987_611:
	s_or_b32 exec_lo, exec_lo, s21
	v_cndmask_b32_e64 v5, v7, v2, s13
	v_cndmask_b32_e64 v11, v36, v22, s13
	s_mov_b32 s21, exec_lo
	v_add_nc_u32_e32 v5, 1, v5
	v_add_nc_u32_e32 v11, -1, v11
	v_cndmask_b32_e64 v16, v5, v7, s13
	v_min_u32_e32 v11, v5, v11
	v_lshl_add_u32 v11, v11, 2, v34
	ds_read_b32 v11, v11
	s_waitcnt lgkmcnt(0)
	v_cndmask_b32_e64 v7, v20, v11, s13
	v_cmpx_lt_u32_e64 v16, v36
	s_cbranch_execz .LBB987_615
; %bb.612:
	v_cndmask_b32_e64 v2, v2, v5, s13
	v_cndmask_b32_e64 v21, v11, v18, s13
	s_mov_b32 s22, exec_lo
	v_cmpx_lt_u32_e64 v2, v22
	s_cbranch_execz .LBB987_614
; %bb.613:
	v_ashrrev_i32_e32 v22, 31, v21
	v_ashrrev_i32_e32 v35, 31, v7
	v_mov_b32_e32 v34, v7
	v_lshlrev_b64 v[36:37], 2, v[21:22]
	v_lshlrev_b64 v[34:35], 2, v[34:35]
	v_add_co_u32 v36, s6, s14, v36
	v_add_co_ci_u32_e64 v37, null, s15, v37, s6
	v_add_co_u32 v34, s6, s14, v34
	v_add_co_ci_u32_e64 v35, null, s15, v35, s6
	s_clause 0x1
	global_load_dword v2, v[36:37], off
	global_load_dword v5, v[34:35], off
	s_waitcnt vmcnt(0)
	v_cmp_lt_i32_e64 s6, v2, v5
	v_cndmask_b32_e64 v21, v7, v21, s6
.LBB987_614:
	s_or_b32 exec_lo, exec_lo, s22
	v_mov_b32_e32 v7, v21
.LBB987_615:
	s_or_b32 exec_lo, exec_lo, s21
	v_cndmask_b32_e64 v5, v15, v17, s20
	v_cndmask_b32_e64 v4, v4, v14, s12
	v_cndmask_b32_e64 v11, v10, v13, s11
	v_cndmask_b32_e64 v10, v9, v12, s10
	v_cndmask_b32_e64 v9, v6, v8, s7
	v_cndmask_b32_e64 v8, v3, v1, s9
	v_cndmask_b32_e64 v6, v18, v20, s13
.LBB987_616:
	s_or_b32 exec_lo, exec_lo, s8
	s_cmpk_lt_u32 s16, 0x81
	; wave barrier
	s_waitcnt lgkmcnt(0)
	s_barrier
	buffer_gl0_inv
	s_cbranch_scc1 .LBB987_659
; %bb.617:
	v_lshlrev_b32_e32 v34, 2, v33
	s_movk_i32 s8, 0x80
	s_branch .LBB987_621
.LBB987_618:                            ;   in Loop: Header=BB987_621 Depth=1
	s_or_b32 exec_lo, exec_lo, s23
	v_mov_b32_e32 v7, v21
.LBB987_619:                            ;   in Loop: Header=BB987_621 Depth=1
	s_or_b32 exec_lo, exec_lo, s22
	v_cndmask_b32_e64 v5, v15, v17, s21
	v_cndmask_b32_e64 v4, v4, v14, s13
	;; [unrolled: 1-line block ×7, first 2 shown]
.LBB987_620:                            ;   in Loop: Header=BB987_621 Depth=1
	s_or_b32 exec_lo, exec_lo, s9
	s_cmp_lt_u32 s8, s16
	s_barrier
	buffer_gl0_inv
	s_cbranch_scc0 .LBB987_659
.LBB987_621:                            ; =>This Loop Header: Depth=1
                                        ;     Child Loop BB987_623 Depth 2
	s_mov_b32 s6, s8
	s_lshl_b32 s8, s8, 1
	ds_write_b128 v34, v[8:11]
	s_sub_i32 s7, 0, s8
	ds_write_b128 v34, v[4:7] offset:16
	v_and_b32_e32 v1, s7, v33
	s_mov_b32 s7, exec_lo
	s_waitcnt lgkmcnt(0)
	s_barrier
	buffer_gl0_inv
	v_add_nc_u32_e32 v2, s6, v1
	v_min_u32_e32 v22, s16, v2
	v_add_nc_u32_e32 v2, s6, v22
	s_add_i32 s6, s8, -1
	v_and_b32_e32 v3, s6, v33
	v_min_u32_e32 v35, s16, v2
	v_min_u32_e32 v12, s16, v3
	v_sub_nc_u32_e32 v3, v22, v1
	v_sub_nc_u32_e32 v2, v35, v22
	v_min_u32_e32 v13, v12, v3
	v_sub_nc_u32_e64 v2, v12, v2 clamp
	v_lshlrev_b32_e32 v3, 2, v1
	v_cmpx_lt_u32_e64 v2, v13
	s_cbranch_execz .LBB987_625
; %bb.622:                              ;   in Loop: Header=BB987_621 Depth=1
	v_lshlrev_b32_e32 v14, 2, v12
	s_mov_b32 s9, 0
	v_lshl_add_u32 v14, v22, 2, v14
	s_inst_prefetch 0x1
	.p2align	6
.LBB987_623:                            ;   Parent Loop BB987_621 Depth=1
                                        ; =>  This Inner Loop Header: Depth=2
	v_add_nc_u32_e32 v15, v13, v2
	v_lshrrev_b32_e32 v19, 1, v15
	v_not_b32_e32 v15, v19
	v_lshl_add_u32 v16, v19, 2, v3
	v_lshl_add_u32 v17, v15, 2, v14
	ds_read_b32 v15, v16
	ds_read_b32 v17, v17
	s_waitcnt lgkmcnt(1)
	v_ashrrev_i32_e32 v16, 31, v15
	s_waitcnt lgkmcnt(0)
	v_ashrrev_i32_e32 v18, 31, v17
	v_lshlrev_b64 v[15:16], 2, v[15:16]
	v_lshlrev_b64 v[17:18], 2, v[17:18]
	v_add_co_u32 v15, s6, s14, v15
	v_add_co_ci_u32_e64 v16, null, s15, v16, s6
	v_add_co_u32 v17, s6, s14, v17
	v_add_co_ci_u32_e64 v18, null, s15, v18, s6
	s_clause 0x1
	global_load_dword v17, v[17:18], off
	global_load_dword v15, v[15:16], off
	v_add_nc_u32_e32 v16, 1, v19
	s_waitcnt vmcnt(0)
	v_cmp_lt_i32_e64 s6, v17, v15
	v_cndmask_b32_e64 v13, v13, v19, s6
	v_cndmask_b32_e64 v2, v16, v2, s6
	v_cmp_ge_u32_e64 s6, v2, v13
	s_or_b32 s9, s6, s9
	s_andn2_b32 exec_lo, exec_lo, s9
	s_cbranch_execnz .LBB987_623
; %bb.624:                              ;   in Loop: Header=BB987_621 Depth=1
	s_inst_prefetch 0x2
	s_or_b32 exec_lo, exec_lo, s9
.LBB987_625:                            ;   in Loop: Header=BB987_621 Depth=1
	s_or_b32 exec_lo, exec_lo, s7
	v_sub_nc_u32_e32 v13, v12, v2
	v_add_nc_u32_e32 v12, v2, v1
	v_add_nc_u32_e32 v13, v13, v22
	v_cmp_le_u32_e64 s6, v12, v22
	v_cmp_le_u32_e64 s7, v13, v35
	s_or_b32 s6, s6, s7
	s_and_saveexec_b32 s9, s6
	s_cbranch_execz .LBB987_620
; %bb.626:                              ;   in Loop: Header=BB987_621 Depth=1
	v_cmp_ge_u32_e64 s6, v12, v22
	s_mov_b32 s10, exec_lo
                                        ; implicit-def: $vgpr1
	v_cmpx_lt_u32_e64 v12, v22
; %bb.627:                              ;   in Loop: Header=BB987_621 Depth=1
	v_lshl_add_u32 v1, v2, 2, v3
	ds_read_b32 v1, v1
; %bb.628:                              ;   in Loop: Header=BB987_621 Depth=1
	s_or_b32 exec_lo, exec_lo, s10
	v_cmp_ge_u32_e64 s10, v13, v35
	s_mov_b32 s11, exec_lo
                                        ; implicit-def: $vgpr3
	v_cmpx_lt_u32_e64 v13, v35
; %bb.629:                              ;   in Loop: Header=BB987_621 Depth=1
	v_lshlrev_b32_e32 v2, 2, v13
	ds_read_b32 v3, v2
; %bb.630:                              ;   in Loop: Header=BB987_621 Depth=1
	s_or_b32 exec_lo, exec_lo, s11
	s_nor_b32 s6, s6, s10
	s_and_saveexec_b32 s7, s6
	s_cbranch_execz .LBB987_632
; %bb.631:                              ;   in Loop: Header=BB987_621 Depth=1
	s_waitcnt lgkmcnt(0)
	v_ashrrev_i32_e32 v4, 31, v3
	v_ashrrev_i32_e32 v2, 31, v1
	s_andn2_b32 s10, s10, exec_lo
	v_lshlrev_b64 v[4:5], 2, v[3:4]
	v_lshlrev_b64 v[6:7], 2, v[1:2]
	v_add_co_u32 v4, s6, s14, v4
	v_add_co_ci_u32_e64 v5, null, s15, v5, s6
	v_add_co_u32 v6, s6, s14, v6
	v_add_co_ci_u32_e64 v7, null, s15, v7, s6
	s_clause 0x1
	global_load_dword v2, v[4:5], off
	global_load_dword v4, v[6:7], off
	s_waitcnt vmcnt(0)
	v_cmp_ge_i32_e64 s6, v2, v4
	s_and_b32 s6, s6, exec_lo
	s_or_b32 s10, s10, s6
.LBB987_632:                            ;   in Loop: Header=BB987_621 Depth=1
	s_or_b32 exec_lo, exec_lo, s7
	v_cndmask_b32_e64 v2, v13, v12, s10
	v_cndmask_b32_e64 v4, v35, v22, s10
	s_mov_b32 s11, -1
	s_mov_b32 s7, -1
	s_mov_b32 s12, exec_lo
	v_add_nc_u32_e32 v5, 1, v2
	v_add_nc_u32_e32 v2, -1, v4
	v_cndmask_b32_e64 v4, v12, v5, s10
	v_min_u32_e32 v2, v5, v2
	v_lshlrev_b32_e32 v2, 2, v2
	ds_read_b32 v7, v2
	v_cndmask_b32_e64 v2, v5, v13, s10
	s_waitcnt lgkmcnt(0)
	v_cndmask_b32_e64 v6, v7, v3, s10
	v_cndmask_b32_e64 v8, v1, v7, s10
	v_cmpx_lt_u32_e64 v2, v35
	s_cbranch_execz .LBB987_636
; %bb.633:                              ;   in Loop: Header=BB987_621 Depth=1
	s_mov_b32 s13, 0
	s_mov_b32 s7, exec_lo
	v_cmpx_lt_u32_e64 v4, v22
	s_cbranch_execz .LBB987_635
; %bb.634:                              ;   in Loop: Header=BB987_621 Depth=1
	v_ashrrev_i32_e32 v7, 31, v6
	v_ashrrev_i32_e32 v9, 31, v8
	v_lshlrev_b64 v[10:11], 2, v[6:7]
	v_lshlrev_b64 v[12:13], 2, v[8:9]
	v_add_co_u32 v9, s6, s14, v10
	v_add_co_ci_u32_e64 v10, null, s15, v11, s6
	v_add_co_u32 v11, s6, s14, v12
	v_add_co_ci_u32_e64 v12, null, s15, v13, s6
	s_clause 0x1
	global_load_dword v5, v[9:10], off
	global_load_dword v7, v[11:12], off
	s_waitcnt vmcnt(0)
	v_cmp_ge_i32_e64 s6, v5, v7
	s_and_b32 s13, s6, exec_lo
.LBB987_635:                            ;   in Loop: Header=BB987_621 Depth=1
	s_or_b32 exec_lo, exec_lo, s7
	s_orn2_b32 s7, s13, exec_lo
.LBB987_636:                            ;   in Loop: Header=BB987_621 Depth=1
	s_or_b32 exec_lo, exec_lo, s12
	v_cndmask_b32_e64 v5, v2, v4, s7
	v_cndmask_b32_e64 v7, v35, v22, s7
	s_mov_b32 s12, exec_lo
	v_add_nc_u32_e32 v5, 1, v5
	v_add_nc_u32_e32 v7, -1, v7
	v_cndmask_b32_e64 v2, v5, v2, s7
	v_min_u32_e32 v7, v5, v7
	v_cndmask_b32_e64 v4, v4, v5, s7
	v_lshlrev_b32_e32 v7, 2, v7
	ds_read_b32 v7, v7
	s_waitcnt lgkmcnt(0)
	v_cndmask_b32_e64 v9, v7, v6, s7
	v_cndmask_b32_e64 v12, v8, v7, s7
	v_cmpx_lt_u32_e64 v2, v35
	s_cbranch_execz .LBB987_640
; %bb.637:                              ;   in Loop: Header=BB987_621 Depth=1
	s_mov_b32 s13, 0
	s_mov_b32 s11, exec_lo
	v_cmpx_lt_u32_e64 v4, v22
	s_cbranch_execz .LBB987_639
; %bb.638:                              ;   in Loop: Header=BB987_621 Depth=1
	v_ashrrev_i32_e32 v10, 31, v9
	v_ashrrev_i32_e32 v13, 31, v12
	v_lshlrev_b64 v[10:11], 2, v[9:10]
	v_lshlrev_b64 v[13:14], 2, v[12:13]
	v_add_co_u32 v10, s6, s14, v10
	v_add_co_ci_u32_e64 v11, null, s15, v11, s6
	v_add_co_u32 v13, s6, s14, v13
	v_add_co_ci_u32_e64 v14, null, s15, v14, s6
	s_clause 0x1
	global_load_dword v5, v[10:11], off
	global_load_dword v7, v[13:14], off
	s_waitcnt vmcnt(0)
	v_cmp_ge_i32_e64 s6, v5, v7
	s_and_b32 s13, s6, exec_lo
.LBB987_639:                            ;   in Loop: Header=BB987_621 Depth=1
	s_or_b32 exec_lo, exec_lo, s11
	s_orn2_b32 s11, s13, exec_lo
.LBB987_640:                            ;   in Loop: Header=BB987_621 Depth=1
	s_or_b32 exec_lo, exec_lo, s12
	v_cndmask_b32_e64 v5, v2, v4, s11
	v_cndmask_b32_e64 v7, v35, v22, s11
	s_mov_b32 s13, -1
	s_mov_b32 s12, -1
	s_mov_b32 s20, exec_lo
	v_add_nc_u32_e32 v5, 1, v5
	v_add_nc_u32_e32 v7, -1, v7
	v_cndmask_b32_e64 v2, v5, v2, s11
	v_min_u32_e32 v7, v5, v7
	v_cndmask_b32_e64 v4, v4, v5, s11
	v_lshlrev_b32_e32 v7, 2, v7
	ds_read_b32 v7, v7
	s_waitcnt lgkmcnt(0)
	v_cndmask_b32_e64 v10, v7, v9, s11
	v_cndmask_b32_e64 v13, v12, v7, s11
	v_cmpx_lt_u32_e64 v2, v35
	s_cbranch_execz .LBB987_644
; %bb.641:                              ;   in Loop: Header=BB987_621 Depth=1
	s_mov_b32 s21, 0
	s_mov_b32 s12, exec_lo
	v_cmpx_lt_u32_e64 v4, v22
	s_cbranch_execz .LBB987_643
; %bb.642:                              ;   in Loop: Header=BB987_621 Depth=1
	v_ashrrev_i32_e32 v11, 31, v10
	v_ashrrev_i32_e32 v14, 31, v13
	v_lshlrev_b64 v[15:16], 2, v[10:11]
	v_lshlrev_b64 v[17:18], 2, v[13:14]
	v_add_co_u32 v14, s6, s14, v15
	v_add_co_ci_u32_e64 v15, null, s15, v16, s6
	v_add_co_u32 v16, s6, s14, v17
	v_add_co_ci_u32_e64 v17, null, s15, v18, s6
	s_clause 0x1
	global_load_dword v5, v[14:15], off
	global_load_dword v7, v[16:17], off
	s_waitcnt vmcnt(0)
	v_cmp_ge_i32_e64 s6, v5, v7
	s_and_b32 s21, s6, exec_lo
.LBB987_643:                            ;   in Loop: Header=BB987_621 Depth=1
	s_or_b32 exec_lo, exec_lo, s12
	s_orn2_b32 s12, s21, exec_lo
.LBB987_644:                            ;   in Loop: Header=BB987_621 Depth=1
	s_or_b32 exec_lo, exec_lo, s20
	v_cndmask_b32_e64 v5, v2, v4, s12
	v_cndmask_b32_e64 v7, v35, v22, s12
	s_mov_b32 s20, exec_lo
	v_add_nc_u32_e32 v5, 1, v5
	v_add_nc_u32_e32 v7, -1, v7
	v_cndmask_b32_e64 v2, v5, v2, s12
	v_min_u32_e32 v7, v5, v7
	v_lshlrev_b32_e32 v7, 2, v7
	ds_read_b32 v11, v7
	v_cndmask_b32_e64 v7, v4, v5, s12
	s_waitcnt lgkmcnt(0)
	v_cndmask_b32_e64 v4, v11, v10, s12
	v_cndmask_b32_e64 v14, v13, v11, s12
	v_cmpx_lt_u32_e64 v2, v35
	s_cbranch_execz .LBB987_648
; %bb.645:                              ;   in Loop: Header=BB987_621 Depth=1
	s_mov_b32 s21, 0
	s_mov_b32 s13, exec_lo
	v_cmpx_lt_u32_e64 v7, v22
	s_cbranch_execz .LBB987_647
; %bb.646:                              ;   in Loop: Header=BB987_621 Depth=1
	v_ashrrev_i32_e32 v5, 31, v4
	v_ashrrev_i32_e32 v15, 31, v14
	v_lshlrev_b64 v[16:17], 2, v[4:5]
	v_lshlrev_b64 v[18:19], 2, v[14:15]
	v_add_co_u32 v15, s6, s14, v16
	v_add_co_ci_u32_e64 v16, null, s15, v17, s6
	v_add_co_u32 v17, s6, s14, v18
	v_add_co_ci_u32_e64 v18, null, s15, v19, s6
	s_clause 0x1
	global_load_dword v5, v[15:16], off
	global_load_dword v11, v[17:18], off
	s_waitcnt vmcnt(0)
	v_cmp_ge_i32_e64 s6, v5, v11
	s_and_b32 s21, s6, exec_lo
.LBB987_647:                            ;   in Loop: Header=BB987_621 Depth=1
	s_or_b32 exec_lo, exec_lo, s13
	s_orn2_b32 s13, s21, exec_lo
.LBB987_648:                            ;   in Loop: Header=BB987_621 Depth=1
	s_or_b32 exec_lo, exec_lo, s20
	v_cndmask_b32_e64 v5, v2, v7, s13
	v_cndmask_b32_e64 v11, v35, v22, s13
	s_mov_b32 s20, -1
	s_mov_b32 s21, -1
	s_mov_b32 s22, exec_lo
	v_add_nc_u32_e32 v5, 1, v5
	v_add_nc_u32_e32 v11, -1, v11
	v_cndmask_b32_e64 v2, v5, v2, s13
	v_min_u32_e32 v11, v5, v11
	v_cndmask_b32_e64 v5, v7, v5, s13
	v_lshlrev_b32_e32 v11, 2, v11
	ds_read_b32 v11, v11
	s_waitcnt lgkmcnt(0)
	v_cndmask_b32_e64 v15, v11, v4, s13
	v_cndmask_b32_e64 v17, v14, v11, s13
	v_cmpx_lt_u32_e64 v2, v35
	s_cbranch_execz .LBB987_652
; %bb.649:                              ;   in Loop: Header=BB987_621 Depth=1
	s_mov_b32 s23, 0
	s_mov_b32 s21, exec_lo
	v_cmpx_lt_u32_e64 v5, v22
	s_cbranch_execz .LBB987_651
; %bb.650:                              ;   in Loop: Header=BB987_621 Depth=1
	v_ashrrev_i32_e32 v16, 31, v15
	v_ashrrev_i32_e32 v18, 31, v17
	v_lshlrev_b64 v[19:20], 2, v[15:16]
	v_lshlrev_b64 v[36:37], 2, v[17:18]
	v_add_co_u32 v18, s6, s14, v19
	v_add_co_ci_u32_e64 v19, null, s15, v20, s6
	v_add_co_u32 v20, s6, s14, v36
	v_add_co_ci_u32_e64 v21, null, s15, v37, s6
	s_clause 0x1
	global_load_dword v7, v[18:19], off
	global_load_dword v11, v[20:21], off
	s_waitcnt vmcnt(0)
	v_cmp_ge_i32_e64 s6, v7, v11
	s_and_b32 s23, s6, exec_lo
.LBB987_651:                            ;   in Loop: Header=BB987_621 Depth=1
	s_or_b32 exec_lo, exec_lo, s21
	s_orn2_b32 s21, s23, exec_lo
.LBB987_652:                            ;   in Loop: Header=BB987_621 Depth=1
	s_or_b32 exec_lo, exec_lo, s22
	v_cndmask_b32_e64 v7, v2, v5, s21
	v_cndmask_b32_e64 v11, v35, v22, s21
	s_mov_b32 s22, exec_lo
	v_add_nc_u32_e32 v16, 1, v7
	v_add_nc_u32_e32 v7, -1, v11
	v_min_u32_e32 v7, v16, v7
	v_lshlrev_b32_e32 v7, 2, v7
	ds_read_b32 v11, v7
	v_cndmask_b32_e64 v7, v16, v2, s21
	v_cndmask_b32_e64 v2, v5, v16, s21
	s_waitcnt lgkmcnt(0)
	v_cndmask_b32_e64 v18, v11, v15, s21
	v_cndmask_b32_e64 v20, v17, v11, s21
	v_cmpx_lt_u32_e64 v7, v35
	s_cbranch_execz .LBB987_656
; %bb.653:                              ;   in Loop: Header=BB987_621 Depth=1
	s_mov_b32 s23, 0
	s_mov_b32 s20, exec_lo
	v_cmpx_lt_u32_e64 v2, v22
	s_cbranch_execz .LBB987_655
; %bb.654:                              ;   in Loop: Header=BB987_621 Depth=1
	v_ashrrev_i32_e32 v19, 31, v18
	v_ashrrev_i32_e32 v21, 31, v20
	v_lshlrev_b64 v[36:37], 2, v[18:19]
	v_lshlrev_b64 v[38:39], 2, v[20:21]
	v_add_co_u32 v36, s6, s14, v36
	v_add_co_ci_u32_e64 v37, null, s15, v37, s6
	v_add_co_u32 v38, s6, s14, v38
	v_add_co_ci_u32_e64 v39, null, s15, v39, s6
	s_clause 0x1
	global_load_dword v5, v[36:37], off
	global_load_dword v11, v[38:39], off
	s_waitcnt vmcnt(0)
	v_cmp_ge_i32_e64 s6, v5, v11
	s_and_b32 s23, s6, exec_lo
.LBB987_655:                            ;   in Loop: Header=BB987_621 Depth=1
	s_or_b32 exec_lo, exec_lo, s20
	s_orn2_b32 s20, s23, exec_lo
.LBB987_656:                            ;   in Loop: Header=BB987_621 Depth=1
	s_or_b32 exec_lo, exec_lo, s22
	v_cndmask_b32_e64 v5, v7, v2, s20
	v_cndmask_b32_e64 v11, v35, v22, s20
	s_mov_b32 s22, exec_lo
	v_add_nc_u32_e32 v5, 1, v5
	v_add_nc_u32_e32 v11, -1, v11
	v_cndmask_b32_e64 v16, v5, v7, s20
	v_min_u32_e32 v11, v5, v11
	v_lshlrev_b32_e32 v11, 2, v11
	ds_read_b32 v11, v11
	s_waitcnt lgkmcnt(0)
	v_cndmask_b32_e64 v7, v20, v11, s20
	v_cmpx_lt_u32_e64 v16, v35
	s_cbranch_execz .LBB987_619
; %bb.657:                              ;   in Loop: Header=BB987_621 Depth=1
	v_cndmask_b32_e64 v2, v2, v5, s20
	v_cndmask_b32_e64 v21, v11, v18, s20
	s_mov_b32 s23, exec_lo
	v_cmpx_lt_u32_e64 v2, v22
	s_cbranch_execz .LBB987_618
; %bb.658:                              ;   in Loop: Header=BB987_621 Depth=1
	v_ashrrev_i32_e32 v22, 31, v21
	v_ashrrev_i32_e32 v36, 31, v7
	v_mov_b32_e32 v35, v7
	v_lshlrev_b64 v[37:38], 2, v[21:22]
	v_lshlrev_b64 v[35:36], 2, v[35:36]
	v_add_co_u32 v37, s6, s14, v37
	v_add_co_ci_u32_e64 v38, null, s15, v38, s6
	v_add_co_u32 v35, s6, s14, v35
	v_add_co_ci_u32_e64 v36, null, s15, v36, s6
	s_clause 0x1
	global_load_dword v2, v[37:38], off
	global_load_dword v5, v[35:36], off
	s_waitcnt vmcnt(0)
	v_cmp_lt_i32_e64 s6, v2, v5
	v_cndmask_b32_e64 v21, v7, v21, s6
	s_branch .LBB987_618
.LBB987_659:
	s_barrier
	buffer_gl0_inv
	ds_write2_b32 v28, v8, v9 offset1:1
	ds_write2_b32 v28, v10, v11 offset0:2 offset1:3
	ds_write2_b32 v28, v4, v5 offset0:4 offset1:5
	;; [unrolled: 1-line block ×3, first 2 shown]
	s_waitcnt lgkmcnt(0)
	s_barrier
	buffer_gl0_inv
	ds_read_b32 v10, v24 offset:1024
	ds_read_b32 v9, v25 offset:2048
	;; [unrolled: 1-line block ×7, first 2 shown]
	v_add_co_u32 v2, s6, s17, v27
	v_mov_b32_e32 v1, 0
	v_add_co_ci_u32_e64 v3, null, s18, 0, s6
	s_and_saveexec_b32 s6, vcc_lo
	s_cbranch_execz .LBB987_671
; %bb.660:
	ds_read_b32 v11, v23
	s_waitcnt lgkmcnt(0)
	flat_store_dword v[2:3], v11
	s_or_b32 exec_lo, exec_lo, s6
	s_and_saveexec_b32 s6, s0
	s_cbranch_execnz .LBB987_672
.LBB987_661:
	s_or_b32 exec_lo, exec_lo, s6
	s_and_saveexec_b32 s0, s1
	s_cbranch_execz .LBB987_673
.LBB987_662:
	s_waitcnt lgkmcnt(6)
	v_add_co_u32 v10, vcc_lo, 0x800, v2
	v_add_co_ci_u32_e64 v11, null, 0, v3, vcc_lo
	s_waitcnt lgkmcnt(5)
	flat_store_dword v[10:11], v9
	s_or_b32 exec_lo, exec_lo, s0
	s_and_saveexec_b32 s0, s2
	s_cbranch_execnz .LBB987_674
.LBB987_663:
	s_or_b32 exec_lo, exec_lo, s0
	s_and_saveexec_b32 s0, s3
	s_cbranch_execz .LBB987_675
.LBB987_664:
	s_waitcnt lgkmcnt(4)
	v_add_co_u32 v8, vcc_lo, 0x1000, v2
	v_add_co_ci_u32_e64 v9, null, 0, v3, vcc_lo
	s_waitcnt lgkmcnt(3)
	flat_store_dword v[8:9], v7
	s_or_b32 exec_lo, exec_lo, s0
	s_and_saveexec_b32 s0, s4
	s_cbranch_execnz .LBB987_676
.LBB987_665:
	s_or_b32 exec_lo, exec_lo, s0
	s_and_saveexec_b32 s0, s5
	s_cbranch_execz .LBB987_667
.LBB987_666:
	v_add_co_u32 v2, vcc_lo, 0x1800, v2
	v_add_co_ci_u32_e64 v3, null, 0, v3, vcc_lo
	s_waitcnt lgkmcnt(1)
	flat_store_dword v[2:3], v5
.LBB987_667:
	s_or_b32 exec_lo, exec_lo, s0
.LBB987_668:
	s_and_saveexec_b32 s0, s19
	s_cbranch_execz .LBB987_670
; %bb.669:
	v_lshlrev_b64 v[0:1], 2, v[0:1]
	v_add_co_u32 v0, vcc_lo, s17, v0
	v_add_co_ci_u32_e64 v1, null, s18, v1, vcc_lo
	v_add_co_u32 v0, vcc_lo, 0x1800, v0
	v_add_co_ci_u32_e64 v1, null, 0, v1, vcc_lo
	s_waitcnt lgkmcnt(0)
	flat_store_dword v[0:1], v4 offset:1024
.LBB987_670:
	s_endpgm
.LBB987_671:
	s_or_b32 exec_lo, exec_lo, s6
	s_and_saveexec_b32 s6, s0
	s_cbranch_execz .LBB987_661
.LBB987_672:
	s_waitcnt lgkmcnt(6)
	flat_store_dword v[2:3], v10 offset:1024
	s_or_b32 exec_lo, exec_lo, s6
	s_and_saveexec_b32 s0, s1
	s_cbranch_execnz .LBB987_662
.LBB987_673:
	s_or_b32 exec_lo, exec_lo, s0
	s_and_saveexec_b32 s0, s2
	s_cbranch_execz .LBB987_663
.LBB987_674:
	s_waitcnt lgkmcnt(5)
	v_add_co_u32 v9, vcc_lo, 0x800, v2
	v_add_co_ci_u32_e64 v10, null, 0, v3, vcc_lo
	s_waitcnt lgkmcnt(4)
	flat_store_dword v[9:10], v8 offset:1024
	s_or_b32 exec_lo, exec_lo, s0
	s_and_saveexec_b32 s0, s3
	s_cbranch_execnz .LBB987_664
.LBB987_675:
	s_or_b32 exec_lo, exec_lo, s0
	s_and_saveexec_b32 s0, s4
	s_cbranch_execz .LBB987_665
.LBB987_676:
	s_waitcnt lgkmcnt(3)
	v_add_co_u32 v7, vcc_lo, 0x1000, v2
	v_add_co_ci_u32_e64 v8, null, 0, v3, vcc_lo
	s_waitcnt lgkmcnt(2)
	flat_store_dword v[7:8], v6 offset:1024
	s_or_b32 exec_lo, exec_lo, s0
	s_and_saveexec_b32 s0, s5
	s_cbranch_execnz .LBB987_666
	s_branch .LBB987_667
	.section	.rodata,"a",@progbits
	.p2align	6, 0x0
	.amdhsa_kernel _ZN7rocprim17ROCPRIM_400000_NS6detail17trampoline_kernelINS0_14default_configENS1_37merge_sort_block_sort_config_selectorIiNS0_10empty_typeEEEZNS1_21merge_sort_block_sortIS3_N6thrust23THRUST_200600_302600_NS6detail15normal_iteratorINS9_10device_ptrIiEEEESE_PS5_SF_9comp_mod3IiEEE10hipError_tT0_T1_T2_T3_mRjT4_P12ihipStream_tbNS1_7vsmem_tEEUlT_E_NS1_11comp_targetILNS1_3genE8ELNS1_11target_archE1030ELNS1_3gpuE2ELNS1_3repE0EEENS1_30default_config_static_selectorELNS0_4arch9wavefront6targetE0EEEvSK_
		.amdhsa_group_segment_fixed_size 8448
		.amdhsa_private_segment_fixed_size 0
		.amdhsa_kernarg_size 320
		.amdhsa_user_sgpr_count 6
		.amdhsa_user_sgpr_private_segment_buffer 1
		.amdhsa_user_sgpr_dispatch_ptr 0
		.amdhsa_user_sgpr_queue_ptr 0
		.amdhsa_user_sgpr_kernarg_segment_ptr 1
		.amdhsa_user_sgpr_dispatch_id 0
		.amdhsa_user_sgpr_flat_scratch_init 0
		.amdhsa_user_sgpr_private_segment_size 0
		.amdhsa_wavefront_size32 1
		.amdhsa_uses_dynamic_stack 0
		.amdhsa_system_sgpr_private_segment_wavefront_offset 0
		.amdhsa_system_sgpr_workgroup_id_x 1
		.amdhsa_system_sgpr_workgroup_id_y 1
		.amdhsa_system_sgpr_workgroup_id_z 1
		.amdhsa_system_sgpr_workgroup_info 0
		.amdhsa_system_vgpr_workitem_id 2
		.amdhsa_next_free_vgpr 56
		.amdhsa_next_free_sgpr 24
		.amdhsa_reserve_vcc 1
		.amdhsa_reserve_flat_scratch 1
		.amdhsa_float_round_mode_32 0
		.amdhsa_float_round_mode_16_64 0
		.amdhsa_float_denorm_mode_32 3
		.amdhsa_float_denorm_mode_16_64 3
		.amdhsa_dx10_clamp 1
		.amdhsa_ieee_mode 1
		.amdhsa_fp16_overflow 0
		.amdhsa_workgroup_processor_mode 1
		.amdhsa_memory_ordered 1
		.amdhsa_forward_progress 1
		.amdhsa_shared_vgpr_count 0
		.amdhsa_exception_fp_ieee_invalid_op 0
		.amdhsa_exception_fp_denorm_src 0
		.amdhsa_exception_fp_ieee_div_zero 0
		.amdhsa_exception_fp_ieee_overflow 0
		.amdhsa_exception_fp_ieee_underflow 0
		.amdhsa_exception_fp_ieee_inexact 0
		.amdhsa_exception_int_div_zero 0
	.end_amdhsa_kernel
	.section	.text._ZN7rocprim17ROCPRIM_400000_NS6detail17trampoline_kernelINS0_14default_configENS1_37merge_sort_block_sort_config_selectorIiNS0_10empty_typeEEEZNS1_21merge_sort_block_sortIS3_N6thrust23THRUST_200600_302600_NS6detail15normal_iteratorINS9_10device_ptrIiEEEESE_PS5_SF_9comp_mod3IiEEE10hipError_tT0_T1_T2_T3_mRjT4_P12ihipStream_tbNS1_7vsmem_tEEUlT_E_NS1_11comp_targetILNS1_3genE8ELNS1_11target_archE1030ELNS1_3gpuE2ELNS1_3repE0EEENS1_30default_config_static_selectorELNS0_4arch9wavefront6targetE0EEEvSK_,"axG",@progbits,_ZN7rocprim17ROCPRIM_400000_NS6detail17trampoline_kernelINS0_14default_configENS1_37merge_sort_block_sort_config_selectorIiNS0_10empty_typeEEEZNS1_21merge_sort_block_sortIS3_N6thrust23THRUST_200600_302600_NS6detail15normal_iteratorINS9_10device_ptrIiEEEESE_PS5_SF_9comp_mod3IiEEE10hipError_tT0_T1_T2_T3_mRjT4_P12ihipStream_tbNS1_7vsmem_tEEUlT_E_NS1_11comp_targetILNS1_3genE8ELNS1_11target_archE1030ELNS1_3gpuE2ELNS1_3repE0EEENS1_30default_config_static_selectorELNS0_4arch9wavefront6targetE0EEEvSK_,comdat
.Lfunc_end987:
	.size	_ZN7rocprim17ROCPRIM_400000_NS6detail17trampoline_kernelINS0_14default_configENS1_37merge_sort_block_sort_config_selectorIiNS0_10empty_typeEEEZNS1_21merge_sort_block_sortIS3_N6thrust23THRUST_200600_302600_NS6detail15normal_iteratorINS9_10device_ptrIiEEEESE_PS5_SF_9comp_mod3IiEEE10hipError_tT0_T1_T2_T3_mRjT4_P12ihipStream_tbNS1_7vsmem_tEEUlT_E_NS1_11comp_targetILNS1_3genE8ELNS1_11target_archE1030ELNS1_3gpuE2ELNS1_3repE0EEENS1_30default_config_static_selectorELNS0_4arch9wavefront6targetE0EEEvSK_, .Lfunc_end987-_ZN7rocprim17ROCPRIM_400000_NS6detail17trampoline_kernelINS0_14default_configENS1_37merge_sort_block_sort_config_selectorIiNS0_10empty_typeEEEZNS1_21merge_sort_block_sortIS3_N6thrust23THRUST_200600_302600_NS6detail15normal_iteratorINS9_10device_ptrIiEEEESE_PS5_SF_9comp_mod3IiEEE10hipError_tT0_T1_T2_T3_mRjT4_P12ihipStream_tbNS1_7vsmem_tEEUlT_E_NS1_11comp_targetILNS1_3genE8ELNS1_11target_archE1030ELNS1_3gpuE2ELNS1_3repE0EEENS1_30default_config_static_selectorELNS0_4arch9wavefront6targetE0EEEvSK_
                                        ; -- End function
	.set _ZN7rocprim17ROCPRIM_400000_NS6detail17trampoline_kernelINS0_14default_configENS1_37merge_sort_block_sort_config_selectorIiNS0_10empty_typeEEEZNS1_21merge_sort_block_sortIS3_N6thrust23THRUST_200600_302600_NS6detail15normal_iteratorINS9_10device_ptrIiEEEESE_PS5_SF_9comp_mod3IiEEE10hipError_tT0_T1_T2_T3_mRjT4_P12ihipStream_tbNS1_7vsmem_tEEUlT_E_NS1_11comp_targetILNS1_3genE8ELNS1_11target_archE1030ELNS1_3gpuE2ELNS1_3repE0EEENS1_30default_config_static_selectorELNS0_4arch9wavefront6targetE0EEEvSK_.num_vgpr, 56
	.set _ZN7rocprim17ROCPRIM_400000_NS6detail17trampoline_kernelINS0_14default_configENS1_37merge_sort_block_sort_config_selectorIiNS0_10empty_typeEEEZNS1_21merge_sort_block_sortIS3_N6thrust23THRUST_200600_302600_NS6detail15normal_iteratorINS9_10device_ptrIiEEEESE_PS5_SF_9comp_mod3IiEEE10hipError_tT0_T1_T2_T3_mRjT4_P12ihipStream_tbNS1_7vsmem_tEEUlT_E_NS1_11comp_targetILNS1_3genE8ELNS1_11target_archE1030ELNS1_3gpuE2ELNS1_3repE0EEENS1_30default_config_static_selectorELNS0_4arch9wavefront6targetE0EEEvSK_.num_agpr, 0
	.set _ZN7rocprim17ROCPRIM_400000_NS6detail17trampoline_kernelINS0_14default_configENS1_37merge_sort_block_sort_config_selectorIiNS0_10empty_typeEEEZNS1_21merge_sort_block_sortIS3_N6thrust23THRUST_200600_302600_NS6detail15normal_iteratorINS9_10device_ptrIiEEEESE_PS5_SF_9comp_mod3IiEEE10hipError_tT0_T1_T2_T3_mRjT4_P12ihipStream_tbNS1_7vsmem_tEEUlT_E_NS1_11comp_targetILNS1_3genE8ELNS1_11target_archE1030ELNS1_3gpuE2ELNS1_3repE0EEENS1_30default_config_static_selectorELNS0_4arch9wavefront6targetE0EEEvSK_.numbered_sgpr, 24
	.set _ZN7rocprim17ROCPRIM_400000_NS6detail17trampoline_kernelINS0_14default_configENS1_37merge_sort_block_sort_config_selectorIiNS0_10empty_typeEEEZNS1_21merge_sort_block_sortIS3_N6thrust23THRUST_200600_302600_NS6detail15normal_iteratorINS9_10device_ptrIiEEEESE_PS5_SF_9comp_mod3IiEEE10hipError_tT0_T1_T2_T3_mRjT4_P12ihipStream_tbNS1_7vsmem_tEEUlT_E_NS1_11comp_targetILNS1_3genE8ELNS1_11target_archE1030ELNS1_3gpuE2ELNS1_3repE0EEENS1_30default_config_static_selectorELNS0_4arch9wavefront6targetE0EEEvSK_.num_named_barrier, 0
	.set _ZN7rocprim17ROCPRIM_400000_NS6detail17trampoline_kernelINS0_14default_configENS1_37merge_sort_block_sort_config_selectorIiNS0_10empty_typeEEEZNS1_21merge_sort_block_sortIS3_N6thrust23THRUST_200600_302600_NS6detail15normal_iteratorINS9_10device_ptrIiEEEESE_PS5_SF_9comp_mod3IiEEE10hipError_tT0_T1_T2_T3_mRjT4_P12ihipStream_tbNS1_7vsmem_tEEUlT_E_NS1_11comp_targetILNS1_3genE8ELNS1_11target_archE1030ELNS1_3gpuE2ELNS1_3repE0EEENS1_30default_config_static_selectorELNS0_4arch9wavefront6targetE0EEEvSK_.private_seg_size, 0
	.set _ZN7rocprim17ROCPRIM_400000_NS6detail17trampoline_kernelINS0_14default_configENS1_37merge_sort_block_sort_config_selectorIiNS0_10empty_typeEEEZNS1_21merge_sort_block_sortIS3_N6thrust23THRUST_200600_302600_NS6detail15normal_iteratorINS9_10device_ptrIiEEEESE_PS5_SF_9comp_mod3IiEEE10hipError_tT0_T1_T2_T3_mRjT4_P12ihipStream_tbNS1_7vsmem_tEEUlT_E_NS1_11comp_targetILNS1_3genE8ELNS1_11target_archE1030ELNS1_3gpuE2ELNS1_3repE0EEENS1_30default_config_static_selectorELNS0_4arch9wavefront6targetE0EEEvSK_.uses_vcc, 1
	.set _ZN7rocprim17ROCPRIM_400000_NS6detail17trampoline_kernelINS0_14default_configENS1_37merge_sort_block_sort_config_selectorIiNS0_10empty_typeEEEZNS1_21merge_sort_block_sortIS3_N6thrust23THRUST_200600_302600_NS6detail15normal_iteratorINS9_10device_ptrIiEEEESE_PS5_SF_9comp_mod3IiEEE10hipError_tT0_T1_T2_T3_mRjT4_P12ihipStream_tbNS1_7vsmem_tEEUlT_E_NS1_11comp_targetILNS1_3genE8ELNS1_11target_archE1030ELNS1_3gpuE2ELNS1_3repE0EEENS1_30default_config_static_selectorELNS0_4arch9wavefront6targetE0EEEvSK_.uses_flat_scratch, 1
	.set _ZN7rocprim17ROCPRIM_400000_NS6detail17trampoline_kernelINS0_14default_configENS1_37merge_sort_block_sort_config_selectorIiNS0_10empty_typeEEEZNS1_21merge_sort_block_sortIS3_N6thrust23THRUST_200600_302600_NS6detail15normal_iteratorINS9_10device_ptrIiEEEESE_PS5_SF_9comp_mod3IiEEE10hipError_tT0_T1_T2_T3_mRjT4_P12ihipStream_tbNS1_7vsmem_tEEUlT_E_NS1_11comp_targetILNS1_3genE8ELNS1_11target_archE1030ELNS1_3gpuE2ELNS1_3repE0EEENS1_30default_config_static_selectorELNS0_4arch9wavefront6targetE0EEEvSK_.has_dyn_sized_stack, 0
	.set _ZN7rocprim17ROCPRIM_400000_NS6detail17trampoline_kernelINS0_14default_configENS1_37merge_sort_block_sort_config_selectorIiNS0_10empty_typeEEEZNS1_21merge_sort_block_sortIS3_N6thrust23THRUST_200600_302600_NS6detail15normal_iteratorINS9_10device_ptrIiEEEESE_PS5_SF_9comp_mod3IiEEE10hipError_tT0_T1_T2_T3_mRjT4_P12ihipStream_tbNS1_7vsmem_tEEUlT_E_NS1_11comp_targetILNS1_3genE8ELNS1_11target_archE1030ELNS1_3gpuE2ELNS1_3repE0EEENS1_30default_config_static_selectorELNS0_4arch9wavefront6targetE0EEEvSK_.has_recursion, 0
	.set _ZN7rocprim17ROCPRIM_400000_NS6detail17trampoline_kernelINS0_14default_configENS1_37merge_sort_block_sort_config_selectorIiNS0_10empty_typeEEEZNS1_21merge_sort_block_sortIS3_N6thrust23THRUST_200600_302600_NS6detail15normal_iteratorINS9_10device_ptrIiEEEESE_PS5_SF_9comp_mod3IiEEE10hipError_tT0_T1_T2_T3_mRjT4_P12ihipStream_tbNS1_7vsmem_tEEUlT_E_NS1_11comp_targetILNS1_3genE8ELNS1_11target_archE1030ELNS1_3gpuE2ELNS1_3repE0EEENS1_30default_config_static_selectorELNS0_4arch9wavefront6targetE0EEEvSK_.has_indirect_call, 0
	.section	.AMDGPU.csdata,"",@progbits
; Kernel info:
; codeLenInByte = 37924
; TotalNumSgprs: 26
; NumVgprs: 56
; ScratchSize: 0
; MemoryBound: 0
; FloatMode: 240
; IeeeMode: 1
; LDSByteSize: 8448 bytes/workgroup (compile time only)
; SGPRBlocks: 0
; VGPRBlocks: 6
; NumSGPRsForWavesPerEU: 26
; NumVGPRsForWavesPerEU: 56
; Occupancy: 16
; WaveLimiterHint : 1
; COMPUTE_PGM_RSRC2:SCRATCH_EN: 0
; COMPUTE_PGM_RSRC2:USER_SGPR: 6
; COMPUTE_PGM_RSRC2:TRAP_HANDLER: 0
; COMPUTE_PGM_RSRC2:TGID_X_EN: 1
; COMPUTE_PGM_RSRC2:TGID_Y_EN: 1
; COMPUTE_PGM_RSRC2:TGID_Z_EN: 1
; COMPUTE_PGM_RSRC2:TIDIG_COMP_CNT: 2
	.section	.text._ZN7rocprim17ROCPRIM_400000_NS6detail17trampoline_kernelINS0_14default_configENS1_38merge_sort_block_merge_config_selectorIiNS0_10empty_typeEEEZZNS1_27merge_sort_block_merge_implIS3_N6thrust23THRUST_200600_302600_NS6detail15normal_iteratorINS9_10device_ptrIiEEEEPS5_m9comp_mod3IiEEE10hipError_tT0_T1_T2_jT3_P12ihipStream_tbPNSt15iterator_traitsISJ_E10value_typeEPNSP_ISK_E10value_typeEPSL_NS1_7vsmem_tEENKUlT_SJ_SK_SL_E_clIPiSE_SF_SF_EESI_SY_SJ_SK_SL_EUlSY_E_NS1_11comp_targetILNS1_3genE0ELNS1_11target_archE4294967295ELNS1_3gpuE0ELNS1_3repE0EEENS1_48merge_mergepath_partition_config_static_selectorELNS0_4arch9wavefront6targetE0EEEvSK_,"axG",@progbits,_ZN7rocprim17ROCPRIM_400000_NS6detail17trampoline_kernelINS0_14default_configENS1_38merge_sort_block_merge_config_selectorIiNS0_10empty_typeEEEZZNS1_27merge_sort_block_merge_implIS3_N6thrust23THRUST_200600_302600_NS6detail15normal_iteratorINS9_10device_ptrIiEEEEPS5_m9comp_mod3IiEEE10hipError_tT0_T1_T2_jT3_P12ihipStream_tbPNSt15iterator_traitsISJ_E10value_typeEPNSP_ISK_E10value_typeEPSL_NS1_7vsmem_tEENKUlT_SJ_SK_SL_E_clIPiSE_SF_SF_EESI_SY_SJ_SK_SL_EUlSY_E_NS1_11comp_targetILNS1_3genE0ELNS1_11target_archE4294967295ELNS1_3gpuE0ELNS1_3repE0EEENS1_48merge_mergepath_partition_config_static_selectorELNS0_4arch9wavefront6targetE0EEEvSK_,comdat
	.protected	_ZN7rocprim17ROCPRIM_400000_NS6detail17trampoline_kernelINS0_14default_configENS1_38merge_sort_block_merge_config_selectorIiNS0_10empty_typeEEEZZNS1_27merge_sort_block_merge_implIS3_N6thrust23THRUST_200600_302600_NS6detail15normal_iteratorINS9_10device_ptrIiEEEEPS5_m9comp_mod3IiEEE10hipError_tT0_T1_T2_jT3_P12ihipStream_tbPNSt15iterator_traitsISJ_E10value_typeEPNSP_ISK_E10value_typeEPSL_NS1_7vsmem_tEENKUlT_SJ_SK_SL_E_clIPiSE_SF_SF_EESI_SY_SJ_SK_SL_EUlSY_E_NS1_11comp_targetILNS1_3genE0ELNS1_11target_archE4294967295ELNS1_3gpuE0ELNS1_3repE0EEENS1_48merge_mergepath_partition_config_static_selectorELNS0_4arch9wavefront6targetE0EEEvSK_ ; -- Begin function _ZN7rocprim17ROCPRIM_400000_NS6detail17trampoline_kernelINS0_14default_configENS1_38merge_sort_block_merge_config_selectorIiNS0_10empty_typeEEEZZNS1_27merge_sort_block_merge_implIS3_N6thrust23THRUST_200600_302600_NS6detail15normal_iteratorINS9_10device_ptrIiEEEEPS5_m9comp_mod3IiEEE10hipError_tT0_T1_T2_jT3_P12ihipStream_tbPNSt15iterator_traitsISJ_E10value_typeEPNSP_ISK_E10value_typeEPSL_NS1_7vsmem_tEENKUlT_SJ_SK_SL_E_clIPiSE_SF_SF_EESI_SY_SJ_SK_SL_EUlSY_E_NS1_11comp_targetILNS1_3genE0ELNS1_11target_archE4294967295ELNS1_3gpuE0ELNS1_3repE0EEENS1_48merge_mergepath_partition_config_static_selectorELNS0_4arch9wavefront6targetE0EEEvSK_
	.globl	_ZN7rocprim17ROCPRIM_400000_NS6detail17trampoline_kernelINS0_14default_configENS1_38merge_sort_block_merge_config_selectorIiNS0_10empty_typeEEEZZNS1_27merge_sort_block_merge_implIS3_N6thrust23THRUST_200600_302600_NS6detail15normal_iteratorINS9_10device_ptrIiEEEEPS5_m9comp_mod3IiEEE10hipError_tT0_T1_T2_jT3_P12ihipStream_tbPNSt15iterator_traitsISJ_E10value_typeEPNSP_ISK_E10value_typeEPSL_NS1_7vsmem_tEENKUlT_SJ_SK_SL_E_clIPiSE_SF_SF_EESI_SY_SJ_SK_SL_EUlSY_E_NS1_11comp_targetILNS1_3genE0ELNS1_11target_archE4294967295ELNS1_3gpuE0ELNS1_3repE0EEENS1_48merge_mergepath_partition_config_static_selectorELNS0_4arch9wavefront6targetE0EEEvSK_
	.p2align	8
	.type	_ZN7rocprim17ROCPRIM_400000_NS6detail17trampoline_kernelINS0_14default_configENS1_38merge_sort_block_merge_config_selectorIiNS0_10empty_typeEEEZZNS1_27merge_sort_block_merge_implIS3_N6thrust23THRUST_200600_302600_NS6detail15normal_iteratorINS9_10device_ptrIiEEEEPS5_m9comp_mod3IiEEE10hipError_tT0_T1_T2_jT3_P12ihipStream_tbPNSt15iterator_traitsISJ_E10value_typeEPNSP_ISK_E10value_typeEPSL_NS1_7vsmem_tEENKUlT_SJ_SK_SL_E_clIPiSE_SF_SF_EESI_SY_SJ_SK_SL_EUlSY_E_NS1_11comp_targetILNS1_3genE0ELNS1_11target_archE4294967295ELNS1_3gpuE0ELNS1_3repE0EEENS1_48merge_mergepath_partition_config_static_selectorELNS0_4arch9wavefront6targetE0EEEvSK_,@function
_ZN7rocprim17ROCPRIM_400000_NS6detail17trampoline_kernelINS0_14default_configENS1_38merge_sort_block_merge_config_selectorIiNS0_10empty_typeEEEZZNS1_27merge_sort_block_merge_implIS3_N6thrust23THRUST_200600_302600_NS6detail15normal_iteratorINS9_10device_ptrIiEEEEPS5_m9comp_mod3IiEEE10hipError_tT0_T1_T2_jT3_P12ihipStream_tbPNSt15iterator_traitsISJ_E10value_typeEPNSP_ISK_E10value_typeEPSL_NS1_7vsmem_tEENKUlT_SJ_SK_SL_E_clIPiSE_SF_SF_EESI_SY_SJ_SK_SL_EUlSY_E_NS1_11comp_targetILNS1_3genE0ELNS1_11target_archE4294967295ELNS1_3gpuE0ELNS1_3repE0EEENS1_48merge_mergepath_partition_config_static_selectorELNS0_4arch9wavefront6targetE0EEEvSK_: ; @_ZN7rocprim17ROCPRIM_400000_NS6detail17trampoline_kernelINS0_14default_configENS1_38merge_sort_block_merge_config_selectorIiNS0_10empty_typeEEEZZNS1_27merge_sort_block_merge_implIS3_N6thrust23THRUST_200600_302600_NS6detail15normal_iteratorINS9_10device_ptrIiEEEEPS5_m9comp_mod3IiEEE10hipError_tT0_T1_T2_jT3_P12ihipStream_tbPNSt15iterator_traitsISJ_E10value_typeEPNSP_ISK_E10value_typeEPSL_NS1_7vsmem_tEENKUlT_SJ_SK_SL_E_clIPiSE_SF_SF_EESI_SY_SJ_SK_SL_EUlSY_E_NS1_11comp_targetILNS1_3genE0ELNS1_11target_archE4294967295ELNS1_3gpuE0ELNS1_3repE0EEENS1_48merge_mergepath_partition_config_static_selectorELNS0_4arch9wavefront6targetE0EEEvSK_
; %bb.0:
	.section	.rodata,"a",@progbits
	.p2align	6, 0x0
	.amdhsa_kernel _ZN7rocprim17ROCPRIM_400000_NS6detail17trampoline_kernelINS0_14default_configENS1_38merge_sort_block_merge_config_selectorIiNS0_10empty_typeEEEZZNS1_27merge_sort_block_merge_implIS3_N6thrust23THRUST_200600_302600_NS6detail15normal_iteratorINS9_10device_ptrIiEEEEPS5_m9comp_mod3IiEEE10hipError_tT0_T1_T2_jT3_P12ihipStream_tbPNSt15iterator_traitsISJ_E10value_typeEPNSP_ISK_E10value_typeEPSL_NS1_7vsmem_tEENKUlT_SJ_SK_SL_E_clIPiSE_SF_SF_EESI_SY_SJ_SK_SL_EUlSY_E_NS1_11comp_targetILNS1_3genE0ELNS1_11target_archE4294967295ELNS1_3gpuE0ELNS1_3repE0EEENS1_48merge_mergepath_partition_config_static_selectorELNS0_4arch9wavefront6targetE0EEEvSK_
		.amdhsa_group_segment_fixed_size 0
		.amdhsa_private_segment_fixed_size 0
		.amdhsa_kernarg_size 48
		.amdhsa_user_sgpr_count 6
		.amdhsa_user_sgpr_private_segment_buffer 1
		.amdhsa_user_sgpr_dispatch_ptr 0
		.amdhsa_user_sgpr_queue_ptr 0
		.amdhsa_user_sgpr_kernarg_segment_ptr 1
		.amdhsa_user_sgpr_dispatch_id 0
		.amdhsa_user_sgpr_flat_scratch_init 0
		.amdhsa_user_sgpr_private_segment_size 0
		.amdhsa_wavefront_size32 1
		.amdhsa_uses_dynamic_stack 0
		.amdhsa_system_sgpr_private_segment_wavefront_offset 0
		.amdhsa_system_sgpr_workgroup_id_x 1
		.amdhsa_system_sgpr_workgroup_id_y 0
		.amdhsa_system_sgpr_workgroup_id_z 0
		.amdhsa_system_sgpr_workgroup_info 0
		.amdhsa_system_vgpr_workitem_id 0
		.amdhsa_next_free_vgpr 1
		.amdhsa_next_free_sgpr 1
		.amdhsa_reserve_vcc 0
		.amdhsa_reserve_flat_scratch 0
		.amdhsa_float_round_mode_32 0
		.amdhsa_float_round_mode_16_64 0
		.amdhsa_float_denorm_mode_32 3
		.amdhsa_float_denorm_mode_16_64 3
		.amdhsa_dx10_clamp 1
		.amdhsa_ieee_mode 1
		.amdhsa_fp16_overflow 0
		.amdhsa_workgroup_processor_mode 1
		.amdhsa_memory_ordered 1
		.amdhsa_forward_progress 1
		.amdhsa_shared_vgpr_count 0
		.amdhsa_exception_fp_ieee_invalid_op 0
		.amdhsa_exception_fp_denorm_src 0
		.amdhsa_exception_fp_ieee_div_zero 0
		.amdhsa_exception_fp_ieee_overflow 0
		.amdhsa_exception_fp_ieee_underflow 0
		.amdhsa_exception_fp_ieee_inexact 0
		.amdhsa_exception_int_div_zero 0
	.end_amdhsa_kernel
	.section	.text._ZN7rocprim17ROCPRIM_400000_NS6detail17trampoline_kernelINS0_14default_configENS1_38merge_sort_block_merge_config_selectorIiNS0_10empty_typeEEEZZNS1_27merge_sort_block_merge_implIS3_N6thrust23THRUST_200600_302600_NS6detail15normal_iteratorINS9_10device_ptrIiEEEEPS5_m9comp_mod3IiEEE10hipError_tT0_T1_T2_jT3_P12ihipStream_tbPNSt15iterator_traitsISJ_E10value_typeEPNSP_ISK_E10value_typeEPSL_NS1_7vsmem_tEENKUlT_SJ_SK_SL_E_clIPiSE_SF_SF_EESI_SY_SJ_SK_SL_EUlSY_E_NS1_11comp_targetILNS1_3genE0ELNS1_11target_archE4294967295ELNS1_3gpuE0ELNS1_3repE0EEENS1_48merge_mergepath_partition_config_static_selectorELNS0_4arch9wavefront6targetE0EEEvSK_,"axG",@progbits,_ZN7rocprim17ROCPRIM_400000_NS6detail17trampoline_kernelINS0_14default_configENS1_38merge_sort_block_merge_config_selectorIiNS0_10empty_typeEEEZZNS1_27merge_sort_block_merge_implIS3_N6thrust23THRUST_200600_302600_NS6detail15normal_iteratorINS9_10device_ptrIiEEEEPS5_m9comp_mod3IiEEE10hipError_tT0_T1_T2_jT3_P12ihipStream_tbPNSt15iterator_traitsISJ_E10value_typeEPNSP_ISK_E10value_typeEPSL_NS1_7vsmem_tEENKUlT_SJ_SK_SL_E_clIPiSE_SF_SF_EESI_SY_SJ_SK_SL_EUlSY_E_NS1_11comp_targetILNS1_3genE0ELNS1_11target_archE4294967295ELNS1_3gpuE0ELNS1_3repE0EEENS1_48merge_mergepath_partition_config_static_selectorELNS0_4arch9wavefront6targetE0EEEvSK_,comdat
.Lfunc_end988:
	.size	_ZN7rocprim17ROCPRIM_400000_NS6detail17trampoline_kernelINS0_14default_configENS1_38merge_sort_block_merge_config_selectorIiNS0_10empty_typeEEEZZNS1_27merge_sort_block_merge_implIS3_N6thrust23THRUST_200600_302600_NS6detail15normal_iteratorINS9_10device_ptrIiEEEEPS5_m9comp_mod3IiEEE10hipError_tT0_T1_T2_jT3_P12ihipStream_tbPNSt15iterator_traitsISJ_E10value_typeEPNSP_ISK_E10value_typeEPSL_NS1_7vsmem_tEENKUlT_SJ_SK_SL_E_clIPiSE_SF_SF_EESI_SY_SJ_SK_SL_EUlSY_E_NS1_11comp_targetILNS1_3genE0ELNS1_11target_archE4294967295ELNS1_3gpuE0ELNS1_3repE0EEENS1_48merge_mergepath_partition_config_static_selectorELNS0_4arch9wavefront6targetE0EEEvSK_, .Lfunc_end988-_ZN7rocprim17ROCPRIM_400000_NS6detail17trampoline_kernelINS0_14default_configENS1_38merge_sort_block_merge_config_selectorIiNS0_10empty_typeEEEZZNS1_27merge_sort_block_merge_implIS3_N6thrust23THRUST_200600_302600_NS6detail15normal_iteratorINS9_10device_ptrIiEEEEPS5_m9comp_mod3IiEEE10hipError_tT0_T1_T2_jT3_P12ihipStream_tbPNSt15iterator_traitsISJ_E10value_typeEPNSP_ISK_E10value_typeEPSL_NS1_7vsmem_tEENKUlT_SJ_SK_SL_E_clIPiSE_SF_SF_EESI_SY_SJ_SK_SL_EUlSY_E_NS1_11comp_targetILNS1_3genE0ELNS1_11target_archE4294967295ELNS1_3gpuE0ELNS1_3repE0EEENS1_48merge_mergepath_partition_config_static_selectorELNS0_4arch9wavefront6targetE0EEEvSK_
                                        ; -- End function
	.set _ZN7rocprim17ROCPRIM_400000_NS6detail17trampoline_kernelINS0_14default_configENS1_38merge_sort_block_merge_config_selectorIiNS0_10empty_typeEEEZZNS1_27merge_sort_block_merge_implIS3_N6thrust23THRUST_200600_302600_NS6detail15normal_iteratorINS9_10device_ptrIiEEEEPS5_m9comp_mod3IiEEE10hipError_tT0_T1_T2_jT3_P12ihipStream_tbPNSt15iterator_traitsISJ_E10value_typeEPNSP_ISK_E10value_typeEPSL_NS1_7vsmem_tEENKUlT_SJ_SK_SL_E_clIPiSE_SF_SF_EESI_SY_SJ_SK_SL_EUlSY_E_NS1_11comp_targetILNS1_3genE0ELNS1_11target_archE4294967295ELNS1_3gpuE0ELNS1_3repE0EEENS1_48merge_mergepath_partition_config_static_selectorELNS0_4arch9wavefront6targetE0EEEvSK_.num_vgpr, 0
	.set _ZN7rocprim17ROCPRIM_400000_NS6detail17trampoline_kernelINS0_14default_configENS1_38merge_sort_block_merge_config_selectorIiNS0_10empty_typeEEEZZNS1_27merge_sort_block_merge_implIS3_N6thrust23THRUST_200600_302600_NS6detail15normal_iteratorINS9_10device_ptrIiEEEEPS5_m9comp_mod3IiEEE10hipError_tT0_T1_T2_jT3_P12ihipStream_tbPNSt15iterator_traitsISJ_E10value_typeEPNSP_ISK_E10value_typeEPSL_NS1_7vsmem_tEENKUlT_SJ_SK_SL_E_clIPiSE_SF_SF_EESI_SY_SJ_SK_SL_EUlSY_E_NS1_11comp_targetILNS1_3genE0ELNS1_11target_archE4294967295ELNS1_3gpuE0ELNS1_3repE0EEENS1_48merge_mergepath_partition_config_static_selectorELNS0_4arch9wavefront6targetE0EEEvSK_.num_agpr, 0
	.set _ZN7rocprim17ROCPRIM_400000_NS6detail17trampoline_kernelINS0_14default_configENS1_38merge_sort_block_merge_config_selectorIiNS0_10empty_typeEEEZZNS1_27merge_sort_block_merge_implIS3_N6thrust23THRUST_200600_302600_NS6detail15normal_iteratorINS9_10device_ptrIiEEEEPS5_m9comp_mod3IiEEE10hipError_tT0_T1_T2_jT3_P12ihipStream_tbPNSt15iterator_traitsISJ_E10value_typeEPNSP_ISK_E10value_typeEPSL_NS1_7vsmem_tEENKUlT_SJ_SK_SL_E_clIPiSE_SF_SF_EESI_SY_SJ_SK_SL_EUlSY_E_NS1_11comp_targetILNS1_3genE0ELNS1_11target_archE4294967295ELNS1_3gpuE0ELNS1_3repE0EEENS1_48merge_mergepath_partition_config_static_selectorELNS0_4arch9wavefront6targetE0EEEvSK_.numbered_sgpr, 0
	.set _ZN7rocprim17ROCPRIM_400000_NS6detail17trampoline_kernelINS0_14default_configENS1_38merge_sort_block_merge_config_selectorIiNS0_10empty_typeEEEZZNS1_27merge_sort_block_merge_implIS3_N6thrust23THRUST_200600_302600_NS6detail15normal_iteratorINS9_10device_ptrIiEEEEPS5_m9comp_mod3IiEEE10hipError_tT0_T1_T2_jT3_P12ihipStream_tbPNSt15iterator_traitsISJ_E10value_typeEPNSP_ISK_E10value_typeEPSL_NS1_7vsmem_tEENKUlT_SJ_SK_SL_E_clIPiSE_SF_SF_EESI_SY_SJ_SK_SL_EUlSY_E_NS1_11comp_targetILNS1_3genE0ELNS1_11target_archE4294967295ELNS1_3gpuE0ELNS1_3repE0EEENS1_48merge_mergepath_partition_config_static_selectorELNS0_4arch9wavefront6targetE0EEEvSK_.num_named_barrier, 0
	.set _ZN7rocprim17ROCPRIM_400000_NS6detail17trampoline_kernelINS0_14default_configENS1_38merge_sort_block_merge_config_selectorIiNS0_10empty_typeEEEZZNS1_27merge_sort_block_merge_implIS3_N6thrust23THRUST_200600_302600_NS6detail15normal_iteratorINS9_10device_ptrIiEEEEPS5_m9comp_mod3IiEEE10hipError_tT0_T1_T2_jT3_P12ihipStream_tbPNSt15iterator_traitsISJ_E10value_typeEPNSP_ISK_E10value_typeEPSL_NS1_7vsmem_tEENKUlT_SJ_SK_SL_E_clIPiSE_SF_SF_EESI_SY_SJ_SK_SL_EUlSY_E_NS1_11comp_targetILNS1_3genE0ELNS1_11target_archE4294967295ELNS1_3gpuE0ELNS1_3repE0EEENS1_48merge_mergepath_partition_config_static_selectorELNS0_4arch9wavefront6targetE0EEEvSK_.private_seg_size, 0
	.set _ZN7rocprim17ROCPRIM_400000_NS6detail17trampoline_kernelINS0_14default_configENS1_38merge_sort_block_merge_config_selectorIiNS0_10empty_typeEEEZZNS1_27merge_sort_block_merge_implIS3_N6thrust23THRUST_200600_302600_NS6detail15normal_iteratorINS9_10device_ptrIiEEEEPS5_m9comp_mod3IiEEE10hipError_tT0_T1_T2_jT3_P12ihipStream_tbPNSt15iterator_traitsISJ_E10value_typeEPNSP_ISK_E10value_typeEPSL_NS1_7vsmem_tEENKUlT_SJ_SK_SL_E_clIPiSE_SF_SF_EESI_SY_SJ_SK_SL_EUlSY_E_NS1_11comp_targetILNS1_3genE0ELNS1_11target_archE4294967295ELNS1_3gpuE0ELNS1_3repE0EEENS1_48merge_mergepath_partition_config_static_selectorELNS0_4arch9wavefront6targetE0EEEvSK_.uses_vcc, 0
	.set _ZN7rocprim17ROCPRIM_400000_NS6detail17trampoline_kernelINS0_14default_configENS1_38merge_sort_block_merge_config_selectorIiNS0_10empty_typeEEEZZNS1_27merge_sort_block_merge_implIS3_N6thrust23THRUST_200600_302600_NS6detail15normal_iteratorINS9_10device_ptrIiEEEEPS5_m9comp_mod3IiEEE10hipError_tT0_T1_T2_jT3_P12ihipStream_tbPNSt15iterator_traitsISJ_E10value_typeEPNSP_ISK_E10value_typeEPSL_NS1_7vsmem_tEENKUlT_SJ_SK_SL_E_clIPiSE_SF_SF_EESI_SY_SJ_SK_SL_EUlSY_E_NS1_11comp_targetILNS1_3genE0ELNS1_11target_archE4294967295ELNS1_3gpuE0ELNS1_3repE0EEENS1_48merge_mergepath_partition_config_static_selectorELNS0_4arch9wavefront6targetE0EEEvSK_.uses_flat_scratch, 0
	.set _ZN7rocprim17ROCPRIM_400000_NS6detail17trampoline_kernelINS0_14default_configENS1_38merge_sort_block_merge_config_selectorIiNS0_10empty_typeEEEZZNS1_27merge_sort_block_merge_implIS3_N6thrust23THRUST_200600_302600_NS6detail15normal_iteratorINS9_10device_ptrIiEEEEPS5_m9comp_mod3IiEEE10hipError_tT0_T1_T2_jT3_P12ihipStream_tbPNSt15iterator_traitsISJ_E10value_typeEPNSP_ISK_E10value_typeEPSL_NS1_7vsmem_tEENKUlT_SJ_SK_SL_E_clIPiSE_SF_SF_EESI_SY_SJ_SK_SL_EUlSY_E_NS1_11comp_targetILNS1_3genE0ELNS1_11target_archE4294967295ELNS1_3gpuE0ELNS1_3repE0EEENS1_48merge_mergepath_partition_config_static_selectorELNS0_4arch9wavefront6targetE0EEEvSK_.has_dyn_sized_stack, 0
	.set _ZN7rocprim17ROCPRIM_400000_NS6detail17trampoline_kernelINS0_14default_configENS1_38merge_sort_block_merge_config_selectorIiNS0_10empty_typeEEEZZNS1_27merge_sort_block_merge_implIS3_N6thrust23THRUST_200600_302600_NS6detail15normal_iteratorINS9_10device_ptrIiEEEEPS5_m9comp_mod3IiEEE10hipError_tT0_T1_T2_jT3_P12ihipStream_tbPNSt15iterator_traitsISJ_E10value_typeEPNSP_ISK_E10value_typeEPSL_NS1_7vsmem_tEENKUlT_SJ_SK_SL_E_clIPiSE_SF_SF_EESI_SY_SJ_SK_SL_EUlSY_E_NS1_11comp_targetILNS1_3genE0ELNS1_11target_archE4294967295ELNS1_3gpuE0ELNS1_3repE0EEENS1_48merge_mergepath_partition_config_static_selectorELNS0_4arch9wavefront6targetE0EEEvSK_.has_recursion, 0
	.set _ZN7rocprim17ROCPRIM_400000_NS6detail17trampoline_kernelINS0_14default_configENS1_38merge_sort_block_merge_config_selectorIiNS0_10empty_typeEEEZZNS1_27merge_sort_block_merge_implIS3_N6thrust23THRUST_200600_302600_NS6detail15normal_iteratorINS9_10device_ptrIiEEEEPS5_m9comp_mod3IiEEE10hipError_tT0_T1_T2_jT3_P12ihipStream_tbPNSt15iterator_traitsISJ_E10value_typeEPNSP_ISK_E10value_typeEPSL_NS1_7vsmem_tEENKUlT_SJ_SK_SL_E_clIPiSE_SF_SF_EESI_SY_SJ_SK_SL_EUlSY_E_NS1_11comp_targetILNS1_3genE0ELNS1_11target_archE4294967295ELNS1_3gpuE0ELNS1_3repE0EEENS1_48merge_mergepath_partition_config_static_selectorELNS0_4arch9wavefront6targetE0EEEvSK_.has_indirect_call, 0
	.section	.AMDGPU.csdata,"",@progbits
; Kernel info:
; codeLenInByte = 0
; TotalNumSgprs: 0
; NumVgprs: 0
; ScratchSize: 0
; MemoryBound: 0
; FloatMode: 240
; IeeeMode: 1
; LDSByteSize: 0 bytes/workgroup (compile time only)
; SGPRBlocks: 0
; VGPRBlocks: 0
; NumSGPRsForWavesPerEU: 1
; NumVGPRsForWavesPerEU: 1
; Occupancy: 16
; WaveLimiterHint : 0
; COMPUTE_PGM_RSRC2:SCRATCH_EN: 0
; COMPUTE_PGM_RSRC2:USER_SGPR: 6
; COMPUTE_PGM_RSRC2:TRAP_HANDLER: 0
; COMPUTE_PGM_RSRC2:TGID_X_EN: 1
; COMPUTE_PGM_RSRC2:TGID_Y_EN: 0
; COMPUTE_PGM_RSRC2:TGID_Z_EN: 0
; COMPUTE_PGM_RSRC2:TIDIG_COMP_CNT: 0
	.section	.text._ZN7rocprim17ROCPRIM_400000_NS6detail17trampoline_kernelINS0_14default_configENS1_38merge_sort_block_merge_config_selectorIiNS0_10empty_typeEEEZZNS1_27merge_sort_block_merge_implIS3_N6thrust23THRUST_200600_302600_NS6detail15normal_iteratorINS9_10device_ptrIiEEEEPS5_m9comp_mod3IiEEE10hipError_tT0_T1_T2_jT3_P12ihipStream_tbPNSt15iterator_traitsISJ_E10value_typeEPNSP_ISK_E10value_typeEPSL_NS1_7vsmem_tEENKUlT_SJ_SK_SL_E_clIPiSE_SF_SF_EESI_SY_SJ_SK_SL_EUlSY_E_NS1_11comp_targetILNS1_3genE10ELNS1_11target_archE1201ELNS1_3gpuE5ELNS1_3repE0EEENS1_48merge_mergepath_partition_config_static_selectorELNS0_4arch9wavefront6targetE0EEEvSK_,"axG",@progbits,_ZN7rocprim17ROCPRIM_400000_NS6detail17trampoline_kernelINS0_14default_configENS1_38merge_sort_block_merge_config_selectorIiNS0_10empty_typeEEEZZNS1_27merge_sort_block_merge_implIS3_N6thrust23THRUST_200600_302600_NS6detail15normal_iteratorINS9_10device_ptrIiEEEEPS5_m9comp_mod3IiEEE10hipError_tT0_T1_T2_jT3_P12ihipStream_tbPNSt15iterator_traitsISJ_E10value_typeEPNSP_ISK_E10value_typeEPSL_NS1_7vsmem_tEENKUlT_SJ_SK_SL_E_clIPiSE_SF_SF_EESI_SY_SJ_SK_SL_EUlSY_E_NS1_11comp_targetILNS1_3genE10ELNS1_11target_archE1201ELNS1_3gpuE5ELNS1_3repE0EEENS1_48merge_mergepath_partition_config_static_selectorELNS0_4arch9wavefront6targetE0EEEvSK_,comdat
	.protected	_ZN7rocprim17ROCPRIM_400000_NS6detail17trampoline_kernelINS0_14default_configENS1_38merge_sort_block_merge_config_selectorIiNS0_10empty_typeEEEZZNS1_27merge_sort_block_merge_implIS3_N6thrust23THRUST_200600_302600_NS6detail15normal_iteratorINS9_10device_ptrIiEEEEPS5_m9comp_mod3IiEEE10hipError_tT0_T1_T2_jT3_P12ihipStream_tbPNSt15iterator_traitsISJ_E10value_typeEPNSP_ISK_E10value_typeEPSL_NS1_7vsmem_tEENKUlT_SJ_SK_SL_E_clIPiSE_SF_SF_EESI_SY_SJ_SK_SL_EUlSY_E_NS1_11comp_targetILNS1_3genE10ELNS1_11target_archE1201ELNS1_3gpuE5ELNS1_3repE0EEENS1_48merge_mergepath_partition_config_static_selectorELNS0_4arch9wavefront6targetE0EEEvSK_ ; -- Begin function _ZN7rocprim17ROCPRIM_400000_NS6detail17trampoline_kernelINS0_14default_configENS1_38merge_sort_block_merge_config_selectorIiNS0_10empty_typeEEEZZNS1_27merge_sort_block_merge_implIS3_N6thrust23THRUST_200600_302600_NS6detail15normal_iteratorINS9_10device_ptrIiEEEEPS5_m9comp_mod3IiEEE10hipError_tT0_T1_T2_jT3_P12ihipStream_tbPNSt15iterator_traitsISJ_E10value_typeEPNSP_ISK_E10value_typeEPSL_NS1_7vsmem_tEENKUlT_SJ_SK_SL_E_clIPiSE_SF_SF_EESI_SY_SJ_SK_SL_EUlSY_E_NS1_11comp_targetILNS1_3genE10ELNS1_11target_archE1201ELNS1_3gpuE5ELNS1_3repE0EEENS1_48merge_mergepath_partition_config_static_selectorELNS0_4arch9wavefront6targetE0EEEvSK_
	.globl	_ZN7rocprim17ROCPRIM_400000_NS6detail17trampoline_kernelINS0_14default_configENS1_38merge_sort_block_merge_config_selectorIiNS0_10empty_typeEEEZZNS1_27merge_sort_block_merge_implIS3_N6thrust23THRUST_200600_302600_NS6detail15normal_iteratorINS9_10device_ptrIiEEEEPS5_m9comp_mod3IiEEE10hipError_tT0_T1_T2_jT3_P12ihipStream_tbPNSt15iterator_traitsISJ_E10value_typeEPNSP_ISK_E10value_typeEPSL_NS1_7vsmem_tEENKUlT_SJ_SK_SL_E_clIPiSE_SF_SF_EESI_SY_SJ_SK_SL_EUlSY_E_NS1_11comp_targetILNS1_3genE10ELNS1_11target_archE1201ELNS1_3gpuE5ELNS1_3repE0EEENS1_48merge_mergepath_partition_config_static_selectorELNS0_4arch9wavefront6targetE0EEEvSK_
	.p2align	8
	.type	_ZN7rocprim17ROCPRIM_400000_NS6detail17trampoline_kernelINS0_14default_configENS1_38merge_sort_block_merge_config_selectorIiNS0_10empty_typeEEEZZNS1_27merge_sort_block_merge_implIS3_N6thrust23THRUST_200600_302600_NS6detail15normal_iteratorINS9_10device_ptrIiEEEEPS5_m9comp_mod3IiEEE10hipError_tT0_T1_T2_jT3_P12ihipStream_tbPNSt15iterator_traitsISJ_E10value_typeEPNSP_ISK_E10value_typeEPSL_NS1_7vsmem_tEENKUlT_SJ_SK_SL_E_clIPiSE_SF_SF_EESI_SY_SJ_SK_SL_EUlSY_E_NS1_11comp_targetILNS1_3genE10ELNS1_11target_archE1201ELNS1_3gpuE5ELNS1_3repE0EEENS1_48merge_mergepath_partition_config_static_selectorELNS0_4arch9wavefront6targetE0EEEvSK_,@function
_ZN7rocprim17ROCPRIM_400000_NS6detail17trampoline_kernelINS0_14default_configENS1_38merge_sort_block_merge_config_selectorIiNS0_10empty_typeEEEZZNS1_27merge_sort_block_merge_implIS3_N6thrust23THRUST_200600_302600_NS6detail15normal_iteratorINS9_10device_ptrIiEEEEPS5_m9comp_mod3IiEEE10hipError_tT0_T1_T2_jT3_P12ihipStream_tbPNSt15iterator_traitsISJ_E10value_typeEPNSP_ISK_E10value_typeEPSL_NS1_7vsmem_tEENKUlT_SJ_SK_SL_E_clIPiSE_SF_SF_EESI_SY_SJ_SK_SL_EUlSY_E_NS1_11comp_targetILNS1_3genE10ELNS1_11target_archE1201ELNS1_3gpuE5ELNS1_3repE0EEENS1_48merge_mergepath_partition_config_static_selectorELNS0_4arch9wavefront6targetE0EEEvSK_: ; @_ZN7rocprim17ROCPRIM_400000_NS6detail17trampoline_kernelINS0_14default_configENS1_38merge_sort_block_merge_config_selectorIiNS0_10empty_typeEEEZZNS1_27merge_sort_block_merge_implIS3_N6thrust23THRUST_200600_302600_NS6detail15normal_iteratorINS9_10device_ptrIiEEEEPS5_m9comp_mod3IiEEE10hipError_tT0_T1_T2_jT3_P12ihipStream_tbPNSt15iterator_traitsISJ_E10value_typeEPNSP_ISK_E10value_typeEPSL_NS1_7vsmem_tEENKUlT_SJ_SK_SL_E_clIPiSE_SF_SF_EESI_SY_SJ_SK_SL_EUlSY_E_NS1_11comp_targetILNS1_3genE10ELNS1_11target_archE1201ELNS1_3gpuE5ELNS1_3repE0EEENS1_48merge_mergepath_partition_config_static_selectorELNS0_4arch9wavefront6targetE0EEEvSK_
; %bb.0:
	.section	.rodata,"a",@progbits
	.p2align	6, 0x0
	.amdhsa_kernel _ZN7rocprim17ROCPRIM_400000_NS6detail17trampoline_kernelINS0_14default_configENS1_38merge_sort_block_merge_config_selectorIiNS0_10empty_typeEEEZZNS1_27merge_sort_block_merge_implIS3_N6thrust23THRUST_200600_302600_NS6detail15normal_iteratorINS9_10device_ptrIiEEEEPS5_m9comp_mod3IiEEE10hipError_tT0_T1_T2_jT3_P12ihipStream_tbPNSt15iterator_traitsISJ_E10value_typeEPNSP_ISK_E10value_typeEPSL_NS1_7vsmem_tEENKUlT_SJ_SK_SL_E_clIPiSE_SF_SF_EESI_SY_SJ_SK_SL_EUlSY_E_NS1_11comp_targetILNS1_3genE10ELNS1_11target_archE1201ELNS1_3gpuE5ELNS1_3repE0EEENS1_48merge_mergepath_partition_config_static_selectorELNS0_4arch9wavefront6targetE0EEEvSK_
		.amdhsa_group_segment_fixed_size 0
		.amdhsa_private_segment_fixed_size 0
		.amdhsa_kernarg_size 48
		.amdhsa_user_sgpr_count 6
		.amdhsa_user_sgpr_private_segment_buffer 1
		.amdhsa_user_sgpr_dispatch_ptr 0
		.amdhsa_user_sgpr_queue_ptr 0
		.amdhsa_user_sgpr_kernarg_segment_ptr 1
		.amdhsa_user_sgpr_dispatch_id 0
		.amdhsa_user_sgpr_flat_scratch_init 0
		.amdhsa_user_sgpr_private_segment_size 0
		.amdhsa_wavefront_size32 1
		.amdhsa_uses_dynamic_stack 0
		.amdhsa_system_sgpr_private_segment_wavefront_offset 0
		.amdhsa_system_sgpr_workgroup_id_x 1
		.amdhsa_system_sgpr_workgroup_id_y 0
		.amdhsa_system_sgpr_workgroup_id_z 0
		.amdhsa_system_sgpr_workgroup_info 0
		.amdhsa_system_vgpr_workitem_id 0
		.amdhsa_next_free_vgpr 1
		.amdhsa_next_free_sgpr 1
		.amdhsa_reserve_vcc 0
		.amdhsa_reserve_flat_scratch 0
		.amdhsa_float_round_mode_32 0
		.amdhsa_float_round_mode_16_64 0
		.amdhsa_float_denorm_mode_32 3
		.amdhsa_float_denorm_mode_16_64 3
		.amdhsa_dx10_clamp 1
		.amdhsa_ieee_mode 1
		.amdhsa_fp16_overflow 0
		.amdhsa_workgroup_processor_mode 1
		.amdhsa_memory_ordered 1
		.amdhsa_forward_progress 1
		.amdhsa_shared_vgpr_count 0
		.amdhsa_exception_fp_ieee_invalid_op 0
		.amdhsa_exception_fp_denorm_src 0
		.amdhsa_exception_fp_ieee_div_zero 0
		.amdhsa_exception_fp_ieee_overflow 0
		.amdhsa_exception_fp_ieee_underflow 0
		.amdhsa_exception_fp_ieee_inexact 0
		.amdhsa_exception_int_div_zero 0
	.end_amdhsa_kernel
	.section	.text._ZN7rocprim17ROCPRIM_400000_NS6detail17trampoline_kernelINS0_14default_configENS1_38merge_sort_block_merge_config_selectorIiNS0_10empty_typeEEEZZNS1_27merge_sort_block_merge_implIS3_N6thrust23THRUST_200600_302600_NS6detail15normal_iteratorINS9_10device_ptrIiEEEEPS5_m9comp_mod3IiEEE10hipError_tT0_T1_T2_jT3_P12ihipStream_tbPNSt15iterator_traitsISJ_E10value_typeEPNSP_ISK_E10value_typeEPSL_NS1_7vsmem_tEENKUlT_SJ_SK_SL_E_clIPiSE_SF_SF_EESI_SY_SJ_SK_SL_EUlSY_E_NS1_11comp_targetILNS1_3genE10ELNS1_11target_archE1201ELNS1_3gpuE5ELNS1_3repE0EEENS1_48merge_mergepath_partition_config_static_selectorELNS0_4arch9wavefront6targetE0EEEvSK_,"axG",@progbits,_ZN7rocprim17ROCPRIM_400000_NS6detail17trampoline_kernelINS0_14default_configENS1_38merge_sort_block_merge_config_selectorIiNS0_10empty_typeEEEZZNS1_27merge_sort_block_merge_implIS3_N6thrust23THRUST_200600_302600_NS6detail15normal_iteratorINS9_10device_ptrIiEEEEPS5_m9comp_mod3IiEEE10hipError_tT0_T1_T2_jT3_P12ihipStream_tbPNSt15iterator_traitsISJ_E10value_typeEPNSP_ISK_E10value_typeEPSL_NS1_7vsmem_tEENKUlT_SJ_SK_SL_E_clIPiSE_SF_SF_EESI_SY_SJ_SK_SL_EUlSY_E_NS1_11comp_targetILNS1_3genE10ELNS1_11target_archE1201ELNS1_3gpuE5ELNS1_3repE0EEENS1_48merge_mergepath_partition_config_static_selectorELNS0_4arch9wavefront6targetE0EEEvSK_,comdat
.Lfunc_end989:
	.size	_ZN7rocprim17ROCPRIM_400000_NS6detail17trampoline_kernelINS0_14default_configENS1_38merge_sort_block_merge_config_selectorIiNS0_10empty_typeEEEZZNS1_27merge_sort_block_merge_implIS3_N6thrust23THRUST_200600_302600_NS6detail15normal_iteratorINS9_10device_ptrIiEEEEPS5_m9comp_mod3IiEEE10hipError_tT0_T1_T2_jT3_P12ihipStream_tbPNSt15iterator_traitsISJ_E10value_typeEPNSP_ISK_E10value_typeEPSL_NS1_7vsmem_tEENKUlT_SJ_SK_SL_E_clIPiSE_SF_SF_EESI_SY_SJ_SK_SL_EUlSY_E_NS1_11comp_targetILNS1_3genE10ELNS1_11target_archE1201ELNS1_3gpuE5ELNS1_3repE0EEENS1_48merge_mergepath_partition_config_static_selectorELNS0_4arch9wavefront6targetE0EEEvSK_, .Lfunc_end989-_ZN7rocprim17ROCPRIM_400000_NS6detail17trampoline_kernelINS0_14default_configENS1_38merge_sort_block_merge_config_selectorIiNS0_10empty_typeEEEZZNS1_27merge_sort_block_merge_implIS3_N6thrust23THRUST_200600_302600_NS6detail15normal_iteratorINS9_10device_ptrIiEEEEPS5_m9comp_mod3IiEEE10hipError_tT0_T1_T2_jT3_P12ihipStream_tbPNSt15iterator_traitsISJ_E10value_typeEPNSP_ISK_E10value_typeEPSL_NS1_7vsmem_tEENKUlT_SJ_SK_SL_E_clIPiSE_SF_SF_EESI_SY_SJ_SK_SL_EUlSY_E_NS1_11comp_targetILNS1_3genE10ELNS1_11target_archE1201ELNS1_3gpuE5ELNS1_3repE0EEENS1_48merge_mergepath_partition_config_static_selectorELNS0_4arch9wavefront6targetE0EEEvSK_
                                        ; -- End function
	.set _ZN7rocprim17ROCPRIM_400000_NS6detail17trampoline_kernelINS0_14default_configENS1_38merge_sort_block_merge_config_selectorIiNS0_10empty_typeEEEZZNS1_27merge_sort_block_merge_implIS3_N6thrust23THRUST_200600_302600_NS6detail15normal_iteratorINS9_10device_ptrIiEEEEPS5_m9comp_mod3IiEEE10hipError_tT0_T1_T2_jT3_P12ihipStream_tbPNSt15iterator_traitsISJ_E10value_typeEPNSP_ISK_E10value_typeEPSL_NS1_7vsmem_tEENKUlT_SJ_SK_SL_E_clIPiSE_SF_SF_EESI_SY_SJ_SK_SL_EUlSY_E_NS1_11comp_targetILNS1_3genE10ELNS1_11target_archE1201ELNS1_3gpuE5ELNS1_3repE0EEENS1_48merge_mergepath_partition_config_static_selectorELNS0_4arch9wavefront6targetE0EEEvSK_.num_vgpr, 0
	.set _ZN7rocprim17ROCPRIM_400000_NS6detail17trampoline_kernelINS0_14default_configENS1_38merge_sort_block_merge_config_selectorIiNS0_10empty_typeEEEZZNS1_27merge_sort_block_merge_implIS3_N6thrust23THRUST_200600_302600_NS6detail15normal_iteratorINS9_10device_ptrIiEEEEPS5_m9comp_mod3IiEEE10hipError_tT0_T1_T2_jT3_P12ihipStream_tbPNSt15iterator_traitsISJ_E10value_typeEPNSP_ISK_E10value_typeEPSL_NS1_7vsmem_tEENKUlT_SJ_SK_SL_E_clIPiSE_SF_SF_EESI_SY_SJ_SK_SL_EUlSY_E_NS1_11comp_targetILNS1_3genE10ELNS1_11target_archE1201ELNS1_3gpuE5ELNS1_3repE0EEENS1_48merge_mergepath_partition_config_static_selectorELNS0_4arch9wavefront6targetE0EEEvSK_.num_agpr, 0
	.set _ZN7rocprim17ROCPRIM_400000_NS6detail17trampoline_kernelINS0_14default_configENS1_38merge_sort_block_merge_config_selectorIiNS0_10empty_typeEEEZZNS1_27merge_sort_block_merge_implIS3_N6thrust23THRUST_200600_302600_NS6detail15normal_iteratorINS9_10device_ptrIiEEEEPS5_m9comp_mod3IiEEE10hipError_tT0_T1_T2_jT3_P12ihipStream_tbPNSt15iterator_traitsISJ_E10value_typeEPNSP_ISK_E10value_typeEPSL_NS1_7vsmem_tEENKUlT_SJ_SK_SL_E_clIPiSE_SF_SF_EESI_SY_SJ_SK_SL_EUlSY_E_NS1_11comp_targetILNS1_3genE10ELNS1_11target_archE1201ELNS1_3gpuE5ELNS1_3repE0EEENS1_48merge_mergepath_partition_config_static_selectorELNS0_4arch9wavefront6targetE0EEEvSK_.numbered_sgpr, 0
	.set _ZN7rocprim17ROCPRIM_400000_NS6detail17trampoline_kernelINS0_14default_configENS1_38merge_sort_block_merge_config_selectorIiNS0_10empty_typeEEEZZNS1_27merge_sort_block_merge_implIS3_N6thrust23THRUST_200600_302600_NS6detail15normal_iteratorINS9_10device_ptrIiEEEEPS5_m9comp_mod3IiEEE10hipError_tT0_T1_T2_jT3_P12ihipStream_tbPNSt15iterator_traitsISJ_E10value_typeEPNSP_ISK_E10value_typeEPSL_NS1_7vsmem_tEENKUlT_SJ_SK_SL_E_clIPiSE_SF_SF_EESI_SY_SJ_SK_SL_EUlSY_E_NS1_11comp_targetILNS1_3genE10ELNS1_11target_archE1201ELNS1_3gpuE5ELNS1_3repE0EEENS1_48merge_mergepath_partition_config_static_selectorELNS0_4arch9wavefront6targetE0EEEvSK_.num_named_barrier, 0
	.set _ZN7rocprim17ROCPRIM_400000_NS6detail17trampoline_kernelINS0_14default_configENS1_38merge_sort_block_merge_config_selectorIiNS0_10empty_typeEEEZZNS1_27merge_sort_block_merge_implIS3_N6thrust23THRUST_200600_302600_NS6detail15normal_iteratorINS9_10device_ptrIiEEEEPS5_m9comp_mod3IiEEE10hipError_tT0_T1_T2_jT3_P12ihipStream_tbPNSt15iterator_traitsISJ_E10value_typeEPNSP_ISK_E10value_typeEPSL_NS1_7vsmem_tEENKUlT_SJ_SK_SL_E_clIPiSE_SF_SF_EESI_SY_SJ_SK_SL_EUlSY_E_NS1_11comp_targetILNS1_3genE10ELNS1_11target_archE1201ELNS1_3gpuE5ELNS1_3repE0EEENS1_48merge_mergepath_partition_config_static_selectorELNS0_4arch9wavefront6targetE0EEEvSK_.private_seg_size, 0
	.set _ZN7rocprim17ROCPRIM_400000_NS6detail17trampoline_kernelINS0_14default_configENS1_38merge_sort_block_merge_config_selectorIiNS0_10empty_typeEEEZZNS1_27merge_sort_block_merge_implIS3_N6thrust23THRUST_200600_302600_NS6detail15normal_iteratorINS9_10device_ptrIiEEEEPS5_m9comp_mod3IiEEE10hipError_tT0_T1_T2_jT3_P12ihipStream_tbPNSt15iterator_traitsISJ_E10value_typeEPNSP_ISK_E10value_typeEPSL_NS1_7vsmem_tEENKUlT_SJ_SK_SL_E_clIPiSE_SF_SF_EESI_SY_SJ_SK_SL_EUlSY_E_NS1_11comp_targetILNS1_3genE10ELNS1_11target_archE1201ELNS1_3gpuE5ELNS1_3repE0EEENS1_48merge_mergepath_partition_config_static_selectorELNS0_4arch9wavefront6targetE0EEEvSK_.uses_vcc, 0
	.set _ZN7rocprim17ROCPRIM_400000_NS6detail17trampoline_kernelINS0_14default_configENS1_38merge_sort_block_merge_config_selectorIiNS0_10empty_typeEEEZZNS1_27merge_sort_block_merge_implIS3_N6thrust23THRUST_200600_302600_NS6detail15normal_iteratorINS9_10device_ptrIiEEEEPS5_m9comp_mod3IiEEE10hipError_tT0_T1_T2_jT3_P12ihipStream_tbPNSt15iterator_traitsISJ_E10value_typeEPNSP_ISK_E10value_typeEPSL_NS1_7vsmem_tEENKUlT_SJ_SK_SL_E_clIPiSE_SF_SF_EESI_SY_SJ_SK_SL_EUlSY_E_NS1_11comp_targetILNS1_3genE10ELNS1_11target_archE1201ELNS1_3gpuE5ELNS1_3repE0EEENS1_48merge_mergepath_partition_config_static_selectorELNS0_4arch9wavefront6targetE0EEEvSK_.uses_flat_scratch, 0
	.set _ZN7rocprim17ROCPRIM_400000_NS6detail17trampoline_kernelINS0_14default_configENS1_38merge_sort_block_merge_config_selectorIiNS0_10empty_typeEEEZZNS1_27merge_sort_block_merge_implIS3_N6thrust23THRUST_200600_302600_NS6detail15normal_iteratorINS9_10device_ptrIiEEEEPS5_m9comp_mod3IiEEE10hipError_tT0_T1_T2_jT3_P12ihipStream_tbPNSt15iterator_traitsISJ_E10value_typeEPNSP_ISK_E10value_typeEPSL_NS1_7vsmem_tEENKUlT_SJ_SK_SL_E_clIPiSE_SF_SF_EESI_SY_SJ_SK_SL_EUlSY_E_NS1_11comp_targetILNS1_3genE10ELNS1_11target_archE1201ELNS1_3gpuE5ELNS1_3repE0EEENS1_48merge_mergepath_partition_config_static_selectorELNS0_4arch9wavefront6targetE0EEEvSK_.has_dyn_sized_stack, 0
	.set _ZN7rocprim17ROCPRIM_400000_NS6detail17trampoline_kernelINS0_14default_configENS1_38merge_sort_block_merge_config_selectorIiNS0_10empty_typeEEEZZNS1_27merge_sort_block_merge_implIS3_N6thrust23THRUST_200600_302600_NS6detail15normal_iteratorINS9_10device_ptrIiEEEEPS5_m9comp_mod3IiEEE10hipError_tT0_T1_T2_jT3_P12ihipStream_tbPNSt15iterator_traitsISJ_E10value_typeEPNSP_ISK_E10value_typeEPSL_NS1_7vsmem_tEENKUlT_SJ_SK_SL_E_clIPiSE_SF_SF_EESI_SY_SJ_SK_SL_EUlSY_E_NS1_11comp_targetILNS1_3genE10ELNS1_11target_archE1201ELNS1_3gpuE5ELNS1_3repE0EEENS1_48merge_mergepath_partition_config_static_selectorELNS0_4arch9wavefront6targetE0EEEvSK_.has_recursion, 0
	.set _ZN7rocprim17ROCPRIM_400000_NS6detail17trampoline_kernelINS0_14default_configENS1_38merge_sort_block_merge_config_selectorIiNS0_10empty_typeEEEZZNS1_27merge_sort_block_merge_implIS3_N6thrust23THRUST_200600_302600_NS6detail15normal_iteratorINS9_10device_ptrIiEEEEPS5_m9comp_mod3IiEEE10hipError_tT0_T1_T2_jT3_P12ihipStream_tbPNSt15iterator_traitsISJ_E10value_typeEPNSP_ISK_E10value_typeEPSL_NS1_7vsmem_tEENKUlT_SJ_SK_SL_E_clIPiSE_SF_SF_EESI_SY_SJ_SK_SL_EUlSY_E_NS1_11comp_targetILNS1_3genE10ELNS1_11target_archE1201ELNS1_3gpuE5ELNS1_3repE0EEENS1_48merge_mergepath_partition_config_static_selectorELNS0_4arch9wavefront6targetE0EEEvSK_.has_indirect_call, 0
	.section	.AMDGPU.csdata,"",@progbits
; Kernel info:
; codeLenInByte = 0
; TotalNumSgprs: 0
; NumVgprs: 0
; ScratchSize: 0
; MemoryBound: 0
; FloatMode: 240
; IeeeMode: 1
; LDSByteSize: 0 bytes/workgroup (compile time only)
; SGPRBlocks: 0
; VGPRBlocks: 0
; NumSGPRsForWavesPerEU: 1
; NumVGPRsForWavesPerEU: 1
; Occupancy: 16
; WaveLimiterHint : 0
; COMPUTE_PGM_RSRC2:SCRATCH_EN: 0
; COMPUTE_PGM_RSRC2:USER_SGPR: 6
; COMPUTE_PGM_RSRC2:TRAP_HANDLER: 0
; COMPUTE_PGM_RSRC2:TGID_X_EN: 1
; COMPUTE_PGM_RSRC2:TGID_Y_EN: 0
; COMPUTE_PGM_RSRC2:TGID_Z_EN: 0
; COMPUTE_PGM_RSRC2:TIDIG_COMP_CNT: 0
	.section	.text._ZN7rocprim17ROCPRIM_400000_NS6detail17trampoline_kernelINS0_14default_configENS1_38merge_sort_block_merge_config_selectorIiNS0_10empty_typeEEEZZNS1_27merge_sort_block_merge_implIS3_N6thrust23THRUST_200600_302600_NS6detail15normal_iteratorINS9_10device_ptrIiEEEEPS5_m9comp_mod3IiEEE10hipError_tT0_T1_T2_jT3_P12ihipStream_tbPNSt15iterator_traitsISJ_E10value_typeEPNSP_ISK_E10value_typeEPSL_NS1_7vsmem_tEENKUlT_SJ_SK_SL_E_clIPiSE_SF_SF_EESI_SY_SJ_SK_SL_EUlSY_E_NS1_11comp_targetILNS1_3genE5ELNS1_11target_archE942ELNS1_3gpuE9ELNS1_3repE0EEENS1_48merge_mergepath_partition_config_static_selectorELNS0_4arch9wavefront6targetE0EEEvSK_,"axG",@progbits,_ZN7rocprim17ROCPRIM_400000_NS6detail17trampoline_kernelINS0_14default_configENS1_38merge_sort_block_merge_config_selectorIiNS0_10empty_typeEEEZZNS1_27merge_sort_block_merge_implIS3_N6thrust23THRUST_200600_302600_NS6detail15normal_iteratorINS9_10device_ptrIiEEEEPS5_m9comp_mod3IiEEE10hipError_tT0_T1_T2_jT3_P12ihipStream_tbPNSt15iterator_traitsISJ_E10value_typeEPNSP_ISK_E10value_typeEPSL_NS1_7vsmem_tEENKUlT_SJ_SK_SL_E_clIPiSE_SF_SF_EESI_SY_SJ_SK_SL_EUlSY_E_NS1_11comp_targetILNS1_3genE5ELNS1_11target_archE942ELNS1_3gpuE9ELNS1_3repE0EEENS1_48merge_mergepath_partition_config_static_selectorELNS0_4arch9wavefront6targetE0EEEvSK_,comdat
	.protected	_ZN7rocprim17ROCPRIM_400000_NS6detail17trampoline_kernelINS0_14default_configENS1_38merge_sort_block_merge_config_selectorIiNS0_10empty_typeEEEZZNS1_27merge_sort_block_merge_implIS3_N6thrust23THRUST_200600_302600_NS6detail15normal_iteratorINS9_10device_ptrIiEEEEPS5_m9comp_mod3IiEEE10hipError_tT0_T1_T2_jT3_P12ihipStream_tbPNSt15iterator_traitsISJ_E10value_typeEPNSP_ISK_E10value_typeEPSL_NS1_7vsmem_tEENKUlT_SJ_SK_SL_E_clIPiSE_SF_SF_EESI_SY_SJ_SK_SL_EUlSY_E_NS1_11comp_targetILNS1_3genE5ELNS1_11target_archE942ELNS1_3gpuE9ELNS1_3repE0EEENS1_48merge_mergepath_partition_config_static_selectorELNS0_4arch9wavefront6targetE0EEEvSK_ ; -- Begin function _ZN7rocprim17ROCPRIM_400000_NS6detail17trampoline_kernelINS0_14default_configENS1_38merge_sort_block_merge_config_selectorIiNS0_10empty_typeEEEZZNS1_27merge_sort_block_merge_implIS3_N6thrust23THRUST_200600_302600_NS6detail15normal_iteratorINS9_10device_ptrIiEEEEPS5_m9comp_mod3IiEEE10hipError_tT0_T1_T2_jT3_P12ihipStream_tbPNSt15iterator_traitsISJ_E10value_typeEPNSP_ISK_E10value_typeEPSL_NS1_7vsmem_tEENKUlT_SJ_SK_SL_E_clIPiSE_SF_SF_EESI_SY_SJ_SK_SL_EUlSY_E_NS1_11comp_targetILNS1_3genE5ELNS1_11target_archE942ELNS1_3gpuE9ELNS1_3repE0EEENS1_48merge_mergepath_partition_config_static_selectorELNS0_4arch9wavefront6targetE0EEEvSK_
	.globl	_ZN7rocprim17ROCPRIM_400000_NS6detail17trampoline_kernelINS0_14default_configENS1_38merge_sort_block_merge_config_selectorIiNS0_10empty_typeEEEZZNS1_27merge_sort_block_merge_implIS3_N6thrust23THRUST_200600_302600_NS6detail15normal_iteratorINS9_10device_ptrIiEEEEPS5_m9comp_mod3IiEEE10hipError_tT0_T1_T2_jT3_P12ihipStream_tbPNSt15iterator_traitsISJ_E10value_typeEPNSP_ISK_E10value_typeEPSL_NS1_7vsmem_tEENKUlT_SJ_SK_SL_E_clIPiSE_SF_SF_EESI_SY_SJ_SK_SL_EUlSY_E_NS1_11comp_targetILNS1_3genE5ELNS1_11target_archE942ELNS1_3gpuE9ELNS1_3repE0EEENS1_48merge_mergepath_partition_config_static_selectorELNS0_4arch9wavefront6targetE0EEEvSK_
	.p2align	8
	.type	_ZN7rocprim17ROCPRIM_400000_NS6detail17trampoline_kernelINS0_14default_configENS1_38merge_sort_block_merge_config_selectorIiNS0_10empty_typeEEEZZNS1_27merge_sort_block_merge_implIS3_N6thrust23THRUST_200600_302600_NS6detail15normal_iteratorINS9_10device_ptrIiEEEEPS5_m9comp_mod3IiEEE10hipError_tT0_T1_T2_jT3_P12ihipStream_tbPNSt15iterator_traitsISJ_E10value_typeEPNSP_ISK_E10value_typeEPSL_NS1_7vsmem_tEENKUlT_SJ_SK_SL_E_clIPiSE_SF_SF_EESI_SY_SJ_SK_SL_EUlSY_E_NS1_11comp_targetILNS1_3genE5ELNS1_11target_archE942ELNS1_3gpuE9ELNS1_3repE0EEENS1_48merge_mergepath_partition_config_static_selectorELNS0_4arch9wavefront6targetE0EEEvSK_,@function
_ZN7rocprim17ROCPRIM_400000_NS6detail17trampoline_kernelINS0_14default_configENS1_38merge_sort_block_merge_config_selectorIiNS0_10empty_typeEEEZZNS1_27merge_sort_block_merge_implIS3_N6thrust23THRUST_200600_302600_NS6detail15normal_iteratorINS9_10device_ptrIiEEEEPS5_m9comp_mod3IiEEE10hipError_tT0_T1_T2_jT3_P12ihipStream_tbPNSt15iterator_traitsISJ_E10value_typeEPNSP_ISK_E10value_typeEPSL_NS1_7vsmem_tEENKUlT_SJ_SK_SL_E_clIPiSE_SF_SF_EESI_SY_SJ_SK_SL_EUlSY_E_NS1_11comp_targetILNS1_3genE5ELNS1_11target_archE942ELNS1_3gpuE9ELNS1_3repE0EEENS1_48merge_mergepath_partition_config_static_selectorELNS0_4arch9wavefront6targetE0EEEvSK_: ; @_ZN7rocprim17ROCPRIM_400000_NS6detail17trampoline_kernelINS0_14default_configENS1_38merge_sort_block_merge_config_selectorIiNS0_10empty_typeEEEZZNS1_27merge_sort_block_merge_implIS3_N6thrust23THRUST_200600_302600_NS6detail15normal_iteratorINS9_10device_ptrIiEEEEPS5_m9comp_mod3IiEEE10hipError_tT0_T1_T2_jT3_P12ihipStream_tbPNSt15iterator_traitsISJ_E10value_typeEPNSP_ISK_E10value_typeEPSL_NS1_7vsmem_tEENKUlT_SJ_SK_SL_E_clIPiSE_SF_SF_EESI_SY_SJ_SK_SL_EUlSY_E_NS1_11comp_targetILNS1_3genE5ELNS1_11target_archE942ELNS1_3gpuE9ELNS1_3repE0EEENS1_48merge_mergepath_partition_config_static_selectorELNS0_4arch9wavefront6targetE0EEEvSK_
; %bb.0:
	.section	.rodata,"a",@progbits
	.p2align	6, 0x0
	.amdhsa_kernel _ZN7rocprim17ROCPRIM_400000_NS6detail17trampoline_kernelINS0_14default_configENS1_38merge_sort_block_merge_config_selectorIiNS0_10empty_typeEEEZZNS1_27merge_sort_block_merge_implIS3_N6thrust23THRUST_200600_302600_NS6detail15normal_iteratorINS9_10device_ptrIiEEEEPS5_m9comp_mod3IiEEE10hipError_tT0_T1_T2_jT3_P12ihipStream_tbPNSt15iterator_traitsISJ_E10value_typeEPNSP_ISK_E10value_typeEPSL_NS1_7vsmem_tEENKUlT_SJ_SK_SL_E_clIPiSE_SF_SF_EESI_SY_SJ_SK_SL_EUlSY_E_NS1_11comp_targetILNS1_3genE5ELNS1_11target_archE942ELNS1_3gpuE9ELNS1_3repE0EEENS1_48merge_mergepath_partition_config_static_selectorELNS0_4arch9wavefront6targetE0EEEvSK_
		.amdhsa_group_segment_fixed_size 0
		.amdhsa_private_segment_fixed_size 0
		.amdhsa_kernarg_size 48
		.amdhsa_user_sgpr_count 6
		.amdhsa_user_sgpr_private_segment_buffer 1
		.amdhsa_user_sgpr_dispatch_ptr 0
		.amdhsa_user_sgpr_queue_ptr 0
		.amdhsa_user_sgpr_kernarg_segment_ptr 1
		.amdhsa_user_sgpr_dispatch_id 0
		.amdhsa_user_sgpr_flat_scratch_init 0
		.amdhsa_user_sgpr_private_segment_size 0
		.amdhsa_wavefront_size32 1
		.amdhsa_uses_dynamic_stack 0
		.amdhsa_system_sgpr_private_segment_wavefront_offset 0
		.amdhsa_system_sgpr_workgroup_id_x 1
		.amdhsa_system_sgpr_workgroup_id_y 0
		.amdhsa_system_sgpr_workgroup_id_z 0
		.amdhsa_system_sgpr_workgroup_info 0
		.amdhsa_system_vgpr_workitem_id 0
		.amdhsa_next_free_vgpr 1
		.amdhsa_next_free_sgpr 1
		.amdhsa_reserve_vcc 0
		.amdhsa_reserve_flat_scratch 0
		.amdhsa_float_round_mode_32 0
		.amdhsa_float_round_mode_16_64 0
		.amdhsa_float_denorm_mode_32 3
		.amdhsa_float_denorm_mode_16_64 3
		.amdhsa_dx10_clamp 1
		.amdhsa_ieee_mode 1
		.amdhsa_fp16_overflow 0
		.amdhsa_workgroup_processor_mode 1
		.amdhsa_memory_ordered 1
		.amdhsa_forward_progress 1
		.amdhsa_shared_vgpr_count 0
		.amdhsa_exception_fp_ieee_invalid_op 0
		.amdhsa_exception_fp_denorm_src 0
		.amdhsa_exception_fp_ieee_div_zero 0
		.amdhsa_exception_fp_ieee_overflow 0
		.amdhsa_exception_fp_ieee_underflow 0
		.amdhsa_exception_fp_ieee_inexact 0
		.amdhsa_exception_int_div_zero 0
	.end_amdhsa_kernel
	.section	.text._ZN7rocprim17ROCPRIM_400000_NS6detail17trampoline_kernelINS0_14default_configENS1_38merge_sort_block_merge_config_selectorIiNS0_10empty_typeEEEZZNS1_27merge_sort_block_merge_implIS3_N6thrust23THRUST_200600_302600_NS6detail15normal_iteratorINS9_10device_ptrIiEEEEPS5_m9comp_mod3IiEEE10hipError_tT0_T1_T2_jT3_P12ihipStream_tbPNSt15iterator_traitsISJ_E10value_typeEPNSP_ISK_E10value_typeEPSL_NS1_7vsmem_tEENKUlT_SJ_SK_SL_E_clIPiSE_SF_SF_EESI_SY_SJ_SK_SL_EUlSY_E_NS1_11comp_targetILNS1_3genE5ELNS1_11target_archE942ELNS1_3gpuE9ELNS1_3repE0EEENS1_48merge_mergepath_partition_config_static_selectorELNS0_4arch9wavefront6targetE0EEEvSK_,"axG",@progbits,_ZN7rocprim17ROCPRIM_400000_NS6detail17trampoline_kernelINS0_14default_configENS1_38merge_sort_block_merge_config_selectorIiNS0_10empty_typeEEEZZNS1_27merge_sort_block_merge_implIS3_N6thrust23THRUST_200600_302600_NS6detail15normal_iteratorINS9_10device_ptrIiEEEEPS5_m9comp_mod3IiEEE10hipError_tT0_T1_T2_jT3_P12ihipStream_tbPNSt15iterator_traitsISJ_E10value_typeEPNSP_ISK_E10value_typeEPSL_NS1_7vsmem_tEENKUlT_SJ_SK_SL_E_clIPiSE_SF_SF_EESI_SY_SJ_SK_SL_EUlSY_E_NS1_11comp_targetILNS1_3genE5ELNS1_11target_archE942ELNS1_3gpuE9ELNS1_3repE0EEENS1_48merge_mergepath_partition_config_static_selectorELNS0_4arch9wavefront6targetE0EEEvSK_,comdat
.Lfunc_end990:
	.size	_ZN7rocprim17ROCPRIM_400000_NS6detail17trampoline_kernelINS0_14default_configENS1_38merge_sort_block_merge_config_selectorIiNS0_10empty_typeEEEZZNS1_27merge_sort_block_merge_implIS3_N6thrust23THRUST_200600_302600_NS6detail15normal_iteratorINS9_10device_ptrIiEEEEPS5_m9comp_mod3IiEEE10hipError_tT0_T1_T2_jT3_P12ihipStream_tbPNSt15iterator_traitsISJ_E10value_typeEPNSP_ISK_E10value_typeEPSL_NS1_7vsmem_tEENKUlT_SJ_SK_SL_E_clIPiSE_SF_SF_EESI_SY_SJ_SK_SL_EUlSY_E_NS1_11comp_targetILNS1_3genE5ELNS1_11target_archE942ELNS1_3gpuE9ELNS1_3repE0EEENS1_48merge_mergepath_partition_config_static_selectorELNS0_4arch9wavefront6targetE0EEEvSK_, .Lfunc_end990-_ZN7rocprim17ROCPRIM_400000_NS6detail17trampoline_kernelINS0_14default_configENS1_38merge_sort_block_merge_config_selectorIiNS0_10empty_typeEEEZZNS1_27merge_sort_block_merge_implIS3_N6thrust23THRUST_200600_302600_NS6detail15normal_iteratorINS9_10device_ptrIiEEEEPS5_m9comp_mod3IiEEE10hipError_tT0_T1_T2_jT3_P12ihipStream_tbPNSt15iterator_traitsISJ_E10value_typeEPNSP_ISK_E10value_typeEPSL_NS1_7vsmem_tEENKUlT_SJ_SK_SL_E_clIPiSE_SF_SF_EESI_SY_SJ_SK_SL_EUlSY_E_NS1_11comp_targetILNS1_3genE5ELNS1_11target_archE942ELNS1_3gpuE9ELNS1_3repE0EEENS1_48merge_mergepath_partition_config_static_selectorELNS0_4arch9wavefront6targetE0EEEvSK_
                                        ; -- End function
	.set _ZN7rocprim17ROCPRIM_400000_NS6detail17trampoline_kernelINS0_14default_configENS1_38merge_sort_block_merge_config_selectorIiNS0_10empty_typeEEEZZNS1_27merge_sort_block_merge_implIS3_N6thrust23THRUST_200600_302600_NS6detail15normal_iteratorINS9_10device_ptrIiEEEEPS5_m9comp_mod3IiEEE10hipError_tT0_T1_T2_jT3_P12ihipStream_tbPNSt15iterator_traitsISJ_E10value_typeEPNSP_ISK_E10value_typeEPSL_NS1_7vsmem_tEENKUlT_SJ_SK_SL_E_clIPiSE_SF_SF_EESI_SY_SJ_SK_SL_EUlSY_E_NS1_11comp_targetILNS1_3genE5ELNS1_11target_archE942ELNS1_3gpuE9ELNS1_3repE0EEENS1_48merge_mergepath_partition_config_static_selectorELNS0_4arch9wavefront6targetE0EEEvSK_.num_vgpr, 0
	.set _ZN7rocprim17ROCPRIM_400000_NS6detail17trampoline_kernelINS0_14default_configENS1_38merge_sort_block_merge_config_selectorIiNS0_10empty_typeEEEZZNS1_27merge_sort_block_merge_implIS3_N6thrust23THRUST_200600_302600_NS6detail15normal_iteratorINS9_10device_ptrIiEEEEPS5_m9comp_mod3IiEEE10hipError_tT0_T1_T2_jT3_P12ihipStream_tbPNSt15iterator_traitsISJ_E10value_typeEPNSP_ISK_E10value_typeEPSL_NS1_7vsmem_tEENKUlT_SJ_SK_SL_E_clIPiSE_SF_SF_EESI_SY_SJ_SK_SL_EUlSY_E_NS1_11comp_targetILNS1_3genE5ELNS1_11target_archE942ELNS1_3gpuE9ELNS1_3repE0EEENS1_48merge_mergepath_partition_config_static_selectorELNS0_4arch9wavefront6targetE0EEEvSK_.num_agpr, 0
	.set _ZN7rocprim17ROCPRIM_400000_NS6detail17trampoline_kernelINS0_14default_configENS1_38merge_sort_block_merge_config_selectorIiNS0_10empty_typeEEEZZNS1_27merge_sort_block_merge_implIS3_N6thrust23THRUST_200600_302600_NS6detail15normal_iteratorINS9_10device_ptrIiEEEEPS5_m9comp_mod3IiEEE10hipError_tT0_T1_T2_jT3_P12ihipStream_tbPNSt15iterator_traitsISJ_E10value_typeEPNSP_ISK_E10value_typeEPSL_NS1_7vsmem_tEENKUlT_SJ_SK_SL_E_clIPiSE_SF_SF_EESI_SY_SJ_SK_SL_EUlSY_E_NS1_11comp_targetILNS1_3genE5ELNS1_11target_archE942ELNS1_3gpuE9ELNS1_3repE0EEENS1_48merge_mergepath_partition_config_static_selectorELNS0_4arch9wavefront6targetE0EEEvSK_.numbered_sgpr, 0
	.set _ZN7rocprim17ROCPRIM_400000_NS6detail17trampoline_kernelINS0_14default_configENS1_38merge_sort_block_merge_config_selectorIiNS0_10empty_typeEEEZZNS1_27merge_sort_block_merge_implIS3_N6thrust23THRUST_200600_302600_NS6detail15normal_iteratorINS9_10device_ptrIiEEEEPS5_m9comp_mod3IiEEE10hipError_tT0_T1_T2_jT3_P12ihipStream_tbPNSt15iterator_traitsISJ_E10value_typeEPNSP_ISK_E10value_typeEPSL_NS1_7vsmem_tEENKUlT_SJ_SK_SL_E_clIPiSE_SF_SF_EESI_SY_SJ_SK_SL_EUlSY_E_NS1_11comp_targetILNS1_3genE5ELNS1_11target_archE942ELNS1_3gpuE9ELNS1_3repE0EEENS1_48merge_mergepath_partition_config_static_selectorELNS0_4arch9wavefront6targetE0EEEvSK_.num_named_barrier, 0
	.set _ZN7rocprim17ROCPRIM_400000_NS6detail17trampoline_kernelINS0_14default_configENS1_38merge_sort_block_merge_config_selectorIiNS0_10empty_typeEEEZZNS1_27merge_sort_block_merge_implIS3_N6thrust23THRUST_200600_302600_NS6detail15normal_iteratorINS9_10device_ptrIiEEEEPS5_m9comp_mod3IiEEE10hipError_tT0_T1_T2_jT3_P12ihipStream_tbPNSt15iterator_traitsISJ_E10value_typeEPNSP_ISK_E10value_typeEPSL_NS1_7vsmem_tEENKUlT_SJ_SK_SL_E_clIPiSE_SF_SF_EESI_SY_SJ_SK_SL_EUlSY_E_NS1_11comp_targetILNS1_3genE5ELNS1_11target_archE942ELNS1_3gpuE9ELNS1_3repE0EEENS1_48merge_mergepath_partition_config_static_selectorELNS0_4arch9wavefront6targetE0EEEvSK_.private_seg_size, 0
	.set _ZN7rocprim17ROCPRIM_400000_NS6detail17trampoline_kernelINS0_14default_configENS1_38merge_sort_block_merge_config_selectorIiNS0_10empty_typeEEEZZNS1_27merge_sort_block_merge_implIS3_N6thrust23THRUST_200600_302600_NS6detail15normal_iteratorINS9_10device_ptrIiEEEEPS5_m9comp_mod3IiEEE10hipError_tT0_T1_T2_jT3_P12ihipStream_tbPNSt15iterator_traitsISJ_E10value_typeEPNSP_ISK_E10value_typeEPSL_NS1_7vsmem_tEENKUlT_SJ_SK_SL_E_clIPiSE_SF_SF_EESI_SY_SJ_SK_SL_EUlSY_E_NS1_11comp_targetILNS1_3genE5ELNS1_11target_archE942ELNS1_3gpuE9ELNS1_3repE0EEENS1_48merge_mergepath_partition_config_static_selectorELNS0_4arch9wavefront6targetE0EEEvSK_.uses_vcc, 0
	.set _ZN7rocprim17ROCPRIM_400000_NS6detail17trampoline_kernelINS0_14default_configENS1_38merge_sort_block_merge_config_selectorIiNS0_10empty_typeEEEZZNS1_27merge_sort_block_merge_implIS3_N6thrust23THRUST_200600_302600_NS6detail15normal_iteratorINS9_10device_ptrIiEEEEPS5_m9comp_mod3IiEEE10hipError_tT0_T1_T2_jT3_P12ihipStream_tbPNSt15iterator_traitsISJ_E10value_typeEPNSP_ISK_E10value_typeEPSL_NS1_7vsmem_tEENKUlT_SJ_SK_SL_E_clIPiSE_SF_SF_EESI_SY_SJ_SK_SL_EUlSY_E_NS1_11comp_targetILNS1_3genE5ELNS1_11target_archE942ELNS1_3gpuE9ELNS1_3repE0EEENS1_48merge_mergepath_partition_config_static_selectorELNS0_4arch9wavefront6targetE0EEEvSK_.uses_flat_scratch, 0
	.set _ZN7rocprim17ROCPRIM_400000_NS6detail17trampoline_kernelINS0_14default_configENS1_38merge_sort_block_merge_config_selectorIiNS0_10empty_typeEEEZZNS1_27merge_sort_block_merge_implIS3_N6thrust23THRUST_200600_302600_NS6detail15normal_iteratorINS9_10device_ptrIiEEEEPS5_m9comp_mod3IiEEE10hipError_tT0_T1_T2_jT3_P12ihipStream_tbPNSt15iterator_traitsISJ_E10value_typeEPNSP_ISK_E10value_typeEPSL_NS1_7vsmem_tEENKUlT_SJ_SK_SL_E_clIPiSE_SF_SF_EESI_SY_SJ_SK_SL_EUlSY_E_NS1_11comp_targetILNS1_3genE5ELNS1_11target_archE942ELNS1_3gpuE9ELNS1_3repE0EEENS1_48merge_mergepath_partition_config_static_selectorELNS0_4arch9wavefront6targetE0EEEvSK_.has_dyn_sized_stack, 0
	.set _ZN7rocprim17ROCPRIM_400000_NS6detail17trampoline_kernelINS0_14default_configENS1_38merge_sort_block_merge_config_selectorIiNS0_10empty_typeEEEZZNS1_27merge_sort_block_merge_implIS3_N6thrust23THRUST_200600_302600_NS6detail15normal_iteratorINS9_10device_ptrIiEEEEPS5_m9comp_mod3IiEEE10hipError_tT0_T1_T2_jT3_P12ihipStream_tbPNSt15iterator_traitsISJ_E10value_typeEPNSP_ISK_E10value_typeEPSL_NS1_7vsmem_tEENKUlT_SJ_SK_SL_E_clIPiSE_SF_SF_EESI_SY_SJ_SK_SL_EUlSY_E_NS1_11comp_targetILNS1_3genE5ELNS1_11target_archE942ELNS1_3gpuE9ELNS1_3repE0EEENS1_48merge_mergepath_partition_config_static_selectorELNS0_4arch9wavefront6targetE0EEEvSK_.has_recursion, 0
	.set _ZN7rocprim17ROCPRIM_400000_NS6detail17trampoline_kernelINS0_14default_configENS1_38merge_sort_block_merge_config_selectorIiNS0_10empty_typeEEEZZNS1_27merge_sort_block_merge_implIS3_N6thrust23THRUST_200600_302600_NS6detail15normal_iteratorINS9_10device_ptrIiEEEEPS5_m9comp_mod3IiEEE10hipError_tT0_T1_T2_jT3_P12ihipStream_tbPNSt15iterator_traitsISJ_E10value_typeEPNSP_ISK_E10value_typeEPSL_NS1_7vsmem_tEENKUlT_SJ_SK_SL_E_clIPiSE_SF_SF_EESI_SY_SJ_SK_SL_EUlSY_E_NS1_11comp_targetILNS1_3genE5ELNS1_11target_archE942ELNS1_3gpuE9ELNS1_3repE0EEENS1_48merge_mergepath_partition_config_static_selectorELNS0_4arch9wavefront6targetE0EEEvSK_.has_indirect_call, 0
	.section	.AMDGPU.csdata,"",@progbits
; Kernel info:
; codeLenInByte = 0
; TotalNumSgprs: 0
; NumVgprs: 0
; ScratchSize: 0
; MemoryBound: 0
; FloatMode: 240
; IeeeMode: 1
; LDSByteSize: 0 bytes/workgroup (compile time only)
; SGPRBlocks: 0
; VGPRBlocks: 0
; NumSGPRsForWavesPerEU: 1
; NumVGPRsForWavesPerEU: 1
; Occupancy: 16
; WaveLimiterHint : 0
; COMPUTE_PGM_RSRC2:SCRATCH_EN: 0
; COMPUTE_PGM_RSRC2:USER_SGPR: 6
; COMPUTE_PGM_RSRC2:TRAP_HANDLER: 0
; COMPUTE_PGM_RSRC2:TGID_X_EN: 1
; COMPUTE_PGM_RSRC2:TGID_Y_EN: 0
; COMPUTE_PGM_RSRC2:TGID_Z_EN: 0
; COMPUTE_PGM_RSRC2:TIDIG_COMP_CNT: 0
	.section	.text._ZN7rocprim17ROCPRIM_400000_NS6detail17trampoline_kernelINS0_14default_configENS1_38merge_sort_block_merge_config_selectorIiNS0_10empty_typeEEEZZNS1_27merge_sort_block_merge_implIS3_N6thrust23THRUST_200600_302600_NS6detail15normal_iteratorINS9_10device_ptrIiEEEEPS5_m9comp_mod3IiEEE10hipError_tT0_T1_T2_jT3_P12ihipStream_tbPNSt15iterator_traitsISJ_E10value_typeEPNSP_ISK_E10value_typeEPSL_NS1_7vsmem_tEENKUlT_SJ_SK_SL_E_clIPiSE_SF_SF_EESI_SY_SJ_SK_SL_EUlSY_E_NS1_11comp_targetILNS1_3genE4ELNS1_11target_archE910ELNS1_3gpuE8ELNS1_3repE0EEENS1_48merge_mergepath_partition_config_static_selectorELNS0_4arch9wavefront6targetE0EEEvSK_,"axG",@progbits,_ZN7rocprim17ROCPRIM_400000_NS6detail17trampoline_kernelINS0_14default_configENS1_38merge_sort_block_merge_config_selectorIiNS0_10empty_typeEEEZZNS1_27merge_sort_block_merge_implIS3_N6thrust23THRUST_200600_302600_NS6detail15normal_iteratorINS9_10device_ptrIiEEEEPS5_m9comp_mod3IiEEE10hipError_tT0_T1_T2_jT3_P12ihipStream_tbPNSt15iterator_traitsISJ_E10value_typeEPNSP_ISK_E10value_typeEPSL_NS1_7vsmem_tEENKUlT_SJ_SK_SL_E_clIPiSE_SF_SF_EESI_SY_SJ_SK_SL_EUlSY_E_NS1_11comp_targetILNS1_3genE4ELNS1_11target_archE910ELNS1_3gpuE8ELNS1_3repE0EEENS1_48merge_mergepath_partition_config_static_selectorELNS0_4arch9wavefront6targetE0EEEvSK_,comdat
	.protected	_ZN7rocprim17ROCPRIM_400000_NS6detail17trampoline_kernelINS0_14default_configENS1_38merge_sort_block_merge_config_selectorIiNS0_10empty_typeEEEZZNS1_27merge_sort_block_merge_implIS3_N6thrust23THRUST_200600_302600_NS6detail15normal_iteratorINS9_10device_ptrIiEEEEPS5_m9comp_mod3IiEEE10hipError_tT0_T1_T2_jT3_P12ihipStream_tbPNSt15iterator_traitsISJ_E10value_typeEPNSP_ISK_E10value_typeEPSL_NS1_7vsmem_tEENKUlT_SJ_SK_SL_E_clIPiSE_SF_SF_EESI_SY_SJ_SK_SL_EUlSY_E_NS1_11comp_targetILNS1_3genE4ELNS1_11target_archE910ELNS1_3gpuE8ELNS1_3repE0EEENS1_48merge_mergepath_partition_config_static_selectorELNS0_4arch9wavefront6targetE0EEEvSK_ ; -- Begin function _ZN7rocprim17ROCPRIM_400000_NS6detail17trampoline_kernelINS0_14default_configENS1_38merge_sort_block_merge_config_selectorIiNS0_10empty_typeEEEZZNS1_27merge_sort_block_merge_implIS3_N6thrust23THRUST_200600_302600_NS6detail15normal_iteratorINS9_10device_ptrIiEEEEPS5_m9comp_mod3IiEEE10hipError_tT0_T1_T2_jT3_P12ihipStream_tbPNSt15iterator_traitsISJ_E10value_typeEPNSP_ISK_E10value_typeEPSL_NS1_7vsmem_tEENKUlT_SJ_SK_SL_E_clIPiSE_SF_SF_EESI_SY_SJ_SK_SL_EUlSY_E_NS1_11comp_targetILNS1_3genE4ELNS1_11target_archE910ELNS1_3gpuE8ELNS1_3repE0EEENS1_48merge_mergepath_partition_config_static_selectorELNS0_4arch9wavefront6targetE0EEEvSK_
	.globl	_ZN7rocprim17ROCPRIM_400000_NS6detail17trampoline_kernelINS0_14default_configENS1_38merge_sort_block_merge_config_selectorIiNS0_10empty_typeEEEZZNS1_27merge_sort_block_merge_implIS3_N6thrust23THRUST_200600_302600_NS6detail15normal_iteratorINS9_10device_ptrIiEEEEPS5_m9comp_mod3IiEEE10hipError_tT0_T1_T2_jT3_P12ihipStream_tbPNSt15iterator_traitsISJ_E10value_typeEPNSP_ISK_E10value_typeEPSL_NS1_7vsmem_tEENKUlT_SJ_SK_SL_E_clIPiSE_SF_SF_EESI_SY_SJ_SK_SL_EUlSY_E_NS1_11comp_targetILNS1_3genE4ELNS1_11target_archE910ELNS1_3gpuE8ELNS1_3repE0EEENS1_48merge_mergepath_partition_config_static_selectorELNS0_4arch9wavefront6targetE0EEEvSK_
	.p2align	8
	.type	_ZN7rocprim17ROCPRIM_400000_NS6detail17trampoline_kernelINS0_14default_configENS1_38merge_sort_block_merge_config_selectorIiNS0_10empty_typeEEEZZNS1_27merge_sort_block_merge_implIS3_N6thrust23THRUST_200600_302600_NS6detail15normal_iteratorINS9_10device_ptrIiEEEEPS5_m9comp_mod3IiEEE10hipError_tT0_T1_T2_jT3_P12ihipStream_tbPNSt15iterator_traitsISJ_E10value_typeEPNSP_ISK_E10value_typeEPSL_NS1_7vsmem_tEENKUlT_SJ_SK_SL_E_clIPiSE_SF_SF_EESI_SY_SJ_SK_SL_EUlSY_E_NS1_11comp_targetILNS1_3genE4ELNS1_11target_archE910ELNS1_3gpuE8ELNS1_3repE0EEENS1_48merge_mergepath_partition_config_static_selectorELNS0_4arch9wavefront6targetE0EEEvSK_,@function
_ZN7rocprim17ROCPRIM_400000_NS6detail17trampoline_kernelINS0_14default_configENS1_38merge_sort_block_merge_config_selectorIiNS0_10empty_typeEEEZZNS1_27merge_sort_block_merge_implIS3_N6thrust23THRUST_200600_302600_NS6detail15normal_iteratorINS9_10device_ptrIiEEEEPS5_m9comp_mod3IiEEE10hipError_tT0_T1_T2_jT3_P12ihipStream_tbPNSt15iterator_traitsISJ_E10value_typeEPNSP_ISK_E10value_typeEPSL_NS1_7vsmem_tEENKUlT_SJ_SK_SL_E_clIPiSE_SF_SF_EESI_SY_SJ_SK_SL_EUlSY_E_NS1_11comp_targetILNS1_3genE4ELNS1_11target_archE910ELNS1_3gpuE8ELNS1_3repE0EEENS1_48merge_mergepath_partition_config_static_selectorELNS0_4arch9wavefront6targetE0EEEvSK_: ; @_ZN7rocprim17ROCPRIM_400000_NS6detail17trampoline_kernelINS0_14default_configENS1_38merge_sort_block_merge_config_selectorIiNS0_10empty_typeEEEZZNS1_27merge_sort_block_merge_implIS3_N6thrust23THRUST_200600_302600_NS6detail15normal_iteratorINS9_10device_ptrIiEEEEPS5_m9comp_mod3IiEEE10hipError_tT0_T1_T2_jT3_P12ihipStream_tbPNSt15iterator_traitsISJ_E10value_typeEPNSP_ISK_E10value_typeEPSL_NS1_7vsmem_tEENKUlT_SJ_SK_SL_E_clIPiSE_SF_SF_EESI_SY_SJ_SK_SL_EUlSY_E_NS1_11comp_targetILNS1_3genE4ELNS1_11target_archE910ELNS1_3gpuE8ELNS1_3repE0EEENS1_48merge_mergepath_partition_config_static_selectorELNS0_4arch9wavefront6targetE0EEEvSK_
; %bb.0:
	.section	.rodata,"a",@progbits
	.p2align	6, 0x0
	.amdhsa_kernel _ZN7rocprim17ROCPRIM_400000_NS6detail17trampoline_kernelINS0_14default_configENS1_38merge_sort_block_merge_config_selectorIiNS0_10empty_typeEEEZZNS1_27merge_sort_block_merge_implIS3_N6thrust23THRUST_200600_302600_NS6detail15normal_iteratorINS9_10device_ptrIiEEEEPS5_m9comp_mod3IiEEE10hipError_tT0_T1_T2_jT3_P12ihipStream_tbPNSt15iterator_traitsISJ_E10value_typeEPNSP_ISK_E10value_typeEPSL_NS1_7vsmem_tEENKUlT_SJ_SK_SL_E_clIPiSE_SF_SF_EESI_SY_SJ_SK_SL_EUlSY_E_NS1_11comp_targetILNS1_3genE4ELNS1_11target_archE910ELNS1_3gpuE8ELNS1_3repE0EEENS1_48merge_mergepath_partition_config_static_selectorELNS0_4arch9wavefront6targetE0EEEvSK_
		.amdhsa_group_segment_fixed_size 0
		.amdhsa_private_segment_fixed_size 0
		.amdhsa_kernarg_size 48
		.amdhsa_user_sgpr_count 6
		.amdhsa_user_sgpr_private_segment_buffer 1
		.amdhsa_user_sgpr_dispatch_ptr 0
		.amdhsa_user_sgpr_queue_ptr 0
		.amdhsa_user_sgpr_kernarg_segment_ptr 1
		.amdhsa_user_sgpr_dispatch_id 0
		.amdhsa_user_sgpr_flat_scratch_init 0
		.amdhsa_user_sgpr_private_segment_size 0
		.amdhsa_wavefront_size32 1
		.amdhsa_uses_dynamic_stack 0
		.amdhsa_system_sgpr_private_segment_wavefront_offset 0
		.amdhsa_system_sgpr_workgroup_id_x 1
		.amdhsa_system_sgpr_workgroup_id_y 0
		.amdhsa_system_sgpr_workgroup_id_z 0
		.amdhsa_system_sgpr_workgroup_info 0
		.amdhsa_system_vgpr_workitem_id 0
		.amdhsa_next_free_vgpr 1
		.amdhsa_next_free_sgpr 1
		.amdhsa_reserve_vcc 0
		.amdhsa_reserve_flat_scratch 0
		.amdhsa_float_round_mode_32 0
		.amdhsa_float_round_mode_16_64 0
		.amdhsa_float_denorm_mode_32 3
		.amdhsa_float_denorm_mode_16_64 3
		.amdhsa_dx10_clamp 1
		.amdhsa_ieee_mode 1
		.amdhsa_fp16_overflow 0
		.amdhsa_workgroup_processor_mode 1
		.amdhsa_memory_ordered 1
		.amdhsa_forward_progress 1
		.amdhsa_shared_vgpr_count 0
		.amdhsa_exception_fp_ieee_invalid_op 0
		.amdhsa_exception_fp_denorm_src 0
		.amdhsa_exception_fp_ieee_div_zero 0
		.amdhsa_exception_fp_ieee_overflow 0
		.amdhsa_exception_fp_ieee_underflow 0
		.amdhsa_exception_fp_ieee_inexact 0
		.amdhsa_exception_int_div_zero 0
	.end_amdhsa_kernel
	.section	.text._ZN7rocprim17ROCPRIM_400000_NS6detail17trampoline_kernelINS0_14default_configENS1_38merge_sort_block_merge_config_selectorIiNS0_10empty_typeEEEZZNS1_27merge_sort_block_merge_implIS3_N6thrust23THRUST_200600_302600_NS6detail15normal_iteratorINS9_10device_ptrIiEEEEPS5_m9comp_mod3IiEEE10hipError_tT0_T1_T2_jT3_P12ihipStream_tbPNSt15iterator_traitsISJ_E10value_typeEPNSP_ISK_E10value_typeEPSL_NS1_7vsmem_tEENKUlT_SJ_SK_SL_E_clIPiSE_SF_SF_EESI_SY_SJ_SK_SL_EUlSY_E_NS1_11comp_targetILNS1_3genE4ELNS1_11target_archE910ELNS1_3gpuE8ELNS1_3repE0EEENS1_48merge_mergepath_partition_config_static_selectorELNS0_4arch9wavefront6targetE0EEEvSK_,"axG",@progbits,_ZN7rocprim17ROCPRIM_400000_NS6detail17trampoline_kernelINS0_14default_configENS1_38merge_sort_block_merge_config_selectorIiNS0_10empty_typeEEEZZNS1_27merge_sort_block_merge_implIS3_N6thrust23THRUST_200600_302600_NS6detail15normal_iteratorINS9_10device_ptrIiEEEEPS5_m9comp_mod3IiEEE10hipError_tT0_T1_T2_jT3_P12ihipStream_tbPNSt15iterator_traitsISJ_E10value_typeEPNSP_ISK_E10value_typeEPSL_NS1_7vsmem_tEENKUlT_SJ_SK_SL_E_clIPiSE_SF_SF_EESI_SY_SJ_SK_SL_EUlSY_E_NS1_11comp_targetILNS1_3genE4ELNS1_11target_archE910ELNS1_3gpuE8ELNS1_3repE0EEENS1_48merge_mergepath_partition_config_static_selectorELNS0_4arch9wavefront6targetE0EEEvSK_,comdat
.Lfunc_end991:
	.size	_ZN7rocprim17ROCPRIM_400000_NS6detail17trampoline_kernelINS0_14default_configENS1_38merge_sort_block_merge_config_selectorIiNS0_10empty_typeEEEZZNS1_27merge_sort_block_merge_implIS3_N6thrust23THRUST_200600_302600_NS6detail15normal_iteratorINS9_10device_ptrIiEEEEPS5_m9comp_mod3IiEEE10hipError_tT0_T1_T2_jT3_P12ihipStream_tbPNSt15iterator_traitsISJ_E10value_typeEPNSP_ISK_E10value_typeEPSL_NS1_7vsmem_tEENKUlT_SJ_SK_SL_E_clIPiSE_SF_SF_EESI_SY_SJ_SK_SL_EUlSY_E_NS1_11comp_targetILNS1_3genE4ELNS1_11target_archE910ELNS1_3gpuE8ELNS1_3repE0EEENS1_48merge_mergepath_partition_config_static_selectorELNS0_4arch9wavefront6targetE0EEEvSK_, .Lfunc_end991-_ZN7rocprim17ROCPRIM_400000_NS6detail17trampoline_kernelINS0_14default_configENS1_38merge_sort_block_merge_config_selectorIiNS0_10empty_typeEEEZZNS1_27merge_sort_block_merge_implIS3_N6thrust23THRUST_200600_302600_NS6detail15normal_iteratorINS9_10device_ptrIiEEEEPS5_m9comp_mod3IiEEE10hipError_tT0_T1_T2_jT3_P12ihipStream_tbPNSt15iterator_traitsISJ_E10value_typeEPNSP_ISK_E10value_typeEPSL_NS1_7vsmem_tEENKUlT_SJ_SK_SL_E_clIPiSE_SF_SF_EESI_SY_SJ_SK_SL_EUlSY_E_NS1_11comp_targetILNS1_3genE4ELNS1_11target_archE910ELNS1_3gpuE8ELNS1_3repE0EEENS1_48merge_mergepath_partition_config_static_selectorELNS0_4arch9wavefront6targetE0EEEvSK_
                                        ; -- End function
	.set _ZN7rocprim17ROCPRIM_400000_NS6detail17trampoline_kernelINS0_14default_configENS1_38merge_sort_block_merge_config_selectorIiNS0_10empty_typeEEEZZNS1_27merge_sort_block_merge_implIS3_N6thrust23THRUST_200600_302600_NS6detail15normal_iteratorINS9_10device_ptrIiEEEEPS5_m9comp_mod3IiEEE10hipError_tT0_T1_T2_jT3_P12ihipStream_tbPNSt15iterator_traitsISJ_E10value_typeEPNSP_ISK_E10value_typeEPSL_NS1_7vsmem_tEENKUlT_SJ_SK_SL_E_clIPiSE_SF_SF_EESI_SY_SJ_SK_SL_EUlSY_E_NS1_11comp_targetILNS1_3genE4ELNS1_11target_archE910ELNS1_3gpuE8ELNS1_3repE0EEENS1_48merge_mergepath_partition_config_static_selectorELNS0_4arch9wavefront6targetE0EEEvSK_.num_vgpr, 0
	.set _ZN7rocprim17ROCPRIM_400000_NS6detail17trampoline_kernelINS0_14default_configENS1_38merge_sort_block_merge_config_selectorIiNS0_10empty_typeEEEZZNS1_27merge_sort_block_merge_implIS3_N6thrust23THRUST_200600_302600_NS6detail15normal_iteratorINS9_10device_ptrIiEEEEPS5_m9comp_mod3IiEEE10hipError_tT0_T1_T2_jT3_P12ihipStream_tbPNSt15iterator_traitsISJ_E10value_typeEPNSP_ISK_E10value_typeEPSL_NS1_7vsmem_tEENKUlT_SJ_SK_SL_E_clIPiSE_SF_SF_EESI_SY_SJ_SK_SL_EUlSY_E_NS1_11comp_targetILNS1_3genE4ELNS1_11target_archE910ELNS1_3gpuE8ELNS1_3repE0EEENS1_48merge_mergepath_partition_config_static_selectorELNS0_4arch9wavefront6targetE0EEEvSK_.num_agpr, 0
	.set _ZN7rocprim17ROCPRIM_400000_NS6detail17trampoline_kernelINS0_14default_configENS1_38merge_sort_block_merge_config_selectorIiNS0_10empty_typeEEEZZNS1_27merge_sort_block_merge_implIS3_N6thrust23THRUST_200600_302600_NS6detail15normal_iteratorINS9_10device_ptrIiEEEEPS5_m9comp_mod3IiEEE10hipError_tT0_T1_T2_jT3_P12ihipStream_tbPNSt15iterator_traitsISJ_E10value_typeEPNSP_ISK_E10value_typeEPSL_NS1_7vsmem_tEENKUlT_SJ_SK_SL_E_clIPiSE_SF_SF_EESI_SY_SJ_SK_SL_EUlSY_E_NS1_11comp_targetILNS1_3genE4ELNS1_11target_archE910ELNS1_3gpuE8ELNS1_3repE0EEENS1_48merge_mergepath_partition_config_static_selectorELNS0_4arch9wavefront6targetE0EEEvSK_.numbered_sgpr, 0
	.set _ZN7rocprim17ROCPRIM_400000_NS6detail17trampoline_kernelINS0_14default_configENS1_38merge_sort_block_merge_config_selectorIiNS0_10empty_typeEEEZZNS1_27merge_sort_block_merge_implIS3_N6thrust23THRUST_200600_302600_NS6detail15normal_iteratorINS9_10device_ptrIiEEEEPS5_m9comp_mod3IiEEE10hipError_tT0_T1_T2_jT3_P12ihipStream_tbPNSt15iterator_traitsISJ_E10value_typeEPNSP_ISK_E10value_typeEPSL_NS1_7vsmem_tEENKUlT_SJ_SK_SL_E_clIPiSE_SF_SF_EESI_SY_SJ_SK_SL_EUlSY_E_NS1_11comp_targetILNS1_3genE4ELNS1_11target_archE910ELNS1_3gpuE8ELNS1_3repE0EEENS1_48merge_mergepath_partition_config_static_selectorELNS0_4arch9wavefront6targetE0EEEvSK_.num_named_barrier, 0
	.set _ZN7rocprim17ROCPRIM_400000_NS6detail17trampoline_kernelINS0_14default_configENS1_38merge_sort_block_merge_config_selectorIiNS0_10empty_typeEEEZZNS1_27merge_sort_block_merge_implIS3_N6thrust23THRUST_200600_302600_NS6detail15normal_iteratorINS9_10device_ptrIiEEEEPS5_m9comp_mod3IiEEE10hipError_tT0_T1_T2_jT3_P12ihipStream_tbPNSt15iterator_traitsISJ_E10value_typeEPNSP_ISK_E10value_typeEPSL_NS1_7vsmem_tEENKUlT_SJ_SK_SL_E_clIPiSE_SF_SF_EESI_SY_SJ_SK_SL_EUlSY_E_NS1_11comp_targetILNS1_3genE4ELNS1_11target_archE910ELNS1_3gpuE8ELNS1_3repE0EEENS1_48merge_mergepath_partition_config_static_selectorELNS0_4arch9wavefront6targetE0EEEvSK_.private_seg_size, 0
	.set _ZN7rocprim17ROCPRIM_400000_NS6detail17trampoline_kernelINS0_14default_configENS1_38merge_sort_block_merge_config_selectorIiNS0_10empty_typeEEEZZNS1_27merge_sort_block_merge_implIS3_N6thrust23THRUST_200600_302600_NS6detail15normal_iteratorINS9_10device_ptrIiEEEEPS5_m9comp_mod3IiEEE10hipError_tT0_T1_T2_jT3_P12ihipStream_tbPNSt15iterator_traitsISJ_E10value_typeEPNSP_ISK_E10value_typeEPSL_NS1_7vsmem_tEENKUlT_SJ_SK_SL_E_clIPiSE_SF_SF_EESI_SY_SJ_SK_SL_EUlSY_E_NS1_11comp_targetILNS1_3genE4ELNS1_11target_archE910ELNS1_3gpuE8ELNS1_3repE0EEENS1_48merge_mergepath_partition_config_static_selectorELNS0_4arch9wavefront6targetE0EEEvSK_.uses_vcc, 0
	.set _ZN7rocprim17ROCPRIM_400000_NS6detail17trampoline_kernelINS0_14default_configENS1_38merge_sort_block_merge_config_selectorIiNS0_10empty_typeEEEZZNS1_27merge_sort_block_merge_implIS3_N6thrust23THRUST_200600_302600_NS6detail15normal_iteratorINS9_10device_ptrIiEEEEPS5_m9comp_mod3IiEEE10hipError_tT0_T1_T2_jT3_P12ihipStream_tbPNSt15iterator_traitsISJ_E10value_typeEPNSP_ISK_E10value_typeEPSL_NS1_7vsmem_tEENKUlT_SJ_SK_SL_E_clIPiSE_SF_SF_EESI_SY_SJ_SK_SL_EUlSY_E_NS1_11comp_targetILNS1_3genE4ELNS1_11target_archE910ELNS1_3gpuE8ELNS1_3repE0EEENS1_48merge_mergepath_partition_config_static_selectorELNS0_4arch9wavefront6targetE0EEEvSK_.uses_flat_scratch, 0
	.set _ZN7rocprim17ROCPRIM_400000_NS6detail17trampoline_kernelINS0_14default_configENS1_38merge_sort_block_merge_config_selectorIiNS0_10empty_typeEEEZZNS1_27merge_sort_block_merge_implIS3_N6thrust23THRUST_200600_302600_NS6detail15normal_iteratorINS9_10device_ptrIiEEEEPS5_m9comp_mod3IiEEE10hipError_tT0_T1_T2_jT3_P12ihipStream_tbPNSt15iterator_traitsISJ_E10value_typeEPNSP_ISK_E10value_typeEPSL_NS1_7vsmem_tEENKUlT_SJ_SK_SL_E_clIPiSE_SF_SF_EESI_SY_SJ_SK_SL_EUlSY_E_NS1_11comp_targetILNS1_3genE4ELNS1_11target_archE910ELNS1_3gpuE8ELNS1_3repE0EEENS1_48merge_mergepath_partition_config_static_selectorELNS0_4arch9wavefront6targetE0EEEvSK_.has_dyn_sized_stack, 0
	.set _ZN7rocprim17ROCPRIM_400000_NS6detail17trampoline_kernelINS0_14default_configENS1_38merge_sort_block_merge_config_selectorIiNS0_10empty_typeEEEZZNS1_27merge_sort_block_merge_implIS3_N6thrust23THRUST_200600_302600_NS6detail15normal_iteratorINS9_10device_ptrIiEEEEPS5_m9comp_mod3IiEEE10hipError_tT0_T1_T2_jT3_P12ihipStream_tbPNSt15iterator_traitsISJ_E10value_typeEPNSP_ISK_E10value_typeEPSL_NS1_7vsmem_tEENKUlT_SJ_SK_SL_E_clIPiSE_SF_SF_EESI_SY_SJ_SK_SL_EUlSY_E_NS1_11comp_targetILNS1_3genE4ELNS1_11target_archE910ELNS1_3gpuE8ELNS1_3repE0EEENS1_48merge_mergepath_partition_config_static_selectorELNS0_4arch9wavefront6targetE0EEEvSK_.has_recursion, 0
	.set _ZN7rocprim17ROCPRIM_400000_NS6detail17trampoline_kernelINS0_14default_configENS1_38merge_sort_block_merge_config_selectorIiNS0_10empty_typeEEEZZNS1_27merge_sort_block_merge_implIS3_N6thrust23THRUST_200600_302600_NS6detail15normal_iteratorINS9_10device_ptrIiEEEEPS5_m9comp_mod3IiEEE10hipError_tT0_T1_T2_jT3_P12ihipStream_tbPNSt15iterator_traitsISJ_E10value_typeEPNSP_ISK_E10value_typeEPSL_NS1_7vsmem_tEENKUlT_SJ_SK_SL_E_clIPiSE_SF_SF_EESI_SY_SJ_SK_SL_EUlSY_E_NS1_11comp_targetILNS1_3genE4ELNS1_11target_archE910ELNS1_3gpuE8ELNS1_3repE0EEENS1_48merge_mergepath_partition_config_static_selectorELNS0_4arch9wavefront6targetE0EEEvSK_.has_indirect_call, 0
	.section	.AMDGPU.csdata,"",@progbits
; Kernel info:
; codeLenInByte = 0
; TotalNumSgprs: 0
; NumVgprs: 0
; ScratchSize: 0
; MemoryBound: 0
; FloatMode: 240
; IeeeMode: 1
; LDSByteSize: 0 bytes/workgroup (compile time only)
; SGPRBlocks: 0
; VGPRBlocks: 0
; NumSGPRsForWavesPerEU: 1
; NumVGPRsForWavesPerEU: 1
; Occupancy: 16
; WaveLimiterHint : 0
; COMPUTE_PGM_RSRC2:SCRATCH_EN: 0
; COMPUTE_PGM_RSRC2:USER_SGPR: 6
; COMPUTE_PGM_RSRC2:TRAP_HANDLER: 0
; COMPUTE_PGM_RSRC2:TGID_X_EN: 1
; COMPUTE_PGM_RSRC2:TGID_Y_EN: 0
; COMPUTE_PGM_RSRC2:TGID_Z_EN: 0
; COMPUTE_PGM_RSRC2:TIDIG_COMP_CNT: 0
	.section	.text._ZN7rocprim17ROCPRIM_400000_NS6detail17trampoline_kernelINS0_14default_configENS1_38merge_sort_block_merge_config_selectorIiNS0_10empty_typeEEEZZNS1_27merge_sort_block_merge_implIS3_N6thrust23THRUST_200600_302600_NS6detail15normal_iteratorINS9_10device_ptrIiEEEEPS5_m9comp_mod3IiEEE10hipError_tT0_T1_T2_jT3_P12ihipStream_tbPNSt15iterator_traitsISJ_E10value_typeEPNSP_ISK_E10value_typeEPSL_NS1_7vsmem_tEENKUlT_SJ_SK_SL_E_clIPiSE_SF_SF_EESI_SY_SJ_SK_SL_EUlSY_E_NS1_11comp_targetILNS1_3genE3ELNS1_11target_archE908ELNS1_3gpuE7ELNS1_3repE0EEENS1_48merge_mergepath_partition_config_static_selectorELNS0_4arch9wavefront6targetE0EEEvSK_,"axG",@progbits,_ZN7rocprim17ROCPRIM_400000_NS6detail17trampoline_kernelINS0_14default_configENS1_38merge_sort_block_merge_config_selectorIiNS0_10empty_typeEEEZZNS1_27merge_sort_block_merge_implIS3_N6thrust23THRUST_200600_302600_NS6detail15normal_iteratorINS9_10device_ptrIiEEEEPS5_m9comp_mod3IiEEE10hipError_tT0_T1_T2_jT3_P12ihipStream_tbPNSt15iterator_traitsISJ_E10value_typeEPNSP_ISK_E10value_typeEPSL_NS1_7vsmem_tEENKUlT_SJ_SK_SL_E_clIPiSE_SF_SF_EESI_SY_SJ_SK_SL_EUlSY_E_NS1_11comp_targetILNS1_3genE3ELNS1_11target_archE908ELNS1_3gpuE7ELNS1_3repE0EEENS1_48merge_mergepath_partition_config_static_selectorELNS0_4arch9wavefront6targetE0EEEvSK_,comdat
	.protected	_ZN7rocprim17ROCPRIM_400000_NS6detail17trampoline_kernelINS0_14default_configENS1_38merge_sort_block_merge_config_selectorIiNS0_10empty_typeEEEZZNS1_27merge_sort_block_merge_implIS3_N6thrust23THRUST_200600_302600_NS6detail15normal_iteratorINS9_10device_ptrIiEEEEPS5_m9comp_mod3IiEEE10hipError_tT0_T1_T2_jT3_P12ihipStream_tbPNSt15iterator_traitsISJ_E10value_typeEPNSP_ISK_E10value_typeEPSL_NS1_7vsmem_tEENKUlT_SJ_SK_SL_E_clIPiSE_SF_SF_EESI_SY_SJ_SK_SL_EUlSY_E_NS1_11comp_targetILNS1_3genE3ELNS1_11target_archE908ELNS1_3gpuE7ELNS1_3repE0EEENS1_48merge_mergepath_partition_config_static_selectorELNS0_4arch9wavefront6targetE0EEEvSK_ ; -- Begin function _ZN7rocprim17ROCPRIM_400000_NS6detail17trampoline_kernelINS0_14default_configENS1_38merge_sort_block_merge_config_selectorIiNS0_10empty_typeEEEZZNS1_27merge_sort_block_merge_implIS3_N6thrust23THRUST_200600_302600_NS6detail15normal_iteratorINS9_10device_ptrIiEEEEPS5_m9comp_mod3IiEEE10hipError_tT0_T1_T2_jT3_P12ihipStream_tbPNSt15iterator_traitsISJ_E10value_typeEPNSP_ISK_E10value_typeEPSL_NS1_7vsmem_tEENKUlT_SJ_SK_SL_E_clIPiSE_SF_SF_EESI_SY_SJ_SK_SL_EUlSY_E_NS1_11comp_targetILNS1_3genE3ELNS1_11target_archE908ELNS1_3gpuE7ELNS1_3repE0EEENS1_48merge_mergepath_partition_config_static_selectorELNS0_4arch9wavefront6targetE0EEEvSK_
	.globl	_ZN7rocprim17ROCPRIM_400000_NS6detail17trampoline_kernelINS0_14default_configENS1_38merge_sort_block_merge_config_selectorIiNS0_10empty_typeEEEZZNS1_27merge_sort_block_merge_implIS3_N6thrust23THRUST_200600_302600_NS6detail15normal_iteratorINS9_10device_ptrIiEEEEPS5_m9comp_mod3IiEEE10hipError_tT0_T1_T2_jT3_P12ihipStream_tbPNSt15iterator_traitsISJ_E10value_typeEPNSP_ISK_E10value_typeEPSL_NS1_7vsmem_tEENKUlT_SJ_SK_SL_E_clIPiSE_SF_SF_EESI_SY_SJ_SK_SL_EUlSY_E_NS1_11comp_targetILNS1_3genE3ELNS1_11target_archE908ELNS1_3gpuE7ELNS1_3repE0EEENS1_48merge_mergepath_partition_config_static_selectorELNS0_4arch9wavefront6targetE0EEEvSK_
	.p2align	8
	.type	_ZN7rocprim17ROCPRIM_400000_NS6detail17trampoline_kernelINS0_14default_configENS1_38merge_sort_block_merge_config_selectorIiNS0_10empty_typeEEEZZNS1_27merge_sort_block_merge_implIS3_N6thrust23THRUST_200600_302600_NS6detail15normal_iteratorINS9_10device_ptrIiEEEEPS5_m9comp_mod3IiEEE10hipError_tT0_T1_T2_jT3_P12ihipStream_tbPNSt15iterator_traitsISJ_E10value_typeEPNSP_ISK_E10value_typeEPSL_NS1_7vsmem_tEENKUlT_SJ_SK_SL_E_clIPiSE_SF_SF_EESI_SY_SJ_SK_SL_EUlSY_E_NS1_11comp_targetILNS1_3genE3ELNS1_11target_archE908ELNS1_3gpuE7ELNS1_3repE0EEENS1_48merge_mergepath_partition_config_static_selectorELNS0_4arch9wavefront6targetE0EEEvSK_,@function
_ZN7rocprim17ROCPRIM_400000_NS6detail17trampoline_kernelINS0_14default_configENS1_38merge_sort_block_merge_config_selectorIiNS0_10empty_typeEEEZZNS1_27merge_sort_block_merge_implIS3_N6thrust23THRUST_200600_302600_NS6detail15normal_iteratorINS9_10device_ptrIiEEEEPS5_m9comp_mod3IiEEE10hipError_tT0_T1_T2_jT3_P12ihipStream_tbPNSt15iterator_traitsISJ_E10value_typeEPNSP_ISK_E10value_typeEPSL_NS1_7vsmem_tEENKUlT_SJ_SK_SL_E_clIPiSE_SF_SF_EESI_SY_SJ_SK_SL_EUlSY_E_NS1_11comp_targetILNS1_3genE3ELNS1_11target_archE908ELNS1_3gpuE7ELNS1_3repE0EEENS1_48merge_mergepath_partition_config_static_selectorELNS0_4arch9wavefront6targetE0EEEvSK_: ; @_ZN7rocprim17ROCPRIM_400000_NS6detail17trampoline_kernelINS0_14default_configENS1_38merge_sort_block_merge_config_selectorIiNS0_10empty_typeEEEZZNS1_27merge_sort_block_merge_implIS3_N6thrust23THRUST_200600_302600_NS6detail15normal_iteratorINS9_10device_ptrIiEEEEPS5_m9comp_mod3IiEEE10hipError_tT0_T1_T2_jT3_P12ihipStream_tbPNSt15iterator_traitsISJ_E10value_typeEPNSP_ISK_E10value_typeEPSL_NS1_7vsmem_tEENKUlT_SJ_SK_SL_E_clIPiSE_SF_SF_EESI_SY_SJ_SK_SL_EUlSY_E_NS1_11comp_targetILNS1_3genE3ELNS1_11target_archE908ELNS1_3gpuE7ELNS1_3repE0EEENS1_48merge_mergepath_partition_config_static_selectorELNS0_4arch9wavefront6targetE0EEEvSK_
; %bb.0:
	.section	.rodata,"a",@progbits
	.p2align	6, 0x0
	.amdhsa_kernel _ZN7rocprim17ROCPRIM_400000_NS6detail17trampoline_kernelINS0_14default_configENS1_38merge_sort_block_merge_config_selectorIiNS0_10empty_typeEEEZZNS1_27merge_sort_block_merge_implIS3_N6thrust23THRUST_200600_302600_NS6detail15normal_iteratorINS9_10device_ptrIiEEEEPS5_m9comp_mod3IiEEE10hipError_tT0_T1_T2_jT3_P12ihipStream_tbPNSt15iterator_traitsISJ_E10value_typeEPNSP_ISK_E10value_typeEPSL_NS1_7vsmem_tEENKUlT_SJ_SK_SL_E_clIPiSE_SF_SF_EESI_SY_SJ_SK_SL_EUlSY_E_NS1_11comp_targetILNS1_3genE3ELNS1_11target_archE908ELNS1_3gpuE7ELNS1_3repE0EEENS1_48merge_mergepath_partition_config_static_selectorELNS0_4arch9wavefront6targetE0EEEvSK_
		.amdhsa_group_segment_fixed_size 0
		.amdhsa_private_segment_fixed_size 0
		.amdhsa_kernarg_size 48
		.amdhsa_user_sgpr_count 6
		.amdhsa_user_sgpr_private_segment_buffer 1
		.amdhsa_user_sgpr_dispatch_ptr 0
		.amdhsa_user_sgpr_queue_ptr 0
		.amdhsa_user_sgpr_kernarg_segment_ptr 1
		.amdhsa_user_sgpr_dispatch_id 0
		.amdhsa_user_sgpr_flat_scratch_init 0
		.amdhsa_user_sgpr_private_segment_size 0
		.amdhsa_wavefront_size32 1
		.amdhsa_uses_dynamic_stack 0
		.amdhsa_system_sgpr_private_segment_wavefront_offset 0
		.amdhsa_system_sgpr_workgroup_id_x 1
		.amdhsa_system_sgpr_workgroup_id_y 0
		.amdhsa_system_sgpr_workgroup_id_z 0
		.amdhsa_system_sgpr_workgroup_info 0
		.amdhsa_system_vgpr_workitem_id 0
		.amdhsa_next_free_vgpr 1
		.amdhsa_next_free_sgpr 1
		.amdhsa_reserve_vcc 0
		.amdhsa_reserve_flat_scratch 0
		.amdhsa_float_round_mode_32 0
		.amdhsa_float_round_mode_16_64 0
		.amdhsa_float_denorm_mode_32 3
		.amdhsa_float_denorm_mode_16_64 3
		.amdhsa_dx10_clamp 1
		.amdhsa_ieee_mode 1
		.amdhsa_fp16_overflow 0
		.amdhsa_workgroup_processor_mode 1
		.amdhsa_memory_ordered 1
		.amdhsa_forward_progress 1
		.amdhsa_shared_vgpr_count 0
		.amdhsa_exception_fp_ieee_invalid_op 0
		.amdhsa_exception_fp_denorm_src 0
		.amdhsa_exception_fp_ieee_div_zero 0
		.amdhsa_exception_fp_ieee_overflow 0
		.amdhsa_exception_fp_ieee_underflow 0
		.amdhsa_exception_fp_ieee_inexact 0
		.amdhsa_exception_int_div_zero 0
	.end_amdhsa_kernel
	.section	.text._ZN7rocprim17ROCPRIM_400000_NS6detail17trampoline_kernelINS0_14default_configENS1_38merge_sort_block_merge_config_selectorIiNS0_10empty_typeEEEZZNS1_27merge_sort_block_merge_implIS3_N6thrust23THRUST_200600_302600_NS6detail15normal_iteratorINS9_10device_ptrIiEEEEPS5_m9comp_mod3IiEEE10hipError_tT0_T1_T2_jT3_P12ihipStream_tbPNSt15iterator_traitsISJ_E10value_typeEPNSP_ISK_E10value_typeEPSL_NS1_7vsmem_tEENKUlT_SJ_SK_SL_E_clIPiSE_SF_SF_EESI_SY_SJ_SK_SL_EUlSY_E_NS1_11comp_targetILNS1_3genE3ELNS1_11target_archE908ELNS1_3gpuE7ELNS1_3repE0EEENS1_48merge_mergepath_partition_config_static_selectorELNS0_4arch9wavefront6targetE0EEEvSK_,"axG",@progbits,_ZN7rocprim17ROCPRIM_400000_NS6detail17trampoline_kernelINS0_14default_configENS1_38merge_sort_block_merge_config_selectorIiNS0_10empty_typeEEEZZNS1_27merge_sort_block_merge_implIS3_N6thrust23THRUST_200600_302600_NS6detail15normal_iteratorINS9_10device_ptrIiEEEEPS5_m9comp_mod3IiEEE10hipError_tT0_T1_T2_jT3_P12ihipStream_tbPNSt15iterator_traitsISJ_E10value_typeEPNSP_ISK_E10value_typeEPSL_NS1_7vsmem_tEENKUlT_SJ_SK_SL_E_clIPiSE_SF_SF_EESI_SY_SJ_SK_SL_EUlSY_E_NS1_11comp_targetILNS1_3genE3ELNS1_11target_archE908ELNS1_3gpuE7ELNS1_3repE0EEENS1_48merge_mergepath_partition_config_static_selectorELNS0_4arch9wavefront6targetE0EEEvSK_,comdat
.Lfunc_end992:
	.size	_ZN7rocprim17ROCPRIM_400000_NS6detail17trampoline_kernelINS0_14default_configENS1_38merge_sort_block_merge_config_selectorIiNS0_10empty_typeEEEZZNS1_27merge_sort_block_merge_implIS3_N6thrust23THRUST_200600_302600_NS6detail15normal_iteratorINS9_10device_ptrIiEEEEPS5_m9comp_mod3IiEEE10hipError_tT0_T1_T2_jT3_P12ihipStream_tbPNSt15iterator_traitsISJ_E10value_typeEPNSP_ISK_E10value_typeEPSL_NS1_7vsmem_tEENKUlT_SJ_SK_SL_E_clIPiSE_SF_SF_EESI_SY_SJ_SK_SL_EUlSY_E_NS1_11comp_targetILNS1_3genE3ELNS1_11target_archE908ELNS1_3gpuE7ELNS1_3repE0EEENS1_48merge_mergepath_partition_config_static_selectorELNS0_4arch9wavefront6targetE0EEEvSK_, .Lfunc_end992-_ZN7rocprim17ROCPRIM_400000_NS6detail17trampoline_kernelINS0_14default_configENS1_38merge_sort_block_merge_config_selectorIiNS0_10empty_typeEEEZZNS1_27merge_sort_block_merge_implIS3_N6thrust23THRUST_200600_302600_NS6detail15normal_iteratorINS9_10device_ptrIiEEEEPS5_m9comp_mod3IiEEE10hipError_tT0_T1_T2_jT3_P12ihipStream_tbPNSt15iterator_traitsISJ_E10value_typeEPNSP_ISK_E10value_typeEPSL_NS1_7vsmem_tEENKUlT_SJ_SK_SL_E_clIPiSE_SF_SF_EESI_SY_SJ_SK_SL_EUlSY_E_NS1_11comp_targetILNS1_3genE3ELNS1_11target_archE908ELNS1_3gpuE7ELNS1_3repE0EEENS1_48merge_mergepath_partition_config_static_selectorELNS0_4arch9wavefront6targetE0EEEvSK_
                                        ; -- End function
	.set _ZN7rocprim17ROCPRIM_400000_NS6detail17trampoline_kernelINS0_14default_configENS1_38merge_sort_block_merge_config_selectorIiNS0_10empty_typeEEEZZNS1_27merge_sort_block_merge_implIS3_N6thrust23THRUST_200600_302600_NS6detail15normal_iteratorINS9_10device_ptrIiEEEEPS5_m9comp_mod3IiEEE10hipError_tT0_T1_T2_jT3_P12ihipStream_tbPNSt15iterator_traitsISJ_E10value_typeEPNSP_ISK_E10value_typeEPSL_NS1_7vsmem_tEENKUlT_SJ_SK_SL_E_clIPiSE_SF_SF_EESI_SY_SJ_SK_SL_EUlSY_E_NS1_11comp_targetILNS1_3genE3ELNS1_11target_archE908ELNS1_3gpuE7ELNS1_3repE0EEENS1_48merge_mergepath_partition_config_static_selectorELNS0_4arch9wavefront6targetE0EEEvSK_.num_vgpr, 0
	.set _ZN7rocprim17ROCPRIM_400000_NS6detail17trampoline_kernelINS0_14default_configENS1_38merge_sort_block_merge_config_selectorIiNS0_10empty_typeEEEZZNS1_27merge_sort_block_merge_implIS3_N6thrust23THRUST_200600_302600_NS6detail15normal_iteratorINS9_10device_ptrIiEEEEPS5_m9comp_mod3IiEEE10hipError_tT0_T1_T2_jT3_P12ihipStream_tbPNSt15iterator_traitsISJ_E10value_typeEPNSP_ISK_E10value_typeEPSL_NS1_7vsmem_tEENKUlT_SJ_SK_SL_E_clIPiSE_SF_SF_EESI_SY_SJ_SK_SL_EUlSY_E_NS1_11comp_targetILNS1_3genE3ELNS1_11target_archE908ELNS1_3gpuE7ELNS1_3repE0EEENS1_48merge_mergepath_partition_config_static_selectorELNS0_4arch9wavefront6targetE0EEEvSK_.num_agpr, 0
	.set _ZN7rocprim17ROCPRIM_400000_NS6detail17trampoline_kernelINS0_14default_configENS1_38merge_sort_block_merge_config_selectorIiNS0_10empty_typeEEEZZNS1_27merge_sort_block_merge_implIS3_N6thrust23THRUST_200600_302600_NS6detail15normal_iteratorINS9_10device_ptrIiEEEEPS5_m9comp_mod3IiEEE10hipError_tT0_T1_T2_jT3_P12ihipStream_tbPNSt15iterator_traitsISJ_E10value_typeEPNSP_ISK_E10value_typeEPSL_NS1_7vsmem_tEENKUlT_SJ_SK_SL_E_clIPiSE_SF_SF_EESI_SY_SJ_SK_SL_EUlSY_E_NS1_11comp_targetILNS1_3genE3ELNS1_11target_archE908ELNS1_3gpuE7ELNS1_3repE0EEENS1_48merge_mergepath_partition_config_static_selectorELNS0_4arch9wavefront6targetE0EEEvSK_.numbered_sgpr, 0
	.set _ZN7rocprim17ROCPRIM_400000_NS6detail17trampoline_kernelINS0_14default_configENS1_38merge_sort_block_merge_config_selectorIiNS0_10empty_typeEEEZZNS1_27merge_sort_block_merge_implIS3_N6thrust23THRUST_200600_302600_NS6detail15normal_iteratorINS9_10device_ptrIiEEEEPS5_m9comp_mod3IiEEE10hipError_tT0_T1_T2_jT3_P12ihipStream_tbPNSt15iterator_traitsISJ_E10value_typeEPNSP_ISK_E10value_typeEPSL_NS1_7vsmem_tEENKUlT_SJ_SK_SL_E_clIPiSE_SF_SF_EESI_SY_SJ_SK_SL_EUlSY_E_NS1_11comp_targetILNS1_3genE3ELNS1_11target_archE908ELNS1_3gpuE7ELNS1_3repE0EEENS1_48merge_mergepath_partition_config_static_selectorELNS0_4arch9wavefront6targetE0EEEvSK_.num_named_barrier, 0
	.set _ZN7rocprim17ROCPRIM_400000_NS6detail17trampoline_kernelINS0_14default_configENS1_38merge_sort_block_merge_config_selectorIiNS0_10empty_typeEEEZZNS1_27merge_sort_block_merge_implIS3_N6thrust23THRUST_200600_302600_NS6detail15normal_iteratorINS9_10device_ptrIiEEEEPS5_m9comp_mod3IiEEE10hipError_tT0_T1_T2_jT3_P12ihipStream_tbPNSt15iterator_traitsISJ_E10value_typeEPNSP_ISK_E10value_typeEPSL_NS1_7vsmem_tEENKUlT_SJ_SK_SL_E_clIPiSE_SF_SF_EESI_SY_SJ_SK_SL_EUlSY_E_NS1_11comp_targetILNS1_3genE3ELNS1_11target_archE908ELNS1_3gpuE7ELNS1_3repE0EEENS1_48merge_mergepath_partition_config_static_selectorELNS0_4arch9wavefront6targetE0EEEvSK_.private_seg_size, 0
	.set _ZN7rocprim17ROCPRIM_400000_NS6detail17trampoline_kernelINS0_14default_configENS1_38merge_sort_block_merge_config_selectorIiNS0_10empty_typeEEEZZNS1_27merge_sort_block_merge_implIS3_N6thrust23THRUST_200600_302600_NS6detail15normal_iteratorINS9_10device_ptrIiEEEEPS5_m9comp_mod3IiEEE10hipError_tT0_T1_T2_jT3_P12ihipStream_tbPNSt15iterator_traitsISJ_E10value_typeEPNSP_ISK_E10value_typeEPSL_NS1_7vsmem_tEENKUlT_SJ_SK_SL_E_clIPiSE_SF_SF_EESI_SY_SJ_SK_SL_EUlSY_E_NS1_11comp_targetILNS1_3genE3ELNS1_11target_archE908ELNS1_3gpuE7ELNS1_3repE0EEENS1_48merge_mergepath_partition_config_static_selectorELNS0_4arch9wavefront6targetE0EEEvSK_.uses_vcc, 0
	.set _ZN7rocprim17ROCPRIM_400000_NS6detail17trampoline_kernelINS0_14default_configENS1_38merge_sort_block_merge_config_selectorIiNS0_10empty_typeEEEZZNS1_27merge_sort_block_merge_implIS3_N6thrust23THRUST_200600_302600_NS6detail15normal_iteratorINS9_10device_ptrIiEEEEPS5_m9comp_mod3IiEEE10hipError_tT0_T1_T2_jT3_P12ihipStream_tbPNSt15iterator_traitsISJ_E10value_typeEPNSP_ISK_E10value_typeEPSL_NS1_7vsmem_tEENKUlT_SJ_SK_SL_E_clIPiSE_SF_SF_EESI_SY_SJ_SK_SL_EUlSY_E_NS1_11comp_targetILNS1_3genE3ELNS1_11target_archE908ELNS1_3gpuE7ELNS1_3repE0EEENS1_48merge_mergepath_partition_config_static_selectorELNS0_4arch9wavefront6targetE0EEEvSK_.uses_flat_scratch, 0
	.set _ZN7rocprim17ROCPRIM_400000_NS6detail17trampoline_kernelINS0_14default_configENS1_38merge_sort_block_merge_config_selectorIiNS0_10empty_typeEEEZZNS1_27merge_sort_block_merge_implIS3_N6thrust23THRUST_200600_302600_NS6detail15normal_iteratorINS9_10device_ptrIiEEEEPS5_m9comp_mod3IiEEE10hipError_tT0_T1_T2_jT3_P12ihipStream_tbPNSt15iterator_traitsISJ_E10value_typeEPNSP_ISK_E10value_typeEPSL_NS1_7vsmem_tEENKUlT_SJ_SK_SL_E_clIPiSE_SF_SF_EESI_SY_SJ_SK_SL_EUlSY_E_NS1_11comp_targetILNS1_3genE3ELNS1_11target_archE908ELNS1_3gpuE7ELNS1_3repE0EEENS1_48merge_mergepath_partition_config_static_selectorELNS0_4arch9wavefront6targetE0EEEvSK_.has_dyn_sized_stack, 0
	.set _ZN7rocprim17ROCPRIM_400000_NS6detail17trampoline_kernelINS0_14default_configENS1_38merge_sort_block_merge_config_selectorIiNS0_10empty_typeEEEZZNS1_27merge_sort_block_merge_implIS3_N6thrust23THRUST_200600_302600_NS6detail15normal_iteratorINS9_10device_ptrIiEEEEPS5_m9comp_mod3IiEEE10hipError_tT0_T1_T2_jT3_P12ihipStream_tbPNSt15iterator_traitsISJ_E10value_typeEPNSP_ISK_E10value_typeEPSL_NS1_7vsmem_tEENKUlT_SJ_SK_SL_E_clIPiSE_SF_SF_EESI_SY_SJ_SK_SL_EUlSY_E_NS1_11comp_targetILNS1_3genE3ELNS1_11target_archE908ELNS1_3gpuE7ELNS1_3repE0EEENS1_48merge_mergepath_partition_config_static_selectorELNS0_4arch9wavefront6targetE0EEEvSK_.has_recursion, 0
	.set _ZN7rocprim17ROCPRIM_400000_NS6detail17trampoline_kernelINS0_14default_configENS1_38merge_sort_block_merge_config_selectorIiNS0_10empty_typeEEEZZNS1_27merge_sort_block_merge_implIS3_N6thrust23THRUST_200600_302600_NS6detail15normal_iteratorINS9_10device_ptrIiEEEEPS5_m9comp_mod3IiEEE10hipError_tT0_T1_T2_jT3_P12ihipStream_tbPNSt15iterator_traitsISJ_E10value_typeEPNSP_ISK_E10value_typeEPSL_NS1_7vsmem_tEENKUlT_SJ_SK_SL_E_clIPiSE_SF_SF_EESI_SY_SJ_SK_SL_EUlSY_E_NS1_11comp_targetILNS1_3genE3ELNS1_11target_archE908ELNS1_3gpuE7ELNS1_3repE0EEENS1_48merge_mergepath_partition_config_static_selectorELNS0_4arch9wavefront6targetE0EEEvSK_.has_indirect_call, 0
	.section	.AMDGPU.csdata,"",@progbits
; Kernel info:
; codeLenInByte = 0
; TotalNumSgprs: 0
; NumVgprs: 0
; ScratchSize: 0
; MemoryBound: 0
; FloatMode: 240
; IeeeMode: 1
; LDSByteSize: 0 bytes/workgroup (compile time only)
; SGPRBlocks: 0
; VGPRBlocks: 0
; NumSGPRsForWavesPerEU: 1
; NumVGPRsForWavesPerEU: 1
; Occupancy: 16
; WaveLimiterHint : 0
; COMPUTE_PGM_RSRC2:SCRATCH_EN: 0
; COMPUTE_PGM_RSRC2:USER_SGPR: 6
; COMPUTE_PGM_RSRC2:TRAP_HANDLER: 0
; COMPUTE_PGM_RSRC2:TGID_X_EN: 1
; COMPUTE_PGM_RSRC2:TGID_Y_EN: 0
; COMPUTE_PGM_RSRC2:TGID_Z_EN: 0
; COMPUTE_PGM_RSRC2:TIDIG_COMP_CNT: 0
	.section	.text._ZN7rocprim17ROCPRIM_400000_NS6detail17trampoline_kernelINS0_14default_configENS1_38merge_sort_block_merge_config_selectorIiNS0_10empty_typeEEEZZNS1_27merge_sort_block_merge_implIS3_N6thrust23THRUST_200600_302600_NS6detail15normal_iteratorINS9_10device_ptrIiEEEEPS5_m9comp_mod3IiEEE10hipError_tT0_T1_T2_jT3_P12ihipStream_tbPNSt15iterator_traitsISJ_E10value_typeEPNSP_ISK_E10value_typeEPSL_NS1_7vsmem_tEENKUlT_SJ_SK_SL_E_clIPiSE_SF_SF_EESI_SY_SJ_SK_SL_EUlSY_E_NS1_11comp_targetILNS1_3genE2ELNS1_11target_archE906ELNS1_3gpuE6ELNS1_3repE0EEENS1_48merge_mergepath_partition_config_static_selectorELNS0_4arch9wavefront6targetE0EEEvSK_,"axG",@progbits,_ZN7rocprim17ROCPRIM_400000_NS6detail17trampoline_kernelINS0_14default_configENS1_38merge_sort_block_merge_config_selectorIiNS0_10empty_typeEEEZZNS1_27merge_sort_block_merge_implIS3_N6thrust23THRUST_200600_302600_NS6detail15normal_iteratorINS9_10device_ptrIiEEEEPS5_m9comp_mod3IiEEE10hipError_tT0_T1_T2_jT3_P12ihipStream_tbPNSt15iterator_traitsISJ_E10value_typeEPNSP_ISK_E10value_typeEPSL_NS1_7vsmem_tEENKUlT_SJ_SK_SL_E_clIPiSE_SF_SF_EESI_SY_SJ_SK_SL_EUlSY_E_NS1_11comp_targetILNS1_3genE2ELNS1_11target_archE906ELNS1_3gpuE6ELNS1_3repE0EEENS1_48merge_mergepath_partition_config_static_selectorELNS0_4arch9wavefront6targetE0EEEvSK_,comdat
	.protected	_ZN7rocprim17ROCPRIM_400000_NS6detail17trampoline_kernelINS0_14default_configENS1_38merge_sort_block_merge_config_selectorIiNS0_10empty_typeEEEZZNS1_27merge_sort_block_merge_implIS3_N6thrust23THRUST_200600_302600_NS6detail15normal_iteratorINS9_10device_ptrIiEEEEPS5_m9comp_mod3IiEEE10hipError_tT0_T1_T2_jT3_P12ihipStream_tbPNSt15iterator_traitsISJ_E10value_typeEPNSP_ISK_E10value_typeEPSL_NS1_7vsmem_tEENKUlT_SJ_SK_SL_E_clIPiSE_SF_SF_EESI_SY_SJ_SK_SL_EUlSY_E_NS1_11comp_targetILNS1_3genE2ELNS1_11target_archE906ELNS1_3gpuE6ELNS1_3repE0EEENS1_48merge_mergepath_partition_config_static_selectorELNS0_4arch9wavefront6targetE0EEEvSK_ ; -- Begin function _ZN7rocprim17ROCPRIM_400000_NS6detail17trampoline_kernelINS0_14default_configENS1_38merge_sort_block_merge_config_selectorIiNS0_10empty_typeEEEZZNS1_27merge_sort_block_merge_implIS3_N6thrust23THRUST_200600_302600_NS6detail15normal_iteratorINS9_10device_ptrIiEEEEPS5_m9comp_mod3IiEEE10hipError_tT0_T1_T2_jT3_P12ihipStream_tbPNSt15iterator_traitsISJ_E10value_typeEPNSP_ISK_E10value_typeEPSL_NS1_7vsmem_tEENKUlT_SJ_SK_SL_E_clIPiSE_SF_SF_EESI_SY_SJ_SK_SL_EUlSY_E_NS1_11comp_targetILNS1_3genE2ELNS1_11target_archE906ELNS1_3gpuE6ELNS1_3repE0EEENS1_48merge_mergepath_partition_config_static_selectorELNS0_4arch9wavefront6targetE0EEEvSK_
	.globl	_ZN7rocprim17ROCPRIM_400000_NS6detail17trampoline_kernelINS0_14default_configENS1_38merge_sort_block_merge_config_selectorIiNS0_10empty_typeEEEZZNS1_27merge_sort_block_merge_implIS3_N6thrust23THRUST_200600_302600_NS6detail15normal_iteratorINS9_10device_ptrIiEEEEPS5_m9comp_mod3IiEEE10hipError_tT0_T1_T2_jT3_P12ihipStream_tbPNSt15iterator_traitsISJ_E10value_typeEPNSP_ISK_E10value_typeEPSL_NS1_7vsmem_tEENKUlT_SJ_SK_SL_E_clIPiSE_SF_SF_EESI_SY_SJ_SK_SL_EUlSY_E_NS1_11comp_targetILNS1_3genE2ELNS1_11target_archE906ELNS1_3gpuE6ELNS1_3repE0EEENS1_48merge_mergepath_partition_config_static_selectorELNS0_4arch9wavefront6targetE0EEEvSK_
	.p2align	8
	.type	_ZN7rocprim17ROCPRIM_400000_NS6detail17trampoline_kernelINS0_14default_configENS1_38merge_sort_block_merge_config_selectorIiNS0_10empty_typeEEEZZNS1_27merge_sort_block_merge_implIS3_N6thrust23THRUST_200600_302600_NS6detail15normal_iteratorINS9_10device_ptrIiEEEEPS5_m9comp_mod3IiEEE10hipError_tT0_T1_T2_jT3_P12ihipStream_tbPNSt15iterator_traitsISJ_E10value_typeEPNSP_ISK_E10value_typeEPSL_NS1_7vsmem_tEENKUlT_SJ_SK_SL_E_clIPiSE_SF_SF_EESI_SY_SJ_SK_SL_EUlSY_E_NS1_11comp_targetILNS1_3genE2ELNS1_11target_archE906ELNS1_3gpuE6ELNS1_3repE0EEENS1_48merge_mergepath_partition_config_static_selectorELNS0_4arch9wavefront6targetE0EEEvSK_,@function
_ZN7rocprim17ROCPRIM_400000_NS6detail17trampoline_kernelINS0_14default_configENS1_38merge_sort_block_merge_config_selectorIiNS0_10empty_typeEEEZZNS1_27merge_sort_block_merge_implIS3_N6thrust23THRUST_200600_302600_NS6detail15normal_iteratorINS9_10device_ptrIiEEEEPS5_m9comp_mod3IiEEE10hipError_tT0_T1_T2_jT3_P12ihipStream_tbPNSt15iterator_traitsISJ_E10value_typeEPNSP_ISK_E10value_typeEPSL_NS1_7vsmem_tEENKUlT_SJ_SK_SL_E_clIPiSE_SF_SF_EESI_SY_SJ_SK_SL_EUlSY_E_NS1_11comp_targetILNS1_3genE2ELNS1_11target_archE906ELNS1_3gpuE6ELNS1_3repE0EEENS1_48merge_mergepath_partition_config_static_selectorELNS0_4arch9wavefront6targetE0EEEvSK_: ; @_ZN7rocprim17ROCPRIM_400000_NS6detail17trampoline_kernelINS0_14default_configENS1_38merge_sort_block_merge_config_selectorIiNS0_10empty_typeEEEZZNS1_27merge_sort_block_merge_implIS3_N6thrust23THRUST_200600_302600_NS6detail15normal_iteratorINS9_10device_ptrIiEEEEPS5_m9comp_mod3IiEEE10hipError_tT0_T1_T2_jT3_P12ihipStream_tbPNSt15iterator_traitsISJ_E10value_typeEPNSP_ISK_E10value_typeEPSL_NS1_7vsmem_tEENKUlT_SJ_SK_SL_E_clIPiSE_SF_SF_EESI_SY_SJ_SK_SL_EUlSY_E_NS1_11comp_targetILNS1_3genE2ELNS1_11target_archE906ELNS1_3gpuE6ELNS1_3repE0EEENS1_48merge_mergepath_partition_config_static_selectorELNS0_4arch9wavefront6targetE0EEEvSK_
; %bb.0:
	.section	.rodata,"a",@progbits
	.p2align	6, 0x0
	.amdhsa_kernel _ZN7rocprim17ROCPRIM_400000_NS6detail17trampoline_kernelINS0_14default_configENS1_38merge_sort_block_merge_config_selectorIiNS0_10empty_typeEEEZZNS1_27merge_sort_block_merge_implIS3_N6thrust23THRUST_200600_302600_NS6detail15normal_iteratorINS9_10device_ptrIiEEEEPS5_m9comp_mod3IiEEE10hipError_tT0_T1_T2_jT3_P12ihipStream_tbPNSt15iterator_traitsISJ_E10value_typeEPNSP_ISK_E10value_typeEPSL_NS1_7vsmem_tEENKUlT_SJ_SK_SL_E_clIPiSE_SF_SF_EESI_SY_SJ_SK_SL_EUlSY_E_NS1_11comp_targetILNS1_3genE2ELNS1_11target_archE906ELNS1_3gpuE6ELNS1_3repE0EEENS1_48merge_mergepath_partition_config_static_selectorELNS0_4arch9wavefront6targetE0EEEvSK_
		.amdhsa_group_segment_fixed_size 0
		.amdhsa_private_segment_fixed_size 0
		.amdhsa_kernarg_size 48
		.amdhsa_user_sgpr_count 6
		.amdhsa_user_sgpr_private_segment_buffer 1
		.amdhsa_user_sgpr_dispatch_ptr 0
		.amdhsa_user_sgpr_queue_ptr 0
		.amdhsa_user_sgpr_kernarg_segment_ptr 1
		.amdhsa_user_sgpr_dispatch_id 0
		.amdhsa_user_sgpr_flat_scratch_init 0
		.amdhsa_user_sgpr_private_segment_size 0
		.amdhsa_wavefront_size32 1
		.amdhsa_uses_dynamic_stack 0
		.amdhsa_system_sgpr_private_segment_wavefront_offset 0
		.amdhsa_system_sgpr_workgroup_id_x 1
		.amdhsa_system_sgpr_workgroup_id_y 0
		.amdhsa_system_sgpr_workgroup_id_z 0
		.amdhsa_system_sgpr_workgroup_info 0
		.amdhsa_system_vgpr_workitem_id 0
		.amdhsa_next_free_vgpr 1
		.amdhsa_next_free_sgpr 1
		.amdhsa_reserve_vcc 0
		.amdhsa_reserve_flat_scratch 0
		.amdhsa_float_round_mode_32 0
		.amdhsa_float_round_mode_16_64 0
		.amdhsa_float_denorm_mode_32 3
		.amdhsa_float_denorm_mode_16_64 3
		.amdhsa_dx10_clamp 1
		.amdhsa_ieee_mode 1
		.amdhsa_fp16_overflow 0
		.amdhsa_workgroup_processor_mode 1
		.amdhsa_memory_ordered 1
		.amdhsa_forward_progress 1
		.amdhsa_shared_vgpr_count 0
		.amdhsa_exception_fp_ieee_invalid_op 0
		.amdhsa_exception_fp_denorm_src 0
		.amdhsa_exception_fp_ieee_div_zero 0
		.amdhsa_exception_fp_ieee_overflow 0
		.amdhsa_exception_fp_ieee_underflow 0
		.amdhsa_exception_fp_ieee_inexact 0
		.amdhsa_exception_int_div_zero 0
	.end_amdhsa_kernel
	.section	.text._ZN7rocprim17ROCPRIM_400000_NS6detail17trampoline_kernelINS0_14default_configENS1_38merge_sort_block_merge_config_selectorIiNS0_10empty_typeEEEZZNS1_27merge_sort_block_merge_implIS3_N6thrust23THRUST_200600_302600_NS6detail15normal_iteratorINS9_10device_ptrIiEEEEPS5_m9comp_mod3IiEEE10hipError_tT0_T1_T2_jT3_P12ihipStream_tbPNSt15iterator_traitsISJ_E10value_typeEPNSP_ISK_E10value_typeEPSL_NS1_7vsmem_tEENKUlT_SJ_SK_SL_E_clIPiSE_SF_SF_EESI_SY_SJ_SK_SL_EUlSY_E_NS1_11comp_targetILNS1_3genE2ELNS1_11target_archE906ELNS1_3gpuE6ELNS1_3repE0EEENS1_48merge_mergepath_partition_config_static_selectorELNS0_4arch9wavefront6targetE0EEEvSK_,"axG",@progbits,_ZN7rocprim17ROCPRIM_400000_NS6detail17trampoline_kernelINS0_14default_configENS1_38merge_sort_block_merge_config_selectorIiNS0_10empty_typeEEEZZNS1_27merge_sort_block_merge_implIS3_N6thrust23THRUST_200600_302600_NS6detail15normal_iteratorINS9_10device_ptrIiEEEEPS5_m9comp_mod3IiEEE10hipError_tT0_T1_T2_jT3_P12ihipStream_tbPNSt15iterator_traitsISJ_E10value_typeEPNSP_ISK_E10value_typeEPSL_NS1_7vsmem_tEENKUlT_SJ_SK_SL_E_clIPiSE_SF_SF_EESI_SY_SJ_SK_SL_EUlSY_E_NS1_11comp_targetILNS1_3genE2ELNS1_11target_archE906ELNS1_3gpuE6ELNS1_3repE0EEENS1_48merge_mergepath_partition_config_static_selectorELNS0_4arch9wavefront6targetE0EEEvSK_,comdat
.Lfunc_end993:
	.size	_ZN7rocprim17ROCPRIM_400000_NS6detail17trampoline_kernelINS0_14default_configENS1_38merge_sort_block_merge_config_selectorIiNS0_10empty_typeEEEZZNS1_27merge_sort_block_merge_implIS3_N6thrust23THRUST_200600_302600_NS6detail15normal_iteratorINS9_10device_ptrIiEEEEPS5_m9comp_mod3IiEEE10hipError_tT0_T1_T2_jT3_P12ihipStream_tbPNSt15iterator_traitsISJ_E10value_typeEPNSP_ISK_E10value_typeEPSL_NS1_7vsmem_tEENKUlT_SJ_SK_SL_E_clIPiSE_SF_SF_EESI_SY_SJ_SK_SL_EUlSY_E_NS1_11comp_targetILNS1_3genE2ELNS1_11target_archE906ELNS1_3gpuE6ELNS1_3repE0EEENS1_48merge_mergepath_partition_config_static_selectorELNS0_4arch9wavefront6targetE0EEEvSK_, .Lfunc_end993-_ZN7rocprim17ROCPRIM_400000_NS6detail17trampoline_kernelINS0_14default_configENS1_38merge_sort_block_merge_config_selectorIiNS0_10empty_typeEEEZZNS1_27merge_sort_block_merge_implIS3_N6thrust23THRUST_200600_302600_NS6detail15normal_iteratorINS9_10device_ptrIiEEEEPS5_m9comp_mod3IiEEE10hipError_tT0_T1_T2_jT3_P12ihipStream_tbPNSt15iterator_traitsISJ_E10value_typeEPNSP_ISK_E10value_typeEPSL_NS1_7vsmem_tEENKUlT_SJ_SK_SL_E_clIPiSE_SF_SF_EESI_SY_SJ_SK_SL_EUlSY_E_NS1_11comp_targetILNS1_3genE2ELNS1_11target_archE906ELNS1_3gpuE6ELNS1_3repE0EEENS1_48merge_mergepath_partition_config_static_selectorELNS0_4arch9wavefront6targetE0EEEvSK_
                                        ; -- End function
	.set _ZN7rocprim17ROCPRIM_400000_NS6detail17trampoline_kernelINS0_14default_configENS1_38merge_sort_block_merge_config_selectorIiNS0_10empty_typeEEEZZNS1_27merge_sort_block_merge_implIS3_N6thrust23THRUST_200600_302600_NS6detail15normal_iteratorINS9_10device_ptrIiEEEEPS5_m9comp_mod3IiEEE10hipError_tT0_T1_T2_jT3_P12ihipStream_tbPNSt15iterator_traitsISJ_E10value_typeEPNSP_ISK_E10value_typeEPSL_NS1_7vsmem_tEENKUlT_SJ_SK_SL_E_clIPiSE_SF_SF_EESI_SY_SJ_SK_SL_EUlSY_E_NS1_11comp_targetILNS1_3genE2ELNS1_11target_archE906ELNS1_3gpuE6ELNS1_3repE0EEENS1_48merge_mergepath_partition_config_static_selectorELNS0_4arch9wavefront6targetE0EEEvSK_.num_vgpr, 0
	.set _ZN7rocprim17ROCPRIM_400000_NS6detail17trampoline_kernelINS0_14default_configENS1_38merge_sort_block_merge_config_selectorIiNS0_10empty_typeEEEZZNS1_27merge_sort_block_merge_implIS3_N6thrust23THRUST_200600_302600_NS6detail15normal_iteratorINS9_10device_ptrIiEEEEPS5_m9comp_mod3IiEEE10hipError_tT0_T1_T2_jT3_P12ihipStream_tbPNSt15iterator_traitsISJ_E10value_typeEPNSP_ISK_E10value_typeEPSL_NS1_7vsmem_tEENKUlT_SJ_SK_SL_E_clIPiSE_SF_SF_EESI_SY_SJ_SK_SL_EUlSY_E_NS1_11comp_targetILNS1_3genE2ELNS1_11target_archE906ELNS1_3gpuE6ELNS1_3repE0EEENS1_48merge_mergepath_partition_config_static_selectorELNS0_4arch9wavefront6targetE0EEEvSK_.num_agpr, 0
	.set _ZN7rocprim17ROCPRIM_400000_NS6detail17trampoline_kernelINS0_14default_configENS1_38merge_sort_block_merge_config_selectorIiNS0_10empty_typeEEEZZNS1_27merge_sort_block_merge_implIS3_N6thrust23THRUST_200600_302600_NS6detail15normal_iteratorINS9_10device_ptrIiEEEEPS5_m9comp_mod3IiEEE10hipError_tT0_T1_T2_jT3_P12ihipStream_tbPNSt15iterator_traitsISJ_E10value_typeEPNSP_ISK_E10value_typeEPSL_NS1_7vsmem_tEENKUlT_SJ_SK_SL_E_clIPiSE_SF_SF_EESI_SY_SJ_SK_SL_EUlSY_E_NS1_11comp_targetILNS1_3genE2ELNS1_11target_archE906ELNS1_3gpuE6ELNS1_3repE0EEENS1_48merge_mergepath_partition_config_static_selectorELNS0_4arch9wavefront6targetE0EEEvSK_.numbered_sgpr, 0
	.set _ZN7rocprim17ROCPRIM_400000_NS6detail17trampoline_kernelINS0_14default_configENS1_38merge_sort_block_merge_config_selectorIiNS0_10empty_typeEEEZZNS1_27merge_sort_block_merge_implIS3_N6thrust23THRUST_200600_302600_NS6detail15normal_iteratorINS9_10device_ptrIiEEEEPS5_m9comp_mod3IiEEE10hipError_tT0_T1_T2_jT3_P12ihipStream_tbPNSt15iterator_traitsISJ_E10value_typeEPNSP_ISK_E10value_typeEPSL_NS1_7vsmem_tEENKUlT_SJ_SK_SL_E_clIPiSE_SF_SF_EESI_SY_SJ_SK_SL_EUlSY_E_NS1_11comp_targetILNS1_3genE2ELNS1_11target_archE906ELNS1_3gpuE6ELNS1_3repE0EEENS1_48merge_mergepath_partition_config_static_selectorELNS0_4arch9wavefront6targetE0EEEvSK_.num_named_barrier, 0
	.set _ZN7rocprim17ROCPRIM_400000_NS6detail17trampoline_kernelINS0_14default_configENS1_38merge_sort_block_merge_config_selectorIiNS0_10empty_typeEEEZZNS1_27merge_sort_block_merge_implIS3_N6thrust23THRUST_200600_302600_NS6detail15normal_iteratorINS9_10device_ptrIiEEEEPS5_m9comp_mod3IiEEE10hipError_tT0_T1_T2_jT3_P12ihipStream_tbPNSt15iterator_traitsISJ_E10value_typeEPNSP_ISK_E10value_typeEPSL_NS1_7vsmem_tEENKUlT_SJ_SK_SL_E_clIPiSE_SF_SF_EESI_SY_SJ_SK_SL_EUlSY_E_NS1_11comp_targetILNS1_3genE2ELNS1_11target_archE906ELNS1_3gpuE6ELNS1_3repE0EEENS1_48merge_mergepath_partition_config_static_selectorELNS0_4arch9wavefront6targetE0EEEvSK_.private_seg_size, 0
	.set _ZN7rocprim17ROCPRIM_400000_NS6detail17trampoline_kernelINS0_14default_configENS1_38merge_sort_block_merge_config_selectorIiNS0_10empty_typeEEEZZNS1_27merge_sort_block_merge_implIS3_N6thrust23THRUST_200600_302600_NS6detail15normal_iteratorINS9_10device_ptrIiEEEEPS5_m9comp_mod3IiEEE10hipError_tT0_T1_T2_jT3_P12ihipStream_tbPNSt15iterator_traitsISJ_E10value_typeEPNSP_ISK_E10value_typeEPSL_NS1_7vsmem_tEENKUlT_SJ_SK_SL_E_clIPiSE_SF_SF_EESI_SY_SJ_SK_SL_EUlSY_E_NS1_11comp_targetILNS1_3genE2ELNS1_11target_archE906ELNS1_3gpuE6ELNS1_3repE0EEENS1_48merge_mergepath_partition_config_static_selectorELNS0_4arch9wavefront6targetE0EEEvSK_.uses_vcc, 0
	.set _ZN7rocprim17ROCPRIM_400000_NS6detail17trampoline_kernelINS0_14default_configENS1_38merge_sort_block_merge_config_selectorIiNS0_10empty_typeEEEZZNS1_27merge_sort_block_merge_implIS3_N6thrust23THRUST_200600_302600_NS6detail15normal_iteratorINS9_10device_ptrIiEEEEPS5_m9comp_mod3IiEEE10hipError_tT0_T1_T2_jT3_P12ihipStream_tbPNSt15iterator_traitsISJ_E10value_typeEPNSP_ISK_E10value_typeEPSL_NS1_7vsmem_tEENKUlT_SJ_SK_SL_E_clIPiSE_SF_SF_EESI_SY_SJ_SK_SL_EUlSY_E_NS1_11comp_targetILNS1_3genE2ELNS1_11target_archE906ELNS1_3gpuE6ELNS1_3repE0EEENS1_48merge_mergepath_partition_config_static_selectorELNS0_4arch9wavefront6targetE0EEEvSK_.uses_flat_scratch, 0
	.set _ZN7rocprim17ROCPRIM_400000_NS6detail17trampoline_kernelINS0_14default_configENS1_38merge_sort_block_merge_config_selectorIiNS0_10empty_typeEEEZZNS1_27merge_sort_block_merge_implIS3_N6thrust23THRUST_200600_302600_NS6detail15normal_iteratorINS9_10device_ptrIiEEEEPS5_m9comp_mod3IiEEE10hipError_tT0_T1_T2_jT3_P12ihipStream_tbPNSt15iterator_traitsISJ_E10value_typeEPNSP_ISK_E10value_typeEPSL_NS1_7vsmem_tEENKUlT_SJ_SK_SL_E_clIPiSE_SF_SF_EESI_SY_SJ_SK_SL_EUlSY_E_NS1_11comp_targetILNS1_3genE2ELNS1_11target_archE906ELNS1_3gpuE6ELNS1_3repE0EEENS1_48merge_mergepath_partition_config_static_selectorELNS0_4arch9wavefront6targetE0EEEvSK_.has_dyn_sized_stack, 0
	.set _ZN7rocprim17ROCPRIM_400000_NS6detail17trampoline_kernelINS0_14default_configENS1_38merge_sort_block_merge_config_selectorIiNS0_10empty_typeEEEZZNS1_27merge_sort_block_merge_implIS3_N6thrust23THRUST_200600_302600_NS6detail15normal_iteratorINS9_10device_ptrIiEEEEPS5_m9comp_mod3IiEEE10hipError_tT0_T1_T2_jT3_P12ihipStream_tbPNSt15iterator_traitsISJ_E10value_typeEPNSP_ISK_E10value_typeEPSL_NS1_7vsmem_tEENKUlT_SJ_SK_SL_E_clIPiSE_SF_SF_EESI_SY_SJ_SK_SL_EUlSY_E_NS1_11comp_targetILNS1_3genE2ELNS1_11target_archE906ELNS1_3gpuE6ELNS1_3repE0EEENS1_48merge_mergepath_partition_config_static_selectorELNS0_4arch9wavefront6targetE0EEEvSK_.has_recursion, 0
	.set _ZN7rocprim17ROCPRIM_400000_NS6detail17trampoline_kernelINS0_14default_configENS1_38merge_sort_block_merge_config_selectorIiNS0_10empty_typeEEEZZNS1_27merge_sort_block_merge_implIS3_N6thrust23THRUST_200600_302600_NS6detail15normal_iteratorINS9_10device_ptrIiEEEEPS5_m9comp_mod3IiEEE10hipError_tT0_T1_T2_jT3_P12ihipStream_tbPNSt15iterator_traitsISJ_E10value_typeEPNSP_ISK_E10value_typeEPSL_NS1_7vsmem_tEENKUlT_SJ_SK_SL_E_clIPiSE_SF_SF_EESI_SY_SJ_SK_SL_EUlSY_E_NS1_11comp_targetILNS1_3genE2ELNS1_11target_archE906ELNS1_3gpuE6ELNS1_3repE0EEENS1_48merge_mergepath_partition_config_static_selectorELNS0_4arch9wavefront6targetE0EEEvSK_.has_indirect_call, 0
	.section	.AMDGPU.csdata,"",@progbits
; Kernel info:
; codeLenInByte = 0
; TotalNumSgprs: 0
; NumVgprs: 0
; ScratchSize: 0
; MemoryBound: 0
; FloatMode: 240
; IeeeMode: 1
; LDSByteSize: 0 bytes/workgroup (compile time only)
; SGPRBlocks: 0
; VGPRBlocks: 0
; NumSGPRsForWavesPerEU: 1
; NumVGPRsForWavesPerEU: 1
; Occupancy: 16
; WaveLimiterHint : 0
; COMPUTE_PGM_RSRC2:SCRATCH_EN: 0
; COMPUTE_PGM_RSRC2:USER_SGPR: 6
; COMPUTE_PGM_RSRC2:TRAP_HANDLER: 0
; COMPUTE_PGM_RSRC2:TGID_X_EN: 1
; COMPUTE_PGM_RSRC2:TGID_Y_EN: 0
; COMPUTE_PGM_RSRC2:TGID_Z_EN: 0
; COMPUTE_PGM_RSRC2:TIDIG_COMP_CNT: 0
	.section	.text._ZN7rocprim17ROCPRIM_400000_NS6detail17trampoline_kernelINS0_14default_configENS1_38merge_sort_block_merge_config_selectorIiNS0_10empty_typeEEEZZNS1_27merge_sort_block_merge_implIS3_N6thrust23THRUST_200600_302600_NS6detail15normal_iteratorINS9_10device_ptrIiEEEEPS5_m9comp_mod3IiEEE10hipError_tT0_T1_T2_jT3_P12ihipStream_tbPNSt15iterator_traitsISJ_E10value_typeEPNSP_ISK_E10value_typeEPSL_NS1_7vsmem_tEENKUlT_SJ_SK_SL_E_clIPiSE_SF_SF_EESI_SY_SJ_SK_SL_EUlSY_E_NS1_11comp_targetILNS1_3genE9ELNS1_11target_archE1100ELNS1_3gpuE3ELNS1_3repE0EEENS1_48merge_mergepath_partition_config_static_selectorELNS0_4arch9wavefront6targetE0EEEvSK_,"axG",@progbits,_ZN7rocprim17ROCPRIM_400000_NS6detail17trampoline_kernelINS0_14default_configENS1_38merge_sort_block_merge_config_selectorIiNS0_10empty_typeEEEZZNS1_27merge_sort_block_merge_implIS3_N6thrust23THRUST_200600_302600_NS6detail15normal_iteratorINS9_10device_ptrIiEEEEPS5_m9comp_mod3IiEEE10hipError_tT0_T1_T2_jT3_P12ihipStream_tbPNSt15iterator_traitsISJ_E10value_typeEPNSP_ISK_E10value_typeEPSL_NS1_7vsmem_tEENKUlT_SJ_SK_SL_E_clIPiSE_SF_SF_EESI_SY_SJ_SK_SL_EUlSY_E_NS1_11comp_targetILNS1_3genE9ELNS1_11target_archE1100ELNS1_3gpuE3ELNS1_3repE0EEENS1_48merge_mergepath_partition_config_static_selectorELNS0_4arch9wavefront6targetE0EEEvSK_,comdat
	.protected	_ZN7rocprim17ROCPRIM_400000_NS6detail17trampoline_kernelINS0_14default_configENS1_38merge_sort_block_merge_config_selectorIiNS0_10empty_typeEEEZZNS1_27merge_sort_block_merge_implIS3_N6thrust23THRUST_200600_302600_NS6detail15normal_iteratorINS9_10device_ptrIiEEEEPS5_m9comp_mod3IiEEE10hipError_tT0_T1_T2_jT3_P12ihipStream_tbPNSt15iterator_traitsISJ_E10value_typeEPNSP_ISK_E10value_typeEPSL_NS1_7vsmem_tEENKUlT_SJ_SK_SL_E_clIPiSE_SF_SF_EESI_SY_SJ_SK_SL_EUlSY_E_NS1_11comp_targetILNS1_3genE9ELNS1_11target_archE1100ELNS1_3gpuE3ELNS1_3repE0EEENS1_48merge_mergepath_partition_config_static_selectorELNS0_4arch9wavefront6targetE0EEEvSK_ ; -- Begin function _ZN7rocprim17ROCPRIM_400000_NS6detail17trampoline_kernelINS0_14default_configENS1_38merge_sort_block_merge_config_selectorIiNS0_10empty_typeEEEZZNS1_27merge_sort_block_merge_implIS3_N6thrust23THRUST_200600_302600_NS6detail15normal_iteratorINS9_10device_ptrIiEEEEPS5_m9comp_mod3IiEEE10hipError_tT0_T1_T2_jT3_P12ihipStream_tbPNSt15iterator_traitsISJ_E10value_typeEPNSP_ISK_E10value_typeEPSL_NS1_7vsmem_tEENKUlT_SJ_SK_SL_E_clIPiSE_SF_SF_EESI_SY_SJ_SK_SL_EUlSY_E_NS1_11comp_targetILNS1_3genE9ELNS1_11target_archE1100ELNS1_3gpuE3ELNS1_3repE0EEENS1_48merge_mergepath_partition_config_static_selectorELNS0_4arch9wavefront6targetE0EEEvSK_
	.globl	_ZN7rocprim17ROCPRIM_400000_NS6detail17trampoline_kernelINS0_14default_configENS1_38merge_sort_block_merge_config_selectorIiNS0_10empty_typeEEEZZNS1_27merge_sort_block_merge_implIS3_N6thrust23THRUST_200600_302600_NS6detail15normal_iteratorINS9_10device_ptrIiEEEEPS5_m9comp_mod3IiEEE10hipError_tT0_T1_T2_jT3_P12ihipStream_tbPNSt15iterator_traitsISJ_E10value_typeEPNSP_ISK_E10value_typeEPSL_NS1_7vsmem_tEENKUlT_SJ_SK_SL_E_clIPiSE_SF_SF_EESI_SY_SJ_SK_SL_EUlSY_E_NS1_11comp_targetILNS1_3genE9ELNS1_11target_archE1100ELNS1_3gpuE3ELNS1_3repE0EEENS1_48merge_mergepath_partition_config_static_selectorELNS0_4arch9wavefront6targetE0EEEvSK_
	.p2align	8
	.type	_ZN7rocprim17ROCPRIM_400000_NS6detail17trampoline_kernelINS0_14default_configENS1_38merge_sort_block_merge_config_selectorIiNS0_10empty_typeEEEZZNS1_27merge_sort_block_merge_implIS3_N6thrust23THRUST_200600_302600_NS6detail15normal_iteratorINS9_10device_ptrIiEEEEPS5_m9comp_mod3IiEEE10hipError_tT0_T1_T2_jT3_P12ihipStream_tbPNSt15iterator_traitsISJ_E10value_typeEPNSP_ISK_E10value_typeEPSL_NS1_7vsmem_tEENKUlT_SJ_SK_SL_E_clIPiSE_SF_SF_EESI_SY_SJ_SK_SL_EUlSY_E_NS1_11comp_targetILNS1_3genE9ELNS1_11target_archE1100ELNS1_3gpuE3ELNS1_3repE0EEENS1_48merge_mergepath_partition_config_static_selectorELNS0_4arch9wavefront6targetE0EEEvSK_,@function
_ZN7rocprim17ROCPRIM_400000_NS6detail17trampoline_kernelINS0_14default_configENS1_38merge_sort_block_merge_config_selectorIiNS0_10empty_typeEEEZZNS1_27merge_sort_block_merge_implIS3_N6thrust23THRUST_200600_302600_NS6detail15normal_iteratorINS9_10device_ptrIiEEEEPS5_m9comp_mod3IiEEE10hipError_tT0_T1_T2_jT3_P12ihipStream_tbPNSt15iterator_traitsISJ_E10value_typeEPNSP_ISK_E10value_typeEPSL_NS1_7vsmem_tEENKUlT_SJ_SK_SL_E_clIPiSE_SF_SF_EESI_SY_SJ_SK_SL_EUlSY_E_NS1_11comp_targetILNS1_3genE9ELNS1_11target_archE1100ELNS1_3gpuE3ELNS1_3repE0EEENS1_48merge_mergepath_partition_config_static_selectorELNS0_4arch9wavefront6targetE0EEEvSK_: ; @_ZN7rocprim17ROCPRIM_400000_NS6detail17trampoline_kernelINS0_14default_configENS1_38merge_sort_block_merge_config_selectorIiNS0_10empty_typeEEEZZNS1_27merge_sort_block_merge_implIS3_N6thrust23THRUST_200600_302600_NS6detail15normal_iteratorINS9_10device_ptrIiEEEEPS5_m9comp_mod3IiEEE10hipError_tT0_T1_T2_jT3_P12ihipStream_tbPNSt15iterator_traitsISJ_E10value_typeEPNSP_ISK_E10value_typeEPSL_NS1_7vsmem_tEENKUlT_SJ_SK_SL_E_clIPiSE_SF_SF_EESI_SY_SJ_SK_SL_EUlSY_E_NS1_11comp_targetILNS1_3genE9ELNS1_11target_archE1100ELNS1_3gpuE3ELNS1_3repE0EEENS1_48merge_mergepath_partition_config_static_selectorELNS0_4arch9wavefront6targetE0EEEvSK_
; %bb.0:
	.section	.rodata,"a",@progbits
	.p2align	6, 0x0
	.amdhsa_kernel _ZN7rocprim17ROCPRIM_400000_NS6detail17trampoline_kernelINS0_14default_configENS1_38merge_sort_block_merge_config_selectorIiNS0_10empty_typeEEEZZNS1_27merge_sort_block_merge_implIS3_N6thrust23THRUST_200600_302600_NS6detail15normal_iteratorINS9_10device_ptrIiEEEEPS5_m9comp_mod3IiEEE10hipError_tT0_T1_T2_jT3_P12ihipStream_tbPNSt15iterator_traitsISJ_E10value_typeEPNSP_ISK_E10value_typeEPSL_NS1_7vsmem_tEENKUlT_SJ_SK_SL_E_clIPiSE_SF_SF_EESI_SY_SJ_SK_SL_EUlSY_E_NS1_11comp_targetILNS1_3genE9ELNS1_11target_archE1100ELNS1_3gpuE3ELNS1_3repE0EEENS1_48merge_mergepath_partition_config_static_selectorELNS0_4arch9wavefront6targetE0EEEvSK_
		.amdhsa_group_segment_fixed_size 0
		.amdhsa_private_segment_fixed_size 0
		.amdhsa_kernarg_size 48
		.amdhsa_user_sgpr_count 6
		.amdhsa_user_sgpr_private_segment_buffer 1
		.amdhsa_user_sgpr_dispatch_ptr 0
		.amdhsa_user_sgpr_queue_ptr 0
		.amdhsa_user_sgpr_kernarg_segment_ptr 1
		.amdhsa_user_sgpr_dispatch_id 0
		.amdhsa_user_sgpr_flat_scratch_init 0
		.amdhsa_user_sgpr_private_segment_size 0
		.amdhsa_wavefront_size32 1
		.amdhsa_uses_dynamic_stack 0
		.amdhsa_system_sgpr_private_segment_wavefront_offset 0
		.amdhsa_system_sgpr_workgroup_id_x 1
		.amdhsa_system_sgpr_workgroup_id_y 0
		.amdhsa_system_sgpr_workgroup_id_z 0
		.amdhsa_system_sgpr_workgroup_info 0
		.amdhsa_system_vgpr_workitem_id 0
		.amdhsa_next_free_vgpr 1
		.amdhsa_next_free_sgpr 1
		.amdhsa_reserve_vcc 0
		.amdhsa_reserve_flat_scratch 0
		.amdhsa_float_round_mode_32 0
		.amdhsa_float_round_mode_16_64 0
		.amdhsa_float_denorm_mode_32 3
		.amdhsa_float_denorm_mode_16_64 3
		.amdhsa_dx10_clamp 1
		.amdhsa_ieee_mode 1
		.amdhsa_fp16_overflow 0
		.amdhsa_workgroup_processor_mode 1
		.amdhsa_memory_ordered 1
		.amdhsa_forward_progress 1
		.amdhsa_shared_vgpr_count 0
		.amdhsa_exception_fp_ieee_invalid_op 0
		.amdhsa_exception_fp_denorm_src 0
		.amdhsa_exception_fp_ieee_div_zero 0
		.amdhsa_exception_fp_ieee_overflow 0
		.amdhsa_exception_fp_ieee_underflow 0
		.amdhsa_exception_fp_ieee_inexact 0
		.amdhsa_exception_int_div_zero 0
	.end_amdhsa_kernel
	.section	.text._ZN7rocprim17ROCPRIM_400000_NS6detail17trampoline_kernelINS0_14default_configENS1_38merge_sort_block_merge_config_selectorIiNS0_10empty_typeEEEZZNS1_27merge_sort_block_merge_implIS3_N6thrust23THRUST_200600_302600_NS6detail15normal_iteratorINS9_10device_ptrIiEEEEPS5_m9comp_mod3IiEEE10hipError_tT0_T1_T2_jT3_P12ihipStream_tbPNSt15iterator_traitsISJ_E10value_typeEPNSP_ISK_E10value_typeEPSL_NS1_7vsmem_tEENKUlT_SJ_SK_SL_E_clIPiSE_SF_SF_EESI_SY_SJ_SK_SL_EUlSY_E_NS1_11comp_targetILNS1_3genE9ELNS1_11target_archE1100ELNS1_3gpuE3ELNS1_3repE0EEENS1_48merge_mergepath_partition_config_static_selectorELNS0_4arch9wavefront6targetE0EEEvSK_,"axG",@progbits,_ZN7rocprim17ROCPRIM_400000_NS6detail17trampoline_kernelINS0_14default_configENS1_38merge_sort_block_merge_config_selectorIiNS0_10empty_typeEEEZZNS1_27merge_sort_block_merge_implIS3_N6thrust23THRUST_200600_302600_NS6detail15normal_iteratorINS9_10device_ptrIiEEEEPS5_m9comp_mod3IiEEE10hipError_tT0_T1_T2_jT3_P12ihipStream_tbPNSt15iterator_traitsISJ_E10value_typeEPNSP_ISK_E10value_typeEPSL_NS1_7vsmem_tEENKUlT_SJ_SK_SL_E_clIPiSE_SF_SF_EESI_SY_SJ_SK_SL_EUlSY_E_NS1_11comp_targetILNS1_3genE9ELNS1_11target_archE1100ELNS1_3gpuE3ELNS1_3repE0EEENS1_48merge_mergepath_partition_config_static_selectorELNS0_4arch9wavefront6targetE0EEEvSK_,comdat
.Lfunc_end994:
	.size	_ZN7rocprim17ROCPRIM_400000_NS6detail17trampoline_kernelINS0_14default_configENS1_38merge_sort_block_merge_config_selectorIiNS0_10empty_typeEEEZZNS1_27merge_sort_block_merge_implIS3_N6thrust23THRUST_200600_302600_NS6detail15normal_iteratorINS9_10device_ptrIiEEEEPS5_m9comp_mod3IiEEE10hipError_tT0_T1_T2_jT3_P12ihipStream_tbPNSt15iterator_traitsISJ_E10value_typeEPNSP_ISK_E10value_typeEPSL_NS1_7vsmem_tEENKUlT_SJ_SK_SL_E_clIPiSE_SF_SF_EESI_SY_SJ_SK_SL_EUlSY_E_NS1_11comp_targetILNS1_3genE9ELNS1_11target_archE1100ELNS1_3gpuE3ELNS1_3repE0EEENS1_48merge_mergepath_partition_config_static_selectorELNS0_4arch9wavefront6targetE0EEEvSK_, .Lfunc_end994-_ZN7rocprim17ROCPRIM_400000_NS6detail17trampoline_kernelINS0_14default_configENS1_38merge_sort_block_merge_config_selectorIiNS0_10empty_typeEEEZZNS1_27merge_sort_block_merge_implIS3_N6thrust23THRUST_200600_302600_NS6detail15normal_iteratorINS9_10device_ptrIiEEEEPS5_m9comp_mod3IiEEE10hipError_tT0_T1_T2_jT3_P12ihipStream_tbPNSt15iterator_traitsISJ_E10value_typeEPNSP_ISK_E10value_typeEPSL_NS1_7vsmem_tEENKUlT_SJ_SK_SL_E_clIPiSE_SF_SF_EESI_SY_SJ_SK_SL_EUlSY_E_NS1_11comp_targetILNS1_3genE9ELNS1_11target_archE1100ELNS1_3gpuE3ELNS1_3repE0EEENS1_48merge_mergepath_partition_config_static_selectorELNS0_4arch9wavefront6targetE0EEEvSK_
                                        ; -- End function
	.set _ZN7rocprim17ROCPRIM_400000_NS6detail17trampoline_kernelINS0_14default_configENS1_38merge_sort_block_merge_config_selectorIiNS0_10empty_typeEEEZZNS1_27merge_sort_block_merge_implIS3_N6thrust23THRUST_200600_302600_NS6detail15normal_iteratorINS9_10device_ptrIiEEEEPS5_m9comp_mod3IiEEE10hipError_tT0_T1_T2_jT3_P12ihipStream_tbPNSt15iterator_traitsISJ_E10value_typeEPNSP_ISK_E10value_typeEPSL_NS1_7vsmem_tEENKUlT_SJ_SK_SL_E_clIPiSE_SF_SF_EESI_SY_SJ_SK_SL_EUlSY_E_NS1_11comp_targetILNS1_3genE9ELNS1_11target_archE1100ELNS1_3gpuE3ELNS1_3repE0EEENS1_48merge_mergepath_partition_config_static_selectorELNS0_4arch9wavefront6targetE0EEEvSK_.num_vgpr, 0
	.set _ZN7rocprim17ROCPRIM_400000_NS6detail17trampoline_kernelINS0_14default_configENS1_38merge_sort_block_merge_config_selectorIiNS0_10empty_typeEEEZZNS1_27merge_sort_block_merge_implIS3_N6thrust23THRUST_200600_302600_NS6detail15normal_iteratorINS9_10device_ptrIiEEEEPS5_m9comp_mod3IiEEE10hipError_tT0_T1_T2_jT3_P12ihipStream_tbPNSt15iterator_traitsISJ_E10value_typeEPNSP_ISK_E10value_typeEPSL_NS1_7vsmem_tEENKUlT_SJ_SK_SL_E_clIPiSE_SF_SF_EESI_SY_SJ_SK_SL_EUlSY_E_NS1_11comp_targetILNS1_3genE9ELNS1_11target_archE1100ELNS1_3gpuE3ELNS1_3repE0EEENS1_48merge_mergepath_partition_config_static_selectorELNS0_4arch9wavefront6targetE0EEEvSK_.num_agpr, 0
	.set _ZN7rocprim17ROCPRIM_400000_NS6detail17trampoline_kernelINS0_14default_configENS1_38merge_sort_block_merge_config_selectorIiNS0_10empty_typeEEEZZNS1_27merge_sort_block_merge_implIS3_N6thrust23THRUST_200600_302600_NS6detail15normal_iteratorINS9_10device_ptrIiEEEEPS5_m9comp_mod3IiEEE10hipError_tT0_T1_T2_jT3_P12ihipStream_tbPNSt15iterator_traitsISJ_E10value_typeEPNSP_ISK_E10value_typeEPSL_NS1_7vsmem_tEENKUlT_SJ_SK_SL_E_clIPiSE_SF_SF_EESI_SY_SJ_SK_SL_EUlSY_E_NS1_11comp_targetILNS1_3genE9ELNS1_11target_archE1100ELNS1_3gpuE3ELNS1_3repE0EEENS1_48merge_mergepath_partition_config_static_selectorELNS0_4arch9wavefront6targetE0EEEvSK_.numbered_sgpr, 0
	.set _ZN7rocprim17ROCPRIM_400000_NS6detail17trampoline_kernelINS0_14default_configENS1_38merge_sort_block_merge_config_selectorIiNS0_10empty_typeEEEZZNS1_27merge_sort_block_merge_implIS3_N6thrust23THRUST_200600_302600_NS6detail15normal_iteratorINS9_10device_ptrIiEEEEPS5_m9comp_mod3IiEEE10hipError_tT0_T1_T2_jT3_P12ihipStream_tbPNSt15iterator_traitsISJ_E10value_typeEPNSP_ISK_E10value_typeEPSL_NS1_7vsmem_tEENKUlT_SJ_SK_SL_E_clIPiSE_SF_SF_EESI_SY_SJ_SK_SL_EUlSY_E_NS1_11comp_targetILNS1_3genE9ELNS1_11target_archE1100ELNS1_3gpuE3ELNS1_3repE0EEENS1_48merge_mergepath_partition_config_static_selectorELNS0_4arch9wavefront6targetE0EEEvSK_.num_named_barrier, 0
	.set _ZN7rocprim17ROCPRIM_400000_NS6detail17trampoline_kernelINS0_14default_configENS1_38merge_sort_block_merge_config_selectorIiNS0_10empty_typeEEEZZNS1_27merge_sort_block_merge_implIS3_N6thrust23THRUST_200600_302600_NS6detail15normal_iteratorINS9_10device_ptrIiEEEEPS5_m9comp_mod3IiEEE10hipError_tT0_T1_T2_jT3_P12ihipStream_tbPNSt15iterator_traitsISJ_E10value_typeEPNSP_ISK_E10value_typeEPSL_NS1_7vsmem_tEENKUlT_SJ_SK_SL_E_clIPiSE_SF_SF_EESI_SY_SJ_SK_SL_EUlSY_E_NS1_11comp_targetILNS1_3genE9ELNS1_11target_archE1100ELNS1_3gpuE3ELNS1_3repE0EEENS1_48merge_mergepath_partition_config_static_selectorELNS0_4arch9wavefront6targetE0EEEvSK_.private_seg_size, 0
	.set _ZN7rocprim17ROCPRIM_400000_NS6detail17trampoline_kernelINS0_14default_configENS1_38merge_sort_block_merge_config_selectorIiNS0_10empty_typeEEEZZNS1_27merge_sort_block_merge_implIS3_N6thrust23THRUST_200600_302600_NS6detail15normal_iteratorINS9_10device_ptrIiEEEEPS5_m9comp_mod3IiEEE10hipError_tT0_T1_T2_jT3_P12ihipStream_tbPNSt15iterator_traitsISJ_E10value_typeEPNSP_ISK_E10value_typeEPSL_NS1_7vsmem_tEENKUlT_SJ_SK_SL_E_clIPiSE_SF_SF_EESI_SY_SJ_SK_SL_EUlSY_E_NS1_11comp_targetILNS1_3genE9ELNS1_11target_archE1100ELNS1_3gpuE3ELNS1_3repE0EEENS1_48merge_mergepath_partition_config_static_selectorELNS0_4arch9wavefront6targetE0EEEvSK_.uses_vcc, 0
	.set _ZN7rocprim17ROCPRIM_400000_NS6detail17trampoline_kernelINS0_14default_configENS1_38merge_sort_block_merge_config_selectorIiNS0_10empty_typeEEEZZNS1_27merge_sort_block_merge_implIS3_N6thrust23THRUST_200600_302600_NS6detail15normal_iteratorINS9_10device_ptrIiEEEEPS5_m9comp_mod3IiEEE10hipError_tT0_T1_T2_jT3_P12ihipStream_tbPNSt15iterator_traitsISJ_E10value_typeEPNSP_ISK_E10value_typeEPSL_NS1_7vsmem_tEENKUlT_SJ_SK_SL_E_clIPiSE_SF_SF_EESI_SY_SJ_SK_SL_EUlSY_E_NS1_11comp_targetILNS1_3genE9ELNS1_11target_archE1100ELNS1_3gpuE3ELNS1_3repE0EEENS1_48merge_mergepath_partition_config_static_selectorELNS0_4arch9wavefront6targetE0EEEvSK_.uses_flat_scratch, 0
	.set _ZN7rocprim17ROCPRIM_400000_NS6detail17trampoline_kernelINS0_14default_configENS1_38merge_sort_block_merge_config_selectorIiNS0_10empty_typeEEEZZNS1_27merge_sort_block_merge_implIS3_N6thrust23THRUST_200600_302600_NS6detail15normal_iteratorINS9_10device_ptrIiEEEEPS5_m9comp_mod3IiEEE10hipError_tT0_T1_T2_jT3_P12ihipStream_tbPNSt15iterator_traitsISJ_E10value_typeEPNSP_ISK_E10value_typeEPSL_NS1_7vsmem_tEENKUlT_SJ_SK_SL_E_clIPiSE_SF_SF_EESI_SY_SJ_SK_SL_EUlSY_E_NS1_11comp_targetILNS1_3genE9ELNS1_11target_archE1100ELNS1_3gpuE3ELNS1_3repE0EEENS1_48merge_mergepath_partition_config_static_selectorELNS0_4arch9wavefront6targetE0EEEvSK_.has_dyn_sized_stack, 0
	.set _ZN7rocprim17ROCPRIM_400000_NS6detail17trampoline_kernelINS0_14default_configENS1_38merge_sort_block_merge_config_selectorIiNS0_10empty_typeEEEZZNS1_27merge_sort_block_merge_implIS3_N6thrust23THRUST_200600_302600_NS6detail15normal_iteratorINS9_10device_ptrIiEEEEPS5_m9comp_mod3IiEEE10hipError_tT0_T1_T2_jT3_P12ihipStream_tbPNSt15iterator_traitsISJ_E10value_typeEPNSP_ISK_E10value_typeEPSL_NS1_7vsmem_tEENKUlT_SJ_SK_SL_E_clIPiSE_SF_SF_EESI_SY_SJ_SK_SL_EUlSY_E_NS1_11comp_targetILNS1_3genE9ELNS1_11target_archE1100ELNS1_3gpuE3ELNS1_3repE0EEENS1_48merge_mergepath_partition_config_static_selectorELNS0_4arch9wavefront6targetE0EEEvSK_.has_recursion, 0
	.set _ZN7rocprim17ROCPRIM_400000_NS6detail17trampoline_kernelINS0_14default_configENS1_38merge_sort_block_merge_config_selectorIiNS0_10empty_typeEEEZZNS1_27merge_sort_block_merge_implIS3_N6thrust23THRUST_200600_302600_NS6detail15normal_iteratorINS9_10device_ptrIiEEEEPS5_m9comp_mod3IiEEE10hipError_tT0_T1_T2_jT3_P12ihipStream_tbPNSt15iterator_traitsISJ_E10value_typeEPNSP_ISK_E10value_typeEPSL_NS1_7vsmem_tEENKUlT_SJ_SK_SL_E_clIPiSE_SF_SF_EESI_SY_SJ_SK_SL_EUlSY_E_NS1_11comp_targetILNS1_3genE9ELNS1_11target_archE1100ELNS1_3gpuE3ELNS1_3repE0EEENS1_48merge_mergepath_partition_config_static_selectorELNS0_4arch9wavefront6targetE0EEEvSK_.has_indirect_call, 0
	.section	.AMDGPU.csdata,"",@progbits
; Kernel info:
; codeLenInByte = 0
; TotalNumSgprs: 0
; NumVgprs: 0
; ScratchSize: 0
; MemoryBound: 0
; FloatMode: 240
; IeeeMode: 1
; LDSByteSize: 0 bytes/workgroup (compile time only)
; SGPRBlocks: 0
; VGPRBlocks: 0
; NumSGPRsForWavesPerEU: 1
; NumVGPRsForWavesPerEU: 1
; Occupancy: 16
; WaveLimiterHint : 0
; COMPUTE_PGM_RSRC2:SCRATCH_EN: 0
; COMPUTE_PGM_RSRC2:USER_SGPR: 6
; COMPUTE_PGM_RSRC2:TRAP_HANDLER: 0
; COMPUTE_PGM_RSRC2:TGID_X_EN: 1
; COMPUTE_PGM_RSRC2:TGID_Y_EN: 0
; COMPUTE_PGM_RSRC2:TGID_Z_EN: 0
; COMPUTE_PGM_RSRC2:TIDIG_COMP_CNT: 0
	.section	.text._ZN7rocprim17ROCPRIM_400000_NS6detail17trampoline_kernelINS0_14default_configENS1_38merge_sort_block_merge_config_selectorIiNS0_10empty_typeEEEZZNS1_27merge_sort_block_merge_implIS3_N6thrust23THRUST_200600_302600_NS6detail15normal_iteratorINS9_10device_ptrIiEEEEPS5_m9comp_mod3IiEEE10hipError_tT0_T1_T2_jT3_P12ihipStream_tbPNSt15iterator_traitsISJ_E10value_typeEPNSP_ISK_E10value_typeEPSL_NS1_7vsmem_tEENKUlT_SJ_SK_SL_E_clIPiSE_SF_SF_EESI_SY_SJ_SK_SL_EUlSY_E_NS1_11comp_targetILNS1_3genE8ELNS1_11target_archE1030ELNS1_3gpuE2ELNS1_3repE0EEENS1_48merge_mergepath_partition_config_static_selectorELNS0_4arch9wavefront6targetE0EEEvSK_,"axG",@progbits,_ZN7rocprim17ROCPRIM_400000_NS6detail17trampoline_kernelINS0_14default_configENS1_38merge_sort_block_merge_config_selectorIiNS0_10empty_typeEEEZZNS1_27merge_sort_block_merge_implIS3_N6thrust23THRUST_200600_302600_NS6detail15normal_iteratorINS9_10device_ptrIiEEEEPS5_m9comp_mod3IiEEE10hipError_tT0_T1_T2_jT3_P12ihipStream_tbPNSt15iterator_traitsISJ_E10value_typeEPNSP_ISK_E10value_typeEPSL_NS1_7vsmem_tEENKUlT_SJ_SK_SL_E_clIPiSE_SF_SF_EESI_SY_SJ_SK_SL_EUlSY_E_NS1_11comp_targetILNS1_3genE8ELNS1_11target_archE1030ELNS1_3gpuE2ELNS1_3repE0EEENS1_48merge_mergepath_partition_config_static_selectorELNS0_4arch9wavefront6targetE0EEEvSK_,comdat
	.protected	_ZN7rocprim17ROCPRIM_400000_NS6detail17trampoline_kernelINS0_14default_configENS1_38merge_sort_block_merge_config_selectorIiNS0_10empty_typeEEEZZNS1_27merge_sort_block_merge_implIS3_N6thrust23THRUST_200600_302600_NS6detail15normal_iteratorINS9_10device_ptrIiEEEEPS5_m9comp_mod3IiEEE10hipError_tT0_T1_T2_jT3_P12ihipStream_tbPNSt15iterator_traitsISJ_E10value_typeEPNSP_ISK_E10value_typeEPSL_NS1_7vsmem_tEENKUlT_SJ_SK_SL_E_clIPiSE_SF_SF_EESI_SY_SJ_SK_SL_EUlSY_E_NS1_11comp_targetILNS1_3genE8ELNS1_11target_archE1030ELNS1_3gpuE2ELNS1_3repE0EEENS1_48merge_mergepath_partition_config_static_selectorELNS0_4arch9wavefront6targetE0EEEvSK_ ; -- Begin function _ZN7rocprim17ROCPRIM_400000_NS6detail17trampoline_kernelINS0_14default_configENS1_38merge_sort_block_merge_config_selectorIiNS0_10empty_typeEEEZZNS1_27merge_sort_block_merge_implIS3_N6thrust23THRUST_200600_302600_NS6detail15normal_iteratorINS9_10device_ptrIiEEEEPS5_m9comp_mod3IiEEE10hipError_tT0_T1_T2_jT3_P12ihipStream_tbPNSt15iterator_traitsISJ_E10value_typeEPNSP_ISK_E10value_typeEPSL_NS1_7vsmem_tEENKUlT_SJ_SK_SL_E_clIPiSE_SF_SF_EESI_SY_SJ_SK_SL_EUlSY_E_NS1_11comp_targetILNS1_3genE8ELNS1_11target_archE1030ELNS1_3gpuE2ELNS1_3repE0EEENS1_48merge_mergepath_partition_config_static_selectorELNS0_4arch9wavefront6targetE0EEEvSK_
	.globl	_ZN7rocprim17ROCPRIM_400000_NS6detail17trampoline_kernelINS0_14default_configENS1_38merge_sort_block_merge_config_selectorIiNS0_10empty_typeEEEZZNS1_27merge_sort_block_merge_implIS3_N6thrust23THRUST_200600_302600_NS6detail15normal_iteratorINS9_10device_ptrIiEEEEPS5_m9comp_mod3IiEEE10hipError_tT0_T1_T2_jT3_P12ihipStream_tbPNSt15iterator_traitsISJ_E10value_typeEPNSP_ISK_E10value_typeEPSL_NS1_7vsmem_tEENKUlT_SJ_SK_SL_E_clIPiSE_SF_SF_EESI_SY_SJ_SK_SL_EUlSY_E_NS1_11comp_targetILNS1_3genE8ELNS1_11target_archE1030ELNS1_3gpuE2ELNS1_3repE0EEENS1_48merge_mergepath_partition_config_static_selectorELNS0_4arch9wavefront6targetE0EEEvSK_
	.p2align	8
	.type	_ZN7rocprim17ROCPRIM_400000_NS6detail17trampoline_kernelINS0_14default_configENS1_38merge_sort_block_merge_config_selectorIiNS0_10empty_typeEEEZZNS1_27merge_sort_block_merge_implIS3_N6thrust23THRUST_200600_302600_NS6detail15normal_iteratorINS9_10device_ptrIiEEEEPS5_m9comp_mod3IiEEE10hipError_tT0_T1_T2_jT3_P12ihipStream_tbPNSt15iterator_traitsISJ_E10value_typeEPNSP_ISK_E10value_typeEPSL_NS1_7vsmem_tEENKUlT_SJ_SK_SL_E_clIPiSE_SF_SF_EESI_SY_SJ_SK_SL_EUlSY_E_NS1_11comp_targetILNS1_3genE8ELNS1_11target_archE1030ELNS1_3gpuE2ELNS1_3repE0EEENS1_48merge_mergepath_partition_config_static_selectorELNS0_4arch9wavefront6targetE0EEEvSK_,@function
_ZN7rocprim17ROCPRIM_400000_NS6detail17trampoline_kernelINS0_14default_configENS1_38merge_sort_block_merge_config_selectorIiNS0_10empty_typeEEEZZNS1_27merge_sort_block_merge_implIS3_N6thrust23THRUST_200600_302600_NS6detail15normal_iteratorINS9_10device_ptrIiEEEEPS5_m9comp_mod3IiEEE10hipError_tT0_T1_T2_jT3_P12ihipStream_tbPNSt15iterator_traitsISJ_E10value_typeEPNSP_ISK_E10value_typeEPSL_NS1_7vsmem_tEENKUlT_SJ_SK_SL_E_clIPiSE_SF_SF_EESI_SY_SJ_SK_SL_EUlSY_E_NS1_11comp_targetILNS1_3genE8ELNS1_11target_archE1030ELNS1_3gpuE2ELNS1_3repE0EEENS1_48merge_mergepath_partition_config_static_selectorELNS0_4arch9wavefront6targetE0EEEvSK_: ; @_ZN7rocprim17ROCPRIM_400000_NS6detail17trampoline_kernelINS0_14default_configENS1_38merge_sort_block_merge_config_selectorIiNS0_10empty_typeEEEZZNS1_27merge_sort_block_merge_implIS3_N6thrust23THRUST_200600_302600_NS6detail15normal_iteratorINS9_10device_ptrIiEEEEPS5_m9comp_mod3IiEEE10hipError_tT0_T1_T2_jT3_P12ihipStream_tbPNSt15iterator_traitsISJ_E10value_typeEPNSP_ISK_E10value_typeEPSL_NS1_7vsmem_tEENKUlT_SJ_SK_SL_E_clIPiSE_SF_SF_EESI_SY_SJ_SK_SL_EUlSY_E_NS1_11comp_targetILNS1_3genE8ELNS1_11target_archE1030ELNS1_3gpuE2ELNS1_3repE0EEENS1_48merge_mergepath_partition_config_static_selectorELNS0_4arch9wavefront6targetE0EEEvSK_
; %bb.0:
	s_load_dword s0, s[4:5], 0x0
	v_lshl_or_b32 v0, s6, 7, v0
	s_waitcnt lgkmcnt(0)
	v_cmp_gt_u32_e32 vcc_lo, s0, v0
	s_and_saveexec_b32 s0, vcc_lo
	s_cbranch_execz .LBB995_6
; %bb.1:
	s_load_dwordx8 s[8:15], s[4:5], 0x8
	v_mov_b32_e32 v2, 0
	s_load_dwordx2 s[2:3], s[4:5], 0x28
	v_mov_b32_e32 v11, v2
	s_waitcnt lgkmcnt(0)
	s_lshr_b64 s[0:1], s[8:9], 9
	s_and_b32 s0, s0, -2
	s_sub_i32 s1, 0, s0
	v_and_b32_e32 v1, s1, v0
	s_add_i32 s1, s0, -1
	v_and_b32_e32 v10, s1, v0
	s_mov_b32 s1, 0
	v_lshlrev_b64 v[4:5], 10, v[1:2]
	v_add_co_u32 v6, vcc_lo, v4, s8
	v_add_co_ci_u32_e64 v7, null, s9, v5, vcc_lo
	v_cmp_lt_u64_e32 vcc_lo, s[10:11], v[6:7]
	v_cndmask_b32_e64 v8, v6, s10, vcc_lo
	v_cndmask_b32_e64 v9, v7, s11, vcc_lo
	v_add_co_u32 v6, vcc_lo, v8, s8
	v_add_co_ci_u32_e64 v7, null, s9, v9, vcc_lo
	v_cmp_lt_u64_e32 vcc_lo, s[10:11], v[4:5]
	v_cmp_lt_u64_e64 s0, s[10:11], v[6:7]
	v_cndmask_b32_e64 v2, v4, s10, vcc_lo
	v_cndmask_b32_e64 v3, v5, s11, vcc_lo
	v_lshlrev_b64 v[4:5], 10, v[10:11]
	v_cndmask_b32_e64 v12, v6, s10, s0
	v_cndmask_b32_e64 v1, v7, s11, s0
	v_sub_co_u32 v6, vcc_lo, v12, v2
	v_sub_co_ci_u32_e64 v7, null, v1, v3, vcc_lo
	v_cmp_lt_u64_e32 vcc_lo, v[6:7], v[4:5]
	v_cndmask_b32_e32 v11, v5, v7, vcc_lo
	v_cndmask_b32_e32 v10, v4, v6, vcc_lo
	v_sub_co_u32 v4, vcc_lo, v8, v12
	v_sub_co_ci_u32_e64 v1, null, v9, v1, vcc_lo
	v_add_co_u32 v4, vcc_lo, v10, v4
	v_add_co_ci_u32_e64 v5, null, v11, v1, vcc_lo
	v_sub_co_u32 v6, vcc_lo, v8, v2
	v_sub_co_ci_u32_e64 v7, null, v9, v3, vcc_lo
	v_cmp_gt_u64_e32 vcc_lo, v[4:5], v[10:11]
	v_cmp_lt_u64_e64 s0, v[10:11], v[6:7]
	v_cndmask_b32_e64 v5, v5, 0, vcc_lo
	v_cndmask_b32_e64 v4, v4, 0, vcc_lo
	v_cndmask_b32_e64 v7, v7, v11, s0
	v_cndmask_b32_e64 v6, v6, v10, s0
	s_mov_b32 s0, exec_lo
	v_cmpx_lt_u64_e64 v[4:5], v[6:7]
	s_cbranch_execz .LBB995_5
; %bb.2:
	v_lshlrev_b64 v[8:9], 2, v[8:9]
	v_lshlrev_b64 v[12:13], 2, v[2:3]
	;; [unrolled: 1-line block ×3, first 2 shown]
	v_add_co_u32 v14, vcc_lo, s12, v8
	v_add_co_ci_u32_e64 v15, null, s13, v9, vcc_lo
	v_add_co_u32 v1, vcc_lo, s12, v12
	v_add_co_ci_u32_e64 v8, null, s13, v13, vcc_lo
	;; [unrolled: 2-line block ×3, first 2 shown]
.LBB995_3:                              ; =>This Inner Loop Header: Depth=1
	v_add_co_u32 v11, vcc_lo, v6, v4
	v_add_co_ci_u32_e64 v12, null, v7, v5, vcc_lo
	v_lshrrev_b64 v[11:12], 1, v[11:12]
	v_lshlrev_b64 v[13:14], 2, v[11:12]
	v_xor_b32_e32 v15, -4, v13
	v_xor_b32_e32 v16, -1, v14
	v_add_co_u32 v13, vcc_lo, v1, v13
	v_add_co_ci_u32_e64 v14, null, v8, v14, vcc_lo
	v_add_co_u32 v15, vcc_lo, v9, v15
	v_add_co_ci_u32_e64 v16, null, v10, v16, vcc_lo
	s_clause 0x1
	global_load_dword v13, v[13:14], off
	global_load_dword v15, v[15:16], off
	s_waitcnt vmcnt(1)
	v_ashrrev_i32_e32 v14, 31, v13
	s_waitcnt vmcnt(0)
	v_ashrrev_i32_e32 v16, 31, v15
	v_lshlrev_b64 v[13:14], 2, v[13:14]
	v_lshlrev_b64 v[15:16], 2, v[15:16]
	v_add_co_u32 v13, vcc_lo, s14, v13
	v_add_co_ci_u32_e64 v14, null, s15, v14, vcc_lo
	v_add_co_u32 v15, vcc_lo, s14, v15
	v_add_co_ci_u32_e64 v16, null, s15, v16, vcc_lo
	s_clause 0x1
	global_load_dword v15, v[15:16], off
	global_load_dword v13, v[13:14], off
	v_add_co_u32 v14, vcc_lo, v11, 1
	v_add_co_ci_u32_e64 v16, null, 0, v12, vcc_lo
	s_waitcnt vmcnt(0)
	v_cmp_lt_i32_e32 vcc_lo, v15, v13
	v_cndmask_b32_e32 v7, v7, v12, vcc_lo
	v_cndmask_b32_e32 v6, v6, v11, vcc_lo
	;; [unrolled: 1-line block ×4, first 2 shown]
	v_cmp_ge_u64_e32 vcc_lo, v[4:5], v[6:7]
	s_or_b32 s1, vcc_lo, s1
	s_andn2_b32 exec_lo, exec_lo, s1
	s_cbranch_execnz .LBB995_3
; %bb.4:
	s_or_b32 exec_lo, exec_lo, s1
.LBB995_5:
	s_or_b32 exec_lo, exec_lo, s0
	v_mov_b32_e32 v1, 0
	v_add_co_u32 v2, vcc_lo, v4, v2
	v_add_co_ci_u32_e64 v3, null, v5, v3, vcc_lo
	v_lshlrev_b64 v[0:1], 3, v[0:1]
	v_add_co_u32 v0, vcc_lo, s2, v0
	v_add_co_ci_u32_e64 v1, null, s3, v1, vcc_lo
	global_store_dwordx2 v[0:1], v[2:3], off
.LBB995_6:
	s_endpgm
	.section	.rodata,"a",@progbits
	.p2align	6, 0x0
	.amdhsa_kernel _ZN7rocprim17ROCPRIM_400000_NS6detail17trampoline_kernelINS0_14default_configENS1_38merge_sort_block_merge_config_selectorIiNS0_10empty_typeEEEZZNS1_27merge_sort_block_merge_implIS3_N6thrust23THRUST_200600_302600_NS6detail15normal_iteratorINS9_10device_ptrIiEEEEPS5_m9comp_mod3IiEEE10hipError_tT0_T1_T2_jT3_P12ihipStream_tbPNSt15iterator_traitsISJ_E10value_typeEPNSP_ISK_E10value_typeEPSL_NS1_7vsmem_tEENKUlT_SJ_SK_SL_E_clIPiSE_SF_SF_EESI_SY_SJ_SK_SL_EUlSY_E_NS1_11comp_targetILNS1_3genE8ELNS1_11target_archE1030ELNS1_3gpuE2ELNS1_3repE0EEENS1_48merge_mergepath_partition_config_static_selectorELNS0_4arch9wavefront6targetE0EEEvSK_
		.amdhsa_group_segment_fixed_size 0
		.amdhsa_private_segment_fixed_size 0
		.amdhsa_kernarg_size 48
		.amdhsa_user_sgpr_count 6
		.amdhsa_user_sgpr_private_segment_buffer 1
		.amdhsa_user_sgpr_dispatch_ptr 0
		.amdhsa_user_sgpr_queue_ptr 0
		.amdhsa_user_sgpr_kernarg_segment_ptr 1
		.amdhsa_user_sgpr_dispatch_id 0
		.amdhsa_user_sgpr_flat_scratch_init 0
		.amdhsa_user_sgpr_private_segment_size 0
		.amdhsa_wavefront_size32 1
		.amdhsa_uses_dynamic_stack 0
		.amdhsa_system_sgpr_private_segment_wavefront_offset 0
		.amdhsa_system_sgpr_workgroup_id_x 1
		.amdhsa_system_sgpr_workgroup_id_y 0
		.amdhsa_system_sgpr_workgroup_id_z 0
		.amdhsa_system_sgpr_workgroup_info 0
		.amdhsa_system_vgpr_workitem_id 0
		.amdhsa_next_free_vgpr 17
		.amdhsa_next_free_sgpr 16
		.amdhsa_reserve_vcc 1
		.amdhsa_reserve_flat_scratch 0
		.amdhsa_float_round_mode_32 0
		.amdhsa_float_round_mode_16_64 0
		.amdhsa_float_denorm_mode_32 3
		.amdhsa_float_denorm_mode_16_64 3
		.amdhsa_dx10_clamp 1
		.amdhsa_ieee_mode 1
		.amdhsa_fp16_overflow 0
		.amdhsa_workgroup_processor_mode 1
		.amdhsa_memory_ordered 1
		.amdhsa_forward_progress 1
		.amdhsa_shared_vgpr_count 0
		.amdhsa_exception_fp_ieee_invalid_op 0
		.amdhsa_exception_fp_denorm_src 0
		.amdhsa_exception_fp_ieee_div_zero 0
		.amdhsa_exception_fp_ieee_overflow 0
		.amdhsa_exception_fp_ieee_underflow 0
		.amdhsa_exception_fp_ieee_inexact 0
		.amdhsa_exception_int_div_zero 0
	.end_amdhsa_kernel
	.section	.text._ZN7rocprim17ROCPRIM_400000_NS6detail17trampoline_kernelINS0_14default_configENS1_38merge_sort_block_merge_config_selectorIiNS0_10empty_typeEEEZZNS1_27merge_sort_block_merge_implIS3_N6thrust23THRUST_200600_302600_NS6detail15normal_iteratorINS9_10device_ptrIiEEEEPS5_m9comp_mod3IiEEE10hipError_tT0_T1_T2_jT3_P12ihipStream_tbPNSt15iterator_traitsISJ_E10value_typeEPNSP_ISK_E10value_typeEPSL_NS1_7vsmem_tEENKUlT_SJ_SK_SL_E_clIPiSE_SF_SF_EESI_SY_SJ_SK_SL_EUlSY_E_NS1_11comp_targetILNS1_3genE8ELNS1_11target_archE1030ELNS1_3gpuE2ELNS1_3repE0EEENS1_48merge_mergepath_partition_config_static_selectorELNS0_4arch9wavefront6targetE0EEEvSK_,"axG",@progbits,_ZN7rocprim17ROCPRIM_400000_NS6detail17trampoline_kernelINS0_14default_configENS1_38merge_sort_block_merge_config_selectorIiNS0_10empty_typeEEEZZNS1_27merge_sort_block_merge_implIS3_N6thrust23THRUST_200600_302600_NS6detail15normal_iteratorINS9_10device_ptrIiEEEEPS5_m9comp_mod3IiEEE10hipError_tT0_T1_T2_jT3_P12ihipStream_tbPNSt15iterator_traitsISJ_E10value_typeEPNSP_ISK_E10value_typeEPSL_NS1_7vsmem_tEENKUlT_SJ_SK_SL_E_clIPiSE_SF_SF_EESI_SY_SJ_SK_SL_EUlSY_E_NS1_11comp_targetILNS1_3genE8ELNS1_11target_archE1030ELNS1_3gpuE2ELNS1_3repE0EEENS1_48merge_mergepath_partition_config_static_selectorELNS0_4arch9wavefront6targetE0EEEvSK_,comdat
.Lfunc_end995:
	.size	_ZN7rocprim17ROCPRIM_400000_NS6detail17trampoline_kernelINS0_14default_configENS1_38merge_sort_block_merge_config_selectorIiNS0_10empty_typeEEEZZNS1_27merge_sort_block_merge_implIS3_N6thrust23THRUST_200600_302600_NS6detail15normal_iteratorINS9_10device_ptrIiEEEEPS5_m9comp_mod3IiEEE10hipError_tT0_T1_T2_jT3_P12ihipStream_tbPNSt15iterator_traitsISJ_E10value_typeEPNSP_ISK_E10value_typeEPSL_NS1_7vsmem_tEENKUlT_SJ_SK_SL_E_clIPiSE_SF_SF_EESI_SY_SJ_SK_SL_EUlSY_E_NS1_11comp_targetILNS1_3genE8ELNS1_11target_archE1030ELNS1_3gpuE2ELNS1_3repE0EEENS1_48merge_mergepath_partition_config_static_selectorELNS0_4arch9wavefront6targetE0EEEvSK_, .Lfunc_end995-_ZN7rocprim17ROCPRIM_400000_NS6detail17trampoline_kernelINS0_14default_configENS1_38merge_sort_block_merge_config_selectorIiNS0_10empty_typeEEEZZNS1_27merge_sort_block_merge_implIS3_N6thrust23THRUST_200600_302600_NS6detail15normal_iteratorINS9_10device_ptrIiEEEEPS5_m9comp_mod3IiEEE10hipError_tT0_T1_T2_jT3_P12ihipStream_tbPNSt15iterator_traitsISJ_E10value_typeEPNSP_ISK_E10value_typeEPSL_NS1_7vsmem_tEENKUlT_SJ_SK_SL_E_clIPiSE_SF_SF_EESI_SY_SJ_SK_SL_EUlSY_E_NS1_11comp_targetILNS1_3genE8ELNS1_11target_archE1030ELNS1_3gpuE2ELNS1_3repE0EEENS1_48merge_mergepath_partition_config_static_selectorELNS0_4arch9wavefront6targetE0EEEvSK_
                                        ; -- End function
	.set _ZN7rocprim17ROCPRIM_400000_NS6detail17trampoline_kernelINS0_14default_configENS1_38merge_sort_block_merge_config_selectorIiNS0_10empty_typeEEEZZNS1_27merge_sort_block_merge_implIS3_N6thrust23THRUST_200600_302600_NS6detail15normal_iteratorINS9_10device_ptrIiEEEEPS5_m9comp_mod3IiEEE10hipError_tT0_T1_T2_jT3_P12ihipStream_tbPNSt15iterator_traitsISJ_E10value_typeEPNSP_ISK_E10value_typeEPSL_NS1_7vsmem_tEENKUlT_SJ_SK_SL_E_clIPiSE_SF_SF_EESI_SY_SJ_SK_SL_EUlSY_E_NS1_11comp_targetILNS1_3genE8ELNS1_11target_archE1030ELNS1_3gpuE2ELNS1_3repE0EEENS1_48merge_mergepath_partition_config_static_selectorELNS0_4arch9wavefront6targetE0EEEvSK_.num_vgpr, 17
	.set _ZN7rocprim17ROCPRIM_400000_NS6detail17trampoline_kernelINS0_14default_configENS1_38merge_sort_block_merge_config_selectorIiNS0_10empty_typeEEEZZNS1_27merge_sort_block_merge_implIS3_N6thrust23THRUST_200600_302600_NS6detail15normal_iteratorINS9_10device_ptrIiEEEEPS5_m9comp_mod3IiEEE10hipError_tT0_T1_T2_jT3_P12ihipStream_tbPNSt15iterator_traitsISJ_E10value_typeEPNSP_ISK_E10value_typeEPSL_NS1_7vsmem_tEENKUlT_SJ_SK_SL_E_clIPiSE_SF_SF_EESI_SY_SJ_SK_SL_EUlSY_E_NS1_11comp_targetILNS1_3genE8ELNS1_11target_archE1030ELNS1_3gpuE2ELNS1_3repE0EEENS1_48merge_mergepath_partition_config_static_selectorELNS0_4arch9wavefront6targetE0EEEvSK_.num_agpr, 0
	.set _ZN7rocprim17ROCPRIM_400000_NS6detail17trampoline_kernelINS0_14default_configENS1_38merge_sort_block_merge_config_selectorIiNS0_10empty_typeEEEZZNS1_27merge_sort_block_merge_implIS3_N6thrust23THRUST_200600_302600_NS6detail15normal_iteratorINS9_10device_ptrIiEEEEPS5_m9comp_mod3IiEEE10hipError_tT0_T1_T2_jT3_P12ihipStream_tbPNSt15iterator_traitsISJ_E10value_typeEPNSP_ISK_E10value_typeEPSL_NS1_7vsmem_tEENKUlT_SJ_SK_SL_E_clIPiSE_SF_SF_EESI_SY_SJ_SK_SL_EUlSY_E_NS1_11comp_targetILNS1_3genE8ELNS1_11target_archE1030ELNS1_3gpuE2ELNS1_3repE0EEENS1_48merge_mergepath_partition_config_static_selectorELNS0_4arch9wavefront6targetE0EEEvSK_.numbered_sgpr, 16
	.set _ZN7rocprim17ROCPRIM_400000_NS6detail17trampoline_kernelINS0_14default_configENS1_38merge_sort_block_merge_config_selectorIiNS0_10empty_typeEEEZZNS1_27merge_sort_block_merge_implIS3_N6thrust23THRUST_200600_302600_NS6detail15normal_iteratorINS9_10device_ptrIiEEEEPS5_m9comp_mod3IiEEE10hipError_tT0_T1_T2_jT3_P12ihipStream_tbPNSt15iterator_traitsISJ_E10value_typeEPNSP_ISK_E10value_typeEPSL_NS1_7vsmem_tEENKUlT_SJ_SK_SL_E_clIPiSE_SF_SF_EESI_SY_SJ_SK_SL_EUlSY_E_NS1_11comp_targetILNS1_3genE8ELNS1_11target_archE1030ELNS1_3gpuE2ELNS1_3repE0EEENS1_48merge_mergepath_partition_config_static_selectorELNS0_4arch9wavefront6targetE0EEEvSK_.num_named_barrier, 0
	.set _ZN7rocprim17ROCPRIM_400000_NS6detail17trampoline_kernelINS0_14default_configENS1_38merge_sort_block_merge_config_selectorIiNS0_10empty_typeEEEZZNS1_27merge_sort_block_merge_implIS3_N6thrust23THRUST_200600_302600_NS6detail15normal_iteratorINS9_10device_ptrIiEEEEPS5_m9comp_mod3IiEEE10hipError_tT0_T1_T2_jT3_P12ihipStream_tbPNSt15iterator_traitsISJ_E10value_typeEPNSP_ISK_E10value_typeEPSL_NS1_7vsmem_tEENKUlT_SJ_SK_SL_E_clIPiSE_SF_SF_EESI_SY_SJ_SK_SL_EUlSY_E_NS1_11comp_targetILNS1_3genE8ELNS1_11target_archE1030ELNS1_3gpuE2ELNS1_3repE0EEENS1_48merge_mergepath_partition_config_static_selectorELNS0_4arch9wavefront6targetE0EEEvSK_.private_seg_size, 0
	.set _ZN7rocprim17ROCPRIM_400000_NS6detail17trampoline_kernelINS0_14default_configENS1_38merge_sort_block_merge_config_selectorIiNS0_10empty_typeEEEZZNS1_27merge_sort_block_merge_implIS3_N6thrust23THRUST_200600_302600_NS6detail15normal_iteratorINS9_10device_ptrIiEEEEPS5_m9comp_mod3IiEEE10hipError_tT0_T1_T2_jT3_P12ihipStream_tbPNSt15iterator_traitsISJ_E10value_typeEPNSP_ISK_E10value_typeEPSL_NS1_7vsmem_tEENKUlT_SJ_SK_SL_E_clIPiSE_SF_SF_EESI_SY_SJ_SK_SL_EUlSY_E_NS1_11comp_targetILNS1_3genE8ELNS1_11target_archE1030ELNS1_3gpuE2ELNS1_3repE0EEENS1_48merge_mergepath_partition_config_static_selectorELNS0_4arch9wavefront6targetE0EEEvSK_.uses_vcc, 1
	.set _ZN7rocprim17ROCPRIM_400000_NS6detail17trampoline_kernelINS0_14default_configENS1_38merge_sort_block_merge_config_selectorIiNS0_10empty_typeEEEZZNS1_27merge_sort_block_merge_implIS3_N6thrust23THRUST_200600_302600_NS6detail15normal_iteratorINS9_10device_ptrIiEEEEPS5_m9comp_mod3IiEEE10hipError_tT0_T1_T2_jT3_P12ihipStream_tbPNSt15iterator_traitsISJ_E10value_typeEPNSP_ISK_E10value_typeEPSL_NS1_7vsmem_tEENKUlT_SJ_SK_SL_E_clIPiSE_SF_SF_EESI_SY_SJ_SK_SL_EUlSY_E_NS1_11comp_targetILNS1_3genE8ELNS1_11target_archE1030ELNS1_3gpuE2ELNS1_3repE0EEENS1_48merge_mergepath_partition_config_static_selectorELNS0_4arch9wavefront6targetE0EEEvSK_.uses_flat_scratch, 0
	.set _ZN7rocprim17ROCPRIM_400000_NS6detail17trampoline_kernelINS0_14default_configENS1_38merge_sort_block_merge_config_selectorIiNS0_10empty_typeEEEZZNS1_27merge_sort_block_merge_implIS3_N6thrust23THRUST_200600_302600_NS6detail15normal_iteratorINS9_10device_ptrIiEEEEPS5_m9comp_mod3IiEEE10hipError_tT0_T1_T2_jT3_P12ihipStream_tbPNSt15iterator_traitsISJ_E10value_typeEPNSP_ISK_E10value_typeEPSL_NS1_7vsmem_tEENKUlT_SJ_SK_SL_E_clIPiSE_SF_SF_EESI_SY_SJ_SK_SL_EUlSY_E_NS1_11comp_targetILNS1_3genE8ELNS1_11target_archE1030ELNS1_3gpuE2ELNS1_3repE0EEENS1_48merge_mergepath_partition_config_static_selectorELNS0_4arch9wavefront6targetE0EEEvSK_.has_dyn_sized_stack, 0
	.set _ZN7rocprim17ROCPRIM_400000_NS6detail17trampoline_kernelINS0_14default_configENS1_38merge_sort_block_merge_config_selectorIiNS0_10empty_typeEEEZZNS1_27merge_sort_block_merge_implIS3_N6thrust23THRUST_200600_302600_NS6detail15normal_iteratorINS9_10device_ptrIiEEEEPS5_m9comp_mod3IiEEE10hipError_tT0_T1_T2_jT3_P12ihipStream_tbPNSt15iterator_traitsISJ_E10value_typeEPNSP_ISK_E10value_typeEPSL_NS1_7vsmem_tEENKUlT_SJ_SK_SL_E_clIPiSE_SF_SF_EESI_SY_SJ_SK_SL_EUlSY_E_NS1_11comp_targetILNS1_3genE8ELNS1_11target_archE1030ELNS1_3gpuE2ELNS1_3repE0EEENS1_48merge_mergepath_partition_config_static_selectorELNS0_4arch9wavefront6targetE0EEEvSK_.has_recursion, 0
	.set _ZN7rocprim17ROCPRIM_400000_NS6detail17trampoline_kernelINS0_14default_configENS1_38merge_sort_block_merge_config_selectorIiNS0_10empty_typeEEEZZNS1_27merge_sort_block_merge_implIS3_N6thrust23THRUST_200600_302600_NS6detail15normal_iteratorINS9_10device_ptrIiEEEEPS5_m9comp_mod3IiEEE10hipError_tT0_T1_T2_jT3_P12ihipStream_tbPNSt15iterator_traitsISJ_E10value_typeEPNSP_ISK_E10value_typeEPSL_NS1_7vsmem_tEENKUlT_SJ_SK_SL_E_clIPiSE_SF_SF_EESI_SY_SJ_SK_SL_EUlSY_E_NS1_11comp_targetILNS1_3genE8ELNS1_11target_archE1030ELNS1_3gpuE2ELNS1_3repE0EEENS1_48merge_mergepath_partition_config_static_selectorELNS0_4arch9wavefront6targetE0EEEvSK_.has_indirect_call, 0
	.section	.AMDGPU.csdata,"",@progbits
; Kernel info:
; codeLenInByte = 704
; TotalNumSgprs: 18
; NumVgprs: 17
; ScratchSize: 0
; MemoryBound: 0
; FloatMode: 240
; IeeeMode: 1
; LDSByteSize: 0 bytes/workgroup (compile time only)
; SGPRBlocks: 0
; VGPRBlocks: 2
; NumSGPRsForWavesPerEU: 18
; NumVGPRsForWavesPerEU: 17
; Occupancy: 16
; WaveLimiterHint : 1
; COMPUTE_PGM_RSRC2:SCRATCH_EN: 0
; COMPUTE_PGM_RSRC2:USER_SGPR: 6
; COMPUTE_PGM_RSRC2:TRAP_HANDLER: 0
; COMPUTE_PGM_RSRC2:TGID_X_EN: 1
; COMPUTE_PGM_RSRC2:TGID_Y_EN: 0
; COMPUTE_PGM_RSRC2:TGID_Z_EN: 0
; COMPUTE_PGM_RSRC2:TIDIG_COMP_CNT: 0
	.section	.text._ZN7rocprim17ROCPRIM_400000_NS6detail17trampoline_kernelINS0_14default_configENS1_38merge_sort_block_merge_config_selectorIiNS0_10empty_typeEEEZZNS1_27merge_sort_block_merge_implIS3_N6thrust23THRUST_200600_302600_NS6detail15normal_iteratorINS9_10device_ptrIiEEEEPS5_m9comp_mod3IiEEE10hipError_tT0_T1_T2_jT3_P12ihipStream_tbPNSt15iterator_traitsISJ_E10value_typeEPNSP_ISK_E10value_typeEPSL_NS1_7vsmem_tEENKUlT_SJ_SK_SL_E_clIPiSE_SF_SF_EESI_SY_SJ_SK_SL_EUlSY_E0_NS1_11comp_targetILNS1_3genE0ELNS1_11target_archE4294967295ELNS1_3gpuE0ELNS1_3repE0EEENS1_38merge_mergepath_config_static_selectorELNS0_4arch9wavefront6targetE0EEEvSK_,"axG",@progbits,_ZN7rocprim17ROCPRIM_400000_NS6detail17trampoline_kernelINS0_14default_configENS1_38merge_sort_block_merge_config_selectorIiNS0_10empty_typeEEEZZNS1_27merge_sort_block_merge_implIS3_N6thrust23THRUST_200600_302600_NS6detail15normal_iteratorINS9_10device_ptrIiEEEEPS5_m9comp_mod3IiEEE10hipError_tT0_T1_T2_jT3_P12ihipStream_tbPNSt15iterator_traitsISJ_E10value_typeEPNSP_ISK_E10value_typeEPSL_NS1_7vsmem_tEENKUlT_SJ_SK_SL_E_clIPiSE_SF_SF_EESI_SY_SJ_SK_SL_EUlSY_E0_NS1_11comp_targetILNS1_3genE0ELNS1_11target_archE4294967295ELNS1_3gpuE0ELNS1_3repE0EEENS1_38merge_mergepath_config_static_selectorELNS0_4arch9wavefront6targetE0EEEvSK_,comdat
	.protected	_ZN7rocprim17ROCPRIM_400000_NS6detail17trampoline_kernelINS0_14default_configENS1_38merge_sort_block_merge_config_selectorIiNS0_10empty_typeEEEZZNS1_27merge_sort_block_merge_implIS3_N6thrust23THRUST_200600_302600_NS6detail15normal_iteratorINS9_10device_ptrIiEEEEPS5_m9comp_mod3IiEEE10hipError_tT0_T1_T2_jT3_P12ihipStream_tbPNSt15iterator_traitsISJ_E10value_typeEPNSP_ISK_E10value_typeEPSL_NS1_7vsmem_tEENKUlT_SJ_SK_SL_E_clIPiSE_SF_SF_EESI_SY_SJ_SK_SL_EUlSY_E0_NS1_11comp_targetILNS1_3genE0ELNS1_11target_archE4294967295ELNS1_3gpuE0ELNS1_3repE0EEENS1_38merge_mergepath_config_static_selectorELNS0_4arch9wavefront6targetE0EEEvSK_ ; -- Begin function _ZN7rocprim17ROCPRIM_400000_NS6detail17trampoline_kernelINS0_14default_configENS1_38merge_sort_block_merge_config_selectorIiNS0_10empty_typeEEEZZNS1_27merge_sort_block_merge_implIS3_N6thrust23THRUST_200600_302600_NS6detail15normal_iteratorINS9_10device_ptrIiEEEEPS5_m9comp_mod3IiEEE10hipError_tT0_T1_T2_jT3_P12ihipStream_tbPNSt15iterator_traitsISJ_E10value_typeEPNSP_ISK_E10value_typeEPSL_NS1_7vsmem_tEENKUlT_SJ_SK_SL_E_clIPiSE_SF_SF_EESI_SY_SJ_SK_SL_EUlSY_E0_NS1_11comp_targetILNS1_3genE0ELNS1_11target_archE4294967295ELNS1_3gpuE0ELNS1_3repE0EEENS1_38merge_mergepath_config_static_selectorELNS0_4arch9wavefront6targetE0EEEvSK_
	.globl	_ZN7rocprim17ROCPRIM_400000_NS6detail17trampoline_kernelINS0_14default_configENS1_38merge_sort_block_merge_config_selectorIiNS0_10empty_typeEEEZZNS1_27merge_sort_block_merge_implIS3_N6thrust23THRUST_200600_302600_NS6detail15normal_iteratorINS9_10device_ptrIiEEEEPS5_m9comp_mod3IiEEE10hipError_tT0_T1_T2_jT3_P12ihipStream_tbPNSt15iterator_traitsISJ_E10value_typeEPNSP_ISK_E10value_typeEPSL_NS1_7vsmem_tEENKUlT_SJ_SK_SL_E_clIPiSE_SF_SF_EESI_SY_SJ_SK_SL_EUlSY_E0_NS1_11comp_targetILNS1_3genE0ELNS1_11target_archE4294967295ELNS1_3gpuE0ELNS1_3repE0EEENS1_38merge_mergepath_config_static_selectorELNS0_4arch9wavefront6targetE0EEEvSK_
	.p2align	8
	.type	_ZN7rocprim17ROCPRIM_400000_NS6detail17trampoline_kernelINS0_14default_configENS1_38merge_sort_block_merge_config_selectorIiNS0_10empty_typeEEEZZNS1_27merge_sort_block_merge_implIS3_N6thrust23THRUST_200600_302600_NS6detail15normal_iteratorINS9_10device_ptrIiEEEEPS5_m9comp_mod3IiEEE10hipError_tT0_T1_T2_jT3_P12ihipStream_tbPNSt15iterator_traitsISJ_E10value_typeEPNSP_ISK_E10value_typeEPSL_NS1_7vsmem_tEENKUlT_SJ_SK_SL_E_clIPiSE_SF_SF_EESI_SY_SJ_SK_SL_EUlSY_E0_NS1_11comp_targetILNS1_3genE0ELNS1_11target_archE4294967295ELNS1_3gpuE0ELNS1_3repE0EEENS1_38merge_mergepath_config_static_selectorELNS0_4arch9wavefront6targetE0EEEvSK_,@function
_ZN7rocprim17ROCPRIM_400000_NS6detail17trampoline_kernelINS0_14default_configENS1_38merge_sort_block_merge_config_selectorIiNS0_10empty_typeEEEZZNS1_27merge_sort_block_merge_implIS3_N6thrust23THRUST_200600_302600_NS6detail15normal_iteratorINS9_10device_ptrIiEEEEPS5_m9comp_mod3IiEEE10hipError_tT0_T1_T2_jT3_P12ihipStream_tbPNSt15iterator_traitsISJ_E10value_typeEPNSP_ISK_E10value_typeEPSL_NS1_7vsmem_tEENKUlT_SJ_SK_SL_E_clIPiSE_SF_SF_EESI_SY_SJ_SK_SL_EUlSY_E0_NS1_11comp_targetILNS1_3genE0ELNS1_11target_archE4294967295ELNS1_3gpuE0ELNS1_3repE0EEENS1_38merge_mergepath_config_static_selectorELNS0_4arch9wavefront6targetE0EEEvSK_: ; @_ZN7rocprim17ROCPRIM_400000_NS6detail17trampoline_kernelINS0_14default_configENS1_38merge_sort_block_merge_config_selectorIiNS0_10empty_typeEEEZZNS1_27merge_sort_block_merge_implIS3_N6thrust23THRUST_200600_302600_NS6detail15normal_iteratorINS9_10device_ptrIiEEEEPS5_m9comp_mod3IiEEE10hipError_tT0_T1_T2_jT3_P12ihipStream_tbPNSt15iterator_traitsISJ_E10value_typeEPNSP_ISK_E10value_typeEPSL_NS1_7vsmem_tEENKUlT_SJ_SK_SL_E_clIPiSE_SF_SF_EESI_SY_SJ_SK_SL_EUlSY_E0_NS1_11comp_targetILNS1_3genE0ELNS1_11target_archE4294967295ELNS1_3gpuE0ELNS1_3repE0EEENS1_38merge_mergepath_config_static_selectorELNS0_4arch9wavefront6targetE0EEEvSK_
; %bb.0:
	.section	.rodata,"a",@progbits
	.p2align	6, 0x0
	.amdhsa_kernel _ZN7rocprim17ROCPRIM_400000_NS6detail17trampoline_kernelINS0_14default_configENS1_38merge_sort_block_merge_config_selectorIiNS0_10empty_typeEEEZZNS1_27merge_sort_block_merge_implIS3_N6thrust23THRUST_200600_302600_NS6detail15normal_iteratorINS9_10device_ptrIiEEEEPS5_m9comp_mod3IiEEE10hipError_tT0_T1_T2_jT3_P12ihipStream_tbPNSt15iterator_traitsISJ_E10value_typeEPNSP_ISK_E10value_typeEPSL_NS1_7vsmem_tEENKUlT_SJ_SK_SL_E_clIPiSE_SF_SF_EESI_SY_SJ_SK_SL_EUlSY_E0_NS1_11comp_targetILNS1_3genE0ELNS1_11target_archE4294967295ELNS1_3gpuE0ELNS1_3repE0EEENS1_38merge_mergepath_config_static_selectorELNS0_4arch9wavefront6targetE0EEEvSK_
		.amdhsa_group_segment_fixed_size 0
		.amdhsa_private_segment_fixed_size 0
		.amdhsa_kernarg_size 80
		.amdhsa_user_sgpr_count 6
		.amdhsa_user_sgpr_private_segment_buffer 1
		.amdhsa_user_sgpr_dispatch_ptr 0
		.amdhsa_user_sgpr_queue_ptr 0
		.amdhsa_user_sgpr_kernarg_segment_ptr 1
		.amdhsa_user_sgpr_dispatch_id 0
		.amdhsa_user_sgpr_flat_scratch_init 0
		.amdhsa_user_sgpr_private_segment_size 0
		.amdhsa_wavefront_size32 1
		.amdhsa_uses_dynamic_stack 0
		.amdhsa_system_sgpr_private_segment_wavefront_offset 0
		.amdhsa_system_sgpr_workgroup_id_x 1
		.amdhsa_system_sgpr_workgroup_id_y 0
		.amdhsa_system_sgpr_workgroup_id_z 0
		.amdhsa_system_sgpr_workgroup_info 0
		.amdhsa_system_vgpr_workitem_id 0
		.amdhsa_next_free_vgpr 1
		.amdhsa_next_free_sgpr 1
		.amdhsa_reserve_vcc 0
		.amdhsa_reserve_flat_scratch 0
		.amdhsa_float_round_mode_32 0
		.amdhsa_float_round_mode_16_64 0
		.amdhsa_float_denorm_mode_32 3
		.amdhsa_float_denorm_mode_16_64 3
		.amdhsa_dx10_clamp 1
		.amdhsa_ieee_mode 1
		.amdhsa_fp16_overflow 0
		.amdhsa_workgroup_processor_mode 1
		.amdhsa_memory_ordered 1
		.amdhsa_forward_progress 1
		.amdhsa_shared_vgpr_count 0
		.amdhsa_exception_fp_ieee_invalid_op 0
		.amdhsa_exception_fp_denorm_src 0
		.amdhsa_exception_fp_ieee_div_zero 0
		.amdhsa_exception_fp_ieee_overflow 0
		.amdhsa_exception_fp_ieee_underflow 0
		.amdhsa_exception_fp_ieee_inexact 0
		.amdhsa_exception_int_div_zero 0
	.end_amdhsa_kernel
	.section	.text._ZN7rocprim17ROCPRIM_400000_NS6detail17trampoline_kernelINS0_14default_configENS1_38merge_sort_block_merge_config_selectorIiNS0_10empty_typeEEEZZNS1_27merge_sort_block_merge_implIS3_N6thrust23THRUST_200600_302600_NS6detail15normal_iteratorINS9_10device_ptrIiEEEEPS5_m9comp_mod3IiEEE10hipError_tT0_T1_T2_jT3_P12ihipStream_tbPNSt15iterator_traitsISJ_E10value_typeEPNSP_ISK_E10value_typeEPSL_NS1_7vsmem_tEENKUlT_SJ_SK_SL_E_clIPiSE_SF_SF_EESI_SY_SJ_SK_SL_EUlSY_E0_NS1_11comp_targetILNS1_3genE0ELNS1_11target_archE4294967295ELNS1_3gpuE0ELNS1_3repE0EEENS1_38merge_mergepath_config_static_selectorELNS0_4arch9wavefront6targetE0EEEvSK_,"axG",@progbits,_ZN7rocprim17ROCPRIM_400000_NS6detail17trampoline_kernelINS0_14default_configENS1_38merge_sort_block_merge_config_selectorIiNS0_10empty_typeEEEZZNS1_27merge_sort_block_merge_implIS3_N6thrust23THRUST_200600_302600_NS6detail15normal_iteratorINS9_10device_ptrIiEEEEPS5_m9comp_mod3IiEEE10hipError_tT0_T1_T2_jT3_P12ihipStream_tbPNSt15iterator_traitsISJ_E10value_typeEPNSP_ISK_E10value_typeEPSL_NS1_7vsmem_tEENKUlT_SJ_SK_SL_E_clIPiSE_SF_SF_EESI_SY_SJ_SK_SL_EUlSY_E0_NS1_11comp_targetILNS1_3genE0ELNS1_11target_archE4294967295ELNS1_3gpuE0ELNS1_3repE0EEENS1_38merge_mergepath_config_static_selectorELNS0_4arch9wavefront6targetE0EEEvSK_,comdat
.Lfunc_end996:
	.size	_ZN7rocprim17ROCPRIM_400000_NS6detail17trampoline_kernelINS0_14default_configENS1_38merge_sort_block_merge_config_selectorIiNS0_10empty_typeEEEZZNS1_27merge_sort_block_merge_implIS3_N6thrust23THRUST_200600_302600_NS6detail15normal_iteratorINS9_10device_ptrIiEEEEPS5_m9comp_mod3IiEEE10hipError_tT0_T1_T2_jT3_P12ihipStream_tbPNSt15iterator_traitsISJ_E10value_typeEPNSP_ISK_E10value_typeEPSL_NS1_7vsmem_tEENKUlT_SJ_SK_SL_E_clIPiSE_SF_SF_EESI_SY_SJ_SK_SL_EUlSY_E0_NS1_11comp_targetILNS1_3genE0ELNS1_11target_archE4294967295ELNS1_3gpuE0ELNS1_3repE0EEENS1_38merge_mergepath_config_static_selectorELNS0_4arch9wavefront6targetE0EEEvSK_, .Lfunc_end996-_ZN7rocprim17ROCPRIM_400000_NS6detail17trampoline_kernelINS0_14default_configENS1_38merge_sort_block_merge_config_selectorIiNS0_10empty_typeEEEZZNS1_27merge_sort_block_merge_implIS3_N6thrust23THRUST_200600_302600_NS6detail15normal_iteratorINS9_10device_ptrIiEEEEPS5_m9comp_mod3IiEEE10hipError_tT0_T1_T2_jT3_P12ihipStream_tbPNSt15iterator_traitsISJ_E10value_typeEPNSP_ISK_E10value_typeEPSL_NS1_7vsmem_tEENKUlT_SJ_SK_SL_E_clIPiSE_SF_SF_EESI_SY_SJ_SK_SL_EUlSY_E0_NS1_11comp_targetILNS1_3genE0ELNS1_11target_archE4294967295ELNS1_3gpuE0ELNS1_3repE0EEENS1_38merge_mergepath_config_static_selectorELNS0_4arch9wavefront6targetE0EEEvSK_
                                        ; -- End function
	.set _ZN7rocprim17ROCPRIM_400000_NS6detail17trampoline_kernelINS0_14default_configENS1_38merge_sort_block_merge_config_selectorIiNS0_10empty_typeEEEZZNS1_27merge_sort_block_merge_implIS3_N6thrust23THRUST_200600_302600_NS6detail15normal_iteratorINS9_10device_ptrIiEEEEPS5_m9comp_mod3IiEEE10hipError_tT0_T1_T2_jT3_P12ihipStream_tbPNSt15iterator_traitsISJ_E10value_typeEPNSP_ISK_E10value_typeEPSL_NS1_7vsmem_tEENKUlT_SJ_SK_SL_E_clIPiSE_SF_SF_EESI_SY_SJ_SK_SL_EUlSY_E0_NS1_11comp_targetILNS1_3genE0ELNS1_11target_archE4294967295ELNS1_3gpuE0ELNS1_3repE0EEENS1_38merge_mergepath_config_static_selectorELNS0_4arch9wavefront6targetE0EEEvSK_.num_vgpr, 0
	.set _ZN7rocprim17ROCPRIM_400000_NS6detail17trampoline_kernelINS0_14default_configENS1_38merge_sort_block_merge_config_selectorIiNS0_10empty_typeEEEZZNS1_27merge_sort_block_merge_implIS3_N6thrust23THRUST_200600_302600_NS6detail15normal_iteratorINS9_10device_ptrIiEEEEPS5_m9comp_mod3IiEEE10hipError_tT0_T1_T2_jT3_P12ihipStream_tbPNSt15iterator_traitsISJ_E10value_typeEPNSP_ISK_E10value_typeEPSL_NS1_7vsmem_tEENKUlT_SJ_SK_SL_E_clIPiSE_SF_SF_EESI_SY_SJ_SK_SL_EUlSY_E0_NS1_11comp_targetILNS1_3genE0ELNS1_11target_archE4294967295ELNS1_3gpuE0ELNS1_3repE0EEENS1_38merge_mergepath_config_static_selectorELNS0_4arch9wavefront6targetE0EEEvSK_.num_agpr, 0
	.set _ZN7rocprim17ROCPRIM_400000_NS6detail17trampoline_kernelINS0_14default_configENS1_38merge_sort_block_merge_config_selectorIiNS0_10empty_typeEEEZZNS1_27merge_sort_block_merge_implIS3_N6thrust23THRUST_200600_302600_NS6detail15normal_iteratorINS9_10device_ptrIiEEEEPS5_m9comp_mod3IiEEE10hipError_tT0_T1_T2_jT3_P12ihipStream_tbPNSt15iterator_traitsISJ_E10value_typeEPNSP_ISK_E10value_typeEPSL_NS1_7vsmem_tEENKUlT_SJ_SK_SL_E_clIPiSE_SF_SF_EESI_SY_SJ_SK_SL_EUlSY_E0_NS1_11comp_targetILNS1_3genE0ELNS1_11target_archE4294967295ELNS1_3gpuE0ELNS1_3repE0EEENS1_38merge_mergepath_config_static_selectorELNS0_4arch9wavefront6targetE0EEEvSK_.numbered_sgpr, 0
	.set _ZN7rocprim17ROCPRIM_400000_NS6detail17trampoline_kernelINS0_14default_configENS1_38merge_sort_block_merge_config_selectorIiNS0_10empty_typeEEEZZNS1_27merge_sort_block_merge_implIS3_N6thrust23THRUST_200600_302600_NS6detail15normal_iteratorINS9_10device_ptrIiEEEEPS5_m9comp_mod3IiEEE10hipError_tT0_T1_T2_jT3_P12ihipStream_tbPNSt15iterator_traitsISJ_E10value_typeEPNSP_ISK_E10value_typeEPSL_NS1_7vsmem_tEENKUlT_SJ_SK_SL_E_clIPiSE_SF_SF_EESI_SY_SJ_SK_SL_EUlSY_E0_NS1_11comp_targetILNS1_3genE0ELNS1_11target_archE4294967295ELNS1_3gpuE0ELNS1_3repE0EEENS1_38merge_mergepath_config_static_selectorELNS0_4arch9wavefront6targetE0EEEvSK_.num_named_barrier, 0
	.set _ZN7rocprim17ROCPRIM_400000_NS6detail17trampoline_kernelINS0_14default_configENS1_38merge_sort_block_merge_config_selectorIiNS0_10empty_typeEEEZZNS1_27merge_sort_block_merge_implIS3_N6thrust23THRUST_200600_302600_NS6detail15normal_iteratorINS9_10device_ptrIiEEEEPS5_m9comp_mod3IiEEE10hipError_tT0_T1_T2_jT3_P12ihipStream_tbPNSt15iterator_traitsISJ_E10value_typeEPNSP_ISK_E10value_typeEPSL_NS1_7vsmem_tEENKUlT_SJ_SK_SL_E_clIPiSE_SF_SF_EESI_SY_SJ_SK_SL_EUlSY_E0_NS1_11comp_targetILNS1_3genE0ELNS1_11target_archE4294967295ELNS1_3gpuE0ELNS1_3repE0EEENS1_38merge_mergepath_config_static_selectorELNS0_4arch9wavefront6targetE0EEEvSK_.private_seg_size, 0
	.set _ZN7rocprim17ROCPRIM_400000_NS6detail17trampoline_kernelINS0_14default_configENS1_38merge_sort_block_merge_config_selectorIiNS0_10empty_typeEEEZZNS1_27merge_sort_block_merge_implIS3_N6thrust23THRUST_200600_302600_NS6detail15normal_iteratorINS9_10device_ptrIiEEEEPS5_m9comp_mod3IiEEE10hipError_tT0_T1_T2_jT3_P12ihipStream_tbPNSt15iterator_traitsISJ_E10value_typeEPNSP_ISK_E10value_typeEPSL_NS1_7vsmem_tEENKUlT_SJ_SK_SL_E_clIPiSE_SF_SF_EESI_SY_SJ_SK_SL_EUlSY_E0_NS1_11comp_targetILNS1_3genE0ELNS1_11target_archE4294967295ELNS1_3gpuE0ELNS1_3repE0EEENS1_38merge_mergepath_config_static_selectorELNS0_4arch9wavefront6targetE0EEEvSK_.uses_vcc, 0
	.set _ZN7rocprim17ROCPRIM_400000_NS6detail17trampoline_kernelINS0_14default_configENS1_38merge_sort_block_merge_config_selectorIiNS0_10empty_typeEEEZZNS1_27merge_sort_block_merge_implIS3_N6thrust23THRUST_200600_302600_NS6detail15normal_iteratorINS9_10device_ptrIiEEEEPS5_m9comp_mod3IiEEE10hipError_tT0_T1_T2_jT3_P12ihipStream_tbPNSt15iterator_traitsISJ_E10value_typeEPNSP_ISK_E10value_typeEPSL_NS1_7vsmem_tEENKUlT_SJ_SK_SL_E_clIPiSE_SF_SF_EESI_SY_SJ_SK_SL_EUlSY_E0_NS1_11comp_targetILNS1_3genE0ELNS1_11target_archE4294967295ELNS1_3gpuE0ELNS1_3repE0EEENS1_38merge_mergepath_config_static_selectorELNS0_4arch9wavefront6targetE0EEEvSK_.uses_flat_scratch, 0
	.set _ZN7rocprim17ROCPRIM_400000_NS6detail17trampoline_kernelINS0_14default_configENS1_38merge_sort_block_merge_config_selectorIiNS0_10empty_typeEEEZZNS1_27merge_sort_block_merge_implIS3_N6thrust23THRUST_200600_302600_NS6detail15normal_iteratorINS9_10device_ptrIiEEEEPS5_m9comp_mod3IiEEE10hipError_tT0_T1_T2_jT3_P12ihipStream_tbPNSt15iterator_traitsISJ_E10value_typeEPNSP_ISK_E10value_typeEPSL_NS1_7vsmem_tEENKUlT_SJ_SK_SL_E_clIPiSE_SF_SF_EESI_SY_SJ_SK_SL_EUlSY_E0_NS1_11comp_targetILNS1_3genE0ELNS1_11target_archE4294967295ELNS1_3gpuE0ELNS1_3repE0EEENS1_38merge_mergepath_config_static_selectorELNS0_4arch9wavefront6targetE0EEEvSK_.has_dyn_sized_stack, 0
	.set _ZN7rocprim17ROCPRIM_400000_NS6detail17trampoline_kernelINS0_14default_configENS1_38merge_sort_block_merge_config_selectorIiNS0_10empty_typeEEEZZNS1_27merge_sort_block_merge_implIS3_N6thrust23THRUST_200600_302600_NS6detail15normal_iteratorINS9_10device_ptrIiEEEEPS5_m9comp_mod3IiEEE10hipError_tT0_T1_T2_jT3_P12ihipStream_tbPNSt15iterator_traitsISJ_E10value_typeEPNSP_ISK_E10value_typeEPSL_NS1_7vsmem_tEENKUlT_SJ_SK_SL_E_clIPiSE_SF_SF_EESI_SY_SJ_SK_SL_EUlSY_E0_NS1_11comp_targetILNS1_3genE0ELNS1_11target_archE4294967295ELNS1_3gpuE0ELNS1_3repE0EEENS1_38merge_mergepath_config_static_selectorELNS0_4arch9wavefront6targetE0EEEvSK_.has_recursion, 0
	.set _ZN7rocprim17ROCPRIM_400000_NS6detail17trampoline_kernelINS0_14default_configENS1_38merge_sort_block_merge_config_selectorIiNS0_10empty_typeEEEZZNS1_27merge_sort_block_merge_implIS3_N6thrust23THRUST_200600_302600_NS6detail15normal_iteratorINS9_10device_ptrIiEEEEPS5_m9comp_mod3IiEEE10hipError_tT0_T1_T2_jT3_P12ihipStream_tbPNSt15iterator_traitsISJ_E10value_typeEPNSP_ISK_E10value_typeEPSL_NS1_7vsmem_tEENKUlT_SJ_SK_SL_E_clIPiSE_SF_SF_EESI_SY_SJ_SK_SL_EUlSY_E0_NS1_11comp_targetILNS1_3genE0ELNS1_11target_archE4294967295ELNS1_3gpuE0ELNS1_3repE0EEENS1_38merge_mergepath_config_static_selectorELNS0_4arch9wavefront6targetE0EEEvSK_.has_indirect_call, 0
	.section	.AMDGPU.csdata,"",@progbits
; Kernel info:
; codeLenInByte = 0
; TotalNumSgprs: 0
; NumVgprs: 0
; ScratchSize: 0
; MemoryBound: 0
; FloatMode: 240
; IeeeMode: 1
; LDSByteSize: 0 bytes/workgroup (compile time only)
; SGPRBlocks: 0
; VGPRBlocks: 0
; NumSGPRsForWavesPerEU: 1
; NumVGPRsForWavesPerEU: 1
; Occupancy: 16
; WaveLimiterHint : 0
; COMPUTE_PGM_RSRC2:SCRATCH_EN: 0
; COMPUTE_PGM_RSRC2:USER_SGPR: 6
; COMPUTE_PGM_RSRC2:TRAP_HANDLER: 0
; COMPUTE_PGM_RSRC2:TGID_X_EN: 1
; COMPUTE_PGM_RSRC2:TGID_Y_EN: 0
; COMPUTE_PGM_RSRC2:TGID_Z_EN: 0
; COMPUTE_PGM_RSRC2:TIDIG_COMP_CNT: 0
	.section	.text._ZN7rocprim17ROCPRIM_400000_NS6detail17trampoline_kernelINS0_14default_configENS1_38merge_sort_block_merge_config_selectorIiNS0_10empty_typeEEEZZNS1_27merge_sort_block_merge_implIS3_N6thrust23THRUST_200600_302600_NS6detail15normal_iteratorINS9_10device_ptrIiEEEEPS5_m9comp_mod3IiEEE10hipError_tT0_T1_T2_jT3_P12ihipStream_tbPNSt15iterator_traitsISJ_E10value_typeEPNSP_ISK_E10value_typeEPSL_NS1_7vsmem_tEENKUlT_SJ_SK_SL_E_clIPiSE_SF_SF_EESI_SY_SJ_SK_SL_EUlSY_E0_NS1_11comp_targetILNS1_3genE10ELNS1_11target_archE1201ELNS1_3gpuE5ELNS1_3repE0EEENS1_38merge_mergepath_config_static_selectorELNS0_4arch9wavefront6targetE0EEEvSK_,"axG",@progbits,_ZN7rocprim17ROCPRIM_400000_NS6detail17trampoline_kernelINS0_14default_configENS1_38merge_sort_block_merge_config_selectorIiNS0_10empty_typeEEEZZNS1_27merge_sort_block_merge_implIS3_N6thrust23THRUST_200600_302600_NS6detail15normal_iteratorINS9_10device_ptrIiEEEEPS5_m9comp_mod3IiEEE10hipError_tT0_T1_T2_jT3_P12ihipStream_tbPNSt15iterator_traitsISJ_E10value_typeEPNSP_ISK_E10value_typeEPSL_NS1_7vsmem_tEENKUlT_SJ_SK_SL_E_clIPiSE_SF_SF_EESI_SY_SJ_SK_SL_EUlSY_E0_NS1_11comp_targetILNS1_3genE10ELNS1_11target_archE1201ELNS1_3gpuE5ELNS1_3repE0EEENS1_38merge_mergepath_config_static_selectorELNS0_4arch9wavefront6targetE0EEEvSK_,comdat
	.protected	_ZN7rocprim17ROCPRIM_400000_NS6detail17trampoline_kernelINS0_14default_configENS1_38merge_sort_block_merge_config_selectorIiNS0_10empty_typeEEEZZNS1_27merge_sort_block_merge_implIS3_N6thrust23THRUST_200600_302600_NS6detail15normal_iteratorINS9_10device_ptrIiEEEEPS5_m9comp_mod3IiEEE10hipError_tT0_T1_T2_jT3_P12ihipStream_tbPNSt15iterator_traitsISJ_E10value_typeEPNSP_ISK_E10value_typeEPSL_NS1_7vsmem_tEENKUlT_SJ_SK_SL_E_clIPiSE_SF_SF_EESI_SY_SJ_SK_SL_EUlSY_E0_NS1_11comp_targetILNS1_3genE10ELNS1_11target_archE1201ELNS1_3gpuE5ELNS1_3repE0EEENS1_38merge_mergepath_config_static_selectorELNS0_4arch9wavefront6targetE0EEEvSK_ ; -- Begin function _ZN7rocprim17ROCPRIM_400000_NS6detail17trampoline_kernelINS0_14default_configENS1_38merge_sort_block_merge_config_selectorIiNS0_10empty_typeEEEZZNS1_27merge_sort_block_merge_implIS3_N6thrust23THRUST_200600_302600_NS6detail15normal_iteratorINS9_10device_ptrIiEEEEPS5_m9comp_mod3IiEEE10hipError_tT0_T1_T2_jT3_P12ihipStream_tbPNSt15iterator_traitsISJ_E10value_typeEPNSP_ISK_E10value_typeEPSL_NS1_7vsmem_tEENKUlT_SJ_SK_SL_E_clIPiSE_SF_SF_EESI_SY_SJ_SK_SL_EUlSY_E0_NS1_11comp_targetILNS1_3genE10ELNS1_11target_archE1201ELNS1_3gpuE5ELNS1_3repE0EEENS1_38merge_mergepath_config_static_selectorELNS0_4arch9wavefront6targetE0EEEvSK_
	.globl	_ZN7rocprim17ROCPRIM_400000_NS6detail17trampoline_kernelINS0_14default_configENS1_38merge_sort_block_merge_config_selectorIiNS0_10empty_typeEEEZZNS1_27merge_sort_block_merge_implIS3_N6thrust23THRUST_200600_302600_NS6detail15normal_iteratorINS9_10device_ptrIiEEEEPS5_m9comp_mod3IiEEE10hipError_tT0_T1_T2_jT3_P12ihipStream_tbPNSt15iterator_traitsISJ_E10value_typeEPNSP_ISK_E10value_typeEPSL_NS1_7vsmem_tEENKUlT_SJ_SK_SL_E_clIPiSE_SF_SF_EESI_SY_SJ_SK_SL_EUlSY_E0_NS1_11comp_targetILNS1_3genE10ELNS1_11target_archE1201ELNS1_3gpuE5ELNS1_3repE0EEENS1_38merge_mergepath_config_static_selectorELNS0_4arch9wavefront6targetE0EEEvSK_
	.p2align	8
	.type	_ZN7rocprim17ROCPRIM_400000_NS6detail17trampoline_kernelINS0_14default_configENS1_38merge_sort_block_merge_config_selectorIiNS0_10empty_typeEEEZZNS1_27merge_sort_block_merge_implIS3_N6thrust23THRUST_200600_302600_NS6detail15normal_iteratorINS9_10device_ptrIiEEEEPS5_m9comp_mod3IiEEE10hipError_tT0_T1_T2_jT3_P12ihipStream_tbPNSt15iterator_traitsISJ_E10value_typeEPNSP_ISK_E10value_typeEPSL_NS1_7vsmem_tEENKUlT_SJ_SK_SL_E_clIPiSE_SF_SF_EESI_SY_SJ_SK_SL_EUlSY_E0_NS1_11comp_targetILNS1_3genE10ELNS1_11target_archE1201ELNS1_3gpuE5ELNS1_3repE0EEENS1_38merge_mergepath_config_static_selectorELNS0_4arch9wavefront6targetE0EEEvSK_,@function
_ZN7rocprim17ROCPRIM_400000_NS6detail17trampoline_kernelINS0_14default_configENS1_38merge_sort_block_merge_config_selectorIiNS0_10empty_typeEEEZZNS1_27merge_sort_block_merge_implIS3_N6thrust23THRUST_200600_302600_NS6detail15normal_iteratorINS9_10device_ptrIiEEEEPS5_m9comp_mod3IiEEE10hipError_tT0_T1_T2_jT3_P12ihipStream_tbPNSt15iterator_traitsISJ_E10value_typeEPNSP_ISK_E10value_typeEPSL_NS1_7vsmem_tEENKUlT_SJ_SK_SL_E_clIPiSE_SF_SF_EESI_SY_SJ_SK_SL_EUlSY_E0_NS1_11comp_targetILNS1_3genE10ELNS1_11target_archE1201ELNS1_3gpuE5ELNS1_3repE0EEENS1_38merge_mergepath_config_static_selectorELNS0_4arch9wavefront6targetE0EEEvSK_: ; @_ZN7rocprim17ROCPRIM_400000_NS6detail17trampoline_kernelINS0_14default_configENS1_38merge_sort_block_merge_config_selectorIiNS0_10empty_typeEEEZZNS1_27merge_sort_block_merge_implIS3_N6thrust23THRUST_200600_302600_NS6detail15normal_iteratorINS9_10device_ptrIiEEEEPS5_m9comp_mod3IiEEE10hipError_tT0_T1_T2_jT3_P12ihipStream_tbPNSt15iterator_traitsISJ_E10value_typeEPNSP_ISK_E10value_typeEPSL_NS1_7vsmem_tEENKUlT_SJ_SK_SL_E_clIPiSE_SF_SF_EESI_SY_SJ_SK_SL_EUlSY_E0_NS1_11comp_targetILNS1_3genE10ELNS1_11target_archE1201ELNS1_3gpuE5ELNS1_3repE0EEENS1_38merge_mergepath_config_static_selectorELNS0_4arch9wavefront6targetE0EEEvSK_
; %bb.0:
	.section	.rodata,"a",@progbits
	.p2align	6, 0x0
	.amdhsa_kernel _ZN7rocprim17ROCPRIM_400000_NS6detail17trampoline_kernelINS0_14default_configENS1_38merge_sort_block_merge_config_selectorIiNS0_10empty_typeEEEZZNS1_27merge_sort_block_merge_implIS3_N6thrust23THRUST_200600_302600_NS6detail15normal_iteratorINS9_10device_ptrIiEEEEPS5_m9comp_mod3IiEEE10hipError_tT0_T1_T2_jT3_P12ihipStream_tbPNSt15iterator_traitsISJ_E10value_typeEPNSP_ISK_E10value_typeEPSL_NS1_7vsmem_tEENKUlT_SJ_SK_SL_E_clIPiSE_SF_SF_EESI_SY_SJ_SK_SL_EUlSY_E0_NS1_11comp_targetILNS1_3genE10ELNS1_11target_archE1201ELNS1_3gpuE5ELNS1_3repE0EEENS1_38merge_mergepath_config_static_selectorELNS0_4arch9wavefront6targetE0EEEvSK_
		.amdhsa_group_segment_fixed_size 0
		.amdhsa_private_segment_fixed_size 0
		.amdhsa_kernarg_size 80
		.amdhsa_user_sgpr_count 6
		.amdhsa_user_sgpr_private_segment_buffer 1
		.amdhsa_user_sgpr_dispatch_ptr 0
		.amdhsa_user_sgpr_queue_ptr 0
		.amdhsa_user_sgpr_kernarg_segment_ptr 1
		.amdhsa_user_sgpr_dispatch_id 0
		.amdhsa_user_sgpr_flat_scratch_init 0
		.amdhsa_user_sgpr_private_segment_size 0
		.amdhsa_wavefront_size32 1
		.amdhsa_uses_dynamic_stack 0
		.amdhsa_system_sgpr_private_segment_wavefront_offset 0
		.amdhsa_system_sgpr_workgroup_id_x 1
		.amdhsa_system_sgpr_workgroup_id_y 0
		.amdhsa_system_sgpr_workgroup_id_z 0
		.amdhsa_system_sgpr_workgroup_info 0
		.amdhsa_system_vgpr_workitem_id 0
		.amdhsa_next_free_vgpr 1
		.amdhsa_next_free_sgpr 1
		.amdhsa_reserve_vcc 0
		.amdhsa_reserve_flat_scratch 0
		.amdhsa_float_round_mode_32 0
		.amdhsa_float_round_mode_16_64 0
		.amdhsa_float_denorm_mode_32 3
		.amdhsa_float_denorm_mode_16_64 3
		.amdhsa_dx10_clamp 1
		.amdhsa_ieee_mode 1
		.amdhsa_fp16_overflow 0
		.amdhsa_workgroup_processor_mode 1
		.amdhsa_memory_ordered 1
		.amdhsa_forward_progress 1
		.amdhsa_shared_vgpr_count 0
		.amdhsa_exception_fp_ieee_invalid_op 0
		.amdhsa_exception_fp_denorm_src 0
		.amdhsa_exception_fp_ieee_div_zero 0
		.amdhsa_exception_fp_ieee_overflow 0
		.amdhsa_exception_fp_ieee_underflow 0
		.amdhsa_exception_fp_ieee_inexact 0
		.amdhsa_exception_int_div_zero 0
	.end_amdhsa_kernel
	.section	.text._ZN7rocprim17ROCPRIM_400000_NS6detail17trampoline_kernelINS0_14default_configENS1_38merge_sort_block_merge_config_selectorIiNS0_10empty_typeEEEZZNS1_27merge_sort_block_merge_implIS3_N6thrust23THRUST_200600_302600_NS6detail15normal_iteratorINS9_10device_ptrIiEEEEPS5_m9comp_mod3IiEEE10hipError_tT0_T1_T2_jT3_P12ihipStream_tbPNSt15iterator_traitsISJ_E10value_typeEPNSP_ISK_E10value_typeEPSL_NS1_7vsmem_tEENKUlT_SJ_SK_SL_E_clIPiSE_SF_SF_EESI_SY_SJ_SK_SL_EUlSY_E0_NS1_11comp_targetILNS1_3genE10ELNS1_11target_archE1201ELNS1_3gpuE5ELNS1_3repE0EEENS1_38merge_mergepath_config_static_selectorELNS0_4arch9wavefront6targetE0EEEvSK_,"axG",@progbits,_ZN7rocprim17ROCPRIM_400000_NS6detail17trampoline_kernelINS0_14default_configENS1_38merge_sort_block_merge_config_selectorIiNS0_10empty_typeEEEZZNS1_27merge_sort_block_merge_implIS3_N6thrust23THRUST_200600_302600_NS6detail15normal_iteratorINS9_10device_ptrIiEEEEPS5_m9comp_mod3IiEEE10hipError_tT0_T1_T2_jT3_P12ihipStream_tbPNSt15iterator_traitsISJ_E10value_typeEPNSP_ISK_E10value_typeEPSL_NS1_7vsmem_tEENKUlT_SJ_SK_SL_E_clIPiSE_SF_SF_EESI_SY_SJ_SK_SL_EUlSY_E0_NS1_11comp_targetILNS1_3genE10ELNS1_11target_archE1201ELNS1_3gpuE5ELNS1_3repE0EEENS1_38merge_mergepath_config_static_selectorELNS0_4arch9wavefront6targetE0EEEvSK_,comdat
.Lfunc_end997:
	.size	_ZN7rocprim17ROCPRIM_400000_NS6detail17trampoline_kernelINS0_14default_configENS1_38merge_sort_block_merge_config_selectorIiNS0_10empty_typeEEEZZNS1_27merge_sort_block_merge_implIS3_N6thrust23THRUST_200600_302600_NS6detail15normal_iteratorINS9_10device_ptrIiEEEEPS5_m9comp_mod3IiEEE10hipError_tT0_T1_T2_jT3_P12ihipStream_tbPNSt15iterator_traitsISJ_E10value_typeEPNSP_ISK_E10value_typeEPSL_NS1_7vsmem_tEENKUlT_SJ_SK_SL_E_clIPiSE_SF_SF_EESI_SY_SJ_SK_SL_EUlSY_E0_NS1_11comp_targetILNS1_3genE10ELNS1_11target_archE1201ELNS1_3gpuE5ELNS1_3repE0EEENS1_38merge_mergepath_config_static_selectorELNS0_4arch9wavefront6targetE0EEEvSK_, .Lfunc_end997-_ZN7rocprim17ROCPRIM_400000_NS6detail17trampoline_kernelINS0_14default_configENS1_38merge_sort_block_merge_config_selectorIiNS0_10empty_typeEEEZZNS1_27merge_sort_block_merge_implIS3_N6thrust23THRUST_200600_302600_NS6detail15normal_iteratorINS9_10device_ptrIiEEEEPS5_m9comp_mod3IiEEE10hipError_tT0_T1_T2_jT3_P12ihipStream_tbPNSt15iterator_traitsISJ_E10value_typeEPNSP_ISK_E10value_typeEPSL_NS1_7vsmem_tEENKUlT_SJ_SK_SL_E_clIPiSE_SF_SF_EESI_SY_SJ_SK_SL_EUlSY_E0_NS1_11comp_targetILNS1_3genE10ELNS1_11target_archE1201ELNS1_3gpuE5ELNS1_3repE0EEENS1_38merge_mergepath_config_static_selectorELNS0_4arch9wavefront6targetE0EEEvSK_
                                        ; -- End function
	.set _ZN7rocprim17ROCPRIM_400000_NS6detail17trampoline_kernelINS0_14default_configENS1_38merge_sort_block_merge_config_selectorIiNS0_10empty_typeEEEZZNS1_27merge_sort_block_merge_implIS3_N6thrust23THRUST_200600_302600_NS6detail15normal_iteratorINS9_10device_ptrIiEEEEPS5_m9comp_mod3IiEEE10hipError_tT0_T1_T2_jT3_P12ihipStream_tbPNSt15iterator_traitsISJ_E10value_typeEPNSP_ISK_E10value_typeEPSL_NS1_7vsmem_tEENKUlT_SJ_SK_SL_E_clIPiSE_SF_SF_EESI_SY_SJ_SK_SL_EUlSY_E0_NS1_11comp_targetILNS1_3genE10ELNS1_11target_archE1201ELNS1_3gpuE5ELNS1_3repE0EEENS1_38merge_mergepath_config_static_selectorELNS0_4arch9wavefront6targetE0EEEvSK_.num_vgpr, 0
	.set _ZN7rocprim17ROCPRIM_400000_NS6detail17trampoline_kernelINS0_14default_configENS1_38merge_sort_block_merge_config_selectorIiNS0_10empty_typeEEEZZNS1_27merge_sort_block_merge_implIS3_N6thrust23THRUST_200600_302600_NS6detail15normal_iteratorINS9_10device_ptrIiEEEEPS5_m9comp_mod3IiEEE10hipError_tT0_T1_T2_jT3_P12ihipStream_tbPNSt15iterator_traitsISJ_E10value_typeEPNSP_ISK_E10value_typeEPSL_NS1_7vsmem_tEENKUlT_SJ_SK_SL_E_clIPiSE_SF_SF_EESI_SY_SJ_SK_SL_EUlSY_E0_NS1_11comp_targetILNS1_3genE10ELNS1_11target_archE1201ELNS1_3gpuE5ELNS1_3repE0EEENS1_38merge_mergepath_config_static_selectorELNS0_4arch9wavefront6targetE0EEEvSK_.num_agpr, 0
	.set _ZN7rocprim17ROCPRIM_400000_NS6detail17trampoline_kernelINS0_14default_configENS1_38merge_sort_block_merge_config_selectorIiNS0_10empty_typeEEEZZNS1_27merge_sort_block_merge_implIS3_N6thrust23THRUST_200600_302600_NS6detail15normal_iteratorINS9_10device_ptrIiEEEEPS5_m9comp_mod3IiEEE10hipError_tT0_T1_T2_jT3_P12ihipStream_tbPNSt15iterator_traitsISJ_E10value_typeEPNSP_ISK_E10value_typeEPSL_NS1_7vsmem_tEENKUlT_SJ_SK_SL_E_clIPiSE_SF_SF_EESI_SY_SJ_SK_SL_EUlSY_E0_NS1_11comp_targetILNS1_3genE10ELNS1_11target_archE1201ELNS1_3gpuE5ELNS1_3repE0EEENS1_38merge_mergepath_config_static_selectorELNS0_4arch9wavefront6targetE0EEEvSK_.numbered_sgpr, 0
	.set _ZN7rocprim17ROCPRIM_400000_NS6detail17trampoline_kernelINS0_14default_configENS1_38merge_sort_block_merge_config_selectorIiNS0_10empty_typeEEEZZNS1_27merge_sort_block_merge_implIS3_N6thrust23THRUST_200600_302600_NS6detail15normal_iteratorINS9_10device_ptrIiEEEEPS5_m9comp_mod3IiEEE10hipError_tT0_T1_T2_jT3_P12ihipStream_tbPNSt15iterator_traitsISJ_E10value_typeEPNSP_ISK_E10value_typeEPSL_NS1_7vsmem_tEENKUlT_SJ_SK_SL_E_clIPiSE_SF_SF_EESI_SY_SJ_SK_SL_EUlSY_E0_NS1_11comp_targetILNS1_3genE10ELNS1_11target_archE1201ELNS1_3gpuE5ELNS1_3repE0EEENS1_38merge_mergepath_config_static_selectorELNS0_4arch9wavefront6targetE0EEEvSK_.num_named_barrier, 0
	.set _ZN7rocprim17ROCPRIM_400000_NS6detail17trampoline_kernelINS0_14default_configENS1_38merge_sort_block_merge_config_selectorIiNS0_10empty_typeEEEZZNS1_27merge_sort_block_merge_implIS3_N6thrust23THRUST_200600_302600_NS6detail15normal_iteratorINS9_10device_ptrIiEEEEPS5_m9comp_mod3IiEEE10hipError_tT0_T1_T2_jT3_P12ihipStream_tbPNSt15iterator_traitsISJ_E10value_typeEPNSP_ISK_E10value_typeEPSL_NS1_7vsmem_tEENKUlT_SJ_SK_SL_E_clIPiSE_SF_SF_EESI_SY_SJ_SK_SL_EUlSY_E0_NS1_11comp_targetILNS1_3genE10ELNS1_11target_archE1201ELNS1_3gpuE5ELNS1_3repE0EEENS1_38merge_mergepath_config_static_selectorELNS0_4arch9wavefront6targetE0EEEvSK_.private_seg_size, 0
	.set _ZN7rocprim17ROCPRIM_400000_NS6detail17trampoline_kernelINS0_14default_configENS1_38merge_sort_block_merge_config_selectorIiNS0_10empty_typeEEEZZNS1_27merge_sort_block_merge_implIS3_N6thrust23THRUST_200600_302600_NS6detail15normal_iteratorINS9_10device_ptrIiEEEEPS5_m9comp_mod3IiEEE10hipError_tT0_T1_T2_jT3_P12ihipStream_tbPNSt15iterator_traitsISJ_E10value_typeEPNSP_ISK_E10value_typeEPSL_NS1_7vsmem_tEENKUlT_SJ_SK_SL_E_clIPiSE_SF_SF_EESI_SY_SJ_SK_SL_EUlSY_E0_NS1_11comp_targetILNS1_3genE10ELNS1_11target_archE1201ELNS1_3gpuE5ELNS1_3repE0EEENS1_38merge_mergepath_config_static_selectorELNS0_4arch9wavefront6targetE0EEEvSK_.uses_vcc, 0
	.set _ZN7rocprim17ROCPRIM_400000_NS6detail17trampoline_kernelINS0_14default_configENS1_38merge_sort_block_merge_config_selectorIiNS0_10empty_typeEEEZZNS1_27merge_sort_block_merge_implIS3_N6thrust23THRUST_200600_302600_NS6detail15normal_iteratorINS9_10device_ptrIiEEEEPS5_m9comp_mod3IiEEE10hipError_tT0_T1_T2_jT3_P12ihipStream_tbPNSt15iterator_traitsISJ_E10value_typeEPNSP_ISK_E10value_typeEPSL_NS1_7vsmem_tEENKUlT_SJ_SK_SL_E_clIPiSE_SF_SF_EESI_SY_SJ_SK_SL_EUlSY_E0_NS1_11comp_targetILNS1_3genE10ELNS1_11target_archE1201ELNS1_3gpuE5ELNS1_3repE0EEENS1_38merge_mergepath_config_static_selectorELNS0_4arch9wavefront6targetE0EEEvSK_.uses_flat_scratch, 0
	.set _ZN7rocprim17ROCPRIM_400000_NS6detail17trampoline_kernelINS0_14default_configENS1_38merge_sort_block_merge_config_selectorIiNS0_10empty_typeEEEZZNS1_27merge_sort_block_merge_implIS3_N6thrust23THRUST_200600_302600_NS6detail15normal_iteratorINS9_10device_ptrIiEEEEPS5_m9comp_mod3IiEEE10hipError_tT0_T1_T2_jT3_P12ihipStream_tbPNSt15iterator_traitsISJ_E10value_typeEPNSP_ISK_E10value_typeEPSL_NS1_7vsmem_tEENKUlT_SJ_SK_SL_E_clIPiSE_SF_SF_EESI_SY_SJ_SK_SL_EUlSY_E0_NS1_11comp_targetILNS1_3genE10ELNS1_11target_archE1201ELNS1_3gpuE5ELNS1_3repE0EEENS1_38merge_mergepath_config_static_selectorELNS0_4arch9wavefront6targetE0EEEvSK_.has_dyn_sized_stack, 0
	.set _ZN7rocprim17ROCPRIM_400000_NS6detail17trampoline_kernelINS0_14default_configENS1_38merge_sort_block_merge_config_selectorIiNS0_10empty_typeEEEZZNS1_27merge_sort_block_merge_implIS3_N6thrust23THRUST_200600_302600_NS6detail15normal_iteratorINS9_10device_ptrIiEEEEPS5_m9comp_mod3IiEEE10hipError_tT0_T1_T2_jT3_P12ihipStream_tbPNSt15iterator_traitsISJ_E10value_typeEPNSP_ISK_E10value_typeEPSL_NS1_7vsmem_tEENKUlT_SJ_SK_SL_E_clIPiSE_SF_SF_EESI_SY_SJ_SK_SL_EUlSY_E0_NS1_11comp_targetILNS1_3genE10ELNS1_11target_archE1201ELNS1_3gpuE5ELNS1_3repE0EEENS1_38merge_mergepath_config_static_selectorELNS0_4arch9wavefront6targetE0EEEvSK_.has_recursion, 0
	.set _ZN7rocprim17ROCPRIM_400000_NS6detail17trampoline_kernelINS0_14default_configENS1_38merge_sort_block_merge_config_selectorIiNS0_10empty_typeEEEZZNS1_27merge_sort_block_merge_implIS3_N6thrust23THRUST_200600_302600_NS6detail15normal_iteratorINS9_10device_ptrIiEEEEPS5_m9comp_mod3IiEEE10hipError_tT0_T1_T2_jT3_P12ihipStream_tbPNSt15iterator_traitsISJ_E10value_typeEPNSP_ISK_E10value_typeEPSL_NS1_7vsmem_tEENKUlT_SJ_SK_SL_E_clIPiSE_SF_SF_EESI_SY_SJ_SK_SL_EUlSY_E0_NS1_11comp_targetILNS1_3genE10ELNS1_11target_archE1201ELNS1_3gpuE5ELNS1_3repE0EEENS1_38merge_mergepath_config_static_selectorELNS0_4arch9wavefront6targetE0EEEvSK_.has_indirect_call, 0
	.section	.AMDGPU.csdata,"",@progbits
; Kernel info:
; codeLenInByte = 0
; TotalNumSgprs: 0
; NumVgprs: 0
; ScratchSize: 0
; MemoryBound: 0
; FloatMode: 240
; IeeeMode: 1
; LDSByteSize: 0 bytes/workgroup (compile time only)
; SGPRBlocks: 0
; VGPRBlocks: 0
; NumSGPRsForWavesPerEU: 1
; NumVGPRsForWavesPerEU: 1
; Occupancy: 16
; WaveLimiterHint : 0
; COMPUTE_PGM_RSRC2:SCRATCH_EN: 0
; COMPUTE_PGM_RSRC2:USER_SGPR: 6
; COMPUTE_PGM_RSRC2:TRAP_HANDLER: 0
; COMPUTE_PGM_RSRC2:TGID_X_EN: 1
; COMPUTE_PGM_RSRC2:TGID_Y_EN: 0
; COMPUTE_PGM_RSRC2:TGID_Z_EN: 0
; COMPUTE_PGM_RSRC2:TIDIG_COMP_CNT: 0
	.section	.text._ZN7rocprim17ROCPRIM_400000_NS6detail17trampoline_kernelINS0_14default_configENS1_38merge_sort_block_merge_config_selectorIiNS0_10empty_typeEEEZZNS1_27merge_sort_block_merge_implIS3_N6thrust23THRUST_200600_302600_NS6detail15normal_iteratorINS9_10device_ptrIiEEEEPS5_m9comp_mod3IiEEE10hipError_tT0_T1_T2_jT3_P12ihipStream_tbPNSt15iterator_traitsISJ_E10value_typeEPNSP_ISK_E10value_typeEPSL_NS1_7vsmem_tEENKUlT_SJ_SK_SL_E_clIPiSE_SF_SF_EESI_SY_SJ_SK_SL_EUlSY_E0_NS1_11comp_targetILNS1_3genE5ELNS1_11target_archE942ELNS1_3gpuE9ELNS1_3repE0EEENS1_38merge_mergepath_config_static_selectorELNS0_4arch9wavefront6targetE0EEEvSK_,"axG",@progbits,_ZN7rocprim17ROCPRIM_400000_NS6detail17trampoline_kernelINS0_14default_configENS1_38merge_sort_block_merge_config_selectorIiNS0_10empty_typeEEEZZNS1_27merge_sort_block_merge_implIS3_N6thrust23THRUST_200600_302600_NS6detail15normal_iteratorINS9_10device_ptrIiEEEEPS5_m9comp_mod3IiEEE10hipError_tT0_T1_T2_jT3_P12ihipStream_tbPNSt15iterator_traitsISJ_E10value_typeEPNSP_ISK_E10value_typeEPSL_NS1_7vsmem_tEENKUlT_SJ_SK_SL_E_clIPiSE_SF_SF_EESI_SY_SJ_SK_SL_EUlSY_E0_NS1_11comp_targetILNS1_3genE5ELNS1_11target_archE942ELNS1_3gpuE9ELNS1_3repE0EEENS1_38merge_mergepath_config_static_selectorELNS0_4arch9wavefront6targetE0EEEvSK_,comdat
	.protected	_ZN7rocprim17ROCPRIM_400000_NS6detail17trampoline_kernelINS0_14default_configENS1_38merge_sort_block_merge_config_selectorIiNS0_10empty_typeEEEZZNS1_27merge_sort_block_merge_implIS3_N6thrust23THRUST_200600_302600_NS6detail15normal_iteratorINS9_10device_ptrIiEEEEPS5_m9comp_mod3IiEEE10hipError_tT0_T1_T2_jT3_P12ihipStream_tbPNSt15iterator_traitsISJ_E10value_typeEPNSP_ISK_E10value_typeEPSL_NS1_7vsmem_tEENKUlT_SJ_SK_SL_E_clIPiSE_SF_SF_EESI_SY_SJ_SK_SL_EUlSY_E0_NS1_11comp_targetILNS1_3genE5ELNS1_11target_archE942ELNS1_3gpuE9ELNS1_3repE0EEENS1_38merge_mergepath_config_static_selectorELNS0_4arch9wavefront6targetE0EEEvSK_ ; -- Begin function _ZN7rocprim17ROCPRIM_400000_NS6detail17trampoline_kernelINS0_14default_configENS1_38merge_sort_block_merge_config_selectorIiNS0_10empty_typeEEEZZNS1_27merge_sort_block_merge_implIS3_N6thrust23THRUST_200600_302600_NS6detail15normal_iteratorINS9_10device_ptrIiEEEEPS5_m9comp_mod3IiEEE10hipError_tT0_T1_T2_jT3_P12ihipStream_tbPNSt15iterator_traitsISJ_E10value_typeEPNSP_ISK_E10value_typeEPSL_NS1_7vsmem_tEENKUlT_SJ_SK_SL_E_clIPiSE_SF_SF_EESI_SY_SJ_SK_SL_EUlSY_E0_NS1_11comp_targetILNS1_3genE5ELNS1_11target_archE942ELNS1_3gpuE9ELNS1_3repE0EEENS1_38merge_mergepath_config_static_selectorELNS0_4arch9wavefront6targetE0EEEvSK_
	.globl	_ZN7rocprim17ROCPRIM_400000_NS6detail17trampoline_kernelINS0_14default_configENS1_38merge_sort_block_merge_config_selectorIiNS0_10empty_typeEEEZZNS1_27merge_sort_block_merge_implIS3_N6thrust23THRUST_200600_302600_NS6detail15normal_iteratorINS9_10device_ptrIiEEEEPS5_m9comp_mod3IiEEE10hipError_tT0_T1_T2_jT3_P12ihipStream_tbPNSt15iterator_traitsISJ_E10value_typeEPNSP_ISK_E10value_typeEPSL_NS1_7vsmem_tEENKUlT_SJ_SK_SL_E_clIPiSE_SF_SF_EESI_SY_SJ_SK_SL_EUlSY_E0_NS1_11comp_targetILNS1_3genE5ELNS1_11target_archE942ELNS1_3gpuE9ELNS1_3repE0EEENS1_38merge_mergepath_config_static_selectorELNS0_4arch9wavefront6targetE0EEEvSK_
	.p2align	8
	.type	_ZN7rocprim17ROCPRIM_400000_NS6detail17trampoline_kernelINS0_14default_configENS1_38merge_sort_block_merge_config_selectorIiNS0_10empty_typeEEEZZNS1_27merge_sort_block_merge_implIS3_N6thrust23THRUST_200600_302600_NS6detail15normal_iteratorINS9_10device_ptrIiEEEEPS5_m9comp_mod3IiEEE10hipError_tT0_T1_T2_jT3_P12ihipStream_tbPNSt15iterator_traitsISJ_E10value_typeEPNSP_ISK_E10value_typeEPSL_NS1_7vsmem_tEENKUlT_SJ_SK_SL_E_clIPiSE_SF_SF_EESI_SY_SJ_SK_SL_EUlSY_E0_NS1_11comp_targetILNS1_3genE5ELNS1_11target_archE942ELNS1_3gpuE9ELNS1_3repE0EEENS1_38merge_mergepath_config_static_selectorELNS0_4arch9wavefront6targetE0EEEvSK_,@function
_ZN7rocprim17ROCPRIM_400000_NS6detail17trampoline_kernelINS0_14default_configENS1_38merge_sort_block_merge_config_selectorIiNS0_10empty_typeEEEZZNS1_27merge_sort_block_merge_implIS3_N6thrust23THRUST_200600_302600_NS6detail15normal_iteratorINS9_10device_ptrIiEEEEPS5_m9comp_mod3IiEEE10hipError_tT0_T1_T2_jT3_P12ihipStream_tbPNSt15iterator_traitsISJ_E10value_typeEPNSP_ISK_E10value_typeEPSL_NS1_7vsmem_tEENKUlT_SJ_SK_SL_E_clIPiSE_SF_SF_EESI_SY_SJ_SK_SL_EUlSY_E0_NS1_11comp_targetILNS1_3genE5ELNS1_11target_archE942ELNS1_3gpuE9ELNS1_3repE0EEENS1_38merge_mergepath_config_static_selectorELNS0_4arch9wavefront6targetE0EEEvSK_: ; @_ZN7rocprim17ROCPRIM_400000_NS6detail17trampoline_kernelINS0_14default_configENS1_38merge_sort_block_merge_config_selectorIiNS0_10empty_typeEEEZZNS1_27merge_sort_block_merge_implIS3_N6thrust23THRUST_200600_302600_NS6detail15normal_iteratorINS9_10device_ptrIiEEEEPS5_m9comp_mod3IiEEE10hipError_tT0_T1_T2_jT3_P12ihipStream_tbPNSt15iterator_traitsISJ_E10value_typeEPNSP_ISK_E10value_typeEPSL_NS1_7vsmem_tEENKUlT_SJ_SK_SL_E_clIPiSE_SF_SF_EESI_SY_SJ_SK_SL_EUlSY_E0_NS1_11comp_targetILNS1_3genE5ELNS1_11target_archE942ELNS1_3gpuE9ELNS1_3repE0EEENS1_38merge_mergepath_config_static_selectorELNS0_4arch9wavefront6targetE0EEEvSK_
; %bb.0:
	.section	.rodata,"a",@progbits
	.p2align	6, 0x0
	.amdhsa_kernel _ZN7rocprim17ROCPRIM_400000_NS6detail17trampoline_kernelINS0_14default_configENS1_38merge_sort_block_merge_config_selectorIiNS0_10empty_typeEEEZZNS1_27merge_sort_block_merge_implIS3_N6thrust23THRUST_200600_302600_NS6detail15normal_iteratorINS9_10device_ptrIiEEEEPS5_m9comp_mod3IiEEE10hipError_tT0_T1_T2_jT3_P12ihipStream_tbPNSt15iterator_traitsISJ_E10value_typeEPNSP_ISK_E10value_typeEPSL_NS1_7vsmem_tEENKUlT_SJ_SK_SL_E_clIPiSE_SF_SF_EESI_SY_SJ_SK_SL_EUlSY_E0_NS1_11comp_targetILNS1_3genE5ELNS1_11target_archE942ELNS1_3gpuE9ELNS1_3repE0EEENS1_38merge_mergepath_config_static_selectorELNS0_4arch9wavefront6targetE0EEEvSK_
		.amdhsa_group_segment_fixed_size 0
		.amdhsa_private_segment_fixed_size 0
		.amdhsa_kernarg_size 80
		.amdhsa_user_sgpr_count 6
		.amdhsa_user_sgpr_private_segment_buffer 1
		.amdhsa_user_sgpr_dispatch_ptr 0
		.amdhsa_user_sgpr_queue_ptr 0
		.amdhsa_user_sgpr_kernarg_segment_ptr 1
		.amdhsa_user_sgpr_dispatch_id 0
		.amdhsa_user_sgpr_flat_scratch_init 0
		.amdhsa_user_sgpr_private_segment_size 0
		.amdhsa_wavefront_size32 1
		.amdhsa_uses_dynamic_stack 0
		.amdhsa_system_sgpr_private_segment_wavefront_offset 0
		.amdhsa_system_sgpr_workgroup_id_x 1
		.amdhsa_system_sgpr_workgroup_id_y 0
		.amdhsa_system_sgpr_workgroup_id_z 0
		.amdhsa_system_sgpr_workgroup_info 0
		.amdhsa_system_vgpr_workitem_id 0
		.amdhsa_next_free_vgpr 1
		.amdhsa_next_free_sgpr 1
		.amdhsa_reserve_vcc 0
		.amdhsa_reserve_flat_scratch 0
		.amdhsa_float_round_mode_32 0
		.amdhsa_float_round_mode_16_64 0
		.amdhsa_float_denorm_mode_32 3
		.amdhsa_float_denorm_mode_16_64 3
		.amdhsa_dx10_clamp 1
		.amdhsa_ieee_mode 1
		.amdhsa_fp16_overflow 0
		.amdhsa_workgroup_processor_mode 1
		.amdhsa_memory_ordered 1
		.amdhsa_forward_progress 1
		.amdhsa_shared_vgpr_count 0
		.amdhsa_exception_fp_ieee_invalid_op 0
		.amdhsa_exception_fp_denorm_src 0
		.amdhsa_exception_fp_ieee_div_zero 0
		.amdhsa_exception_fp_ieee_overflow 0
		.amdhsa_exception_fp_ieee_underflow 0
		.amdhsa_exception_fp_ieee_inexact 0
		.amdhsa_exception_int_div_zero 0
	.end_amdhsa_kernel
	.section	.text._ZN7rocprim17ROCPRIM_400000_NS6detail17trampoline_kernelINS0_14default_configENS1_38merge_sort_block_merge_config_selectorIiNS0_10empty_typeEEEZZNS1_27merge_sort_block_merge_implIS3_N6thrust23THRUST_200600_302600_NS6detail15normal_iteratorINS9_10device_ptrIiEEEEPS5_m9comp_mod3IiEEE10hipError_tT0_T1_T2_jT3_P12ihipStream_tbPNSt15iterator_traitsISJ_E10value_typeEPNSP_ISK_E10value_typeEPSL_NS1_7vsmem_tEENKUlT_SJ_SK_SL_E_clIPiSE_SF_SF_EESI_SY_SJ_SK_SL_EUlSY_E0_NS1_11comp_targetILNS1_3genE5ELNS1_11target_archE942ELNS1_3gpuE9ELNS1_3repE0EEENS1_38merge_mergepath_config_static_selectorELNS0_4arch9wavefront6targetE0EEEvSK_,"axG",@progbits,_ZN7rocprim17ROCPRIM_400000_NS6detail17trampoline_kernelINS0_14default_configENS1_38merge_sort_block_merge_config_selectorIiNS0_10empty_typeEEEZZNS1_27merge_sort_block_merge_implIS3_N6thrust23THRUST_200600_302600_NS6detail15normal_iteratorINS9_10device_ptrIiEEEEPS5_m9comp_mod3IiEEE10hipError_tT0_T1_T2_jT3_P12ihipStream_tbPNSt15iterator_traitsISJ_E10value_typeEPNSP_ISK_E10value_typeEPSL_NS1_7vsmem_tEENKUlT_SJ_SK_SL_E_clIPiSE_SF_SF_EESI_SY_SJ_SK_SL_EUlSY_E0_NS1_11comp_targetILNS1_3genE5ELNS1_11target_archE942ELNS1_3gpuE9ELNS1_3repE0EEENS1_38merge_mergepath_config_static_selectorELNS0_4arch9wavefront6targetE0EEEvSK_,comdat
.Lfunc_end998:
	.size	_ZN7rocprim17ROCPRIM_400000_NS6detail17trampoline_kernelINS0_14default_configENS1_38merge_sort_block_merge_config_selectorIiNS0_10empty_typeEEEZZNS1_27merge_sort_block_merge_implIS3_N6thrust23THRUST_200600_302600_NS6detail15normal_iteratorINS9_10device_ptrIiEEEEPS5_m9comp_mod3IiEEE10hipError_tT0_T1_T2_jT3_P12ihipStream_tbPNSt15iterator_traitsISJ_E10value_typeEPNSP_ISK_E10value_typeEPSL_NS1_7vsmem_tEENKUlT_SJ_SK_SL_E_clIPiSE_SF_SF_EESI_SY_SJ_SK_SL_EUlSY_E0_NS1_11comp_targetILNS1_3genE5ELNS1_11target_archE942ELNS1_3gpuE9ELNS1_3repE0EEENS1_38merge_mergepath_config_static_selectorELNS0_4arch9wavefront6targetE0EEEvSK_, .Lfunc_end998-_ZN7rocprim17ROCPRIM_400000_NS6detail17trampoline_kernelINS0_14default_configENS1_38merge_sort_block_merge_config_selectorIiNS0_10empty_typeEEEZZNS1_27merge_sort_block_merge_implIS3_N6thrust23THRUST_200600_302600_NS6detail15normal_iteratorINS9_10device_ptrIiEEEEPS5_m9comp_mod3IiEEE10hipError_tT0_T1_T2_jT3_P12ihipStream_tbPNSt15iterator_traitsISJ_E10value_typeEPNSP_ISK_E10value_typeEPSL_NS1_7vsmem_tEENKUlT_SJ_SK_SL_E_clIPiSE_SF_SF_EESI_SY_SJ_SK_SL_EUlSY_E0_NS1_11comp_targetILNS1_3genE5ELNS1_11target_archE942ELNS1_3gpuE9ELNS1_3repE0EEENS1_38merge_mergepath_config_static_selectorELNS0_4arch9wavefront6targetE0EEEvSK_
                                        ; -- End function
	.set _ZN7rocprim17ROCPRIM_400000_NS6detail17trampoline_kernelINS0_14default_configENS1_38merge_sort_block_merge_config_selectorIiNS0_10empty_typeEEEZZNS1_27merge_sort_block_merge_implIS3_N6thrust23THRUST_200600_302600_NS6detail15normal_iteratorINS9_10device_ptrIiEEEEPS5_m9comp_mod3IiEEE10hipError_tT0_T1_T2_jT3_P12ihipStream_tbPNSt15iterator_traitsISJ_E10value_typeEPNSP_ISK_E10value_typeEPSL_NS1_7vsmem_tEENKUlT_SJ_SK_SL_E_clIPiSE_SF_SF_EESI_SY_SJ_SK_SL_EUlSY_E0_NS1_11comp_targetILNS1_3genE5ELNS1_11target_archE942ELNS1_3gpuE9ELNS1_3repE0EEENS1_38merge_mergepath_config_static_selectorELNS0_4arch9wavefront6targetE0EEEvSK_.num_vgpr, 0
	.set _ZN7rocprim17ROCPRIM_400000_NS6detail17trampoline_kernelINS0_14default_configENS1_38merge_sort_block_merge_config_selectorIiNS0_10empty_typeEEEZZNS1_27merge_sort_block_merge_implIS3_N6thrust23THRUST_200600_302600_NS6detail15normal_iteratorINS9_10device_ptrIiEEEEPS5_m9comp_mod3IiEEE10hipError_tT0_T1_T2_jT3_P12ihipStream_tbPNSt15iterator_traitsISJ_E10value_typeEPNSP_ISK_E10value_typeEPSL_NS1_7vsmem_tEENKUlT_SJ_SK_SL_E_clIPiSE_SF_SF_EESI_SY_SJ_SK_SL_EUlSY_E0_NS1_11comp_targetILNS1_3genE5ELNS1_11target_archE942ELNS1_3gpuE9ELNS1_3repE0EEENS1_38merge_mergepath_config_static_selectorELNS0_4arch9wavefront6targetE0EEEvSK_.num_agpr, 0
	.set _ZN7rocprim17ROCPRIM_400000_NS6detail17trampoline_kernelINS0_14default_configENS1_38merge_sort_block_merge_config_selectorIiNS0_10empty_typeEEEZZNS1_27merge_sort_block_merge_implIS3_N6thrust23THRUST_200600_302600_NS6detail15normal_iteratorINS9_10device_ptrIiEEEEPS5_m9comp_mod3IiEEE10hipError_tT0_T1_T2_jT3_P12ihipStream_tbPNSt15iterator_traitsISJ_E10value_typeEPNSP_ISK_E10value_typeEPSL_NS1_7vsmem_tEENKUlT_SJ_SK_SL_E_clIPiSE_SF_SF_EESI_SY_SJ_SK_SL_EUlSY_E0_NS1_11comp_targetILNS1_3genE5ELNS1_11target_archE942ELNS1_3gpuE9ELNS1_3repE0EEENS1_38merge_mergepath_config_static_selectorELNS0_4arch9wavefront6targetE0EEEvSK_.numbered_sgpr, 0
	.set _ZN7rocprim17ROCPRIM_400000_NS6detail17trampoline_kernelINS0_14default_configENS1_38merge_sort_block_merge_config_selectorIiNS0_10empty_typeEEEZZNS1_27merge_sort_block_merge_implIS3_N6thrust23THRUST_200600_302600_NS6detail15normal_iteratorINS9_10device_ptrIiEEEEPS5_m9comp_mod3IiEEE10hipError_tT0_T1_T2_jT3_P12ihipStream_tbPNSt15iterator_traitsISJ_E10value_typeEPNSP_ISK_E10value_typeEPSL_NS1_7vsmem_tEENKUlT_SJ_SK_SL_E_clIPiSE_SF_SF_EESI_SY_SJ_SK_SL_EUlSY_E0_NS1_11comp_targetILNS1_3genE5ELNS1_11target_archE942ELNS1_3gpuE9ELNS1_3repE0EEENS1_38merge_mergepath_config_static_selectorELNS0_4arch9wavefront6targetE0EEEvSK_.num_named_barrier, 0
	.set _ZN7rocprim17ROCPRIM_400000_NS6detail17trampoline_kernelINS0_14default_configENS1_38merge_sort_block_merge_config_selectorIiNS0_10empty_typeEEEZZNS1_27merge_sort_block_merge_implIS3_N6thrust23THRUST_200600_302600_NS6detail15normal_iteratorINS9_10device_ptrIiEEEEPS5_m9comp_mod3IiEEE10hipError_tT0_T1_T2_jT3_P12ihipStream_tbPNSt15iterator_traitsISJ_E10value_typeEPNSP_ISK_E10value_typeEPSL_NS1_7vsmem_tEENKUlT_SJ_SK_SL_E_clIPiSE_SF_SF_EESI_SY_SJ_SK_SL_EUlSY_E0_NS1_11comp_targetILNS1_3genE5ELNS1_11target_archE942ELNS1_3gpuE9ELNS1_3repE0EEENS1_38merge_mergepath_config_static_selectorELNS0_4arch9wavefront6targetE0EEEvSK_.private_seg_size, 0
	.set _ZN7rocprim17ROCPRIM_400000_NS6detail17trampoline_kernelINS0_14default_configENS1_38merge_sort_block_merge_config_selectorIiNS0_10empty_typeEEEZZNS1_27merge_sort_block_merge_implIS3_N6thrust23THRUST_200600_302600_NS6detail15normal_iteratorINS9_10device_ptrIiEEEEPS5_m9comp_mod3IiEEE10hipError_tT0_T1_T2_jT3_P12ihipStream_tbPNSt15iterator_traitsISJ_E10value_typeEPNSP_ISK_E10value_typeEPSL_NS1_7vsmem_tEENKUlT_SJ_SK_SL_E_clIPiSE_SF_SF_EESI_SY_SJ_SK_SL_EUlSY_E0_NS1_11comp_targetILNS1_3genE5ELNS1_11target_archE942ELNS1_3gpuE9ELNS1_3repE0EEENS1_38merge_mergepath_config_static_selectorELNS0_4arch9wavefront6targetE0EEEvSK_.uses_vcc, 0
	.set _ZN7rocprim17ROCPRIM_400000_NS6detail17trampoline_kernelINS0_14default_configENS1_38merge_sort_block_merge_config_selectorIiNS0_10empty_typeEEEZZNS1_27merge_sort_block_merge_implIS3_N6thrust23THRUST_200600_302600_NS6detail15normal_iteratorINS9_10device_ptrIiEEEEPS5_m9comp_mod3IiEEE10hipError_tT0_T1_T2_jT3_P12ihipStream_tbPNSt15iterator_traitsISJ_E10value_typeEPNSP_ISK_E10value_typeEPSL_NS1_7vsmem_tEENKUlT_SJ_SK_SL_E_clIPiSE_SF_SF_EESI_SY_SJ_SK_SL_EUlSY_E0_NS1_11comp_targetILNS1_3genE5ELNS1_11target_archE942ELNS1_3gpuE9ELNS1_3repE0EEENS1_38merge_mergepath_config_static_selectorELNS0_4arch9wavefront6targetE0EEEvSK_.uses_flat_scratch, 0
	.set _ZN7rocprim17ROCPRIM_400000_NS6detail17trampoline_kernelINS0_14default_configENS1_38merge_sort_block_merge_config_selectorIiNS0_10empty_typeEEEZZNS1_27merge_sort_block_merge_implIS3_N6thrust23THRUST_200600_302600_NS6detail15normal_iteratorINS9_10device_ptrIiEEEEPS5_m9comp_mod3IiEEE10hipError_tT0_T1_T2_jT3_P12ihipStream_tbPNSt15iterator_traitsISJ_E10value_typeEPNSP_ISK_E10value_typeEPSL_NS1_7vsmem_tEENKUlT_SJ_SK_SL_E_clIPiSE_SF_SF_EESI_SY_SJ_SK_SL_EUlSY_E0_NS1_11comp_targetILNS1_3genE5ELNS1_11target_archE942ELNS1_3gpuE9ELNS1_3repE0EEENS1_38merge_mergepath_config_static_selectorELNS0_4arch9wavefront6targetE0EEEvSK_.has_dyn_sized_stack, 0
	.set _ZN7rocprim17ROCPRIM_400000_NS6detail17trampoline_kernelINS0_14default_configENS1_38merge_sort_block_merge_config_selectorIiNS0_10empty_typeEEEZZNS1_27merge_sort_block_merge_implIS3_N6thrust23THRUST_200600_302600_NS6detail15normal_iteratorINS9_10device_ptrIiEEEEPS5_m9comp_mod3IiEEE10hipError_tT0_T1_T2_jT3_P12ihipStream_tbPNSt15iterator_traitsISJ_E10value_typeEPNSP_ISK_E10value_typeEPSL_NS1_7vsmem_tEENKUlT_SJ_SK_SL_E_clIPiSE_SF_SF_EESI_SY_SJ_SK_SL_EUlSY_E0_NS1_11comp_targetILNS1_3genE5ELNS1_11target_archE942ELNS1_3gpuE9ELNS1_3repE0EEENS1_38merge_mergepath_config_static_selectorELNS0_4arch9wavefront6targetE0EEEvSK_.has_recursion, 0
	.set _ZN7rocprim17ROCPRIM_400000_NS6detail17trampoline_kernelINS0_14default_configENS1_38merge_sort_block_merge_config_selectorIiNS0_10empty_typeEEEZZNS1_27merge_sort_block_merge_implIS3_N6thrust23THRUST_200600_302600_NS6detail15normal_iteratorINS9_10device_ptrIiEEEEPS5_m9comp_mod3IiEEE10hipError_tT0_T1_T2_jT3_P12ihipStream_tbPNSt15iterator_traitsISJ_E10value_typeEPNSP_ISK_E10value_typeEPSL_NS1_7vsmem_tEENKUlT_SJ_SK_SL_E_clIPiSE_SF_SF_EESI_SY_SJ_SK_SL_EUlSY_E0_NS1_11comp_targetILNS1_3genE5ELNS1_11target_archE942ELNS1_3gpuE9ELNS1_3repE0EEENS1_38merge_mergepath_config_static_selectorELNS0_4arch9wavefront6targetE0EEEvSK_.has_indirect_call, 0
	.section	.AMDGPU.csdata,"",@progbits
; Kernel info:
; codeLenInByte = 0
; TotalNumSgprs: 0
; NumVgprs: 0
; ScratchSize: 0
; MemoryBound: 0
; FloatMode: 240
; IeeeMode: 1
; LDSByteSize: 0 bytes/workgroup (compile time only)
; SGPRBlocks: 0
; VGPRBlocks: 0
; NumSGPRsForWavesPerEU: 1
; NumVGPRsForWavesPerEU: 1
; Occupancy: 16
; WaveLimiterHint : 0
; COMPUTE_PGM_RSRC2:SCRATCH_EN: 0
; COMPUTE_PGM_RSRC2:USER_SGPR: 6
; COMPUTE_PGM_RSRC2:TRAP_HANDLER: 0
; COMPUTE_PGM_RSRC2:TGID_X_EN: 1
; COMPUTE_PGM_RSRC2:TGID_Y_EN: 0
; COMPUTE_PGM_RSRC2:TGID_Z_EN: 0
; COMPUTE_PGM_RSRC2:TIDIG_COMP_CNT: 0
	.section	.text._ZN7rocprim17ROCPRIM_400000_NS6detail17trampoline_kernelINS0_14default_configENS1_38merge_sort_block_merge_config_selectorIiNS0_10empty_typeEEEZZNS1_27merge_sort_block_merge_implIS3_N6thrust23THRUST_200600_302600_NS6detail15normal_iteratorINS9_10device_ptrIiEEEEPS5_m9comp_mod3IiEEE10hipError_tT0_T1_T2_jT3_P12ihipStream_tbPNSt15iterator_traitsISJ_E10value_typeEPNSP_ISK_E10value_typeEPSL_NS1_7vsmem_tEENKUlT_SJ_SK_SL_E_clIPiSE_SF_SF_EESI_SY_SJ_SK_SL_EUlSY_E0_NS1_11comp_targetILNS1_3genE4ELNS1_11target_archE910ELNS1_3gpuE8ELNS1_3repE0EEENS1_38merge_mergepath_config_static_selectorELNS0_4arch9wavefront6targetE0EEEvSK_,"axG",@progbits,_ZN7rocprim17ROCPRIM_400000_NS6detail17trampoline_kernelINS0_14default_configENS1_38merge_sort_block_merge_config_selectorIiNS0_10empty_typeEEEZZNS1_27merge_sort_block_merge_implIS3_N6thrust23THRUST_200600_302600_NS6detail15normal_iteratorINS9_10device_ptrIiEEEEPS5_m9comp_mod3IiEEE10hipError_tT0_T1_T2_jT3_P12ihipStream_tbPNSt15iterator_traitsISJ_E10value_typeEPNSP_ISK_E10value_typeEPSL_NS1_7vsmem_tEENKUlT_SJ_SK_SL_E_clIPiSE_SF_SF_EESI_SY_SJ_SK_SL_EUlSY_E0_NS1_11comp_targetILNS1_3genE4ELNS1_11target_archE910ELNS1_3gpuE8ELNS1_3repE0EEENS1_38merge_mergepath_config_static_selectorELNS0_4arch9wavefront6targetE0EEEvSK_,comdat
	.protected	_ZN7rocprim17ROCPRIM_400000_NS6detail17trampoline_kernelINS0_14default_configENS1_38merge_sort_block_merge_config_selectorIiNS0_10empty_typeEEEZZNS1_27merge_sort_block_merge_implIS3_N6thrust23THRUST_200600_302600_NS6detail15normal_iteratorINS9_10device_ptrIiEEEEPS5_m9comp_mod3IiEEE10hipError_tT0_T1_T2_jT3_P12ihipStream_tbPNSt15iterator_traitsISJ_E10value_typeEPNSP_ISK_E10value_typeEPSL_NS1_7vsmem_tEENKUlT_SJ_SK_SL_E_clIPiSE_SF_SF_EESI_SY_SJ_SK_SL_EUlSY_E0_NS1_11comp_targetILNS1_3genE4ELNS1_11target_archE910ELNS1_3gpuE8ELNS1_3repE0EEENS1_38merge_mergepath_config_static_selectorELNS0_4arch9wavefront6targetE0EEEvSK_ ; -- Begin function _ZN7rocprim17ROCPRIM_400000_NS6detail17trampoline_kernelINS0_14default_configENS1_38merge_sort_block_merge_config_selectorIiNS0_10empty_typeEEEZZNS1_27merge_sort_block_merge_implIS3_N6thrust23THRUST_200600_302600_NS6detail15normal_iteratorINS9_10device_ptrIiEEEEPS5_m9comp_mod3IiEEE10hipError_tT0_T1_T2_jT3_P12ihipStream_tbPNSt15iterator_traitsISJ_E10value_typeEPNSP_ISK_E10value_typeEPSL_NS1_7vsmem_tEENKUlT_SJ_SK_SL_E_clIPiSE_SF_SF_EESI_SY_SJ_SK_SL_EUlSY_E0_NS1_11comp_targetILNS1_3genE4ELNS1_11target_archE910ELNS1_3gpuE8ELNS1_3repE0EEENS1_38merge_mergepath_config_static_selectorELNS0_4arch9wavefront6targetE0EEEvSK_
	.globl	_ZN7rocprim17ROCPRIM_400000_NS6detail17trampoline_kernelINS0_14default_configENS1_38merge_sort_block_merge_config_selectorIiNS0_10empty_typeEEEZZNS1_27merge_sort_block_merge_implIS3_N6thrust23THRUST_200600_302600_NS6detail15normal_iteratorINS9_10device_ptrIiEEEEPS5_m9comp_mod3IiEEE10hipError_tT0_T1_T2_jT3_P12ihipStream_tbPNSt15iterator_traitsISJ_E10value_typeEPNSP_ISK_E10value_typeEPSL_NS1_7vsmem_tEENKUlT_SJ_SK_SL_E_clIPiSE_SF_SF_EESI_SY_SJ_SK_SL_EUlSY_E0_NS1_11comp_targetILNS1_3genE4ELNS1_11target_archE910ELNS1_3gpuE8ELNS1_3repE0EEENS1_38merge_mergepath_config_static_selectorELNS0_4arch9wavefront6targetE0EEEvSK_
	.p2align	8
	.type	_ZN7rocprim17ROCPRIM_400000_NS6detail17trampoline_kernelINS0_14default_configENS1_38merge_sort_block_merge_config_selectorIiNS0_10empty_typeEEEZZNS1_27merge_sort_block_merge_implIS3_N6thrust23THRUST_200600_302600_NS6detail15normal_iteratorINS9_10device_ptrIiEEEEPS5_m9comp_mod3IiEEE10hipError_tT0_T1_T2_jT3_P12ihipStream_tbPNSt15iterator_traitsISJ_E10value_typeEPNSP_ISK_E10value_typeEPSL_NS1_7vsmem_tEENKUlT_SJ_SK_SL_E_clIPiSE_SF_SF_EESI_SY_SJ_SK_SL_EUlSY_E0_NS1_11comp_targetILNS1_3genE4ELNS1_11target_archE910ELNS1_3gpuE8ELNS1_3repE0EEENS1_38merge_mergepath_config_static_selectorELNS0_4arch9wavefront6targetE0EEEvSK_,@function
_ZN7rocprim17ROCPRIM_400000_NS6detail17trampoline_kernelINS0_14default_configENS1_38merge_sort_block_merge_config_selectorIiNS0_10empty_typeEEEZZNS1_27merge_sort_block_merge_implIS3_N6thrust23THRUST_200600_302600_NS6detail15normal_iteratorINS9_10device_ptrIiEEEEPS5_m9comp_mod3IiEEE10hipError_tT0_T1_T2_jT3_P12ihipStream_tbPNSt15iterator_traitsISJ_E10value_typeEPNSP_ISK_E10value_typeEPSL_NS1_7vsmem_tEENKUlT_SJ_SK_SL_E_clIPiSE_SF_SF_EESI_SY_SJ_SK_SL_EUlSY_E0_NS1_11comp_targetILNS1_3genE4ELNS1_11target_archE910ELNS1_3gpuE8ELNS1_3repE0EEENS1_38merge_mergepath_config_static_selectorELNS0_4arch9wavefront6targetE0EEEvSK_: ; @_ZN7rocprim17ROCPRIM_400000_NS6detail17trampoline_kernelINS0_14default_configENS1_38merge_sort_block_merge_config_selectorIiNS0_10empty_typeEEEZZNS1_27merge_sort_block_merge_implIS3_N6thrust23THRUST_200600_302600_NS6detail15normal_iteratorINS9_10device_ptrIiEEEEPS5_m9comp_mod3IiEEE10hipError_tT0_T1_T2_jT3_P12ihipStream_tbPNSt15iterator_traitsISJ_E10value_typeEPNSP_ISK_E10value_typeEPSL_NS1_7vsmem_tEENKUlT_SJ_SK_SL_E_clIPiSE_SF_SF_EESI_SY_SJ_SK_SL_EUlSY_E0_NS1_11comp_targetILNS1_3genE4ELNS1_11target_archE910ELNS1_3gpuE8ELNS1_3repE0EEENS1_38merge_mergepath_config_static_selectorELNS0_4arch9wavefront6targetE0EEEvSK_
; %bb.0:
	.section	.rodata,"a",@progbits
	.p2align	6, 0x0
	.amdhsa_kernel _ZN7rocprim17ROCPRIM_400000_NS6detail17trampoline_kernelINS0_14default_configENS1_38merge_sort_block_merge_config_selectorIiNS0_10empty_typeEEEZZNS1_27merge_sort_block_merge_implIS3_N6thrust23THRUST_200600_302600_NS6detail15normal_iteratorINS9_10device_ptrIiEEEEPS5_m9comp_mod3IiEEE10hipError_tT0_T1_T2_jT3_P12ihipStream_tbPNSt15iterator_traitsISJ_E10value_typeEPNSP_ISK_E10value_typeEPSL_NS1_7vsmem_tEENKUlT_SJ_SK_SL_E_clIPiSE_SF_SF_EESI_SY_SJ_SK_SL_EUlSY_E0_NS1_11comp_targetILNS1_3genE4ELNS1_11target_archE910ELNS1_3gpuE8ELNS1_3repE0EEENS1_38merge_mergepath_config_static_selectorELNS0_4arch9wavefront6targetE0EEEvSK_
		.amdhsa_group_segment_fixed_size 0
		.amdhsa_private_segment_fixed_size 0
		.amdhsa_kernarg_size 80
		.amdhsa_user_sgpr_count 6
		.amdhsa_user_sgpr_private_segment_buffer 1
		.amdhsa_user_sgpr_dispatch_ptr 0
		.amdhsa_user_sgpr_queue_ptr 0
		.amdhsa_user_sgpr_kernarg_segment_ptr 1
		.amdhsa_user_sgpr_dispatch_id 0
		.amdhsa_user_sgpr_flat_scratch_init 0
		.amdhsa_user_sgpr_private_segment_size 0
		.amdhsa_wavefront_size32 1
		.amdhsa_uses_dynamic_stack 0
		.amdhsa_system_sgpr_private_segment_wavefront_offset 0
		.amdhsa_system_sgpr_workgroup_id_x 1
		.amdhsa_system_sgpr_workgroup_id_y 0
		.amdhsa_system_sgpr_workgroup_id_z 0
		.amdhsa_system_sgpr_workgroup_info 0
		.amdhsa_system_vgpr_workitem_id 0
		.amdhsa_next_free_vgpr 1
		.amdhsa_next_free_sgpr 1
		.amdhsa_reserve_vcc 0
		.amdhsa_reserve_flat_scratch 0
		.amdhsa_float_round_mode_32 0
		.amdhsa_float_round_mode_16_64 0
		.amdhsa_float_denorm_mode_32 3
		.amdhsa_float_denorm_mode_16_64 3
		.amdhsa_dx10_clamp 1
		.amdhsa_ieee_mode 1
		.amdhsa_fp16_overflow 0
		.amdhsa_workgroup_processor_mode 1
		.amdhsa_memory_ordered 1
		.amdhsa_forward_progress 1
		.amdhsa_shared_vgpr_count 0
		.amdhsa_exception_fp_ieee_invalid_op 0
		.amdhsa_exception_fp_denorm_src 0
		.amdhsa_exception_fp_ieee_div_zero 0
		.amdhsa_exception_fp_ieee_overflow 0
		.amdhsa_exception_fp_ieee_underflow 0
		.amdhsa_exception_fp_ieee_inexact 0
		.amdhsa_exception_int_div_zero 0
	.end_amdhsa_kernel
	.section	.text._ZN7rocprim17ROCPRIM_400000_NS6detail17trampoline_kernelINS0_14default_configENS1_38merge_sort_block_merge_config_selectorIiNS0_10empty_typeEEEZZNS1_27merge_sort_block_merge_implIS3_N6thrust23THRUST_200600_302600_NS6detail15normal_iteratorINS9_10device_ptrIiEEEEPS5_m9comp_mod3IiEEE10hipError_tT0_T1_T2_jT3_P12ihipStream_tbPNSt15iterator_traitsISJ_E10value_typeEPNSP_ISK_E10value_typeEPSL_NS1_7vsmem_tEENKUlT_SJ_SK_SL_E_clIPiSE_SF_SF_EESI_SY_SJ_SK_SL_EUlSY_E0_NS1_11comp_targetILNS1_3genE4ELNS1_11target_archE910ELNS1_3gpuE8ELNS1_3repE0EEENS1_38merge_mergepath_config_static_selectorELNS0_4arch9wavefront6targetE0EEEvSK_,"axG",@progbits,_ZN7rocprim17ROCPRIM_400000_NS6detail17trampoline_kernelINS0_14default_configENS1_38merge_sort_block_merge_config_selectorIiNS0_10empty_typeEEEZZNS1_27merge_sort_block_merge_implIS3_N6thrust23THRUST_200600_302600_NS6detail15normal_iteratorINS9_10device_ptrIiEEEEPS5_m9comp_mod3IiEEE10hipError_tT0_T1_T2_jT3_P12ihipStream_tbPNSt15iterator_traitsISJ_E10value_typeEPNSP_ISK_E10value_typeEPSL_NS1_7vsmem_tEENKUlT_SJ_SK_SL_E_clIPiSE_SF_SF_EESI_SY_SJ_SK_SL_EUlSY_E0_NS1_11comp_targetILNS1_3genE4ELNS1_11target_archE910ELNS1_3gpuE8ELNS1_3repE0EEENS1_38merge_mergepath_config_static_selectorELNS0_4arch9wavefront6targetE0EEEvSK_,comdat
.Lfunc_end999:
	.size	_ZN7rocprim17ROCPRIM_400000_NS6detail17trampoline_kernelINS0_14default_configENS1_38merge_sort_block_merge_config_selectorIiNS0_10empty_typeEEEZZNS1_27merge_sort_block_merge_implIS3_N6thrust23THRUST_200600_302600_NS6detail15normal_iteratorINS9_10device_ptrIiEEEEPS5_m9comp_mod3IiEEE10hipError_tT0_T1_T2_jT3_P12ihipStream_tbPNSt15iterator_traitsISJ_E10value_typeEPNSP_ISK_E10value_typeEPSL_NS1_7vsmem_tEENKUlT_SJ_SK_SL_E_clIPiSE_SF_SF_EESI_SY_SJ_SK_SL_EUlSY_E0_NS1_11comp_targetILNS1_3genE4ELNS1_11target_archE910ELNS1_3gpuE8ELNS1_3repE0EEENS1_38merge_mergepath_config_static_selectorELNS0_4arch9wavefront6targetE0EEEvSK_, .Lfunc_end999-_ZN7rocprim17ROCPRIM_400000_NS6detail17trampoline_kernelINS0_14default_configENS1_38merge_sort_block_merge_config_selectorIiNS0_10empty_typeEEEZZNS1_27merge_sort_block_merge_implIS3_N6thrust23THRUST_200600_302600_NS6detail15normal_iteratorINS9_10device_ptrIiEEEEPS5_m9comp_mod3IiEEE10hipError_tT0_T1_T2_jT3_P12ihipStream_tbPNSt15iterator_traitsISJ_E10value_typeEPNSP_ISK_E10value_typeEPSL_NS1_7vsmem_tEENKUlT_SJ_SK_SL_E_clIPiSE_SF_SF_EESI_SY_SJ_SK_SL_EUlSY_E0_NS1_11comp_targetILNS1_3genE4ELNS1_11target_archE910ELNS1_3gpuE8ELNS1_3repE0EEENS1_38merge_mergepath_config_static_selectorELNS0_4arch9wavefront6targetE0EEEvSK_
                                        ; -- End function
	.set _ZN7rocprim17ROCPRIM_400000_NS6detail17trampoline_kernelINS0_14default_configENS1_38merge_sort_block_merge_config_selectorIiNS0_10empty_typeEEEZZNS1_27merge_sort_block_merge_implIS3_N6thrust23THRUST_200600_302600_NS6detail15normal_iteratorINS9_10device_ptrIiEEEEPS5_m9comp_mod3IiEEE10hipError_tT0_T1_T2_jT3_P12ihipStream_tbPNSt15iterator_traitsISJ_E10value_typeEPNSP_ISK_E10value_typeEPSL_NS1_7vsmem_tEENKUlT_SJ_SK_SL_E_clIPiSE_SF_SF_EESI_SY_SJ_SK_SL_EUlSY_E0_NS1_11comp_targetILNS1_3genE4ELNS1_11target_archE910ELNS1_3gpuE8ELNS1_3repE0EEENS1_38merge_mergepath_config_static_selectorELNS0_4arch9wavefront6targetE0EEEvSK_.num_vgpr, 0
	.set _ZN7rocprim17ROCPRIM_400000_NS6detail17trampoline_kernelINS0_14default_configENS1_38merge_sort_block_merge_config_selectorIiNS0_10empty_typeEEEZZNS1_27merge_sort_block_merge_implIS3_N6thrust23THRUST_200600_302600_NS6detail15normal_iteratorINS9_10device_ptrIiEEEEPS5_m9comp_mod3IiEEE10hipError_tT0_T1_T2_jT3_P12ihipStream_tbPNSt15iterator_traitsISJ_E10value_typeEPNSP_ISK_E10value_typeEPSL_NS1_7vsmem_tEENKUlT_SJ_SK_SL_E_clIPiSE_SF_SF_EESI_SY_SJ_SK_SL_EUlSY_E0_NS1_11comp_targetILNS1_3genE4ELNS1_11target_archE910ELNS1_3gpuE8ELNS1_3repE0EEENS1_38merge_mergepath_config_static_selectorELNS0_4arch9wavefront6targetE0EEEvSK_.num_agpr, 0
	.set _ZN7rocprim17ROCPRIM_400000_NS6detail17trampoline_kernelINS0_14default_configENS1_38merge_sort_block_merge_config_selectorIiNS0_10empty_typeEEEZZNS1_27merge_sort_block_merge_implIS3_N6thrust23THRUST_200600_302600_NS6detail15normal_iteratorINS9_10device_ptrIiEEEEPS5_m9comp_mod3IiEEE10hipError_tT0_T1_T2_jT3_P12ihipStream_tbPNSt15iterator_traitsISJ_E10value_typeEPNSP_ISK_E10value_typeEPSL_NS1_7vsmem_tEENKUlT_SJ_SK_SL_E_clIPiSE_SF_SF_EESI_SY_SJ_SK_SL_EUlSY_E0_NS1_11comp_targetILNS1_3genE4ELNS1_11target_archE910ELNS1_3gpuE8ELNS1_3repE0EEENS1_38merge_mergepath_config_static_selectorELNS0_4arch9wavefront6targetE0EEEvSK_.numbered_sgpr, 0
	.set _ZN7rocprim17ROCPRIM_400000_NS6detail17trampoline_kernelINS0_14default_configENS1_38merge_sort_block_merge_config_selectorIiNS0_10empty_typeEEEZZNS1_27merge_sort_block_merge_implIS3_N6thrust23THRUST_200600_302600_NS6detail15normal_iteratorINS9_10device_ptrIiEEEEPS5_m9comp_mod3IiEEE10hipError_tT0_T1_T2_jT3_P12ihipStream_tbPNSt15iterator_traitsISJ_E10value_typeEPNSP_ISK_E10value_typeEPSL_NS1_7vsmem_tEENKUlT_SJ_SK_SL_E_clIPiSE_SF_SF_EESI_SY_SJ_SK_SL_EUlSY_E0_NS1_11comp_targetILNS1_3genE4ELNS1_11target_archE910ELNS1_3gpuE8ELNS1_3repE0EEENS1_38merge_mergepath_config_static_selectorELNS0_4arch9wavefront6targetE0EEEvSK_.num_named_barrier, 0
	.set _ZN7rocprim17ROCPRIM_400000_NS6detail17trampoline_kernelINS0_14default_configENS1_38merge_sort_block_merge_config_selectorIiNS0_10empty_typeEEEZZNS1_27merge_sort_block_merge_implIS3_N6thrust23THRUST_200600_302600_NS6detail15normal_iteratorINS9_10device_ptrIiEEEEPS5_m9comp_mod3IiEEE10hipError_tT0_T1_T2_jT3_P12ihipStream_tbPNSt15iterator_traitsISJ_E10value_typeEPNSP_ISK_E10value_typeEPSL_NS1_7vsmem_tEENKUlT_SJ_SK_SL_E_clIPiSE_SF_SF_EESI_SY_SJ_SK_SL_EUlSY_E0_NS1_11comp_targetILNS1_3genE4ELNS1_11target_archE910ELNS1_3gpuE8ELNS1_3repE0EEENS1_38merge_mergepath_config_static_selectorELNS0_4arch9wavefront6targetE0EEEvSK_.private_seg_size, 0
	.set _ZN7rocprim17ROCPRIM_400000_NS6detail17trampoline_kernelINS0_14default_configENS1_38merge_sort_block_merge_config_selectorIiNS0_10empty_typeEEEZZNS1_27merge_sort_block_merge_implIS3_N6thrust23THRUST_200600_302600_NS6detail15normal_iteratorINS9_10device_ptrIiEEEEPS5_m9comp_mod3IiEEE10hipError_tT0_T1_T2_jT3_P12ihipStream_tbPNSt15iterator_traitsISJ_E10value_typeEPNSP_ISK_E10value_typeEPSL_NS1_7vsmem_tEENKUlT_SJ_SK_SL_E_clIPiSE_SF_SF_EESI_SY_SJ_SK_SL_EUlSY_E0_NS1_11comp_targetILNS1_3genE4ELNS1_11target_archE910ELNS1_3gpuE8ELNS1_3repE0EEENS1_38merge_mergepath_config_static_selectorELNS0_4arch9wavefront6targetE0EEEvSK_.uses_vcc, 0
	.set _ZN7rocprim17ROCPRIM_400000_NS6detail17trampoline_kernelINS0_14default_configENS1_38merge_sort_block_merge_config_selectorIiNS0_10empty_typeEEEZZNS1_27merge_sort_block_merge_implIS3_N6thrust23THRUST_200600_302600_NS6detail15normal_iteratorINS9_10device_ptrIiEEEEPS5_m9comp_mod3IiEEE10hipError_tT0_T1_T2_jT3_P12ihipStream_tbPNSt15iterator_traitsISJ_E10value_typeEPNSP_ISK_E10value_typeEPSL_NS1_7vsmem_tEENKUlT_SJ_SK_SL_E_clIPiSE_SF_SF_EESI_SY_SJ_SK_SL_EUlSY_E0_NS1_11comp_targetILNS1_3genE4ELNS1_11target_archE910ELNS1_3gpuE8ELNS1_3repE0EEENS1_38merge_mergepath_config_static_selectorELNS0_4arch9wavefront6targetE0EEEvSK_.uses_flat_scratch, 0
	.set _ZN7rocprim17ROCPRIM_400000_NS6detail17trampoline_kernelINS0_14default_configENS1_38merge_sort_block_merge_config_selectorIiNS0_10empty_typeEEEZZNS1_27merge_sort_block_merge_implIS3_N6thrust23THRUST_200600_302600_NS6detail15normal_iteratorINS9_10device_ptrIiEEEEPS5_m9comp_mod3IiEEE10hipError_tT0_T1_T2_jT3_P12ihipStream_tbPNSt15iterator_traitsISJ_E10value_typeEPNSP_ISK_E10value_typeEPSL_NS1_7vsmem_tEENKUlT_SJ_SK_SL_E_clIPiSE_SF_SF_EESI_SY_SJ_SK_SL_EUlSY_E0_NS1_11comp_targetILNS1_3genE4ELNS1_11target_archE910ELNS1_3gpuE8ELNS1_3repE0EEENS1_38merge_mergepath_config_static_selectorELNS0_4arch9wavefront6targetE0EEEvSK_.has_dyn_sized_stack, 0
	.set _ZN7rocprim17ROCPRIM_400000_NS6detail17trampoline_kernelINS0_14default_configENS1_38merge_sort_block_merge_config_selectorIiNS0_10empty_typeEEEZZNS1_27merge_sort_block_merge_implIS3_N6thrust23THRUST_200600_302600_NS6detail15normal_iteratorINS9_10device_ptrIiEEEEPS5_m9comp_mod3IiEEE10hipError_tT0_T1_T2_jT3_P12ihipStream_tbPNSt15iterator_traitsISJ_E10value_typeEPNSP_ISK_E10value_typeEPSL_NS1_7vsmem_tEENKUlT_SJ_SK_SL_E_clIPiSE_SF_SF_EESI_SY_SJ_SK_SL_EUlSY_E0_NS1_11comp_targetILNS1_3genE4ELNS1_11target_archE910ELNS1_3gpuE8ELNS1_3repE0EEENS1_38merge_mergepath_config_static_selectorELNS0_4arch9wavefront6targetE0EEEvSK_.has_recursion, 0
	.set _ZN7rocprim17ROCPRIM_400000_NS6detail17trampoline_kernelINS0_14default_configENS1_38merge_sort_block_merge_config_selectorIiNS0_10empty_typeEEEZZNS1_27merge_sort_block_merge_implIS3_N6thrust23THRUST_200600_302600_NS6detail15normal_iteratorINS9_10device_ptrIiEEEEPS5_m9comp_mod3IiEEE10hipError_tT0_T1_T2_jT3_P12ihipStream_tbPNSt15iterator_traitsISJ_E10value_typeEPNSP_ISK_E10value_typeEPSL_NS1_7vsmem_tEENKUlT_SJ_SK_SL_E_clIPiSE_SF_SF_EESI_SY_SJ_SK_SL_EUlSY_E0_NS1_11comp_targetILNS1_3genE4ELNS1_11target_archE910ELNS1_3gpuE8ELNS1_3repE0EEENS1_38merge_mergepath_config_static_selectorELNS0_4arch9wavefront6targetE0EEEvSK_.has_indirect_call, 0
	.section	.AMDGPU.csdata,"",@progbits
; Kernel info:
; codeLenInByte = 0
; TotalNumSgprs: 0
; NumVgprs: 0
; ScratchSize: 0
; MemoryBound: 0
; FloatMode: 240
; IeeeMode: 1
; LDSByteSize: 0 bytes/workgroup (compile time only)
; SGPRBlocks: 0
; VGPRBlocks: 0
; NumSGPRsForWavesPerEU: 1
; NumVGPRsForWavesPerEU: 1
; Occupancy: 16
; WaveLimiterHint : 0
; COMPUTE_PGM_RSRC2:SCRATCH_EN: 0
; COMPUTE_PGM_RSRC2:USER_SGPR: 6
; COMPUTE_PGM_RSRC2:TRAP_HANDLER: 0
; COMPUTE_PGM_RSRC2:TGID_X_EN: 1
; COMPUTE_PGM_RSRC2:TGID_Y_EN: 0
; COMPUTE_PGM_RSRC2:TGID_Z_EN: 0
; COMPUTE_PGM_RSRC2:TIDIG_COMP_CNT: 0
	.section	.text._ZN7rocprim17ROCPRIM_400000_NS6detail17trampoline_kernelINS0_14default_configENS1_38merge_sort_block_merge_config_selectorIiNS0_10empty_typeEEEZZNS1_27merge_sort_block_merge_implIS3_N6thrust23THRUST_200600_302600_NS6detail15normal_iteratorINS9_10device_ptrIiEEEEPS5_m9comp_mod3IiEEE10hipError_tT0_T1_T2_jT3_P12ihipStream_tbPNSt15iterator_traitsISJ_E10value_typeEPNSP_ISK_E10value_typeEPSL_NS1_7vsmem_tEENKUlT_SJ_SK_SL_E_clIPiSE_SF_SF_EESI_SY_SJ_SK_SL_EUlSY_E0_NS1_11comp_targetILNS1_3genE3ELNS1_11target_archE908ELNS1_3gpuE7ELNS1_3repE0EEENS1_38merge_mergepath_config_static_selectorELNS0_4arch9wavefront6targetE0EEEvSK_,"axG",@progbits,_ZN7rocprim17ROCPRIM_400000_NS6detail17trampoline_kernelINS0_14default_configENS1_38merge_sort_block_merge_config_selectorIiNS0_10empty_typeEEEZZNS1_27merge_sort_block_merge_implIS3_N6thrust23THRUST_200600_302600_NS6detail15normal_iteratorINS9_10device_ptrIiEEEEPS5_m9comp_mod3IiEEE10hipError_tT0_T1_T2_jT3_P12ihipStream_tbPNSt15iterator_traitsISJ_E10value_typeEPNSP_ISK_E10value_typeEPSL_NS1_7vsmem_tEENKUlT_SJ_SK_SL_E_clIPiSE_SF_SF_EESI_SY_SJ_SK_SL_EUlSY_E0_NS1_11comp_targetILNS1_3genE3ELNS1_11target_archE908ELNS1_3gpuE7ELNS1_3repE0EEENS1_38merge_mergepath_config_static_selectorELNS0_4arch9wavefront6targetE0EEEvSK_,comdat
	.protected	_ZN7rocprim17ROCPRIM_400000_NS6detail17trampoline_kernelINS0_14default_configENS1_38merge_sort_block_merge_config_selectorIiNS0_10empty_typeEEEZZNS1_27merge_sort_block_merge_implIS3_N6thrust23THRUST_200600_302600_NS6detail15normal_iteratorINS9_10device_ptrIiEEEEPS5_m9comp_mod3IiEEE10hipError_tT0_T1_T2_jT3_P12ihipStream_tbPNSt15iterator_traitsISJ_E10value_typeEPNSP_ISK_E10value_typeEPSL_NS1_7vsmem_tEENKUlT_SJ_SK_SL_E_clIPiSE_SF_SF_EESI_SY_SJ_SK_SL_EUlSY_E0_NS1_11comp_targetILNS1_3genE3ELNS1_11target_archE908ELNS1_3gpuE7ELNS1_3repE0EEENS1_38merge_mergepath_config_static_selectorELNS0_4arch9wavefront6targetE0EEEvSK_ ; -- Begin function _ZN7rocprim17ROCPRIM_400000_NS6detail17trampoline_kernelINS0_14default_configENS1_38merge_sort_block_merge_config_selectorIiNS0_10empty_typeEEEZZNS1_27merge_sort_block_merge_implIS3_N6thrust23THRUST_200600_302600_NS6detail15normal_iteratorINS9_10device_ptrIiEEEEPS5_m9comp_mod3IiEEE10hipError_tT0_T1_T2_jT3_P12ihipStream_tbPNSt15iterator_traitsISJ_E10value_typeEPNSP_ISK_E10value_typeEPSL_NS1_7vsmem_tEENKUlT_SJ_SK_SL_E_clIPiSE_SF_SF_EESI_SY_SJ_SK_SL_EUlSY_E0_NS1_11comp_targetILNS1_3genE3ELNS1_11target_archE908ELNS1_3gpuE7ELNS1_3repE0EEENS1_38merge_mergepath_config_static_selectorELNS0_4arch9wavefront6targetE0EEEvSK_
	.globl	_ZN7rocprim17ROCPRIM_400000_NS6detail17trampoline_kernelINS0_14default_configENS1_38merge_sort_block_merge_config_selectorIiNS0_10empty_typeEEEZZNS1_27merge_sort_block_merge_implIS3_N6thrust23THRUST_200600_302600_NS6detail15normal_iteratorINS9_10device_ptrIiEEEEPS5_m9comp_mod3IiEEE10hipError_tT0_T1_T2_jT3_P12ihipStream_tbPNSt15iterator_traitsISJ_E10value_typeEPNSP_ISK_E10value_typeEPSL_NS1_7vsmem_tEENKUlT_SJ_SK_SL_E_clIPiSE_SF_SF_EESI_SY_SJ_SK_SL_EUlSY_E0_NS1_11comp_targetILNS1_3genE3ELNS1_11target_archE908ELNS1_3gpuE7ELNS1_3repE0EEENS1_38merge_mergepath_config_static_selectorELNS0_4arch9wavefront6targetE0EEEvSK_
	.p2align	8
	.type	_ZN7rocprim17ROCPRIM_400000_NS6detail17trampoline_kernelINS0_14default_configENS1_38merge_sort_block_merge_config_selectorIiNS0_10empty_typeEEEZZNS1_27merge_sort_block_merge_implIS3_N6thrust23THRUST_200600_302600_NS6detail15normal_iteratorINS9_10device_ptrIiEEEEPS5_m9comp_mod3IiEEE10hipError_tT0_T1_T2_jT3_P12ihipStream_tbPNSt15iterator_traitsISJ_E10value_typeEPNSP_ISK_E10value_typeEPSL_NS1_7vsmem_tEENKUlT_SJ_SK_SL_E_clIPiSE_SF_SF_EESI_SY_SJ_SK_SL_EUlSY_E0_NS1_11comp_targetILNS1_3genE3ELNS1_11target_archE908ELNS1_3gpuE7ELNS1_3repE0EEENS1_38merge_mergepath_config_static_selectorELNS0_4arch9wavefront6targetE0EEEvSK_,@function
_ZN7rocprim17ROCPRIM_400000_NS6detail17trampoline_kernelINS0_14default_configENS1_38merge_sort_block_merge_config_selectorIiNS0_10empty_typeEEEZZNS1_27merge_sort_block_merge_implIS3_N6thrust23THRUST_200600_302600_NS6detail15normal_iteratorINS9_10device_ptrIiEEEEPS5_m9comp_mod3IiEEE10hipError_tT0_T1_T2_jT3_P12ihipStream_tbPNSt15iterator_traitsISJ_E10value_typeEPNSP_ISK_E10value_typeEPSL_NS1_7vsmem_tEENKUlT_SJ_SK_SL_E_clIPiSE_SF_SF_EESI_SY_SJ_SK_SL_EUlSY_E0_NS1_11comp_targetILNS1_3genE3ELNS1_11target_archE908ELNS1_3gpuE7ELNS1_3repE0EEENS1_38merge_mergepath_config_static_selectorELNS0_4arch9wavefront6targetE0EEEvSK_: ; @_ZN7rocprim17ROCPRIM_400000_NS6detail17trampoline_kernelINS0_14default_configENS1_38merge_sort_block_merge_config_selectorIiNS0_10empty_typeEEEZZNS1_27merge_sort_block_merge_implIS3_N6thrust23THRUST_200600_302600_NS6detail15normal_iteratorINS9_10device_ptrIiEEEEPS5_m9comp_mod3IiEEE10hipError_tT0_T1_T2_jT3_P12ihipStream_tbPNSt15iterator_traitsISJ_E10value_typeEPNSP_ISK_E10value_typeEPSL_NS1_7vsmem_tEENKUlT_SJ_SK_SL_E_clIPiSE_SF_SF_EESI_SY_SJ_SK_SL_EUlSY_E0_NS1_11comp_targetILNS1_3genE3ELNS1_11target_archE908ELNS1_3gpuE7ELNS1_3repE0EEENS1_38merge_mergepath_config_static_selectorELNS0_4arch9wavefront6targetE0EEEvSK_
; %bb.0:
	.section	.rodata,"a",@progbits
	.p2align	6, 0x0
	.amdhsa_kernel _ZN7rocprim17ROCPRIM_400000_NS6detail17trampoline_kernelINS0_14default_configENS1_38merge_sort_block_merge_config_selectorIiNS0_10empty_typeEEEZZNS1_27merge_sort_block_merge_implIS3_N6thrust23THRUST_200600_302600_NS6detail15normal_iteratorINS9_10device_ptrIiEEEEPS5_m9comp_mod3IiEEE10hipError_tT0_T1_T2_jT3_P12ihipStream_tbPNSt15iterator_traitsISJ_E10value_typeEPNSP_ISK_E10value_typeEPSL_NS1_7vsmem_tEENKUlT_SJ_SK_SL_E_clIPiSE_SF_SF_EESI_SY_SJ_SK_SL_EUlSY_E0_NS1_11comp_targetILNS1_3genE3ELNS1_11target_archE908ELNS1_3gpuE7ELNS1_3repE0EEENS1_38merge_mergepath_config_static_selectorELNS0_4arch9wavefront6targetE0EEEvSK_
		.amdhsa_group_segment_fixed_size 0
		.amdhsa_private_segment_fixed_size 0
		.amdhsa_kernarg_size 80
		.amdhsa_user_sgpr_count 6
		.amdhsa_user_sgpr_private_segment_buffer 1
		.amdhsa_user_sgpr_dispatch_ptr 0
		.amdhsa_user_sgpr_queue_ptr 0
		.amdhsa_user_sgpr_kernarg_segment_ptr 1
		.amdhsa_user_sgpr_dispatch_id 0
		.amdhsa_user_sgpr_flat_scratch_init 0
		.amdhsa_user_sgpr_private_segment_size 0
		.amdhsa_wavefront_size32 1
		.amdhsa_uses_dynamic_stack 0
		.amdhsa_system_sgpr_private_segment_wavefront_offset 0
		.amdhsa_system_sgpr_workgroup_id_x 1
		.amdhsa_system_sgpr_workgroup_id_y 0
		.amdhsa_system_sgpr_workgroup_id_z 0
		.amdhsa_system_sgpr_workgroup_info 0
		.amdhsa_system_vgpr_workitem_id 0
		.amdhsa_next_free_vgpr 1
		.amdhsa_next_free_sgpr 1
		.amdhsa_reserve_vcc 0
		.amdhsa_reserve_flat_scratch 0
		.amdhsa_float_round_mode_32 0
		.amdhsa_float_round_mode_16_64 0
		.amdhsa_float_denorm_mode_32 3
		.amdhsa_float_denorm_mode_16_64 3
		.amdhsa_dx10_clamp 1
		.amdhsa_ieee_mode 1
		.amdhsa_fp16_overflow 0
		.amdhsa_workgroup_processor_mode 1
		.amdhsa_memory_ordered 1
		.amdhsa_forward_progress 1
		.amdhsa_shared_vgpr_count 0
		.amdhsa_exception_fp_ieee_invalid_op 0
		.amdhsa_exception_fp_denorm_src 0
		.amdhsa_exception_fp_ieee_div_zero 0
		.amdhsa_exception_fp_ieee_overflow 0
		.amdhsa_exception_fp_ieee_underflow 0
		.amdhsa_exception_fp_ieee_inexact 0
		.amdhsa_exception_int_div_zero 0
	.end_amdhsa_kernel
	.section	.text._ZN7rocprim17ROCPRIM_400000_NS6detail17trampoline_kernelINS0_14default_configENS1_38merge_sort_block_merge_config_selectorIiNS0_10empty_typeEEEZZNS1_27merge_sort_block_merge_implIS3_N6thrust23THRUST_200600_302600_NS6detail15normal_iteratorINS9_10device_ptrIiEEEEPS5_m9comp_mod3IiEEE10hipError_tT0_T1_T2_jT3_P12ihipStream_tbPNSt15iterator_traitsISJ_E10value_typeEPNSP_ISK_E10value_typeEPSL_NS1_7vsmem_tEENKUlT_SJ_SK_SL_E_clIPiSE_SF_SF_EESI_SY_SJ_SK_SL_EUlSY_E0_NS1_11comp_targetILNS1_3genE3ELNS1_11target_archE908ELNS1_3gpuE7ELNS1_3repE0EEENS1_38merge_mergepath_config_static_selectorELNS0_4arch9wavefront6targetE0EEEvSK_,"axG",@progbits,_ZN7rocprim17ROCPRIM_400000_NS6detail17trampoline_kernelINS0_14default_configENS1_38merge_sort_block_merge_config_selectorIiNS0_10empty_typeEEEZZNS1_27merge_sort_block_merge_implIS3_N6thrust23THRUST_200600_302600_NS6detail15normal_iteratorINS9_10device_ptrIiEEEEPS5_m9comp_mod3IiEEE10hipError_tT0_T1_T2_jT3_P12ihipStream_tbPNSt15iterator_traitsISJ_E10value_typeEPNSP_ISK_E10value_typeEPSL_NS1_7vsmem_tEENKUlT_SJ_SK_SL_E_clIPiSE_SF_SF_EESI_SY_SJ_SK_SL_EUlSY_E0_NS1_11comp_targetILNS1_3genE3ELNS1_11target_archE908ELNS1_3gpuE7ELNS1_3repE0EEENS1_38merge_mergepath_config_static_selectorELNS0_4arch9wavefront6targetE0EEEvSK_,comdat
.Lfunc_end1000:
	.size	_ZN7rocprim17ROCPRIM_400000_NS6detail17trampoline_kernelINS0_14default_configENS1_38merge_sort_block_merge_config_selectorIiNS0_10empty_typeEEEZZNS1_27merge_sort_block_merge_implIS3_N6thrust23THRUST_200600_302600_NS6detail15normal_iteratorINS9_10device_ptrIiEEEEPS5_m9comp_mod3IiEEE10hipError_tT0_T1_T2_jT3_P12ihipStream_tbPNSt15iterator_traitsISJ_E10value_typeEPNSP_ISK_E10value_typeEPSL_NS1_7vsmem_tEENKUlT_SJ_SK_SL_E_clIPiSE_SF_SF_EESI_SY_SJ_SK_SL_EUlSY_E0_NS1_11comp_targetILNS1_3genE3ELNS1_11target_archE908ELNS1_3gpuE7ELNS1_3repE0EEENS1_38merge_mergepath_config_static_selectorELNS0_4arch9wavefront6targetE0EEEvSK_, .Lfunc_end1000-_ZN7rocprim17ROCPRIM_400000_NS6detail17trampoline_kernelINS0_14default_configENS1_38merge_sort_block_merge_config_selectorIiNS0_10empty_typeEEEZZNS1_27merge_sort_block_merge_implIS3_N6thrust23THRUST_200600_302600_NS6detail15normal_iteratorINS9_10device_ptrIiEEEEPS5_m9comp_mod3IiEEE10hipError_tT0_T1_T2_jT3_P12ihipStream_tbPNSt15iterator_traitsISJ_E10value_typeEPNSP_ISK_E10value_typeEPSL_NS1_7vsmem_tEENKUlT_SJ_SK_SL_E_clIPiSE_SF_SF_EESI_SY_SJ_SK_SL_EUlSY_E0_NS1_11comp_targetILNS1_3genE3ELNS1_11target_archE908ELNS1_3gpuE7ELNS1_3repE0EEENS1_38merge_mergepath_config_static_selectorELNS0_4arch9wavefront6targetE0EEEvSK_
                                        ; -- End function
	.set _ZN7rocprim17ROCPRIM_400000_NS6detail17trampoline_kernelINS0_14default_configENS1_38merge_sort_block_merge_config_selectorIiNS0_10empty_typeEEEZZNS1_27merge_sort_block_merge_implIS3_N6thrust23THRUST_200600_302600_NS6detail15normal_iteratorINS9_10device_ptrIiEEEEPS5_m9comp_mod3IiEEE10hipError_tT0_T1_T2_jT3_P12ihipStream_tbPNSt15iterator_traitsISJ_E10value_typeEPNSP_ISK_E10value_typeEPSL_NS1_7vsmem_tEENKUlT_SJ_SK_SL_E_clIPiSE_SF_SF_EESI_SY_SJ_SK_SL_EUlSY_E0_NS1_11comp_targetILNS1_3genE3ELNS1_11target_archE908ELNS1_3gpuE7ELNS1_3repE0EEENS1_38merge_mergepath_config_static_selectorELNS0_4arch9wavefront6targetE0EEEvSK_.num_vgpr, 0
	.set _ZN7rocprim17ROCPRIM_400000_NS6detail17trampoline_kernelINS0_14default_configENS1_38merge_sort_block_merge_config_selectorIiNS0_10empty_typeEEEZZNS1_27merge_sort_block_merge_implIS3_N6thrust23THRUST_200600_302600_NS6detail15normal_iteratorINS9_10device_ptrIiEEEEPS5_m9comp_mod3IiEEE10hipError_tT0_T1_T2_jT3_P12ihipStream_tbPNSt15iterator_traitsISJ_E10value_typeEPNSP_ISK_E10value_typeEPSL_NS1_7vsmem_tEENKUlT_SJ_SK_SL_E_clIPiSE_SF_SF_EESI_SY_SJ_SK_SL_EUlSY_E0_NS1_11comp_targetILNS1_3genE3ELNS1_11target_archE908ELNS1_3gpuE7ELNS1_3repE0EEENS1_38merge_mergepath_config_static_selectorELNS0_4arch9wavefront6targetE0EEEvSK_.num_agpr, 0
	.set _ZN7rocprim17ROCPRIM_400000_NS6detail17trampoline_kernelINS0_14default_configENS1_38merge_sort_block_merge_config_selectorIiNS0_10empty_typeEEEZZNS1_27merge_sort_block_merge_implIS3_N6thrust23THRUST_200600_302600_NS6detail15normal_iteratorINS9_10device_ptrIiEEEEPS5_m9comp_mod3IiEEE10hipError_tT0_T1_T2_jT3_P12ihipStream_tbPNSt15iterator_traitsISJ_E10value_typeEPNSP_ISK_E10value_typeEPSL_NS1_7vsmem_tEENKUlT_SJ_SK_SL_E_clIPiSE_SF_SF_EESI_SY_SJ_SK_SL_EUlSY_E0_NS1_11comp_targetILNS1_3genE3ELNS1_11target_archE908ELNS1_3gpuE7ELNS1_3repE0EEENS1_38merge_mergepath_config_static_selectorELNS0_4arch9wavefront6targetE0EEEvSK_.numbered_sgpr, 0
	.set _ZN7rocprim17ROCPRIM_400000_NS6detail17trampoline_kernelINS0_14default_configENS1_38merge_sort_block_merge_config_selectorIiNS0_10empty_typeEEEZZNS1_27merge_sort_block_merge_implIS3_N6thrust23THRUST_200600_302600_NS6detail15normal_iteratorINS9_10device_ptrIiEEEEPS5_m9comp_mod3IiEEE10hipError_tT0_T1_T2_jT3_P12ihipStream_tbPNSt15iterator_traitsISJ_E10value_typeEPNSP_ISK_E10value_typeEPSL_NS1_7vsmem_tEENKUlT_SJ_SK_SL_E_clIPiSE_SF_SF_EESI_SY_SJ_SK_SL_EUlSY_E0_NS1_11comp_targetILNS1_3genE3ELNS1_11target_archE908ELNS1_3gpuE7ELNS1_3repE0EEENS1_38merge_mergepath_config_static_selectorELNS0_4arch9wavefront6targetE0EEEvSK_.num_named_barrier, 0
	.set _ZN7rocprim17ROCPRIM_400000_NS6detail17trampoline_kernelINS0_14default_configENS1_38merge_sort_block_merge_config_selectorIiNS0_10empty_typeEEEZZNS1_27merge_sort_block_merge_implIS3_N6thrust23THRUST_200600_302600_NS6detail15normal_iteratorINS9_10device_ptrIiEEEEPS5_m9comp_mod3IiEEE10hipError_tT0_T1_T2_jT3_P12ihipStream_tbPNSt15iterator_traitsISJ_E10value_typeEPNSP_ISK_E10value_typeEPSL_NS1_7vsmem_tEENKUlT_SJ_SK_SL_E_clIPiSE_SF_SF_EESI_SY_SJ_SK_SL_EUlSY_E0_NS1_11comp_targetILNS1_3genE3ELNS1_11target_archE908ELNS1_3gpuE7ELNS1_3repE0EEENS1_38merge_mergepath_config_static_selectorELNS0_4arch9wavefront6targetE0EEEvSK_.private_seg_size, 0
	.set _ZN7rocprim17ROCPRIM_400000_NS6detail17trampoline_kernelINS0_14default_configENS1_38merge_sort_block_merge_config_selectorIiNS0_10empty_typeEEEZZNS1_27merge_sort_block_merge_implIS3_N6thrust23THRUST_200600_302600_NS6detail15normal_iteratorINS9_10device_ptrIiEEEEPS5_m9comp_mod3IiEEE10hipError_tT0_T1_T2_jT3_P12ihipStream_tbPNSt15iterator_traitsISJ_E10value_typeEPNSP_ISK_E10value_typeEPSL_NS1_7vsmem_tEENKUlT_SJ_SK_SL_E_clIPiSE_SF_SF_EESI_SY_SJ_SK_SL_EUlSY_E0_NS1_11comp_targetILNS1_3genE3ELNS1_11target_archE908ELNS1_3gpuE7ELNS1_3repE0EEENS1_38merge_mergepath_config_static_selectorELNS0_4arch9wavefront6targetE0EEEvSK_.uses_vcc, 0
	.set _ZN7rocprim17ROCPRIM_400000_NS6detail17trampoline_kernelINS0_14default_configENS1_38merge_sort_block_merge_config_selectorIiNS0_10empty_typeEEEZZNS1_27merge_sort_block_merge_implIS3_N6thrust23THRUST_200600_302600_NS6detail15normal_iteratorINS9_10device_ptrIiEEEEPS5_m9comp_mod3IiEEE10hipError_tT0_T1_T2_jT3_P12ihipStream_tbPNSt15iterator_traitsISJ_E10value_typeEPNSP_ISK_E10value_typeEPSL_NS1_7vsmem_tEENKUlT_SJ_SK_SL_E_clIPiSE_SF_SF_EESI_SY_SJ_SK_SL_EUlSY_E0_NS1_11comp_targetILNS1_3genE3ELNS1_11target_archE908ELNS1_3gpuE7ELNS1_3repE0EEENS1_38merge_mergepath_config_static_selectorELNS0_4arch9wavefront6targetE0EEEvSK_.uses_flat_scratch, 0
	.set _ZN7rocprim17ROCPRIM_400000_NS6detail17trampoline_kernelINS0_14default_configENS1_38merge_sort_block_merge_config_selectorIiNS0_10empty_typeEEEZZNS1_27merge_sort_block_merge_implIS3_N6thrust23THRUST_200600_302600_NS6detail15normal_iteratorINS9_10device_ptrIiEEEEPS5_m9comp_mod3IiEEE10hipError_tT0_T1_T2_jT3_P12ihipStream_tbPNSt15iterator_traitsISJ_E10value_typeEPNSP_ISK_E10value_typeEPSL_NS1_7vsmem_tEENKUlT_SJ_SK_SL_E_clIPiSE_SF_SF_EESI_SY_SJ_SK_SL_EUlSY_E0_NS1_11comp_targetILNS1_3genE3ELNS1_11target_archE908ELNS1_3gpuE7ELNS1_3repE0EEENS1_38merge_mergepath_config_static_selectorELNS0_4arch9wavefront6targetE0EEEvSK_.has_dyn_sized_stack, 0
	.set _ZN7rocprim17ROCPRIM_400000_NS6detail17trampoline_kernelINS0_14default_configENS1_38merge_sort_block_merge_config_selectorIiNS0_10empty_typeEEEZZNS1_27merge_sort_block_merge_implIS3_N6thrust23THRUST_200600_302600_NS6detail15normal_iteratorINS9_10device_ptrIiEEEEPS5_m9comp_mod3IiEEE10hipError_tT0_T1_T2_jT3_P12ihipStream_tbPNSt15iterator_traitsISJ_E10value_typeEPNSP_ISK_E10value_typeEPSL_NS1_7vsmem_tEENKUlT_SJ_SK_SL_E_clIPiSE_SF_SF_EESI_SY_SJ_SK_SL_EUlSY_E0_NS1_11comp_targetILNS1_3genE3ELNS1_11target_archE908ELNS1_3gpuE7ELNS1_3repE0EEENS1_38merge_mergepath_config_static_selectorELNS0_4arch9wavefront6targetE0EEEvSK_.has_recursion, 0
	.set _ZN7rocprim17ROCPRIM_400000_NS6detail17trampoline_kernelINS0_14default_configENS1_38merge_sort_block_merge_config_selectorIiNS0_10empty_typeEEEZZNS1_27merge_sort_block_merge_implIS3_N6thrust23THRUST_200600_302600_NS6detail15normal_iteratorINS9_10device_ptrIiEEEEPS5_m9comp_mod3IiEEE10hipError_tT0_T1_T2_jT3_P12ihipStream_tbPNSt15iterator_traitsISJ_E10value_typeEPNSP_ISK_E10value_typeEPSL_NS1_7vsmem_tEENKUlT_SJ_SK_SL_E_clIPiSE_SF_SF_EESI_SY_SJ_SK_SL_EUlSY_E0_NS1_11comp_targetILNS1_3genE3ELNS1_11target_archE908ELNS1_3gpuE7ELNS1_3repE0EEENS1_38merge_mergepath_config_static_selectorELNS0_4arch9wavefront6targetE0EEEvSK_.has_indirect_call, 0
	.section	.AMDGPU.csdata,"",@progbits
; Kernel info:
; codeLenInByte = 0
; TotalNumSgprs: 0
; NumVgprs: 0
; ScratchSize: 0
; MemoryBound: 0
; FloatMode: 240
; IeeeMode: 1
; LDSByteSize: 0 bytes/workgroup (compile time only)
; SGPRBlocks: 0
; VGPRBlocks: 0
; NumSGPRsForWavesPerEU: 1
; NumVGPRsForWavesPerEU: 1
; Occupancy: 16
; WaveLimiterHint : 0
; COMPUTE_PGM_RSRC2:SCRATCH_EN: 0
; COMPUTE_PGM_RSRC2:USER_SGPR: 6
; COMPUTE_PGM_RSRC2:TRAP_HANDLER: 0
; COMPUTE_PGM_RSRC2:TGID_X_EN: 1
; COMPUTE_PGM_RSRC2:TGID_Y_EN: 0
; COMPUTE_PGM_RSRC2:TGID_Z_EN: 0
; COMPUTE_PGM_RSRC2:TIDIG_COMP_CNT: 0
	.section	.text._ZN7rocprim17ROCPRIM_400000_NS6detail17trampoline_kernelINS0_14default_configENS1_38merge_sort_block_merge_config_selectorIiNS0_10empty_typeEEEZZNS1_27merge_sort_block_merge_implIS3_N6thrust23THRUST_200600_302600_NS6detail15normal_iteratorINS9_10device_ptrIiEEEEPS5_m9comp_mod3IiEEE10hipError_tT0_T1_T2_jT3_P12ihipStream_tbPNSt15iterator_traitsISJ_E10value_typeEPNSP_ISK_E10value_typeEPSL_NS1_7vsmem_tEENKUlT_SJ_SK_SL_E_clIPiSE_SF_SF_EESI_SY_SJ_SK_SL_EUlSY_E0_NS1_11comp_targetILNS1_3genE2ELNS1_11target_archE906ELNS1_3gpuE6ELNS1_3repE0EEENS1_38merge_mergepath_config_static_selectorELNS0_4arch9wavefront6targetE0EEEvSK_,"axG",@progbits,_ZN7rocprim17ROCPRIM_400000_NS6detail17trampoline_kernelINS0_14default_configENS1_38merge_sort_block_merge_config_selectorIiNS0_10empty_typeEEEZZNS1_27merge_sort_block_merge_implIS3_N6thrust23THRUST_200600_302600_NS6detail15normal_iteratorINS9_10device_ptrIiEEEEPS5_m9comp_mod3IiEEE10hipError_tT0_T1_T2_jT3_P12ihipStream_tbPNSt15iterator_traitsISJ_E10value_typeEPNSP_ISK_E10value_typeEPSL_NS1_7vsmem_tEENKUlT_SJ_SK_SL_E_clIPiSE_SF_SF_EESI_SY_SJ_SK_SL_EUlSY_E0_NS1_11comp_targetILNS1_3genE2ELNS1_11target_archE906ELNS1_3gpuE6ELNS1_3repE0EEENS1_38merge_mergepath_config_static_selectorELNS0_4arch9wavefront6targetE0EEEvSK_,comdat
	.protected	_ZN7rocprim17ROCPRIM_400000_NS6detail17trampoline_kernelINS0_14default_configENS1_38merge_sort_block_merge_config_selectorIiNS0_10empty_typeEEEZZNS1_27merge_sort_block_merge_implIS3_N6thrust23THRUST_200600_302600_NS6detail15normal_iteratorINS9_10device_ptrIiEEEEPS5_m9comp_mod3IiEEE10hipError_tT0_T1_T2_jT3_P12ihipStream_tbPNSt15iterator_traitsISJ_E10value_typeEPNSP_ISK_E10value_typeEPSL_NS1_7vsmem_tEENKUlT_SJ_SK_SL_E_clIPiSE_SF_SF_EESI_SY_SJ_SK_SL_EUlSY_E0_NS1_11comp_targetILNS1_3genE2ELNS1_11target_archE906ELNS1_3gpuE6ELNS1_3repE0EEENS1_38merge_mergepath_config_static_selectorELNS0_4arch9wavefront6targetE0EEEvSK_ ; -- Begin function _ZN7rocprim17ROCPRIM_400000_NS6detail17trampoline_kernelINS0_14default_configENS1_38merge_sort_block_merge_config_selectorIiNS0_10empty_typeEEEZZNS1_27merge_sort_block_merge_implIS3_N6thrust23THRUST_200600_302600_NS6detail15normal_iteratorINS9_10device_ptrIiEEEEPS5_m9comp_mod3IiEEE10hipError_tT0_T1_T2_jT3_P12ihipStream_tbPNSt15iterator_traitsISJ_E10value_typeEPNSP_ISK_E10value_typeEPSL_NS1_7vsmem_tEENKUlT_SJ_SK_SL_E_clIPiSE_SF_SF_EESI_SY_SJ_SK_SL_EUlSY_E0_NS1_11comp_targetILNS1_3genE2ELNS1_11target_archE906ELNS1_3gpuE6ELNS1_3repE0EEENS1_38merge_mergepath_config_static_selectorELNS0_4arch9wavefront6targetE0EEEvSK_
	.globl	_ZN7rocprim17ROCPRIM_400000_NS6detail17trampoline_kernelINS0_14default_configENS1_38merge_sort_block_merge_config_selectorIiNS0_10empty_typeEEEZZNS1_27merge_sort_block_merge_implIS3_N6thrust23THRUST_200600_302600_NS6detail15normal_iteratorINS9_10device_ptrIiEEEEPS5_m9comp_mod3IiEEE10hipError_tT0_T1_T2_jT3_P12ihipStream_tbPNSt15iterator_traitsISJ_E10value_typeEPNSP_ISK_E10value_typeEPSL_NS1_7vsmem_tEENKUlT_SJ_SK_SL_E_clIPiSE_SF_SF_EESI_SY_SJ_SK_SL_EUlSY_E0_NS1_11comp_targetILNS1_3genE2ELNS1_11target_archE906ELNS1_3gpuE6ELNS1_3repE0EEENS1_38merge_mergepath_config_static_selectorELNS0_4arch9wavefront6targetE0EEEvSK_
	.p2align	8
	.type	_ZN7rocprim17ROCPRIM_400000_NS6detail17trampoline_kernelINS0_14default_configENS1_38merge_sort_block_merge_config_selectorIiNS0_10empty_typeEEEZZNS1_27merge_sort_block_merge_implIS3_N6thrust23THRUST_200600_302600_NS6detail15normal_iteratorINS9_10device_ptrIiEEEEPS5_m9comp_mod3IiEEE10hipError_tT0_T1_T2_jT3_P12ihipStream_tbPNSt15iterator_traitsISJ_E10value_typeEPNSP_ISK_E10value_typeEPSL_NS1_7vsmem_tEENKUlT_SJ_SK_SL_E_clIPiSE_SF_SF_EESI_SY_SJ_SK_SL_EUlSY_E0_NS1_11comp_targetILNS1_3genE2ELNS1_11target_archE906ELNS1_3gpuE6ELNS1_3repE0EEENS1_38merge_mergepath_config_static_selectorELNS0_4arch9wavefront6targetE0EEEvSK_,@function
_ZN7rocprim17ROCPRIM_400000_NS6detail17trampoline_kernelINS0_14default_configENS1_38merge_sort_block_merge_config_selectorIiNS0_10empty_typeEEEZZNS1_27merge_sort_block_merge_implIS3_N6thrust23THRUST_200600_302600_NS6detail15normal_iteratorINS9_10device_ptrIiEEEEPS5_m9comp_mod3IiEEE10hipError_tT0_T1_T2_jT3_P12ihipStream_tbPNSt15iterator_traitsISJ_E10value_typeEPNSP_ISK_E10value_typeEPSL_NS1_7vsmem_tEENKUlT_SJ_SK_SL_E_clIPiSE_SF_SF_EESI_SY_SJ_SK_SL_EUlSY_E0_NS1_11comp_targetILNS1_3genE2ELNS1_11target_archE906ELNS1_3gpuE6ELNS1_3repE0EEENS1_38merge_mergepath_config_static_selectorELNS0_4arch9wavefront6targetE0EEEvSK_: ; @_ZN7rocprim17ROCPRIM_400000_NS6detail17trampoline_kernelINS0_14default_configENS1_38merge_sort_block_merge_config_selectorIiNS0_10empty_typeEEEZZNS1_27merge_sort_block_merge_implIS3_N6thrust23THRUST_200600_302600_NS6detail15normal_iteratorINS9_10device_ptrIiEEEEPS5_m9comp_mod3IiEEE10hipError_tT0_T1_T2_jT3_P12ihipStream_tbPNSt15iterator_traitsISJ_E10value_typeEPNSP_ISK_E10value_typeEPSL_NS1_7vsmem_tEENKUlT_SJ_SK_SL_E_clIPiSE_SF_SF_EESI_SY_SJ_SK_SL_EUlSY_E0_NS1_11comp_targetILNS1_3genE2ELNS1_11target_archE906ELNS1_3gpuE6ELNS1_3repE0EEENS1_38merge_mergepath_config_static_selectorELNS0_4arch9wavefront6targetE0EEEvSK_
; %bb.0:
	.section	.rodata,"a",@progbits
	.p2align	6, 0x0
	.amdhsa_kernel _ZN7rocprim17ROCPRIM_400000_NS6detail17trampoline_kernelINS0_14default_configENS1_38merge_sort_block_merge_config_selectorIiNS0_10empty_typeEEEZZNS1_27merge_sort_block_merge_implIS3_N6thrust23THRUST_200600_302600_NS6detail15normal_iteratorINS9_10device_ptrIiEEEEPS5_m9comp_mod3IiEEE10hipError_tT0_T1_T2_jT3_P12ihipStream_tbPNSt15iterator_traitsISJ_E10value_typeEPNSP_ISK_E10value_typeEPSL_NS1_7vsmem_tEENKUlT_SJ_SK_SL_E_clIPiSE_SF_SF_EESI_SY_SJ_SK_SL_EUlSY_E0_NS1_11comp_targetILNS1_3genE2ELNS1_11target_archE906ELNS1_3gpuE6ELNS1_3repE0EEENS1_38merge_mergepath_config_static_selectorELNS0_4arch9wavefront6targetE0EEEvSK_
		.amdhsa_group_segment_fixed_size 0
		.amdhsa_private_segment_fixed_size 0
		.amdhsa_kernarg_size 80
		.amdhsa_user_sgpr_count 6
		.amdhsa_user_sgpr_private_segment_buffer 1
		.amdhsa_user_sgpr_dispatch_ptr 0
		.amdhsa_user_sgpr_queue_ptr 0
		.amdhsa_user_sgpr_kernarg_segment_ptr 1
		.amdhsa_user_sgpr_dispatch_id 0
		.amdhsa_user_sgpr_flat_scratch_init 0
		.amdhsa_user_sgpr_private_segment_size 0
		.amdhsa_wavefront_size32 1
		.amdhsa_uses_dynamic_stack 0
		.amdhsa_system_sgpr_private_segment_wavefront_offset 0
		.amdhsa_system_sgpr_workgroup_id_x 1
		.amdhsa_system_sgpr_workgroup_id_y 0
		.amdhsa_system_sgpr_workgroup_id_z 0
		.amdhsa_system_sgpr_workgroup_info 0
		.amdhsa_system_vgpr_workitem_id 0
		.amdhsa_next_free_vgpr 1
		.amdhsa_next_free_sgpr 1
		.amdhsa_reserve_vcc 0
		.amdhsa_reserve_flat_scratch 0
		.amdhsa_float_round_mode_32 0
		.amdhsa_float_round_mode_16_64 0
		.amdhsa_float_denorm_mode_32 3
		.amdhsa_float_denorm_mode_16_64 3
		.amdhsa_dx10_clamp 1
		.amdhsa_ieee_mode 1
		.amdhsa_fp16_overflow 0
		.amdhsa_workgroup_processor_mode 1
		.amdhsa_memory_ordered 1
		.amdhsa_forward_progress 1
		.amdhsa_shared_vgpr_count 0
		.amdhsa_exception_fp_ieee_invalid_op 0
		.amdhsa_exception_fp_denorm_src 0
		.amdhsa_exception_fp_ieee_div_zero 0
		.amdhsa_exception_fp_ieee_overflow 0
		.amdhsa_exception_fp_ieee_underflow 0
		.amdhsa_exception_fp_ieee_inexact 0
		.amdhsa_exception_int_div_zero 0
	.end_amdhsa_kernel
	.section	.text._ZN7rocprim17ROCPRIM_400000_NS6detail17trampoline_kernelINS0_14default_configENS1_38merge_sort_block_merge_config_selectorIiNS0_10empty_typeEEEZZNS1_27merge_sort_block_merge_implIS3_N6thrust23THRUST_200600_302600_NS6detail15normal_iteratorINS9_10device_ptrIiEEEEPS5_m9comp_mod3IiEEE10hipError_tT0_T1_T2_jT3_P12ihipStream_tbPNSt15iterator_traitsISJ_E10value_typeEPNSP_ISK_E10value_typeEPSL_NS1_7vsmem_tEENKUlT_SJ_SK_SL_E_clIPiSE_SF_SF_EESI_SY_SJ_SK_SL_EUlSY_E0_NS1_11comp_targetILNS1_3genE2ELNS1_11target_archE906ELNS1_3gpuE6ELNS1_3repE0EEENS1_38merge_mergepath_config_static_selectorELNS0_4arch9wavefront6targetE0EEEvSK_,"axG",@progbits,_ZN7rocprim17ROCPRIM_400000_NS6detail17trampoline_kernelINS0_14default_configENS1_38merge_sort_block_merge_config_selectorIiNS0_10empty_typeEEEZZNS1_27merge_sort_block_merge_implIS3_N6thrust23THRUST_200600_302600_NS6detail15normal_iteratorINS9_10device_ptrIiEEEEPS5_m9comp_mod3IiEEE10hipError_tT0_T1_T2_jT3_P12ihipStream_tbPNSt15iterator_traitsISJ_E10value_typeEPNSP_ISK_E10value_typeEPSL_NS1_7vsmem_tEENKUlT_SJ_SK_SL_E_clIPiSE_SF_SF_EESI_SY_SJ_SK_SL_EUlSY_E0_NS1_11comp_targetILNS1_3genE2ELNS1_11target_archE906ELNS1_3gpuE6ELNS1_3repE0EEENS1_38merge_mergepath_config_static_selectorELNS0_4arch9wavefront6targetE0EEEvSK_,comdat
.Lfunc_end1001:
	.size	_ZN7rocprim17ROCPRIM_400000_NS6detail17trampoline_kernelINS0_14default_configENS1_38merge_sort_block_merge_config_selectorIiNS0_10empty_typeEEEZZNS1_27merge_sort_block_merge_implIS3_N6thrust23THRUST_200600_302600_NS6detail15normal_iteratorINS9_10device_ptrIiEEEEPS5_m9comp_mod3IiEEE10hipError_tT0_T1_T2_jT3_P12ihipStream_tbPNSt15iterator_traitsISJ_E10value_typeEPNSP_ISK_E10value_typeEPSL_NS1_7vsmem_tEENKUlT_SJ_SK_SL_E_clIPiSE_SF_SF_EESI_SY_SJ_SK_SL_EUlSY_E0_NS1_11comp_targetILNS1_3genE2ELNS1_11target_archE906ELNS1_3gpuE6ELNS1_3repE0EEENS1_38merge_mergepath_config_static_selectorELNS0_4arch9wavefront6targetE0EEEvSK_, .Lfunc_end1001-_ZN7rocprim17ROCPRIM_400000_NS6detail17trampoline_kernelINS0_14default_configENS1_38merge_sort_block_merge_config_selectorIiNS0_10empty_typeEEEZZNS1_27merge_sort_block_merge_implIS3_N6thrust23THRUST_200600_302600_NS6detail15normal_iteratorINS9_10device_ptrIiEEEEPS5_m9comp_mod3IiEEE10hipError_tT0_T1_T2_jT3_P12ihipStream_tbPNSt15iterator_traitsISJ_E10value_typeEPNSP_ISK_E10value_typeEPSL_NS1_7vsmem_tEENKUlT_SJ_SK_SL_E_clIPiSE_SF_SF_EESI_SY_SJ_SK_SL_EUlSY_E0_NS1_11comp_targetILNS1_3genE2ELNS1_11target_archE906ELNS1_3gpuE6ELNS1_3repE0EEENS1_38merge_mergepath_config_static_selectorELNS0_4arch9wavefront6targetE0EEEvSK_
                                        ; -- End function
	.set _ZN7rocprim17ROCPRIM_400000_NS6detail17trampoline_kernelINS0_14default_configENS1_38merge_sort_block_merge_config_selectorIiNS0_10empty_typeEEEZZNS1_27merge_sort_block_merge_implIS3_N6thrust23THRUST_200600_302600_NS6detail15normal_iteratorINS9_10device_ptrIiEEEEPS5_m9comp_mod3IiEEE10hipError_tT0_T1_T2_jT3_P12ihipStream_tbPNSt15iterator_traitsISJ_E10value_typeEPNSP_ISK_E10value_typeEPSL_NS1_7vsmem_tEENKUlT_SJ_SK_SL_E_clIPiSE_SF_SF_EESI_SY_SJ_SK_SL_EUlSY_E0_NS1_11comp_targetILNS1_3genE2ELNS1_11target_archE906ELNS1_3gpuE6ELNS1_3repE0EEENS1_38merge_mergepath_config_static_selectorELNS0_4arch9wavefront6targetE0EEEvSK_.num_vgpr, 0
	.set _ZN7rocprim17ROCPRIM_400000_NS6detail17trampoline_kernelINS0_14default_configENS1_38merge_sort_block_merge_config_selectorIiNS0_10empty_typeEEEZZNS1_27merge_sort_block_merge_implIS3_N6thrust23THRUST_200600_302600_NS6detail15normal_iteratorINS9_10device_ptrIiEEEEPS5_m9comp_mod3IiEEE10hipError_tT0_T1_T2_jT3_P12ihipStream_tbPNSt15iterator_traitsISJ_E10value_typeEPNSP_ISK_E10value_typeEPSL_NS1_7vsmem_tEENKUlT_SJ_SK_SL_E_clIPiSE_SF_SF_EESI_SY_SJ_SK_SL_EUlSY_E0_NS1_11comp_targetILNS1_3genE2ELNS1_11target_archE906ELNS1_3gpuE6ELNS1_3repE0EEENS1_38merge_mergepath_config_static_selectorELNS0_4arch9wavefront6targetE0EEEvSK_.num_agpr, 0
	.set _ZN7rocprim17ROCPRIM_400000_NS6detail17trampoline_kernelINS0_14default_configENS1_38merge_sort_block_merge_config_selectorIiNS0_10empty_typeEEEZZNS1_27merge_sort_block_merge_implIS3_N6thrust23THRUST_200600_302600_NS6detail15normal_iteratorINS9_10device_ptrIiEEEEPS5_m9comp_mod3IiEEE10hipError_tT0_T1_T2_jT3_P12ihipStream_tbPNSt15iterator_traitsISJ_E10value_typeEPNSP_ISK_E10value_typeEPSL_NS1_7vsmem_tEENKUlT_SJ_SK_SL_E_clIPiSE_SF_SF_EESI_SY_SJ_SK_SL_EUlSY_E0_NS1_11comp_targetILNS1_3genE2ELNS1_11target_archE906ELNS1_3gpuE6ELNS1_3repE0EEENS1_38merge_mergepath_config_static_selectorELNS0_4arch9wavefront6targetE0EEEvSK_.numbered_sgpr, 0
	.set _ZN7rocprim17ROCPRIM_400000_NS6detail17trampoline_kernelINS0_14default_configENS1_38merge_sort_block_merge_config_selectorIiNS0_10empty_typeEEEZZNS1_27merge_sort_block_merge_implIS3_N6thrust23THRUST_200600_302600_NS6detail15normal_iteratorINS9_10device_ptrIiEEEEPS5_m9comp_mod3IiEEE10hipError_tT0_T1_T2_jT3_P12ihipStream_tbPNSt15iterator_traitsISJ_E10value_typeEPNSP_ISK_E10value_typeEPSL_NS1_7vsmem_tEENKUlT_SJ_SK_SL_E_clIPiSE_SF_SF_EESI_SY_SJ_SK_SL_EUlSY_E0_NS1_11comp_targetILNS1_3genE2ELNS1_11target_archE906ELNS1_3gpuE6ELNS1_3repE0EEENS1_38merge_mergepath_config_static_selectorELNS0_4arch9wavefront6targetE0EEEvSK_.num_named_barrier, 0
	.set _ZN7rocprim17ROCPRIM_400000_NS6detail17trampoline_kernelINS0_14default_configENS1_38merge_sort_block_merge_config_selectorIiNS0_10empty_typeEEEZZNS1_27merge_sort_block_merge_implIS3_N6thrust23THRUST_200600_302600_NS6detail15normal_iteratorINS9_10device_ptrIiEEEEPS5_m9comp_mod3IiEEE10hipError_tT0_T1_T2_jT3_P12ihipStream_tbPNSt15iterator_traitsISJ_E10value_typeEPNSP_ISK_E10value_typeEPSL_NS1_7vsmem_tEENKUlT_SJ_SK_SL_E_clIPiSE_SF_SF_EESI_SY_SJ_SK_SL_EUlSY_E0_NS1_11comp_targetILNS1_3genE2ELNS1_11target_archE906ELNS1_3gpuE6ELNS1_3repE0EEENS1_38merge_mergepath_config_static_selectorELNS0_4arch9wavefront6targetE0EEEvSK_.private_seg_size, 0
	.set _ZN7rocprim17ROCPRIM_400000_NS6detail17trampoline_kernelINS0_14default_configENS1_38merge_sort_block_merge_config_selectorIiNS0_10empty_typeEEEZZNS1_27merge_sort_block_merge_implIS3_N6thrust23THRUST_200600_302600_NS6detail15normal_iteratorINS9_10device_ptrIiEEEEPS5_m9comp_mod3IiEEE10hipError_tT0_T1_T2_jT3_P12ihipStream_tbPNSt15iterator_traitsISJ_E10value_typeEPNSP_ISK_E10value_typeEPSL_NS1_7vsmem_tEENKUlT_SJ_SK_SL_E_clIPiSE_SF_SF_EESI_SY_SJ_SK_SL_EUlSY_E0_NS1_11comp_targetILNS1_3genE2ELNS1_11target_archE906ELNS1_3gpuE6ELNS1_3repE0EEENS1_38merge_mergepath_config_static_selectorELNS0_4arch9wavefront6targetE0EEEvSK_.uses_vcc, 0
	.set _ZN7rocprim17ROCPRIM_400000_NS6detail17trampoline_kernelINS0_14default_configENS1_38merge_sort_block_merge_config_selectorIiNS0_10empty_typeEEEZZNS1_27merge_sort_block_merge_implIS3_N6thrust23THRUST_200600_302600_NS6detail15normal_iteratorINS9_10device_ptrIiEEEEPS5_m9comp_mod3IiEEE10hipError_tT0_T1_T2_jT3_P12ihipStream_tbPNSt15iterator_traitsISJ_E10value_typeEPNSP_ISK_E10value_typeEPSL_NS1_7vsmem_tEENKUlT_SJ_SK_SL_E_clIPiSE_SF_SF_EESI_SY_SJ_SK_SL_EUlSY_E0_NS1_11comp_targetILNS1_3genE2ELNS1_11target_archE906ELNS1_3gpuE6ELNS1_3repE0EEENS1_38merge_mergepath_config_static_selectorELNS0_4arch9wavefront6targetE0EEEvSK_.uses_flat_scratch, 0
	.set _ZN7rocprim17ROCPRIM_400000_NS6detail17trampoline_kernelINS0_14default_configENS1_38merge_sort_block_merge_config_selectorIiNS0_10empty_typeEEEZZNS1_27merge_sort_block_merge_implIS3_N6thrust23THRUST_200600_302600_NS6detail15normal_iteratorINS9_10device_ptrIiEEEEPS5_m9comp_mod3IiEEE10hipError_tT0_T1_T2_jT3_P12ihipStream_tbPNSt15iterator_traitsISJ_E10value_typeEPNSP_ISK_E10value_typeEPSL_NS1_7vsmem_tEENKUlT_SJ_SK_SL_E_clIPiSE_SF_SF_EESI_SY_SJ_SK_SL_EUlSY_E0_NS1_11comp_targetILNS1_3genE2ELNS1_11target_archE906ELNS1_3gpuE6ELNS1_3repE0EEENS1_38merge_mergepath_config_static_selectorELNS0_4arch9wavefront6targetE0EEEvSK_.has_dyn_sized_stack, 0
	.set _ZN7rocprim17ROCPRIM_400000_NS6detail17trampoline_kernelINS0_14default_configENS1_38merge_sort_block_merge_config_selectorIiNS0_10empty_typeEEEZZNS1_27merge_sort_block_merge_implIS3_N6thrust23THRUST_200600_302600_NS6detail15normal_iteratorINS9_10device_ptrIiEEEEPS5_m9comp_mod3IiEEE10hipError_tT0_T1_T2_jT3_P12ihipStream_tbPNSt15iterator_traitsISJ_E10value_typeEPNSP_ISK_E10value_typeEPSL_NS1_7vsmem_tEENKUlT_SJ_SK_SL_E_clIPiSE_SF_SF_EESI_SY_SJ_SK_SL_EUlSY_E0_NS1_11comp_targetILNS1_3genE2ELNS1_11target_archE906ELNS1_3gpuE6ELNS1_3repE0EEENS1_38merge_mergepath_config_static_selectorELNS0_4arch9wavefront6targetE0EEEvSK_.has_recursion, 0
	.set _ZN7rocprim17ROCPRIM_400000_NS6detail17trampoline_kernelINS0_14default_configENS1_38merge_sort_block_merge_config_selectorIiNS0_10empty_typeEEEZZNS1_27merge_sort_block_merge_implIS3_N6thrust23THRUST_200600_302600_NS6detail15normal_iteratorINS9_10device_ptrIiEEEEPS5_m9comp_mod3IiEEE10hipError_tT0_T1_T2_jT3_P12ihipStream_tbPNSt15iterator_traitsISJ_E10value_typeEPNSP_ISK_E10value_typeEPSL_NS1_7vsmem_tEENKUlT_SJ_SK_SL_E_clIPiSE_SF_SF_EESI_SY_SJ_SK_SL_EUlSY_E0_NS1_11comp_targetILNS1_3genE2ELNS1_11target_archE906ELNS1_3gpuE6ELNS1_3repE0EEENS1_38merge_mergepath_config_static_selectorELNS0_4arch9wavefront6targetE0EEEvSK_.has_indirect_call, 0
	.section	.AMDGPU.csdata,"",@progbits
; Kernel info:
; codeLenInByte = 0
; TotalNumSgprs: 0
; NumVgprs: 0
; ScratchSize: 0
; MemoryBound: 0
; FloatMode: 240
; IeeeMode: 1
; LDSByteSize: 0 bytes/workgroup (compile time only)
; SGPRBlocks: 0
; VGPRBlocks: 0
; NumSGPRsForWavesPerEU: 1
; NumVGPRsForWavesPerEU: 1
; Occupancy: 16
; WaveLimiterHint : 0
; COMPUTE_PGM_RSRC2:SCRATCH_EN: 0
; COMPUTE_PGM_RSRC2:USER_SGPR: 6
; COMPUTE_PGM_RSRC2:TRAP_HANDLER: 0
; COMPUTE_PGM_RSRC2:TGID_X_EN: 1
; COMPUTE_PGM_RSRC2:TGID_Y_EN: 0
; COMPUTE_PGM_RSRC2:TGID_Z_EN: 0
; COMPUTE_PGM_RSRC2:TIDIG_COMP_CNT: 0
	.section	.text._ZN7rocprim17ROCPRIM_400000_NS6detail17trampoline_kernelINS0_14default_configENS1_38merge_sort_block_merge_config_selectorIiNS0_10empty_typeEEEZZNS1_27merge_sort_block_merge_implIS3_N6thrust23THRUST_200600_302600_NS6detail15normal_iteratorINS9_10device_ptrIiEEEEPS5_m9comp_mod3IiEEE10hipError_tT0_T1_T2_jT3_P12ihipStream_tbPNSt15iterator_traitsISJ_E10value_typeEPNSP_ISK_E10value_typeEPSL_NS1_7vsmem_tEENKUlT_SJ_SK_SL_E_clIPiSE_SF_SF_EESI_SY_SJ_SK_SL_EUlSY_E0_NS1_11comp_targetILNS1_3genE9ELNS1_11target_archE1100ELNS1_3gpuE3ELNS1_3repE0EEENS1_38merge_mergepath_config_static_selectorELNS0_4arch9wavefront6targetE0EEEvSK_,"axG",@progbits,_ZN7rocprim17ROCPRIM_400000_NS6detail17trampoline_kernelINS0_14default_configENS1_38merge_sort_block_merge_config_selectorIiNS0_10empty_typeEEEZZNS1_27merge_sort_block_merge_implIS3_N6thrust23THRUST_200600_302600_NS6detail15normal_iteratorINS9_10device_ptrIiEEEEPS5_m9comp_mod3IiEEE10hipError_tT0_T1_T2_jT3_P12ihipStream_tbPNSt15iterator_traitsISJ_E10value_typeEPNSP_ISK_E10value_typeEPSL_NS1_7vsmem_tEENKUlT_SJ_SK_SL_E_clIPiSE_SF_SF_EESI_SY_SJ_SK_SL_EUlSY_E0_NS1_11comp_targetILNS1_3genE9ELNS1_11target_archE1100ELNS1_3gpuE3ELNS1_3repE0EEENS1_38merge_mergepath_config_static_selectorELNS0_4arch9wavefront6targetE0EEEvSK_,comdat
	.protected	_ZN7rocprim17ROCPRIM_400000_NS6detail17trampoline_kernelINS0_14default_configENS1_38merge_sort_block_merge_config_selectorIiNS0_10empty_typeEEEZZNS1_27merge_sort_block_merge_implIS3_N6thrust23THRUST_200600_302600_NS6detail15normal_iteratorINS9_10device_ptrIiEEEEPS5_m9comp_mod3IiEEE10hipError_tT0_T1_T2_jT3_P12ihipStream_tbPNSt15iterator_traitsISJ_E10value_typeEPNSP_ISK_E10value_typeEPSL_NS1_7vsmem_tEENKUlT_SJ_SK_SL_E_clIPiSE_SF_SF_EESI_SY_SJ_SK_SL_EUlSY_E0_NS1_11comp_targetILNS1_3genE9ELNS1_11target_archE1100ELNS1_3gpuE3ELNS1_3repE0EEENS1_38merge_mergepath_config_static_selectorELNS0_4arch9wavefront6targetE0EEEvSK_ ; -- Begin function _ZN7rocprim17ROCPRIM_400000_NS6detail17trampoline_kernelINS0_14default_configENS1_38merge_sort_block_merge_config_selectorIiNS0_10empty_typeEEEZZNS1_27merge_sort_block_merge_implIS3_N6thrust23THRUST_200600_302600_NS6detail15normal_iteratorINS9_10device_ptrIiEEEEPS5_m9comp_mod3IiEEE10hipError_tT0_T1_T2_jT3_P12ihipStream_tbPNSt15iterator_traitsISJ_E10value_typeEPNSP_ISK_E10value_typeEPSL_NS1_7vsmem_tEENKUlT_SJ_SK_SL_E_clIPiSE_SF_SF_EESI_SY_SJ_SK_SL_EUlSY_E0_NS1_11comp_targetILNS1_3genE9ELNS1_11target_archE1100ELNS1_3gpuE3ELNS1_3repE0EEENS1_38merge_mergepath_config_static_selectorELNS0_4arch9wavefront6targetE0EEEvSK_
	.globl	_ZN7rocprim17ROCPRIM_400000_NS6detail17trampoline_kernelINS0_14default_configENS1_38merge_sort_block_merge_config_selectorIiNS0_10empty_typeEEEZZNS1_27merge_sort_block_merge_implIS3_N6thrust23THRUST_200600_302600_NS6detail15normal_iteratorINS9_10device_ptrIiEEEEPS5_m9comp_mod3IiEEE10hipError_tT0_T1_T2_jT3_P12ihipStream_tbPNSt15iterator_traitsISJ_E10value_typeEPNSP_ISK_E10value_typeEPSL_NS1_7vsmem_tEENKUlT_SJ_SK_SL_E_clIPiSE_SF_SF_EESI_SY_SJ_SK_SL_EUlSY_E0_NS1_11comp_targetILNS1_3genE9ELNS1_11target_archE1100ELNS1_3gpuE3ELNS1_3repE0EEENS1_38merge_mergepath_config_static_selectorELNS0_4arch9wavefront6targetE0EEEvSK_
	.p2align	8
	.type	_ZN7rocprim17ROCPRIM_400000_NS6detail17trampoline_kernelINS0_14default_configENS1_38merge_sort_block_merge_config_selectorIiNS0_10empty_typeEEEZZNS1_27merge_sort_block_merge_implIS3_N6thrust23THRUST_200600_302600_NS6detail15normal_iteratorINS9_10device_ptrIiEEEEPS5_m9comp_mod3IiEEE10hipError_tT0_T1_T2_jT3_P12ihipStream_tbPNSt15iterator_traitsISJ_E10value_typeEPNSP_ISK_E10value_typeEPSL_NS1_7vsmem_tEENKUlT_SJ_SK_SL_E_clIPiSE_SF_SF_EESI_SY_SJ_SK_SL_EUlSY_E0_NS1_11comp_targetILNS1_3genE9ELNS1_11target_archE1100ELNS1_3gpuE3ELNS1_3repE0EEENS1_38merge_mergepath_config_static_selectorELNS0_4arch9wavefront6targetE0EEEvSK_,@function
_ZN7rocprim17ROCPRIM_400000_NS6detail17trampoline_kernelINS0_14default_configENS1_38merge_sort_block_merge_config_selectorIiNS0_10empty_typeEEEZZNS1_27merge_sort_block_merge_implIS3_N6thrust23THRUST_200600_302600_NS6detail15normal_iteratorINS9_10device_ptrIiEEEEPS5_m9comp_mod3IiEEE10hipError_tT0_T1_T2_jT3_P12ihipStream_tbPNSt15iterator_traitsISJ_E10value_typeEPNSP_ISK_E10value_typeEPSL_NS1_7vsmem_tEENKUlT_SJ_SK_SL_E_clIPiSE_SF_SF_EESI_SY_SJ_SK_SL_EUlSY_E0_NS1_11comp_targetILNS1_3genE9ELNS1_11target_archE1100ELNS1_3gpuE3ELNS1_3repE0EEENS1_38merge_mergepath_config_static_selectorELNS0_4arch9wavefront6targetE0EEEvSK_: ; @_ZN7rocprim17ROCPRIM_400000_NS6detail17trampoline_kernelINS0_14default_configENS1_38merge_sort_block_merge_config_selectorIiNS0_10empty_typeEEEZZNS1_27merge_sort_block_merge_implIS3_N6thrust23THRUST_200600_302600_NS6detail15normal_iteratorINS9_10device_ptrIiEEEEPS5_m9comp_mod3IiEEE10hipError_tT0_T1_T2_jT3_P12ihipStream_tbPNSt15iterator_traitsISJ_E10value_typeEPNSP_ISK_E10value_typeEPSL_NS1_7vsmem_tEENKUlT_SJ_SK_SL_E_clIPiSE_SF_SF_EESI_SY_SJ_SK_SL_EUlSY_E0_NS1_11comp_targetILNS1_3genE9ELNS1_11target_archE1100ELNS1_3gpuE3ELNS1_3repE0EEENS1_38merge_mergepath_config_static_selectorELNS0_4arch9wavefront6targetE0EEEvSK_
; %bb.0:
	.section	.rodata,"a",@progbits
	.p2align	6, 0x0
	.amdhsa_kernel _ZN7rocprim17ROCPRIM_400000_NS6detail17trampoline_kernelINS0_14default_configENS1_38merge_sort_block_merge_config_selectorIiNS0_10empty_typeEEEZZNS1_27merge_sort_block_merge_implIS3_N6thrust23THRUST_200600_302600_NS6detail15normal_iteratorINS9_10device_ptrIiEEEEPS5_m9comp_mod3IiEEE10hipError_tT0_T1_T2_jT3_P12ihipStream_tbPNSt15iterator_traitsISJ_E10value_typeEPNSP_ISK_E10value_typeEPSL_NS1_7vsmem_tEENKUlT_SJ_SK_SL_E_clIPiSE_SF_SF_EESI_SY_SJ_SK_SL_EUlSY_E0_NS1_11comp_targetILNS1_3genE9ELNS1_11target_archE1100ELNS1_3gpuE3ELNS1_3repE0EEENS1_38merge_mergepath_config_static_selectorELNS0_4arch9wavefront6targetE0EEEvSK_
		.amdhsa_group_segment_fixed_size 0
		.amdhsa_private_segment_fixed_size 0
		.amdhsa_kernarg_size 80
		.amdhsa_user_sgpr_count 6
		.amdhsa_user_sgpr_private_segment_buffer 1
		.amdhsa_user_sgpr_dispatch_ptr 0
		.amdhsa_user_sgpr_queue_ptr 0
		.amdhsa_user_sgpr_kernarg_segment_ptr 1
		.amdhsa_user_sgpr_dispatch_id 0
		.amdhsa_user_sgpr_flat_scratch_init 0
		.amdhsa_user_sgpr_private_segment_size 0
		.amdhsa_wavefront_size32 1
		.amdhsa_uses_dynamic_stack 0
		.amdhsa_system_sgpr_private_segment_wavefront_offset 0
		.amdhsa_system_sgpr_workgroup_id_x 1
		.amdhsa_system_sgpr_workgroup_id_y 0
		.amdhsa_system_sgpr_workgroup_id_z 0
		.amdhsa_system_sgpr_workgroup_info 0
		.amdhsa_system_vgpr_workitem_id 0
		.amdhsa_next_free_vgpr 1
		.amdhsa_next_free_sgpr 1
		.amdhsa_reserve_vcc 0
		.amdhsa_reserve_flat_scratch 0
		.amdhsa_float_round_mode_32 0
		.amdhsa_float_round_mode_16_64 0
		.amdhsa_float_denorm_mode_32 3
		.amdhsa_float_denorm_mode_16_64 3
		.amdhsa_dx10_clamp 1
		.amdhsa_ieee_mode 1
		.amdhsa_fp16_overflow 0
		.amdhsa_workgroup_processor_mode 1
		.amdhsa_memory_ordered 1
		.amdhsa_forward_progress 1
		.amdhsa_shared_vgpr_count 0
		.amdhsa_exception_fp_ieee_invalid_op 0
		.amdhsa_exception_fp_denorm_src 0
		.amdhsa_exception_fp_ieee_div_zero 0
		.amdhsa_exception_fp_ieee_overflow 0
		.amdhsa_exception_fp_ieee_underflow 0
		.amdhsa_exception_fp_ieee_inexact 0
		.amdhsa_exception_int_div_zero 0
	.end_amdhsa_kernel
	.section	.text._ZN7rocprim17ROCPRIM_400000_NS6detail17trampoline_kernelINS0_14default_configENS1_38merge_sort_block_merge_config_selectorIiNS0_10empty_typeEEEZZNS1_27merge_sort_block_merge_implIS3_N6thrust23THRUST_200600_302600_NS6detail15normal_iteratorINS9_10device_ptrIiEEEEPS5_m9comp_mod3IiEEE10hipError_tT0_T1_T2_jT3_P12ihipStream_tbPNSt15iterator_traitsISJ_E10value_typeEPNSP_ISK_E10value_typeEPSL_NS1_7vsmem_tEENKUlT_SJ_SK_SL_E_clIPiSE_SF_SF_EESI_SY_SJ_SK_SL_EUlSY_E0_NS1_11comp_targetILNS1_3genE9ELNS1_11target_archE1100ELNS1_3gpuE3ELNS1_3repE0EEENS1_38merge_mergepath_config_static_selectorELNS0_4arch9wavefront6targetE0EEEvSK_,"axG",@progbits,_ZN7rocprim17ROCPRIM_400000_NS6detail17trampoline_kernelINS0_14default_configENS1_38merge_sort_block_merge_config_selectorIiNS0_10empty_typeEEEZZNS1_27merge_sort_block_merge_implIS3_N6thrust23THRUST_200600_302600_NS6detail15normal_iteratorINS9_10device_ptrIiEEEEPS5_m9comp_mod3IiEEE10hipError_tT0_T1_T2_jT3_P12ihipStream_tbPNSt15iterator_traitsISJ_E10value_typeEPNSP_ISK_E10value_typeEPSL_NS1_7vsmem_tEENKUlT_SJ_SK_SL_E_clIPiSE_SF_SF_EESI_SY_SJ_SK_SL_EUlSY_E0_NS1_11comp_targetILNS1_3genE9ELNS1_11target_archE1100ELNS1_3gpuE3ELNS1_3repE0EEENS1_38merge_mergepath_config_static_selectorELNS0_4arch9wavefront6targetE0EEEvSK_,comdat
.Lfunc_end1002:
	.size	_ZN7rocprim17ROCPRIM_400000_NS6detail17trampoline_kernelINS0_14default_configENS1_38merge_sort_block_merge_config_selectorIiNS0_10empty_typeEEEZZNS1_27merge_sort_block_merge_implIS3_N6thrust23THRUST_200600_302600_NS6detail15normal_iteratorINS9_10device_ptrIiEEEEPS5_m9comp_mod3IiEEE10hipError_tT0_T1_T2_jT3_P12ihipStream_tbPNSt15iterator_traitsISJ_E10value_typeEPNSP_ISK_E10value_typeEPSL_NS1_7vsmem_tEENKUlT_SJ_SK_SL_E_clIPiSE_SF_SF_EESI_SY_SJ_SK_SL_EUlSY_E0_NS1_11comp_targetILNS1_3genE9ELNS1_11target_archE1100ELNS1_3gpuE3ELNS1_3repE0EEENS1_38merge_mergepath_config_static_selectorELNS0_4arch9wavefront6targetE0EEEvSK_, .Lfunc_end1002-_ZN7rocprim17ROCPRIM_400000_NS6detail17trampoline_kernelINS0_14default_configENS1_38merge_sort_block_merge_config_selectorIiNS0_10empty_typeEEEZZNS1_27merge_sort_block_merge_implIS3_N6thrust23THRUST_200600_302600_NS6detail15normal_iteratorINS9_10device_ptrIiEEEEPS5_m9comp_mod3IiEEE10hipError_tT0_T1_T2_jT3_P12ihipStream_tbPNSt15iterator_traitsISJ_E10value_typeEPNSP_ISK_E10value_typeEPSL_NS1_7vsmem_tEENKUlT_SJ_SK_SL_E_clIPiSE_SF_SF_EESI_SY_SJ_SK_SL_EUlSY_E0_NS1_11comp_targetILNS1_3genE9ELNS1_11target_archE1100ELNS1_3gpuE3ELNS1_3repE0EEENS1_38merge_mergepath_config_static_selectorELNS0_4arch9wavefront6targetE0EEEvSK_
                                        ; -- End function
	.set _ZN7rocprim17ROCPRIM_400000_NS6detail17trampoline_kernelINS0_14default_configENS1_38merge_sort_block_merge_config_selectorIiNS0_10empty_typeEEEZZNS1_27merge_sort_block_merge_implIS3_N6thrust23THRUST_200600_302600_NS6detail15normal_iteratorINS9_10device_ptrIiEEEEPS5_m9comp_mod3IiEEE10hipError_tT0_T1_T2_jT3_P12ihipStream_tbPNSt15iterator_traitsISJ_E10value_typeEPNSP_ISK_E10value_typeEPSL_NS1_7vsmem_tEENKUlT_SJ_SK_SL_E_clIPiSE_SF_SF_EESI_SY_SJ_SK_SL_EUlSY_E0_NS1_11comp_targetILNS1_3genE9ELNS1_11target_archE1100ELNS1_3gpuE3ELNS1_3repE0EEENS1_38merge_mergepath_config_static_selectorELNS0_4arch9wavefront6targetE0EEEvSK_.num_vgpr, 0
	.set _ZN7rocprim17ROCPRIM_400000_NS6detail17trampoline_kernelINS0_14default_configENS1_38merge_sort_block_merge_config_selectorIiNS0_10empty_typeEEEZZNS1_27merge_sort_block_merge_implIS3_N6thrust23THRUST_200600_302600_NS6detail15normal_iteratorINS9_10device_ptrIiEEEEPS5_m9comp_mod3IiEEE10hipError_tT0_T1_T2_jT3_P12ihipStream_tbPNSt15iterator_traitsISJ_E10value_typeEPNSP_ISK_E10value_typeEPSL_NS1_7vsmem_tEENKUlT_SJ_SK_SL_E_clIPiSE_SF_SF_EESI_SY_SJ_SK_SL_EUlSY_E0_NS1_11comp_targetILNS1_3genE9ELNS1_11target_archE1100ELNS1_3gpuE3ELNS1_3repE0EEENS1_38merge_mergepath_config_static_selectorELNS0_4arch9wavefront6targetE0EEEvSK_.num_agpr, 0
	.set _ZN7rocprim17ROCPRIM_400000_NS6detail17trampoline_kernelINS0_14default_configENS1_38merge_sort_block_merge_config_selectorIiNS0_10empty_typeEEEZZNS1_27merge_sort_block_merge_implIS3_N6thrust23THRUST_200600_302600_NS6detail15normal_iteratorINS9_10device_ptrIiEEEEPS5_m9comp_mod3IiEEE10hipError_tT0_T1_T2_jT3_P12ihipStream_tbPNSt15iterator_traitsISJ_E10value_typeEPNSP_ISK_E10value_typeEPSL_NS1_7vsmem_tEENKUlT_SJ_SK_SL_E_clIPiSE_SF_SF_EESI_SY_SJ_SK_SL_EUlSY_E0_NS1_11comp_targetILNS1_3genE9ELNS1_11target_archE1100ELNS1_3gpuE3ELNS1_3repE0EEENS1_38merge_mergepath_config_static_selectorELNS0_4arch9wavefront6targetE0EEEvSK_.numbered_sgpr, 0
	.set _ZN7rocprim17ROCPRIM_400000_NS6detail17trampoline_kernelINS0_14default_configENS1_38merge_sort_block_merge_config_selectorIiNS0_10empty_typeEEEZZNS1_27merge_sort_block_merge_implIS3_N6thrust23THRUST_200600_302600_NS6detail15normal_iteratorINS9_10device_ptrIiEEEEPS5_m9comp_mod3IiEEE10hipError_tT0_T1_T2_jT3_P12ihipStream_tbPNSt15iterator_traitsISJ_E10value_typeEPNSP_ISK_E10value_typeEPSL_NS1_7vsmem_tEENKUlT_SJ_SK_SL_E_clIPiSE_SF_SF_EESI_SY_SJ_SK_SL_EUlSY_E0_NS1_11comp_targetILNS1_3genE9ELNS1_11target_archE1100ELNS1_3gpuE3ELNS1_3repE0EEENS1_38merge_mergepath_config_static_selectorELNS0_4arch9wavefront6targetE0EEEvSK_.num_named_barrier, 0
	.set _ZN7rocprim17ROCPRIM_400000_NS6detail17trampoline_kernelINS0_14default_configENS1_38merge_sort_block_merge_config_selectorIiNS0_10empty_typeEEEZZNS1_27merge_sort_block_merge_implIS3_N6thrust23THRUST_200600_302600_NS6detail15normal_iteratorINS9_10device_ptrIiEEEEPS5_m9comp_mod3IiEEE10hipError_tT0_T1_T2_jT3_P12ihipStream_tbPNSt15iterator_traitsISJ_E10value_typeEPNSP_ISK_E10value_typeEPSL_NS1_7vsmem_tEENKUlT_SJ_SK_SL_E_clIPiSE_SF_SF_EESI_SY_SJ_SK_SL_EUlSY_E0_NS1_11comp_targetILNS1_3genE9ELNS1_11target_archE1100ELNS1_3gpuE3ELNS1_3repE0EEENS1_38merge_mergepath_config_static_selectorELNS0_4arch9wavefront6targetE0EEEvSK_.private_seg_size, 0
	.set _ZN7rocprim17ROCPRIM_400000_NS6detail17trampoline_kernelINS0_14default_configENS1_38merge_sort_block_merge_config_selectorIiNS0_10empty_typeEEEZZNS1_27merge_sort_block_merge_implIS3_N6thrust23THRUST_200600_302600_NS6detail15normal_iteratorINS9_10device_ptrIiEEEEPS5_m9comp_mod3IiEEE10hipError_tT0_T1_T2_jT3_P12ihipStream_tbPNSt15iterator_traitsISJ_E10value_typeEPNSP_ISK_E10value_typeEPSL_NS1_7vsmem_tEENKUlT_SJ_SK_SL_E_clIPiSE_SF_SF_EESI_SY_SJ_SK_SL_EUlSY_E0_NS1_11comp_targetILNS1_3genE9ELNS1_11target_archE1100ELNS1_3gpuE3ELNS1_3repE0EEENS1_38merge_mergepath_config_static_selectorELNS0_4arch9wavefront6targetE0EEEvSK_.uses_vcc, 0
	.set _ZN7rocprim17ROCPRIM_400000_NS6detail17trampoline_kernelINS0_14default_configENS1_38merge_sort_block_merge_config_selectorIiNS0_10empty_typeEEEZZNS1_27merge_sort_block_merge_implIS3_N6thrust23THRUST_200600_302600_NS6detail15normal_iteratorINS9_10device_ptrIiEEEEPS5_m9comp_mod3IiEEE10hipError_tT0_T1_T2_jT3_P12ihipStream_tbPNSt15iterator_traitsISJ_E10value_typeEPNSP_ISK_E10value_typeEPSL_NS1_7vsmem_tEENKUlT_SJ_SK_SL_E_clIPiSE_SF_SF_EESI_SY_SJ_SK_SL_EUlSY_E0_NS1_11comp_targetILNS1_3genE9ELNS1_11target_archE1100ELNS1_3gpuE3ELNS1_3repE0EEENS1_38merge_mergepath_config_static_selectorELNS0_4arch9wavefront6targetE0EEEvSK_.uses_flat_scratch, 0
	.set _ZN7rocprim17ROCPRIM_400000_NS6detail17trampoline_kernelINS0_14default_configENS1_38merge_sort_block_merge_config_selectorIiNS0_10empty_typeEEEZZNS1_27merge_sort_block_merge_implIS3_N6thrust23THRUST_200600_302600_NS6detail15normal_iteratorINS9_10device_ptrIiEEEEPS5_m9comp_mod3IiEEE10hipError_tT0_T1_T2_jT3_P12ihipStream_tbPNSt15iterator_traitsISJ_E10value_typeEPNSP_ISK_E10value_typeEPSL_NS1_7vsmem_tEENKUlT_SJ_SK_SL_E_clIPiSE_SF_SF_EESI_SY_SJ_SK_SL_EUlSY_E0_NS1_11comp_targetILNS1_3genE9ELNS1_11target_archE1100ELNS1_3gpuE3ELNS1_3repE0EEENS1_38merge_mergepath_config_static_selectorELNS0_4arch9wavefront6targetE0EEEvSK_.has_dyn_sized_stack, 0
	.set _ZN7rocprim17ROCPRIM_400000_NS6detail17trampoline_kernelINS0_14default_configENS1_38merge_sort_block_merge_config_selectorIiNS0_10empty_typeEEEZZNS1_27merge_sort_block_merge_implIS3_N6thrust23THRUST_200600_302600_NS6detail15normal_iteratorINS9_10device_ptrIiEEEEPS5_m9comp_mod3IiEEE10hipError_tT0_T1_T2_jT3_P12ihipStream_tbPNSt15iterator_traitsISJ_E10value_typeEPNSP_ISK_E10value_typeEPSL_NS1_7vsmem_tEENKUlT_SJ_SK_SL_E_clIPiSE_SF_SF_EESI_SY_SJ_SK_SL_EUlSY_E0_NS1_11comp_targetILNS1_3genE9ELNS1_11target_archE1100ELNS1_3gpuE3ELNS1_3repE0EEENS1_38merge_mergepath_config_static_selectorELNS0_4arch9wavefront6targetE0EEEvSK_.has_recursion, 0
	.set _ZN7rocprim17ROCPRIM_400000_NS6detail17trampoline_kernelINS0_14default_configENS1_38merge_sort_block_merge_config_selectorIiNS0_10empty_typeEEEZZNS1_27merge_sort_block_merge_implIS3_N6thrust23THRUST_200600_302600_NS6detail15normal_iteratorINS9_10device_ptrIiEEEEPS5_m9comp_mod3IiEEE10hipError_tT0_T1_T2_jT3_P12ihipStream_tbPNSt15iterator_traitsISJ_E10value_typeEPNSP_ISK_E10value_typeEPSL_NS1_7vsmem_tEENKUlT_SJ_SK_SL_E_clIPiSE_SF_SF_EESI_SY_SJ_SK_SL_EUlSY_E0_NS1_11comp_targetILNS1_3genE9ELNS1_11target_archE1100ELNS1_3gpuE3ELNS1_3repE0EEENS1_38merge_mergepath_config_static_selectorELNS0_4arch9wavefront6targetE0EEEvSK_.has_indirect_call, 0
	.section	.AMDGPU.csdata,"",@progbits
; Kernel info:
; codeLenInByte = 0
; TotalNumSgprs: 0
; NumVgprs: 0
; ScratchSize: 0
; MemoryBound: 0
; FloatMode: 240
; IeeeMode: 1
; LDSByteSize: 0 bytes/workgroup (compile time only)
; SGPRBlocks: 0
; VGPRBlocks: 0
; NumSGPRsForWavesPerEU: 1
; NumVGPRsForWavesPerEU: 1
; Occupancy: 16
; WaveLimiterHint : 0
; COMPUTE_PGM_RSRC2:SCRATCH_EN: 0
; COMPUTE_PGM_RSRC2:USER_SGPR: 6
; COMPUTE_PGM_RSRC2:TRAP_HANDLER: 0
; COMPUTE_PGM_RSRC2:TGID_X_EN: 1
; COMPUTE_PGM_RSRC2:TGID_Y_EN: 0
; COMPUTE_PGM_RSRC2:TGID_Z_EN: 0
; COMPUTE_PGM_RSRC2:TIDIG_COMP_CNT: 0
	.section	.text._ZN7rocprim17ROCPRIM_400000_NS6detail17trampoline_kernelINS0_14default_configENS1_38merge_sort_block_merge_config_selectorIiNS0_10empty_typeEEEZZNS1_27merge_sort_block_merge_implIS3_N6thrust23THRUST_200600_302600_NS6detail15normal_iteratorINS9_10device_ptrIiEEEEPS5_m9comp_mod3IiEEE10hipError_tT0_T1_T2_jT3_P12ihipStream_tbPNSt15iterator_traitsISJ_E10value_typeEPNSP_ISK_E10value_typeEPSL_NS1_7vsmem_tEENKUlT_SJ_SK_SL_E_clIPiSE_SF_SF_EESI_SY_SJ_SK_SL_EUlSY_E0_NS1_11comp_targetILNS1_3genE8ELNS1_11target_archE1030ELNS1_3gpuE2ELNS1_3repE0EEENS1_38merge_mergepath_config_static_selectorELNS0_4arch9wavefront6targetE0EEEvSK_,"axG",@progbits,_ZN7rocprim17ROCPRIM_400000_NS6detail17trampoline_kernelINS0_14default_configENS1_38merge_sort_block_merge_config_selectorIiNS0_10empty_typeEEEZZNS1_27merge_sort_block_merge_implIS3_N6thrust23THRUST_200600_302600_NS6detail15normal_iteratorINS9_10device_ptrIiEEEEPS5_m9comp_mod3IiEEE10hipError_tT0_T1_T2_jT3_P12ihipStream_tbPNSt15iterator_traitsISJ_E10value_typeEPNSP_ISK_E10value_typeEPSL_NS1_7vsmem_tEENKUlT_SJ_SK_SL_E_clIPiSE_SF_SF_EESI_SY_SJ_SK_SL_EUlSY_E0_NS1_11comp_targetILNS1_3genE8ELNS1_11target_archE1030ELNS1_3gpuE2ELNS1_3repE0EEENS1_38merge_mergepath_config_static_selectorELNS0_4arch9wavefront6targetE0EEEvSK_,comdat
	.protected	_ZN7rocprim17ROCPRIM_400000_NS6detail17trampoline_kernelINS0_14default_configENS1_38merge_sort_block_merge_config_selectorIiNS0_10empty_typeEEEZZNS1_27merge_sort_block_merge_implIS3_N6thrust23THRUST_200600_302600_NS6detail15normal_iteratorINS9_10device_ptrIiEEEEPS5_m9comp_mod3IiEEE10hipError_tT0_T1_T2_jT3_P12ihipStream_tbPNSt15iterator_traitsISJ_E10value_typeEPNSP_ISK_E10value_typeEPSL_NS1_7vsmem_tEENKUlT_SJ_SK_SL_E_clIPiSE_SF_SF_EESI_SY_SJ_SK_SL_EUlSY_E0_NS1_11comp_targetILNS1_3genE8ELNS1_11target_archE1030ELNS1_3gpuE2ELNS1_3repE0EEENS1_38merge_mergepath_config_static_selectorELNS0_4arch9wavefront6targetE0EEEvSK_ ; -- Begin function _ZN7rocprim17ROCPRIM_400000_NS6detail17trampoline_kernelINS0_14default_configENS1_38merge_sort_block_merge_config_selectorIiNS0_10empty_typeEEEZZNS1_27merge_sort_block_merge_implIS3_N6thrust23THRUST_200600_302600_NS6detail15normal_iteratorINS9_10device_ptrIiEEEEPS5_m9comp_mod3IiEEE10hipError_tT0_T1_T2_jT3_P12ihipStream_tbPNSt15iterator_traitsISJ_E10value_typeEPNSP_ISK_E10value_typeEPSL_NS1_7vsmem_tEENKUlT_SJ_SK_SL_E_clIPiSE_SF_SF_EESI_SY_SJ_SK_SL_EUlSY_E0_NS1_11comp_targetILNS1_3genE8ELNS1_11target_archE1030ELNS1_3gpuE2ELNS1_3repE0EEENS1_38merge_mergepath_config_static_selectorELNS0_4arch9wavefront6targetE0EEEvSK_
	.globl	_ZN7rocprim17ROCPRIM_400000_NS6detail17trampoline_kernelINS0_14default_configENS1_38merge_sort_block_merge_config_selectorIiNS0_10empty_typeEEEZZNS1_27merge_sort_block_merge_implIS3_N6thrust23THRUST_200600_302600_NS6detail15normal_iteratorINS9_10device_ptrIiEEEEPS5_m9comp_mod3IiEEE10hipError_tT0_T1_T2_jT3_P12ihipStream_tbPNSt15iterator_traitsISJ_E10value_typeEPNSP_ISK_E10value_typeEPSL_NS1_7vsmem_tEENKUlT_SJ_SK_SL_E_clIPiSE_SF_SF_EESI_SY_SJ_SK_SL_EUlSY_E0_NS1_11comp_targetILNS1_3genE8ELNS1_11target_archE1030ELNS1_3gpuE2ELNS1_3repE0EEENS1_38merge_mergepath_config_static_selectorELNS0_4arch9wavefront6targetE0EEEvSK_
	.p2align	8
	.type	_ZN7rocprim17ROCPRIM_400000_NS6detail17trampoline_kernelINS0_14default_configENS1_38merge_sort_block_merge_config_selectorIiNS0_10empty_typeEEEZZNS1_27merge_sort_block_merge_implIS3_N6thrust23THRUST_200600_302600_NS6detail15normal_iteratorINS9_10device_ptrIiEEEEPS5_m9comp_mod3IiEEE10hipError_tT0_T1_T2_jT3_P12ihipStream_tbPNSt15iterator_traitsISJ_E10value_typeEPNSP_ISK_E10value_typeEPSL_NS1_7vsmem_tEENKUlT_SJ_SK_SL_E_clIPiSE_SF_SF_EESI_SY_SJ_SK_SL_EUlSY_E0_NS1_11comp_targetILNS1_3genE8ELNS1_11target_archE1030ELNS1_3gpuE2ELNS1_3repE0EEENS1_38merge_mergepath_config_static_selectorELNS0_4arch9wavefront6targetE0EEEvSK_,@function
_ZN7rocprim17ROCPRIM_400000_NS6detail17trampoline_kernelINS0_14default_configENS1_38merge_sort_block_merge_config_selectorIiNS0_10empty_typeEEEZZNS1_27merge_sort_block_merge_implIS3_N6thrust23THRUST_200600_302600_NS6detail15normal_iteratorINS9_10device_ptrIiEEEEPS5_m9comp_mod3IiEEE10hipError_tT0_T1_T2_jT3_P12ihipStream_tbPNSt15iterator_traitsISJ_E10value_typeEPNSP_ISK_E10value_typeEPSL_NS1_7vsmem_tEENKUlT_SJ_SK_SL_E_clIPiSE_SF_SF_EESI_SY_SJ_SK_SL_EUlSY_E0_NS1_11comp_targetILNS1_3genE8ELNS1_11target_archE1030ELNS1_3gpuE2ELNS1_3repE0EEENS1_38merge_mergepath_config_static_selectorELNS0_4arch9wavefront6targetE0EEEvSK_: ; @_ZN7rocprim17ROCPRIM_400000_NS6detail17trampoline_kernelINS0_14default_configENS1_38merge_sort_block_merge_config_selectorIiNS0_10empty_typeEEEZZNS1_27merge_sort_block_merge_implIS3_N6thrust23THRUST_200600_302600_NS6detail15normal_iteratorINS9_10device_ptrIiEEEEPS5_m9comp_mod3IiEEE10hipError_tT0_T1_T2_jT3_P12ihipStream_tbPNSt15iterator_traitsISJ_E10value_typeEPNSP_ISK_E10value_typeEPSL_NS1_7vsmem_tEENKUlT_SJ_SK_SL_E_clIPiSE_SF_SF_EESI_SY_SJ_SK_SL_EUlSY_E0_NS1_11comp_targetILNS1_3genE8ELNS1_11target_archE1030ELNS1_3gpuE2ELNS1_3repE0EEENS1_38merge_mergepath_config_static_selectorELNS0_4arch9wavefront6targetE0EEEvSK_
; %bb.0:
	s_clause 0x1
	s_load_dwordx2 s[22:23], s[4:5], 0x50
	s_load_dword s0, s[4:5], 0x38
	s_add_u32 s20, s4, 0x50
	s_addc_u32 s21, s5, 0
	s_waitcnt lgkmcnt(0)
	s_mul_i32 s1, s23, s8
	s_add_i32 s1, s1, s7
	s_mul_i32 s1, s1, s22
	s_add_i32 s18, s1, s6
	s_cmp_ge_u32 s18, s0
	s_cbranch_scc1 .LBB1003_35
; %bb.1:
	s_clause 0x1
	s_load_dwordx2 s[0:1], s[4:5], 0x48
	s_load_dwordx4 s[8:11], s[4:5], 0x28
	s_mov_b32 s19, 0
	s_lshl_b64 s[2:3], s[18:19], 3
	s_waitcnt lgkmcnt(0)
	s_add_u32 s0, s0, s2
	s_addc_u32 s1, s1, s3
	s_lshl_b64 s[16:17], s[18:19], 10
	s_load_dwordx4 s[12:15], s[0:1], 0x0
	s_lshr_b64 s[0:1], s[10:11], 9
	s_mov_b32 s1, s19
	s_and_b32 s0, s0, -2
	s_sub_i32 s29, 0, s0
	s_and_b32 s0, s18, s29
	s_lshl_b64 s[24:25], s[0:1], 10
	s_sub_u32 s23, s16, s24
	s_subb_u32 s30, s17, s25
	s_lshl_b64 s[26:27], s[0:1], 11
	s_load_dwordx4 s[0:3], s[4:5], 0x8
	s_add_u32 s7, s26, s10
	s_addc_u32 s28, s27, s11
	s_add_u32 s26, s7, s23
	s_addc_u32 s27, s28, s30
	s_waitcnt lgkmcnt(0)
	s_sub_u32 s23, s26, s14
	s_subb_u32 s15, s27, s15
	s_add_u32 s30, s23, 0x400
	s_addc_u32 s31, s15, 0
	v_cmp_lt_u64_e64 s15, s[8:9], s[30:31]
	s_and_b32 s15, s15, exec_lo
	s_cselect_b32 s23, s8, s30
	s_or_b32 s15, s18, s29
	s_cmp_lg_u32 s15, -1
	s_mov_b32 s15, -1
	s_cbranch_scc1 .LBB1003_3
; %bb.2:
	s_sub_u32 s24, s7, s24
	s_subb_u32 s25, s28, s25
	v_cmp_lt_u64_e64 s7, s[8:9], s[24:25]
	s_and_b32 s7, s7, exec_lo
	s_cselect_b32 s14, s8, s24
	s_add_u32 s10, s24, s10
	s_addc_u32 s11, s25, s11
	v_cmp_lt_u64_e64 s7, s[8:9], s[10:11]
	s_and_b32 s7, s7, exec_lo
	s_cselect_b32 s23, s8, s10
.LBB1003_3:
	s_lshr_b64 s[24:25], s[8:9], 10
	v_mov_b32_e32 v5, 0
	s_cmp_lg_u64 s[24:25], s[18:19]
	v_lshlrev_b32_e32 v8, 2, v0
	s_cselect_b32 s7, -1, 0
	s_sub_u32 s10, s26, s12
	s_subb_u32 s11, s27, s13
	global_load_dword v1, v5, s[20:21] offset:14
	v_cmp_lt_u64_e64 s26, s[8:9], s[10:11]
                                        ; implicit-def: $vgpr4
                                        ; implicit-def: $vgpr7
	s_and_b32 s26, s26, exec_lo
	s_cselect_b32 s26, s8, s10
	s_cselect_b32 s27, s9, s11
	s_lshl_b64 s[28:29], s[12:13], 2
	s_sub_i32 s9, s14, s12
	s_sub_i32 s10, s23, s26
	s_add_u32 s13, s0, s28
	s_addc_u32 s14, s1, s29
	s_lshl_b64 s[26:27], s[26:27], 2
	s_add_u32 s11, s0, s26
	s_addc_u32 s12, s1, s27
	s_cmp_lt_u32 s6, s22
	s_cselect_b32 s0, 12, 18
	s_add_u32 s0, s20, s0
	s_addc_u32 s1, s21, 0
	s_cmp_eq_u64 s[24:25], s[18:19]
	global_load_ushort v2, v5, s[0:1]
	s_waitcnt vmcnt(1)
	v_lshrrev_b32_e32 v3, 16, v1
	v_and_b32_e32 v1, 0xffff, v1
	v_mul_lo_u32 v1, v1, v3
	s_waitcnt vmcnt(0)
	v_mul_lo_u32 v1, v1, v2
	v_add_nc_u32_e32 v2, v1, v0
                                        ; implicit-def: $vgpr1
	s_cbranch_scc1 .LBB1003_5
; %bb.4:
	v_mov_b32_e32 v3, v5
	v_sub_co_u32 v4, vcc_lo, v0, s9
	v_add_co_u32 v1, s0, s13, v8
	v_lshlrev_b64 v[6:7], 2, v[2:3]
	v_add_co_ci_u32_e64 v11, null, s14, 0, s0
	v_lshlrev_b64 v[9:10], 2, v[4:5]
	s_mov_b32 s15, 0
	v_add_co_u32 v12, s0, s13, v6
	v_add_co_ci_u32_e64 v6, null, s14, v7, s0
	v_sub_co_u32 v4, s0, v2, s9
	v_lshlrev_b64 v[3:4], 2, v[4:5]
	v_add_co_u32 v5, s1, s11, v9
	v_add_co_ci_u32_e64 v7, null, s12, v10, s1
	v_add_co_u32 v9, s1, s11, v3
	v_add_co_ci_u32_e64 v10, null, s12, v4, s1
	v_cndmask_b32_e32 v4, v7, v11, vcc_lo
	v_cndmask_b32_e32 v3, v5, v1, vcc_lo
	v_cndmask_b32_e64 v5, v9, v12, s0
	v_cndmask_b32_e64 v6, v10, v6, s0
	s_add_i32 s0, s9, s10
	global_load_dword v4, v[3:4], off
	global_load_dword v1, v[5:6], off
	v_mov_b32_e32 v7, s0
.LBB1003_5:
	s_load_dwordx2 s[4:5], s[4:5], 0x40
	s_andn2_b32 vcc_lo, exec_lo, s15
	s_cbranch_vccnz .LBB1003_11
; %bb.6:
	s_waitcnt vmcnt(0)
	v_mov_b32_e32 v1, 0
	v_mov_b32_e32 v4, 0
	s_add_i32 s1, s9, s10
	s_mov_b32 s6, exec_lo
	v_cmpx_gt_u32_e64 s1, v0
	s_cbranch_execz .LBB1003_8
; %bb.7:
	v_sub_co_u32 v3, vcc_lo, v0, s9
	v_mov_b32_e32 v4, 0
	v_add_co_u32 v5, s0, s13, v8
	v_add_co_ci_u32_e64 v6, null, s14, 0, s0
	v_lshlrev_b64 v[3:4], 2, v[3:4]
	v_add_co_u32 v3, s0, s11, v3
	v_add_co_ci_u32_e64 v4, null, s12, v4, s0
	v_cndmask_b32_e32 v3, v3, v5, vcc_lo
	v_cndmask_b32_e32 v4, v4, v6, vcc_lo
	global_load_dword v4, v[3:4], off
.LBB1003_8:
	s_or_b32 exec_lo, exec_lo, s6
	s_mov_b32 s6, exec_lo
	v_cmpx_gt_u32_e64 s1, v2
	s_cbranch_execz .LBB1003_10
; %bb.9:
	v_mov_b32_e32 v3, 0
	v_lshlrev_b64 v[5:6], 2, v[2:3]
	v_add_co_u32 v5, vcc_lo, s13, v5
	v_add_co_ci_u32_e64 v6, null, s14, v6, vcc_lo
	v_sub_co_u32 v2, vcc_lo, v2, s9
	v_lshlrev_b64 v[1:2], 2, v[2:3]
	v_add_co_u32 v1, s0, s11, v1
	v_add_co_ci_u32_e64 v2, null, s12, v2, s0
	v_cndmask_b32_e32 v1, v1, v5, vcc_lo
	v_cndmask_b32_e32 v2, v2, v6, vcc_lo
	global_load_dword v1, v[1:2], off
.LBB1003_10:
	s_or_b32 exec_lo, exec_lo, s6
	v_mov_b32_e32 v7, s1
.LBB1003_11:
	v_lshlrev_b32_e32 v9, 1, v0
	s_mov_b32 s0, exec_lo
	s_waitcnt vmcnt(0)
	ds_write2st64_b32 v8, v4, v1 offset1:8
	s_waitcnt lgkmcnt(0)
	s_barrier
	v_min_u32_e32 v3, v7, v9
	buffer_gl0_inv
	v_sub_nc_u32_e64 v2, v3, s10 clamp
	v_min_u32_e32 v5, s9, v3
	v_cmpx_lt_u32_e64 v2, v5
	s_cbranch_execz .LBB1003_15
; %bb.12:
	v_lshlrev_b32_e32 v6, 2, v3
	s_mov_b32 s1, 0
	v_lshl_add_u32 v6, s9, 2, v6
	s_inst_prefetch 0x1
	.p2align	6
.LBB1003_13:                            ; =>This Inner Loop Header: Depth=1
	v_add_nc_u32_e32 v10, v5, v2
	v_lshrrev_b32_e32 v14, 1, v10
	v_not_b32_e32 v10, v14
	v_lshlrev_b32_e32 v11, 2, v14
	v_lshl_add_u32 v12, v10, 2, v6
	ds_read_b32 v10, v11
	ds_read_b32 v12, v12
	s_waitcnt lgkmcnt(1)
	v_ashrrev_i32_e32 v11, 31, v10
	s_waitcnt lgkmcnt(0)
	v_ashrrev_i32_e32 v13, 31, v12
	v_lshlrev_b64 v[10:11], 2, v[10:11]
	v_lshlrev_b64 v[12:13], 2, v[12:13]
	v_add_co_u32 v10, vcc_lo, s4, v10
	v_add_co_ci_u32_e64 v11, null, s5, v11, vcc_lo
	v_add_co_u32 v12, vcc_lo, s4, v12
	v_add_co_ci_u32_e64 v13, null, s5, v13, vcc_lo
	s_clause 0x1
	global_load_dword v12, v[12:13], off
	global_load_dword v10, v[10:11], off
	v_add_nc_u32_e32 v11, 1, v14
	s_waitcnt vmcnt(0)
	v_cmp_lt_i32_e32 vcc_lo, v12, v10
	v_cndmask_b32_e32 v5, v5, v14, vcc_lo
	v_cndmask_b32_e32 v2, v11, v2, vcc_lo
	v_cmp_ge_u32_e32 vcc_lo, v2, v5
	s_or_b32 s1, vcc_lo, s1
	s_andn2_b32 exec_lo, exec_lo, s1
	s_cbranch_execnz .LBB1003_13
; %bb.14:
	s_inst_prefetch 0x2
	s_or_b32 exec_lo, exec_lo, s1
.LBB1003_15:
	s_or_b32 exec_lo, exec_lo, s0
	v_sub_nc_u32_e32 v3, v3, v2
	v_cmp_ge_u32_e32 vcc_lo, s9, v2
	v_add_nc_u32_e32 v10, s9, v3
	v_cmp_le_u32_e64 s0, v10, v7
	s_or_b32 s0, vcc_lo, s0
	s_and_saveexec_b32 s1, s0
	s_cbranch_execz .LBB1003_27
; %bb.16:
	s_mov_b32 s6, exec_lo
	v_cmp_le_u32_e32 vcc_lo, s9, v2
                                        ; implicit-def: $vgpr3
	v_cmpx_gt_u32_e64 s9, v2
; %bb.17:
	v_lshlrev_b32_e32 v1, 2, v2
	ds_read_b32 v3, v1
; %bb.18:
	s_or_b32 exec_lo, exec_lo, s6
	v_cmp_ge_u32_e64 s6, v10, v7
	s_mov_b32 s10, exec_lo
                                        ; implicit-def: $vgpr5
	v_cmpx_lt_u32_e64 v10, v7
; %bb.19:
	v_lshlrev_b32_e32 v1, 2, v10
	ds_read_b32 v5, v1
; %bb.20:
	s_or_b32 exec_lo, exec_lo, s10
	s_nor_b32 s10, vcc_lo, s6
	s_and_saveexec_b32 s0, s10
	s_cbranch_execz .LBB1003_22
; %bb.21:
	s_waitcnt lgkmcnt(0)
	v_ashrrev_i32_e32 v6, 31, v5
	v_ashrrev_i32_e32 v4, 31, v3
	s_andn2_b32 s6, s6, exec_lo
	v_lshlrev_b64 v[11:12], 2, v[5:6]
	v_lshlrev_b64 v[13:14], 2, v[3:4]
	v_add_co_u32 v11, vcc_lo, s4, v11
	v_add_co_ci_u32_e64 v12, null, s5, v12, vcc_lo
	v_add_co_u32 v13, vcc_lo, s4, v13
	v_add_co_ci_u32_e64 v14, null, s5, v14, vcc_lo
	s_clause 0x1
	global_load_dword v1, v[11:12], off
	global_load_dword v4, v[13:14], off
	s_waitcnt vmcnt(0)
	v_cmp_ge_i32_e32 vcc_lo, v1, v4
	s_and_b32 s10, vcc_lo, exec_lo
	s_or_b32 s6, s6, s10
.LBB1003_22:
	s_or_b32 exec_lo, exec_lo, s0
	v_cndmask_b32_e64 v1, v10, v2, s6
	v_cndmask_b32_e64 v6, v7, s9, s6
	s_mov_b32 s0, exec_lo
	v_add_nc_u32_e32 v4, 1, v1
	v_add_nc_u32_e32 v1, -1, v6
	v_cndmask_b32_e64 v10, v4, v10, s6
	v_min_u32_e32 v1, v4, v1
	v_lshlrev_b32_e32 v1, 2, v1
	ds_read_b32 v6, v1
	s_waitcnt lgkmcnt(0)
	v_cndmask_b32_e64 v1, v3, v6, s6
	v_cmpx_lt_u32_e64 v10, v7
	s_cbranch_execz .LBB1003_26
; %bb.23:
	v_cndmask_b32_e64 v2, v2, v4, s6
	v_cndmask_b32_e64 v6, v6, v5, s6
	v_cmp_gt_u32_e32 vcc_lo, s9, v2
	s_and_saveexec_b32 s9, vcc_lo
	s_cbranch_execz .LBB1003_25
; %bb.24:
	v_ashrrev_i32_e32 v7, 31, v6
	v_ashrrev_i32_e32 v2, 31, v1
	v_lshlrev_b64 v[10:11], 2, v[6:7]
	v_lshlrev_b64 v[12:13], 2, v[1:2]
	v_add_co_u32 v10, vcc_lo, s4, v10
	v_add_co_ci_u32_e64 v11, null, s5, v11, vcc_lo
	v_add_co_u32 v12, vcc_lo, s4, v12
	v_add_co_ci_u32_e64 v13, null, s5, v13, vcc_lo
	s_clause 0x1
	global_load_dword v2, v[10:11], off
	global_load_dword v4, v[12:13], off
	s_waitcnt vmcnt(0)
	v_cmp_lt_i32_e32 vcc_lo, v2, v4
	v_cndmask_b32_e32 v6, v1, v6, vcc_lo
.LBB1003_25:
	s_or_b32 exec_lo, exec_lo, s9
	v_mov_b32_e32 v1, v6
.LBB1003_26:
	s_or_b32 exec_lo, exec_lo, s0
	v_cndmask_b32_e64 v4, v5, v3, s6
.LBB1003_27:
	s_or_b32 exec_lo, exec_lo, s1
	v_lshrrev_b32_e32 v2, 2, v0
	v_or_b32_e32 v3, 0x200, v0
	v_lshrrev_b32_e32 v5, 3, v0
	s_lshl_b64 s[0:1], s[16:17], 2
	v_and_b32_e32 v2, 0x7c, v2
	v_lshrrev_b32_e32 v6, 3, v3
	v_and_b32_e32 v5, 60, v5
	s_add_u32 s0, s2, s0
	s_barrier
	v_lshl_add_u32 v2, v9, 2, v2
	v_and_b32_e32 v6, 0x7c, v6
	buffer_gl0_inv
	s_barrier
	buffer_gl0_inv
	s_addc_u32 s1, s3, s1
	ds_write2_b32 v2, v4, v1 offset1:1
	v_add_co_u32 v1, s0, s0, v8
	v_add_nc_u32_e32 v5, v5, v8
	v_add_nc_u32_e32 v6, v6, v8
	v_add_co_ci_u32_e64 v2, null, s1, 0, s0
	s_and_b32 vcc_lo, exec_lo, s7
	s_waitcnt lgkmcnt(0)
	s_cbranch_vccz .LBB1003_29
; %bb.28:
	s_barrier
	buffer_gl0_inv
	ds_read_b32 v7, v5
	ds_read_b32 v4, v6 offset:2048
	s_mov_b32 s0, -1
	s_waitcnt lgkmcnt(1)
	global_store_dword v[1:2], v7, off
	s_cbranch_execz .LBB1003_30
	s_branch .LBB1003_33
.LBB1003_29:
	s_mov_b32 s0, 0
                                        ; implicit-def: $vgpr4
.LBB1003_30:
	s_barrier
	s_waitcnt lgkmcnt(0)
	s_waitcnt_vscnt null, 0x0
	buffer_gl0_inv
	ds_read_b32 v4, v6 offset:2048
	s_sub_i32 s0, s8, s16
	s_mov_b32 s1, exec_lo
	v_cmpx_gt_u32_e64 s0, v0
	s_cbranch_execz .LBB1003_32
; %bb.31:
	ds_read_b32 v0, v5
	s_waitcnt lgkmcnt(0)
	global_store_dword v[1:2], v0, off
.LBB1003_32:
	s_or_b32 exec_lo, exec_lo, s1
	v_cmp_gt_u32_e64 s0, s0, v3
.LBB1003_33:
	s_and_saveexec_b32 s1, s0
	s_cbranch_execz .LBB1003_35
; %bb.34:
	v_add_co_u32 v0, vcc_lo, 0x800, v1
	v_add_co_ci_u32_e64 v1, null, 0, v2, vcc_lo
	s_waitcnt lgkmcnt(0)
	global_store_dword v[0:1], v4, off
.LBB1003_35:
	s_endpgm
	.section	.rodata,"a",@progbits
	.p2align	6, 0x0
	.amdhsa_kernel _ZN7rocprim17ROCPRIM_400000_NS6detail17trampoline_kernelINS0_14default_configENS1_38merge_sort_block_merge_config_selectorIiNS0_10empty_typeEEEZZNS1_27merge_sort_block_merge_implIS3_N6thrust23THRUST_200600_302600_NS6detail15normal_iteratorINS9_10device_ptrIiEEEEPS5_m9comp_mod3IiEEE10hipError_tT0_T1_T2_jT3_P12ihipStream_tbPNSt15iterator_traitsISJ_E10value_typeEPNSP_ISK_E10value_typeEPSL_NS1_7vsmem_tEENKUlT_SJ_SK_SL_E_clIPiSE_SF_SF_EESI_SY_SJ_SK_SL_EUlSY_E0_NS1_11comp_targetILNS1_3genE8ELNS1_11target_archE1030ELNS1_3gpuE2ELNS1_3repE0EEENS1_38merge_mergepath_config_static_selectorELNS0_4arch9wavefront6targetE0EEEvSK_
		.amdhsa_group_segment_fixed_size 4224
		.amdhsa_private_segment_fixed_size 0
		.amdhsa_kernarg_size 336
		.amdhsa_user_sgpr_count 6
		.amdhsa_user_sgpr_private_segment_buffer 1
		.amdhsa_user_sgpr_dispatch_ptr 0
		.amdhsa_user_sgpr_queue_ptr 0
		.amdhsa_user_sgpr_kernarg_segment_ptr 1
		.amdhsa_user_sgpr_dispatch_id 0
		.amdhsa_user_sgpr_flat_scratch_init 0
		.amdhsa_user_sgpr_private_segment_size 0
		.amdhsa_wavefront_size32 1
		.amdhsa_uses_dynamic_stack 0
		.amdhsa_system_sgpr_private_segment_wavefront_offset 0
		.amdhsa_system_sgpr_workgroup_id_x 1
		.amdhsa_system_sgpr_workgroup_id_y 1
		.amdhsa_system_sgpr_workgroup_id_z 1
		.amdhsa_system_sgpr_workgroup_info 0
		.amdhsa_system_vgpr_workitem_id 0
		.amdhsa_next_free_vgpr 15
		.amdhsa_next_free_sgpr 32
		.amdhsa_reserve_vcc 1
		.amdhsa_reserve_flat_scratch 0
		.amdhsa_float_round_mode_32 0
		.amdhsa_float_round_mode_16_64 0
		.amdhsa_float_denorm_mode_32 3
		.amdhsa_float_denorm_mode_16_64 3
		.amdhsa_dx10_clamp 1
		.amdhsa_ieee_mode 1
		.amdhsa_fp16_overflow 0
		.amdhsa_workgroup_processor_mode 1
		.amdhsa_memory_ordered 1
		.amdhsa_forward_progress 1
		.amdhsa_shared_vgpr_count 0
		.amdhsa_exception_fp_ieee_invalid_op 0
		.amdhsa_exception_fp_denorm_src 0
		.amdhsa_exception_fp_ieee_div_zero 0
		.amdhsa_exception_fp_ieee_overflow 0
		.amdhsa_exception_fp_ieee_underflow 0
		.amdhsa_exception_fp_ieee_inexact 0
		.amdhsa_exception_int_div_zero 0
	.end_amdhsa_kernel
	.section	.text._ZN7rocprim17ROCPRIM_400000_NS6detail17trampoline_kernelINS0_14default_configENS1_38merge_sort_block_merge_config_selectorIiNS0_10empty_typeEEEZZNS1_27merge_sort_block_merge_implIS3_N6thrust23THRUST_200600_302600_NS6detail15normal_iteratorINS9_10device_ptrIiEEEEPS5_m9comp_mod3IiEEE10hipError_tT0_T1_T2_jT3_P12ihipStream_tbPNSt15iterator_traitsISJ_E10value_typeEPNSP_ISK_E10value_typeEPSL_NS1_7vsmem_tEENKUlT_SJ_SK_SL_E_clIPiSE_SF_SF_EESI_SY_SJ_SK_SL_EUlSY_E0_NS1_11comp_targetILNS1_3genE8ELNS1_11target_archE1030ELNS1_3gpuE2ELNS1_3repE0EEENS1_38merge_mergepath_config_static_selectorELNS0_4arch9wavefront6targetE0EEEvSK_,"axG",@progbits,_ZN7rocprim17ROCPRIM_400000_NS6detail17trampoline_kernelINS0_14default_configENS1_38merge_sort_block_merge_config_selectorIiNS0_10empty_typeEEEZZNS1_27merge_sort_block_merge_implIS3_N6thrust23THRUST_200600_302600_NS6detail15normal_iteratorINS9_10device_ptrIiEEEEPS5_m9comp_mod3IiEEE10hipError_tT0_T1_T2_jT3_P12ihipStream_tbPNSt15iterator_traitsISJ_E10value_typeEPNSP_ISK_E10value_typeEPSL_NS1_7vsmem_tEENKUlT_SJ_SK_SL_E_clIPiSE_SF_SF_EESI_SY_SJ_SK_SL_EUlSY_E0_NS1_11comp_targetILNS1_3genE8ELNS1_11target_archE1030ELNS1_3gpuE2ELNS1_3repE0EEENS1_38merge_mergepath_config_static_selectorELNS0_4arch9wavefront6targetE0EEEvSK_,comdat
.Lfunc_end1003:
	.size	_ZN7rocprim17ROCPRIM_400000_NS6detail17trampoline_kernelINS0_14default_configENS1_38merge_sort_block_merge_config_selectorIiNS0_10empty_typeEEEZZNS1_27merge_sort_block_merge_implIS3_N6thrust23THRUST_200600_302600_NS6detail15normal_iteratorINS9_10device_ptrIiEEEEPS5_m9comp_mod3IiEEE10hipError_tT0_T1_T2_jT3_P12ihipStream_tbPNSt15iterator_traitsISJ_E10value_typeEPNSP_ISK_E10value_typeEPSL_NS1_7vsmem_tEENKUlT_SJ_SK_SL_E_clIPiSE_SF_SF_EESI_SY_SJ_SK_SL_EUlSY_E0_NS1_11comp_targetILNS1_3genE8ELNS1_11target_archE1030ELNS1_3gpuE2ELNS1_3repE0EEENS1_38merge_mergepath_config_static_selectorELNS0_4arch9wavefront6targetE0EEEvSK_, .Lfunc_end1003-_ZN7rocprim17ROCPRIM_400000_NS6detail17trampoline_kernelINS0_14default_configENS1_38merge_sort_block_merge_config_selectorIiNS0_10empty_typeEEEZZNS1_27merge_sort_block_merge_implIS3_N6thrust23THRUST_200600_302600_NS6detail15normal_iteratorINS9_10device_ptrIiEEEEPS5_m9comp_mod3IiEEE10hipError_tT0_T1_T2_jT3_P12ihipStream_tbPNSt15iterator_traitsISJ_E10value_typeEPNSP_ISK_E10value_typeEPSL_NS1_7vsmem_tEENKUlT_SJ_SK_SL_E_clIPiSE_SF_SF_EESI_SY_SJ_SK_SL_EUlSY_E0_NS1_11comp_targetILNS1_3genE8ELNS1_11target_archE1030ELNS1_3gpuE2ELNS1_3repE0EEENS1_38merge_mergepath_config_static_selectorELNS0_4arch9wavefront6targetE0EEEvSK_
                                        ; -- End function
	.set _ZN7rocprim17ROCPRIM_400000_NS6detail17trampoline_kernelINS0_14default_configENS1_38merge_sort_block_merge_config_selectorIiNS0_10empty_typeEEEZZNS1_27merge_sort_block_merge_implIS3_N6thrust23THRUST_200600_302600_NS6detail15normal_iteratorINS9_10device_ptrIiEEEEPS5_m9comp_mod3IiEEE10hipError_tT0_T1_T2_jT3_P12ihipStream_tbPNSt15iterator_traitsISJ_E10value_typeEPNSP_ISK_E10value_typeEPSL_NS1_7vsmem_tEENKUlT_SJ_SK_SL_E_clIPiSE_SF_SF_EESI_SY_SJ_SK_SL_EUlSY_E0_NS1_11comp_targetILNS1_3genE8ELNS1_11target_archE1030ELNS1_3gpuE2ELNS1_3repE0EEENS1_38merge_mergepath_config_static_selectorELNS0_4arch9wavefront6targetE0EEEvSK_.num_vgpr, 15
	.set _ZN7rocprim17ROCPRIM_400000_NS6detail17trampoline_kernelINS0_14default_configENS1_38merge_sort_block_merge_config_selectorIiNS0_10empty_typeEEEZZNS1_27merge_sort_block_merge_implIS3_N6thrust23THRUST_200600_302600_NS6detail15normal_iteratorINS9_10device_ptrIiEEEEPS5_m9comp_mod3IiEEE10hipError_tT0_T1_T2_jT3_P12ihipStream_tbPNSt15iterator_traitsISJ_E10value_typeEPNSP_ISK_E10value_typeEPSL_NS1_7vsmem_tEENKUlT_SJ_SK_SL_E_clIPiSE_SF_SF_EESI_SY_SJ_SK_SL_EUlSY_E0_NS1_11comp_targetILNS1_3genE8ELNS1_11target_archE1030ELNS1_3gpuE2ELNS1_3repE0EEENS1_38merge_mergepath_config_static_selectorELNS0_4arch9wavefront6targetE0EEEvSK_.num_agpr, 0
	.set _ZN7rocprim17ROCPRIM_400000_NS6detail17trampoline_kernelINS0_14default_configENS1_38merge_sort_block_merge_config_selectorIiNS0_10empty_typeEEEZZNS1_27merge_sort_block_merge_implIS3_N6thrust23THRUST_200600_302600_NS6detail15normal_iteratorINS9_10device_ptrIiEEEEPS5_m9comp_mod3IiEEE10hipError_tT0_T1_T2_jT3_P12ihipStream_tbPNSt15iterator_traitsISJ_E10value_typeEPNSP_ISK_E10value_typeEPSL_NS1_7vsmem_tEENKUlT_SJ_SK_SL_E_clIPiSE_SF_SF_EESI_SY_SJ_SK_SL_EUlSY_E0_NS1_11comp_targetILNS1_3genE8ELNS1_11target_archE1030ELNS1_3gpuE2ELNS1_3repE0EEENS1_38merge_mergepath_config_static_selectorELNS0_4arch9wavefront6targetE0EEEvSK_.numbered_sgpr, 32
	.set _ZN7rocprim17ROCPRIM_400000_NS6detail17trampoline_kernelINS0_14default_configENS1_38merge_sort_block_merge_config_selectorIiNS0_10empty_typeEEEZZNS1_27merge_sort_block_merge_implIS3_N6thrust23THRUST_200600_302600_NS6detail15normal_iteratorINS9_10device_ptrIiEEEEPS5_m9comp_mod3IiEEE10hipError_tT0_T1_T2_jT3_P12ihipStream_tbPNSt15iterator_traitsISJ_E10value_typeEPNSP_ISK_E10value_typeEPSL_NS1_7vsmem_tEENKUlT_SJ_SK_SL_E_clIPiSE_SF_SF_EESI_SY_SJ_SK_SL_EUlSY_E0_NS1_11comp_targetILNS1_3genE8ELNS1_11target_archE1030ELNS1_3gpuE2ELNS1_3repE0EEENS1_38merge_mergepath_config_static_selectorELNS0_4arch9wavefront6targetE0EEEvSK_.num_named_barrier, 0
	.set _ZN7rocprim17ROCPRIM_400000_NS6detail17trampoline_kernelINS0_14default_configENS1_38merge_sort_block_merge_config_selectorIiNS0_10empty_typeEEEZZNS1_27merge_sort_block_merge_implIS3_N6thrust23THRUST_200600_302600_NS6detail15normal_iteratorINS9_10device_ptrIiEEEEPS5_m9comp_mod3IiEEE10hipError_tT0_T1_T2_jT3_P12ihipStream_tbPNSt15iterator_traitsISJ_E10value_typeEPNSP_ISK_E10value_typeEPSL_NS1_7vsmem_tEENKUlT_SJ_SK_SL_E_clIPiSE_SF_SF_EESI_SY_SJ_SK_SL_EUlSY_E0_NS1_11comp_targetILNS1_3genE8ELNS1_11target_archE1030ELNS1_3gpuE2ELNS1_3repE0EEENS1_38merge_mergepath_config_static_selectorELNS0_4arch9wavefront6targetE0EEEvSK_.private_seg_size, 0
	.set _ZN7rocprim17ROCPRIM_400000_NS6detail17trampoline_kernelINS0_14default_configENS1_38merge_sort_block_merge_config_selectorIiNS0_10empty_typeEEEZZNS1_27merge_sort_block_merge_implIS3_N6thrust23THRUST_200600_302600_NS6detail15normal_iteratorINS9_10device_ptrIiEEEEPS5_m9comp_mod3IiEEE10hipError_tT0_T1_T2_jT3_P12ihipStream_tbPNSt15iterator_traitsISJ_E10value_typeEPNSP_ISK_E10value_typeEPSL_NS1_7vsmem_tEENKUlT_SJ_SK_SL_E_clIPiSE_SF_SF_EESI_SY_SJ_SK_SL_EUlSY_E0_NS1_11comp_targetILNS1_3genE8ELNS1_11target_archE1030ELNS1_3gpuE2ELNS1_3repE0EEENS1_38merge_mergepath_config_static_selectorELNS0_4arch9wavefront6targetE0EEEvSK_.uses_vcc, 1
	.set _ZN7rocprim17ROCPRIM_400000_NS6detail17trampoline_kernelINS0_14default_configENS1_38merge_sort_block_merge_config_selectorIiNS0_10empty_typeEEEZZNS1_27merge_sort_block_merge_implIS3_N6thrust23THRUST_200600_302600_NS6detail15normal_iteratorINS9_10device_ptrIiEEEEPS5_m9comp_mod3IiEEE10hipError_tT0_T1_T2_jT3_P12ihipStream_tbPNSt15iterator_traitsISJ_E10value_typeEPNSP_ISK_E10value_typeEPSL_NS1_7vsmem_tEENKUlT_SJ_SK_SL_E_clIPiSE_SF_SF_EESI_SY_SJ_SK_SL_EUlSY_E0_NS1_11comp_targetILNS1_3genE8ELNS1_11target_archE1030ELNS1_3gpuE2ELNS1_3repE0EEENS1_38merge_mergepath_config_static_selectorELNS0_4arch9wavefront6targetE0EEEvSK_.uses_flat_scratch, 0
	.set _ZN7rocprim17ROCPRIM_400000_NS6detail17trampoline_kernelINS0_14default_configENS1_38merge_sort_block_merge_config_selectorIiNS0_10empty_typeEEEZZNS1_27merge_sort_block_merge_implIS3_N6thrust23THRUST_200600_302600_NS6detail15normal_iteratorINS9_10device_ptrIiEEEEPS5_m9comp_mod3IiEEE10hipError_tT0_T1_T2_jT3_P12ihipStream_tbPNSt15iterator_traitsISJ_E10value_typeEPNSP_ISK_E10value_typeEPSL_NS1_7vsmem_tEENKUlT_SJ_SK_SL_E_clIPiSE_SF_SF_EESI_SY_SJ_SK_SL_EUlSY_E0_NS1_11comp_targetILNS1_3genE8ELNS1_11target_archE1030ELNS1_3gpuE2ELNS1_3repE0EEENS1_38merge_mergepath_config_static_selectorELNS0_4arch9wavefront6targetE0EEEvSK_.has_dyn_sized_stack, 0
	.set _ZN7rocprim17ROCPRIM_400000_NS6detail17trampoline_kernelINS0_14default_configENS1_38merge_sort_block_merge_config_selectorIiNS0_10empty_typeEEEZZNS1_27merge_sort_block_merge_implIS3_N6thrust23THRUST_200600_302600_NS6detail15normal_iteratorINS9_10device_ptrIiEEEEPS5_m9comp_mod3IiEEE10hipError_tT0_T1_T2_jT3_P12ihipStream_tbPNSt15iterator_traitsISJ_E10value_typeEPNSP_ISK_E10value_typeEPSL_NS1_7vsmem_tEENKUlT_SJ_SK_SL_E_clIPiSE_SF_SF_EESI_SY_SJ_SK_SL_EUlSY_E0_NS1_11comp_targetILNS1_3genE8ELNS1_11target_archE1030ELNS1_3gpuE2ELNS1_3repE0EEENS1_38merge_mergepath_config_static_selectorELNS0_4arch9wavefront6targetE0EEEvSK_.has_recursion, 0
	.set _ZN7rocprim17ROCPRIM_400000_NS6detail17trampoline_kernelINS0_14default_configENS1_38merge_sort_block_merge_config_selectorIiNS0_10empty_typeEEEZZNS1_27merge_sort_block_merge_implIS3_N6thrust23THRUST_200600_302600_NS6detail15normal_iteratorINS9_10device_ptrIiEEEEPS5_m9comp_mod3IiEEE10hipError_tT0_T1_T2_jT3_P12ihipStream_tbPNSt15iterator_traitsISJ_E10value_typeEPNSP_ISK_E10value_typeEPSL_NS1_7vsmem_tEENKUlT_SJ_SK_SL_E_clIPiSE_SF_SF_EESI_SY_SJ_SK_SL_EUlSY_E0_NS1_11comp_targetILNS1_3genE8ELNS1_11target_archE1030ELNS1_3gpuE2ELNS1_3repE0EEENS1_38merge_mergepath_config_static_selectorELNS0_4arch9wavefront6targetE0EEEvSK_.has_indirect_call, 0
	.section	.AMDGPU.csdata,"",@progbits
; Kernel info:
; codeLenInByte = 1872
; TotalNumSgprs: 34
; NumVgprs: 15
; ScratchSize: 0
; MemoryBound: 0
; FloatMode: 240
; IeeeMode: 1
; LDSByteSize: 4224 bytes/workgroup (compile time only)
; SGPRBlocks: 0
; VGPRBlocks: 1
; NumSGPRsForWavesPerEU: 34
; NumVGPRsForWavesPerEU: 15
; Occupancy: 16
; WaveLimiterHint : 1
; COMPUTE_PGM_RSRC2:SCRATCH_EN: 0
; COMPUTE_PGM_RSRC2:USER_SGPR: 6
; COMPUTE_PGM_RSRC2:TRAP_HANDLER: 0
; COMPUTE_PGM_RSRC2:TGID_X_EN: 1
; COMPUTE_PGM_RSRC2:TGID_Y_EN: 1
; COMPUTE_PGM_RSRC2:TGID_Z_EN: 1
; COMPUTE_PGM_RSRC2:TIDIG_COMP_CNT: 0
	.section	.text._ZN7rocprim17ROCPRIM_400000_NS6detail17trampoline_kernelINS0_14default_configENS1_38merge_sort_block_merge_config_selectorIiNS0_10empty_typeEEEZZNS1_27merge_sort_block_merge_implIS3_N6thrust23THRUST_200600_302600_NS6detail15normal_iteratorINS9_10device_ptrIiEEEEPS5_m9comp_mod3IiEEE10hipError_tT0_T1_T2_jT3_P12ihipStream_tbPNSt15iterator_traitsISJ_E10value_typeEPNSP_ISK_E10value_typeEPSL_NS1_7vsmem_tEENKUlT_SJ_SK_SL_E_clIPiSE_SF_SF_EESI_SY_SJ_SK_SL_EUlSY_E1_NS1_11comp_targetILNS1_3genE0ELNS1_11target_archE4294967295ELNS1_3gpuE0ELNS1_3repE0EEENS1_36merge_oddeven_config_static_selectorELNS0_4arch9wavefront6targetE0EEEvSK_,"axG",@progbits,_ZN7rocprim17ROCPRIM_400000_NS6detail17trampoline_kernelINS0_14default_configENS1_38merge_sort_block_merge_config_selectorIiNS0_10empty_typeEEEZZNS1_27merge_sort_block_merge_implIS3_N6thrust23THRUST_200600_302600_NS6detail15normal_iteratorINS9_10device_ptrIiEEEEPS5_m9comp_mod3IiEEE10hipError_tT0_T1_T2_jT3_P12ihipStream_tbPNSt15iterator_traitsISJ_E10value_typeEPNSP_ISK_E10value_typeEPSL_NS1_7vsmem_tEENKUlT_SJ_SK_SL_E_clIPiSE_SF_SF_EESI_SY_SJ_SK_SL_EUlSY_E1_NS1_11comp_targetILNS1_3genE0ELNS1_11target_archE4294967295ELNS1_3gpuE0ELNS1_3repE0EEENS1_36merge_oddeven_config_static_selectorELNS0_4arch9wavefront6targetE0EEEvSK_,comdat
	.protected	_ZN7rocprim17ROCPRIM_400000_NS6detail17trampoline_kernelINS0_14default_configENS1_38merge_sort_block_merge_config_selectorIiNS0_10empty_typeEEEZZNS1_27merge_sort_block_merge_implIS3_N6thrust23THRUST_200600_302600_NS6detail15normal_iteratorINS9_10device_ptrIiEEEEPS5_m9comp_mod3IiEEE10hipError_tT0_T1_T2_jT3_P12ihipStream_tbPNSt15iterator_traitsISJ_E10value_typeEPNSP_ISK_E10value_typeEPSL_NS1_7vsmem_tEENKUlT_SJ_SK_SL_E_clIPiSE_SF_SF_EESI_SY_SJ_SK_SL_EUlSY_E1_NS1_11comp_targetILNS1_3genE0ELNS1_11target_archE4294967295ELNS1_3gpuE0ELNS1_3repE0EEENS1_36merge_oddeven_config_static_selectorELNS0_4arch9wavefront6targetE0EEEvSK_ ; -- Begin function _ZN7rocprim17ROCPRIM_400000_NS6detail17trampoline_kernelINS0_14default_configENS1_38merge_sort_block_merge_config_selectorIiNS0_10empty_typeEEEZZNS1_27merge_sort_block_merge_implIS3_N6thrust23THRUST_200600_302600_NS6detail15normal_iteratorINS9_10device_ptrIiEEEEPS5_m9comp_mod3IiEEE10hipError_tT0_T1_T2_jT3_P12ihipStream_tbPNSt15iterator_traitsISJ_E10value_typeEPNSP_ISK_E10value_typeEPSL_NS1_7vsmem_tEENKUlT_SJ_SK_SL_E_clIPiSE_SF_SF_EESI_SY_SJ_SK_SL_EUlSY_E1_NS1_11comp_targetILNS1_3genE0ELNS1_11target_archE4294967295ELNS1_3gpuE0ELNS1_3repE0EEENS1_36merge_oddeven_config_static_selectorELNS0_4arch9wavefront6targetE0EEEvSK_
	.globl	_ZN7rocprim17ROCPRIM_400000_NS6detail17trampoline_kernelINS0_14default_configENS1_38merge_sort_block_merge_config_selectorIiNS0_10empty_typeEEEZZNS1_27merge_sort_block_merge_implIS3_N6thrust23THRUST_200600_302600_NS6detail15normal_iteratorINS9_10device_ptrIiEEEEPS5_m9comp_mod3IiEEE10hipError_tT0_T1_T2_jT3_P12ihipStream_tbPNSt15iterator_traitsISJ_E10value_typeEPNSP_ISK_E10value_typeEPSL_NS1_7vsmem_tEENKUlT_SJ_SK_SL_E_clIPiSE_SF_SF_EESI_SY_SJ_SK_SL_EUlSY_E1_NS1_11comp_targetILNS1_3genE0ELNS1_11target_archE4294967295ELNS1_3gpuE0ELNS1_3repE0EEENS1_36merge_oddeven_config_static_selectorELNS0_4arch9wavefront6targetE0EEEvSK_
	.p2align	8
	.type	_ZN7rocprim17ROCPRIM_400000_NS6detail17trampoline_kernelINS0_14default_configENS1_38merge_sort_block_merge_config_selectorIiNS0_10empty_typeEEEZZNS1_27merge_sort_block_merge_implIS3_N6thrust23THRUST_200600_302600_NS6detail15normal_iteratorINS9_10device_ptrIiEEEEPS5_m9comp_mod3IiEEE10hipError_tT0_T1_T2_jT3_P12ihipStream_tbPNSt15iterator_traitsISJ_E10value_typeEPNSP_ISK_E10value_typeEPSL_NS1_7vsmem_tEENKUlT_SJ_SK_SL_E_clIPiSE_SF_SF_EESI_SY_SJ_SK_SL_EUlSY_E1_NS1_11comp_targetILNS1_3genE0ELNS1_11target_archE4294967295ELNS1_3gpuE0ELNS1_3repE0EEENS1_36merge_oddeven_config_static_selectorELNS0_4arch9wavefront6targetE0EEEvSK_,@function
_ZN7rocprim17ROCPRIM_400000_NS6detail17trampoline_kernelINS0_14default_configENS1_38merge_sort_block_merge_config_selectorIiNS0_10empty_typeEEEZZNS1_27merge_sort_block_merge_implIS3_N6thrust23THRUST_200600_302600_NS6detail15normal_iteratorINS9_10device_ptrIiEEEEPS5_m9comp_mod3IiEEE10hipError_tT0_T1_T2_jT3_P12ihipStream_tbPNSt15iterator_traitsISJ_E10value_typeEPNSP_ISK_E10value_typeEPSL_NS1_7vsmem_tEENKUlT_SJ_SK_SL_E_clIPiSE_SF_SF_EESI_SY_SJ_SK_SL_EUlSY_E1_NS1_11comp_targetILNS1_3genE0ELNS1_11target_archE4294967295ELNS1_3gpuE0ELNS1_3repE0EEENS1_36merge_oddeven_config_static_selectorELNS0_4arch9wavefront6targetE0EEEvSK_: ; @_ZN7rocprim17ROCPRIM_400000_NS6detail17trampoline_kernelINS0_14default_configENS1_38merge_sort_block_merge_config_selectorIiNS0_10empty_typeEEEZZNS1_27merge_sort_block_merge_implIS3_N6thrust23THRUST_200600_302600_NS6detail15normal_iteratorINS9_10device_ptrIiEEEEPS5_m9comp_mod3IiEEE10hipError_tT0_T1_T2_jT3_P12ihipStream_tbPNSt15iterator_traitsISJ_E10value_typeEPNSP_ISK_E10value_typeEPSL_NS1_7vsmem_tEENKUlT_SJ_SK_SL_E_clIPiSE_SF_SF_EESI_SY_SJ_SK_SL_EUlSY_E1_NS1_11comp_targetILNS1_3genE0ELNS1_11target_archE4294967295ELNS1_3gpuE0ELNS1_3repE0EEENS1_36merge_oddeven_config_static_selectorELNS0_4arch9wavefront6targetE0EEEvSK_
; %bb.0:
	.section	.rodata,"a",@progbits
	.p2align	6, 0x0
	.amdhsa_kernel _ZN7rocprim17ROCPRIM_400000_NS6detail17trampoline_kernelINS0_14default_configENS1_38merge_sort_block_merge_config_selectorIiNS0_10empty_typeEEEZZNS1_27merge_sort_block_merge_implIS3_N6thrust23THRUST_200600_302600_NS6detail15normal_iteratorINS9_10device_ptrIiEEEEPS5_m9comp_mod3IiEEE10hipError_tT0_T1_T2_jT3_P12ihipStream_tbPNSt15iterator_traitsISJ_E10value_typeEPNSP_ISK_E10value_typeEPSL_NS1_7vsmem_tEENKUlT_SJ_SK_SL_E_clIPiSE_SF_SF_EESI_SY_SJ_SK_SL_EUlSY_E1_NS1_11comp_targetILNS1_3genE0ELNS1_11target_archE4294967295ELNS1_3gpuE0ELNS1_3repE0EEENS1_36merge_oddeven_config_static_selectorELNS0_4arch9wavefront6targetE0EEEvSK_
		.amdhsa_group_segment_fixed_size 0
		.amdhsa_private_segment_fixed_size 0
		.amdhsa_kernarg_size 56
		.amdhsa_user_sgpr_count 6
		.amdhsa_user_sgpr_private_segment_buffer 1
		.amdhsa_user_sgpr_dispatch_ptr 0
		.amdhsa_user_sgpr_queue_ptr 0
		.amdhsa_user_sgpr_kernarg_segment_ptr 1
		.amdhsa_user_sgpr_dispatch_id 0
		.amdhsa_user_sgpr_flat_scratch_init 0
		.amdhsa_user_sgpr_private_segment_size 0
		.amdhsa_wavefront_size32 1
		.amdhsa_uses_dynamic_stack 0
		.amdhsa_system_sgpr_private_segment_wavefront_offset 0
		.amdhsa_system_sgpr_workgroup_id_x 1
		.amdhsa_system_sgpr_workgroup_id_y 0
		.amdhsa_system_sgpr_workgroup_id_z 0
		.amdhsa_system_sgpr_workgroup_info 0
		.amdhsa_system_vgpr_workitem_id 0
		.amdhsa_next_free_vgpr 1
		.amdhsa_next_free_sgpr 1
		.amdhsa_reserve_vcc 0
		.amdhsa_reserve_flat_scratch 0
		.amdhsa_float_round_mode_32 0
		.amdhsa_float_round_mode_16_64 0
		.amdhsa_float_denorm_mode_32 3
		.amdhsa_float_denorm_mode_16_64 3
		.amdhsa_dx10_clamp 1
		.amdhsa_ieee_mode 1
		.amdhsa_fp16_overflow 0
		.amdhsa_workgroup_processor_mode 1
		.amdhsa_memory_ordered 1
		.amdhsa_forward_progress 1
		.amdhsa_shared_vgpr_count 0
		.amdhsa_exception_fp_ieee_invalid_op 0
		.amdhsa_exception_fp_denorm_src 0
		.amdhsa_exception_fp_ieee_div_zero 0
		.amdhsa_exception_fp_ieee_overflow 0
		.amdhsa_exception_fp_ieee_underflow 0
		.amdhsa_exception_fp_ieee_inexact 0
		.amdhsa_exception_int_div_zero 0
	.end_amdhsa_kernel
	.section	.text._ZN7rocprim17ROCPRIM_400000_NS6detail17trampoline_kernelINS0_14default_configENS1_38merge_sort_block_merge_config_selectorIiNS0_10empty_typeEEEZZNS1_27merge_sort_block_merge_implIS3_N6thrust23THRUST_200600_302600_NS6detail15normal_iteratorINS9_10device_ptrIiEEEEPS5_m9comp_mod3IiEEE10hipError_tT0_T1_T2_jT3_P12ihipStream_tbPNSt15iterator_traitsISJ_E10value_typeEPNSP_ISK_E10value_typeEPSL_NS1_7vsmem_tEENKUlT_SJ_SK_SL_E_clIPiSE_SF_SF_EESI_SY_SJ_SK_SL_EUlSY_E1_NS1_11comp_targetILNS1_3genE0ELNS1_11target_archE4294967295ELNS1_3gpuE0ELNS1_3repE0EEENS1_36merge_oddeven_config_static_selectorELNS0_4arch9wavefront6targetE0EEEvSK_,"axG",@progbits,_ZN7rocprim17ROCPRIM_400000_NS6detail17trampoline_kernelINS0_14default_configENS1_38merge_sort_block_merge_config_selectorIiNS0_10empty_typeEEEZZNS1_27merge_sort_block_merge_implIS3_N6thrust23THRUST_200600_302600_NS6detail15normal_iteratorINS9_10device_ptrIiEEEEPS5_m9comp_mod3IiEEE10hipError_tT0_T1_T2_jT3_P12ihipStream_tbPNSt15iterator_traitsISJ_E10value_typeEPNSP_ISK_E10value_typeEPSL_NS1_7vsmem_tEENKUlT_SJ_SK_SL_E_clIPiSE_SF_SF_EESI_SY_SJ_SK_SL_EUlSY_E1_NS1_11comp_targetILNS1_3genE0ELNS1_11target_archE4294967295ELNS1_3gpuE0ELNS1_3repE0EEENS1_36merge_oddeven_config_static_selectorELNS0_4arch9wavefront6targetE0EEEvSK_,comdat
.Lfunc_end1004:
	.size	_ZN7rocprim17ROCPRIM_400000_NS6detail17trampoline_kernelINS0_14default_configENS1_38merge_sort_block_merge_config_selectorIiNS0_10empty_typeEEEZZNS1_27merge_sort_block_merge_implIS3_N6thrust23THRUST_200600_302600_NS6detail15normal_iteratorINS9_10device_ptrIiEEEEPS5_m9comp_mod3IiEEE10hipError_tT0_T1_T2_jT3_P12ihipStream_tbPNSt15iterator_traitsISJ_E10value_typeEPNSP_ISK_E10value_typeEPSL_NS1_7vsmem_tEENKUlT_SJ_SK_SL_E_clIPiSE_SF_SF_EESI_SY_SJ_SK_SL_EUlSY_E1_NS1_11comp_targetILNS1_3genE0ELNS1_11target_archE4294967295ELNS1_3gpuE0ELNS1_3repE0EEENS1_36merge_oddeven_config_static_selectorELNS0_4arch9wavefront6targetE0EEEvSK_, .Lfunc_end1004-_ZN7rocprim17ROCPRIM_400000_NS6detail17trampoline_kernelINS0_14default_configENS1_38merge_sort_block_merge_config_selectorIiNS0_10empty_typeEEEZZNS1_27merge_sort_block_merge_implIS3_N6thrust23THRUST_200600_302600_NS6detail15normal_iteratorINS9_10device_ptrIiEEEEPS5_m9comp_mod3IiEEE10hipError_tT0_T1_T2_jT3_P12ihipStream_tbPNSt15iterator_traitsISJ_E10value_typeEPNSP_ISK_E10value_typeEPSL_NS1_7vsmem_tEENKUlT_SJ_SK_SL_E_clIPiSE_SF_SF_EESI_SY_SJ_SK_SL_EUlSY_E1_NS1_11comp_targetILNS1_3genE0ELNS1_11target_archE4294967295ELNS1_3gpuE0ELNS1_3repE0EEENS1_36merge_oddeven_config_static_selectorELNS0_4arch9wavefront6targetE0EEEvSK_
                                        ; -- End function
	.set _ZN7rocprim17ROCPRIM_400000_NS6detail17trampoline_kernelINS0_14default_configENS1_38merge_sort_block_merge_config_selectorIiNS0_10empty_typeEEEZZNS1_27merge_sort_block_merge_implIS3_N6thrust23THRUST_200600_302600_NS6detail15normal_iteratorINS9_10device_ptrIiEEEEPS5_m9comp_mod3IiEEE10hipError_tT0_T1_T2_jT3_P12ihipStream_tbPNSt15iterator_traitsISJ_E10value_typeEPNSP_ISK_E10value_typeEPSL_NS1_7vsmem_tEENKUlT_SJ_SK_SL_E_clIPiSE_SF_SF_EESI_SY_SJ_SK_SL_EUlSY_E1_NS1_11comp_targetILNS1_3genE0ELNS1_11target_archE4294967295ELNS1_3gpuE0ELNS1_3repE0EEENS1_36merge_oddeven_config_static_selectorELNS0_4arch9wavefront6targetE0EEEvSK_.num_vgpr, 0
	.set _ZN7rocprim17ROCPRIM_400000_NS6detail17trampoline_kernelINS0_14default_configENS1_38merge_sort_block_merge_config_selectorIiNS0_10empty_typeEEEZZNS1_27merge_sort_block_merge_implIS3_N6thrust23THRUST_200600_302600_NS6detail15normal_iteratorINS9_10device_ptrIiEEEEPS5_m9comp_mod3IiEEE10hipError_tT0_T1_T2_jT3_P12ihipStream_tbPNSt15iterator_traitsISJ_E10value_typeEPNSP_ISK_E10value_typeEPSL_NS1_7vsmem_tEENKUlT_SJ_SK_SL_E_clIPiSE_SF_SF_EESI_SY_SJ_SK_SL_EUlSY_E1_NS1_11comp_targetILNS1_3genE0ELNS1_11target_archE4294967295ELNS1_3gpuE0ELNS1_3repE0EEENS1_36merge_oddeven_config_static_selectorELNS0_4arch9wavefront6targetE0EEEvSK_.num_agpr, 0
	.set _ZN7rocprim17ROCPRIM_400000_NS6detail17trampoline_kernelINS0_14default_configENS1_38merge_sort_block_merge_config_selectorIiNS0_10empty_typeEEEZZNS1_27merge_sort_block_merge_implIS3_N6thrust23THRUST_200600_302600_NS6detail15normal_iteratorINS9_10device_ptrIiEEEEPS5_m9comp_mod3IiEEE10hipError_tT0_T1_T2_jT3_P12ihipStream_tbPNSt15iterator_traitsISJ_E10value_typeEPNSP_ISK_E10value_typeEPSL_NS1_7vsmem_tEENKUlT_SJ_SK_SL_E_clIPiSE_SF_SF_EESI_SY_SJ_SK_SL_EUlSY_E1_NS1_11comp_targetILNS1_3genE0ELNS1_11target_archE4294967295ELNS1_3gpuE0ELNS1_3repE0EEENS1_36merge_oddeven_config_static_selectorELNS0_4arch9wavefront6targetE0EEEvSK_.numbered_sgpr, 0
	.set _ZN7rocprim17ROCPRIM_400000_NS6detail17trampoline_kernelINS0_14default_configENS1_38merge_sort_block_merge_config_selectorIiNS0_10empty_typeEEEZZNS1_27merge_sort_block_merge_implIS3_N6thrust23THRUST_200600_302600_NS6detail15normal_iteratorINS9_10device_ptrIiEEEEPS5_m9comp_mod3IiEEE10hipError_tT0_T1_T2_jT3_P12ihipStream_tbPNSt15iterator_traitsISJ_E10value_typeEPNSP_ISK_E10value_typeEPSL_NS1_7vsmem_tEENKUlT_SJ_SK_SL_E_clIPiSE_SF_SF_EESI_SY_SJ_SK_SL_EUlSY_E1_NS1_11comp_targetILNS1_3genE0ELNS1_11target_archE4294967295ELNS1_3gpuE0ELNS1_3repE0EEENS1_36merge_oddeven_config_static_selectorELNS0_4arch9wavefront6targetE0EEEvSK_.num_named_barrier, 0
	.set _ZN7rocprim17ROCPRIM_400000_NS6detail17trampoline_kernelINS0_14default_configENS1_38merge_sort_block_merge_config_selectorIiNS0_10empty_typeEEEZZNS1_27merge_sort_block_merge_implIS3_N6thrust23THRUST_200600_302600_NS6detail15normal_iteratorINS9_10device_ptrIiEEEEPS5_m9comp_mod3IiEEE10hipError_tT0_T1_T2_jT3_P12ihipStream_tbPNSt15iterator_traitsISJ_E10value_typeEPNSP_ISK_E10value_typeEPSL_NS1_7vsmem_tEENKUlT_SJ_SK_SL_E_clIPiSE_SF_SF_EESI_SY_SJ_SK_SL_EUlSY_E1_NS1_11comp_targetILNS1_3genE0ELNS1_11target_archE4294967295ELNS1_3gpuE0ELNS1_3repE0EEENS1_36merge_oddeven_config_static_selectorELNS0_4arch9wavefront6targetE0EEEvSK_.private_seg_size, 0
	.set _ZN7rocprim17ROCPRIM_400000_NS6detail17trampoline_kernelINS0_14default_configENS1_38merge_sort_block_merge_config_selectorIiNS0_10empty_typeEEEZZNS1_27merge_sort_block_merge_implIS3_N6thrust23THRUST_200600_302600_NS6detail15normal_iteratorINS9_10device_ptrIiEEEEPS5_m9comp_mod3IiEEE10hipError_tT0_T1_T2_jT3_P12ihipStream_tbPNSt15iterator_traitsISJ_E10value_typeEPNSP_ISK_E10value_typeEPSL_NS1_7vsmem_tEENKUlT_SJ_SK_SL_E_clIPiSE_SF_SF_EESI_SY_SJ_SK_SL_EUlSY_E1_NS1_11comp_targetILNS1_3genE0ELNS1_11target_archE4294967295ELNS1_3gpuE0ELNS1_3repE0EEENS1_36merge_oddeven_config_static_selectorELNS0_4arch9wavefront6targetE0EEEvSK_.uses_vcc, 0
	.set _ZN7rocprim17ROCPRIM_400000_NS6detail17trampoline_kernelINS0_14default_configENS1_38merge_sort_block_merge_config_selectorIiNS0_10empty_typeEEEZZNS1_27merge_sort_block_merge_implIS3_N6thrust23THRUST_200600_302600_NS6detail15normal_iteratorINS9_10device_ptrIiEEEEPS5_m9comp_mod3IiEEE10hipError_tT0_T1_T2_jT3_P12ihipStream_tbPNSt15iterator_traitsISJ_E10value_typeEPNSP_ISK_E10value_typeEPSL_NS1_7vsmem_tEENKUlT_SJ_SK_SL_E_clIPiSE_SF_SF_EESI_SY_SJ_SK_SL_EUlSY_E1_NS1_11comp_targetILNS1_3genE0ELNS1_11target_archE4294967295ELNS1_3gpuE0ELNS1_3repE0EEENS1_36merge_oddeven_config_static_selectorELNS0_4arch9wavefront6targetE0EEEvSK_.uses_flat_scratch, 0
	.set _ZN7rocprim17ROCPRIM_400000_NS6detail17trampoline_kernelINS0_14default_configENS1_38merge_sort_block_merge_config_selectorIiNS0_10empty_typeEEEZZNS1_27merge_sort_block_merge_implIS3_N6thrust23THRUST_200600_302600_NS6detail15normal_iteratorINS9_10device_ptrIiEEEEPS5_m9comp_mod3IiEEE10hipError_tT0_T1_T2_jT3_P12ihipStream_tbPNSt15iterator_traitsISJ_E10value_typeEPNSP_ISK_E10value_typeEPSL_NS1_7vsmem_tEENKUlT_SJ_SK_SL_E_clIPiSE_SF_SF_EESI_SY_SJ_SK_SL_EUlSY_E1_NS1_11comp_targetILNS1_3genE0ELNS1_11target_archE4294967295ELNS1_3gpuE0ELNS1_3repE0EEENS1_36merge_oddeven_config_static_selectorELNS0_4arch9wavefront6targetE0EEEvSK_.has_dyn_sized_stack, 0
	.set _ZN7rocprim17ROCPRIM_400000_NS6detail17trampoline_kernelINS0_14default_configENS1_38merge_sort_block_merge_config_selectorIiNS0_10empty_typeEEEZZNS1_27merge_sort_block_merge_implIS3_N6thrust23THRUST_200600_302600_NS6detail15normal_iteratorINS9_10device_ptrIiEEEEPS5_m9comp_mod3IiEEE10hipError_tT0_T1_T2_jT3_P12ihipStream_tbPNSt15iterator_traitsISJ_E10value_typeEPNSP_ISK_E10value_typeEPSL_NS1_7vsmem_tEENKUlT_SJ_SK_SL_E_clIPiSE_SF_SF_EESI_SY_SJ_SK_SL_EUlSY_E1_NS1_11comp_targetILNS1_3genE0ELNS1_11target_archE4294967295ELNS1_3gpuE0ELNS1_3repE0EEENS1_36merge_oddeven_config_static_selectorELNS0_4arch9wavefront6targetE0EEEvSK_.has_recursion, 0
	.set _ZN7rocprim17ROCPRIM_400000_NS6detail17trampoline_kernelINS0_14default_configENS1_38merge_sort_block_merge_config_selectorIiNS0_10empty_typeEEEZZNS1_27merge_sort_block_merge_implIS3_N6thrust23THRUST_200600_302600_NS6detail15normal_iteratorINS9_10device_ptrIiEEEEPS5_m9comp_mod3IiEEE10hipError_tT0_T1_T2_jT3_P12ihipStream_tbPNSt15iterator_traitsISJ_E10value_typeEPNSP_ISK_E10value_typeEPSL_NS1_7vsmem_tEENKUlT_SJ_SK_SL_E_clIPiSE_SF_SF_EESI_SY_SJ_SK_SL_EUlSY_E1_NS1_11comp_targetILNS1_3genE0ELNS1_11target_archE4294967295ELNS1_3gpuE0ELNS1_3repE0EEENS1_36merge_oddeven_config_static_selectorELNS0_4arch9wavefront6targetE0EEEvSK_.has_indirect_call, 0
	.section	.AMDGPU.csdata,"",@progbits
; Kernel info:
; codeLenInByte = 0
; TotalNumSgprs: 0
; NumVgprs: 0
; ScratchSize: 0
; MemoryBound: 0
; FloatMode: 240
; IeeeMode: 1
; LDSByteSize: 0 bytes/workgroup (compile time only)
; SGPRBlocks: 0
; VGPRBlocks: 0
; NumSGPRsForWavesPerEU: 1
; NumVGPRsForWavesPerEU: 1
; Occupancy: 16
; WaveLimiterHint : 0
; COMPUTE_PGM_RSRC2:SCRATCH_EN: 0
; COMPUTE_PGM_RSRC2:USER_SGPR: 6
; COMPUTE_PGM_RSRC2:TRAP_HANDLER: 0
; COMPUTE_PGM_RSRC2:TGID_X_EN: 1
; COMPUTE_PGM_RSRC2:TGID_Y_EN: 0
; COMPUTE_PGM_RSRC2:TGID_Z_EN: 0
; COMPUTE_PGM_RSRC2:TIDIG_COMP_CNT: 0
	.section	.text._ZN7rocprim17ROCPRIM_400000_NS6detail17trampoline_kernelINS0_14default_configENS1_38merge_sort_block_merge_config_selectorIiNS0_10empty_typeEEEZZNS1_27merge_sort_block_merge_implIS3_N6thrust23THRUST_200600_302600_NS6detail15normal_iteratorINS9_10device_ptrIiEEEEPS5_m9comp_mod3IiEEE10hipError_tT0_T1_T2_jT3_P12ihipStream_tbPNSt15iterator_traitsISJ_E10value_typeEPNSP_ISK_E10value_typeEPSL_NS1_7vsmem_tEENKUlT_SJ_SK_SL_E_clIPiSE_SF_SF_EESI_SY_SJ_SK_SL_EUlSY_E1_NS1_11comp_targetILNS1_3genE10ELNS1_11target_archE1201ELNS1_3gpuE5ELNS1_3repE0EEENS1_36merge_oddeven_config_static_selectorELNS0_4arch9wavefront6targetE0EEEvSK_,"axG",@progbits,_ZN7rocprim17ROCPRIM_400000_NS6detail17trampoline_kernelINS0_14default_configENS1_38merge_sort_block_merge_config_selectorIiNS0_10empty_typeEEEZZNS1_27merge_sort_block_merge_implIS3_N6thrust23THRUST_200600_302600_NS6detail15normal_iteratorINS9_10device_ptrIiEEEEPS5_m9comp_mod3IiEEE10hipError_tT0_T1_T2_jT3_P12ihipStream_tbPNSt15iterator_traitsISJ_E10value_typeEPNSP_ISK_E10value_typeEPSL_NS1_7vsmem_tEENKUlT_SJ_SK_SL_E_clIPiSE_SF_SF_EESI_SY_SJ_SK_SL_EUlSY_E1_NS1_11comp_targetILNS1_3genE10ELNS1_11target_archE1201ELNS1_3gpuE5ELNS1_3repE0EEENS1_36merge_oddeven_config_static_selectorELNS0_4arch9wavefront6targetE0EEEvSK_,comdat
	.protected	_ZN7rocprim17ROCPRIM_400000_NS6detail17trampoline_kernelINS0_14default_configENS1_38merge_sort_block_merge_config_selectorIiNS0_10empty_typeEEEZZNS1_27merge_sort_block_merge_implIS3_N6thrust23THRUST_200600_302600_NS6detail15normal_iteratorINS9_10device_ptrIiEEEEPS5_m9comp_mod3IiEEE10hipError_tT0_T1_T2_jT3_P12ihipStream_tbPNSt15iterator_traitsISJ_E10value_typeEPNSP_ISK_E10value_typeEPSL_NS1_7vsmem_tEENKUlT_SJ_SK_SL_E_clIPiSE_SF_SF_EESI_SY_SJ_SK_SL_EUlSY_E1_NS1_11comp_targetILNS1_3genE10ELNS1_11target_archE1201ELNS1_3gpuE5ELNS1_3repE0EEENS1_36merge_oddeven_config_static_selectorELNS0_4arch9wavefront6targetE0EEEvSK_ ; -- Begin function _ZN7rocprim17ROCPRIM_400000_NS6detail17trampoline_kernelINS0_14default_configENS1_38merge_sort_block_merge_config_selectorIiNS0_10empty_typeEEEZZNS1_27merge_sort_block_merge_implIS3_N6thrust23THRUST_200600_302600_NS6detail15normal_iteratorINS9_10device_ptrIiEEEEPS5_m9comp_mod3IiEEE10hipError_tT0_T1_T2_jT3_P12ihipStream_tbPNSt15iterator_traitsISJ_E10value_typeEPNSP_ISK_E10value_typeEPSL_NS1_7vsmem_tEENKUlT_SJ_SK_SL_E_clIPiSE_SF_SF_EESI_SY_SJ_SK_SL_EUlSY_E1_NS1_11comp_targetILNS1_3genE10ELNS1_11target_archE1201ELNS1_3gpuE5ELNS1_3repE0EEENS1_36merge_oddeven_config_static_selectorELNS0_4arch9wavefront6targetE0EEEvSK_
	.globl	_ZN7rocprim17ROCPRIM_400000_NS6detail17trampoline_kernelINS0_14default_configENS1_38merge_sort_block_merge_config_selectorIiNS0_10empty_typeEEEZZNS1_27merge_sort_block_merge_implIS3_N6thrust23THRUST_200600_302600_NS6detail15normal_iteratorINS9_10device_ptrIiEEEEPS5_m9comp_mod3IiEEE10hipError_tT0_T1_T2_jT3_P12ihipStream_tbPNSt15iterator_traitsISJ_E10value_typeEPNSP_ISK_E10value_typeEPSL_NS1_7vsmem_tEENKUlT_SJ_SK_SL_E_clIPiSE_SF_SF_EESI_SY_SJ_SK_SL_EUlSY_E1_NS1_11comp_targetILNS1_3genE10ELNS1_11target_archE1201ELNS1_3gpuE5ELNS1_3repE0EEENS1_36merge_oddeven_config_static_selectorELNS0_4arch9wavefront6targetE0EEEvSK_
	.p2align	8
	.type	_ZN7rocprim17ROCPRIM_400000_NS6detail17trampoline_kernelINS0_14default_configENS1_38merge_sort_block_merge_config_selectorIiNS0_10empty_typeEEEZZNS1_27merge_sort_block_merge_implIS3_N6thrust23THRUST_200600_302600_NS6detail15normal_iteratorINS9_10device_ptrIiEEEEPS5_m9comp_mod3IiEEE10hipError_tT0_T1_T2_jT3_P12ihipStream_tbPNSt15iterator_traitsISJ_E10value_typeEPNSP_ISK_E10value_typeEPSL_NS1_7vsmem_tEENKUlT_SJ_SK_SL_E_clIPiSE_SF_SF_EESI_SY_SJ_SK_SL_EUlSY_E1_NS1_11comp_targetILNS1_3genE10ELNS1_11target_archE1201ELNS1_3gpuE5ELNS1_3repE0EEENS1_36merge_oddeven_config_static_selectorELNS0_4arch9wavefront6targetE0EEEvSK_,@function
_ZN7rocprim17ROCPRIM_400000_NS6detail17trampoline_kernelINS0_14default_configENS1_38merge_sort_block_merge_config_selectorIiNS0_10empty_typeEEEZZNS1_27merge_sort_block_merge_implIS3_N6thrust23THRUST_200600_302600_NS6detail15normal_iteratorINS9_10device_ptrIiEEEEPS5_m9comp_mod3IiEEE10hipError_tT0_T1_T2_jT3_P12ihipStream_tbPNSt15iterator_traitsISJ_E10value_typeEPNSP_ISK_E10value_typeEPSL_NS1_7vsmem_tEENKUlT_SJ_SK_SL_E_clIPiSE_SF_SF_EESI_SY_SJ_SK_SL_EUlSY_E1_NS1_11comp_targetILNS1_3genE10ELNS1_11target_archE1201ELNS1_3gpuE5ELNS1_3repE0EEENS1_36merge_oddeven_config_static_selectorELNS0_4arch9wavefront6targetE0EEEvSK_: ; @_ZN7rocprim17ROCPRIM_400000_NS6detail17trampoline_kernelINS0_14default_configENS1_38merge_sort_block_merge_config_selectorIiNS0_10empty_typeEEEZZNS1_27merge_sort_block_merge_implIS3_N6thrust23THRUST_200600_302600_NS6detail15normal_iteratorINS9_10device_ptrIiEEEEPS5_m9comp_mod3IiEEE10hipError_tT0_T1_T2_jT3_P12ihipStream_tbPNSt15iterator_traitsISJ_E10value_typeEPNSP_ISK_E10value_typeEPSL_NS1_7vsmem_tEENKUlT_SJ_SK_SL_E_clIPiSE_SF_SF_EESI_SY_SJ_SK_SL_EUlSY_E1_NS1_11comp_targetILNS1_3genE10ELNS1_11target_archE1201ELNS1_3gpuE5ELNS1_3repE0EEENS1_36merge_oddeven_config_static_selectorELNS0_4arch9wavefront6targetE0EEEvSK_
; %bb.0:
	.section	.rodata,"a",@progbits
	.p2align	6, 0x0
	.amdhsa_kernel _ZN7rocprim17ROCPRIM_400000_NS6detail17trampoline_kernelINS0_14default_configENS1_38merge_sort_block_merge_config_selectorIiNS0_10empty_typeEEEZZNS1_27merge_sort_block_merge_implIS3_N6thrust23THRUST_200600_302600_NS6detail15normal_iteratorINS9_10device_ptrIiEEEEPS5_m9comp_mod3IiEEE10hipError_tT0_T1_T2_jT3_P12ihipStream_tbPNSt15iterator_traitsISJ_E10value_typeEPNSP_ISK_E10value_typeEPSL_NS1_7vsmem_tEENKUlT_SJ_SK_SL_E_clIPiSE_SF_SF_EESI_SY_SJ_SK_SL_EUlSY_E1_NS1_11comp_targetILNS1_3genE10ELNS1_11target_archE1201ELNS1_3gpuE5ELNS1_3repE0EEENS1_36merge_oddeven_config_static_selectorELNS0_4arch9wavefront6targetE0EEEvSK_
		.amdhsa_group_segment_fixed_size 0
		.amdhsa_private_segment_fixed_size 0
		.amdhsa_kernarg_size 56
		.amdhsa_user_sgpr_count 6
		.amdhsa_user_sgpr_private_segment_buffer 1
		.amdhsa_user_sgpr_dispatch_ptr 0
		.amdhsa_user_sgpr_queue_ptr 0
		.amdhsa_user_sgpr_kernarg_segment_ptr 1
		.amdhsa_user_sgpr_dispatch_id 0
		.amdhsa_user_sgpr_flat_scratch_init 0
		.amdhsa_user_sgpr_private_segment_size 0
		.amdhsa_wavefront_size32 1
		.amdhsa_uses_dynamic_stack 0
		.amdhsa_system_sgpr_private_segment_wavefront_offset 0
		.amdhsa_system_sgpr_workgroup_id_x 1
		.amdhsa_system_sgpr_workgroup_id_y 0
		.amdhsa_system_sgpr_workgroup_id_z 0
		.amdhsa_system_sgpr_workgroup_info 0
		.amdhsa_system_vgpr_workitem_id 0
		.amdhsa_next_free_vgpr 1
		.amdhsa_next_free_sgpr 1
		.amdhsa_reserve_vcc 0
		.amdhsa_reserve_flat_scratch 0
		.amdhsa_float_round_mode_32 0
		.amdhsa_float_round_mode_16_64 0
		.amdhsa_float_denorm_mode_32 3
		.amdhsa_float_denorm_mode_16_64 3
		.amdhsa_dx10_clamp 1
		.amdhsa_ieee_mode 1
		.amdhsa_fp16_overflow 0
		.amdhsa_workgroup_processor_mode 1
		.amdhsa_memory_ordered 1
		.amdhsa_forward_progress 1
		.amdhsa_shared_vgpr_count 0
		.amdhsa_exception_fp_ieee_invalid_op 0
		.amdhsa_exception_fp_denorm_src 0
		.amdhsa_exception_fp_ieee_div_zero 0
		.amdhsa_exception_fp_ieee_overflow 0
		.amdhsa_exception_fp_ieee_underflow 0
		.amdhsa_exception_fp_ieee_inexact 0
		.amdhsa_exception_int_div_zero 0
	.end_amdhsa_kernel
	.section	.text._ZN7rocprim17ROCPRIM_400000_NS6detail17trampoline_kernelINS0_14default_configENS1_38merge_sort_block_merge_config_selectorIiNS0_10empty_typeEEEZZNS1_27merge_sort_block_merge_implIS3_N6thrust23THRUST_200600_302600_NS6detail15normal_iteratorINS9_10device_ptrIiEEEEPS5_m9comp_mod3IiEEE10hipError_tT0_T1_T2_jT3_P12ihipStream_tbPNSt15iterator_traitsISJ_E10value_typeEPNSP_ISK_E10value_typeEPSL_NS1_7vsmem_tEENKUlT_SJ_SK_SL_E_clIPiSE_SF_SF_EESI_SY_SJ_SK_SL_EUlSY_E1_NS1_11comp_targetILNS1_3genE10ELNS1_11target_archE1201ELNS1_3gpuE5ELNS1_3repE0EEENS1_36merge_oddeven_config_static_selectorELNS0_4arch9wavefront6targetE0EEEvSK_,"axG",@progbits,_ZN7rocprim17ROCPRIM_400000_NS6detail17trampoline_kernelINS0_14default_configENS1_38merge_sort_block_merge_config_selectorIiNS0_10empty_typeEEEZZNS1_27merge_sort_block_merge_implIS3_N6thrust23THRUST_200600_302600_NS6detail15normal_iteratorINS9_10device_ptrIiEEEEPS5_m9comp_mod3IiEEE10hipError_tT0_T1_T2_jT3_P12ihipStream_tbPNSt15iterator_traitsISJ_E10value_typeEPNSP_ISK_E10value_typeEPSL_NS1_7vsmem_tEENKUlT_SJ_SK_SL_E_clIPiSE_SF_SF_EESI_SY_SJ_SK_SL_EUlSY_E1_NS1_11comp_targetILNS1_3genE10ELNS1_11target_archE1201ELNS1_3gpuE5ELNS1_3repE0EEENS1_36merge_oddeven_config_static_selectorELNS0_4arch9wavefront6targetE0EEEvSK_,comdat
.Lfunc_end1005:
	.size	_ZN7rocprim17ROCPRIM_400000_NS6detail17trampoline_kernelINS0_14default_configENS1_38merge_sort_block_merge_config_selectorIiNS0_10empty_typeEEEZZNS1_27merge_sort_block_merge_implIS3_N6thrust23THRUST_200600_302600_NS6detail15normal_iteratorINS9_10device_ptrIiEEEEPS5_m9comp_mod3IiEEE10hipError_tT0_T1_T2_jT3_P12ihipStream_tbPNSt15iterator_traitsISJ_E10value_typeEPNSP_ISK_E10value_typeEPSL_NS1_7vsmem_tEENKUlT_SJ_SK_SL_E_clIPiSE_SF_SF_EESI_SY_SJ_SK_SL_EUlSY_E1_NS1_11comp_targetILNS1_3genE10ELNS1_11target_archE1201ELNS1_3gpuE5ELNS1_3repE0EEENS1_36merge_oddeven_config_static_selectorELNS0_4arch9wavefront6targetE0EEEvSK_, .Lfunc_end1005-_ZN7rocprim17ROCPRIM_400000_NS6detail17trampoline_kernelINS0_14default_configENS1_38merge_sort_block_merge_config_selectorIiNS0_10empty_typeEEEZZNS1_27merge_sort_block_merge_implIS3_N6thrust23THRUST_200600_302600_NS6detail15normal_iteratorINS9_10device_ptrIiEEEEPS5_m9comp_mod3IiEEE10hipError_tT0_T1_T2_jT3_P12ihipStream_tbPNSt15iterator_traitsISJ_E10value_typeEPNSP_ISK_E10value_typeEPSL_NS1_7vsmem_tEENKUlT_SJ_SK_SL_E_clIPiSE_SF_SF_EESI_SY_SJ_SK_SL_EUlSY_E1_NS1_11comp_targetILNS1_3genE10ELNS1_11target_archE1201ELNS1_3gpuE5ELNS1_3repE0EEENS1_36merge_oddeven_config_static_selectorELNS0_4arch9wavefront6targetE0EEEvSK_
                                        ; -- End function
	.set _ZN7rocprim17ROCPRIM_400000_NS6detail17trampoline_kernelINS0_14default_configENS1_38merge_sort_block_merge_config_selectorIiNS0_10empty_typeEEEZZNS1_27merge_sort_block_merge_implIS3_N6thrust23THRUST_200600_302600_NS6detail15normal_iteratorINS9_10device_ptrIiEEEEPS5_m9comp_mod3IiEEE10hipError_tT0_T1_T2_jT3_P12ihipStream_tbPNSt15iterator_traitsISJ_E10value_typeEPNSP_ISK_E10value_typeEPSL_NS1_7vsmem_tEENKUlT_SJ_SK_SL_E_clIPiSE_SF_SF_EESI_SY_SJ_SK_SL_EUlSY_E1_NS1_11comp_targetILNS1_3genE10ELNS1_11target_archE1201ELNS1_3gpuE5ELNS1_3repE0EEENS1_36merge_oddeven_config_static_selectorELNS0_4arch9wavefront6targetE0EEEvSK_.num_vgpr, 0
	.set _ZN7rocprim17ROCPRIM_400000_NS6detail17trampoline_kernelINS0_14default_configENS1_38merge_sort_block_merge_config_selectorIiNS0_10empty_typeEEEZZNS1_27merge_sort_block_merge_implIS3_N6thrust23THRUST_200600_302600_NS6detail15normal_iteratorINS9_10device_ptrIiEEEEPS5_m9comp_mod3IiEEE10hipError_tT0_T1_T2_jT3_P12ihipStream_tbPNSt15iterator_traitsISJ_E10value_typeEPNSP_ISK_E10value_typeEPSL_NS1_7vsmem_tEENKUlT_SJ_SK_SL_E_clIPiSE_SF_SF_EESI_SY_SJ_SK_SL_EUlSY_E1_NS1_11comp_targetILNS1_3genE10ELNS1_11target_archE1201ELNS1_3gpuE5ELNS1_3repE0EEENS1_36merge_oddeven_config_static_selectorELNS0_4arch9wavefront6targetE0EEEvSK_.num_agpr, 0
	.set _ZN7rocprim17ROCPRIM_400000_NS6detail17trampoline_kernelINS0_14default_configENS1_38merge_sort_block_merge_config_selectorIiNS0_10empty_typeEEEZZNS1_27merge_sort_block_merge_implIS3_N6thrust23THRUST_200600_302600_NS6detail15normal_iteratorINS9_10device_ptrIiEEEEPS5_m9comp_mod3IiEEE10hipError_tT0_T1_T2_jT3_P12ihipStream_tbPNSt15iterator_traitsISJ_E10value_typeEPNSP_ISK_E10value_typeEPSL_NS1_7vsmem_tEENKUlT_SJ_SK_SL_E_clIPiSE_SF_SF_EESI_SY_SJ_SK_SL_EUlSY_E1_NS1_11comp_targetILNS1_3genE10ELNS1_11target_archE1201ELNS1_3gpuE5ELNS1_3repE0EEENS1_36merge_oddeven_config_static_selectorELNS0_4arch9wavefront6targetE0EEEvSK_.numbered_sgpr, 0
	.set _ZN7rocprim17ROCPRIM_400000_NS6detail17trampoline_kernelINS0_14default_configENS1_38merge_sort_block_merge_config_selectorIiNS0_10empty_typeEEEZZNS1_27merge_sort_block_merge_implIS3_N6thrust23THRUST_200600_302600_NS6detail15normal_iteratorINS9_10device_ptrIiEEEEPS5_m9comp_mod3IiEEE10hipError_tT0_T1_T2_jT3_P12ihipStream_tbPNSt15iterator_traitsISJ_E10value_typeEPNSP_ISK_E10value_typeEPSL_NS1_7vsmem_tEENKUlT_SJ_SK_SL_E_clIPiSE_SF_SF_EESI_SY_SJ_SK_SL_EUlSY_E1_NS1_11comp_targetILNS1_3genE10ELNS1_11target_archE1201ELNS1_3gpuE5ELNS1_3repE0EEENS1_36merge_oddeven_config_static_selectorELNS0_4arch9wavefront6targetE0EEEvSK_.num_named_barrier, 0
	.set _ZN7rocprim17ROCPRIM_400000_NS6detail17trampoline_kernelINS0_14default_configENS1_38merge_sort_block_merge_config_selectorIiNS0_10empty_typeEEEZZNS1_27merge_sort_block_merge_implIS3_N6thrust23THRUST_200600_302600_NS6detail15normal_iteratorINS9_10device_ptrIiEEEEPS5_m9comp_mod3IiEEE10hipError_tT0_T1_T2_jT3_P12ihipStream_tbPNSt15iterator_traitsISJ_E10value_typeEPNSP_ISK_E10value_typeEPSL_NS1_7vsmem_tEENKUlT_SJ_SK_SL_E_clIPiSE_SF_SF_EESI_SY_SJ_SK_SL_EUlSY_E1_NS1_11comp_targetILNS1_3genE10ELNS1_11target_archE1201ELNS1_3gpuE5ELNS1_3repE0EEENS1_36merge_oddeven_config_static_selectorELNS0_4arch9wavefront6targetE0EEEvSK_.private_seg_size, 0
	.set _ZN7rocprim17ROCPRIM_400000_NS6detail17trampoline_kernelINS0_14default_configENS1_38merge_sort_block_merge_config_selectorIiNS0_10empty_typeEEEZZNS1_27merge_sort_block_merge_implIS3_N6thrust23THRUST_200600_302600_NS6detail15normal_iteratorINS9_10device_ptrIiEEEEPS5_m9comp_mod3IiEEE10hipError_tT0_T1_T2_jT3_P12ihipStream_tbPNSt15iterator_traitsISJ_E10value_typeEPNSP_ISK_E10value_typeEPSL_NS1_7vsmem_tEENKUlT_SJ_SK_SL_E_clIPiSE_SF_SF_EESI_SY_SJ_SK_SL_EUlSY_E1_NS1_11comp_targetILNS1_3genE10ELNS1_11target_archE1201ELNS1_3gpuE5ELNS1_3repE0EEENS1_36merge_oddeven_config_static_selectorELNS0_4arch9wavefront6targetE0EEEvSK_.uses_vcc, 0
	.set _ZN7rocprim17ROCPRIM_400000_NS6detail17trampoline_kernelINS0_14default_configENS1_38merge_sort_block_merge_config_selectorIiNS0_10empty_typeEEEZZNS1_27merge_sort_block_merge_implIS3_N6thrust23THRUST_200600_302600_NS6detail15normal_iteratorINS9_10device_ptrIiEEEEPS5_m9comp_mod3IiEEE10hipError_tT0_T1_T2_jT3_P12ihipStream_tbPNSt15iterator_traitsISJ_E10value_typeEPNSP_ISK_E10value_typeEPSL_NS1_7vsmem_tEENKUlT_SJ_SK_SL_E_clIPiSE_SF_SF_EESI_SY_SJ_SK_SL_EUlSY_E1_NS1_11comp_targetILNS1_3genE10ELNS1_11target_archE1201ELNS1_3gpuE5ELNS1_3repE0EEENS1_36merge_oddeven_config_static_selectorELNS0_4arch9wavefront6targetE0EEEvSK_.uses_flat_scratch, 0
	.set _ZN7rocprim17ROCPRIM_400000_NS6detail17trampoline_kernelINS0_14default_configENS1_38merge_sort_block_merge_config_selectorIiNS0_10empty_typeEEEZZNS1_27merge_sort_block_merge_implIS3_N6thrust23THRUST_200600_302600_NS6detail15normal_iteratorINS9_10device_ptrIiEEEEPS5_m9comp_mod3IiEEE10hipError_tT0_T1_T2_jT3_P12ihipStream_tbPNSt15iterator_traitsISJ_E10value_typeEPNSP_ISK_E10value_typeEPSL_NS1_7vsmem_tEENKUlT_SJ_SK_SL_E_clIPiSE_SF_SF_EESI_SY_SJ_SK_SL_EUlSY_E1_NS1_11comp_targetILNS1_3genE10ELNS1_11target_archE1201ELNS1_3gpuE5ELNS1_3repE0EEENS1_36merge_oddeven_config_static_selectorELNS0_4arch9wavefront6targetE0EEEvSK_.has_dyn_sized_stack, 0
	.set _ZN7rocprim17ROCPRIM_400000_NS6detail17trampoline_kernelINS0_14default_configENS1_38merge_sort_block_merge_config_selectorIiNS0_10empty_typeEEEZZNS1_27merge_sort_block_merge_implIS3_N6thrust23THRUST_200600_302600_NS6detail15normal_iteratorINS9_10device_ptrIiEEEEPS5_m9comp_mod3IiEEE10hipError_tT0_T1_T2_jT3_P12ihipStream_tbPNSt15iterator_traitsISJ_E10value_typeEPNSP_ISK_E10value_typeEPSL_NS1_7vsmem_tEENKUlT_SJ_SK_SL_E_clIPiSE_SF_SF_EESI_SY_SJ_SK_SL_EUlSY_E1_NS1_11comp_targetILNS1_3genE10ELNS1_11target_archE1201ELNS1_3gpuE5ELNS1_3repE0EEENS1_36merge_oddeven_config_static_selectorELNS0_4arch9wavefront6targetE0EEEvSK_.has_recursion, 0
	.set _ZN7rocprim17ROCPRIM_400000_NS6detail17trampoline_kernelINS0_14default_configENS1_38merge_sort_block_merge_config_selectorIiNS0_10empty_typeEEEZZNS1_27merge_sort_block_merge_implIS3_N6thrust23THRUST_200600_302600_NS6detail15normal_iteratorINS9_10device_ptrIiEEEEPS5_m9comp_mod3IiEEE10hipError_tT0_T1_T2_jT3_P12ihipStream_tbPNSt15iterator_traitsISJ_E10value_typeEPNSP_ISK_E10value_typeEPSL_NS1_7vsmem_tEENKUlT_SJ_SK_SL_E_clIPiSE_SF_SF_EESI_SY_SJ_SK_SL_EUlSY_E1_NS1_11comp_targetILNS1_3genE10ELNS1_11target_archE1201ELNS1_3gpuE5ELNS1_3repE0EEENS1_36merge_oddeven_config_static_selectorELNS0_4arch9wavefront6targetE0EEEvSK_.has_indirect_call, 0
	.section	.AMDGPU.csdata,"",@progbits
; Kernel info:
; codeLenInByte = 0
; TotalNumSgprs: 0
; NumVgprs: 0
; ScratchSize: 0
; MemoryBound: 0
; FloatMode: 240
; IeeeMode: 1
; LDSByteSize: 0 bytes/workgroup (compile time only)
; SGPRBlocks: 0
; VGPRBlocks: 0
; NumSGPRsForWavesPerEU: 1
; NumVGPRsForWavesPerEU: 1
; Occupancy: 16
; WaveLimiterHint : 0
; COMPUTE_PGM_RSRC2:SCRATCH_EN: 0
; COMPUTE_PGM_RSRC2:USER_SGPR: 6
; COMPUTE_PGM_RSRC2:TRAP_HANDLER: 0
; COMPUTE_PGM_RSRC2:TGID_X_EN: 1
; COMPUTE_PGM_RSRC2:TGID_Y_EN: 0
; COMPUTE_PGM_RSRC2:TGID_Z_EN: 0
; COMPUTE_PGM_RSRC2:TIDIG_COMP_CNT: 0
	.section	.text._ZN7rocprim17ROCPRIM_400000_NS6detail17trampoline_kernelINS0_14default_configENS1_38merge_sort_block_merge_config_selectorIiNS0_10empty_typeEEEZZNS1_27merge_sort_block_merge_implIS3_N6thrust23THRUST_200600_302600_NS6detail15normal_iteratorINS9_10device_ptrIiEEEEPS5_m9comp_mod3IiEEE10hipError_tT0_T1_T2_jT3_P12ihipStream_tbPNSt15iterator_traitsISJ_E10value_typeEPNSP_ISK_E10value_typeEPSL_NS1_7vsmem_tEENKUlT_SJ_SK_SL_E_clIPiSE_SF_SF_EESI_SY_SJ_SK_SL_EUlSY_E1_NS1_11comp_targetILNS1_3genE5ELNS1_11target_archE942ELNS1_3gpuE9ELNS1_3repE0EEENS1_36merge_oddeven_config_static_selectorELNS0_4arch9wavefront6targetE0EEEvSK_,"axG",@progbits,_ZN7rocprim17ROCPRIM_400000_NS6detail17trampoline_kernelINS0_14default_configENS1_38merge_sort_block_merge_config_selectorIiNS0_10empty_typeEEEZZNS1_27merge_sort_block_merge_implIS3_N6thrust23THRUST_200600_302600_NS6detail15normal_iteratorINS9_10device_ptrIiEEEEPS5_m9comp_mod3IiEEE10hipError_tT0_T1_T2_jT3_P12ihipStream_tbPNSt15iterator_traitsISJ_E10value_typeEPNSP_ISK_E10value_typeEPSL_NS1_7vsmem_tEENKUlT_SJ_SK_SL_E_clIPiSE_SF_SF_EESI_SY_SJ_SK_SL_EUlSY_E1_NS1_11comp_targetILNS1_3genE5ELNS1_11target_archE942ELNS1_3gpuE9ELNS1_3repE0EEENS1_36merge_oddeven_config_static_selectorELNS0_4arch9wavefront6targetE0EEEvSK_,comdat
	.protected	_ZN7rocprim17ROCPRIM_400000_NS6detail17trampoline_kernelINS0_14default_configENS1_38merge_sort_block_merge_config_selectorIiNS0_10empty_typeEEEZZNS1_27merge_sort_block_merge_implIS3_N6thrust23THRUST_200600_302600_NS6detail15normal_iteratorINS9_10device_ptrIiEEEEPS5_m9comp_mod3IiEEE10hipError_tT0_T1_T2_jT3_P12ihipStream_tbPNSt15iterator_traitsISJ_E10value_typeEPNSP_ISK_E10value_typeEPSL_NS1_7vsmem_tEENKUlT_SJ_SK_SL_E_clIPiSE_SF_SF_EESI_SY_SJ_SK_SL_EUlSY_E1_NS1_11comp_targetILNS1_3genE5ELNS1_11target_archE942ELNS1_3gpuE9ELNS1_3repE0EEENS1_36merge_oddeven_config_static_selectorELNS0_4arch9wavefront6targetE0EEEvSK_ ; -- Begin function _ZN7rocprim17ROCPRIM_400000_NS6detail17trampoline_kernelINS0_14default_configENS1_38merge_sort_block_merge_config_selectorIiNS0_10empty_typeEEEZZNS1_27merge_sort_block_merge_implIS3_N6thrust23THRUST_200600_302600_NS6detail15normal_iteratorINS9_10device_ptrIiEEEEPS5_m9comp_mod3IiEEE10hipError_tT0_T1_T2_jT3_P12ihipStream_tbPNSt15iterator_traitsISJ_E10value_typeEPNSP_ISK_E10value_typeEPSL_NS1_7vsmem_tEENKUlT_SJ_SK_SL_E_clIPiSE_SF_SF_EESI_SY_SJ_SK_SL_EUlSY_E1_NS1_11comp_targetILNS1_3genE5ELNS1_11target_archE942ELNS1_3gpuE9ELNS1_3repE0EEENS1_36merge_oddeven_config_static_selectorELNS0_4arch9wavefront6targetE0EEEvSK_
	.globl	_ZN7rocprim17ROCPRIM_400000_NS6detail17trampoline_kernelINS0_14default_configENS1_38merge_sort_block_merge_config_selectorIiNS0_10empty_typeEEEZZNS1_27merge_sort_block_merge_implIS3_N6thrust23THRUST_200600_302600_NS6detail15normal_iteratorINS9_10device_ptrIiEEEEPS5_m9comp_mod3IiEEE10hipError_tT0_T1_T2_jT3_P12ihipStream_tbPNSt15iterator_traitsISJ_E10value_typeEPNSP_ISK_E10value_typeEPSL_NS1_7vsmem_tEENKUlT_SJ_SK_SL_E_clIPiSE_SF_SF_EESI_SY_SJ_SK_SL_EUlSY_E1_NS1_11comp_targetILNS1_3genE5ELNS1_11target_archE942ELNS1_3gpuE9ELNS1_3repE0EEENS1_36merge_oddeven_config_static_selectorELNS0_4arch9wavefront6targetE0EEEvSK_
	.p2align	8
	.type	_ZN7rocprim17ROCPRIM_400000_NS6detail17trampoline_kernelINS0_14default_configENS1_38merge_sort_block_merge_config_selectorIiNS0_10empty_typeEEEZZNS1_27merge_sort_block_merge_implIS3_N6thrust23THRUST_200600_302600_NS6detail15normal_iteratorINS9_10device_ptrIiEEEEPS5_m9comp_mod3IiEEE10hipError_tT0_T1_T2_jT3_P12ihipStream_tbPNSt15iterator_traitsISJ_E10value_typeEPNSP_ISK_E10value_typeEPSL_NS1_7vsmem_tEENKUlT_SJ_SK_SL_E_clIPiSE_SF_SF_EESI_SY_SJ_SK_SL_EUlSY_E1_NS1_11comp_targetILNS1_3genE5ELNS1_11target_archE942ELNS1_3gpuE9ELNS1_3repE0EEENS1_36merge_oddeven_config_static_selectorELNS0_4arch9wavefront6targetE0EEEvSK_,@function
_ZN7rocprim17ROCPRIM_400000_NS6detail17trampoline_kernelINS0_14default_configENS1_38merge_sort_block_merge_config_selectorIiNS0_10empty_typeEEEZZNS1_27merge_sort_block_merge_implIS3_N6thrust23THRUST_200600_302600_NS6detail15normal_iteratorINS9_10device_ptrIiEEEEPS5_m9comp_mod3IiEEE10hipError_tT0_T1_T2_jT3_P12ihipStream_tbPNSt15iterator_traitsISJ_E10value_typeEPNSP_ISK_E10value_typeEPSL_NS1_7vsmem_tEENKUlT_SJ_SK_SL_E_clIPiSE_SF_SF_EESI_SY_SJ_SK_SL_EUlSY_E1_NS1_11comp_targetILNS1_3genE5ELNS1_11target_archE942ELNS1_3gpuE9ELNS1_3repE0EEENS1_36merge_oddeven_config_static_selectorELNS0_4arch9wavefront6targetE0EEEvSK_: ; @_ZN7rocprim17ROCPRIM_400000_NS6detail17trampoline_kernelINS0_14default_configENS1_38merge_sort_block_merge_config_selectorIiNS0_10empty_typeEEEZZNS1_27merge_sort_block_merge_implIS3_N6thrust23THRUST_200600_302600_NS6detail15normal_iteratorINS9_10device_ptrIiEEEEPS5_m9comp_mod3IiEEE10hipError_tT0_T1_T2_jT3_P12ihipStream_tbPNSt15iterator_traitsISJ_E10value_typeEPNSP_ISK_E10value_typeEPSL_NS1_7vsmem_tEENKUlT_SJ_SK_SL_E_clIPiSE_SF_SF_EESI_SY_SJ_SK_SL_EUlSY_E1_NS1_11comp_targetILNS1_3genE5ELNS1_11target_archE942ELNS1_3gpuE9ELNS1_3repE0EEENS1_36merge_oddeven_config_static_selectorELNS0_4arch9wavefront6targetE0EEEvSK_
; %bb.0:
	.section	.rodata,"a",@progbits
	.p2align	6, 0x0
	.amdhsa_kernel _ZN7rocprim17ROCPRIM_400000_NS6detail17trampoline_kernelINS0_14default_configENS1_38merge_sort_block_merge_config_selectorIiNS0_10empty_typeEEEZZNS1_27merge_sort_block_merge_implIS3_N6thrust23THRUST_200600_302600_NS6detail15normal_iteratorINS9_10device_ptrIiEEEEPS5_m9comp_mod3IiEEE10hipError_tT0_T1_T2_jT3_P12ihipStream_tbPNSt15iterator_traitsISJ_E10value_typeEPNSP_ISK_E10value_typeEPSL_NS1_7vsmem_tEENKUlT_SJ_SK_SL_E_clIPiSE_SF_SF_EESI_SY_SJ_SK_SL_EUlSY_E1_NS1_11comp_targetILNS1_3genE5ELNS1_11target_archE942ELNS1_3gpuE9ELNS1_3repE0EEENS1_36merge_oddeven_config_static_selectorELNS0_4arch9wavefront6targetE0EEEvSK_
		.amdhsa_group_segment_fixed_size 0
		.amdhsa_private_segment_fixed_size 0
		.amdhsa_kernarg_size 56
		.amdhsa_user_sgpr_count 6
		.amdhsa_user_sgpr_private_segment_buffer 1
		.amdhsa_user_sgpr_dispatch_ptr 0
		.amdhsa_user_sgpr_queue_ptr 0
		.amdhsa_user_sgpr_kernarg_segment_ptr 1
		.amdhsa_user_sgpr_dispatch_id 0
		.amdhsa_user_sgpr_flat_scratch_init 0
		.amdhsa_user_sgpr_private_segment_size 0
		.amdhsa_wavefront_size32 1
		.amdhsa_uses_dynamic_stack 0
		.amdhsa_system_sgpr_private_segment_wavefront_offset 0
		.amdhsa_system_sgpr_workgroup_id_x 1
		.amdhsa_system_sgpr_workgroup_id_y 0
		.amdhsa_system_sgpr_workgroup_id_z 0
		.amdhsa_system_sgpr_workgroup_info 0
		.amdhsa_system_vgpr_workitem_id 0
		.amdhsa_next_free_vgpr 1
		.amdhsa_next_free_sgpr 1
		.amdhsa_reserve_vcc 0
		.amdhsa_reserve_flat_scratch 0
		.amdhsa_float_round_mode_32 0
		.amdhsa_float_round_mode_16_64 0
		.amdhsa_float_denorm_mode_32 3
		.amdhsa_float_denorm_mode_16_64 3
		.amdhsa_dx10_clamp 1
		.amdhsa_ieee_mode 1
		.amdhsa_fp16_overflow 0
		.amdhsa_workgroup_processor_mode 1
		.amdhsa_memory_ordered 1
		.amdhsa_forward_progress 1
		.amdhsa_shared_vgpr_count 0
		.amdhsa_exception_fp_ieee_invalid_op 0
		.amdhsa_exception_fp_denorm_src 0
		.amdhsa_exception_fp_ieee_div_zero 0
		.amdhsa_exception_fp_ieee_overflow 0
		.amdhsa_exception_fp_ieee_underflow 0
		.amdhsa_exception_fp_ieee_inexact 0
		.amdhsa_exception_int_div_zero 0
	.end_amdhsa_kernel
	.section	.text._ZN7rocprim17ROCPRIM_400000_NS6detail17trampoline_kernelINS0_14default_configENS1_38merge_sort_block_merge_config_selectorIiNS0_10empty_typeEEEZZNS1_27merge_sort_block_merge_implIS3_N6thrust23THRUST_200600_302600_NS6detail15normal_iteratorINS9_10device_ptrIiEEEEPS5_m9comp_mod3IiEEE10hipError_tT0_T1_T2_jT3_P12ihipStream_tbPNSt15iterator_traitsISJ_E10value_typeEPNSP_ISK_E10value_typeEPSL_NS1_7vsmem_tEENKUlT_SJ_SK_SL_E_clIPiSE_SF_SF_EESI_SY_SJ_SK_SL_EUlSY_E1_NS1_11comp_targetILNS1_3genE5ELNS1_11target_archE942ELNS1_3gpuE9ELNS1_3repE0EEENS1_36merge_oddeven_config_static_selectorELNS0_4arch9wavefront6targetE0EEEvSK_,"axG",@progbits,_ZN7rocprim17ROCPRIM_400000_NS6detail17trampoline_kernelINS0_14default_configENS1_38merge_sort_block_merge_config_selectorIiNS0_10empty_typeEEEZZNS1_27merge_sort_block_merge_implIS3_N6thrust23THRUST_200600_302600_NS6detail15normal_iteratorINS9_10device_ptrIiEEEEPS5_m9comp_mod3IiEEE10hipError_tT0_T1_T2_jT3_P12ihipStream_tbPNSt15iterator_traitsISJ_E10value_typeEPNSP_ISK_E10value_typeEPSL_NS1_7vsmem_tEENKUlT_SJ_SK_SL_E_clIPiSE_SF_SF_EESI_SY_SJ_SK_SL_EUlSY_E1_NS1_11comp_targetILNS1_3genE5ELNS1_11target_archE942ELNS1_3gpuE9ELNS1_3repE0EEENS1_36merge_oddeven_config_static_selectorELNS0_4arch9wavefront6targetE0EEEvSK_,comdat
.Lfunc_end1006:
	.size	_ZN7rocprim17ROCPRIM_400000_NS6detail17trampoline_kernelINS0_14default_configENS1_38merge_sort_block_merge_config_selectorIiNS0_10empty_typeEEEZZNS1_27merge_sort_block_merge_implIS3_N6thrust23THRUST_200600_302600_NS6detail15normal_iteratorINS9_10device_ptrIiEEEEPS5_m9comp_mod3IiEEE10hipError_tT0_T1_T2_jT3_P12ihipStream_tbPNSt15iterator_traitsISJ_E10value_typeEPNSP_ISK_E10value_typeEPSL_NS1_7vsmem_tEENKUlT_SJ_SK_SL_E_clIPiSE_SF_SF_EESI_SY_SJ_SK_SL_EUlSY_E1_NS1_11comp_targetILNS1_3genE5ELNS1_11target_archE942ELNS1_3gpuE9ELNS1_3repE0EEENS1_36merge_oddeven_config_static_selectorELNS0_4arch9wavefront6targetE0EEEvSK_, .Lfunc_end1006-_ZN7rocprim17ROCPRIM_400000_NS6detail17trampoline_kernelINS0_14default_configENS1_38merge_sort_block_merge_config_selectorIiNS0_10empty_typeEEEZZNS1_27merge_sort_block_merge_implIS3_N6thrust23THRUST_200600_302600_NS6detail15normal_iteratorINS9_10device_ptrIiEEEEPS5_m9comp_mod3IiEEE10hipError_tT0_T1_T2_jT3_P12ihipStream_tbPNSt15iterator_traitsISJ_E10value_typeEPNSP_ISK_E10value_typeEPSL_NS1_7vsmem_tEENKUlT_SJ_SK_SL_E_clIPiSE_SF_SF_EESI_SY_SJ_SK_SL_EUlSY_E1_NS1_11comp_targetILNS1_3genE5ELNS1_11target_archE942ELNS1_3gpuE9ELNS1_3repE0EEENS1_36merge_oddeven_config_static_selectorELNS0_4arch9wavefront6targetE0EEEvSK_
                                        ; -- End function
	.set _ZN7rocprim17ROCPRIM_400000_NS6detail17trampoline_kernelINS0_14default_configENS1_38merge_sort_block_merge_config_selectorIiNS0_10empty_typeEEEZZNS1_27merge_sort_block_merge_implIS3_N6thrust23THRUST_200600_302600_NS6detail15normal_iteratorINS9_10device_ptrIiEEEEPS5_m9comp_mod3IiEEE10hipError_tT0_T1_T2_jT3_P12ihipStream_tbPNSt15iterator_traitsISJ_E10value_typeEPNSP_ISK_E10value_typeEPSL_NS1_7vsmem_tEENKUlT_SJ_SK_SL_E_clIPiSE_SF_SF_EESI_SY_SJ_SK_SL_EUlSY_E1_NS1_11comp_targetILNS1_3genE5ELNS1_11target_archE942ELNS1_3gpuE9ELNS1_3repE0EEENS1_36merge_oddeven_config_static_selectorELNS0_4arch9wavefront6targetE0EEEvSK_.num_vgpr, 0
	.set _ZN7rocprim17ROCPRIM_400000_NS6detail17trampoline_kernelINS0_14default_configENS1_38merge_sort_block_merge_config_selectorIiNS0_10empty_typeEEEZZNS1_27merge_sort_block_merge_implIS3_N6thrust23THRUST_200600_302600_NS6detail15normal_iteratorINS9_10device_ptrIiEEEEPS5_m9comp_mod3IiEEE10hipError_tT0_T1_T2_jT3_P12ihipStream_tbPNSt15iterator_traitsISJ_E10value_typeEPNSP_ISK_E10value_typeEPSL_NS1_7vsmem_tEENKUlT_SJ_SK_SL_E_clIPiSE_SF_SF_EESI_SY_SJ_SK_SL_EUlSY_E1_NS1_11comp_targetILNS1_3genE5ELNS1_11target_archE942ELNS1_3gpuE9ELNS1_3repE0EEENS1_36merge_oddeven_config_static_selectorELNS0_4arch9wavefront6targetE0EEEvSK_.num_agpr, 0
	.set _ZN7rocprim17ROCPRIM_400000_NS6detail17trampoline_kernelINS0_14default_configENS1_38merge_sort_block_merge_config_selectorIiNS0_10empty_typeEEEZZNS1_27merge_sort_block_merge_implIS3_N6thrust23THRUST_200600_302600_NS6detail15normal_iteratorINS9_10device_ptrIiEEEEPS5_m9comp_mod3IiEEE10hipError_tT0_T1_T2_jT3_P12ihipStream_tbPNSt15iterator_traitsISJ_E10value_typeEPNSP_ISK_E10value_typeEPSL_NS1_7vsmem_tEENKUlT_SJ_SK_SL_E_clIPiSE_SF_SF_EESI_SY_SJ_SK_SL_EUlSY_E1_NS1_11comp_targetILNS1_3genE5ELNS1_11target_archE942ELNS1_3gpuE9ELNS1_3repE0EEENS1_36merge_oddeven_config_static_selectorELNS0_4arch9wavefront6targetE0EEEvSK_.numbered_sgpr, 0
	.set _ZN7rocprim17ROCPRIM_400000_NS6detail17trampoline_kernelINS0_14default_configENS1_38merge_sort_block_merge_config_selectorIiNS0_10empty_typeEEEZZNS1_27merge_sort_block_merge_implIS3_N6thrust23THRUST_200600_302600_NS6detail15normal_iteratorINS9_10device_ptrIiEEEEPS5_m9comp_mod3IiEEE10hipError_tT0_T1_T2_jT3_P12ihipStream_tbPNSt15iterator_traitsISJ_E10value_typeEPNSP_ISK_E10value_typeEPSL_NS1_7vsmem_tEENKUlT_SJ_SK_SL_E_clIPiSE_SF_SF_EESI_SY_SJ_SK_SL_EUlSY_E1_NS1_11comp_targetILNS1_3genE5ELNS1_11target_archE942ELNS1_3gpuE9ELNS1_3repE0EEENS1_36merge_oddeven_config_static_selectorELNS0_4arch9wavefront6targetE0EEEvSK_.num_named_barrier, 0
	.set _ZN7rocprim17ROCPRIM_400000_NS6detail17trampoline_kernelINS0_14default_configENS1_38merge_sort_block_merge_config_selectorIiNS0_10empty_typeEEEZZNS1_27merge_sort_block_merge_implIS3_N6thrust23THRUST_200600_302600_NS6detail15normal_iteratorINS9_10device_ptrIiEEEEPS5_m9comp_mod3IiEEE10hipError_tT0_T1_T2_jT3_P12ihipStream_tbPNSt15iterator_traitsISJ_E10value_typeEPNSP_ISK_E10value_typeEPSL_NS1_7vsmem_tEENKUlT_SJ_SK_SL_E_clIPiSE_SF_SF_EESI_SY_SJ_SK_SL_EUlSY_E1_NS1_11comp_targetILNS1_3genE5ELNS1_11target_archE942ELNS1_3gpuE9ELNS1_3repE0EEENS1_36merge_oddeven_config_static_selectorELNS0_4arch9wavefront6targetE0EEEvSK_.private_seg_size, 0
	.set _ZN7rocprim17ROCPRIM_400000_NS6detail17trampoline_kernelINS0_14default_configENS1_38merge_sort_block_merge_config_selectorIiNS0_10empty_typeEEEZZNS1_27merge_sort_block_merge_implIS3_N6thrust23THRUST_200600_302600_NS6detail15normal_iteratorINS9_10device_ptrIiEEEEPS5_m9comp_mod3IiEEE10hipError_tT0_T1_T2_jT3_P12ihipStream_tbPNSt15iterator_traitsISJ_E10value_typeEPNSP_ISK_E10value_typeEPSL_NS1_7vsmem_tEENKUlT_SJ_SK_SL_E_clIPiSE_SF_SF_EESI_SY_SJ_SK_SL_EUlSY_E1_NS1_11comp_targetILNS1_3genE5ELNS1_11target_archE942ELNS1_3gpuE9ELNS1_3repE0EEENS1_36merge_oddeven_config_static_selectorELNS0_4arch9wavefront6targetE0EEEvSK_.uses_vcc, 0
	.set _ZN7rocprim17ROCPRIM_400000_NS6detail17trampoline_kernelINS0_14default_configENS1_38merge_sort_block_merge_config_selectorIiNS0_10empty_typeEEEZZNS1_27merge_sort_block_merge_implIS3_N6thrust23THRUST_200600_302600_NS6detail15normal_iteratorINS9_10device_ptrIiEEEEPS5_m9comp_mod3IiEEE10hipError_tT0_T1_T2_jT3_P12ihipStream_tbPNSt15iterator_traitsISJ_E10value_typeEPNSP_ISK_E10value_typeEPSL_NS1_7vsmem_tEENKUlT_SJ_SK_SL_E_clIPiSE_SF_SF_EESI_SY_SJ_SK_SL_EUlSY_E1_NS1_11comp_targetILNS1_3genE5ELNS1_11target_archE942ELNS1_3gpuE9ELNS1_3repE0EEENS1_36merge_oddeven_config_static_selectorELNS0_4arch9wavefront6targetE0EEEvSK_.uses_flat_scratch, 0
	.set _ZN7rocprim17ROCPRIM_400000_NS6detail17trampoline_kernelINS0_14default_configENS1_38merge_sort_block_merge_config_selectorIiNS0_10empty_typeEEEZZNS1_27merge_sort_block_merge_implIS3_N6thrust23THRUST_200600_302600_NS6detail15normal_iteratorINS9_10device_ptrIiEEEEPS5_m9comp_mod3IiEEE10hipError_tT0_T1_T2_jT3_P12ihipStream_tbPNSt15iterator_traitsISJ_E10value_typeEPNSP_ISK_E10value_typeEPSL_NS1_7vsmem_tEENKUlT_SJ_SK_SL_E_clIPiSE_SF_SF_EESI_SY_SJ_SK_SL_EUlSY_E1_NS1_11comp_targetILNS1_3genE5ELNS1_11target_archE942ELNS1_3gpuE9ELNS1_3repE0EEENS1_36merge_oddeven_config_static_selectorELNS0_4arch9wavefront6targetE0EEEvSK_.has_dyn_sized_stack, 0
	.set _ZN7rocprim17ROCPRIM_400000_NS6detail17trampoline_kernelINS0_14default_configENS1_38merge_sort_block_merge_config_selectorIiNS0_10empty_typeEEEZZNS1_27merge_sort_block_merge_implIS3_N6thrust23THRUST_200600_302600_NS6detail15normal_iteratorINS9_10device_ptrIiEEEEPS5_m9comp_mod3IiEEE10hipError_tT0_T1_T2_jT3_P12ihipStream_tbPNSt15iterator_traitsISJ_E10value_typeEPNSP_ISK_E10value_typeEPSL_NS1_7vsmem_tEENKUlT_SJ_SK_SL_E_clIPiSE_SF_SF_EESI_SY_SJ_SK_SL_EUlSY_E1_NS1_11comp_targetILNS1_3genE5ELNS1_11target_archE942ELNS1_3gpuE9ELNS1_3repE0EEENS1_36merge_oddeven_config_static_selectorELNS0_4arch9wavefront6targetE0EEEvSK_.has_recursion, 0
	.set _ZN7rocprim17ROCPRIM_400000_NS6detail17trampoline_kernelINS0_14default_configENS1_38merge_sort_block_merge_config_selectorIiNS0_10empty_typeEEEZZNS1_27merge_sort_block_merge_implIS3_N6thrust23THRUST_200600_302600_NS6detail15normal_iteratorINS9_10device_ptrIiEEEEPS5_m9comp_mod3IiEEE10hipError_tT0_T1_T2_jT3_P12ihipStream_tbPNSt15iterator_traitsISJ_E10value_typeEPNSP_ISK_E10value_typeEPSL_NS1_7vsmem_tEENKUlT_SJ_SK_SL_E_clIPiSE_SF_SF_EESI_SY_SJ_SK_SL_EUlSY_E1_NS1_11comp_targetILNS1_3genE5ELNS1_11target_archE942ELNS1_3gpuE9ELNS1_3repE0EEENS1_36merge_oddeven_config_static_selectorELNS0_4arch9wavefront6targetE0EEEvSK_.has_indirect_call, 0
	.section	.AMDGPU.csdata,"",@progbits
; Kernel info:
; codeLenInByte = 0
; TotalNumSgprs: 0
; NumVgprs: 0
; ScratchSize: 0
; MemoryBound: 0
; FloatMode: 240
; IeeeMode: 1
; LDSByteSize: 0 bytes/workgroup (compile time only)
; SGPRBlocks: 0
; VGPRBlocks: 0
; NumSGPRsForWavesPerEU: 1
; NumVGPRsForWavesPerEU: 1
; Occupancy: 16
; WaveLimiterHint : 0
; COMPUTE_PGM_RSRC2:SCRATCH_EN: 0
; COMPUTE_PGM_RSRC2:USER_SGPR: 6
; COMPUTE_PGM_RSRC2:TRAP_HANDLER: 0
; COMPUTE_PGM_RSRC2:TGID_X_EN: 1
; COMPUTE_PGM_RSRC2:TGID_Y_EN: 0
; COMPUTE_PGM_RSRC2:TGID_Z_EN: 0
; COMPUTE_PGM_RSRC2:TIDIG_COMP_CNT: 0
	.section	.text._ZN7rocprim17ROCPRIM_400000_NS6detail17trampoline_kernelINS0_14default_configENS1_38merge_sort_block_merge_config_selectorIiNS0_10empty_typeEEEZZNS1_27merge_sort_block_merge_implIS3_N6thrust23THRUST_200600_302600_NS6detail15normal_iteratorINS9_10device_ptrIiEEEEPS5_m9comp_mod3IiEEE10hipError_tT0_T1_T2_jT3_P12ihipStream_tbPNSt15iterator_traitsISJ_E10value_typeEPNSP_ISK_E10value_typeEPSL_NS1_7vsmem_tEENKUlT_SJ_SK_SL_E_clIPiSE_SF_SF_EESI_SY_SJ_SK_SL_EUlSY_E1_NS1_11comp_targetILNS1_3genE4ELNS1_11target_archE910ELNS1_3gpuE8ELNS1_3repE0EEENS1_36merge_oddeven_config_static_selectorELNS0_4arch9wavefront6targetE0EEEvSK_,"axG",@progbits,_ZN7rocprim17ROCPRIM_400000_NS6detail17trampoline_kernelINS0_14default_configENS1_38merge_sort_block_merge_config_selectorIiNS0_10empty_typeEEEZZNS1_27merge_sort_block_merge_implIS3_N6thrust23THRUST_200600_302600_NS6detail15normal_iteratorINS9_10device_ptrIiEEEEPS5_m9comp_mod3IiEEE10hipError_tT0_T1_T2_jT3_P12ihipStream_tbPNSt15iterator_traitsISJ_E10value_typeEPNSP_ISK_E10value_typeEPSL_NS1_7vsmem_tEENKUlT_SJ_SK_SL_E_clIPiSE_SF_SF_EESI_SY_SJ_SK_SL_EUlSY_E1_NS1_11comp_targetILNS1_3genE4ELNS1_11target_archE910ELNS1_3gpuE8ELNS1_3repE0EEENS1_36merge_oddeven_config_static_selectorELNS0_4arch9wavefront6targetE0EEEvSK_,comdat
	.protected	_ZN7rocprim17ROCPRIM_400000_NS6detail17trampoline_kernelINS0_14default_configENS1_38merge_sort_block_merge_config_selectorIiNS0_10empty_typeEEEZZNS1_27merge_sort_block_merge_implIS3_N6thrust23THRUST_200600_302600_NS6detail15normal_iteratorINS9_10device_ptrIiEEEEPS5_m9comp_mod3IiEEE10hipError_tT0_T1_T2_jT3_P12ihipStream_tbPNSt15iterator_traitsISJ_E10value_typeEPNSP_ISK_E10value_typeEPSL_NS1_7vsmem_tEENKUlT_SJ_SK_SL_E_clIPiSE_SF_SF_EESI_SY_SJ_SK_SL_EUlSY_E1_NS1_11comp_targetILNS1_3genE4ELNS1_11target_archE910ELNS1_3gpuE8ELNS1_3repE0EEENS1_36merge_oddeven_config_static_selectorELNS0_4arch9wavefront6targetE0EEEvSK_ ; -- Begin function _ZN7rocprim17ROCPRIM_400000_NS6detail17trampoline_kernelINS0_14default_configENS1_38merge_sort_block_merge_config_selectorIiNS0_10empty_typeEEEZZNS1_27merge_sort_block_merge_implIS3_N6thrust23THRUST_200600_302600_NS6detail15normal_iteratorINS9_10device_ptrIiEEEEPS5_m9comp_mod3IiEEE10hipError_tT0_T1_T2_jT3_P12ihipStream_tbPNSt15iterator_traitsISJ_E10value_typeEPNSP_ISK_E10value_typeEPSL_NS1_7vsmem_tEENKUlT_SJ_SK_SL_E_clIPiSE_SF_SF_EESI_SY_SJ_SK_SL_EUlSY_E1_NS1_11comp_targetILNS1_3genE4ELNS1_11target_archE910ELNS1_3gpuE8ELNS1_3repE0EEENS1_36merge_oddeven_config_static_selectorELNS0_4arch9wavefront6targetE0EEEvSK_
	.globl	_ZN7rocprim17ROCPRIM_400000_NS6detail17trampoline_kernelINS0_14default_configENS1_38merge_sort_block_merge_config_selectorIiNS0_10empty_typeEEEZZNS1_27merge_sort_block_merge_implIS3_N6thrust23THRUST_200600_302600_NS6detail15normal_iteratorINS9_10device_ptrIiEEEEPS5_m9comp_mod3IiEEE10hipError_tT0_T1_T2_jT3_P12ihipStream_tbPNSt15iterator_traitsISJ_E10value_typeEPNSP_ISK_E10value_typeEPSL_NS1_7vsmem_tEENKUlT_SJ_SK_SL_E_clIPiSE_SF_SF_EESI_SY_SJ_SK_SL_EUlSY_E1_NS1_11comp_targetILNS1_3genE4ELNS1_11target_archE910ELNS1_3gpuE8ELNS1_3repE0EEENS1_36merge_oddeven_config_static_selectorELNS0_4arch9wavefront6targetE0EEEvSK_
	.p2align	8
	.type	_ZN7rocprim17ROCPRIM_400000_NS6detail17trampoline_kernelINS0_14default_configENS1_38merge_sort_block_merge_config_selectorIiNS0_10empty_typeEEEZZNS1_27merge_sort_block_merge_implIS3_N6thrust23THRUST_200600_302600_NS6detail15normal_iteratorINS9_10device_ptrIiEEEEPS5_m9comp_mod3IiEEE10hipError_tT0_T1_T2_jT3_P12ihipStream_tbPNSt15iterator_traitsISJ_E10value_typeEPNSP_ISK_E10value_typeEPSL_NS1_7vsmem_tEENKUlT_SJ_SK_SL_E_clIPiSE_SF_SF_EESI_SY_SJ_SK_SL_EUlSY_E1_NS1_11comp_targetILNS1_3genE4ELNS1_11target_archE910ELNS1_3gpuE8ELNS1_3repE0EEENS1_36merge_oddeven_config_static_selectorELNS0_4arch9wavefront6targetE0EEEvSK_,@function
_ZN7rocprim17ROCPRIM_400000_NS6detail17trampoline_kernelINS0_14default_configENS1_38merge_sort_block_merge_config_selectorIiNS0_10empty_typeEEEZZNS1_27merge_sort_block_merge_implIS3_N6thrust23THRUST_200600_302600_NS6detail15normal_iteratorINS9_10device_ptrIiEEEEPS5_m9comp_mod3IiEEE10hipError_tT0_T1_T2_jT3_P12ihipStream_tbPNSt15iterator_traitsISJ_E10value_typeEPNSP_ISK_E10value_typeEPSL_NS1_7vsmem_tEENKUlT_SJ_SK_SL_E_clIPiSE_SF_SF_EESI_SY_SJ_SK_SL_EUlSY_E1_NS1_11comp_targetILNS1_3genE4ELNS1_11target_archE910ELNS1_3gpuE8ELNS1_3repE0EEENS1_36merge_oddeven_config_static_selectorELNS0_4arch9wavefront6targetE0EEEvSK_: ; @_ZN7rocprim17ROCPRIM_400000_NS6detail17trampoline_kernelINS0_14default_configENS1_38merge_sort_block_merge_config_selectorIiNS0_10empty_typeEEEZZNS1_27merge_sort_block_merge_implIS3_N6thrust23THRUST_200600_302600_NS6detail15normal_iteratorINS9_10device_ptrIiEEEEPS5_m9comp_mod3IiEEE10hipError_tT0_T1_T2_jT3_P12ihipStream_tbPNSt15iterator_traitsISJ_E10value_typeEPNSP_ISK_E10value_typeEPSL_NS1_7vsmem_tEENKUlT_SJ_SK_SL_E_clIPiSE_SF_SF_EESI_SY_SJ_SK_SL_EUlSY_E1_NS1_11comp_targetILNS1_3genE4ELNS1_11target_archE910ELNS1_3gpuE8ELNS1_3repE0EEENS1_36merge_oddeven_config_static_selectorELNS0_4arch9wavefront6targetE0EEEvSK_
; %bb.0:
	.section	.rodata,"a",@progbits
	.p2align	6, 0x0
	.amdhsa_kernel _ZN7rocprim17ROCPRIM_400000_NS6detail17trampoline_kernelINS0_14default_configENS1_38merge_sort_block_merge_config_selectorIiNS0_10empty_typeEEEZZNS1_27merge_sort_block_merge_implIS3_N6thrust23THRUST_200600_302600_NS6detail15normal_iteratorINS9_10device_ptrIiEEEEPS5_m9comp_mod3IiEEE10hipError_tT0_T1_T2_jT3_P12ihipStream_tbPNSt15iterator_traitsISJ_E10value_typeEPNSP_ISK_E10value_typeEPSL_NS1_7vsmem_tEENKUlT_SJ_SK_SL_E_clIPiSE_SF_SF_EESI_SY_SJ_SK_SL_EUlSY_E1_NS1_11comp_targetILNS1_3genE4ELNS1_11target_archE910ELNS1_3gpuE8ELNS1_3repE0EEENS1_36merge_oddeven_config_static_selectorELNS0_4arch9wavefront6targetE0EEEvSK_
		.amdhsa_group_segment_fixed_size 0
		.amdhsa_private_segment_fixed_size 0
		.amdhsa_kernarg_size 56
		.amdhsa_user_sgpr_count 6
		.amdhsa_user_sgpr_private_segment_buffer 1
		.amdhsa_user_sgpr_dispatch_ptr 0
		.amdhsa_user_sgpr_queue_ptr 0
		.amdhsa_user_sgpr_kernarg_segment_ptr 1
		.amdhsa_user_sgpr_dispatch_id 0
		.amdhsa_user_sgpr_flat_scratch_init 0
		.amdhsa_user_sgpr_private_segment_size 0
		.amdhsa_wavefront_size32 1
		.amdhsa_uses_dynamic_stack 0
		.amdhsa_system_sgpr_private_segment_wavefront_offset 0
		.amdhsa_system_sgpr_workgroup_id_x 1
		.amdhsa_system_sgpr_workgroup_id_y 0
		.amdhsa_system_sgpr_workgroup_id_z 0
		.amdhsa_system_sgpr_workgroup_info 0
		.amdhsa_system_vgpr_workitem_id 0
		.amdhsa_next_free_vgpr 1
		.amdhsa_next_free_sgpr 1
		.amdhsa_reserve_vcc 0
		.amdhsa_reserve_flat_scratch 0
		.amdhsa_float_round_mode_32 0
		.amdhsa_float_round_mode_16_64 0
		.amdhsa_float_denorm_mode_32 3
		.amdhsa_float_denorm_mode_16_64 3
		.amdhsa_dx10_clamp 1
		.amdhsa_ieee_mode 1
		.amdhsa_fp16_overflow 0
		.amdhsa_workgroup_processor_mode 1
		.amdhsa_memory_ordered 1
		.amdhsa_forward_progress 1
		.amdhsa_shared_vgpr_count 0
		.amdhsa_exception_fp_ieee_invalid_op 0
		.amdhsa_exception_fp_denorm_src 0
		.amdhsa_exception_fp_ieee_div_zero 0
		.amdhsa_exception_fp_ieee_overflow 0
		.amdhsa_exception_fp_ieee_underflow 0
		.amdhsa_exception_fp_ieee_inexact 0
		.amdhsa_exception_int_div_zero 0
	.end_amdhsa_kernel
	.section	.text._ZN7rocprim17ROCPRIM_400000_NS6detail17trampoline_kernelINS0_14default_configENS1_38merge_sort_block_merge_config_selectorIiNS0_10empty_typeEEEZZNS1_27merge_sort_block_merge_implIS3_N6thrust23THRUST_200600_302600_NS6detail15normal_iteratorINS9_10device_ptrIiEEEEPS5_m9comp_mod3IiEEE10hipError_tT0_T1_T2_jT3_P12ihipStream_tbPNSt15iterator_traitsISJ_E10value_typeEPNSP_ISK_E10value_typeEPSL_NS1_7vsmem_tEENKUlT_SJ_SK_SL_E_clIPiSE_SF_SF_EESI_SY_SJ_SK_SL_EUlSY_E1_NS1_11comp_targetILNS1_3genE4ELNS1_11target_archE910ELNS1_3gpuE8ELNS1_3repE0EEENS1_36merge_oddeven_config_static_selectorELNS0_4arch9wavefront6targetE0EEEvSK_,"axG",@progbits,_ZN7rocprim17ROCPRIM_400000_NS6detail17trampoline_kernelINS0_14default_configENS1_38merge_sort_block_merge_config_selectorIiNS0_10empty_typeEEEZZNS1_27merge_sort_block_merge_implIS3_N6thrust23THRUST_200600_302600_NS6detail15normal_iteratorINS9_10device_ptrIiEEEEPS5_m9comp_mod3IiEEE10hipError_tT0_T1_T2_jT3_P12ihipStream_tbPNSt15iterator_traitsISJ_E10value_typeEPNSP_ISK_E10value_typeEPSL_NS1_7vsmem_tEENKUlT_SJ_SK_SL_E_clIPiSE_SF_SF_EESI_SY_SJ_SK_SL_EUlSY_E1_NS1_11comp_targetILNS1_3genE4ELNS1_11target_archE910ELNS1_3gpuE8ELNS1_3repE0EEENS1_36merge_oddeven_config_static_selectorELNS0_4arch9wavefront6targetE0EEEvSK_,comdat
.Lfunc_end1007:
	.size	_ZN7rocprim17ROCPRIM_400000_NS6detail17trampoline_kernelINS0_14default_configENS1_38merge_sort_block_merge_config_selectorIiNS0_10empty_typeEEEZZNS1_27merge_sort_block_merge_implIS3_N6thrust23THRUST_200600_302600_NS6detail15normal_iteratorINS9_10device_ptrIiEEEEPS5_m9comp_mod3IiEEE10hipError_tT0_T1_T2_jT3_P12ihipStream_tbPNSt15iterator_traitsISJ_E10value_typeEPNSP_ISK_E10value_typeEPSL_NS1_7vsmem_tEENKUlT_SJ_SK_SL_E_clIPiSE_SF_SF_EESI_SY_SJ_SK_SL_EUlSY_E1_NS1_11comp_targetILNS1_3genE4ELNS1_11target_archE910ELNS1_3gpuE8ELNS1_3repE0EEENS1_36merge_oddeven_config_static_selectorELNS0_4arch9wavefront6targetE0EEEvSK_, .Lfunc_end1007-_ZN7rocprim17ROCPRIM_400000_NS6detail17trampoline_kernelINS0_14default_configENS1_38merge_sort_block_merge_config_selectorIiNS0_10empty_typeEEEZZNS1_27merge_sort_block_merge_implIS3_N6thrust23THRUST_200600_302600_NS6detail15normal_iteratorINS9_10device_ptrIiEEEEPS5_m9comp_mod3IiEEE10hipError_tT0_T1_T2_jT3_P12ihipStream_tbPNSt15iterator_traitsISJ_E10value_typeEPNSP_ISK_E10value_typeEPSL_NS1_7vsmem_tEENKUlT_SJ_SK_SL_E_clIPiSE_SF_SF_EESI_SY_SJ_SK_SL_EUlSY_E1_NS1_11comp_targetILNS1_3genE4ELNS1_11target_archE910ELNS1_3gpuE8ELNS1_3repE0EEENS1_36merge_oddeven_config_static_selectorELNS0_4arch9wavefront6targetE0EEEvSK_
                                        ; -- End function
	.set _ZN7rocprim17ROCPRIM_400000_NS6detail17trampoline_kernelINS0_14default_configENS1_38merge_sort_block_merge_config_selectorIiNS0_10empty_typeEEEZZNS1_27merge_sort_block_merge_implIS3_N6thrust23THRUST_200600_302600_NS6detail15normal_iteratorINS9_10device_ptrIiEEEEPS5_m9comp_mod3IiEEE10hipError_tT0_T1_T2_jT3_P12ihipStream_tbPNSt15iterator_traitsISJ_E10value_typeEPNSP_ISK_E10value_typeEPSL_NS1_7vsmem_tEENKUlT_SJ_SK_SL_E_clIPiSE_SF_SF_EESI_SY_SJ_SK_SL_EUlSY_E1_NS1_11comp_targetILNS1_3genE4ELNS1_11target_archE910ELNS1_3gpuE8ELNS1_3repE0EEENS1_36merge_oddeven_config_static_selectorELNS0_4arch9wavefront6targetE0EEEvSK_.num_vgpr, 0
	.set _ZN7rocprim17ROCPRIM_400000_NS6detail17trampoline_kernelINS0_14default_configENS1_38merge_sort_block_merge_config_selectorIiNS0_10empty_typeEEEZZNS1_27merge_sort_block_merge_implIS3_N6thrust23THRUST_200600_302600_NS6detail15normal_iteratorINS9_10device_ptrIiEEEEPS5_m9comp_mod3IiEEE10hipError_tT0_T1_T2_jT3_P12ihipStream_tbPNSt15iterator_traitsISJ_E10value_typeEPNSP_ISK_E10value_typeEPSL_NS1_7vsmem_tEENKUlT_SJ_SK_SL_E_clIPiSE_SF_SF_EESI_SY_SJ_SK_SL_EUlSY_E1_NS1_11comp_targetILNS1_3genE4ELNS1_11target_archE910ELNS1_3gpuE8ELNS1_3repE0EEENS1_36merge_oddeven_config_static_selectorELNS0_4arch9wavefront6targetE0EEEvSK_.num_agpr, 0
	.set _ZN7rocprim17ROCPRIM_400000_NS6detail17trampoline_kernelINS0_14default_configENS1_38merge_sort_block_merge_config_selectorIiNS0_10empty_typeEEEZZNS1_27merge_sort_block_merge_implIS3_N6thrust23THRUST_200600_302600_NS6detail15normal_iteratorINS9_10device_ptrIiEEEEPS5_m9comp_mod3IiEEE10hipError_tT0_T1_T2_jT3_P12ihipStream_tbPNSt15iterator_traitsISJ_E10value_typeEPNSP_ISK_E10value_typeEPSL_NS1_7vsmem_tEENKUlT_SJ_SK_SL_E_clIPiSE_SF_SF_EESI_SY_SJ_SK_SL_EUlSY_E1_NS1_11comp_targetILNS1_3genE4ELNS1_11target_archE910ELNS1_3gpuE8ELNS1_3repE0EEENS1_36merge_oddeven_config_static_selectorELNS0_4arch9wavefront6targetE0EEEvSK_.numbered_sgpr, 0
	.set _ZN7rocprim17ROCPRIM_400000_NS6detail17trampoline_kernelINS0_14default_configENS1_38merge_sort_block_merge_config_selectorIiNS0_10empty_typeEEEZZNS1_27merge_sort_block_merge_implIS3_N6thrust23THRUST_200600_302600_NS6detail15normal_iteratorINS9_10device_ptrIiEEEEPS5_m9comp_mod3IiEEE10hipError_tT0_T1_T2_jT3_P12ihipStream_tbPNSt15iterator_traitsISJ_E10value_typeEPNSP_ISK_E10value_typeEPSL_NS1_7vsmem_tEENKUlT_SJ_SK_SL_E_clIPiSE_SF_SF_EESI_SY_SJ_SK_SL_EUlSY_E1_NS1_11comp_targetILNS1_3genE4ELNS1_11target_archE910ELNS1_3gpuE8ELNS1_3repE0EEENS1_36merge_oddeven_config_static_selectorELNS0_4arch9wavefront6targetE0EEEvSK_.num_named_barrier, 0
	.set _ZN7rocprim17ROCPRIM_400000_NS6detail17trampoline_kernelINS0_14default_configENS1_38merge_sort_block_merge_config_selectorIiNS0_10empty_typeEEEZZNS1_27merge_sort_block_merge_implIS3_N6thrust23THRUST_200600_302600_NS6detail15normal_iteratorINS9_10device_ptrIiEEEEPS5_m9comp_mod3IiEEE10hipError_tT0_T1_T2_jT3_P12ihipStream_tbPNSt15iterator_traitsISJ_E10value_typeEPNSP_ISK_E10value_typeEPSL_NS1_7vsmem_tEENKUlT_SJ_SK_SL_E_clIPiSE_SF_SF_EESI_SY_SJ_SK_SL_EUlSY_E1_NS1_11comp_targetILNS1_3genE4ELNS1_11target_archE910ELNS1_3gpuE8ELNS1_3repE0EEENS1_36merge_oddeven_config_static_selectorELNS0_4arch9wavefront6targetE0EEEvSK_.private_seg_size, 0
	.set _ZN7rocprim17ROCPRIM_400000_NS6detail17trampoline_kernelINS0_14default_configENS1_38merge_sort_block_merge_config_selectorIiNS0_10empty_typeEEEZZNS1_27merge_sort_block_merge_implIS3_N6thrust23THRUST_200600_302600_NS6detail15normal_iteratorINS9_10device_ptrIiEEEEPS5_m9comp_mod3IiEEE10hipError_tT0_T1_T2_jT3_P12ihipStream_tbPNSt15iterator_traitsISJ_E10value_typeEPNSP_ISK_E10value_typeEPSL_NS1_7vsmem_tEENKUlT_SJ_SK_SL_E_clIPiSE_SF_SF_EESI_SY_SJ_SK_SL_EUlSY_E1_NS1_11comp_targetILNS1_3genE4ELNS1_11target_archE910ELNS1_3gpuE8ELNS1_3repE0EEENS1_36merge_oddeven_config_static_selectorELNS0_4arch9wavefront6targetE0EEEvSK_.uses_vcc, 0
	.set _ZN7rocprim17ROCPRIM_400000_NS6detail17trampoline_kernelINS0_14default_configENS1_38merge_sort_block_merge_config_selectorIiNS0_10empty_typeEEEZZNS1_27merge_sort_block_merge_implIS3_N6thrust23THRUST_200600_302600_NS6detail15normal_iteratorINS9_10device_ptrIiEEEEPS5_m9comp_mod3IiEEE10hipError_tT0_T1_T2_jT3_P12ihipStream_tbPNSt15iterator_traitsISJ_E10value_typeEPNSP_ISK_E10value_typeEPSL_NS1_7vsmem_tEENKUlT_SJ_SK_SL_E_clIPiSE_SF_SF_EESI_SY_SJ_SK_SL_EUlSY_E1_NS1_11comp_targetILNS1_3genE4ELNS1_11target_archE910ELNS1_3gpuE8ELNS1_3repE0EEENS1_36merge_oddeven_config_static_selectorELNS0_4arch9wavefront6targetE0EEEvSK_.uses_flat_scratch, 0
	.set _ZN7rocprim17ROCPRIM_400000_NS6detail17trampoline_kernelINS0_14default_configENS1_38merge_sort_block_merge_config_selectorIiNS0_10empty_typeEEEZZNS1_27merge_sort_block_merge_implIS3_N6thrust23THRUST_200600_302600_NS6detail15normal_iteratorINS9_10device_ptrIiEEEEPS5_m9comp_mod3IiEEE10hipError_tT0_T1_T2_jT3_P12ihipStream_tbPNSt15iterator_traitsISJ_E10value_typeEPNSP_ISK_E10value_typeEPSL_NS1_7vsmem_tEENKUlT_SJ_SK_SL_E_clIPiSE_SF_SF_EESI_SY_SJ_SK_SL_EUlSY_E1_NS1_11comp_targetILNS1_3genE4ELNS1_11target_archE910ELNS1_3gpuE8ELNS1_3repE0EEENS1_36merge_oddeven_config_static_selectorELNS0_4arch9wavefront6targetE0EEEvSK_.has_dyn_sized_stack, 0
	.set _ZN7rocprim17ROCPRIM_400000_NS6detail17trampoline_kernelINS0_14default_configENS1_38merge_sort_block_merge_config_selectorIiNS0_10empty_typeEEEZZNS1_27merge_sort_block_merge_implIS3_N6thrust23THRUST_200600_302600_NS6detail15normal_iteratorINS9_10device_ptrIiEEEEPS5_m9comp_mod3IiEEE10hipError_tT0_T1_T2_jT3_P12ihipStream_tbPNSt15iterator_traitsISJ_E10value_typeEPNSP_ISK_E10value_typeEPSL_NS1_7vsmem_tEENKUlT_SJ_SK_SL_E_clIPiSE_SF_SF_EESI_SY_SJ_SK_SL_EUlSY_E1_NS1_11comp_targetILNS1_3genE4ELNS1_11target_archE910ELNS1_3gpuE8ELNS1_3repE0EEENS1_36merge_oddeven_config_static_selectorELNS0_4arch9wavefront6targetE0EEEvSK_.has_recursion, 0
	.set _ZN7rocprim17ROCPRIM_400000_NS6detail17trampoline_kernelINS0_14default_configENS1_38merge_sort_block_merge_config_selectorIiNS0_10empty_typeEEEZZNS1_27merge_sort_block_merge_implIS3_N6thrust23THRUST_200600_302600_NS6detail15normal_iteratorINS9_10device_ptrIiEEEEPS5_m9comp_mod3IiEEE10hipError_tT0_T1_T2_jT3_P12ihipStream_tbPNSt15iterator_traitsISJ_E10value_typeEPNSP_ISK_E10value_typeEPSL_NS1_7vsmem_tEENKUlT_SJ_SK_SL_E_clIPiSE_SF_SF_EESI_SY_SJ_SK_SL_EUlSY_E1_NS1_11comp_targetILNS1_3genE4ELNS1_11target_archE910ELNS1_3gpuE8ELNS1_3repE0EEENS1_36merge_oddeven_config_static_selectorELNS0_4arch9wavefront6targetE0EEEvSK_.has_indirect_call, 0
	.section	.AMDGPU.csdata,"",@progbits
; Kernel info:
; codeLenInByte = 0
; TotalNumSgprs: 0
; NumVgprs: 0
; ScratchSize: 0
; MemoryBound: 0
; FloatMode: 240
; IeeeMode: 1
; LDSByteSize: 0 bytes/workgroup (compile time only)
; SGPRBlocks: 0
; VGPRBlocks: 0
; NumSGPRsForWavesPerEU: 1
; NumVGPRsForWavesPerEU: 1
; Occupancy: 16
; WaveLimiterHint : 0
; COMPUTE_PGM_RSRC2:SCRATCH_EN: 0
; COMPUTE_PGM_RSRC2:USER_SGPR: 6
; COMPUTE_PGM_RSRC2:TRAP_HANDLER: 0
; COMPUTE_PGM_RSRC2:TGID_X_EN: 1
; COMPUTE_PGM_RSRC2:TGID_Y_EN: 0
; COMPUTE_PGM_RSRC2:TGID_Z_EN: 0
; COMPUTE_PGM_RSRC2:TIDIG_COMP_CNT: 0
	.section	.text._ZN7rocprim17ROCPRIM_400000_NS6detail17trampoline_kernelINS0_14default_configENS1_38merge_sort_block_merge_config_selectorIiNS0_10empty_typeEEEZZNS1_27merge_sort_block_merge_implIS3_N6thrust23THRUST_200600_302600_NS6detail15normal_iteratorINS9_10device_ptrIiEEEEPS5_m9comp_mod3IiEEE10hipError_tT0_T1_T2_jT3_P12ihipStream_tbPNSt15iterator_traitsISJ_E10value_typeEPNSP_ISK_E10value_typeEPSL_NS1_7vsmem_tEENKUlT_SJ_SK_SL_E_clIPiSE_SF_SF_EESI_SY_SJ_SK_SL_EUlSY_E1_NS1_11comp_targetILNS1_3genE3ELNS1_11target_archE908ELNS1_3gpuE7ELNS1_3repE0EEENS1_36merge_oddeven_config_static_selectorELNS0_4arch9wavefront6targetE0EEEvSK_,"axG",@progbits,_ZN7rocprim17ROCPRIM_400000_NS6detail17trampoline_kernelINS0_14default_configENS1_38merge_sort_block_merge_config_selectorIiNS0_10empty_typeEEEZZNS1_27merge_sort_block_merge_implIS3_N6thrust23THRUST_200600_302600_NS6detail15normal_iteratorINS9_10device_ptrIiEEEEPS5_m9comp_mod3IiEEE10hipError_tT0_T1_T2_jT3_P12ihipStream_tbPNSt15iterator_traitsISJ_E10value_typeEPNSP_ISK_E10value_typeEPSL_NS1_7vsmem_tEENKUlT_SJ_SK_SL_E_clIPiSE_SF_SF_EESI_SY_SJ_SK_SL_EUlSY_E1_NS1_11comp_targetILNS1_3genE3ELNS1_11target_archE908ELNS1_3gpuE7ELNS1_3repE0EEENS1_36merge_oddeven_config_static_selectorELNS0_4arch9wavefront6targetE0EEEvSK_,comdat
	.protected	_ZN7rocprim17ROCPRIM_400000_NS6detail17trampoline_kernelINS0_14default_configENS1_38merge_sort_block_merge_config_selectorIiNS0_10empty_typeEEEZZNS1_27merge_sort_block_merge_implIS3_N6thrust23THRUST_200600_302600_NS6detail15normal_iteratorINS9_10device_ptrIiEEEEPS5_m9comp_mod3IiEEE10hipError_tT0_T1_T2_jT3_P12ihipStream_tbPNSt15iterator_traitsISJ_E10value_typeEPNSP_ISK_E10value_typeEPSL_NS1_7vsmem_tEENKUlT_SJ_SK_SL_E_clIPiSE_SF_SF_EESI_SY_SJ_SK_SL_EUlSY_E1_NS1_11comp_targetILNS1_3genE3ELNS1_11target_archE908ELNS1_3gpuE7ELNS1_3repE0EEENS1_36merge_oddeven_config_static_selectorELNS0_4arch9wavefront6targetE0EEEvSK_ ; -- Begin function _ZN7rocprim17ROCPRIM_400000_NS6detail17trampoline_kernelINS0_14default_configENS1_38merge_sort_block_merge_config_selectorIiNS0_10empty_typeEEEZZNS1_27merge_sort_block_merge_implIS3_N6thrust23THRUST_200600_302600_NS6detail15normal_iteratorINS9_10device_ptrIiEEEEPS5_m9comp_mod3IiEEE10hipError_tT0_T1_T2_jT3_P12ihipStream_tbPNSt15iterator_traitsISJ_E10value_typeEPNSP_ISK_E10value_typeEPSL_NS1_7vsmem_tEENKUlT_SJ_SK_SL_E_clIPiSE_SF_SF_EESI_SY_SJ_SK_SL_EUlSY_E1_NS1_11comp_targetILNS1_3genE3ELNS1_11target_archE908ELNS1_3gpuE7ELNS1_3repE0EEENS1_36merge_oddeven_config_static_selectorELNS0_4arch9wavefront6targetE0EEEvSK_
	.globl	_ZN7rocprim17ROCPRIM_400000_NS6detail17trampoline_kernelINS0_14default_configENS1_38merge_sort_block_merge_config_selectorIiNS0_10empty_typeEEEZZNS1_27merge_sort_block_merge_implIS3_N6thrust23THRUST_200600_302600_NS6detail15normal_iteratorINS9_10device_ptrIiEEEEPS5_m9comp_mod3IiEEE10hipError_tT0_T1_T2_jT3_P12ihipStream_tbPNSt15iterator_traitsISJ_E10value_typeEPNSP_ISK_E10value_typeEPSL_NS1_7vsmem_tEENKUlT_SJ_SK_SL_E_clIPiSE_SF_SF_EESI_SY_SJ_SK_SL_EUlSY_E1_NS1_11comp_targetILNS1_3genE3ELNS1_11target_archE908ELNS1_3gpuE7ELNS1_3repE0EEENS1_36merge_oddeven_config_static_selectorELNS0_4arch9wavefront6targetE0EEEvSK_
	.p2align	8
	.type	_ZN7rocprim17ROCPRIM_400000_NS6detail17trampoline_kernelINS0_14default_configENS1_38merge_sort_block_merge_config_selectorIiNS0_10empty_typeEEEZZNS1_27merge_sort_block_merge_implIS3_N6thrust23THRUST_200600_302600_NS6detail15normal_iteratorINS9_10device_ptrIiEEEEPS5_m9comp_mod3IiEEE10hipError_tT0_T1_T2_jT3_P12ihipStream_tbPNSt15iterator_traitsISJ_E10value_typeEPNSP_ISK_E10value_typeEPSL_NS1_7vsmem_tEENKUlT_SJ_SK_SL_E_clIPiSE_SF_SF_EESI_SY_SJ_SK_SL_EUlSY_E1_NS1_11comp_targetILNS1_3genE3ELNS1_11target_archE908ELNS1_3gpuE7ELNS1_3repE0EEENS1_36merge_oddeven_config_static_selectorELNS0_4arch9wavefront6targetE0EEEvSK_,@function
_ZN7rocprim17ROCPRIM_400000_NS6detail17trampoline_kernelINS0_14default_configENS1_38merge_sort_block_merge_config_selectorIiNS0_10empty_typeEEEZZNS1_27merge_sort_block_merge_implIS3_N6thrust23THRUST_200600_302600_NS6detail15normal_iteratorINS9_10device_ptrIiEEEEPS5_m9comp_mod3IiEEE10hipError_tT0_T1_T2_jT3_P12ihipStream_tbPNSt15iterator_traitsISJ_E10value_typeEPNSP_ISK_E10value_typeEPSL_NS1_7vsmem_tEENKUlT_SJ_SK_SL_E_clIPiSE_SF_SF_EESI_SY_SJ_SK_SL_EUlSY_E1_NS1_11comp_targetILNS1_3genE3ELNS1_11target_archE908ELNS1_3gpuE7ELNS1_3repE0EEENS1_36merge_oddeven_config_static_selectorELNS0_4arch9wavefront6targetE0EEEvSK_: ; @_ZN7rocprim17ROCPRIM_400000_NS6detail17trampoline_kernelINS0_14default_configENS1_38merge_sort_block_merge_config_selectorIiNS0_10empty_typeEEEZZNS1_27merge_sort_block_merge_implIS3_N6thrust23THRUST_200600_302600_NS6detail15normal_iteratorINS9_10device_ptrIiEEEEPS5_m9comp_mod3IiEEE10hipError_tT0_T1_T2_jT3_P12ihipStream_tbPNSt15iterator_traitsISJ_E10value_typeEPNSP_ISK_E10value_typeEPSL_NS1_7vsmem_tEENKUlT_SJ_SK_SL_E_clIPiSE_SF_SF_EESI_SY_SJ_SK_SL_EUlSY_E1_NS1_11comp_targetILNS1_3genE3ELNS1_11target_archE908ELNS1_3gpuE7ELNS1_3repE0EEENS1_36merge_oddeven_config_static_selectorELNS0_4arch9wavefront6targetE0EEEvSK_
; %bb.0:
	.section	.rodata,"a",@progbits
	.p2align	6, 0x0
	.amdhsa_kernel _ZN7rocprim17ROCPRIM_400000_NS6detail17trampoline_kernelINS0_14default_configENS1_38merge_sort_block_merge_config_selectorIiNS0_10empty_typeEEEZZNS1_27merge_sort_block_merge_implIS3_N6thrust23THRUST_200600_302600_NS6detail15normal_iteratorINS9_10device_ptrIiEEEEPS5_m9comp_mod3IiEEE10hipError_tT0_T1_T2_jT3_P12ihipStream_tbPNSt15iterator_traitsISJ_E10value_typeEPNSP_ISK_E10value_typeEPSL_NS1_7vsmem_tEENKUlT_SJ_SK_SL_E_clIPiSE_SF_SF_EESI_SY_SJ_SK_SL_EUlSY_E1_NS1_11comp_targetILNS1_3genE3ELNS1_11target_archE908ELNS1_3gpuE7ELNS1_3repE0EEENS1_36merge_oddeven_config_static_selectorELNS0_4arch9wavefront6targetE0EEEvSK_
		.amdhsa_group_segment_fixed_size 0
		.amdhsa_private_segment_fixed_size 0
		.amdhsa_kernarg_size 56
		.amdhsa_user_sgpr_count 6
		.amdhsa_user_sgpr_private_segment_buffer 1
		.amdhsa_user_sgpr_dispatch_ptr 0
		.amdhsa_user_sgpr_queue_ptr 0
		.amdhsa_user_sgpr_kernarg_segment_ptr 1
		.amdhsa_user_sgpr_dispatch_id 0
		.amdhsa_user_sgpr_flat_scratch_init 0
		.amdhsa_user_sgpr_private_segment_size 0
		.amdhsa_wavefront_size32 1
		.amdhsa_uses_dynamic_stack 0
		.amdhsa_system_sgpr_private_segment_wavefront_offset 0
		.amdhsa_system_sgpr_workgroup_id_x 1
		.amdhsa_system_sgpr_workgroup_id_y 0
		.amdhsa_system_sgpr_workgroup_id_z 0
		.amdhsa_system_sgpr_workgroup_info 0
		.amdhsa_system_vgpr_workitem_id 0
		.amdhsa_next_free_vgpr 1
		.amdhsa_next_free_sgpr 1
		.amdhsa_reserve_vcc 0
		.amdhsa_reserve_flat_scratch 0
		.amdhsa_float_round_mode_32 0
		.amdhsa_float_round_mode_16_64 0
		.amdhsa_float_denorm_mode_32 3
		.amdhsa_float_denorm_mode_16_64 3
		.amdhsa_dx10_clamp 1
		.amdhsa_ieee_mode 1
		.amdhsa_fp16_overflow 0
		.amdhsa_workgroup_processor_mode 1
		.amdhsa_memory_ordered 1
		.amdhsa_forward_progress 1
		.amdhsa_shared_vgpr_count 0
		.amdhsa_exception_fp_ieee_invalid_op 0
		.amdhsa_exception_fp_denorm_src 0
		.amdhsa_exception_fp_ieee_div_zero 0
		.amdhsa_exception_fp_ieee_overflow 0
		.amdhsa_exception_fp_ieee_underflow 0
		.amdhsa_exception_fp_ieee_inexact 0
		.amdhsa_exception_int_div_zero 0
	.end_amdhsa_kernel
	.section	.text._ZN7rocprim17ROCPRIM_400000_NS6detail17trampoline_kernelINS0_14default_configENS1_38merge_sort_block_merge_config_selectorIiNS0_10empty_typeEEEZZNS1_27merge_sort_block_merge_implIS3_N6thrust23THRUST_200600_302600_NS6detail15normal_iteratorINS9_10device_ptrIiEEEEPS5_m9comp_mod3IiEEE10hipError_tT0_T1_T2_jT3_P12ihipStream_tbPNSt15iterator_traitsISJ_E10value_typeEPNSP_ISK_E10value_typeEPSL_NS1_7vsmem_tEENKUlT_SJ_SK_SL_E_clIPiSE_SF_SF_EESI_SY_SJ_SK_SL_EUlSY_E1_NS1_11comp_targetILNS1_3genE3ELNS1_11target_archE908ELNS1_3gpuE7ELNS1_3repE0EEENS1_36merge_oddeven_config_static_selectorELNS0_4arch9wavefront6targetE0EEEvSK_,"axG",@progbits,_ZN7rocprim17ROCPRIM_400000_NS6detail17trampoline_kernelINS0_14default_configENS1_38merge_sort_block_merge_config_selectorIiNS0_10empty_typeEEEZZNS1_27merge_sort_block_merge_implIS3_N6thrust23THRUST_200600_302600_NS6detail15normal_iteratorINS9_10device_ptrIiEEEEPS5_m9comp_mod3IiEEE10hipError_tT0_T1_T2_jT3_P12ihipStream_tbPNSt15iterator_traitsISJ_E10value_typeEPNSP_ISK_E10value_typeEPSL_NS1_7vsmem_tEENKUlT_SJ_SK_SL_E_clIPiSE_SF_SF_EESI_SY_SJ_SK_SL_EUlSY_E1_NS1_11comp_targetILNS1_3genE3ELNS1_11target_archE908ELNS1_3gpuE7ELNS1_3repE0EEENS1_36merge_oddeven_config_static_selectorELNS0_4arch9wavefront6targetE0EEEvSK_,comdat
.Lfunc_end1008:
	.size	_ZN7rocprim17ROCPRIM_400000_NS6detail17trampoline_kernelINS0_14default_configENS1_38merge_sort_block_merge_config_selectorIiNS0_10empty_typeEEEZZNS1_27merge_sort_block_merge_implIS3_N6thrust23THRUST_200600_302600_NS6detail15normal_iteratorINS9_10device_ptrIiEEEEPS5_m9comp_mod3IiEEE10hipError_tT0_T1_T2_jT3_P12ihipStream_tbPNSt15iterator_traitsISJ_E10value_typeEPNSP_ISK_E10value_typeEPSL_NS1_7vsmem_tEENKUlT_SJ_SK_SL_E_clIPiSE_SF_SF_EESI_SY_SJ_SK_SL_EUlSY_E1_NS1_11comp_targetILNS1_3genE3ELNS1_11target_archE908ELNS1_3gpuE7ELNS1_3repE0EEENS1_36merge_oddeven_config_static_selectorELNS0_4arch9wavefront6targetE0EEEvSK_, .Lfunc_end1008-_ZN7rocprim17ROCPRIM_400000_NS6detail17trampoline_kernelINS0_14default_configENS1_38merge_sort_block_merge_config_selectorIiNS0_10empty_typeEEEZZNS1_27merge_sort_block_merge_implIS3_N6thrust23THRUST_200600_302600_NS6detail15normal_iteratorINS9_10device_ptrIiEEEEPS5_m9comp_mod3IiEEE10hipError_tT0_T1_T2_jT3_P12ihipStream_tbPNSt15iterator_traitsISJ_E10value_typeEPNSP_ISK_E10value_typeEPSL_NS1_7vsmem_tEENKUlT_SJ_SK_SL_E_clIPiSE_SF_SF_EESI_SY_SJ_SK_SL_EUlSY_E1_NS1_11comp_targetILNS1_3genE3ELNS1_11target_archE908ELNS1_3gpuE7ELNS1_3repE0EEENS1_36merge_oddeven_config_static_selectorELNS0_4arch9wavefront6targetE0EEEvSK_
                                        ; -- End function
	.set _ZN7rocprim17ROCPRIM_400000_NS6detail17trampoline_kernelINS0_14default_configENS1_38merge_sort_block_merge_config_selectorIiNS0_10empty_typeEEEZZNS1_27merge_sort_block_merge_implIS3_N6thrust23THRUST_200600_302600_NS6detail15normal_iteratorINS9_10device_ptrIiEEEEPS5_m9comp_mod3IiEEE10hipError_tT0_T1_T2_jT3_P12ihipStream_tbPNSt15iterator_traitsISJ_E10value_typeEPNSP_ISK_E10value_typeEPSL_NS1_7vsmem_tEENKUlT_SJ_SK_SL_E_clIPiSE_SF_SF_EESI_SY_SJ_SK_SL_EUlSY_E1_NS1_11comp_targetILNS1_3genE3ELNS1_11target_archE908ELNS1_3gpuE7ELNS1_3repE0EEENS1_36merge_oddeven_config_static_selectorELNS0_4arch9wavefront6targetE0EEEvSK_.num_vgpr, 0
	.set _ZN7rocprim17ROCPRIM_400000_NS6detail17trampoline_kernelINS0_14default_configENS1_38merge_sort_block_merge_config_selectorIiNS0_10empty_typeEEEZZNS1_27merge_sort_block_merge_implIS3_N6thrust23THRUST_200600_302600_NS6detail15normal_iteratorINS9_10device_ptrIiEEEEPS5_m9comp_mod3IiEEE10hipError_tT0_T1_T2_jT3_P12ihipStream_tbPNSt15iterator_traitsISJ_E10value_typeEPNSP_ISK_E10value_typeEPSL_NS1_7vsmem_tEENKUlT_SJ_SK_SL_E_clIPiSE_SF_SF_EESI_SY_SJ_SK_SL_EUlSY_E1_NS1_11comp_targetILNS1_3genE3ELNS1_11target_archE908ELNS1_3gpuE7ELNS1_3repE0EEENS1_36merge_oddeven_config_static_selectorELNS0_4arch9wavefront6targetE0EEEvSK_.num_agpr, 0
	.set _ZN7rocprim17ROCPRIM_400000_NS6detail17trampoline_kernelINS0_14default_configENS1_38merge_sort_block_merge_config_selectorIiNS0_10empty_typeEEEZZNS1_27merge_sort_block_merge_implIS3_N6thrust23THRUST_200600_302600_NS6detail15normal_iteratorINS9_10device_ptrIiEEEEPS5_m9comp_mod3IiEEE10hipError_tT0_T1_T2_jT3_P12ihipStream_tbPNSt15iterator_traitsISJ_E10value_typeEPNSP_ISK_E10value_typeEPSL_NS1_7vsmem_tEENKUlT_SJ_SK_SL_E_clIPiSE_SF_SF_EESI_SY_SJ_SK_SL_EUlSY_E1_NS1_11comp_targetILNS1_3genE3ELNS1_11target_archE908ELNS1_3gpuE7ELNS1_3repE0EEENS1_36merge_oddeven_config_static_selectorELNS0_4arch9wavefront6targetE0EEEvSK_.numbered_sgpr, 0
	.set _ZN7rocprim17ROCPRIM_400000_NS6detail17trampoline_kernelINS0_14default_configENS1_38merge_sort_block_merge_config_selectorIiNS0_10empty_typeEEEZZNS1_27merge_sort_block_merge_implIS3_N6thrust23THRUST_200600_302600_NS6detail15normal_iteratorINS9_10device_ptrIiEEEEPS5_m9comp_mod3IiEEE10hipError_tT0_T1_T2_jT3_P12ihipStream_tbPNSt15iterator_traitsISJ_E10value_typeEPNSP_ISK_E10value_typeEPSL_NS1_7vsmem_tEENKUlT_SJ_SK_SL_E_clIPiSE_SF_SF_EESI_SY_SJ_SK_SL_EUlSY_E1_NS1_11comp_targetILNS1_3genE3ELNS1_11target_archE908ELNS1_3gpuE7ELNS1_3repE0EEENS1_36merge_oddeven_config_static_selectorELNS0_4arch9wavefront6targetE0EEEvSK_.num_named_barrier, 0
	.set _ZN7rocprim17ROCPRIM_400000_NS6detail17trampoline_kernelINS0_14default_configENS1_38merge_sort_block_merge_config_selectorIiNS0_10empty_typeEEEZZNS1_27merge_sort_block_merge_implIS3_N6thrust23THRUST_200600_302600_NS6detail15normal_iteratorINS9_10device_ptrIiEEEEPS5_m9comp_mod3IiEEE10hipError_tT0_T1_T2_jT3_P12ihipStream_tbPNSt15iterator_traitsISJ_E10value_typeEPNSP_ISK_E10value_typeEPSL_NS1_7vsmem_tEENKUlT_SJ_SK_SL_E_clIPiSE_SF_SF_EESI_SY_SJ_SK_SL_EUlSY_E1_NS1_11comp_targetILNS1_3genE3ELNS1_11target_archE908ELNS1_3gpuE7ELNS1_3repE0EEENS1_36merge_oddeven_config_static_selectorELNS0_4arch9wavefront6targetE0EEEvSK_.private_seg_size, 0
	.set _ZN7rocprim17ROCPRIM_400000_NS6detail17trampoline_kernelINS0_14default_configENS1_38merge_sort_block_merge_config_selectorIiNS0_10empty_typeEEEZZNS1_27merge_sort_block_merge_implIS3_N6thrust23THRUST_200600_302600_NS6detail15normal_iteratorINS9_10device_ptrIiEEEEPS5_m9comp_mod3IiEEE10hipError_tT0_T1_T2_jT3_P12ihipStream_tbPNSt15iterator_traitsISJ_E10value_typeEPNSP_ISK_E10value_typeEPSL_NS1_7vsmem_tEENKUlT_SJ_SK_SL_E_clIPiSE_SF_SF_EESI_SY_SJ_SK_SL_EUlSY_E1_NS1_11comp_targetILNS1_3genE3ELNS1_11target_archE908ELNS1_3gpuE7ELNS1_3repE0EEENS1_36merge_oddeven_config_static_selectorELNS0_4arch9wavefront6targetE0EEEvSK_.uses_vcc, 0
	.set _ZN7rocprim17ROCPRIM_400000_NS6detail17trampoline_kernelINS0_14default_configENS1_38merge_sort_block_merge_config_selectorIiNS0_10empty_typeEEEZZNS1_27merge_sort_block_merge_implIS3_N6thrust23THRUST_200600_302600_NS6detail15normal_iteratorINS9_10device_ptrIiEEEEPS5_m9comp_mod3IiEEE10hipError_tT0_T1_T2_jT3_P12ihipStream_tbPNSt15iterator_traitsISJ_E10value_typeEPNSP_ISK_E10value_typeEPSL_NS1_7vsmem_tEENKUlT_SJ_SK_SL_E_clIPiSE_SF_SF_EESI_SY_SJ_SK_SL_EUlSY_E1_NS1_11comp_targetILNS1_3genE3ELNS1_11target_archE908ELNS1_3gpuE7ELNS1_3repE0EEENS1_36merge_oddeven_config_static_selectorELNS0_4arch9wavefront6targetE0EEEvSK_.uses_flat_scratch, 0
	.set _ZN7rocprim17ROCPRIM_400000_NS6detail17trampoline_kernelINS0_14default_configENS1_38merge_sort_block_merge_config_selectorIiNS0_10empty_typeEEEZZNS1_27merge_sort_block_merge_implIS3_N6thrust23THRUST_200600_302600_NS6detail15normal_iteratorINS9_10device_ptrIiEEEEPS5_m9comp_mod3IiEEE10hipError_tT0_T1_T2_jT3_P12ihipStream_tbPNSt15iterator_traitsISJ_E10value_typeEPNSP_ISK_E10value_typeEPSL_NS1_7vsmem_tEENKUlT_SJ_SK_SL_E_clIPiSE_SF_SF_EESI_SY_SJ_SK_SL_EUlSY_E1_NS1_11comp_targetILNS1_3genE3ELNS1_11target_archE908ELNS1_3gpuE7ELNS1_3repE0EEENS1_36merge_oddeven_config_static_selectorELNS0_4arch9wavefront6targetE0EEEvSK_.has_dyn_sized_stack, 0
	.set _ZN7rocprim17ROCPRIM_400000_NS6detail17trampoline_kernelINS0_14default_configENS1_38merge_sort_block_merge_config_selectorIiNS0_10empty_typeEEEZZNS1_27merge_sort_block_merge_implIS3_N6thrust23THRUST_200600_302600_NS6detail15normal_iteratorINS9_10device_ptrIiEEEEPS5_m9comp_mod3IiEEE10hipError_tT0_T1_T2_jT3_P12ihipStream_tbPNSt15iterator_traitsISJ_E10value_typeEPNSP_ISK_E10value_typeEPSL_NS1_7vsmem_tEENKUlT_SJ_SK_SL_E_clIPiSE_SF_SF_EESI_SY_SJ_SK_SL_EUlSY_E1_NS1_11comp_targetILNS1_3genE3ELNS1_11target_archE908ELNS1_3gpuE7ELNS1_3repE0EEENS1_36merge_oddeven_config_static_selectorELNS0_4arch9wavefront6targetE0EEEvSK_.has_recursion, 0
	.set _ZN7rocprim17ROCPRIM_400000_NS6detail17trampoline_kernelINS0_14default_configENS1_38merge_sort_block_merge_config_selectorIiNS0_10empty_typeEEEZZNS1_27merge_sort_block_merge_implIS3_N6thrust23THRUST_200600_302600_NS6detail15normal_iteratorINS9_10device_ptrIiEEEEPS5_m9comp_mod3IiEEE10hipError_tT0_T1_T2_jT3_P12ihipStream_tbPNSt15iterator_traitsISJ_E10value_typeEPNSP_ISK_E10value_typeEPSL_NS1_7vsmem_tEENKUlT_SJ_SK_SL_E_clIPiSE_SF_SF_EESI_SY_SJ_SK_SL_EUlSY_E1_NS1_11comp_targetILNS1_3genE3ELNS1_11target_archE908ELNS1_3gpuE7ELNS1_3repE0EEENS1_36merge_oddeven_config_static_selectorELNS0_4arch9wavefront6targetE0EEEvSK_.has_indirect_call, 0
	.section	.AMDGPU.csdata,"",@progbits
; Kernel info:
; codeLenInByte = 0
; TotalNumSgprs: 0
; NumVgprs: 0
; ScratchSize: 0
; MemoryBound: 0
; FloatMode: 240
; IeeeMode: 1
; LDSByteSize: 0 bytes/workgroup (compile time only)
; SGPRBlocks: 0
; VGPRBlocks: 0
; NumSGPRsForWavesPerEU: 1
; NumVGPRsForWavesPerEU: 1
; Occupancy: 16
; WaveLimiterHint : 0
; COMPUTE_PGM_RSRC2:SCRATCH_EN: 0
; COMPUTE_PGM_RSRC2:USER_SGPR: 6
; COMPUTE_PGM_RSRC2:TRAP_HANDLER: 0
; COMPUTE_PGM_RSRC2:TGID_X_EN: 1
; COMPUTE_PGM_RSRC2:TGID_Y_EN: 0
; COMPUTE_PGM_RSRC2:TGID_Z_EN: 0
; COMPUTE_PGM_RSRC2:TIDIG_COMP_CNT: 0
	.section	.text._ZN7rocprim17ROCPRIM_400000_NS6detail17trampoline_kernelINS0_14default_configENS1_38merge_sort_block_merge_config_selectorIiNS0_10empty_typeEEEZZNS1_27merge_sort_block_merge_implIS3_N6thrust23THRUST_200600_302600_NS6detail15normal_iteratorINS9_10device_ptrIiEEEEPS5_m9comp_mod3IiEEE10hipError_tT0_T1_T2_jT3_P12ihipStream_tbPNSt15iterator_traitsISJ_E10value_typeEPNSP_ISK_E10value_typeEPSL_NS1_7vsmem_tEENKUlT_SJ_SK_SL_E_clIPiSE_SF_SF_EESI_SY_SJ_SK_SL_EUlSY_E1_NS1_11comp_targetILNS1_3genE2ELNS1_11target_archE906ELNS1_3gpuE6ELNS1_3repE0EEENS1_36merge_oddeven_config_static_selectorELNS0_4arch9wavefront6targetE0EEEvSK_,"axG",@progbits,_ZN7rocprim17ROCPRIM_400000_NS6detail17trampoline_kernelINS0_14default_configENS1_38merge_sort_block_merge_config_selectorIiNS0_10empty_typeEEEZZNS1_27merge_sort_block_merge_implIS3_N6thrust23THRUST_200600_302600_NS6detail15normal_iteratorINS9_10device_ptrIiEEEEPS5_m9comp_mod3IiEEE10hipError_tT0_T1_T2_jT3_P12ihipStream_tbPNSt15iterator_traitsISJ_E10value_typeEPNSP_ISK_E10value_typeEPSL_NS1_7vsmem_tEENKUlT_SJ_SK_SL_E_clIPiSE_SF_SF_EESI_SY_SJ_SK_SL_EUlSY_E1_NS1_11comp_targetILNS1_3genE2ELNS1_11target_archE906ELNS1_3gpuE6ELNS1_3repE0EEENS1_36merge_oddeven_config_static_selectorELNS0_4arch9wavefront6targetE0EEEvSK_,comdat
	.protected	_ZN7rocprim17ROCPRIM_400000_NS6detail17trampoline_kernelINS0_14default_configENS1_38merge_sort_block_merge_config_selectorIiNS0_10empty_typeEEEZZNS1_27merge_sort_block_merge_implIS3_N6thrust23THRUST_200600_302600_NS6detail15normal_iteratorINS9_10device_ptrIiEEEEPS5_m9comp_mod3IiEEE10hipError_tT0_T1_T2_jT3_P12ihipStream_tbPNSt15iterator_traitsISJ_E10value_typeEPNSP_ISK_E10value_typeEPSL_NS1_7vsmem_tEENKUlT_SJ_SK_SL_E_clIPiSE_SF_SF_EESI_SY_SJ_SK_SL_EUlSY_E1_NS1_11comp_targetILNS1_3genE2ELNS1_11target_archE906ELNS1_3gpuE6ELNS1_3repE0EEENS1_36merge_oddeven_config_static_selectorELNS0_4arch9wavefront6targetE0EEEvSK_ ; -- Begin function _ZN7rocprim17ROCPRIM_400000_NS6detail17trampoline_kernelINS0_14default_configENS1_38merge_sort_block_merge_config_selectorIiNS0_10empty_typeEEEZZNS1_27merge_sort_block_merge_implIS3_N6thrust23THRUST_200600_302600_NS6detail15normal_iteratorINS9_10device_ptrIiEEEEPS5_m9comp_mod3IiEEE10hipError_tT0_T1_T2_jT3_P12ihipStream_tbPNSt15iterator_traitsISJ_E10value_typeEPNSP_ISK_E10value_typeEPSL_NS1_7vsmem_tEENKUlT_SJ_SK_SL_E_clIPiSE_SF_SF_EESI_SY_SJ_SK_SL_EUlSY_E1_NS1_11comp_targetILNS1_3genE2ELNS1_11target_archE906ELNS1_3gpuE6ELNS1_3repE0EEENS1_36merge_oddeven_config_static_selectorELNS0_4arch9wavefront6targetE0EEEvSK_
	.globl	_ZN7rocprim17ROCPRIM_400000_NS6detail17trampoline_kernelINS0_14default_configENS1_38merge_sort_block_merge_config_selectorIiNS0_10empty_typeEEEZZNS1_27merge_sort_block_merge_implIS3_N6thrust23THRUST_200600_302600_NS6detail15normal_iteratorINS9_10device_ptrIiEEEEPS5_m9comp_mod3IiEEE10hipError_tT0_T1_T2_jT3_P12ihipStream_tbPNSt15iterator_traitsISJ_E10value_typeEPNSP_ISK_E10value_typeEPSL_NS1_7vsmem_tEENKUlT_SJ_SK_SL_E_clIPiSE_SF_SF_EESI_SY_SJ_SK_SL_EUlSY_E1_NS1_11comp_targetILNS1_3genE2ELNS1_11target_archE906ELNS1_3gpuE6ELNS1_3repE0EEENS1_36merge_oddeven_config_static_selectorELNS0_4arch9wavefront6targetE0EEEvSK_
	.p2align	8
	.type	_ZN7rocprim17ROCPRIM_400000_NS6detail17trampoline_kernelINS0_14default_configENS1_38merge_sort_block_merge_config_selectorIiNS0_10empty_typeEEEZZNS1_27merge_sort_block_merge_implIS3_N6thrust23THRUST_200600_302600_NS6detail15normal_iteratorINS9_10device_ptrIiEEEEPS5_m9comp_mod3IiEEE10hipError_tT0_T1_T2_jT3_P12ihipStream_tbPNSt15iterator_traitsISJ_E10value_typeEPNSP_ISK_E10value_typeEPSL_NS1_7vsmem_tEENKUlT_SJ_SK_SL_E_clIPiSE_SF_SF_EESI_SY_SJ_SK_SL_EUlSY_E1_NS1_11comp_targetILNS1_3genE2ELNS1_11target_archE906ELNS1_3gpuE6ELNS1_3repE0EEENS1_36merge_oddeven_config_static_selectorELNS0_4arch9wavefront6targetE0EEEvSK_,@function
_ZN7rocprim17ROCPRIM_400000_NS6detail17trampoline_kernelINS0_14default_configENS1_38merge_sort_block_merge_config_selectorIiNS0_10empty_typeEEEZZNS1_27merge_sort_block_merge_implIS3_N6thrust23THRUST_200600_302600_NS6detail15normal_iteratorINS9_10device_ptrIiEEEEPS5_m9comp_mod3IiEEE10hipError_tT0_T1_T2_jT3_P12ihipStream_tbPNSt15iterator_traitsISJ_E10value_typeEPNSP_ISK_E10value_typeEPSL_NS1_7vsmem_tEENKUlT_SJ_SK_SL_E_clIPiSE_SF_SF_EESI_SY_SJ_SK_SL_EUlSY_E1_NS1_11comp_targetILNS1_3genE2ELNS1_11target_archE906ELNS1_3gpuE6ELNS1_3repE0EEENS1_36merge_oddeven_config_static_selectorELNS0_4arch9wavefront6targetE0EEEvSK_: ; @_ZN7rocprim17ROCPRIM_400000_NS6detail17trampoline_kernelINS0_14default_configENS1_38merge_sort_block_merge_config_selectorIiNS0_10empty_typeEEEZZNS1_27merge_sort_block_merge_implIS3_N6thrust23THRUST_200600_302600_NS6detail15normal_iteratorINS9_10device_ptrIiEEEEPS5_m9comp_mod3IiEEE10hipError_tT0_T1_T2_jT3_P12ihipStream_tbPNSt15iterator_traitsISJ_E10value_typeEPNSP_ISK_E10value_typeEPSL_NS1_7vsmem_tEENKUlT_SJ_SK_SL_E_clIPiSE_SF_SF_EESI_SY_SJ_SK_SL_EUlSY_E1_NS1_11comp_targetILNS1_3genE2ELNS1_11target_archE906ELNS1_3gpuE6ELNS1_3repE0EEENS1_36merge_oddeven_config_static_selectorELNS0_4arch9wavefront6targetE0EEEvSK_
; %bb.0:
	.section	.rodata,"a",@progbits
	.p2align	6, 0x0
	.amdhsa_kernel _ZN7rocprim17ROCPRIM_400000_NS6detail17trampoline_kernelINS0_14default_configENS1_38merge_sort_block_merge_config_selectorIiNS0_10empty_typeEEEZZNS1_27merge_sort_block_merge_implIS3_N6thrust23THRUST_200600_302600_NS6detail15normal_iteratorINS9_10device_ptrIiEEEEPS5_m9comp_mod3IiEEE10hipError_tT0_T1_T2_jT3_P12ihipStream_tbPNSt15iterator_traitsISJ_E10value_typeEPNSP_ISK_E10value_typeEPSL_NS1_7vsmem_tEENKUlT_SJ_SK_SL_E_clIPiSE_SF_SF_EESI_SY_SJ_SK_SL_EUlSY_E1_NS1_11comp_targetILNS1_3genE2ELNS1_11target_archE906ELNS1_3gpuE6ELNS1_3repE0EEENS1_36merge_oddeven_config_static_selectorELNS0_4arch9wavefront6targetE0EEEvSK_
		.amdhsa_group_segment_fixed_size 0
		.amdhsa_private_segment_fixed_size 0
		.amdhsa_kernarg_size 56
		.amdhsa_user_sgpr_count 6
		.amdhsa_user_sgpr_private_segment_buffer 1
		.amdhsa_user_sgpr_dispatch_ptr 0
		.amdhsa_user_sgpr_queue_ptr 0
		.amdhsa_user_sgpr_kernarg_segment_ptr 1
		.amdhsa_user_sgpr_dispatch_id 0
		.amdhsa_user_sgpr_flat_scratch_init 0
		.amdhsa_user_sgpr_private_segment_size 0
		.amdhsa_wavefront_size32 1
		.amdhsa_uses_dynamic_stack 0
		.amdhsa_system_sgpr_private_segment_wavefront_offset 0
		.amdhsa_system_sgpr_workgroup_id_x 1
		.amdhsa_system_sgpr_workgroup_id_y 0
		.amdhsa_system_sgpr_workgroup_id_z 0
		.amdhsa_system_sgpr_workgroup_info 0
		.amdhsa_system_vgpr_workitem_id 0
		.amdhsa_next_free_vgpr 1
		.amdhsa_next_free_sgpr 1
		.amdhsa_reserve_vcc 0
		.amdhsa_reserve_flat_scratch 0
		.amdhsa_float_round_mode_32 0
		.amdhsa_float_round_mode_16_64 0
		.amdhsa_float_denorm_mode_32 3
		.amdhsa_float_denorm_mode_16_64 3
		.amdhsa_dx10_clamp 1
		.amdhsa_ieee_mode 1
		.amdhsa_fp16_overflow 0
		.amdhsa_workgroup_processor_mode 1
		.amdhsa_memory_ordered 1
		.amdhsa_forward_progress 1
		.amdhsa_shared_vgpr_count 0
		.amdhsa_exception_fp_ieee_invalid_op 0
		.amdhsa_exception_fp_denorm_src 0
		.amdhsa_exception_fp_ieee_div_zero 0
		.amdhsa_exception_fp_ieee_overflow 0
		.amdhsa_exception_fp_ieee_underflow 0
		.amdhsa_exception_fp_ieee_inexact 0
		.amdhsa_exception_int_div_zero 0
	.end_amdhsa_kernel
	.section	.text._ZN7rocprim17ROCPRIM_400000_NS6detail17trampoline_kernelINS0_14default_configENS1_38merge_sort_block_merge_config_selectorIiNS0_10empty_typeEEEZZNS1_27merge_sort_block_merge_implIS3_N6thrust23THRUST_200600_302600_NS6detail15normal_iteratorINS9_10device_ptrIiEEEEPS5_m9comp_mod3IiEEE10hipError_tT0_T1_T2_jT3_P12ihipStream_tbPNSt15iterator_traitsISJ_E10value_typeEPNSP_ISK_E10value_typeEPSL_NS1_7vsmem_tEENKUlT_SJ_SK_SL_E_clIPiSE_SF_SF_EESI_SY_SJ_SK_SL_EUlSY_E1_NS1_11comp_targetILNS1_3genE2ELNS1_11target_archE906ELNS1_3gpuE6ELNS1_3repE0EEENS1_36merge_oddeven_config_static_selectorELNS0_4arch9wavefront6targetE0EEEvSK_,"axG",@progbits,_ZN7rocprim17ROCPRIM_400000_NS6detail17trampoline_kernelINS0_14default_configENS1_38merge_sort_block_merge_config_selectorIiNS0_10empty_typeEEEZZNS1_27merge_sort_block_merge_implIS3_N6thrust23THRUST_200600_302600_NS6detail15normal_iteratorINS9_10device_ptrIiEEEEPS5_m9comp_mod3IiEEE10hipError_tT0_T1_T2_jT3_P12ihipStream_tbPNSt15iterator_traitsISJ_E10value_typeEPNSP_ISK_E10value_typeEPSL_NS1_7vsmem_tEENKUlT_SJ_SK_SL_E_clIPiSE_SF_SF_EESI_SY_SJ_SK_SL_EUlSY_E1_NS1_11comp_targetILNS1_3genE2ELNS1_11target_archE906ELNS1_3gpuE6ELNS1_3repE0EEENS1_36merge_oddeven_config_static_selectorELNS0_4arch9wavefront6targetE0EEEvSK_,comdat
.Lfunc_end1009:
	.size	_ZN7rocprim17ROCPRIM_400000_NS6detail17trampoline_kernelINS0_14default_configENS1_38merge_sort_block_merge_config_selectorIiNS0_10empty_typeEEEZZNS1_27merge_sort_block_merge_implIS3_N6thrust23THRUST_200600_302600_NS6detail15normal_iteratorINS9_10device_ptrIiEEEEPS5_m9comp_mod3IiEEE10hipError_tT0_T1_T2_jT3_P12ihipStream_tbPNSt15iterator_traitsISJ_E10value_typeEPNSP_ISK_E10value_typeEPSL_NS1_7vsmem_tEENKUlT_SJ_SK_SL_E_clIPiSE_SF_SF_EESI_SY_SJ_SK_SL_EUlSY_E1_NS1_11comp_targetILNS1_3genE2ELNS1_11target_archE906ELNS1_3gpuE6ELNS1_3repE0EEENS1_36merge_oddeven_config_static_selectorELNS0_4arch9wavefront6targetE0EEEvSK_, .Lfunc_end1009-_ZN7rocprim17ROCPRIM_400000_NS6detail17trampoline_kernelINS0_14default_configENS1_38merge_sort_block_merge_config_selectorIiNS0_10empty_typeEEEZZNS1_27merge_sort_block_merge_implIS3_N6thrust23THRUST_200600_302600_NS6detail15normal_iteratorINS9_10device_ptrIiEEEEPS5_m9comp_mod3IiEEE10hipError_tT0_T1_T2_jT3_P12ihipStream_tbPNSt15iterator_traitsISJ_E10value_typeEPNSP_ISK_E10value_typeEPSL_NS1_7vsmem_tEENKUlT_SJ_SK_SL_E_clIPiSE_SF_SF_EESI_SY_SJ_SK_SL_EUlSY_E1_NS1_11comp_targetILNS1_3genE2ELNS1_11target_archE906ELNS1_3gpuE6ELNS1_3repE0EEENS1_36merge_oddeven_config_static_selectorELNS0_4arch9wavefront6targetE0EEEvSK_
                                        ; -- End function
	.set _ZN7rocprim17ROCPRIM_400000_NS6detail17trampoline_kernelINS0_14default_configENS1_38merge_sort_block_merge_config_selectorIiNS0_10empty_typeEEEZZNS1_27merge_sort_block_merge_implIS3_N6thrust23THRUST_200600_302600_NS6detail15normal_iteratorINS9_10device_ptrIiEEEEPS5_m9comp_mod3IiEEE10hipError_tT0_T1_T2_jT3_P12ihipStream_tbPNSt15iterator_traitsISJ_E10value_typeEPNSP_ISK_E10value_typeEPSL_NS1_7vsmem_tEENKUlT_SJ_SK_SL_E_clIPiSE_SF_SF_EESI_SY_SJ_SK_SL_EUlSY_E1_NS1_11comp_targetILNS1_3genE2ELNS1_11target_archE906ELNS1_3gpuE6ELNS1_3repE0EEENS1_36merge_oddeven_config_static_selectorELNS0_4arch9wavefront6targetE0EEEvSK_.num_vgpr, 0
	.set _ZN7rocprim17ROCPRIM_400000_NS6detail17trampoline_kernelINS0_14default_configENS1_38merge_sort_block_merge_config_selectorIiNS0_10empty_typeEEEZZNS1_27merge_sort_block_merge_implIS3_N6thrust23THRUST_200600_302600_NS6detail15normal_iteratorINS9_10device_ptrIiEEEEPS5_m9comp_mod3IiEEE10hipError_tT0_T1_T2_jT3_P12ihipStream_tbPNSt15iterator_traitsISJ_E10value_typeEPNSP_ISK_E10value_typeEPSL_NS1_7vsmem_tEENKUlT_SJ_SK_SL_E_clIPiSE_SF_SF_EESI_SY_SJ_SK_SL_EUlSY_E1_NS1_11comp_targetILNS1_3genE2ELNS1_11target_archE906ELNS1_3gpuE6ELNS1_3repE0EEENS1_36merge_oddeven_config_static_selectorELNS0_4arch9wavefront6targetE0EEEvSK_.num_agpr, 0
	.set _ZN7rocprim17ROCPRIM_400000_NS6detail17trampoline_kernelINS0_14default_configENS1_38merge_sort_block_merge_config_selectorIiNS0_10empty_typeEEEZZNS1_27merge_sort_block_merge_implIS3_N6thrust23THRUST_200600_302600_NS6detail15normal_iteratorINS9_10device_ptrIiEEEEPS5_m9comp_mod3IiEEE10hipError_tT0_T1_T2_jT3_P12ihipStream_tbPNSt15iterator_traitsISJ_E10value_typeEPNSP_ISK_E10value_typeEPSL_NS1_7vsmem_tEENKUlT_SJ_SK_SL_E_clIPiSE_SF_SF_EESI_SY_SJ_SK_SL_EUlSY_E1_NS1_11comp_targetILNS1_3genE2ELNS1_11target_archE906ELNS1_3gpuE6ELNS1_3repE0EEENS1_36merge_oddeven_config_static_selectorELNS0_4arch9wavefront6targetE0EEEvSK_.numbered_sgpr, 0
	.set _ZN7rocprim17ROCPRIM_400000_NS6detail17trampoline_kernelINS0_14default_configENS1_38merge_sort_block_merge_config_selectorIiNS0_10empty_typeEEEZZNS1_27merge_sort_block_merge_implIS3_N6thrust23THRUST_200600_302600_NS6detail15normal_iteratorINS9_10device_ptrIiEEEEPS5_m9comp_mod3IiEEE10hipError_tT0_T1_T2_jT3_P12ihipStream_tbPNSt15iterator_traitsISJ_E10value_typeEPNSP_ISK_E10value_typeEPSL_NS1_7vsmem_tEENKUlT_SJ_SK_SL_E_clIPiSE_SF_SF_EESI_SY_SJ_SK_SL_EUlSY_E1_NS1_11comp_targetILNS1_3genE2ELNS1_11target_archE906ELNS1_3gpuE6ELNS1_3repE0EEENS1_36merge_oddeven_config_static_selectorELNS0_4arch9wavefront6targetE0EEEvSK_.num_named_barrier, 0
	.set _ZN7rocprim17ROCPRIM_400000_NS6detail17trampoline_kernelINS0_14default_configENS1_38merge_sort_block_merge_config_selectorIiNS0_10empty_typeEEEZZNS1_27merge_sort_block_merge_implIS3_N6thrust23THRUST_200600_302600_NS6detail15normal_iteratorINS9_10device_ptrIiEEEEPS5_m9comp_mod3IiEEE10hipError_tT0_T1_T2_jT3_P12ihipStream_tbPNSt15iterator_traitsISJ_E10value_typeEPNSP_ISK_E10value_typeEPSL_NS1_7vsmem_tEENKUlT_SJ_SK_SL_E_clIPiSE_SF_SF_EESI_SY_SJ_SK_SL_EUlSY_E1_NS1_11comp_targetILNS1_3genE2ELNS1_11target_archE906ELNS1_3gpuE6ELNS1_3repE0EEENS1_36merge_oddeven_config_static_selectorELNS0_4arch9wavefront6targetE0EEEvSK_.private_seg_size, 0
	.set _ZN7rocprim17ROCPRIM_400000_NS6detail17trampoline_kernelINS0_14default_configENS1_38merge_sort_block_merge_config_selectorIiNS0_10empty_typeEEEZZNS1_27merge_sort_block_merge_implIS3_N6thrust23THRUST_200600_302600_NS6detail15normal_iteratorINS9_10device_ptrIiEEEEPS5_m9comp_mod3IiEEE10hipError_tT0_T1_T2_jT3_P12ihipStream_tbPNSt15iterator_traitsISJ_E10value_typeEPNSP_ISK_E10value_typeEPSL_NS1_7vsmem_tEENKUlT_SJ_SK_SL_E_clIPiSE_SF_SF_EESI_SY_SJ_SK_SL_EUlSY_E1_NS1_11comp_targetILNS1_3genE2ELNS1_11target_archE906ELNS1_3gpuE6ELNS1_3repE0EEENS1_36merge_oddeven_config_static_selectorELNS0_4arch9wavefront6targetE0EEEvSK_.uses_vcc, 0
	.set _ZN7rocprim17ROCPRIM_400000_NS6detail17trampoline_kernelINS0_14default_configENS1_38merge_sort_block_merge_config_selectorIiNS0_10empty_typeEEEZZNS1_27merge_sort_block_merge_implIS3_N6thrust23THRUST_200600_302600_NS6detail15normal_iteratorINS9_10device_ptrIiEEEEPS5_m9comp_mod3IiEEE10hipError_tT0_T1_T2_jT3_P12ihipStream_tbPNSt15iterator_traitsISJ_E10value_typeEPNSP_ISK_E10value_typeEPSL_NS1_7vsmem_tEENKUlT_SJ_SK_SL_E_clIPiSE_SF_SF_EESI_SY_SJ_SK_SL_EUlSY_E1_NS1_11comp_targetILNS1_3genE2ELNS1_11target_archE906ELNS1_3gpuE6ELNS1_3repE0EEENS1_36merge_oddeven_config_static_selectorELNS0_4arch9wavefront6targetE0EEEvSK_.uses_flat_scratch, 0
	.set _ZN7rocprim17ROCPRIM_400000_NS6detail17trampoline_kernelINS0_14default_configENS1_38merge_sort_block_merge_config_selectorIiNS0_10empty_typeEEEZZNS1_27merge_sort_block_merge_implIS3_N6thrust23THRUST_200600_302600_NS6detail15normal_iteratorINS9_10device_ptrIiEEEEPS5_m9comp_mod3IiEEE10hipError_tT0_T1_T2_jT3_P12ihipStream_tbPNSt15iterator_traitsISJ_E10value_typeEPNSP_ISK_E10value_typeEPSL_NS1_7vsmem_tEENKUlT_SJ_SK_SL_E_clIPiSE_SF_SF_EESI_SY_SJ_SK_SL_EUlSY_E1_NS1_11comp_targetILNS1_3genE2ELNS1_11target_archE906ELNS1_3gpuE6ELNS1_3repE0EEENS1_36merge_oddeven_config_static_selectorELNS0_4arch9wavefront6targetE0EEEvSK_.has_dyn_sized_stack, 0
	.set _ZN7rocprim17ROCPRIM_400000_NS6detail17trampoline_kernelINS0_14default_configENS1_38merge_sort_block_merge_config_selectorIiNS0_10empty_typeEEEZZNS1_27merge_sort_block_merge_implIS3_N6thrust23THRUST_200600_302600_NS6detail15normal_iteratorINS9_10device_ptrIiEEEEPS5_m9comp_mod3IiEEE10hipError_tT0_T1_T2_jT3_P12ihipStream_tbPNSt15iterator_traitsISJ_E10value_typeEPNSP_ISK_E10value_typeEPSL_NS1_7vsmem_tEENKUlT_SJ_SK_SL_E_clIPiSE_SF_SF_EESI_SY_SJ_SK_SL_EUlSY_E1_NS1_11comp_targetILNS1_3genE2ELNS1_11target_archE906ELNS1_3gpuE6ELNS1_3repE0EEENS1_36merge_oddeven_config_static_selectorELNS0_4arch9wavefront6targetE0EEEvSK_.has_recursion, 0
	.set _ZN7rocprim17ROCPRIM_400000_NS6detail17trampoline_kernelINS0_14default_configENS1_38merge_sort_block_merge_config_selectorIiNS0_10empty_typeEEEZZNS1_27merge_sort_block_merge_implIS3_N6thrust23THRUST_200600_302600_NS6detail15normal_iteratorINS9_10device_ptrIiEEEEPS5_m9comp_mod3IiEEE10hipError_tT0_T1_T2_jT3_P12ihipStream_tbPNSt15iterator_traitsISJ_E10value_typeEPNSP_ISK_E10value_typeEPSL_NS1_7vsmem_tEENKUlT_SJ_SK_SL_E_clIPiSE_SF_SF_EESI_SY_SJ_SK_SL_EUlSY_E1_NS1_11comp_targetILNS1_3genE2ELNS1_11target_archE906ELNS1_3gpuE6ELNS1_3repE0EEENS1_36merge_oddeven_config_static_selectorELNS0_4arch9wavefront6targetE0EEEvSK_.has_indirect_call, 0
	.section	.AMDGPU.csdata,"",@progbits
; Kernel info:
; codeLenInByte = 0
; TotalNumSgprs: 0
; NumVgprs: 0
; ScratchSize: 0
; MemoryBound: 0
; FloatMode: 240
; IeeeMode: 1
; LDSByteSize: 0 bytes/workgroup (compile time only)
; SGPRBlocks: 0
; VGPRBlocks: 0
; NumSGPRsForWavesPerEU: 1
; NumVGPRsForWavesPerEU: 1
; Occupancy: 16
; WaveLimiterHint : 0
; COMPUTE_PGM_RSRC2:SCRATCH_EN: 0
; COMPUTE_PGM_RSRC2:USER_SGPR: 6
; COMPUTE_PGM_RSRC2:TRAP_HANDLER: 0
; COMPUTE_PGM_RSRC2:TGID_X_EN: 1
; COMPUTE_PGM_RSRC2:TGID_Y_EN: 0
; COMPUTE_PGM_RSRC2:TGID_Z_EN: 0
; COMPUTE_PGM_RSRC2:TIDIG_COMP_CNT: 0
	.section	.text._ZN7rocprim17ROCPRIM_400000_NS6detail17trampoline_kernelINS0_14default_configENS1_38merge_sort_block_merge_config_selectorIiNS0_10empty_typeEEEZZNS1_27merge_sort_block_merge_implIS3_N6thrust23THRUST_200600_302600_NS6detail15normal_iteratorINS9_10device_ptrIiEEEEPS5_m9comp_mod3IiEEE10hipError_tT0_T1_T2_jT3_P12ihipStream_tbPNSt15iterator_traitsISJ_E10value_typeEPNSP_ISK_E10value_typeEPSL_NS1_7vsmem_tEENKUlT_SJ_SK_SL_E_clIPiSE_SF_SF_EESI_SY_SJ_SK_SL_EUlSY_E1_NS1_11comp_targetILNS1_3genE9ELNS1_11target_archE1100ELNS1_3gpuE3ELNS1_3repE0EEENS1_36merge_oddeven_config_static_selectorELNS0_4arch9wavefront6targetE0EEEvSK_,"axG",@progbits,_ZN7rocprim17ROCPRIM_400000_NS6detail17trampoline_kernelINS0_14default_configENS1_38merge_sort_block_merge_config_selectorIiNS0_10empty_typeEEEZZNS1_27merge_sort_block_merge_implIS3_N6thrust23THRUST_200600_302600_NS6detail15normal_iteratorINS9_10device_ptrIiEEEEPS5_m9comp_mod3IiEEE10hipError_tT0_T1_T2_jT3_P12ihipStream_tbPNSt15iterator_traitsISJ_E10value_typeEPNSP_ISK_E10value_typeEPSL_NS1_7vsmem_tEENKUlT_SJ_SK_SL_E_clIPiSE_SF_SF_EESI_SY_SJ_SK_SL_EUlSY_E1_NS1_11comp_targetILNS1_3genE9ELNS1_11target_archE1100ELNS1_3gpuE3ELNS1_3repE0EEENS1_36merge_oddeven_config_static_selectorELNS0_4arch9wavefront6targetE0EEEvSK_,comdat
	.protected	_ZN7rocprim17ROCPRIM_400000_NS6detail17trampoline_kernelINS0_14default_configENS1_38merge_sort_block_merge_config_selectorIiNS0_10empty_typeEEEZZNS1_27merge_sort_block_merge_implIS3_N6thrust23THRUST_200600_302600_NS6detail15normal_iteratorINS9_10device_ptrIiEEEEPS5_m9comp_mod3IiEEE10hipError_tT0_T1_T2_jT3_P12ihipStream_tbPNSt15iterator_traitsISJ_E10value_typeEPNSP_ISK_E10value_typeEPSL_NS1_7vsmem_tEENKUlT_SJ_SK_SL_E_clIPiSE_SF_SF_EESI_SY_SJ_SK_SL_EUlSY_E1_NS1_11comp_targetILNS1_3genE9ELNS1_11target_archE1100ELNS1_3gpuE3ELNS1_3repE0EEENS1_36merge_oddeven_config_static_selectorELNS0_4arch9wavefront6targetE0EEEvSK_ ; -- Begin function _ZN7rocprim17ROCPRIM_400000_NS6detail17trampoline_kernelINS0_14default_configENS1_38merge_sort_block_merge_config_selectorIiNS0_10empty_typeEEEZZNS1_27merge_sort_block_merge_implIS3_N6thrust23THRUST_200600_302600_NS6detail15normal_iteratorINS9_10device_ptrIiEEEEPS5_m9comp_mod3IiEEE10hipError_tT0_T1_T2_jT3_P12ihipStream_tbPNSt15iterator_traitsISJ_E10value_typeEPNSP_ISK_E10value_typeEPSL_NS1_7vsmem_tEENKUlT_SJ_SK_SL_E_clIPiSE_SF_SF_EESI_SY_SJ_SK_SL_EUlSY_E1_NS1_11comp_targetILNS1_3genE9ELNS1_11target_archE1100ELNS1_3gpuE3ELNS1_3repE0EEENS1_36merge_oddeven_config_static_selectorELNS0_4arch9wavefront6targetE0EEEvSK_
	.globl	_ZN7rocprim17ROCPRIM_400000_NS6detail17trampoline_kernelINS0_14default_configENS1_38merge_sort_block_merge_config_selectorIiNS0_10empty_typeEEEZZNS1_27merge_sort_block_merge_implIS3_N6thrust23THRUST_200600_302600_NS6detail15normal_iteratorINS9_10device_ptrIiEEEEPS5_m9comp_mod3IiEEE10hipError_tT0_T1_T2_jT3_P12ihipStream_tbPNSt15iterator_traitsISJ_E10value_typeEPNSP_ISK_E10value_typeEPSL_NS1_7vsmem_tEENKUlT_SJ_SK_SL_E_clIPiSE_SF_SF_EESI_SY_SJ_SK_SL_EUlSY_E1_NS1_11comp_targetILNS1_3genE9ELNS1_11target_archE1100ELNS1_3gpuE3ELNS1_3repE0EEENS1_36merge_oddeven_config_static_selectorELNS0_4arch9wavefront6targetE0EEEvSK_
	.p2align	8
	.type	_ZN7rocprim17ROCPRIM_400000_NS6detail17trampoline_kernelINS0_14default_configENS1_38merge_sort_block_merge_config_selectorIiNS0_10empty_typeEEEZZNS1_27merge_sort_block_merge_implIS3_N6thrust23THRUST_200600_302600_NS6detail15normal_iteratorINS9_10device_ptrIiEEEEPS5_m9comp_mod3IiEEE10hipError_tT0_T1_T2_jT3_P12ihipStream_tbPNSt15iterator_traitsISJ_E10value_typeEPNSP_ISK_E10value_typeEPSL_NS1_7vsmem_tEENKUlT_SJ_SK_SL_E_clIPiSE_SF_SF_EESI_SY_SJ_SK_SL_EUlSY_E1_NS1_11comp_targetILNS1_3genE9ELNS1_11target_archE1100ELNS1_3gpuE3ELNS1_3repE0EEENS1_36merge_oddeven_config_static_selectorELNS0_4arch9wavefront6targetE0EEEvSK_,@function
_ZN7rocprim17ROCPRIM_400000_NS6detail17trampoline_kernelINS0_14default_configENS1_38merge_sort_block_merge_config_selectorIiNS0_10empty_typeEEEZZNS1_27merge_sort_block_merge_implIS3_N6thrust23THRUST_200600_302600_NS6detail15normal_iteratorINS9_10device_ptrIiEEEEPS5_m9comp_mod3IiEEE10hipError_tT0_T1_T2_jT3_P12ihipStream_tbPNSt15iterator_traitsISJ_E10value_typeEPNSP_ISK_E10value_typeEPSL_NS1_7vsmem_tEENKUlT_SJ_SK_SL_E_clIPiSE_SF_SF_EESI_SY_SJ_SK_SL_EUlSY_E1_NS1_11comp_targetILNS1_3genE9ELNS1_11target_archE1100ELNS1_3gpuE3ELNS1_3repE0EEENS1_36merge_oddeven_config_static_selectorELNS0_4arch9wavefront6targetE0EEEvSK_: ; @_ZN7rocprim17ROCPRIM_400000_NS6detail17trampoline_kernelINS0_14default_configENS1_38merge_sort_block_merge_config_selectorIiNS0_10empty_typeEEEZZNS1_27merge_sort_block_merge_implIS3_N6thrust23THRUST_200600_302600_NS6detail15normal_iteratorINS9_10device_ptrIiEEEEPS5_m9comp_mod3IiEEE10hipError_tT0_T1_T2_jT3_P12ihipStream_tbPNSt15iterator_traitsISJ_E10value_typeEPNSP_ISK_E10value_typeEPSL_NS1_7vsmem_tEENKUlT_SJ_SK_SL_E_clIPiSE_SF_SF_EESI_SY_SJ_SK_SL_EUlSY_E1_NS1_11comp_targetILNS1_3genE9ELNS1_11target_archE1100ELNS1_3gpuE3ELNS1_3repE0EEENS1_36merge_oddeven_config_static_selectorELNS0_4arch9wavefront6targetE0EEEvSK_
; %bb.0:
	.section	.rodata,"a",@progbits
	.p2align	6, 0x0
	.amdhsa_kernel _ZN7rocprim17ROCPRIM_400000_NS6detail17trampoline_kernelINS0_14default_configENS1_38merge_sort_block_merge_config_selectorIiNS0_10empty_typeEEEZZNS1_27merge_sort_block_merge_implIS3_N6thrust23THRUST_200600_302600_NS6detail15normal_iteratorINS9_10device_ptrIiEEEEPS5_m9comp_mod3IiEEE10hipError_tT0_T1_T2_jT3_P12ihipStream_tbPNSt15iterator_traitsISJ_E10value_typeEPNSP_ISK_E10value_typeEPSL_NS1_7vsmem_tEENKUlT_SJ_SK_SL_E_clIPiSE_SF_SF_EESI_SY_SJ_SK_SL_EUlSY_E1_NS1_11comp_targetILNS1_3genE9ELNS1_11target_archE1100ELNS1_3gpuE3ELNS1_3repE0EEENS1_36merge_oddeven_config_static_selectorELNS0_4arch9wavefront6targetE0EEEvSK_
		.amdhsa_group_segment_fixed_size 0
		.amdhsa_private_segment_fixed_size 0
		.amdhsa_kernarg_size 56
		.amdhsa_user_sgpr_count 6
		.amdhsa_user_sgpr_private_segment_buffer 1
		.amdhsa_user_sgpr_dispatch_ptr 0
		.amdhsa_user_sgpr_queue_ptr 0
		.amdhsa_user_sgpr_kernarg_segment_ptr 1
		.amdhsa_user_sgpr_dispatch_id 0
		.amdhsa_user_sgpr_flat_scratch_init 0
		.amdhsa_user_sgpr_private_segment_size 0
		.amdhsa_wavefront_size32 1
		.amdhsa_uses_dynamic_stack 0
		.amdhsa_system_sgpr_private_segment_wavefront_offset 0
		.amdhsa_system_sgpr_workgroup_id_x 1
		.amdhsa_system_sgpr_workgroup_id_y 0
		.amdhsa_system_sgpr_workgroup_id_z 0
		.amdhsa_system_sgpr_workgroup_info 0
		.amdhsa_system_vgpr_workitem_id 0
		.amdhsa_next_free_vgpr 1
		.amdhsa_next_free_sgpr 1
		.amdhsa_reserve_vcc 0
		.amdhsa_reserve_flat_scratch 0
		.amdhsa_float_round_mode_32 0
		.amdhsa_float_round_mode_16_64 0
		.amdhsa_float_denorm_mode_32 3
		.amdhsa_float_denorm_mode_16_64 3
		.amdhsa_dx10_clamp 1
		.amdhsa_ieee_mode 1
		.amdhsa_fp16_overflow 0
		.amdhsa_workgroup_processor_mode 1
		.amdhsa_memory_ordered 1
		.amdhsa_forward_progress 1
		.amdhsa_shared_vgpr_count 0
		.amdhsa_exception_fp_ieee_invalid_op 0
		.amdhsa_exception_fp_denorm_src 0
		.amdhsa_exception_fp_ieee_div_zero 0
		.amdhsa_exception_fp_ieee_overflow 0
		.amdhsa_exception_fp_ieee_underflow 0
		.amdhsa_exception_fp_ieee_inexact 0
		.amdhsa_exception_int_div_zero 0
	.end_amdhsa_kernel
	.section	.text._ZN7rocprim17ROCPRIM_400000_NS6detail17trampoline_kernelINS0_14default_configENS1_38merge_sort_block_merge_config_selectorIiNS0_10empty_typeEEEZZNS1_27merge_sort_block_merge_implIS3_N6thrust23THRUST_200600_302600_NS6detail15normal_iteratorINS9_10device_ptrIiEEEEPS5_m9comp_mod3IiEEE10hipError_tT0_T1_T2_jT3_P12ihipStream_tbPNSt15iterator_traitsISJ_E10value_typeEPNSP_ISK_E10value_typeEPSL_NS1_7vsmem_tEENKUlT_SJ_SK_SL_E_clIPiSE_SF_SF_EESI_SY_SJ_SK_SL_EUlSY_E1_NS1_11comp_targetILNS1_3genE9ELNS1_11target_archE1100ELNS1_3gpuE3ELNS1_3repE0EEENS1_36merge_oddeven_config_static_selectorELNS0_4arch9wavefront6targetE0EEEvSK_,"axG",@progbits,_ZN7rocprim17ROCPRIM_400000_NS6detail17trampoline_kernelINS0_14default_configENS1_38merge_sort_block_merge_config_selectorIiNS0_10empty_typeEEEZZNS1_27merge_sort_block_merge_implIS3_N6thrust23THRUST_200600_302600_NS6detail15normal_iteratorINS9_10device_ptrIiEEEEPS5_m9comp_mod3IiEEE10hipError_tT0_T1_T2_jT3_P12ihipStream_tbPNSt15iterator_traitsISJ_E10value_typeEPNSP_ISK_E10value_typeEPSL_NS1_7vsmem_tEENKUlT_SJ_SK_SL_E_clIPiSE_SF_SF_EESI_SY_SJ_SK_SL_EUlSY_E1_NS1_11comp_targetILNS1_3genE9ELNS1_11target_archE1100ELNS1_3gpuE3ELNS1_3repE0EEENS1_36merge_oddeven_config_static_selectorELNS0_4arch9wavefront6targetE0EEEvSK_,comdat
.Lfunc_end1010:
	.size	_ZN7rocprim17ROCPRIM_400000_NS6detail17trampoline_kernelINS0_14default_configENS1_38merge_sort_block_merge_config_selectorIiNS0_10empty_typeEEEZZNS1_27merge_sort_block_merge_implIS3_N6thrust23THRUST_200600_302600_NS6detail15normal_iteratorINS9_10device_ptrIiEEEEPS5_m9comp_mod3IiEEE10hipError_tT0_T1_T2_jT3_P12ihipStream_tbPNSt15iterator_traitsISJ_E10value_typeEPNSP_ISK_E10value_typeEPSL_NS1_7vsmem_tEENKUlT_SJ_SK_SL_E_clIPiSE_SF_SF_EESI_SY_SJ_SK_SL_EUlSY_E1_NS1_11comp_targetILNS1_3genE9ELNS1_11target_archE1100ELNS1_3gpuE3ELNS1_3repE0EEENS1_36merge_oddeven_config_static_selectorELNS0_4arch9wavefront6targetE0EEEvSK_, .Lfunc_end1010-_ZN7rocprim17ROCPRIM_400000_NS6detail17trampoline_kernelINS0_14default_configENS1_38merge_sort_block_merge_config_selectorIiNS0_10empty_typeEEEZZNS1_27merge_sort_block_merge_implIS3_N6thrust23THRUST_200600_302600_NS6detail15normal_iteratorINS9_10device_ptrIiEEEEPS5_m9comp_mod3IiEEE10hipError_tT0_T1_T2_jT3_P12ihipStream_tbPNSt15iterator_traitsISJ_E10value_typeEPNSP_ISK_E10value_typeEPSL_NS1_7vsmem_tEENKUlT_SJ_SK_SL_E_clIPiSE_SF_SF_EESI_SY_SJ_SK_SL_EUlSY_E1_NS1_11comp_targetILNS1_3genE9ELNS1_11target_archE1100ELNS1_3gpuE3ELNS1_3repE0EEENS1_36merge_oddeven_config_static_selectorELNS0_4arch9wavefront6targetE0EEEvSK_
                                        ; -- End function
	.set _ZN7rocprim17ROCPRIM_400000_NS6detail17trampoline_kernelINS0_14default_configENS1_38merge_sort_block_merge_config_selectorIiNS0_10empty_typeEEEZZNS1_27merge_sort_block_merge_implIS3_N6thrust23THRUST_200600_302600_NS6detail15normal_iteratorINS9_10device_ptrIiEEEEPS5_m9comp_mod3IiEEE10hipError_tT0_T1_T2_jT3_P12ihipStream_tbPNSt15iterator_traitsISJ_E10value_typeEPNSP_ISK_E10value_typeEPSL_NS1_7vsmem_tEENKUlT_SJ_SK_SL_E_clIPiSE_SF_SF_EESI_SY_SJ_SK_SL_EUlSY_E1_NS1_11comp_targetILNS1_3genE9ELNS1_11target_archE1100ELNS1_3gpuE3ELNS1_3repE0EEENS1_36merge_oddeven_config_static_selectorELNS0_4arch9wavefront6targetE0EEEvSK_.num_vgpr, 0
	.set _ZN7rocprim17ROCPRIM_400000_NS6detail17trampoline_kernelINS0_14default_configENS1_38merge_sort_block_merge_config_selectorIiNS0_10empty_typeEEEZZNS1_27merge_sort_block_merge_implIS3_N6thrust23THRUST_200600_302600_NS6detail15normal_iteratorINS9_10device_ptrIiEEEEPS5_m9comp_mod3IiEEE10hipError_tT0_T1_T2_jT3_P12ihipStream_tbPNSt15iterator_traitsISJ_E10value_typeEPNSP_ISK_E10value_typeEPSL_NS1_7vsmem_tEENKUlT_SJ_SK_SL_E_clIPiSE_SF_SF_EESI_SY_SJ_SK_SL_EUlSY_E1_NS1_11comp_targetILNS1_3genE9ELNS1_11target_archE1100ELNS1_3gpuE3ELNS1_3repE0EEENS1_36merge_oddeven_config_static_selectorELNS0_4arch9wavefront6targetE0EEEvSK_.num_agpr, 0
	.set _ZN7rocprim17ROCPRIM_400000_NS6detail17trampoline_kernelINS0_14default_configENS1_38merge_sort_block_merge_config_selectorIiNS0_10empty_typeEEEZZNS1_27merge_sort_block_merge_implIS3_N6thrust23THRUST_200600_302600_NS6detail15normal_iteratorINS9_10device_ptrIiEEEEPS5_m9comp_mod3IiEEE10hipError_tT0_T1_T2_jT3_P12ihipStream_tbPNSt15iterator_traitsISJ_E10value_typeEPNSP_ISK_E10value_typeEPSL_NS1_7vsmem_tEENKUlT_SJ_SK_SL_E_clIPiSE_SF_SF_EESI_SY_SJ_SK_SL_EUlSY_E1_NS1_11comp_targetILNS1_3genE9ELNS1_11target_archE1100ELNS1_3gpuE3ELNS1_3repE0EEENS1_36merge_oddeven_config_static_selectorELNS0_4arch9wavefront6targetE0EEEvSK_.numbered_sgpr, 0
	.set _ZN7rocprim17ROCPRIM_400000_NS6detail17trampoline_kernelINS0_14default_configENS1_38merge_sort_block_merge_config_selectorIiNS0_10empty_typeEEEZZNS1_27merge_sort_block_merge_implIS3_N6thrust23THRUST_200600_302600_NS6detail15normal_iteratorINS9_10device_ptrIiEEEEPS5_m9comp_mod3IiEEE10hipError_tT0_T1_T2_jT3_P12ihipStream_tbPNSt15iterator_traitsISJ_E10value_typeEPNSP_ISK_E10value_typeEPSL_NS1_7vsmem_tEENKUlT_SJ_SK_SL_E_clIPiSE_SF_SF_EESI_SY_SJ_SK_SL_EUlSY_E1_NS1_11comp_targetILNS1_3genE9ELNS1_11target_archE1100ELNS1_3gpuE3ELNS1_3repE0EEENS1_36merge_oddeven_config_static_selectorELNS0_4arch9wavefront6targetE0EEEvSK_.num_named_barrier, 0
	.set _ZN7rocprim17ROCPRIM_400000_NS6detail17trampoline_kernelINS0_14default_configENS1_38merge_sort_block_merge_config_selectorIiNS0_10empty_typeEEEZZNS1_27merge_sort_block_merge_implIS3_N6thrust23THRUST_200600_302600_NS6detail15normal_iteratorINS9_10device_ptrIiEEEEPS5_m9comp_mod3IiEEE10hipError_tT0_T1_T2_jT3_P12ihipStream_tbPNSt15iterator_traitsISJ_E10value_typeEPNSP_ISK_E10value_typeEPSL_NS1_7vsmem_tEENKUlT_SJ_SK_SL_E_clIPiSE_SF_SF_EESI_SY_SJ_SK_SL_EUlSY_E1_NS1_11comp_targetILNS1_3genE9ELNS1_11target_archE1100ELNS1_3gpuE3ELNS1_3repE0EEENS1_36merge_oddeven_config_static_selectorELNS0_4arch9wavefront6targetE0EEEvSK_.private_seg_size, 0
	.set _ZN7rocprim17ROCPRIM_400000_NS6detail17trampoline_kernelINS0_14default_configENS1_38merge_sort_block_merge_config_selectorIiNS0_10empty_typeEEEZZNS1_27merge_sort_block_merge_implIS3_N6thrust23THRUST_200600_302600_NS6detail15normal_iteratorINS9_10device_ptrIiEEEEPS5_m9comp_mod3IiEEE10hipError_tT0_T1_T2_jT3_P12ihipStream_tbPNSt15iterator_traitsISJ_E10value_typeEPNSP_ISK_E10value_typeEPSL_NS1_7vsmem_tEENKUlT_SJ_SK_SL_E_clIPiSE_SF_SF_EESI_SY_SJ_SK_SL_EUlSY_E1_NS1_11comp_targetILNS1_3genE9ELNS1_11target_archE1100ELNS1_3gpuE3ELNS1_3repE0EEENS1_36merge_oddeven_config_static_selectorELNS0_4arch9wavefront6targetE0EEEvSK_.uses_vcc, 0
	.set _ZN7rocprim17ROCPRIM_400000_NS6detail17trampoline_kernelINS0_14default_configENS1_38merge_sort_block_merge_config_selectorIiNS0_10empty_typeEEEZZNS1_27merge_sort_block_merge_implIS3_N6thrust23THRUST_200600_302600_NS6detail15normal_iteratorINS9_10device_ptrIiEEEEPS5_m9comp_mod3IiEEE10hipError_tT0_T1_T2_jT3_P12ihipStream_tbPNSt15iterator_traitsISJ_E10value_typeEPNSP_ISK_E10value_typeEPSL_NS1_7vsmem_tEENKUlT_SJ_SK_SL_E_clIPiSE_SF_SF_EESI_SY_SJ_SK_SL_EUlSY_E1_NS1_11comp_targetILNS1_3genE9ELNS1_11target_archE1100ELNS1_3gpuE3ELNS1_3repE0EEENS1_36merge_oddeven_config_static_selectorELNS0_4arch9wavefront6targetE0EEEvSK_.uses_flat_scratch, 0
	.set _ZN7rocprim17ROCPRIM_400000_NS6detail17trampoline_kernelINS0_14default_configENS1_38merge_sort_block_merge_config_selectorIiNS0_10empty_typeEEEZZNS1_27merge_sort_block_merge_implIS3_N6thrust23THRUST_200600_302600_NS6detail15normal_iteratorINS9_10device_ptrIiEEEEPS5_m9comp_mod3IiEEE10hipError_tT0_T1_T2_jT3_P12ihipStream_tbPNSt15iterator_traitsISJ_E10value_typeEPNSP_ISK_E10value_typeEPSL_NS1_7vsmem_tEENKUlT_SJ_SK_SL_E_clIPiSE_SF_SF_EESI_SY_SJ_SK_SL_EUlSY_E1_NS1_11comp_targetILNS1_3genE9ELNS1_11target_archE1100ELNS1_3gpuE3ELNS1_3repE0EEENS1_36merge_oddeven_config_static_selectorELNS0_4arch9wavefront6targetE0EEEvSK_.has_dyn_sized_stack, 0
	.set _ZN7rocprim17ROCPRIM_400000_NS6detail17trampoline_kernelINS0_14default_configENS1_38merge_sort_block_merge_config_selectorIiNS0_10empty_typeEEEZZNS1_27merge_sort_block_merge_implIS3_N6thrust23THRUST_200600_302600_NS6detail15normal_iteratorINS9_10device_ptrIiEEEEPS5_m9comp_mod3IiEEE10hipError_tT0_T1_T2_jT3_P12ihipStream_tbPNSt15iterator_traitsISJ_E10value_typeEPNSP_ISK_E10value_typeEPSL_NS1_7vsmem_tEENKUlT_SJ_SK_SL_E_clIPiSE_SF_SF_EESI_SY_SJ_SK_SL_EUlSY_E1_NS1_11comp_targetILNS1_3genE9ELNS1_11target_archE1100ELNS1_3gpuE3ELNS1_3repE0EEENS1_36merge_oddeven_config_static_selectorELNS0_4arch9wavefront6targetE0EEEvSK_.has_recursion, 0
	.set _ZN7rocprim17ROCPRIM_400000_NS6detail17trampoline_kernelINS0_14default_configENS1_38merge_sort_block_merge_config_selectorIiNS0_10empty_typeEEEZZNS1_27merge_sort_block_merge_implIS3_N6thrust23THRUST_200600_302600_NS6detail15normal_iteratorINS9_10device_ptrIiEEEEPS5_m9comp_mod3IiEEE10hipError_tT0_T1_T2_jT3_P12ihipStream_tbPNSt15iterator_traitsISJ_E10value_typeEPNSP_ISK_E10value_typeEPSL_NS1_7vsmem_tEENKUlT_SJ_SK_SL_E_clIPiSE_SF_SF_EESI_SY_SJ_SK_SL_EUlSY_E1_NS1_11comp_targetILNS1_3genE9ELNS1_11target_archE1100ELNS1_3gpuE3ELNS1_3repE0EEENS1_36merge_oddeven_config_static_selectorELNS0_4arch9wavefront6targetE0EEEvSK_.has_indirect_call, 0
	.section	.AMDGPU.csdata,"",@progbits
; Kernel info:
; codeLenInByte = 0
; TotalNumSgprs: 0
; NumVgprs: 0
; ScratchSize: 0
; MemoryBound: 0
; FloatMode: 240
; IeeeMode: 1
; LDSByteSize: 0 bytes/workgroup (compile time only)
; SGPRBlocks: 0
; VGPRBlocks: 0
; NumSGPRsForWavesPerEU: 1
; NumVGPRsForWavesPerEU: 1
; Occupancy: 16
; WaveLimiterHint : 0
; COMPUTE_PGM_RSRC2:SCRATCH_EN: 0
; COMPUTE_PGM_RSRC2:USER_SGPR: 6
; COMPUTE_PGM_RSRC2:TRAP_HANDLER: 0
; COMPUTE_PGM_RSRC2:TGID_X_EN: 1
; COMPUTE_PGM_RSRC2:TGID_Y_EN: 0
; COMPUTE_PGM_RSRC2:TGID_Z_EN: 0
; COMPUTE_PGM_RSRC2:TIDIG_COMP_CNT: 0
	.section	.text._ZN7rocprim17ROCPRIM_400000_NS6detail17trampoline_kernelINS0_14default_configENS1_38merge_sort_block_merge_config_selectorIiNS0_10empty_typeEEEZZNS1_27merge_sort_block_merge_implIS3_N6thrust23THRUST_200600_302600_NS6detail15normal_iteratorINS9_10device_ptrIiEEEEPS5_m9comp_mod3IiEEE10hipError_tT0_T1_T2_jT3_P12ihipStream_tbPNSt15iterator_traitsISJ_E10value_typeEPNSP_ISK_E10value_typeEPSL_NS1_7vsmem_tEENKUlT_SJ_SK_SL_E_clIPiSE_SF_SF_EESI_SY_SJ_SK_SL_EUlSY_E1_NS1_11comp_targetILNS1_3genE8ELNS1_11target_archE1030ELNS1_3gpuE2ELNS1_3repE0EEENS1_36merge_oddeven_config_static_selectorELNS0_4arch9wavefront6targetE0EEEvSK_,"axG",@progbits,_ZN7rocprim17ROCPRIM_400000_NS6detail17trampoline_kernelINS0_14default_configENS1_38merge_sort_block_merge_config_selectorIiNS0_10empty_typeEEEZZNS1_27merge_sort_block_merge_implIS3_N6thrust23THRUST_200600_302600_NS6detail15normal_iteratorINS9_10device_ptrIiEEEEPS5_m9comp_mod3IiEEE10hipError_tT0_T1_T2_jT3_P12ihipStream_tbPNSt15iterator_traitsISJ_E10value_typeEPNSP_ISK_E10value_typeEPSL_NS1_7vsmem_tEENKUlT_SJ_SK_SL_E_clIPiSE_SF_SF_EESI_SY_SJ_SK_SL_EUlSY_E1_NS1_11comp_targetILNS1_3genE8ELNS1_11target_archE1030ELNS1_3gpuE2ELNS1_3repE0EEENS1_36merge_oddeven_config_static_selectorELNS0_4arch9wavefront6targetE0EEEvSK_,comdat
	.protected	_ZN7rocprim17ROCPRIM_400000_NS6detail17trampoline_kernelINS0_14default_configENS1_38merge_sort_block_merge_config_selectorIiNS0_10empty_typeEEEZZNS1_27merge_sort_block_merge_implIS3_N6thrust23THRUST_200600_302600_NS6detail15normal_iteratorINS9_10device_ptrIiEEEEPS5_m9comp_mod3IiEEE10hipError_tT0_T1_T2_jT3_P12ihipStream_tbPNSt15iterator_traitsISJ_E10value_typeEPNSP_ISK_E10value_typeEPSL_NS1_7vsmem_tEENKUlT_SJ_SK_SL_E_clIPiSE_SF_SF_EESI_SY_SJ_SK_SL_EUlSY_E1_NS1_11comp_targetILNS1_3genE8ELNS1_11target_archE1030ELNS1_3gpuE2ELNS1_3repE0EEENS1_36merge_oddeven_config_static_selectorELNS0_4arch9wavefront6targetE0EEEvSK_ ; -- Begin function _ZN7rocprim17ROCPRIM_400000_NS6detail17trampoline_kernelINS0_14default_configENS1_38merge_sort_block_merge_config_selectorIiNS0_10empty_typeEEEZZNS1_27merge_sort_block_merge_implIS3_N6thrust23THRUST_200600_302600_NS6detail15normal_iteratorINS9_10device_ptrIiEEEEPS5_m9comp_mod3IiEEE10hipError_tT0_T1_T2_jT3_P12ihipStream_tbPNSt15iterator_traitsISJ_E10value_typeEPNSP_ISK_E10value_typeEPSL_NS1_7vsmem_tEENKUlT_SJ_SK_SL_E_clIPiSE_SF_SF_EESI_SY_SJ_SK_SL_EUlSY_E1_NS1_11comp_targetILNS1_3genE8ELNS1_11target_archE1030ELNS1_3gpuE2ELNS1_3repE0EEENS1_36merge_oddeven_config_static_selectorELNS0_4arch9wavefront6targetE0EEEvSK_
	.globl	_ZN7rocprim17ROCPRIM_400000_NS6detail17trampoline_kernelINS0_14default_configENS1_38merge_sort_block_merge_config_selectorIiNS0_10empty_typeEEEZZNS1_27merge_sort_block_merge_implIS3_N6thrust23THRUST_200600_302600_NS6detail15normal_iteratorINS9_10device_ptrIiEEEEPS5_m9comp_mod3IiEEE10hipError_tT0_T1_T2_jT3_P12ihipStream_tbPNSt15iterator_traitsISJ_E10value_typeEPNSP_ISK_E10value_typeEPSL_NS1_7vsmem_tEENKUlT_SJ_SK_SL_E_clIPiSE_SF_SF_EESI_SY_SJ_SK_SL_EUlSY_E1_NS1_11comp_targetILNS1_3genE8ELNS1_11target_archE1030ELNS1_3gpuE2ELNS1_3repE0EEENS1_36merge_oddeven_config_static_selectorELNS0_4arch9wavefront6targetE0EEEvSK_
	.p2align	8
	.type	_ZN7rocprim17ROCPRIM_400000_NS6detail17trampoline_kernelINS0_14default_configENS1_38merge_sort_block_merge_config_selectorIiNS0_10empty_typeEEEZZNS1_27merge_sort_block_merge_implIS3_N6thrust23THRUST_200600_302600_NS6detail15normal_iteratorINS9_10device_ptrIiEEEEPS5_m9comp_mod3IiEEE10hipError_tT0_T1_T2_jT3_P12ihipStream_tbPNSt15iterator_traitsISJ_E10value_typeEPNSP_ISK_E10value_typeEPSL_NS1_7vsmem_tEENKUlT_SJ_SK_SL_E_clIPiSE_SF_SF_EESI_SY_SJ_SK_SL_EUlSY_E1_NS1_11comp_targetILNS1_3genE8ELNS1_11target_archE1030ELNS1_3gpuE2ELNS1_3repE0EEENS1_36merge_oddeven_config_static_selectorELNS0_4arch9wavefront6targetE0EEEvSK_,@function
_ZN7rocprim17ROCPRIM_400000_NS6detail17trampoline_kernelINS0_14default_configENS1_38merge_sort_block_merge_config_selectorIiNS0_10empty_typeEEEZZNS1_27merge_sort_block_merge_implIS3_N6thrust23THRUST_200600_302600_NS6detail15normal_iteratorINS9_10device_ptrIiEEEEPS5_m9comp_mod3IiEEE10hipError_tT0_T1_T2_jT3_P12ihipStream_tbPNSt15iterator_traitsISJ_E10value_typeEPNSP_ISK_E10value_typeEPSL_NS1_7vsmem_tEENKUlT_SJ_SK_SL_E_clIPiSE_SF_SF_EESI_SY_SJ_SK_SL_EUlSY_E1_NS1_11comp_targetILNS1_3genE8ELNS1_11target_archE1030ELNS1_3gpuE2ELNS1_3repE0EEENS1_36merge_oddeven_config_static_selectorELNS0_4arch9wavefront6targetE0EEEvSK_: ; @_ZN7rocprim17ROCPRIM_400000_NS6detail17trampoline_kernelINS0_14default_configENS1_38merge_sort_block_merge_config_selectorIiNS0_10empty_typeEEEZZNS1_27merge_sort_block_merge_implIS3_N6thrust23THRUST_200600_302600_NS6detail15normal_iteratorINS9_10device_ptrIiEEEEPS5_m9comp_mod3IiEEE10hipError_tT0_T1_T2_jT3_P12ihipStream_tbPNSt15iterator_traitsISJ_E10value_typeEPNSP_ISK_E10value_typeEPSL_NS1_7vsmem_tEENKUlT_SJ_SK_SL_E_clIPiSE_SF_SF_EESI_SY_SJ_SK_SL_EUlSY_E1_NS1_11comp_targetILNS1_3genE8ELNS1_11target_archE1030ELNS1_3gpuE2ELNS1_3repE0EEENS1_36merge_oddeven_config_static_selectorELNS0_4arch9wavefront6targetE0EEEvSK_
; %bb.0:
	s_load_dword s7, s[4:5], 0x20
	s_waitcnt lgkmcnt(0)
	s_lshr_b32 s0, s7, 8
	s_cmp_lg_u32 s6, s0
	s_cselect_b32 s2, -1, 0
	s_cmp_eq_u32 s6, s0
	s_cselect_b32 s14, -1, 0
	s_lshl_b32 s12, s6, 8
	s_sub_i32 s0, s7, s12
	v_cmp_gt_u32_e64 s0, s0, v0
	s_or_b32 s1, s2, s0
	s_and_saveexec_b32 s3, s1
	s_cbranch_execz .LBB1011_28
; %bb.1:
	s_clause 0x1
	s_load_dwordx4 s[8:11], s[4:5], 0x0
	s_load_dword s15, s[4:5], 0x28
	s_mov_b32 s13, 0
	v_lshlrev_b32_e32 v1, 2, v0
	s_lshl_b64 s[16:17], s[12:13], 2
	v_add_nc_u32_e32 v4, s12, v0
	s_waitcnt lgkmcnt(0)
	s_add_u32 s16, s8, s16
	s_addc_u32 s17, s9, s17
	s_lshr_b32 s1, s15, 8
	global_load_dword v1, v1, s[16:17]
	s_sub_i32 s3, 0, s1
	s_and_b32 s3, s6, s3
	s_and_b32 s6, s3, s1
	s_cmp_lg_u32 s6, 0
	s_cselect_b32 s1, -1, 0
	s_lshl_b32 s16, s3, 8
	s_sub_i32 s3, 0, s15
	s_cmp_eq_u32 s6, 0
	s_cselect_b32 s6, s15, s3
	s_add_i32 s6, s6, s16
	s_cmp_lt_u32 s6, s7
	s_cbranch_scc1 .LBB1011_3
; %bb.2:
	v_cmp_gt_u32_e32 vcc_lo, s7, v4
	s_or_b32 s3, vcc_lo, s2
	s_and_b32 s13, s3, exec_lo
	s_cbranch_execz .LBB1011_4
	s_branch .LBB1011_26
.LBB1011_3:
.LBB1011_4:
	s_load_dwordx2 s[2:3], s[4:5], 0x30
	s_waitcnt vmcnt(0)
	v_ashrrev_i32_e32 v2, 31, v1
	s_min_u32 s4, s6, s7
	s_add_i32 s5, s16, s4
	s_add_i32 s12, s4, s15
	v_lshlrev_b64 v[2:3], 2, v[1:2]
	v_subrev_nc_u32_e32 v0, s5, v4
	s_min_u32 s5, s16, s4
	v_add_nc_u32_e32 v0, s5, v0
	s_min_u32 s5, s12, s7
	s_waitcnt lgkmcnt(0)
	v_add_co_u32 v2, vcc_lo, s2, v2
	v_add_co_ci_u32_e64 v3, null, s3, v3, vcc_lo
	s_and_b32 vcc_lo, exec_lo, s14
	s_cbranch_vccz .LBB1011_13
; %bb.5:
                                        ; implicit-def: $vgpr4
	s_and_saveexec_b32 s7, s0
	s_cbranch_execz .LBB1011_16
; %bb.6:
	v_mov_b32_e32 v8, s4
	s_cmp_ge_u32 s6, s5
	s_cbranch_scc1 .LBB1011_15
; %bb.7:
	v_mov_b32_e32 v9, s5
	v_mov_b32_e32 v8, s4
	;; [unrolled: 1-line block ×3, first 2 shown]
	s_mov_b32 s0, 0
	s_branch .LBB1011_9
.LBB1011_8:                             ;   in Loop: Header=BB1011_9 Depth=1
	v_add_nc_u32_e32 v6, 1, v4
	v_cndmask_b32_e64 v9, v4, v9, s12
	v_cndmask_b32_e64 v8, v8, v6, s12
	v_cmp_ge_u32_e32 vcc_lo, v8, v9
	s_or_b32 s0, vcc_lo, s0
	s_andn2_b32 exec_lo, exec_lo, s0
	s_cbranch_execz .LBB1011_14
.LBB1011_9:                             ; =>This Inner Loop Header: Depth=1
	v_add_nc_u32_e32 v4, v8, v9
	s_mov_b32 s14, -1
                                        ; implicit-def: $sgpr12
	v_lshrrev_b32_e32 v4, 1, v4
	v_lshlrev_b64 v[6:7], 2, v[4:5]
	v_add_co_u32 v6, vcc_lo, s8, v6
	v_add_co_ci_u32_e64 v7, null, s9, v7, vcc_lo
	s_andn2_b32 vcc_lo, exec_lo, s1
	global_load_dword v6, v[6:7], off
	s_waitcnt vmcnt(0)
	v_ashrrev_i32_e32 v7, 31, v6
	s_cbranch_vccnz .LBB1011_11
; %bb.10:                               ;   in Loop: Header=BB1011_9 Depth=1
	v_lshlrev_b64 v[10:11], 2, v[6:7]
	s_mov_b32 s14, 0
	v_add_co_u32 v10, vcc_lo, s2, v10
	v_add_co_ci_u32_e64 v11, null, s3, v11, vcc_lo
	s_clause 0x1
	global_load_dword v12, v[2:3], off
	global_load_dword v10, v[10:11], off
	s_waitcnt vmcnt(0)
	v_cmp_ge_i32_e64 s12, v12, v10
.LBB1011_11:                            ;   in Loop: Header=BB1011_9 Depth=1
	s_andn2_b32 vcc_lo, exec_lo, s14
	s_cbranch_vccnz .LBB1011_8
; %bb.12:                               ;   in Loop: Header=BB1011_9 Depth=1
	v_lshlrev_b64 v[6:7], 2, v[6:7]
	s_andn2_b32 s12, s12, exec_lo
	v_add_co_u32 v6, vcc_lo, s2, v6
	v_add_co_ci_u32_e64 v7, null, s3, v7, vcc_lo
	s_clause 0x1
	global_load_dword v6, v[6:7], off
	global_load_dword v7, v[2:3], off
	s_waitcnt vmcnt(0)
	v_cmp_lt_i32_e32 vcc_lo, v6, v7
	s_and_b32 s14, vcc_lo, exec_lo
	s_or_b32 s12, s12, s14
	s_branch .LBB1011_8
.LBB1011_13:
                                        ; implicit-def: $vgpr4
	s_cbranch_execnz .LBB1011_17
	s_branch .LBB1011_26
.LBB1011_14:
	s_or_b32 exec_lo, exec_lo, s0
.LBB1011_15:
	v_add_nc_u32_e32 v4, v8, v0
	s_or_b32 s13, s13, exec_lo
.LBB1011_16:
	s_or_b32 exec_lo, exec_lo, s7
	s_branch .LBB1011_26
.LBB1011_17:
	v_mov_b32_e32 v8, s4
	s_cmp_ge_u32 s6, s5
	s_cbranch_scc1 .LBB1011_25
; %bb.18:
	v_mov_b32_e32 v9, s5
	v_mov_b32_e32 v8, s4
	;; [unrolled: 1-line block ×3, first 2 shown]
	s_mov_b32 s0, 0
	s_branch .LBB1011_20
.LBB1011_19:                            ;   in Loop: Header=BB1011_20 Depth=1
	v_add_nc_u32_e32 v6, 1, v4
	v_cndmask_b32_e64 v9, v4, v9, s4
	v_cndmask_b32_e64 v8, v8, v6, s4
	v_cmp_ge_u32_e32 vcc_lo, v8, v9
	s_or_b32 s0, vcc_lo, s0
	s_andn2_b32 exec_lo, exec_lo, s0
	s_cbranch_execz .LBB1011_24
.LBB1011_20:                            ; =>This Inner Loop Header: Depth=1
	v_add_nc_u32_e32 v4, v8, v9
	s_mov_b32 s5, -1
                                        ; implicit-def: $sgpr4
	v_lshrrev_b32_e32 v4, 1, v4
	v_lshlrev_b64 v[6:7], 2, v[4:5]
	v_add_co_u32 v6, vcc_lo, s8, v6
	v_add_co_ci_u32_e64 v7, null, s9, v7, vcc_lo
	s_andn2_b32 vcc_lo, exec_lo, s1
	global_load_dword v6, v[6:7], off
	s_waitcnt vmcnt(0)
	v_ashrrev_i32_e32 v7, 31, v6
	s_cbranch_vccnz .LBB1011_22
; %bb.21:                               ;   in Loop: Header=BB1011_20 Depth=1
	v_lshlrev_b64 v[10:11], 2, v[6:7]
	s_mov_b32 s5, 0
	v_add_co_u32 v10, vcc_lo, s2, v10
	v_add_co_ci_u32_e64 v11, null, s3, v11, vcc_lo
	s_clause 0x1
	global_load_dword v12, v[2:3], off
	global_load_dword v10, v[10:11], off
	s_waitcnt vmcnt(0)
	v_cmp_ge_i32_e64 s4, v12, v10
.LBB1011_22:                            ;   in Loop: Header=BB1011_20 Depth=1
	s_andn2_b32 vcc_lo, exec_lo, s5
	s_cbranch_vccnz .LBB1011_19
; %bb.23:                               ;   in Loop: Header=BB1011_20 Depth=1
	v_lshlrev_b64 v[6:7], 2, v[6:7]
	s_andn2_b32 s4, s4, exec_lo
	v_add_co_u32 v6, vcc_lo, s2, v6
	v_add_co_ci_u32_e64 v7, null, s3, v7, vcc_lo
	s_clause 0x1
	global_load_dword v6, v[6:7], off
	global_load_dword v7, v[2:3], off
	s_waitcnt vmcnt(0)
	v_cmp_lt_i32_e32 vcc_lo, v6, v7
	s_and_b32 s5, vcc_lo, exec_lo
	s_or_b32 s4, s4, s5
	s_branch .LBB1011_19
.LBB1011_24:
	s_or_b32 exec_lo, exec_lo, s0
.LBB1011_25:
	v_add_nc_u32_e32 v4, v8, v0
	s_mov_b32 s13, -1
.LBB1011_26:
	s_and_b32 exec_lo, exec_lo, s13
	s_cbranch_execz .LBB1011_28
; %bb.27:
	v_mov_b32_e32 v5, 0
	v_lshlrev_b64 v[2:3], 2, v[4:5]
	v_add_co_u32 v2, vcc_lo, s10, v2
	v_add_co_ci_u32_e64 v3, null, s11, v3, vcc_lo
	s_waitcnt vmcnt(0)
	global_store_dword v[2:3], v1, off
.LBB1011_28:
	s_endpgm
	.section	.rodata,"a",@progbits
	.p2align	6, 0x0
	.amdhsa_kernel _ZN7rocprim17ROCPRIM_400000_NS6detail17trampoline_kernelINS0_14default_configENS1_38merge_sort_block_merge_config_selectorIiNS0_10empty_typeEEEZZNS1_27merge_sort_block_merge_implIS3_N6thrust23THRUST_200600_302600_NS6detail15normal_iteratorINS9_10device_ptrIiEEEEPS5_m9comp_mod3IiEEE10hipError_tT0_T1_T2_jT3_P12ihipStream_tbPNSt15iterator_traitsISJ_E10value_typeEPNSP_ISK_E10value_typeEPSL_NS1_7vsmem_tEENKUlT_SJ_SK_SL_E_clIPiSE_SF_SF_EESI_SY_SJ_SK_SL_EUlSY_E1_NS1_11comp_targetILNS1_3genE8ELNS1_11target_archE1030ELNS1_3gpuE2ELNS1_3repE0EEENS1_36merge_oddeven_config_static_selectorELNS0_4arch9wavefront6targetE0EEEvSK_
		.amdhsa_group_segment_fixed_size 0
		.amdhsa_private_segment_fixed_size 0
		.amdhsa_kernarg_size 56
		.amdhsa_user_sgpr_count 6
		.amdhsa_user_sgpr_private_segment_buffer 1
		.amdhsa_user_sgpr_dispatch_ptr 0
		.amdhsa_user_sgpr_queue_ptr 0
		.amdhsa_user_sgpr_kernarg_segment_ptr 1
		.amdhsa_user_sgpr_dispatch_id 0
		.amdhsa_user_sgpr_flat_scratch_init 0
		.amdhsa_user_sgpr_private_segment_size 0
		.amdhsa_wavefront_size32 1
		.amdhsa_uses_dynamic_stack 0
		.amdhsa_system_sgpr_private_segment_wavefront_offset 0
		.amdhsa_system_sgpr_workgroup_id_x 1
		.amdhsa_system_sgpr_workgroup_id_y 0
		.amdhsa_system_sgpr_workgroup_id_z 0
		.amdhsa_system_sgpr_workgroup_info 0
		.amdhsa_system_vgpr_workitem_id 0
		.amdhsa_next_free_vgpr 13
		.amdhsa_next_free_sgpr 18
		.amdhsa_reserve_vcc 1
		.amdhsa_reserve_flat_scratch 0
		.amdhsa_float_round_mode_32 0
		.amdhsa_float_round_mode_16_64 0
		.amdhsa_float_denorm_mode_32 3
		.amdhsa_float_denorm_mode_16_64 3
		.amdhsa_dx10_clamp 1
		.amdhsa_ieee_mode 1
		.amdhsa_fp16_overflow 0
		.amdhsa_workgroup_processor_mode 1
		.amdhsa_memory_ordered 1
		.amdhsa_forward_progress 1
		.amdhsa_shared_vgpr_count 0
		.amdhsa_exception_fp_ieee_invalid_op 0
		.amdhsa_exception_fp_denorm_src 0
		.amdhsa_exception_fp_ieee_div_zero 0
		.amdhsa_exception_fp_ieee_overflow 0
		.amdhsa_exception_fp_ieee_underflow 0
		.amdhsa_exception_fp_ieee_inexact 0
		.amdhsa_exception_int_div_zero 0
	.end_amdhsa_kernel
	.section	.text._ZN7rocprim17ROCPRIM_400000_NS6detail17trampoline_kernelINS0_14default_configENS1_38merge_sort_block_merge_config_selectorIiNS0_10empty_typeEEEZZNS1_27merge_sort_block_merge_implIS3_N6thrust23THRUST_200600_302600_NS6detail15normal_iteratorINS9_10device_ptrIiEEEEPS5_m9comp_mod3IiEEE10hipError_tT0_T1_T2_jT3_P12ihipStream_tbPNSt15iterator_traitsISJ_E10value_typeEPNSP_ISK_E10value_typeEPSL_NS1_7vsmem_tEENKUlT_SJ_SK_SL_E_clIPiSE_SF_SF_EESI_SY_SJ_SK_SL_EUlSY_E1_NS1_11comp_targetILNS1_3genE8ELNS1_11target_archE1030ELNS1_3gpuE2ELNS1_3repE0EEENS1_36merge_oddeven_config_static_selectorELNS0_4arch9wavefront6targetE0EEEvSK_,"axG",@progbits,_ZN7rocprim17ROCPRIM_400000_NS6detail17trampoline_kernelINS0_14default_configENS1_38merge_sort_block_merge_config_selectorIiNS0_10empty_typeEEEZZNS1_27merge_sort_block_merge_implIS3_N6thrust23THRUST_200600_302600_NS6detail15normal_iteratorINS9_10device_ptrIiEEEEPS5_m9comp_mod3IiEEE10hipError_tT0_T1_T2_jT3_P12ihipStream_tbPNSt15iterator_traitsISJ_E10value_typeEPNSP_ISK_E10value_typeEPSL_NS1_7vsmem_tEENKUlT_SJ_SK_SL_E_clIPiSE_SF_SF_EESI_SY_SJ_SK_SL_EUlSY_E1_NS1_11comp_targetILNS1_3genE8ELNS1_11target_archE1030ELNS1_3gpuE2ELNS1_3repE0EEENS1_36merge_oddeven_config_static_selectorELNS0_4arch9wavefront6targetE0EEEvSK_,comdat
.Lfunc_end1011:
	.size	_ZN7rocprim17ROCPRIM_400000_NS6detail17trampoline_kernelINS0_14default_configENS1_38merge_sort_block_merge_config_selectorIiNS0_10empty_typeEEEZZNS1_27merge_sort_block_merge_implIS3_N6thrust23THRUST_200600_302600_NS6detail15normal_iteratorINS9_10device_ptrIiEEEEPS5_m9comp_mod3IiEEE10hipError_tT0_T1_T2_jT3_P12ihipStream_tbPNSt15iterator_traitsISJ_E10value_typeEPNSP_ISK_E10value_typeEPSL_NS1_7vsmem_tEENKUlT_SJ_SK_SL_E_clIPiSE_SF_SF_EESI_SY_SJ_SK_SL_EUlSY_E1_NS1_11comp_targetILNS1_3genE8ELNS1_11target_archE1030ELNS1_3gpuE2ELNS1_3repE0EEENS1_36merge_oddeven_config_static_selectorELNS0_4arch9wavefront6targetE0EEEvSK_, .Lfunc_end1011-_ZN7rocprim17ROCPRIM_400000_NS6detail17trampoline_kernelINS0_14default_configENS1_38merge_sort_block_merge_config_selectorIiNS0_10empty_typeEEEZZNS1_27merge_sort_block_merge_implIS3_N6thrust23THRUST_200600_302600_NS6detail15normal_iteratorINS9_10device_ptrIiEEEEPS5_m9comp_mod3IiEEE10hipError_tT0_T1_T2_jT3_P12ihipStream_tbPNSt15iterator_traitsISJ_E10value_typeEPNSP_ISK_E10value_typeEPSL_NS1_7vsmem_tEENKUlT_SJ_SK_SL_E_clIPiSE_SF_SF_EESI_SY_SJ_SK_SL_EUlSY_E1_NS1_11comp_targetILNS1_3genE8ELNS1_11target_archE1030ELNS1_3gpuE2ELNS1_3repE0EEENS1_36merge_oddeven_config_static_selectorELNS0_4arch9wavefront6targetE0EEEvSK_
                                        ; -- End function
	.set _ZN7rocprim17ROCPRIM_400000_NS6detail17trampoline_kernelINS0_14default_configENS1_38merge_sort_block_merge_config_selectorIiNS0_10empty_typeEEEZZNS1_27merge_sort_block_merge_implIS3_N6thrust23THRUST_200600_302600_NS6detail15normal_iteratorINS9_10device_ptrIiEEEEPS5_m9comp_mod3IiEEE10hipError_tT0_T1_T2_jT3_P12ihipStream_tbPNSt15iterator_traitsISJ_E10value_typeEPNSP_ISK_E10value_typeEPSL_NS1_7vsmem_tEENKUlT_SJ_SK_SL_E_clIPiSE_SF_SF_EESI_SY_SJ_SK_SL_EUlSY_E1_NS1_11comp_targetILNS1_3genE8ELNS1_11target_archE1030ELNS1_3gpuE2ELNS1_3repE0EEENS1_36merge_oddeven_config_static_selectorELNS0_4arch9wavefront6targetE0EEEvSK_.num_vgpr, 13
	.set _ZN7rocprim17ROCPRIM_400000_NS6detail17trampoline_kernelINS0_14default_configENS1_38merge_sort_block_merge_config_selectorIiNS0_10empty_typeEEEZZNS1_27merge_sort_block_merge_implIS3_N6thrust23THRUST_200600_302600_NS6detail15normal_iteratorINS9_10device_ptrIiEEEEPS5_m9comp_mod3IiEEE10hipError_tT0_T1_T2_jT3_P12ihipStream_tbPNSt15iterator_traitsISJ_E10value_typeEPNSP_ISK_E10value_typeEPSL_NS1_7vsmem_tEENKUlT_SJ_SK_SL_E_clIPiSE_SF_SF_EESI_SY_SJ_SK_SL_EUlSY_E1_NS1_11comp_targetILNS1_3genE8ELNS1_11target_archE1030ELNS1_3gpuE2ELNS1_3repE0EEENS1_36merge_oddeven_config_static_selectorELNS0_4arch9wavefront6targetE0EEEvSK_.num_agpr, 0
	.set _ZN7rocprim17ROCPRIM_400000_NS6detail17trampoline_kernelINS0_14default_configENS1_38merge_sort_block_merge_config_selectorIiNS0_10empty_typeEEEZZNS1_27merge_sort_block_merge_implIS3_N6thrust23THRUST_200600_302600_NS6detail15normal_iteratorINS9_10device_ptrIiEEEEPS5_m9comp_mod3IiEEE10hipError_tT0_T1_T2_jT3_P12ihipStream_tbPNSt15iterator_traitsISJ_E10value_typeEPNSP_ISK_E10value_typeEPSL_NS1_7vsmem_tEENKUlT_SJ_SK_SL_E_clIPiSE_SF_SF_EESI_SY_SJ_SK_SL_EUlSY_E1_NS1_11comp_targetILNS1_3genE8ELNS1_11target_archE1030ELNS1_3gpuE2ELNS1_3repE0EEENS1_36merge_oddeven_config_static_selectorELNS0_4arch9wavefront6targetE0EEEvSK_.numbered_sgpr, 18
	.set _ZN7rocprim17ROCPRIM_400000_NS6detail17trampoline_kernelINS0_14default_configENS1_38merge_sort_block_merge_config_selectorIiNS0_10empty_typeEEEZZNS1_27merge_sort_block_merge_implIS3_N6thrust23THRUST_200600_302600_NS6detail15normal_iteratorINS9_10device_ptrIiEEEEPS5_m9comp_mod3IiEEE10hipError_tT0_T1_T2_jT3_P12ihipStream_tbPNSt15iterator_traitsISJ_E10value_typeEPNSP_ISK_E10value_typeEPSL_NS1_7vsmem_tEENKUlT_SJ_SK_SL_E_clIPiSE_SF_SF_EESI_SY_SJ_SK_SL_EUlSY_E1_NS1_11comp_targetILNS1_3genE8ELNS1_11target_archE1030ELNS1_3gpuE2ELNS1_3repE0EEENS1_36merge_oddeven_config_static_selectorELNS0_4arch9wavefront6targetE0EEEvSK_.num_named_barrier, 0
	.set _ZN7rocprim17ROCPRIM_400000_NS6detail17trampoline_kernelINS0_14default_configENS1_38merge_sort_block_merge_config_selectorIiNS0_10empty_typeEEEZZNS1_27merge_sort_block_merge_implIS3_N6thrust23THRUST_200600_302600_NS6detail15normal_iteratorINS9_10device_ptrIiEEEEPS5_m9comp_mod3IiEEE10hipError_tT0_T1_T2_jT3_P12ihipStream_tbPNSt15iterator_traitsISJ_E10value_typeEPNSP_ISK_E10value_typeEPSL_NS1_7vsmem_tEENKUlT_SJ_SK_SL_E_clIPiSE_SF_SF_EESI_SY_SJ_SK_SL_EUlSY_E1_NS1_11comp_targetILNS1_3genE8ELNS1_11target_archE1030ELNS1_3gpuE2ELNS1_3repE0EEENS1_36merge_oddeven_config_static_selectorELNS0_4arch9wavefront6targetE0EEEvSK_.private_seg_size, 0
	.set _ZN7rocprim17ROCPRIM_400000_NS6detail17trampoline_kernelINS0_14default_configENS1_38merge_sort_block_merge_config_selectorIiNS0_10empty_typeEEEZZNS1_27merge_sort_block_merge_implIS3_N6thrust23THRUST_200600_302600_NS6detail15normal_iteratorINS9_10device_ptrIiEEEEPS5_m9comp_mod3IiEEE10hipError_tT0_T1_T2_jT3_P12ihipStream_tbPNSt15iterator_traitsISJ_E10value_typeEPNSP_ISK_E10value_typeEPSL_NS1_7vsmem_tEENKUlT_SJ_SK_SL_E_clIPiSE_SF_SF_EESI_SY_SJ_SK_SL_EUlSY_E1_NS1_11comp_targetILNS1_3genE8ELNS1_11target_archE1030ELNS1_3gpuE2ELNS1_3repE0EEENS1_36merge_oddeven_config_static_selectorELNS0_4arch9wavefront6targetE0EEEvSK_.uses_vcc, 1
	.set _ZN7rocprim17ROCPRIM_400000_NS6detail17trampoline_kernelINS0_14default_configENS1_38merge_sort_block_merge_config_selectorIiNS0_10empty_typeEEEZZNS1_27merge_sort_block_merge_implIS3_N6thrust23THRUST_200600_302600_NS6detail15normal_iteratorINS9_10device_ptrIiEEEEPS5_m9comp_mod3IiEEE10hipError_tT0_T1_T2_jT3_P12ihipStream_tbPNSt15iterator_traitsISJ_E10value_typeEPNSP_ISK_E10value_typeEPSL_NS1_7vsmem_tEENKUlT_SJ_SK_SL_E_clIPiSE_SF_SF_EESI_SY_SJ_SK_SL_EUlSY_E1_NS1_11comp_targetILNS1_3genE8ELNS1_11target_archE1030ELNS1_3gpuE2ELNS1_3repE0EEENS1_36merge_oddeven_config_static_selectorELNS0_4arch9wavefront6targetE0EEEvSK_.uses_flat_scratch, 0
	.set _ZN7rocprim17ROCPRIM_400000_NS6detail17trampoline_kernelINS0_14default_configENS1_38merge_sort_block_merge_config_selectorIiNS0_10empty_typeEEEZZNS1_27merge_sort_block_merge_implIS3_N6thrust23THRUST_200600_302600_NS6detail15normal_iteratorINS9_10device_ptrIiEEEEPS5_m9comp_mod3IiEEE10hipError_tT0_T1_T2_jT3_P12ihipStream_tbPNSt15iterator_traitsISJ_E10value_typeEPNSP_ISK_E10value_typeEPSL_NS1_7vsmem_tEENKUlT_SJ_SK_SL_E_clIPiSE_SF_SF_EESI_SY_SJ_SK_SL_EUlSY_E1_NS1_11comp_targetILNS1_3genE8ELNS1_11target_archE1030ELNS1_3gpuE2ELNS1_3repE0EEENS1_36merge_oddeven_config_static_selectorELNS0_4arch9wavefront6targetE0EEEvSK_.has_dyn_sized_stack, 0
	.set _ZN7rocprim17ROCPRIM_400000_NS6detail17trampoline_kernelINS0_14default_configENS1_38merge_sort_block_merge_config_selectorIiNS0_10empty_typeEEEZZNS1_27merge_sort_block_merge_implIS3_N6thrust23THRUST_200600_302600_NS6detail15normal_iteratorINS9_10device_ptrIiEEEEPS5_m9comp_mod3IiEEE10hipError_tT0_T1_T2_jT3_P12ihipStream_tbPNSt15iterator_traitsISJ_E10value_typeEPNSP_ISK_E10value_typeEPSL_NS1_7vsmem_tEENKUlT_SJ_SK_SL_E_clIPiSE_SF_SF_EESI_SY_SJ_SK_SL_EUlSY_E1_NS1_11comp_targetILNS1_3genE8ELNS1_11target_archE1030ELNS1_3gpuE2ELNS1_3repE0EEENS1_36merge_oddeven_config_static_selectorELNS0_4arch9wavefront6targetE0EEEvSK_.has_recursion, 0
	.set _ZN7rocprim17ROCPRIM_400000_NS6detail17trampoline_kernelINS0_14default_configENS1_38merge_sort_block_merge_config_selectorIiNS0_10empty_typeEEEZZNS1_27merge_sort_block_merge_implIS3_N6thrust23THRUST_200600_302600_NS6detail15normal_iteratorINS9_10device_ptrIiEEEEPS5_m9comp_mod3IiEEE10hipError_tT0_T1_T2_jT3_P12ihipStream_tbPNSt15iterator_traitsISJ_E10value_typeEPNSP_ISK_E10value_typeEPSL_NS1_7vsmem_tEENKUlT_SJ_SK_SL_E_clIPiSE_SF_SF_EESI_SY_SJ_SK_SL_EUlSY_E1_NS1_11comp_targetILNS1_3genE8ELNS1_11target_archE1030ELNS1_3gpuE2ELNS1_3repE0EEENS1_36merge_oddeven_config_static_selectorELNS0_4arch9wavefront6targetE0EEEvSK_.has_indirect_call, 0
	.section	.AMDGPU.csdata,"",@progbits
; Kernel info:
; codeLenInByte = 896
; TotalNumSgprs: 20
; NumVgprs: 13
; ScratchSize: 0
; MemoryBound: 0
; FloatMode: 240
; IeeeMode: 1
; LDSByteSize: 0 bytes/workgroup (compile time only)
; SGPRBlocks: 0
; VGPRBlocks: 1
; NumSGPRsForWavesPerEU: 20
; NumVGPRsForWavesPerEU: 13
; Occupancy: 16
; WaveLimiterHint : 1
; COMPUTE_PGM_RSRC2:SCRATCH_EN: 0
; COMPUTE_PGM_RSRC2:USER_SGPR: 6
; COMPUTE_PGM_RSRC2:TRAP_HANDLER: 0
; COMPUTE_PGM_RSRC2:TGID_X_EN: 1
; COMPUTE_PGM_RSRC2:TGID_Y_EN: 0
; COMPUTE_PGM_RSRC2:TGID_Z_EN: 0
; COMPUTE_PGM_RSRC2:TIDIG_COMP_CNT: 0
	.section	.text._ZN7rocprim17ROCPRIM_400000_NS6detail17trampoline_kernelINS0_14default_configENS1_38merge_sort_block_merge_config_selectorIiNS0_10empty_typeEEEZZNS1_27merge_sort_block_merge_implIS3_N6thrust23THRUST_200600_302600_NS6detail15normal_iteratorINS9_10device_ptrIiEEEEPS5_m9comp_mod3IiEEE10hipError_tT0_T1_T2_jT3_P12ihipStream_tbPNSt15iterator_traitsISJ_E10value_typeEPNSP_ISK_E10value_typeEPSL_NS1_7vsmem_tEENKUlT_SJ_SK_SL_E_clISE_PiSF_SF_EESI_SY_SJ_SK_SL_EUlSY_E_NS1_11comp_targetILNS1_3genE0ELNS1_11target_archE4294967295ELNS1_3gpuE0ELNS1_3repE0EEENS1_48merge_mergepath_partition_config_static_selectorELNS0_4arch9wavefront6targetE0EEEvSK_,"axG",@progbits,_ZN7rocprim17ROCPRIM_400000_NS6detail17trampoline_kernelINS0_14default_configENS1_38merge_sort_block_merge_config_selectorIiNS0_10empty_typeEEEZZNS1_27merge_sort_block_merge_implIS3_N6thrust23THRUST_200600_302600_NS6detail15normal_iteratorINS9_10device_ptrIiEEEEPS5_m9comp_mod3IiEEE10hipError_tT0_T1_T2_jT3_P12ihipStream_tbPNSt15iterator_traitsISJ_E10value_typeEPNSP_ISK_E10value_typeEPSL_NS1_7vsmem_tEENKUlT_SJ_SK_SL_E_clISE_PiSF_SF_EESI_SY_SJ_SK_SL_EUlSY_E_NS1_11comp_targetILNS1_3genE0ELNS1_11target_archE4294967295ELNS1_3gpuE0ELNS1_3repE0EEENS1_48merge_mergepath_partition_config_static_selectorELNS0_4arch9wavefront6targetE0EEEvSK_,comdat
	.protected	_ZN7rocprim17ROCPRIM_400000_NS6detail17trampoline_kernelINS0_14default_configENS1_38merge_sort_block_merge_config_selectorIiNS0_10empty_typeEEEZZNS1_27merge_sort_block_merge_implIS3_N6thrust23THRUST_200600_302600_NS6detail15normal_iteratorINS9_10device_ptrIiEEEEPS5_m9comp_mod3IiEEE10hipError_tT0_T1_T2_jT3_P12ihipStream_tbPNSt15iterator_traitsISJ_E10value_typeEPNSP_ISK_E10value_typeEPSL_NS1_7vsmem_tEENKUlT_SJ_SK_SL_E_clISE_PiSF_SF_EESI_SY_SJ_SK_SL_EUlSY_E_NS1_11comp_targetILNS1_3genE0ELNS1_11target_archE4294967295ELNS1_3gpuE0ELNS1_3repE0EEENS1_48merge_mergepath_partition_config_static_selectorELNS0_4arch9wavefront6targetE0EEEvSK_ ; -- Begin function _ZN7rocprim17ROCPRIM_400000_NS6detail17trampoline_kernelINS0_14default_configENS1_38merge_sort_block_merge_config_selectorIiNS0_10empty_typeEEEZZNS1_27merge_sort_block_merge_implIS3_N6thrust23THRUST_200600_302600_NS6detail15normal_iteratorINS9_10device_ptrIiEEEEPS5_m9comp_mod3IiEEE10hipError_tT0_T1_T2_jT3_P12ihipStream_tbPNSt15iterator_traitsISJ_E10value_typeEPNSP_ISK_E10value_typeEPSL_NS1_7vsmem_tEENKUlT_SJ_SK_SL_E_clISE_PiSF_SF_EESI_SY_SJ_SK_SL_EUlSY_E_NS1_11comp_targetILNS1_3genE0ELNS1_11target_archE4294967295ELNS1_3gpuE0ELNS1_3repE0EEENS1_48merge_mergepath_partition_config_static_selectorELNS0_4arch9wavefront6targetE0EEEvSK_
	.globl	_ZN7rocprim17ROCPRIM_400000_NS6detail17trampoline_kernelINS0_14default_configENS1_38merge_sort_block_merge_config_selectorIiNS0_10empty_typeEEEZZNS1_27merge_sort_block_merge_implIS3_N6thrust23THRUST_200600_302600_NS6detail15normal_iteratorINS9_10device_ptrIiEEEEPS5_m9comp_mod3IiEEE10hipError_tT0_T1_T2_jT3_P12ihipStream_tbPNSt15iterator_traitsISJ_E10value_typeEPNSP_ISK_E10value_typeEPSL_NS1_7vsmem_tEENKUlT_SJ_SK_SL_E_clISE_PiSF_SF_EESI_SY_SJ_SK_SL_EUlSY_E_NS1_11comp_targetILNS1_3genE0ELNS1_11target_archE4294967295ELNS1_3gpuE0ELNS1_3repE0EEENS1_48merge_mergepath_partition_config_static_selectorELNS0_4arch9wavefront6targetE0EEEvSK_
	.p2align	8
	.type	_ZN7rocprim17ROCPRIM_400000_NS6detail17trampoline_kernelINS0_14default_configENS1_38merge_sort_block_merge_config_selectorIiNS0_10empty_typeEEEZZNS1_27merge_sort_block_merge_implIS3_N6thrust23THRUST_200600_302600_NS6detail15normal_iteratorINS9_10device_ptrIiEEEEPS5_m9comp_mod3IiEEE10hipError_tT0_T1_T2_jT3_P12ihipStream_tbPNSt15iterator_traitsISJ_E10value_typeEPNSP_ISK_E10value_typeEPSL_NS1_7vsmem_tEENKUlT_SJ_SK_SL_E_clISE_PiSF_SF_EESI_SY_SJ_SK_SL_EUlSY_E_NS1_11comp_targetILNS1_3genE0ELNS1_11target_archE4294967295ELNS1_3gpuE0ELNS1_3repE0EEENS1_48merge_mergepath_partition_config_static_selectorELNS0_4arch9wavefront6targetE0EEEvSK_,@function
_ZN7rocprim17ROCPRIM_400000_NS6detail17trampoline_kernelINS0_14default_configENS1_38merge_sort_block_merge_config_selectorIiNS0_10empty_typeEEEZZNS1_27merge_sort_block_merge_implIS3_N6thrust23THRUST_200600_302600_NS6detail15normal_iteratorINS9_10device_ptrIiEEEEPS5_m9comp_mod3IiEEE10hipError_tT0_T1_T2_jT3_P12ihipStream_tbPNSt15iterator_traitsISJ_E10value_typeEPNSP_ISK_E10value_typeEPSL_NS1_7vsmem_tEENKUlT_SJ_SK_SL_E_clISE_PiSF_SF_EESI_SY_SJ_SK_SL_EUlSY_E_NS1_11comp_targetILNS1_3genE0ELNS1_11target_archE4294967295ELNS1_3gpuE0ELNS1_3repE0EEENS1_48merge_mergepath_partition_config_static_selectorELNS0_4arch9wavefront6targetE0EEEvSK_: ; @_ZN7rocprim17ROCPRIM_400000_NS6detail17trampoline_kernelINS0_14default_configENS1_38merge_sort_block_merge_config_selectorIiNS0_10empty_typeEEEZZNS1_27merge_sort_block_merge_implIS3_N6thrust23THRUST_200600_302600_NS6detail15normal_iteratorINS9_10device_ptrIiEEEEPS5_m9comp_mod3IiEEE10hipError_tT0_T1_T2_jT3_P12ihipStream_tbPNSt15iterator_traitsISJ_E10value_typeEPNSP_ISK_E10value_typeEPSL_NS1_7vsmem_tEENKUlT_SJ_SK_SL_E_clISE_PiSF_SF_EESI_SY_SJ_SK_SL_EUlSY_E_NS1_11comp_targetILNS1_3genE0ELNS1_11target_archE4294967295ELNS1_3gpuE0ELNS1_3repE0EEENS1_48merge_mergepath_partition_config_static_selectorELNS0_4arch9wavefront6targetE0EEEvSK_
; %bb.0:
	.section	.rodata,"a",@progbits
	.p2align	6, 0x0
	.amdhsa_kernel _ZN7rocprim17ROCPRIM_400000_NS6detail17trampoline_kernelINS0_14default_configENS1_38merge_sort_block_merge_config_selectorIiNS0_10empty_typeEEEZZNS1_27merge_sort_block_merge_implIS3_N6thrust23THRUST_200600_302600_NS6detail15normal_iteratorINS9_10device_ptrIiEEEEPS5_m9comp_mod3IiEEE10hipError_tT0_T1_T2_jT3_P12ihipStream_tbPNSt15iterator_traitsISJ_E10value_typeEPNSP_ISK_E10value_typeEPSL_NS1_7vsmem_tEENKUlT_SJ_SK_SL_E_clISE_PiSF_SF_EESI_SY_SJ_SK_SL_EUlSY_E_NS1_11comp_targetILNS1_3genE0ELNS1_11target_archE4294967295ELNS1_3gpuE0ELNS1_3repE0EEENS1_48merge_mergepath_partition_config_static_selectorELNS0_4arch9wavefront6targetE0EEEvSK_
		.amdhsa_group_segment_fixed_size 0
		.amdhsa_private_segment_fixed_size 0
		.amdhsa_kernarg_size 48
		.amdhsa_user_sgpr_count 6
		.amdhsa_user_sgpr_private_segment_buffer 1
		.amdhsa_user_sgpr_dispatch_ptr 0
		.amdhsa_user_sgpr_queue_ptr 0
		.amdhsa_user_sgpr_kernarg_segment_ptr 1
		.amdhsa_user_sgpr_dispatch_id 0
		.amdhsa_user_sgpr_flat_scratch_init 0
		.amdhsa_user_sgpr_private_segment_size 0
		.amdhsa_wavefront_size32 1
		.amdhsa_uses_dynamic_stack 0
		.amdhsa_system_sgpr_private_segment_wavefront_offset 0
		.amdhsa_system_sgpr_workgroup_id_x 1
		.amdhsa_system_sgpr_workgroup_id_y 0
		.amdhsa_system_sgpr_workgroup_id_z 0
		.amdhsa_system_sgpr_workgroup_info 0
		.amdhsa_system_vgpr_workitem_id 0
		.amdhsa_next_free_vgpr 1
		.amdhsa_next_free_sgpr 1
		.amdhsa_reserve_vcc 0
		.amdhsa_reserve_flat_scratch 0
		.amdhsa_float_round_mode_32 0
		.amdhsa_float_round_mode_16_64 0
		.amdhsa_float_denorm_mode_32 3
		.amdhsa_float_denorm_mode_16_64 3
		.amdhsa_dx10_clamp 1
		.amdhsa_ieee_mode 1
		.amdhsa_fp16_overflow 0
		.amdhsa_workgroup_processor_mode 1
		.amdhsa_memory_ordered 1
		.amdhsa_forward_progress 1
		.amdhsa_shared_vgpr_count 0
		.amdhsa_exception_fp_ieee_invalid_op 0
		.amdhsa_exception_fp_denorm_src 0
		.amdhsa_exception_fp_ieee_div_zero 0
		.amdhsa_exception_fp_ieee_overflow 0
		.amdhsa_exception_fp_ieee_underflow 0
		.amdhsa_exception_fp_ieee_inexact 0
		.amdhsa_exception_int_div_zero 0
	.end_amdhsa_kernel
	.section	.text._ZN7rocprim17ROCPRIM_400000_NS6detail17trampoline_kernelINS0_14default_configENS1_38merge_sort_block_merge_config_selectorIiNS0_10empty_typeEEEZZNS1_27merge_sort_block_merge_implIS3_N6thrust23THRUST_200600_302600_NS6detail15normal_iteratorINS9_10device_ptrIiEEEEPS5_m9comp_mod3IiEEE10hipError_tT0_T1_T2_jT3_P12ihipStream_tbPNSt15iterator_traitsISJ_E10value_typeEPNSP_ISK_E10value_typeEPSL_NS1_7vsmem_tEENKUlT_SJ_SK_SL_E_clISE_PiSF_SF_EESI_SY_SJ_SK_SL_EUlSY_E_NS1_11comp_targetILNS1_3genE0ELNS1_11target_archE4294967295ELNS1_3gpuE0ELNS1_3repE0EEENS1_48merge_mergepath_partition_config_static_selectorELNS0_4arch9wavefront6targetE0EEEvSK_,"axG",@progbits,_ZN7rocprim17ROCPRIM_400000_NS6detail17trampoline_kernelINS0_14default_configENS1_38merge_sort_block_merge_config_selectorIiNS0_10empty_typeEEEZZNS1_27merge_sort_block_merge_implIS3_N6thrust23THRUST_200600_302600_NS6detail15normal_iteratorINS9_10device_ptrIiEEEEPS5_m9comp_mod3IiEEE10hipError_tT0_T1_T2_jT3_P12ihipStream_tbPNSt15iterator_traitsISJ_E10value_typeEPNSP_ISK_E10value_typeEPSL_NS1_7vsmem_tEENKUlT_SJ_SK_SL_E_clISE_PiSF_SF_EESI_SY_SJ_SK_SL_EUlSY_E_NS1_11comp_targetILNS1_3genE0ELNS1_11target_archE4294967295ELNS1_3gpuE0ELNS1_3repE0EEENS1_48merge_mergepath_partition_config_static_selectorELNS0_4arch9wavefront6targetE0EEEvSK_,comdat
.Lfunc_end1012:
	.size	_ZN7rocprim17ROCPRIM_400000_NS6detail17trampoline_kernelINS0_14default_configENS1_38merge_sort_block_merge_config_selectorIiNS0_10empty_typeEEEZZNS1_27merge_sort_block_merge_implIS3_N6thrust23THRUST_200600_302600_NS6detail15normal_iteratorINS9_10device_ptrIiEEEEPS5_m9comp_mod3IiEEE10hipError_tT0_T1_T2_jT3_P12ihipStream_tbPNSt15iterator_traitsISJ_E10value_typeEPNSP_ISK_E10value_typeEPSL_NS1_7vsmem_tEENKUlT_SJ_SK_SL_E_clISE_PiSF_SF_EESI_SY_SJ_SK_SL_EUlSY_E_NS1_11comp_targetILNS1_3genE0ELNS1_11target_archE4294967295ELNS1_3gpuE0ELNS1_3repE0EEENS1_48merge_mergepath_partition_config_static_selectorELNS0_4arch9wavefront6targetE0EEEvSK_, .Lfunc_end1012-_ZN7rocprim17ROCPRIM_400000_NS6detail17trampoline_kernelINS0_14default_configENS1_38merge_sort_block_merge_config_selectorIiNS0_10empty_typeEEEZZNS1_27merge_sort_block_merge_implIS3_N6thrust23THRUST_200600_302600_NS6detail15normal_iteratorINS9_10device_ptrIiEEEEPS5_m9comp_mod3IiEEE10hipError_tT0_T1_T2_jT3_P12ihipStream_tbPNSt15iterator_traitsISJ_E10value_typeEPNSP_ISK_E10value_typeEPSL_NS1_7vsmem_tEENKUlT_SJ_SK_SL_E_clISE_PiSF_SF_EESI_SY_SJ_SK_SL_EUlSY_E_NS1_11comp_targetILNS1_3genE0ELNS1_11target_archE4294967295ELNS1_3gpuE0ELNS1_3repE0EEENS1_48merge_mergepath_partition_config_static_selectorELNS0_4arch9wavefront6targetE0EEEvSK_
                                        ; -- End function
	.set _ZN7rocprim17ROCPRIM_400000_NS6detail17trampoline_kernelINS0_14default_configENS1_38merge_sort_block_merge_config_selectorIiNS0_10empty_typeEEEZZNS1_27merge_sort_block_merge_implIS3_N6thrust23THRUST_200600_302600_NS6detail15normal_iteratorINS9_10device_ptrIiEEEEPS5_m9comp_mod3IiEEE10hipError_tT0_T1_T2_jT3_P12ihipStream_tbPNSt15iterator_traitsISJ_E10value_typeEPNSP_ISK_E10value_typeEPSL_NS1_7vsmem_tEENKUlT_SJ_SK_SL_E_clISE_PiSF_SF_EESI_SY_SJ_SK_SL_EUlSY_E_NS1_11comp_targetILNS1_3genE0ELNS1_11target_archE4294967295ELNS1_3gpuE0ELNS1_3repE0EEENS1_48merge_mergepath_partition_config_static_selectorELNS0_4arch9wavefront6targetE0EEEvSK_.num_vgpr, 0
	.set _ZN7rocprim17ROCPRIM_400000_NS6detail17trampoline_kernelINS0_14default_configENS1_38merge_sort_block_merge_config_selectorIiNS0_10empty_typeEEEZZNS1_27merge_sort_block_merge_implIS3_N6thrust23THRUST_200600_302600_NS6detail15normal_iteratorINS9_10device_ptrIiEEEEPS5_m9comp_mod3IiEEE10hipError_tT0_T1_T2_jT3_P12ihipStream_tbPNSt15iterator_traitsISJ_E10value_typeEPNSP_ISK_E10value_typeEPSL_NS1_7vsmem_tEENKUlT_SJ_SK_SL_E_clISE_PiSF_SF_EESI_SY_SJ_SK_SL_EUlSY_E_NS1_11comp_targetILNS1_3genE0ELNS1_11target_archE4294967295ELNS1_3gpuE0ELNS1_3repE0EEENS1_48merge_mergepath_partition_config_static_selectorELNS0_4arch9wavefront6targetE0EEEvSK_.num_agpr, 0
	.set _ZN7rocprim17ROCPRIM_400000_NS6detail17trampoline_kernelINS0_14default_configENS1_38merge_sort_block_merge_config_selectorIiNS0_10empty_typeEEEZZNS1_27merge_sort_block_merge_implIS3_N6thrust23THRUST_200600_302600_NS6detail15normal_iteratorINS9_10device_ptrIiEEEEPS5_m9comp_mod3IiEEE10hipError_tT0_T1_T2_jT3_P12ihipStream_tbPNSt15iterator_traitsISJ_E10value_typeEPNSP_ISK_E10value_typeEPSL_NS1_7vsmem_tEENKUlT_SJ_SK_SL_E_clISE_PiSF_SF_EESI_SY_SJ_SK_SL_EUlSY_E_NS1_11comp_targetILNS1_3genE0ELNS1_11target_archE4294967295ELNS1_3gpuE0ELNS1_3repE0EEENS1_48merge_mergepath_partition_config_static_selectorELNS0_4arch9wavefront6targetE0EEEvSK_.numbered_sgpr, 0
	.set _ZN7rocprim17ROCPRIM_400000_NS6detail17trampoline_kernelINS0_14default_configENS1_38merge_sort_block_merge_config_selectorIiNS0_10empty_typeEEEZZNS1_27merge_sort_block_merge_implIS3_N6thrust23THRUST_200600_302600_NS6detail15normal_iteratorINS9_10device_ptrIiEEEEPS5_m9comp_mod3IiEEE10hipError_tT0_T1_T2_jT3_P12ihipStream_tbPNSt15iterator_traitsISJ_E10value_typeEPNSP_ISK_E10value_typeEPSL_NS1_7vsmem_tEENKUlT_SJ_SK_SL_E_clISE_PiSF_SF_EESI_SY_SJ_SK_SL_EUlSY_E_NS1_11comp_targetILNS1_3genE0ELNS1_11target_archE4294967295ELNS1_3gpuE0ELNS1_3repE0EEENS1_48merge_mergepath_partition_config_static_selectorELNS0_4arch9wavefront6targetE0EEEvSK_.num_named_barrier, 0
	.set _ZN7rocprim17ROCPRIM_400000_NS6detail17trampoline_kernelINS0_14default_configENS1_38merge_sort_block_merge_config_selectorIiNS0_10empty_typeEEEZZNS1_27merge_sort_block_merge_implIS3_N6thrust23THRUST_200600_302600_NS6detail15normal_iteratorINS9_10device_ptrIiEEEEPS5_m9comp_mod3IiEEE10hipError_tT0_T1_T2_jT3_P12ihipStream_tbPNSt15iterator_traitsISJ_E10value_typeEPNSP_ISK_E10value_typeEPSL_NS1_7vsmem_tEENKUlT_SJ_SK_SL_E_clISE_PiSF_SF_EESI_SY_SJ_SK_SL_EUlSY_E_NS1_11comp_targetILNS1_3genE0ELNS1_11target_archE4294967295ELNS1_3gpuE0ELNS1_3repE0EEENS1_48merge_mergepath_partition_config_static_selectorELNS0_4arch9wavefront6targetE0EEEvSK_.private_seg_size, 0
	.set _ZN7rocprim17ROCPRIM_400000_NS6detail17trampoline_kernelINS0_14default_configENS1_38merge_sort_block_merge_config_selectorIiNS0_10empty_typeEEEZZNS1_27merge_sort_block_merge_implIS3_N6thrust23THRUST_200600_302600_NS6detail15normal_iteratorINS9_10device_ptrIiEEEEPS5_m9comp_mod3IiEEE10hipError_tT0_T1_T2_jT3_P12ihipStream_tbPNSt15iterator_traitsISJ_E10value_typeEPNSP_ISK_E10value_typeEPSL_NS1_7vsmem_tEENKUlT_SJ_SK_SL_E_clISE_PiSF_SF_EESI_SY_SJ_SK_SL_EUlSY_E_NS1_11comp_targetILNS1_3genE0ELNS1_11target_archE4294967295ELNS1_3gpuE0ELNS1_3repE0EEENS1_48merge_mergepath_partition_config_static_selectorELNS0_4arch9wavefront6targetE0EEEvSK_.uses_vcc, 0
	.set _ZN7rocprim17ROCPRIM_400000_NS6detail17trampoline_kernelINS0_14default_configENS1_38merge_sort_block_merge_config_selectorIiNS0_10empty_typeEEEZZNS1_27merge_sort_block_merge_implIS3_N6thrust23THRUST_200600_302600_NS6detail15normal_iteratorINS9_10device_ptrIiEEEEPS5_m9comp_mod3IiEEE10hipError_tT0_T1_T2_jT3_P12ihipStream_tbPNSt15iterator_traitsISJ_E10value_typeEPNSP_ISK_E10value_typeEPSL_NS1_7vsmem_tEENKUlT_SJ_SK_SL_E_clISE_PiSF_SF_EESI_SY_SJ_SK_SL_EUlSY_E_NS1_11comp_targetILNS1_3genE0ELNS1_11target_archE4294967295ELNS1_3gpuE0ELNS1_3repE0EEENS1_48merge_mergepath_partition_config_static_selectorELNS0_4arch9wavefront6targetE0EEEvSK_.uses_flat_scratch, 0
	.set _ZN7rocprim17ROCPRIM_400000_NS6detail17trampoline_kernelINS0_14default_configENS1_38merge_sort_block_merge_config_selectorIiNS0_10empty_typeEEEZZNS1_27merge_sort_block_merge_implIS3_N6thrust23THRUST_200600_302600_NS6detail15normal_iteratorINS9_10device_ptrIiEEEEPS5_m9comp_mod3IiEEE10hipError_tT0_T1_T2_jT3_P12ihipStream_tbPNSt15iterator_traitsISJ_E10value_typeEPNSP_ISK_E10value_typeEPSL_NS1_7vsmem_tEENKUlT_SJ_SK_SL_E_clISE_PiSF_SF_EESI_SY_SJ_SK_SL_EUlSY_E_NS1_11comp_targetILNS1_3genE0ELNS1_11target_archE4294967295ELNS1_3gpuE0ELNS1_3repE0EEENS1_48merge_mergepath_partition_config_static_selectorELNS0_4arch9wavefront6targetE0EEEvSK_.has_dyn_sized_stack, 0
	.set _ZN7rocprim17ROCPRIM_400000_NS6detail17trampoline_kernelINS0_14default_configENS1_38merge_sort_block_merge_config_selectorIiNS0_10empty_typeEEEZZNS1_27merge_sort_block_merge_implIS3_N6thrust23THRUST_200600_302600_NS6detail15normal_iteratorINS9_10device_ptrIiEEEEPS5_m9comp_mod3IiEEE10hipError_tT0_T1_T2_jT3_P12ihipStream_tbPNSt15iterator_traitsISJ_E10value_typeEPNSP_ISK_E10value_typeEPSL_NS1_7vsmem_tEENKUlT_SJ_SK_SL_E_clISE_PiSF_SF_EESI_SY_SJ_SK_SL_EUlSY_E_NS1_11comp_targetILNS1_3genE0ELNS1_11target_archE4294967295ELNS1_3gpuE0ELNS1_3repE0EEENS1_48merge_mergepath_partition_config_static_selectorELNS0_4arch9wavefront6targetE0EEEvSK_.has_recursion, 0
	.set _ZN7rocprim17ROCPRIM_400000_NS6detail17trampoline_kernelINS0_14default_configENS1_38merge_sort_block_merge_config_selectorIiNS0_10empty_typeEEEZZNS1_27merge_sort_block_merge_implIS3_N6thrust23THRUST_200600_302600_NS6detail15normal_iteratorINS9_10device_ptrIiEEEEPS5_m9comp_mod3IiEEE10hipError_tT0_T1_T2_jT3_P12ihipStream_tbPNSt15iterator_traitsISJ_E10value_typeEPNSP_ISK_E10value_typeEPSL_NS1_7vsmem_tEENKUlT_SJ_SK_SL_E_clISE_PiSF_SF_EESI_SY_SJ_SK_SL_EUlSY_E_NS1_11comp_targetILNS1_3genE0ELNS1_11target_archE4294967295ELNS1_3gpuE0ELNS1_3repE0EEENS1_48merge_mergepath_partition_config_static_selectorELNS0_4arch9wavefront6targetE0EEEvSK_.has_indirect_call, 0
	.section	.AMDGPU.csdata,"",@progbits
; Kernel info:
; codeLenInByte = 0
; TotalNumSgprs: 0
; NumVgprs: 0
; ScratchSize: 0
; MemoryBound: 0
; FloatMode: 240
; IeeeMode: 1
; LDSByteSize: 0 bytes/workgroup (compile time only)
; SGPRBlocks: 0
; VGPRBlocks: 0
; NumSGPRsForWavesPerEU: 1
; NumVGPRsForWavesPerEU: 1
; Occupancy: 16
; WaveLimiterHint : 0
; COMPUTE_PGM_RSRC2:SCRATCH_EN: 0
; COMPUTE_PGM_RSRC2:USER_SGPR: 6
; COMPUTE_PGM_RSRC2:TRAP_HANDLER: 0
; COMPUTE_PGM_RSRC2:TGID_X_EN: 1
; COMPUTE_PGM_RSRC2:TGID_Y_EN: 0
; COMPUTE_PGM_RSRC2:TGID_Z_EN: 0
; COMPUTE_PGM_RSRC2:TIDIG_COMP_CNT: 0
	.section	.text._ZN7rocprim17ROCPRIM_400000_NS6detail17trampoline_kernelINS0_14default_configENS1_38merge_sort_block_merge_config_selectorIiNS0_10empty_typeEEEZZNS1_27merge_sort_block_merge_implIS3_N6thrust23THRUST_200600_302600_NS6detail15normal_iteratorINS9_10device_ptrIiEEEEPS5_m9comp_mod3IiEEE10hipError_tT0_T1_T2_jT3_P12ihipStream_tbPNSt15iterator_traitsISJ_E10value_typeEPNSP_ISK_E10value_typeEPSL_NS1_7vsmem_tEENKUlT_SJ_SK_SL_E_clISE_PiSF_SF_EESI_SY_SJ_SK_SL_EUlSY_E_NS1_11comp_targetILNS1_3genE10ELNS1_11target_archE1201ELNS1_3gpuE5ELNS1_3repE0EEENS1_48merge_mergepath_partition_config_static_selectorELNS0_4arch9wavefront6targetE0EEEvSK_,"axG",@progbits,_ZN7rocprim17ROCPRIM_400000_NS6detail17trampoline_kernelINS0_14default_configENS1_38merge_sort_block_merge_config_selectorIiNS0_10empty_typeEEEZZNS1_27merge_sort_block_merge_implIS3_N6thrust23THRUST_200600_302600_NS6detail15normal_iteratorINS9_10device_ptrIiEEEEPS5_m9comp_mod3IiEEE10hipError_tT0_T1_T2_jT3_P12ihipStream_tbPNSt15iterator_traitsISJ_E10value_typeEPNSP_ISK_E10value_typeEPSL_NS1_7vsmem_tEENKUlT_SJ_SK_SL_E_clISE_PiSF_SF_EESI_SY_SJ_SK_SL_EUlSY_E_NS1_11comp_targetILNS1_3genE10ELNS1_11target_archE1201ELNS1_3gpuE5ELNS1_3repE0EEENS1_48merge_mergepath_partition_config_static_selectorELNS0_4arch9wavefront6targetE0EEEvSK_,comdat
	.protected	_ZN7rocprim17ROCPRIM_400000_NS6detail17trampoline_kernelINS0_14default_configENS1_38merge_sort_block_merge_config_selectorIiNS0_10empty_typeEEEZZNS1_27merge_sort_block_merge_implIS3_N6thrust23THRUST_200600_302600_NS6detail15normal_iteratorINS9_10device_ptrIiEEEEPS5_m9comp_mod3IiEEE10hipError_tT0_T1_T2_jT3_P12ihipStream_tbPNSt15iterator_traitsISJ_E10value_typeEPNSP_ISK_E10value_typeEPSL_NS1_7vsmem_tEENKUlT_SJ_SK_SL_E_clISE_PiSF_SF_EESI_SY_SJ_SK_SL_EUlSY_E_NS1_11comp_targetILNS1_3genE10ELNS1_11target_archE1201ELNS1_3gpuE5ELNS1_3repE0EEENS1_48merge_mergepath_partition_config_static_selectorELNS0_4arch9wavefront6targetE0EEEvSK_ ; -- Begin function _ZN7rocprim17ROCPRIM_400000_NS6detail17trampoline_kernelINS0_14default_configENS1_38merge_sort_block_merge_config_selectorIiNS0_10empty_typeEEEZZNS1_27merge_sort_block_merge_implIS3_N6thrust23THRUST_200600_302600_NS6detail15normal_iteratorINS9_10device_ptrIiEEEEPS5_m9comp_mod3IiEEE10hipError_tT0_T1_T2_jT3_P12ihipStream_tbPNSt15iterator_traitsISJ_E10value_typeEPNSP_ISK_E10value_typeEPSL_NS1_7vsmem_tEENKUlT_SJ_SK_SL_E_clISE_PiSF_SF_EESI_SY_SJ_SK_SL_EUlSY_E_NS1_11comp_targetILNS1_3genE10ELNS1_11target_archE1201ELNS1_3gpuE5ELNS1_3repE0EEENS1_48merge_mergepath_partition_config_static_selectorELNS0_4arch9wavefront6targetE0EEEvSK_
	.globl	_ZN7rocprim17ROCPRIM_400000_NS6detail17trampoline_kernelINS0_14default_configENS1_38merge_sort_block_merge_config_selectorIiNS0_10empty_typeEEEZZNS1_27merge_sort_block_merge_implIS3_N6thrust23THRUST_200600_302600_NS6detail15normal_iteratorINS9_10device_ptrIiEEEEPS5_m9comp_mod3IiEEE10hipError_tT0_T1_T2_jT3_P12ihipStream_tbPNSt15iterator_traitsISJ_E10value_typeEPNSP_ISK_E10value_typeEPSL_NS1_7vsmem_tEENKUlT_SJ_SK_SL_E_clISE_PiSF_SF_EESI_SY_SJ_SK_SL_EUlSY_E_NS1_11comp_targetILNS1_3genE10ELNS1_11target_archE1201ELNS1_3gpuE5ELNS1_3repE0EEENS1_48merge_mergepath_partition_config_static_selectorELNS0_4arch9wavefront6targetE0EEEvSK_
	.p2align	8
	.type	_ZN7rocprim17ROCPRIM_400000_NS6detail17trampoline_kernelINS0_14default_configENS1_38merge_sort_block_merge_config_selectorIiNS0_10empty_typeEEEZZNS1_27merge_sort_block_merge_implIS3_N6thrust23THRUST_200600_302600_NS6detail15normal_iteratorINS9_10device_ptrIiEEEEPS5_m9comp_mod3IiEEE10hipError_tT0_T1_T2_jT3_P12ihipStream_tbPNSt15iterator_traitsISJ_E10value_typeEPNSP_ISK_E10value_typeEPSL_NS1_7vsmem_tEENKUlT_SJ_SK_SL_E_clISE_PiSF_SF_EESI_SY_SJ_SK_SL_EUlSY_E_NS1_11comp_targetILNS1_3genE10ELNS1_11target_archE1201ELNS1_3gpuE5ELNS1_3repE0EEENS1_48merge_mergepath_partition_config_static_selectorELNS0_4arch9wavefront6targetE0EEEvSK_,@function
_ZN7rocprim17ROCPRIM_400000_NS6detail17trampoline_kernelINS0_14default_configENS1_38merge_sort_block_merge_config_selectorIiNS0_10empty_typeEEEZZNS1_27merge_sort_block_merge_implIS3_N6thrust23THRUST_200600_302600_NS6detail15normal_iteratorINS9_10device_ptrIiEEEEPS5_m9comp_mod3IiEEE10hipError_tT0_T1_T2_jT3_P12ihipStream_tbPNSt15iterator_traitsISJ_E10value_typeEPNSP_ISK_E10value_typeEPSL_NS1_7vsmem_tEENKUlT_SJ_SK_SL_E_clISE_PiSF_SF_EESI_SY_SJ_SK_SL_EUlSY_E_NS1_11comp_targetILNS1_3genE10ELNS1_11target_archE1201ELNS1_3gpuE5ELNS1_3repE0EEENS1_48merge_mergepath_partition_config_static_selectorELNS0_4arch9wavefront6targetE0EEEvSK_: ; @_ZN7rocprim17ROCPRIM_400000_NS6detail17trampoline_kernelINS0_14default_configENS1_38merge_sort_block_merge_config_selectorIiNS0_10empty_typeEEEZZNS1_27merge_sort_block_merge_implIS3_N6thrust23THRUST_200600_302600_NS6detail15normal_iteratorINS9_10device_ptrIiEEEEPS5_m9comp_mod3IiEEE10hipError_tT0_T1_T2_jT3_P12ihipStream_tbPNSt15iterator_traitsISJ_E10value_typeEPNSP_ISK_E10value_typeEPSL_NS1_7vsmem_tEENKUlT_SJ_SK_SL_E_clISE_PiSF_SF_EESI_SY_SJ_SK_SL_EUlSY_E_NS1_11comp_targetILNS1_3genE10ELNS1_11target_archE1201ELNS1_3gpuE5ELNS1_3repE0EEENS1_48merge_mergepath_partition_config_static_selectorELNS0_4arch9wavefront6targetE0EEEvSK_
; %bb.0:
	.section	.rodata,"a",@progbits
	.p2align	6, 0x0
	.amdhsa_kernel _ZN7rocprim17ROCPRIM_400000_NS6detail17trampoline_kernelINS0_14default_configENS1_38merge_sort_block_merge_config_selectorIiNS0_10empty_typeEEEZZNS1_27merge_sort_block_merge_implIS3_N6thrust23THRUST_200600_302600_NS6detail15normal_iteratorINS9_10device_ptrIiEEEEPS5_m9comp_mod3IiEEE10hipError_tT0_T1_T2_jT3_P12ihipStream_tbPNSt15iterator_traitsISJ_E10value_typeEPNSP_ISK_E10value_typeEPSL_NS1_7vsmem_tEENKUlT_SJ_SK_SL_E_clISE_PiSF_SF_EESI_SY_SJ_SK_SL_EUlSY_E_NS1_11comp_targetILNS1_3genE10ELNS1_11target_archE1201ELNS1_3gpuE5ELNS1_3repE0EEENS1_48merge_mergepath_partition_config_static_selectorELNS0_4arch9wavefront6targetE0EEEvSK_
		.amdhsa_group_segment_fixed_size 0
		.amdhsa_private_segment_fixed_size 0
		.amdhsa_kernarg_size 48
		.amdhsa_user_sgpr_count 6
		.amdhsa_user_sgpr_private_segment_buffer 1
		.amdhsa_user_sgpr_dispatch_ptr 0
		.amdhsa_user_sgpr_queue_ptr 0
		.amdhsa_user_sgpr_kernarg_segment_ptr 1
		.amdhsa_user_sgpr_dispatch_id 0
		.amdhsa_user_sgpr_flat_scratch_init 0
		.amdhsa_user_sgpr_private_segment_size 0
		.amdhsa_wavefront_size32 1
		.amdhsa_uses_dynamic_stack 0
		.amdhsa_system_sgpr_private_segment_wavefront_offset 0
		.amdhsa_system_sgpr_workgroup_id_x 1
		.amdhsa_system_sgpr_workgroup_id_y 0
		.amdhsa_system_sgpr_workgroup_id_z 0
		.amdhsa_system_sgpr_workgroup_info 0
		.amdhsa_system_vgpr_workitem_id 0
		.amdhsa_next_free_vgpr 1
		.amdhsa_next_free_sgpr 1
		.amdhsa_reserve_vcc 0
		.amdhsa_reserve_flat_scratch 0
		.amdhsa_float_round_mode_32 0
		.amdhsa_float_round_mode_16_64 0
		.amdhsa_float_denorm_mode_32 3
		.amdhsa_float_denorm_mode_16_64 3
		.amdhsa_dx10_clamp 1
		.amdhsa_ieee_mode 1
		.amdhsa_fp16_overflow 0
		.amdhsa_workgroup_processor_mode 1
		.amdhsa_memory_ordered 1
		.amdhsa_forward_progress 1
		.amdhsa_shared_vgpr_count 0
		.amdhsa_exception_fp_ieee_invalid_op 0
		.amdhsa_exception_fp_denorm_src 0
		.amdhsa_exception_fp_ieee_div_zero 0
		.amdhsa_exception_fp_ieee_overflow 0
		.amdhsa_exception_fp_ieee_underflow 0
		.amdhsa_exception_fp_ieee_inexact 0
		.amdhsa_exception_int_div_zero 0
	.end_amdhsa_kernel
	.section	.text._ZN7rocprim17ROCPRIM_400000_NS6detail17trampoline_kernelINS0_14default_configENS1_38merge_sort_block_merge_config_selectorIiNS0_10empty_typeEEEZZNS1_27merge_sort_block_merge_implIS3_N6thrust23THRUST_200600_302600_NS6detail15normal_iteratorINS9_10device_ptrIiEEEEPS5_m9comp_mod3IiEEE10hipError_tT0_T1_T2_jT3_P12ihipStream_tbPNSt15iterator_traitsISJ_E10value_typeEPNSP_ISK_E10value_typeEPSL_NS1_7vsmem_tEENKUlT_SJ_SK_SL_E_clISE_PiSF_SF_EESI_SY_SJ_SK_SL_EUlSY_E_NS1_11comp_targetILNS1_3genE10ELNS1_11target_archE1201ELNS1_3gpuE5ELNS1_3repE0EEENS1_48merge_mergepath_partition_config_static_selectorELNS0_4arch9wavefront6targetE0EEEvSK_,"axG",@progbits,_ZN7rocprim17ROCPRIM_400000_NS6detail17trampoline_kernelINS0_14default_configENS1_38merge_sort_block_merge_config_selectorIiNS0_10empty_typeEEEZZNS1_27merge_sort_block_merge_implIS3_N6thrust23THRUST_200600_302600_NS6detail15normal_iteratorINS9_10device_ptrIiEEEEPS5_m9comp_mod3IiEEE10hipError_tT0_T1_T2_jT3_P12ihipStream_tbPNSt15iterator_traitsISJ_E10value_typeEPNSP_ISK_E10value_typeEPSL_NS1_7vsmem_tEENKUlT_SJ_SK_SL_E_clISE_PiSF_SF_EESI_SY_SJ_SK_SL_EUlSY_E_NS1_11comp_targetILNS1_3genE10ELNS1_11target_archE1201ELNS1_3gpuE5ELNS1_3repE0EEENS1_48merge_mergepath_partition_config_static_selectorELNS0_4arch9wavefront6targetE0EEEvSK_,comdat
.Lfunc_end1013:
	.size	_ZN7rocprim17ROCPRIM_400000_NS6detail17trampoline_kernelINS0_14default_configENS1_38merge_sort_block_merge_config_selectorIiNS0_10empty_typeEEEZZNS1_27merge_sort_block_merge_implIS3_N6thrust23THRUST_200600_302600_NS6detail15normal_iteratorINS9_10device_ptrIiEEEEPS5_m9comp_mod3IiEEE10hipError_tT0_T1_T2_jT3_P12ihipStream_tbPNSt15iterator_traitsISJ_E10value_typeEPNSP_ISK_E10value_typeEPSL_NS1_7vsmem_tEENKUlT_SJ_SK_SL_E_clISE_PiSF_SF_EESI_SY_SJ_SK_SL_EUlSY_E_NS1_11comp_targetILNS1_3genE10ELNS1_11target_archE1201ELNS1_3gpuE5ELNS1_3repE0EEENS1_48merge_mergepath_partition_config_static_selectorELNS0_4arch9wavefront6targetE0EEEvSK_, .Lfunc_end1013-_ZN7rocprim17ROCPRIM_400000_NS6detail17trampoline_kernelINS0_14default_configENS1_38merge_sort_block_merge_config_selectorIiNS0_10empty_typeEEEZZNS1_27merge_sort_block_merge_implIS3_N6thrust23THRUST_200600_302600_NS6detail15normal_iteratorINS9_10device_ptrIiEEEEPS5_m9comp_mod3IiEEE10hipError_tT0_T1_T2_jT3_P12ihipStream_tbPNSt15iterator_traitsISJ_E10value_typeEPNSP_ISK_E10value_typeEPSL_NS1_7vsmem_tEENKUlT_SJ_SK_SL_E_clISE_PiSF_SF_EESI_SY_SJ_SK_SL_EUlSY_E_NS1_11comp_targetILNS1_3genE10ELNS1_11target_archE1201ELNS1_3gpuE5ELNS1_3repE0EEENS1_48merge_mergepath_partition_config_static_selectorELNS0_4arch9wavefront6targetE0EEEvSK_
                                        ; -- End function
	.set _ZN7rocprim17ROCPRIM_400000_NS6detail17trampoline_kernelINS0_14default_configENS1_38merge_sort_block_merge_config_selectorIiNS0_10empty_typeEEEZZNS1_27merge_sort_block_merge_implIS3_N6thrust23THRUST_200600_302600_NS6detail15normal_iteratorINS9_10device_ptrIiEEEEPS5_m9comp_mod3IiEEE10hipError_tT0_T1_T2_jT3_P12ihipStream_tbPNSt15iterator_traitsISJ_E10value_typeEPNSP_ISK_E10value_typeEPSL_NS1_7vsmem_tEENKUlT_SJ_SK_SL_E_clISE_PiSF_SF_EESI_SY_SJ_SK_SL_EUlSY_E_NS1_11comp_targetILNS1_3genE10ELNS1_11target_archE1201ELNS1_3gpuE5ELNS1_3repE0EEENS1_48merge_mergepath_partition_config_static_selectorELNS0_4arch9wavefront6targetE0EEEvSK_.num_vgpr, 0
	.set _ZN7rocprim17ROCPRIM_400000_NS6detail17trampoline_kernelINS0_14default_configENS1_38merge_sort_block_merge_config_selectorIiNS0_10empty_typeEEEZZNS1_27merge_sort_block_merge_implIS3_N6thrust23THRUST_200600_302600_NS6detail15normal_iteratorINS9_10device_ptrIiEEEEPS5_m9comp_mod3IiEEE10hipError_tT0_T1_T2_jT3_P12ihipStream_tbPNSt15iterator_traitsISJ_E10value_typeEPNSP_ISK_E10value_typeEPSL_NS1_7vsmem_tEENKUlT_SJ_SK_SL_E_clISE_PiSF_SF_EESI_SY_SJ_SK_SL_EUlSY_E_NS1_11comp_targetILNS1_3genE10ELNS1_11target_archE1201ELNS1_3gpuE5ELNS1_3repE0EEENS1_48merge_mergepath_partition_config_static_selectorELNS0_4arch9wavefront6targetE0EEEvSK_.num_agpr, 0
	.set _ZN7rocprim17ROCPRIM_400000_NS6detail17trampoline_kernelINS0_14default_configENS1_38merge_sort_block_merge_config_selectorIiNS0_10empty_typeEEEZZNS1_27merge_sort_block_merge_implIS3_N6thrust23THRUST_200600_302600_NS6detail15normal_iteratorINS9_10device_ptrIiEEEEPS5_m9comp_mod3IiEEE10hipError_tT0_T1_T2_jT3_P12ihipStream_tbPNSt15iterator_traitsISJ_E10value_typeEPNSP_ISK_E10value_typeEPSL_NS1_7vsmem_tEENKUlT_SJ_SK_SL_E_clISE_PiSF_SF_EESI_SY_SJ_SK_SL_EUlSY_E_NS1_11comp_targetILNS1_3genE10ELNS1_11target_archE1201ELNS1_3gpuE5ELNS1_3repE0EEENS1_48merge_mergepath_partition_config_static_selectorELNS0_4arch9wavefront6targetE0EEEvSK_.numbered_sgpr, 0
	.set _ZN7rocprim17ROCPRIM_400000_NS6detail17trampoline_kernelINS0_14default_configENS1_38merge_sort_block_merge_config_selectorIiNS0_10empty_typeEEEZZNS1_27merge_sort_block_merge_implIS3_N6thrust23THRUST_200600_302600_NS6detail15normal_iteratorINS9_10device_ptrIiEEEEPS5_m9comp_mod3IiEEE10hipError_tT0_T1_T2_jT3_P12ihipStream_tbPNSt15iterator_traitsISJ_E10value_typeEPNSP_ISK_E10value_typeEPSL_NS1_7vsmem_tEENKUlT_SJ_SK_SL_E_clISE_PiSF_SF_EESI_SY_SJ_SK_SL_EUlSY_E_NS1_11comp_targetILNS1_3genE10ELNS1_11target_archE1201ELNS1_3gpuE5ELNS1_3repE0EEENS1_48merge_mergepath_partition_config_static_selectorELNS0_4arch9wavefront6targetE0EEEvSK_.num_named_barrier, 0
	.set _ZN7rocprim17ROCPRIM_400000_NS6detail17trampoline_kernelINS0_14default_configENS1_38merge_sort_block_merge_config_selectorIiNS0_10empty_typeEEEZZNS1_27merge_sort_block_merge_implIS3_N6thrust23THRUST_200600_302600_NS6detail15normal_iteratorINS9_10device_ptrIiEEEEPS5_m9comp_mod3IiEEE10hipError_tT0_T1_T2_jT3_P12ihipStream_tbPNSt15iterator_traitsISJ_E10value_typeEPNSP_ISK_E10value_typeEPSL_NS1_7vsmem_tEENKUlT_SJ_SK_SL_E_clISE_PiSF_SF_EESI_SY_SJ_SK_SL_EUlSY_E_NS1_11comp_targetILNS1_3genE10ELNS1_11target_archE1201ELNS1_3gpuE5ELNS1_3repE0EEENS1_48merge_mergepath_partition_config_static_selectorELNS0_4arch9wavefront6targetE0EEEvSK_.private_seg_size, 0
	.set _ZN7rocprim17ROCPRIM_400000_NS6detail17trampoline_kernelINS0_14default_configENS1_38merge_sort_block_merge_config_selectorIiNS0_10empty_typeEEEZZNS1_27merge_sort_block_merge_implIS3_N6thrust23THRUST_200600_302600_NS6detail15normal_iteratorINS9_10device_ptrIiEEEEPS5_m9comp_mod3IiEEE10hipError_tT0_T1_T2_jT3_P12ihipStream_tbPNSt15iterator_traitsISJ_E10value_typeEPNSP_ISK_E10value_typeEPSL_NS1_7vsmem_tEENKUlT_SJ_SK_SL_E_clISE_PiSF_SF_EESI_SY_SJ_SK_SL_EUlSY_E_NS1_11comp_targetILNS1_3genE10ELNS1_11target_archE1201ELNS1_3gpuE5ELNS1_3repE0EEENS1_48merge_mergepath_partition_config_static_selectorELNS0_4arch9wavefront6targetE0EEEvSK_.uses_vcc, 0
	.set _ZN7rocprim17ROCPRIM_400000_NS6detail17trampoline_kernelINS0_14default_configENS1_38merge_sort_block_merge_config_selectorIiNS0_10empty_typeEEEZZNS1_27merge_sort_block_merge_implIS3_N6thrust23THRUST_200600_302600_NS6detail15normal_iteratorINS9_10device_ptrIiEEEEPS5_m9comp_mod3IiEEE10hipError_tT0_T1_T2_jT3_P12ihipStream_tbPNSt15iterator_traitsISJ_E10value_typeEPNSP_ISK_E10value_typeEPSL_NS1_7vsmem_tEENKUlT_SJ_SK_SL_E_clISE_PiSF_SF_EESI_SY_SJ_SK_SL_EUlSY_E_NS1_11comp_targetILNS1_3genE10ELNS1_11target_archE1201ELNS1_3gpuE5ELNS1_3repE0EEENS1_48merge_mergepath_partition_config_static_selectorELNS0_4arch9wavefront6targetE0EEEvSK_.uses_flat_scratch, 0
	.set _ZN7rocprim17ROCPRIM_400000_NS6detail17trampoline_kernelINS0_14default_configENS1_38merge_sort_block_merge_config_selectorIiNS0_10empty_typeEEEZZNS1_27merge_sort_block_merge_implIS3_N6thrust23THRUST_200600_302600_NS6detail15normal_iteratorINS9_10device_ptrIiEEEEPS5_m9comp_mod3IiEEE10hipError_tT0_T1_T2_jT3_P12ihipStream_tbPNSt15iterator_traitsISJ_E10value_typeEPNSP_ISK_E10value_typeEPSL_NS1_7vsmem_tEENKUlT_SJ_SK_SL_E_clISE_PiSF_SF_EESI_SY_SJ_SK_SL_EUlSY_E_NS1_11comp_targetILNS1_3genE10ELNS1_11target_archE1201ELNS1_3gpuE5ELNS1_3repE0EEENS1_48merge_mergepath_partition_config_static_selectorELNS0_4arch9wavefront6targetE0EEEvSK_.has_dyn_sized_stack, 0
	.set _ZN7rocprim17ROCPRIM_400000_NS6detail17trampoline_kernelINS0_14default_configENS1_38merge_sort_block_merge_config_selectorIiNS0_10empty_typeEEEZZNS1_27merge_sort_block_merge_implIS3_N6thrust23THRUST_200600_302600_NS6detail15normal_iteratorINS9_10device_ptrIiEEEEPS5_m9comp_mod3IiEEE10hipError_tT0_T1_T2_jT3_P12ihipStream_tbPNSt15iterator_traitsISJ_E10value_typeEPNSP_ISK_E10value_typeEPSL_NS1_7vsmem_tEENKUlT_SJ_SK_SL_E_clISE_PiSF_SF_EESI_SY_SJ_SK_SL_EUlSY_E_NS1_11comp_targetILNS1_3genE10ELNS1_11target_archE1201ELNS1_3gpuE5ELNS1_3repE0EEENS1_48merge_mergepath_partition_config_static_selectorELNS0_4arch9wavefront6targetE0EEEvSK_.has_recursion, 0
	.set _ZN7rocprim17ROCPRIM_400000_NS6detail17trampoline_kernelINS0_14default_configENS1_38merge_sort_block_merge_config_selectorIiNS0_10empty_typeEEEZZNS1_27merge_sort_block_merge_implIS3_N6thrust23THRUST_200600_302600_NS6detail15normal_iteratorINS9_10device_ptrIiEEEEPS5_m9comp_mod3IiEEE10hipError_tT0_T1_T2_jT3_P12ihipStream_tbPNSt15iterator_traitsISJ_E10value_typeEPNSP_ISK_E10value_typeEPSL_NS1_7vsmem_tEENKUlT_SJ_SK_SL_E_clISE_PiSF_SF_EESI_SY_SJ_SK_SL_EUlSY_E_NS1_11comp_targetILNS1_3genE10ELNS1_11target_archE1201ELNS1_3gpuE5ELNS1_3repE0EEENS1_48merge_mergepath_partition_config_static_selectorELNS0_4arch9wavefront6targetE0EEEvSK_.has_indirect_call, 0
	.section	.AMDGPU.csdata,"",@progbits
; Kernel info:
; codeLenInByte = 0
; TotalNumSgprs: 0
; NumVgprs: 0
; ScratchSize: 0
; MemoryBound: 0
; FloatMode: 240
; IeeeMode: 1
; LDSByteSize: 0 bytes/workgroup (compile time only)
; SGPRBlocks: 0
; VGPRBlocks: 0
; NumSGPRsForWavesPerEU: 1
; NumVGPRsForWavesPerEU: 1
; Occupancy: 16
; WaveLimiterHint : 0
; COMPUTE_PGM_RSRC2:SCRATCH_EN: 0
; COMPUTE_PGM_RSRC2:USER_SGPR: 6
; COMPUTE_PGM_RSRC2:TRAP_HANDLER: 0
; COMPUTE_PGM_RSRC2:TGID_X_EN: 1
; COMPUTE_PGM_RSRC2:TGID_Y_EN: 0
; COMPUTE_PGM_RSRC2:TGID_Z_EN: 0
; COMPUTE_PGM_RSRC2:TIDIG_COMP_CNT: 0
	.section	.text._ZN7rocprim17ROCPRIM_400000_NS6detail17trampoline_kernelINS0_14default_configENS1_38merge_sort_block_merge_config_selectorIiNS0_10empty_typeEEEZZNS1_27merge_sort_block_merge_implIS3_N6thrust23THRUST_200600_302600_NS6detail15normal_iteratorINS9_10device_ptrIiEEEEPS5_m9comp_mod3IiEEE10hipError_tT0_T1_T2_jT3_P12ihipStream_tbPNSt15iterator_traitsISJ_E10value_typeEPNSP_ISK_E10value_typeEPSL_NS1_7vsmem_tEENKUlT_SJ_SK_SL_E_clISE_PiSF_SF_EESI_SY_SJ_SK_SL_EUlSY_E_NS1_11comp_targetILNS1_3genE5ELNS1_11target_archE942ELNS1_3gpuE9ELNS1_3repE0EEENS1_48merge_mergepath_partition_config_static_selectorELNS0_4arch9wavefront6targetE0EEEvSK_,"axG",@progbits,_ZN7rocprim17ROCPRIM_400000_NS6detail17trampoline_kernelINS0_14default_configENS1_38merge_sort_block_merge_config_selectorIiNS0_10empty_typeEEEZZNS1_27merge_sort_block_merge_implIS3_N6thrust23THRUST_200600_302600_NS6detail15normal_iteratorINS9_10device_ptrIiEEEEPS5_m9comp_mod3IiEEE10hipError_tT0_T1_T2_jT3_P12ihipStream_tbPNSt15iterator_traitsISJ_E10value_typeEPNSP_ISK_E10value_typeEPSL_NS1_7vsmem_tEENKUlT_SJ_SK_SL_E_clISE_PiSF_SF_EESI_SY_SJ_SK_SL_EUlSY_E_NS1_11comp_targetILNS1_3genE5ELNS1_11target_archE942ELNS1_3gpuE9ELNS1_3repE0EEENS1_48merge_mergepath_partition_config_static_selectorELNS0_4arch9wavefront6targetE0EEEvSK_,comdat
	.protected	_ZN7rocprim17ROCPRIM_400000_NS6detail17trampoline_kernelINS0_14default_configENS1_38merge_sort_block_merge_config_selectorIiNS0_10empty_typeEEEZZNS1_27merge_sort_block_merge_implIS3_N6thrust23THRUST_200600_302600_NS6detail15normal_iteratorINS9_10device_ptrIiEEEEPS5_m9comp_mod3IiEEE10hipError_tT0_T1_T2_jT3_P12ihipStream_tbPNSt15iterator_traitsISJ_E10value_typeEPNSP_ISK_E10value_typeEPSL_NS1_7vsmem_tEENKUlT_SJ_SK_SL_E_clISE_PiSF_SF_EESI_SY_SJ_SK_SL_EUlSY_E_NS1_11comp_targetILNS1_3genE5ELNS1_11target_archE942ELNS1_3gpuE9ELNS1_3repE0EEENS1_48merge_mergepath_partition_config_static_selectorELNS0_4arch9wavefront6targetE0EEEvSK_ ; -- Begin function _ZN7rocprim17ROCPRIM_400000_NS6detail17trampoline_kernelINS0_14default_configENS1_38merge_sort_block_merge_config_selectorIiNS0_10empty_typeEEEZZNS1_27merge_sort_block_merge_implIS3_N6thrust23THRUST_200600_302600_NS6detail15normal_iteratorINS9_10device_ptrIiEEEEPS5_m9comp_mod3IiEEE10hipError_tT0_T1_T2_jT3_P12ihipStream_tbPNSt15iterator_traitsISJ_E10value_typeEPNSP_ISK_E10value_typeEPSL_NS1_7vsmem_tEENKUlT_SJ_SK_SL_E_clISE_PiSF_SF_EESI_SY_SJ_SK_SL_EUlSY_E_NS1_11comp_targetILNS1_3genE5ELNS1_11target_archE942ELNS1_3gpuE9ELNS1_3repE0EEENS1_48merge_mergepath_partition_config_static_selectorELNS0_4arch9wavefront6targetE0EEEvSK_
	.globl	_ZN7rocprim17ROCPRIM_400000_NS6detail17trampoline_kernelINS0_14default_configENS1_38merge_sort_block_merge_config_selectorIiNS0_10empty_typeEEEZZNS1_27merge_sort_block_merge_implIS3_N6thrust23THRUST_200600_302600_NS6detail15normal_iteratorINS9_10device_ptrIiEEEEPS5_m9comp_mod3IiEEE10hipError_tT0_T1_T2_jT3_P12ihipStream_tbPNSt15iterator_traitsISJ_E10value_typeEPNSP_ISK_E10value_typeEPSL_NS1_7vsmem_tEENKUlT_SJ_SK_SL_E_clISE_PiSF_SF_EESI_SY_SJ_SK_SL_EUlSY_E_NS1_11comp_targetILNS1_3genE5ELNS1_11target_archE942ELNS1_3gpuE9ELNS1_3repE0EEENS1_48merge_mergepath_partition_config_static_selectorELNS0_4arch9wavefront6targetE0EEEvSK_
	.p2align	8
	.type	_ZN7rocprim17ROCPRIM_400000_NS6detail17trampoline_kernelINS0_14default_configENS1_38merge_sort_block_merge_config_selectorIiNS0_10empty_typeEEEZZNS1_27merge_sort_block_merge_implIS3_N6thrust23THRUST_200600_302600_NS6detail15normal_iteratorINS9_10device_ptrIiEEEEPS5_m9comp_mod3IiEEE10hipError_tT0_T1_T2_jT3_P12ihipStream_tbPNSt15iterator_traitsISJ_E10value_typeEPNSP_ISK_E10value_typeEPSL_NS1_7vsmem_tEENKUlT_SJ_SK_SL_E_clISE_PiSF_SF_EESI_SY_SJ_SK_SL_EUlSY_E_NS1_11comp_targetILNS1_3genE5ELNS1_11target_archE942ELNS1_3gpuE9ELNS1_3repE0EEENS1_48merge_mergepath_partition_config_static_selectorELNS0_4arch9wavefront6targetE0EEEvSK_,@function
_ZN7rocprim17ROCPRIM_400000_NS6detail17trampoline_kernelINS0_14default_configENS1_38merge_sort_block_merge_config_selectorIiNS0_10empty_typeEEEZZNS1_27merge_sort_block_merge_implIS3_N6thrust23THRUST_200600_302600_NS6detail15normal_iteratorINS9_10device_ptrIiEEEEPS5_m9comp_mod3IiEEE10hipError_tT0_T1_T2_jT3_P12ihipStream_tbPNSt15iterator_traitsISJ_E10value_typeEPNSP_ISK_E10value_typeEPSL_NS1_7vsmem_tEENKUlT_SJ_SK_SL_E_clISE_PiSF_SF_EESI_SY_SJ_SK_SL_EUlSY_E_NS1_11comp_targetILNS1_3genE5ELNS1_11target_archE942ELNS1_3gpuE9ELNS1_3repE0EEENS1_48merge_mergepath_partition_config_static_selectorELNS0_4arch9wavefront6targetE0EEEvSK_: ; @_ZN7rocprim17ROCPRIM_400000_NS6detail17trampoline_kernelINS0_14default_configENS1_38merge_sort_block_merge_config_selectorIiNS0_10empty_typeEEEZZNS1_27merge_sort_block_merge_implIS3_N6thrust23THRUST_200600_302600_NS6detail15normal_iteratorINS9_10device_ptrIiEEEEPS5_m9comp_mod3IiEEE10hipError_tT0_T1_T2_jT3_P12ihipStream_tbPNSt15iterator_traitsISJ_E10value_typeEPNSP_ISK_E10value_typeEPSL_NS1_7vsmem_tEENKUlT_SJ_SK_SL_E_clISE_PiSF_SF_EESI_SY_SJ_SK_SL_EUlSY_E_NS1_11comp_targetILNS1_3genE5ELNS1_11target_archE942ELNS1_3gpuE9ELNS1_3repE0EEENS1_48merge_mergepath_partition_config_static_selectorELNS0_4arch9wavefront6targetE0EEEvSK_
; %bb.0:
	.section	.rodata,"a",@progbits
	.p2align	6, 0x0
	.amdhsa_kernel _ZN7rocprim17ROCPRIM_400000_NS6detail17trampoline_kernelINS0_14default_configENS1_38merge_sort_block_merge_config_selectorIiNS0_10empty_typeEEEZZNS1_27merge_sort_block_merge_implIS3_N6thrust23THRUST_200600_302600_NS6detail15normal_iteratorINS9_10device_ptrIiEEEEPS5_m9comp_mod3IiEEE10hipError_tT0_T1_T2_jT3_P12ihipStream_tbPNSt15iterator_traitsISJ_E10value_typeEPNSP_ISK_E10value_typeEPSL_NS1_7vsmem_tEENKUlT_SJ_SK_SL_E_clISE_PiSF_SF_EESI_SY_SJ_SK_SL_EUlSY_E_NS1_11comp_targetILNS1_3genE5ELNS1_11target_archE942ELNS1_3gpuE9ELNS1_3repE0EEENS1_48merge_mergepath_partition_config_static_selectorELNS0_4arch9wavefront6targetE0EEEvSK_
		.amdhsa_group_segment_fixed_size 0
		.amdhsa_private_segment_fixed_size 0
		.amdhsa_kernarg_size 48
		.amdhsa_user_sgpr_count 6
		.amdhsa_user_sgpr_private_segment_buffer 1
		.amdhsa_user_sgpr_dispatch_ptr 0
		.amdhsa_user_sgpr_queue_ptr 0
		.amdhsa_user_sgpr_kernarg_segment_ptr 1
		.amdhsa_user_sgpr_dispatch_id 0
		.amdhsa_user_sgpr_flat_scratch_init 0
		.amdhsa_user_sgpr_private_segment_size 0
		.amdhsa_wavefront_size32 1
		.amdhsa_uses_dynamic_stack 0
		.amdhsa_system_sgpr_private_segment_wavefront_offset 0
		.amdhsa_system_sgpr_workgroup_id_x 1
		.amdhsa_system_sgpr_workgroup_id_y 0
		.amdhsa_system_sgpr_workgroup_id_z 0
		.amdhsa_system_sgpr_workgroup_info 0
		.amdhsa_system_vgpr_workitem_id 0
		.amdhsa_next_free_vgpr 1
		.amdhsa_next_free_sgpr 1
		.amdhsa_reserve_vcc 0
		.amdhsa_reserve_flat_scratch 0
		.amdhsa_float_round_mode_32 0
		.amdhsa_float_round_mode_16_64 0
		.amdhsa_float_denorm_mode_32 3
		.amdhsa_float_denorm_mode_16_64 3
		.amdhsa_dx10_clamp 1
		.amdhsa_ieee_mode 1
		.amdhsa_fp16_overflow 0
		.amdhsa_workgroup_processor_mode 1
		.amdhsa_memory_ordered 1
		.amdhsa_forward_progress 1
		.amdhsa_shared_vgpr_count 0
		.amdhsa_exception_fp_ieee_invalid_op 0
		.amdhsa_exception_fp_denorm_src 0
		.amdhsa_exception_fp_ieee_div_zero 0
		.amdhsa_exception_fp_ieee_overflow 0
		.amdhsa_exception_fp_ieee_underflow 0
		.amdhsa_exception_fp_ieee_inexact 0
		.amdhsa_exception_int_div_zero 0
	.end_amdhsa_kernel
	.section	.text._ZN7rocprim17ROCPRIM_400000_NS6detail17trampoline_kernelINS0_14default_configENS1_38merge_sort_block_merge_config_selectorIiNS0_10empty_typeEEEZZNS1_27merge_sort_block_merge_implIS3_N6thrust23THRUST_200600_302600_NS6detail15normal_iteratorINS9_10device_ptrIiEEEEPS5_m9comp_mod3IiEEE10hipError_tT0_T1_T2_jT3_P12ihipStream_tbPNSt15iterator_traitsISJ_E10value_typeEPNSP_ISK_E10value_typeEPSL_NS1_7vsmem_tEENKUlT_SJ_SK_SL_E_clISE_PiSF_SF_EESI_SY_SJ_SK_SL_EUlSY_E_NS1_11comp_targetILNS1_3genE5ELNS1_11target_archE942ELNS1_3gpuE9ELNS1_3repE0EEENS1_48merge_mergepath_partition_config_static_selectorELNS0_4arch9wavefront6targetE0EEEvSK_,"axG",@progbits,_ZN7rocprim17ROCPRIM_400000_NS6detail17trampoline_kernelINS0_14default_configENS1_38merge_sort_block_merge_config_selectorIiNS0_10empty_typeEEEZZNS1_27merge_sort_block_merge_implIS3_N6thrust23THRUST_200600_302600_NS6detail15normal_iteratorINS9_10device_ptrIiEEEEPS5_m9comp_mod3IiEEE10hipError_tT0_T1_T2_jT3_P12ihipStream_tbPNSt15iterator_traitsISJ_E10value_typeEPNSP_ISK_E10value_typeEPSL_NS1_7vsmem_tEENKUlT_SJ_SK_SL_E_clISE_PiSF_SF_EESI_SY_SJ_SK_SL_EUlSY_E_NS1_11comp_targetILNS1_3genE5ELNS1_11target_archE942ELNS1_3gpuE9ELNS1_3repE0EEENS1_48merge_mergepath_partition_config_static_selectorELNS0_4arch9wavefront6targetE0EEEvSK_,comdat
.Lfunc_end1014:
	.size	_ZN7rocprim17ROCPRIM_400000_NS6detail17trampoline_kernelINS0_14default_configENS1_38merge_sort_block_merge_config_selectorIiNS0_10empty_typeEEEZZNS1_27merge_sort_block_merge_implIS3_N6thrust23THRUST_200600_302600_NS6detail15normal_iteratorINS9_10device_ptrIiEEEEPS5_m9comp_mod3IiEEE10hipError_tT0_T1_T2_jT3_P12ihipStream_tbPNSt15iterator_traitsISJ_E10value_typeEPNSP_ISK_E10value_typeEPSL_NS1_7vsmem_tEENKUlT_SJ_SK_SL_E_clISE_PiSF_SF_EESI_SY_SJ_SK_SL_EUlSY_E_NS1_11comp_targetILNS1_3genE5ELNS1_11target_archE942ELNS1_3gpuE9ELNS1_3repE0EEENS1_48merge_mergepath_partition_config_static_selectorELNS0_4arch9wavefront6targetE0EEEvSK_, .Lfunc_end1014-_ZN7rocprim17ROCPRIM_400000_NS6detail17trampoline_kernelINS0_14default_configENS1_38merge_sort_block_merge_config_selectorIiNS0_10empty_typeEEEZZNS1_27merge_sort_block_merge_implIS3_N6thrust23THRUST_200600_302600_NS6detail15normal_iteratorINS9_10device_ptrIiEEEEPS5_m9comp_mod3IiEEE10hipError_tT0_T1_T2_jT3_P12ihipStream_tbPNSt15iterator_traitsISJ_E10value_typeEPNSP_ISK_E10value_typeEPSL_NS1_7vsmem_tEENKUlT_SJ_SK_SL_E_clISE_PiSF_SF_EESI_SY_SJ_SK_SL_EUlSY_E_NS1_11comp_targetILNS1_3genE5ELNS1_11target_archE942ELNS1_3gpuE9ELNS1_3repE0EEENS1_48merge_mergepath_partition_config_static_selectorELNS0_4arch9wavefront6targetE0EEEvSK_
                                        ; -- End function
	.set _ZN7rocprim17ROCPRIM_400000_NS6detail17trampoline_kernelINS0_14default_configENS1_38merge_sort_block_merge_config_selectorIiNS0_10empty_typeEEEZZNS1_27merge_sort_block_merge_implIS3_N6thrust23THRUST_200600_302600_NS6detail15normal_iteratorINS9_10device_ptrIiEEEEPS5_m9comp_mod3IiEEE10hipError_tT0_T1_T2_jT3_P12ihipStream_tbPNSt15iterator_traitsISJ_E10value_typeEPNSP_ISK_E10value_typeEPSL_NS1_7vsmem_tEENKUlT_SJ_SK_SL_E_clISE_PiSF_SF_EESI_SY_SJ_SK_SL_EUlSY_E_NS1_11comp_targetILNS1_3genE5ELNS1_11target_archE942ELNS1_3gpuE9ELNS1_3repE0EEENS1_48merge_mergepath_partition_config_static_selectorELNS0_4arch9wavefront6targetE0EEEvSK_.num_vgpr, 0
	.set _ZN7rocprim17ROCPRIM_400000_NS6detail17trampoline_kernelINS0_14default_configENS1_38merge_sort_block_merge_config_selectorIiNS0_10empty_typeEEEZZNS1_27merge_sort_block_merge_implIS3_N6thrust23THRUST_200600_302600_NS6detail15normal_iteratorINS9_10device_ptrIiEEEEPS5_m9comp_mod3IiEEE10hipError_tT0_T1_T2_jT3_P12ihipStream_tbPNSt15iterator_traitsISJ_E10value_typeEPNSP_ISK_E10value_typeEPSL_NS1_7vsmem_tEENKUlT_SJ_SK_SL_E_clISE_PiSF_SF_EESI_SY_SJ_SK_SL_EUlSY_E_NS1_11comp_targetILNS1_3genE5ELNS1_11target_archE942ELNS1_3gpuE9ELNS1_3repE0EEENS1_48merge_mergepath_partition_config_static_selectorELNS0_4arch9wavefront6targetE0EEEvSK_.num_agpr, 0
	.set _ZN7rocprim17ROCPRIM_400000_NS6detail17trampoline_kernelINS0_14default_configENS1_38merge_sort_block_merge_config_selectorIiNS0_10empty_typeEEEZZNS1_27merge_sort_block_merge_implIS3_N6thrust23THRUST_200600_302600_NS6detail15normal_iteratorINS9_10device_ptrIiEEEEPS5_m9comp_mod3IiEEE10hipError_tT0_T1_T2_jT3_P12ihipStream_tbPNSt15iterator_traitsISJ_E10value_typeEPNSP_ISK_E10value_typeEPSL_NS1_7vsmem_tEENKUlT_SJ_SK_SL_E_clISE_PiSF_SF_EESI_SY_SJ_SK_SL_EUlSY_E_NS1_11comp_targetILNS1_3genE5ELNS1_11target_archE942ELNS1_3gpuE9ELNS1_3repE0EEENS1_48merge_mergepath_partition_config_static_selectorELNS0_4arch9wavefront6targetE0EEEvSK_.numbered_sgpr, 0
	.set _ZN7rocprim17ROCPRIM_400000_NS6detail17trampoline_kernelINS0_14default_configENS1_38merge_sort_block_merge_config_selectorIiNS0_10empty_typeEEEZZNS1_27merge_sort_block_merge_implIS3_N6thrust23THRUST_200600_302600_NS6detail15normal_iteratorINS9_10device_ptrIiEEEEPS5_m9comp_mod3IiEEE10hipError_tT0_T1_T2_jT3_P12ihipStream_tbPNSt15iterator_traitsISJ_E10value_typeEPNSP_ISK_E10value_typeEPSL_NS1_7vsmem_tEENKUlT_SJ_SK_SL_E_clISE_PiSF_SF_EESI_SY_SJ_SK_SL_EUlSY_E_NS1_11comp_targetILNS1_3genE5ELNS1_11target_archE942ELNS1_3gpuE9ELNS1_3repE0EEENS1_48merge_mergepath_partition_config_static_selectorELNS0_4arch9wavefront6targetE0EEEvSK_.num_named_barrier, 0
	.set _ZN7rocprim17ROCPRIM_400000_NS6detail17trampoline_kernelINS0_14default_configENS1_38merge_sort_block_merge_config_selectorIiNS0_10empty_typeEEEZZNS1_27merge_sort_block_merge_implIS3_N6thrust23THRUST_200600_302600_NS6detail15normal_iteratorINS9_10device_ptrIiEEEEPS5_m9comp_mod3IiEEE10hipError_tT0_T1_T2_jT3_P12ihipStream_tbPNSt15iterator_traitsISJ_E10value_typeEPNSP_ISK_E10value_typeEPSL_NS1_7vsmem_tEENKUlT_SJ_SK_SL_E_clISE_PiSF_SF_EESI_SY_SJ_SK_SL_EUlSY_E_NS1_11comp_targetILNS1_3genE5ELNS1_11target_archE942ELNS1_3gpuE9ELNS1_3repE0EEENS1_48merge_mergepath_partition_config_static_selectorELNS0_4arch9wavefront6targetE0EEEvSK_.private_seg_size, 0
	.set _ZN7rocprim17ROCPRIM_400000_NS6detail17trampoline_kernelINS0_14default_configENS1_38merge_sort_block_merge_config_selectorIiNS0_10empty_typeEEEZZNS1_27merge_sort_block_merge_implIS3_N6thrust23THRUST_200600_302600_NS6detail15normal_iteratorINS9_10device_ptrIiEEEEPS5_m9comp_mod3IiEEE10hipError_tT0_T1_T2_jT3_P12ihipStream_tbPNSt15iterator_traitsISJ_E10value_typeEPNSP_ISK_E10value_typeEPSL_NS1_7vsmem_tEENKUlT_SJ_SK_SL_E_clISE_PiSF_SF_EESI_SY_SJ_SK_SL_EUlSY_E_NS1_11comp_targetILNS1_3genE5ELNS1_11target_archE942ELNS1_3gpuE9ELNS1_3repE0EEENS1_48merge_mergepath_partition_config_static_selectorELNS0_4arch9wavefront6targetE0EEEvSK_.uses_vcc, 0
	.set _ZN7rocprim17ROCPRIM_400000_NS6detail17trampoline_kernelINS0_14default_configENS1_38merge_sort_block_merge_config_selectorIiNS0_10empty_typeEEEZZNS1_27merge_sort_block_merge_implIS3_N6thrust23THRUST_200600_302600_NS6detail15normal_iteratorINS9_10device_ptrIiEEEEPS5_m9comp_mod3IiEEE10hipError_tT0_T1_T2_jT3_P12ihipStream_tbPNSt15iterator_traitsISJ_E10value_typeEPNSP_ISK_E10value_typeEPSL_NS1_7vsmem_tEENKUlT_SJ_SK_SL_E_clISE_PiSF_SF_EESI_SY_SJ_SK_SL_EUlSY_E_NS1_11comp_targetILNS1_3genE5ELNS1_11target_archE942ELNS1_3gpuE9ELNS1_3repE0EEENS1_48merge_mergepath_partition_config_static_selectorELNS0_4arch9wavefront6targetE0EEEvSK_.uses_flat_scratch, 0
	.set _ZN7rocprim17ROCPRIM_400000_NS6detail17trampoline_kernelINS0_14default_configENS1_38merge_sort_block_merge_config_selectorIiNS0_10empty_typeEEEZZNS1_27merge_sort_block_merge_implIS3_N6thrust23THRUST_200600_302600_NS6detail15normal_iteratorINS9_10device_ptrIiEEEEPS5_m9comp_mod3IiEEE10hipError_tT0_T1_T2_jT3_P12ihipStream_tbPNSt15iterator_traitsISJ_E10value_typeEPNSP_ISK_E10value_typeEPSL_NS1_7vsmem_tEENKUlT_SJ_SK_SL_E_clISE_PiSF_SF_EESI_SY_SJ_SK_SL_EUlSY_E_NS1_11comp_targetILNS1_3genE5ELNS1_11target_archE942ELNS1_3gpuE9ELNS1_3repE0EEENS1_48merge_mergepath_partition_config_static_selectorELNS0_4arch9wavefront6targetE0EEEvSK_.has_dyn_sized_stack, 0
	.set _ZN7rocprim17ROCPRIM_400000_NS6detail17trampoline_kernelINS0_14default_configENS1_38merge_sort_block_merge_config_selectorIiNS0_10empty_typeEEEZZNS1_27merge_sort_block_merge_implIS3_N6thrust23THRUST_200600_302600_NS6detail15normal_iteratorINS9_10device_ptrIiEEEEPS5_m9comp_mod3IiEEE10hipError_tT0_T1_T2_jT3_P12ihipStream_tbPNSt15iterator_traitsISJ_E10value_typeEPNSP_ISK_E10value_typeEPSL_NS1_7vsmem_tEENKUlT_SJ_SK_SL_E_clISE_PiSF_SF_EESI_SY_SJ_SK_SL_EUlSY_E_NS1_11comp_targetILNS1_3genE5ELNS1_11target_archE942ELNS1_3gpuE9ELNS1_3repE0EEENS1_48merge_mergepath_partition_config_static_selectorELNS0_4arch9wavefront6targetE0EEEvSK_.has_recursion, 0
	.set _ZN7rocprim17ROCPRIM_400000_NS6detail17trampoline_kernelINS0_14default_configENS1_38merge_sort_block_merge_config_selectorIiNS0_10empty_typeEEEZZNS1_27merge_sort_block_merge_implIS3_N6thrust23THRUST_200600_302600_NS6detail15normal_iteratorINS9_10device_ptrIiEEEEPS5_m9comp_mod3IiEEE10hipError_tT0_T1_T2_jT3_P12ihipStream_tbPNSt15iterator_traitsISJ_E10value_typeEPNSP_ISK_E10value_typeEPSL_NS1_7vsmem_tEENKUlT_SJ_SK_SL_E_clISE_PiSF_SF_EESI_SY_SJ_SK_SL_EUlSY_E_NS1_11comp_targetILNS1_3genE5ELNS1_11target_archE942ELNS1_3gpuE9ELNS1_3repE0EEENS1_48merge_mergepath_partition_config_static_selectorELNS0_4arch9wavefront6targetE0EEEvSK_.has_indirect_call, 0
	.section	.AMDGPU.csdata,"",@progbits
; Kernel info:
; codeLenInByte = 0
; TotalNumSgprs: 0
; NumVgprs: 0
; ScratchSize: 0
; MemoryBound: 0
; FloatMode: 240
; IeeeMode: 1
; LDSByteSize: 0 bytes/workgroup (compile time only)
; SGPRBlocks: 0
; VGPRBlocks: 0
; NumSGPRsForWavesPerEU: 1
; NumVGPRsForWavesPerEU: 1
; Occupancy: 16
; WaveLimiterHint : 0
; COMPUTE_PGM_RSRC2:SCRATCH_EN: 0
; COMPUTE_PGM_RSRC2:USER_SGPR: 6
; COMPUTE_PGM_RSRC2:TRAP_HANDLER: 0
; COMPUTE_PGM_RSRC2:TGID_X_EN: 1
; COMPUTE_PGM_RSRC2:TGID_Y_EN: 0
; COMPUTE_PGM_RSRC2:TGID_Z_EN: 0
; COMPUTE_PGM_RSRC2:TIDIG_COMP_CNT: 0
	.section	.text._ZN7rocprim17ROCPRIM_400000_NS6detail17trampoline_kernelINS0_14default_configENS1_38merge_sort_block_merge_config_selectorIiNS0_10empty_typeEEEZZNS1_27merge_sort_block_merge_implIS3_N6thrust23THRUST_200600_302600_NS6detail15normal_iteratorINS9_10device_ptrIiEEEEPS5_m9comp_mod3IiEEE10hipError_tT0_T1_T2_jT3_P12ihipStream_tbPNSt15iterator_traitsISJ_E10value_typeEPNSP_ISK_E10value_typeEPSL_NS1_7vsmem_tEENKUlT_SJ_SK_SL_E_clISE_PiSF_SF_EESI_SY_SJ_SK_SL_EUlSY_E_NS1_11comp_targetILNS1_3genE4ELNS1_11target_archE910ELNS1_3gpuE8ELNS1_3repE0EEENS1_48merge_mergepath_partition_config_static_selectorELNS0_4arch9wavefront6targetE0EEEvSK_,"axG",@progbits,_ZN7rocprim17ROCPRIM_400000_NS6detail17trampoline_kernelINS0_14default_configENS1_38merge_sort_block_merge_config_selectorIiNS0_10empty_typeEEEZZNS1_27merge_sort_block_merge_implIS3_N6thrust23THRUST_200600_302600_NS6detail15normal_iteratorINS9_10device_ptrIiEEEEPS5_m9comp_mod3IiEEE10hipError_tT0_T1_T2_jT3_P12ihipStream_tbPNSt15iterator_traitsISJ_E10value_typeEPNSP_ISK_E10value_typeEPSL_NS1_7vsmem_tEENKUlT_SJ_SK_SL_E_clISE_PiSF_SF_EESI_SY_SJ_SK_SL_EUlSY_E_NS1_11comp_targetILNS1_3genE4ELNS1_11target_archE910ELNS1_3gpuE8ELNS1_3repE0EEENS1_48merge_mergepath_partition_config_static_selectorELNS0_4arch9wavefront6targetE0EEEvSK_,comdat
	.protected	_ZN7rocprim17ROCPRIM_400000_NS6detail17trampoline_kernelINS0_14default_configENS1_38merge_sort_block_merge_config_selectorIiNS0_10empty_typeEEEZZNS1_27merge_sort_block_merge_implIS3_N6thrust23THRUST_200600_302600_NS6detail15normal_iteratorINS9_10device_ptrIiEEEEPS5_m9comp_mod3IiEEE10hipError_tT0_T1_T2_jT3_P12ihipStream_tbPNSt15iterator_traitsISJ_E10value_typeEPNSP_ISK_E10value_typeEPSL_NS1_7vsmem_tEENKUlT_SJ_SK_SL_E_clISE_PiSF_SF_EESI_SY_SJ_SK_SL_EUlSY_E_NS1_11comp_targetILNS1_3genE4ELNS1_11target_archE910ELNS1_3gpuE8ELNS1_3repE0EEENS1_48merge_mergepath_partition_config_static_selectorELNS0_4arch9wavefront6targetE0EEEvSK_ ; -- Begin function _ZN7rocprim17ROCPRIM_400000_NS6detail17trampoline_kernelINS0_14default_configENS1_38merge_sort_block_merge_config_selectorIiNS0_10empty_typeEEEZZNS1_27merge_sort_block_merge_implIS3_N6thrust23THRUST_200600_302600_NS6detail15normal_iteratorINS9_10device_ptrIiEEEEPS5_m9comp_mod3IiEEE10hipError_tT0_T1_T2_jT3_P12ihipStream_tbPNSt15iterator_traitsISJ_E10value_typeEPNSP_ISK_E10value_typeEPSL_NS1_7vsmem_tEENKUlT_SJ_SK_SL_E_clISE_PiSF_SF_EESI_SY_SJ_SK_SL_EUlSY_E_NS1_11comp_targetILNS1_3genE4ELNS1_11target_archE910ELNS1_3gpuE8ELNS1_3repE0EEENS1_48merge_mergepath_partition_config_static_selectorELNS0_4arch9wavefront6targetE0EEEvSK_
	.globl	_ZN7rocprim17ROCPRIM_400000_NS6detail17trampoline_kernelINS0_14default_configENS1_38merge_sort_block_merge_config_selectorIiNS0_10empty_typeEEEZZNS1_27merge_sort_block_merge_implIS3_N6thrust23THRUST_200600_302600_NS6detail15normal_iteratorINS9_10device_ptrIiEEEEPS5_m9comp_mod3IiEEE10hipError_tT0_T1_T2_jT3_P12ihipStream_tbPNSt15iterator_traitsISJ_E10value_typeEPNSP_ISK_E10value_typeEPSL_NS1_7vsmem_tEENKUlT_SJ_SK_SL_E_clISE_PiSF_SF_EESI_SY_SJ_SK_SL_EUlSY_E_NS1_11comp_targetILNS1_3genE4ELNS1_11target_archE910ELNS1_3gpuE8ELNS1_3repE0EEENS1_48merge_mergepath_partition_config_static_selectorELNS0_4arch9wavefront6targetE0EEEvSK_
	.p2align	8
	.type	_ZN7rocprim17ROCPRIM_400000_NS6detail17trampoline_kernelINS0_14default_configENS1_38merge_sort_block_merge_config_selectorIiNS0_10empty_typeEEEZZNS1_27merge_sort_block_merge_implIS3_N6thrust23THRUST_200600_302600_NS6detail15normal_iteratorINS9_10device_ptrIiEEEEPS5_m9comp_mod3IiEEE10hipError_tT0_T1_T2_jT3_P12ihipStream_tbPNSt15iterator_traitsISJ_E10value_typeEPNSP_ISK_E10value_typeEPSL_NS1_7vsmem_tEENKUlT_SJ_SK_SL_E_clISE_PiSF_SF_EESI_SY_SJ_SK_SL_EUlSY_E_NS1_11comp_targetILNS1_3genE4ELNS1_11target_archE910ELNS1_3gpuE8ELNS1_3repE0EEENS1_48merge_mergepath_partition_config_static_selectorELNS0_4arch9wavefront6targetE0EEEvSK_,@function
_ZN7rocprim17ROCPRIM_400000_NS6detail17trampoline_kernelINS0_14default_configENS1_38merge_sort_block_merge_config_selectorIiNS0_10empty_typeEEEZZNS1_27merge_sort_block_merge_implIS3_N6thrust23THRUST_200600_302600_NS6detail15normal_iteratorINS9_10device_ptrIiEEEEPS5_m9comp_mod3IiEEE10hipError_tT0_T1_T2_jT3_P12ihipStream_tbPNSt15iterator_traitsISJ_E10value_typeEPNSP_ISK_E10value_typeEPSL_NS1_7vsmem_tEENKUlT_SJ_SK_SL_E_clISE_PiSF_SF_EESI_SY_SJ_SK_SL_EUlSY_E_NS1_11comp_targetILNS1_3genE4ELNS1_11target_archE910ELNS1_3gpuE8ELNS1_3repE0EEENS1_48merge_mergepath_partition_config_static_selectorELNS0_4arch9wavefront6targetE0EEEvSK_: ; @_ZN7rocprim17ROCPRIM_400000_NS6detail17trampoline_kernelINS0_14default_configENS1_38merge_sort_block_merge_config_selectorIiNS0_10empty_typeEEEZZNS1_27merge_sort_block_merge_implIS3_N6thrust23THRUST_200600_302600_NS6detail15normal_iteratorINS9_10device_ptrIiEEEEPS5_m9comp_mod3IiEEE10hipError_tT0_T1_T2_jT3_P12ihipStream_tbPNSt15iterator_traitsISJ_E10value_typeEPNSP_ISK_E10value_typeEPSL_NS1_7vsmem_tEENKUlT_SJ_SK_SL_E_clISE_PiSF_SF_EESI_SY_SJ_SK_SL_EUlSY_E_NS1_11comp_targetILNS1_3genE4ELNS1_11target_archE910ELNS1_3gpuE8ELNS1_3repE0EEENS1_48merge_mergepath_partition_config_static_selectorELNS0_4arch9wavefront6targetE0EEEvSK_
; %bb.0:
	.section	.rodata,"a",@progbits
	.p2align	6, 0x0
	.amdhsa_kernel _ZN7rocprim17ROCPRIM_400000_NS6detail17trampoline_kernelINS0_14default_configENS1_38merge_sort_block_merge_config_selectorIiNS0_10empty_typeEEEZZNS1_27merge_sort_block_merge_implIS3_N6thrust23THRUST_200600_302600_NS6detail15normal_iteratorINS9_10device_ptrIiEEEEPS5_m9comp_mod3IiEEE10hipError_tT0_T1_T2_jT3_P12ihipStream_tbPNSt15iterator_traitsISJ_E10value_typeEPNSP_ISK_E10value_typeEPSL_NS1_7vsmem_tEENKUlT_SJ_SK_SL_E_clISE_PiSF_SF_EESI_SY_SJ_SK_SL_EUlSY_E_NS1_11comp_targetILNS1_3genE4ELNS1_11target_archE910ELNS1_3gpuE8ELNS1_3repE0EEENS1_48merge_mergepath_partition_config_static_selectorELNS0_4arch9wavefront6targetE0EEEvSK_
		.amdhsa_group_segment_fixed_size 0
		.amdhsa_private_segment_fixed_size 0
		.amdhsa_kernarg_size 48
		.amdhsa_user_sgpr_count 6
		.amdhsa_user_sgpr_private_segment_buffer 1
		.amdhsa_user_sgpr_dispatch_ptr 0
		.amdhsa_user_sgpr_queue_ptr 0
		.amdhsa_user_sgpr_kernarg_segment_ptr 1
		.amdhsa_user_sgpr_dispatch_id 0
		.amdhsa_user_sgpr_flat_scratch_init 0
		.amdhsa_user_sgpr_private_segment_size 0
		.amdhsa_wavefront_size32 1
		.amdhsa_uses_dynamic_stack 0
		.amdhsa_system_sgpr_private_segment_wavefront_offset 0
		.amdhsa_system_sgpr_workgroup_id_x 1
		.amdhsa_system_sgpr_workgroup_id_y 0
		.amdhsa_system_sgpr_workgroup_id_z 0
		.amdhsa_system_sgpr_workgroup_info 0
		.amdhsa_system_vgpr_workitem_id 0
		.amdhsa_next_free_vgpr 1
		.amdhsa_next_free_sgpr 1
		.amdhsa_reserve_vcc 0
		.amdhsa_reserve_flat_scratch 0
		.amdhsa_float_round_mode_32 0
		.amdhsa_float_round_mode_16_64 0
		.amdhsa_float_denorm_mode_32 3
		.amdhsa_float_denorm_mode_16_64 3
		.amdhsa_dx10_clamp 1
		.amdhsa_ieee_mode 1
		.amdhsa_fp16_overflow 0
		.amdhsa_workgroup_processor_mode 1
		.amdhsa_memory_ordered 1
		.amdhsa_forward_progress 1
		.amdhsa_shared_vgpr_count 0
		.amdhsa_exception_fp_ieee_invalid_op 0
		.amdhsa_exception_fp_denorm_src 0
		.amdhsa_exception_fp_ieee_div_zero 0
		.amdhsa_exception_fp_ieee_overflow 0
		.amdhsa_exception_fp_ieee_underflow 0
		.amdhsa_exception_fp_ieee_inexact 0
		.amdhsa_exception_int_div_zero 0
	.end_amdhsa_kernel
	.section	.text._ZN7rocprim17ROCPRIM_400000_NS6detail17trampoline_kernelINS0_14default_configENS1_38merge_sort_block_merge_config_selectorIiNS0_10empty_typeEEEZZNS1_27merge_sort_block_merge_implIS3_N6thrust23THRUST_200600_302600_NS6detail15normal_iteratorINS9_10device_ptrIiEEEEPS5_m9comp_mod3IiEEE10hipError_tT0_T1_T2_jT3_P12ihipStream_tbPNSt15iterator_traitsISJ_E10value_typeEPNSP_ISK_E10value_typeEPSL_NS1_7vsmem_tEENKUlT_SJ_SK_SL_E_clISE_PiSF_SF_EESI_SY_SJ_SK_SL_EUlSY_E_NS1_11comp_targetILNS1_3genE4ELNS1_11target_archE910ELNS1_3gpuE8ELNS1_3repE0EEENS1_48merge_mergepath_partition_config_static_selectorELNS0_4arch9wavefront6targetE0EEEvSK_,"axG",@progbits,_ZN7rocprim17ROCPRIM_400000_NS6detail17trampoline_kernelINS0_14default_configENS1_38merge_sort_block_merge_config_selectorIiNS0_10empty_typeEEEZZNS1_27merge_sort_block_merge_implIS3_N6thrust23THRUST_200600_302600_NS6detail15normal_iteratorINS9_10device_ptrIiEEEEPS5_m9comp_mod3IiEEE10hipError_tT0_T1_T2_jT3_P12ihipStream_tbPNSt15iterator_traitsISJ_E10value_typeEPNSP_ISK_E10value_typeEPSL_NS1_7vsmem_tEENKUlT_SJ_SK_SL_E_clISE_PiSF_SF_EESI_SY_SJ_SK_SL_EUlSY_E_NS1_11comp_targetILNS1_3genE4ELNS1_11target_archE910ELNS1_3gpuE8ELNS1_3repE0EEENS1_48merge_mergepath_partition_config_static_selectorELNS0_4arch9wavefront6targetE0EEEvSK_,comdat
.Lfunc_end1015:
	.size	_ZN7rocprim17ROCPRIM_400000_NS6detail17trampoline_kernelINS0_14default_configENS1_38merge_sort_block_merge_config_selectorIiNS0_10empty_typeEEEZZNS1_27merge_sort_block_merge_implIS3_N6thrust23THRUST_200600_302600_NS6detail15normal_iteratorINS9_10device_ptrIiEEEEPS5_m9comp_mod3IiEEE10hipError_tT0_T1_T2_jT3_P12ihipStream_tbPNSt15iterator_traitsISJ_E10value_typeEPNSP_ISK_E10value_typeEPSL_NS1_7vsmem_tEENKUlT_SJ_SK_SL_E_clISE_PiSF_SF_EESI_SY_SJ_SK_SL_EUlSY_E_NS1_11comp_targetILNS1_3genE4ELNS1_11target_archE910ELNS1_3gpuE8ELNS1_3repE0EEENS1_48merge_mergepath_partition_config_static_selectorELNS0_4arch9wavefront6targetE0EEEvSK_, .Lfunc_end1015-_ZN7rocprim17ROCPRIM_400000_NS6detail17trampoline_kernelINS0_14default_configENS1_38merge_sort_block_merge_config_selectorIiNS0_10empty_typeEEEZZNS1_27merge_sort_block_merge_implIS3_N6thrust23THRUST_200600_302600_NS6detail15normal_iteratorINS9_10device_ptrIiEEEEPS5_m9comp_mod3IiEEE10hipError_tT0_T1_T2_jT3_P12ihipStream_tbPNSt15iterator_traitsISJ_E10value_typeEPNSP_ISK_E10value_typeEPSL_NS1_7vsmem_tEENKUlT_SJ_SK_SL_E_clISE_PiSF_SF_EESI_SY_SJ_SK_SL_EUlSY_E_NS1_11comp_targetILNS1_3genE4ELNS1_11target_archE910ELNS1_3gpuE8ELNS1_3repE0EEENS1_48merge_mergepath_partition_config_static_selectorELNS0_4arch9wavefront6targetE0EEEvSK_
                                        ; -- End function
	.set _ZN7rocprim17ROCPRIM_400000_NS6detail17trampoline_kernelINS0_14default_configENS1_38merge_sort_block_merge_config_selectorIiNS0_10empty_typeEEEZZNS1_27merge_sort_block_merge_implIS3_N6thrust23THRUST_200600_302600_NS6detail15normal_iteratorINS9_10device_ptrIiEEEEPS5_m9comp_mod3IiEEE10hipError_tT0_T1_T2_jT3_P12ihipStream_tbPNSt15iterator_traitsISJ_E10value_typeEPNSP_ISK_E10value_typeEPSL_NS1_7vsmem_tEENKUlT_SJ_SK_SL_E_clISE_PiSF_SF_EESI_SY_SJ_SK_SL_EUlSY_E_NS1_11comp_targetILNS1_3genE4ELNS1_11target_archE910ELNS1_3gpuE8ELNS1_3repE0EEENS1_48merge_mergepath_partition_config_static_selectorELNS0_4arch9wavefront6targetE0EEEvSK_.num_vgpr, 0
	.set _ZN7rocprim17ROCPRIM_400000_NS6detail17trampoline_kernelINS0_14default_configENS1_38merge_sort_block_merge_config_selectorIiNS0_10empty_typeEEEZZNS1_27merge_sort_block_merge_implIS3_N6thrust23THRUST_200600_302600_NS6detail15normal_iteratorINS9_10device_ptrIiEEEEPS5_m9comp_mod3IiEEE10hipError_tT0_T1_T2_jT3_P12ihipStream_tbPNSt15iterator_traitsISJ_E10value_typeEPNSP_ISK_E10value_typeEPSL_NS1_7vsmem_tEENKUlT_SJ_SK_SL_E_clISE_PiSF_SF_EESI_SY_SJ_SK_SL_EUlSY_E_NS1_11comp_targetILNS1_3genE4ELNS1_11target_archE910ELNS1_3gpuE8ELNS1_3repE0EEENS1_48merge_mergepath_partition_config_static_selectorELNS0_4arch9wavefront6targetE0EEEvSK_.num_agpr, 0
	.set _ZN7rocprim17ROCPRIM_400000_NS6detail17trampoline_kernelINS0_14default_configENS1_38merge_sort_block_merge_config_selectorIiNS0_10empty_typeEEEZZNS1_27merge_sort_block_merge_implIS3_N6thrust23THRUST_200600_302600_NS6detail15normal_iteratorINS9_10device_ptrIiEEEEPS5_m9comp_mod3IiEEE10hipError_tT0_T1_T2_jT3_P12ihipStream_tbPNSt15iterator_traitsISJ_E10value_typeEPNSP_ISK_E10value_typeEPSL_NS1_7vsmem_tEENKUlT_SJ_SK_SL_E_clISE_PiSF_SF_EESI_SY_SJ_SK_SL_EUlSY_E_NS1_11comp_targetILNS1_3genE4ELNS1_11target_archE910ELNS1_3gpuE8ELNS1_3repE0EEENS1_48merge_mergepath_partition_config_static_selectorELNS0_4arch9wavefront6targetE0EEEvSK_.numbered_sgpr, 0
	.set _ZN7rocprim17ROCPRIM_400000_NS6detail17trampoline_kernelINS0_14default_configENS1_38merge_sort_block_merge_config_selectorIiNS0_10empty_typeEEEZZNS1_27merge_sort_block_merge_implIS3_N6thrust23THRUST_200600_302600_NS6detail15normal_iteratorINS9_10device_ptrIiEEEEPS5_m9comp_mod3IiEEE10hipError_tT0_T1_T2_jT3_P12ihipStream_tbPNSt15iterator_traitsISJ_E10value_typeEPNSP_ISK_E10value_typeEPSL_NS1_7vsmem_tEENKUlT_SJ_SK_SL_E_clISE_PiSF_SF_EESI_SY_SJ_SK_SL_EUlSY_E_NS1_11comp_targetILNS1_3genE4ELNS1_11target_archE910ELNS1_3gpuE8ELNS1_3repE0EEENS1_48merge_mergepath_partition_config_static_selectorELNS0_4arch9wavefront6targetE0EEEvSK_.num_named_barrier, 0
	.set _ZN7rocprim17ROCPRIM_400000_NS6detail17trampoline_kernelINS0_14default_configENS1_38merge_sort_block_merge_config_selectorIiNS0_10empty_typeEEEZZNS1_27merge_sort_block_merge_implIS3_N6thrust23THRUST_200600_302600_NS6detail15normal_iteratorINS9_10device_ptrIiEEEEPS5_m9comp_mod3IiEEE10hipError_tT0_T1_T2_jT3_P12ihipStream_tbPNSt15iterator_traitsISJ_E10value_typeEPNSP_ISK_E10value_typeEPSL_NS1_7vsmem_tEENKUlT_SJ_SK_SL_E_clISE_PiSF_SF_EESI_SY_SJ_SK_SL_EUlSY_E_NS1_11comp_targetILNS1_3genE4ELNS1_11target_archE910ELNS1_3gpuE8ELNS1_3repE0EEENS1_48merge_mergepath_partition_config_static_selectorELNS0_4arch9wavefront6targetE0EEEvSK_.private_seg_size, 0
	.set _ZN7rocprim17ROCPRIM_400000_NS6detail17trampoline_kernelINS0_14default_configENS1_38merge_sort_block_merge_config_selectorIiNS0_10empty_typeEEEZZNS1_27merge_sort_block_merge_implIS3_N6thrust23THRUST_200600_302600_NS6detail15normal_iteratorINS9_10device_ptrIiEEEEPS5_m9comp_mod3IiEEE10hipError_tT0_T1_T2_jT3_P12ihipStream_tbPNSt15iterator_traitsISJ_E10value_typeEPNSP_ISK_E10value_typeEPSL_NS1_7vsmem_tEENKUlT_SJ_SK_SL_E_clISE_PiSF_SF_EESI_SY_SJ_SK_SL_EUlSY_E_NS1_11comp_targetILNS1_3genE4ELNS1_11target_archE910ELNS1_3gpuE8ELNS1_3repE0EEENS1_48merge_mergepath_partition_config_static_selectorELNS0_4arch9wavefront6targetE0EEEvSK_.uses_vcc, 0
	.set _ZN7rocprim17ROCPRIM_400000_NS6detail17trampoline_kernelINS0_14default_configENS1_38merge_sort_block_merge_config_selectorIiNS0_10empty_typeEEEZZNS1_27merge_sort_block_merge_implIS3_N6thrust23THRUST_200600_302600_NS6detail15normal_iteratorINS9_10device_ptrIiEEEEPS5_m9comp_mod3IiEEE10hipError_tT0_T1_T2_jT3_P12ihipStream_tbPNSt15iterator_traitsISJ_E10value_typeEPNSP_ISK_E10value_typeEPSL_NS1_7vsmem_tEENKUlT_SJ_SK_SL_E_clISE_PiSF_SF_EESI_SY_SJ_SK_SL_EUlSY_E_NS1_11comp_targetILNS1_3genE4ELNS1_11target_archE910ELNS1_3gpuE8ELNS1_3repE0EEENS1_48merge_mergepath_partition_config_static_selectorELNS0_4arch9wavefront6targetE0EEEvSK_.uses_flat_scratch, 0
	.set _ZN7rocprim17ROCPRIM_400000_NS6detail17trampoline_kernelINS0_14default_configENS1_38merge_sort_block_merge_config_selectorIiNS0_10empty_typeEEEZZNS1_27merge_sort_block_merge_implIS3_N6thrust23THRUST_200600_302600_NS6detail15normal_iteratorINS9_10device_ptrIiEEEEPS5_m9comp_mod3IiEEE10hipError_tT0_T1_T2_jT3_P12ihipStream_tbPNSt15iterator_traitsISJ_E10value_typeEPNSP_ISK_E10value_typeEPSL_NS1_7vsmem_tEENKUlT_SJ_SK_SL_E_clISE_PiSF_SF_EESI_SY_SJ_SK_SL_EUlSY_E_NS1_11comp_targetILNS1_3genE4ELNS1_11target_archE910ELNS1_3gpuE8ELNS1_3repE0EEENS1_48merge_mergepath_partition_config_static_selectorELNS0_4arch9wavefront6targetE0EEEvSK_.has_dyn_sized_stack, 0
	.set _ZN7rocprim17ROCPRIM_400000_NS6detail17trampoline_kernelINS0_14default_configENS1_38merge_sort_block_merge_config_selectorIiNS0_10empty_typeEEEZZNS1_27merge_sort_block_merge_implIS3_N6thrust23THRUST_200600_302600_NS6detail15normal_iteratorINS9_10device_ptrIiEEEEPS5_m9comp_mod3IiEEE10hipError_tT0_T1_T2_jT3_P12ihipStream_tbPNSt15iterator_traitsISJ_E10value_typeEPNSP_ISK_E10value_typeEPSL_NS1_7vsmem_tEENKUlT_SJ_SK_SL_E_clISE_PiSF_SF_EESI_SY_SJ_SK_SL_EUlSY_E_NS1_11comp_targetILNS1_3genE4ELNS1_11target_archE910ELNS1_3gpuE8ELNS1_3repE0EEENS1_48merge_mergepath_partition_config_static_selectorELNS0_4arch9wavefront6targetE0EEEvSK_.has_recursion, 0
	.set _ZN7rocprim17ROCPRIM_400000_NS6detail17trampoline_kernelINS0_14default_configENS1_38merge_sort_block_merge_config_selectorIiNS0_10empty_typeEEEZZNS1_27merge_sort_block_merge_implIS3_N6thrust23THRUST_200600_302600_NS6detail15normal_iteratorINS9_10device_ptrIiEEEEPS5_m9comp_mod3IiEEE10hipError_tT0_T1_T2_jT3_P12ihipStream_tbPNSt15iterator_traitsISJ_E10value_typeEPNSP_ISK_E10value_typeEPSL_NS1_7vsmem_tEENKUlT_SJ_SK_SL_E_clISE_PiSF_SF_EESI_SY_SJ_SK_SL_EUlSY_E_NS1_11comp_targetILNS1_3genE4ELNS1_11target_archE910ELNS1_3gpuE8ELNS1_3repE0EEENS1_48merge_mergepath_partition_config_static_selectorELNS0_4arch9wavefront6targetE0EEEvSK_.has_indirect_call, 0
	.section	.AMDGPU.csdata,"",@progbits
; Kernel info:
; codeLenInByte = 0
; TotalNumSgprs: 0
; NumVgprs: 0
; ScratchSize: 0
; MemoryBound: 0
; FloatMode: 240
; IeeeMode: 1
; LDSByteSize: 0 bytes/workgroup (compile time only)
; SGPRBlocks: 0
; VGPRBlocks: 0
; NumSGPRsForWavesPerEU: 1
; NumVGPRsForWavesPerEU: 1
; Occupancy: 16
; WaveLimiterHint : 0
; COMPUTE_PGM_RSRC2:SCRATCH_EN: 0
; COMPUTE_PGM_RSRC2:USER_SGPR: 6
; COMPUTE_PGM_RSRC2:TRAP_HANDLER: 0
; COMPUTE_PGM_RSRC2:TGID_X_EN: 1
; COMPUTE_PGM_RSRC2:TGID_Y_EN: 0
; COMPUTE_PGM_RSRC2:TGID_Z_EN: 0
; COMPUTE_PGM_RSRC2:TIDIG_COMP_CNT: 0
	.section	.text._ZN7rocprim17ROCPRIM_400000_NS6detail17trampoline_kernelINS0_14default_configENS1_38merge_sort_block_merge_config_selectorIiNS0_10empty_typeEEEZZNS1_27merge_sort_block_merge_implIS3_N6thrust23THRUST_200600_302600_NS6detail15normal_iteratorINS9_10device_ptrIiEEEEPS5_m9comp_mod3IiEEE10hipError_tT0_T1_T2_jT3_P12ihipStream_tbPNSt15iterator_traitsISJ_E10value_typeEPNSP_ISK_E10value_typeEPSL_NS1_7vsmem_tEENKUlT_SJ_SK_SL_E_clISE_PiSF_SF_EESI_SY_SJ_SK_SL_EUlSY_E_NS1_11comp_targetILNS1_3genE3ELNS1_11target_archE908ELNS1_3gpuE7ELNS1_3repE0EEENS1_48merge_mergepath_partition_config_static_selectorELNS0_4arch9wavefront6targetE0EEEvSK_,"axG",@progbits,_ZN7rocprim17ROCPRIM_400000_NS6detail17trampoline_kernelINS0_14default_configENS1_38merge_sort_block_merge_config_selectorIiNS0_10empty_typeEEEZZNS1_27merge_sort_block_merge_implIS3_N6thrust23THRUST_200600_302600_NS6detail15normal_iteratorINS9_10device_ptrIiEEEEPS5_m9comp_mod3IiEEE10hipError_tT0_T1_T2_jT3_P12ihipStream_tbPNSt15iterator_traitsISJ_E10value_typeEPNSP_ISK_E10value_typeEPSL_NS1_7vsmem_tEENKUlT_SJ_SK_SL_E_clISE_PiSF_SF_EESI_SY_SJ_SK_SL_EUlSY_E_NS1_11comp_targetILNS1_3genE3ELNS1_11target_archE908ELNS1_3gpuE7ELNS1_3repE0EEENS1_48merge_mergepath_partition_config_static_selectorELNS0_4arch9wavefront6targetE0EEEvSK_,comdat
	.protected	_ZN7rocprim17ROCPRIM_400000_NS6detail17trampoline_kernelINS0_14default_configENS1_38merge_sort_block_merge_config_selectorIiNS0_10empty_typeEEEZZNS1_27merge_sort_block_merge_implIS3_N6thrust23THRUST_200600_302600_NS6detail15normal_iteratorINS9_10device_ptrIiEEEEPS5_m9comp_mod3IiEEE10hipError_tT0_T1_T2_jT3_P12ihipStream_tbPNSt15iterator_traitsISJ_E10value_typeEPNSP_ISK_E10value_typeEPSL_NS1_7vsmem_tEENKUlT_SJ_SK_SL_E_clISE_PiSF_SF_EESI_SY_SJ_SK_SL_EUlSY_E_NS1_11comp_targetILNS1_3genE3ELNS1_11target_archE908ELNS1_3gpuE7ELNS1_3repE0EEENS1_48merge_mergepath_partition_config_static_selectorELNS0_4arch9wavefront6targetE0EEEvSK_ ; -- Begin function _ZN7rocprim17ROCPRIM_400000_NS6detail17trampoline_kernelINS0_14default_configENS1_38merge_sort_block_merge_config_selectorIiNS0_10empty_typeEEEZZNS1_27merge_sort_block_merge_implIS3_N6thrust23THRUST_200600_302600_NS6detail15normal_iteratorINS9_10device_ptrIiEEEEPS5_m9comp_mod3IiEEE10hipError_tT0_T1_T2_jT3_P12ihipStream_tbPNSt15iterator_traitsISJ_E10value_typeEPNSP_ISK_E10value_typeEPSL_NS1_7vsmem_tEENKUlT_SJ_SK_SL_E_clISE_PiSF_SF_EESI_SY_SJ_SK_SL_EUlSY_E_NS1_11comp_targetILNS1_3genE3ELNS1_11target_archE908ELNS1_3gpuE7ELNS1_3repE0EEENS1_48merge_mergepath_partition_config_static_selectorELNS0_4arch9wavefront6targetE0EEEvSK_
	.globl	_ZN7rocprim17ROCPRIM_400000_NS6detail17trampoline_kernelINS0_14default_configENS1_38merge_sort_block_merge_config_selectorIiNS0_10empty_typeEEEZZNS1_27merge_sort_block_merge_implIS3_N6thrust23THRUST_200600_302600_NS6detail15normal_iteratorINS9_10device_ptrIiEEEEPS5_m9comp_mod3IiEEE10hipError_tT0_T1_T2_jT3_P12ihipStream_tbPNSt15iterator_traitsISJ_E10value_typeEPNSP_ISK_E10value_typeEPSL_NS1_7vsmem_tEENKUlT_SJ_SK_SL_E_clISE_PiSF_SF_EESI_SY_SJ_SK_SL_EUlSY_E_NS1_11comp_targetILNS1_3genE3ELNS1_11target_archE908ELNS1_3gpuE7ELNS1_3repE0EEENS1_48merge_mergepath_partition_config_static_selectorELNS0_4arch9wavefront6targetE0EEEvSK_
	.p2align	8
	.type	_ZN7rocprim17ROCPRIM_400000_NS6detail17trampoline_kernelINS0_14default_configENS1_38merge_sort_block_merge_config_selectorIiNS0_10empty_typeEEEZZNS1_27merge_sort_block_merge_implIS3_N6thrust23THRUST_200600_302600_NS6detail15normal_iteratorINS9_10device_ptrIiEEEEPS5_m9comp_mod3IiEEE10hipError_tT0_T1_T2_jT3_P12ihipStream_tbPNSt15iterator_traitsISJ_E10value_typeEPNSP_ISK_E10value_typeEPSL_NS1_7vsmem_tEENKUlT_SJ_SK_SL_E_clISE_PiSF_SF_EESI_SY_SJ_SK_SL_EUlSY_E_NS1_11comp_targetILNS1_3genE3ELNS1_11target_archE908ELNS1_3gpuE7ELNS1_3repE0EEENS1_48merge_mergepath_partition_config_static_selectorELNS0_4arch9wavefront6targetE0EEEvSK_,@function
_ZN7rocprim17ROCPRIM_400000_NS6detail17trampoline_kernelINS0_14default_configENS1_38merge_sort_block_merge_config_selectorIiNS0_10empty_typeEEEZZNS1_27merge_sort_block_merge_implIS3_N6thrust23THRUST_200600_302600_NS6detail15normal_iteratorINS9_10device_ptrIiEEEEPS5_m9comp_mod3IiEEE10hipError_tT0_T1_T2_jT3_P12ihipStream_tbPNSt15iterator_traitsISJ_E10value_typeEPNSP_ISK_E10value_typeEPSL_NS1_7vsmem_tEENKUlT_SJ_SK_SL_E_clISE_PiSF_SF_EESI_SY_SJ_SK_SL_EUlSY_E_NS1_11comp_targetILNS1_3genE3ELNS1_11target_archE908ELNS1_3gpuE7ELNS1_3repE0EEENS1_48merge_mergepath_partition_config_static_selectorELNS0_4arch9wavefront6targetE0EEEvSK_: ; @_ZN7rocprim17ROCPRIM_400000_NS6detail17trampoline_kernelINS0_14default_configENS1_38merge_sort_block_merge_config_selectorIiNS0_10empty_typeEEEZZNS1_27merge_sort_block_merge_implIS3_N6thrust23THRUST_200600_302600_NS6detail15normal_iteratorINS9_10device_ptrIiEEEEPS5_m9comp_mod3IiEEE10hipError_tT0_T1_T2_jT3_P12ihipStream_tbPNSt15iterator_traitsISJ_E10value_typeEPNSP_ISK_E10value_typeEPSL_NS1_7vsmem_tEENKUlT_SJ_SK_SL_E_clISE_PiSF_SF_EESI_SY_SJ_SK_SL_EUlSY_E_NS1_11comp_targetILNS1_3genE3ELNS1_11target_archE908ELNS1_3gpuE7ELNS1_3repE0EEENS1_48merge_mergepath_partition_config_static_selectorELNS0_4arch9wavefront6targetE0EEEvSK_
; %bb.0:
	.section	.rodata,"a",@progbits
	.p2align	6, 0x0
	.amdhsa_kernel _ZN7rocprim17ROCPRIM_400000_NS6detail17trampoline_kernelINS0_14default_configENS1_38merge_sort_block_merge_config_selectorIiNS0_10empty_typeEEEZZNS1_27merge_sort_block_merge_implIS3_N6thrust23THRUST_200600_302600_NS6detail15normal_iteratorINS9_10device_ptrIiEEEEPS5_m9comp_mod3IiEEE10hipError_tT0_T1_T2_jT3_P12ihipStream_tbPNSt15iterator_traitsISJ_E10value_typeEPNSP_ISK_E10value_typeEPSL_NS1_7vsmem_tEENKUlT_SJ_SK_SL_E_clISE_PiSF_SF_EESI_SY_SJ_SK_SL_EUlSY_E_NS1_11comp_targetILNS1_3genE3ELNS1_11target_archE908ELNS1_3gpuE7ELNS1_3repE0EEENS1_48merge_mergepath_partition_config_static_selectorELNS0_4arch9wavefront6targetE0EEEvSK_
		.amdhsa_group_segment_fixed_size 0
		.amdhsa_private_segment_fixed_size 0
		.amdhsa_kernarg_size 48
		.amdhsa_user_sgpr_count 6
		.amdhsa_user_sgpr_private_segment_buffer 1
		.amdhsa_user_sgpr_dispatch_ptr 0
		.amdhsa_user_sgpr_queue_ptr 0
		.amdhsa_user_sgpr_kernarg_segment_ptr 1
		.amdhsa_user_sgpr_dispatch_id 0
		.amdhsa_user_sgpr_flat_scratch_init 0
		.amdhsa_user_sgpr_private_segment_size 0
		.amdhsa_wavefront_size32 1
		.amdhsa_uses_dynamic_stack 0
		.amdhsa_system_sgpr_private_segment_wavefront_offset 0
		.amdhsa_system_sgpr_workgroup_id_x 1
		.amdhsa_system_sgpr_workgroup_id_y 0
		.amdhsa_system_sgpr_workgroup_id_z 0
		.amdhsa_system_sgpr_workgroup_info 0
		.amdhsa_system_vgpr_workitem_id 0
		.amdhsa_next_free_vgpr 1
		.amdhsa_next_free_sgpr 1
		.amdhsa_reserve_vcc 0
		.amdhsa_reserve_flat_scratch 0
		.amdhsa_float_round_mode_32 0
		.amdhsa_float_round_mode_16_64 0
		.amdhsa_float_denorm_mode_32 3
		.amdhsa_float_denorm_mode_16_64 3
		.amdhsa_dx10_clamp 1
		.amdhsa_ieee_mode 1
		.amdhsa_fp16_overflow 0
		.amdhsa_workgroup_processor_mode 1
		.amdhsa_memory_ordered 1
		.amdhsa_forward_progress 1
		.amdhsa_shared_vgpr_count 0
		.amdhsa_exception_fp_ieee_invalid_op 0
		.amdhsa_exception_fp_denorm_src 0
		.amdhsa_exception_fp_ieee_div_zero 0
		.amdhsa_exception_fp_ieee_overflow 0
		.amdhsa_exception_fp_ieee_underflow 0
		.amdhsa_exception_fp_ieee_inexact 0
		.amdhsa_exception_int_div_zero 0
	.end_amdhsa_kernel
	.section	.text._ZN7rocprim17ROCPRIM_400000_NS6detail17trampoline_kernelINS0_14default_configENS1_38merge_sort_block_merge_config_selectorIiNS0_10empty_typeEEEZZNS1_27merge_sort_block_merge_implIS3_N6thrust23THRUST_200600_302600_NS6detail15normal_iteratorINS9_10device_ptrIiEEEEPS5_m9comp_mod3IiEEE10hipError_tT0_T1_T2_jT3_P12ihipStream_tbPNSt15iterator_traitsISJ_E10value_typeEPNSP_ISK_E10value_typeEPSL_NS1_7vsmem_tEENKUlT_SJ_SK_SL_E_clISE_PiSF_SF_EESI_SY_SJ_SK_SL_EUlSY_E_NS1_11comp_targetILNS1_3genE3ELNS1_11target_archE908ELNS1_3gpuE7ELNS1_3repE0EEENS1_48merge_mergepath_partition_config_static_selectorELNS0_4arch9wavefront6targetE0EEEvSK_,"axG",@progbits,_ZN7rocprim17ROCPRIM_400000_NS6detail17trampoline_kernelINS0_14default_configENS1_38merge_sort_block_merge_config_selectorIiNS0_10empty_typeEEEZZNS1_27merge_sort_block_merge_implIS3_N6thrust23THRUST_200600_302600_NS6detail15normal_iteratorINS9_10device_ptrIiEEEEPS5_m9comp_mod3IiEEE10hipError_tT0_T1_T2_jT3_P12ihipStream_tbPNSt15iterator_traitsISJ_E10value_typeEPNSP_ISK_E10value_typeEPSL_NS1_7vsmem_tEENKUlT_SJ_SK_SL_E_clISE_PiSF_SF_EESI_SY_SJ_SK_SL_EUlSY_E_NS1_11comp_targetILNS1_3genE3ELNS1_11target_archE908ELNS1_3gpuE7ELNS1_3repE0EEENS1_48merge_mergepath_partition_config_static_selectorELNS0_4arch9wavefront6targetE0EEEvSK_,comdat
.Lfunc_end1016:
	.size	_ZN7rocprim17ROCPRIM_400000_NS6detail17trampoline_kernelINS0_14default_configENS1_38merge_sort_block_merge_config_selectorIiNS0_10empty_typeEEEZZNS1_27merge_sort_block_merge_implIS3_N6thrust23THRUST_200600_302600_NS6detail15normal_iteratorINS9_10device_ptrIiEEEEPS5_m9comp_mod3IiEEE10hipError_tT0_T1_T2_jT3_P12ihipStream_tbPNSt15iterator_traitsISJ_E10value_typeEPNSP_ISK_E10value_typeEPSL_NS1_7vsmem_tEENKUlT_SJ_SK_SL_E_clISE_PiSF_SF_EESI_SY_SJ_SK_SL_EUlSY_E_NS1_11comp_targetILNS1_3genE3ELNS1_11target_archE908ELNS1_3gpuE7ELNS1_3repE0EEENS1_48merge_mergepath_partition_config_static_selectorELNS0_4arch9wavefront6targetE0EEEvSK_, .Lfunc_end1016-_ZN7rocprim17ROCPRIM_400000_NS6detail17trampoline_kernelINS0_14default_configENS1_38merge_sort_block_merge_config_selectorIiNS0_10empty_typeEEEZZNS1_27merge_sort_block_merge_implIS3_N6thrust23THRUST_200600_302600_NS6detail15normal_iteratorINS9_10device_ptrIiEEEEPS5_m9comp_mod3IiEEE10hipError_tT0_T1_T2_jT3_P12ihipStream_tbPNSt15iterator_traitsISJ_E10value_typeEPNSP_ISK_E10value_typeEPSL_NS1_7vsmem_tEENKUlT_SJ_SK_SL_E_clISE_PiSF_SF_EESI_SY_SJ_SK_SL_EUlSY_E_NS1_11comp_targetILNS1_3genE3ELNS1_11target_archE908ELNS1_3gpuE7ELNS1_3repE0EEENS1_48merge_mergepath_partition_config_static_selectorELNS0_4arch9wavefront6targetE0EEEvSK_
                                        ; -- End function
	.set _ZN7rocprim17ROCPRIM_400000_NS6detail17trampoline_kernelINS0_14default_configENS1_38merge_sort_block_merge_config_selectorIiNS0_10empty_typeEEEZZNS1_27merge_sort_block_merge_implIS3_N6thrust23THRUST_200600_302600_NS6detail15normal_iteratorINS9_10device_ptrIiEEEEPS5_m9comp_mod3IiEEE10hipError_tT0_T1_T2_jT3_P12ihipStream_tbPNSt15iterator_traitsISJ_E10value_typeEPNSP_ISK_E10value_typeEPSL_NS1_7vsmem_tEENKUlT_SJ_SK_SL_E_clISE_PiSF_SF_EESI_SY_SJ_SK_SL_EUlSY_E_NS1_11comp_targetILNS1_3genE3ELNS1_11target_archE908ELNS1_3gpuE7ELNS1_3repE0EEENS1_48merge_mergepath_partition_config_static_selectorELNS0_4arch9wavefront6targetE0EEEvSK_.num_vgpr, 0
	.set _ZN7rocprim17ROCPRIM_400000_NS6detail17trampoline_kernelINS0_14default_configENS1_38merge_sort_block_merge_config_selectorIiNS0_10empty_typeEEEZZNS1_27merge_sort_block_merge_implIS3_N6thrust23THRUST_200600_302600_NS6detail15normal_iteratorINS9_10device_ptrIiEEEEPS5_m9comp_mod3IiEEE10hipError_tT0_T1_T2_jT3_P12ihipStream_tbPNSt15iterator_traitsISJ_E10value_typeEPNSP_ISK_E10value_typeEPSL_NS1_7vsmem_tEENKUlT_SJ_SK_SL_E_clISE_PiSF_SF_EESI_SY_SJ_SK_SL_EUlSY_E_NS1_11comp_targetILNS1_3genE3ELNS1_11target_archE908ELNS1_3gpuE7ELNS1_3repE0EEENS1_48merge_mergepath_partition_config_static_selectorELNS0_4arch9wavefront6targetE0EEEvSK_.num_agpr, 0
	.set _ZN7rocprim17ROCPRIM_400000_NS6detail17trampoline_kernelINS0_14default_configENS1_38merge_sort_block_merge_config_selectorIiNS0_10empty_typeEEEZZNS1_27merge_sort_block_merge_implIS3_N6thrust23THRUST_200600_302600_NS6detail15normal_iteratorINS9_10device_ptrIiEEEEPS5_m9comp_mod3IiEEE10hipError_tT0_T1_T2_jT3_P12ihipStream_tbPNSt15iterator_traitsISJ_E10value_typeEPNSP_ISK_E10value_typeEPSL_NS1_7vsmem_tEENKUlT_SJ_SK_SL_E_clISE_PiSF_SF_EESI_SY_SJ_SK_SL_EUlSY_E_NS1_11comp_targetILNS1_3genE3ELNS1_11target_archE908ELNS1_3gpuE7ELNS1_3repE0EEENS1_48merge_mergepath_partition_config_static_selectorELNS0_4arch9wavefront6targetE0EEEvSK_.numbered_sgpr, 0
	.set _ZN7rocprim17ROCPRIM_400000_NS6detail17trampoline_kernelINS0_14default_configENS1_38merge_sort_block_merge_config_selectorIiNS0_10empty_typeEEEZZNS1_27merge_sort_block_merge_implIS3_N6thrust23THRUST_200600_302600_NS6detail15normal_iteratorINS9_10device_ptrIiEEEEPS5_m9comp_mod3IiEEE10hipError_tT0_T1_T2_jT3_P12ihipStream_tbPNSt15iterator_traitsISJ_E10value_typeEPNSP_ISK_E10value_typeEPSL_NS1_7vsmem_tEENKUlT_SJ_SK_SL_E_clISE_PiSF_SF_EESI_SY_SJ_SK_SL_EUlSY_E_NS1_11comp_targetILNS1_3genE3ELNS1_11target_archE908ELNS1_3gpuE7ELNS1_3repE0EEENS1_48merge_mergepath_partition_config_static_selectorELNS0_4arch9wavefront6targetE0EEEvSK_.num_named_barrier, 0
	.set _ZN7rocprim17ROCPRIM_400000_NS6detail17trampoline_kernelINS0_14default_configENS1_38merge_sort_block_merge_config_selectorIiNS0_10empty_typeEEEZZNS1_27merge_sort_block_merge_implIS3_N6thrust23THRUST_200600_302600_NS6detail15normal_iteratorINS9_10device_ptrIiEEEEPS5_m9comp_mod3IiEEE10hipError_tT0_T1_T2_jT3_P12ihipStream_tbPNSt15iterator_traitsISJ_E10value_typeEPNSP_ISK_E10value_typeEPSL_NS1_7vsmem_tEENKUlT_SJ_SK_SL_E_clISE_PiSF_SF_EESI_SY_SJ_SK_SL_EUlSY_E_NS1_11comp_targetILNS1_3genE3ELNS1_11target_archE908ELNS1_3gpuE7ELNS1_3repE0EEENS1_48merge_mergepath_partition_config_static_selectorELNS0_4arch9wavefront6targetE0EEEvSK_.private_seg_size, 0
	.set _ZN7rocprim17ROCPRIM_400000_NS6detail17trampoline_kernelINS0_14default_configENS1_38merge_sort_block_merge_config_selectorIiNS0_10empty_typeEEEZZNS1_27merge_sort_block_merge_implIS3_N6thrust23THRUST_200600_302600_NS6detail15normal_iteratorINS9_10device_ptrIiEEEEPS5_m9comp_mod3IiEEE10hipError_tT0_T1_T2_jT3_P12ihipStream_tbPNSt15iterator_traitsISJ_E10value_typeEPNSP_ISK_E10value_typeEPSL_NS1_7vsmem_tEENKUlT_SJ_SK_SL_E_clISE_PiSF_SF_EESI_SY_SJ_SK_SL_EUlSY_E_NS1_11comp_targetILNS1_3genE3ELNS1_11target_archE908ELNS1_3gpuE7ELNS1_3repE0EEENS1_48merge_mergepath_partition_config_static_selectorELNS0_4arch9wavefront6targetE0EEEvSK_.uses_vcc, 0
	.set _ZN7rocprim17ROCPRIM_400000_NS6detail17trampoline_kernelINS0_14default_configENS1_38merge_sort_block_merge_config_selectorIiNS0_10empty_typeEEEZZNS1_27merge_sort_block_merge_implIS3_N6thrust23THRUST_200600_302600_NS6detail15normal_iteratorINS9_10device_ptrIiEEEEPS5_m9comp_mod3IiEEE10hipError_tT0_T1_T2_jT3_P12ihipStream_tbPNSt15iterator_traitsISJ_E10value_typeEPNSP_ISK_E10value_typeEPSL_NS1_7vsmem_tEENKUlT_SJ_SK_SL_E_clISE_PiSF_SF_EESI_SY_SJ_SK_SL_EUlSY_E_NS1_11comp_targetILNS1_3genE3ELNS1_11target_archE908ELNS1_3gpuE7ELNS1_3repE0EEENS1_48merge_mergepath_partition_config_static_selectorELNS0_4arch9wavefront6targetE0EEEvSK_.uses_flat_scratch, 0
	.set _ZN7rocprim17ROCPRIM_400000_NS6detail17trampoline_kernelINS0_14default_configENS1_38merge_sort_block_merge_config_selectorIiNS0_10empty_typeEEEZZNS1_27merge_sort_block_merge_implIS3_N6thrust23THRUST_200600_302600_NS6detail15normal_iteratorINS9_10device_ptrIiEEEEPS5_m9comp_mod3IiEEE10hipError_tT0_T1_T2_jT3_P12ihipStream_tbPNSt15iterator_traitsISJ_E10value_typeEPNSP_ISK_E10value_typeEPSL_NS1_7vsmem_tEENKUlT_SJ_SK_SL_E_clISE_PiSF_SF_EESI_SY_SJ_SK_SL_EUlSY_E_NS1_11comp_targetILNS1_3genE3ELNS1_11target_archE908ELNS1_3gpuE7ELNS1_3repE0EEENS1_48merge_mergepath_partition_config_static_selectorELNS0_4arch9wavefront6targetE0EEEvSK_.has_dyn_sized_stack, 0
	.set _ZN7rocprim17ROCPRIM_400000_NS6detail17trampoline_kernelINS0_14default_configENS1_38merge_sort_block_merge_config_selectorIiNS0_10empty_typeEEEZZNS1_27merge_sort_block_merge_implIS3_N6thrust23THRUST_200600_302600_NS6detail15normal_iteratorINS9_10device_ptrIiEEEEPS5_m9comp_mod3IiEEE10hipError_tT0_T1_T2_jT3_P12ihipStream_tbPNSt15iterator_traitsISJ_E10value_typeEPNSP_ISK_E10value_typeEPSL_NS1_7vsmem_tEENKUlT_SJ_SK_SL_E_clISE_PiSF_SF_EESI_SY_SJ_SK_SL_EUlSY_E_NS1_11comp_targetILNS1_3genE3ELNS1_11target_archE908ELNS1_3gpuE7ELNS1_3repE0EEENS1_48merge_mergepath_partition_config_static_selectorELNS0_4arch9wavefront6targetE0EEEvSK_.has_recursion, 0
	.set _ZN7rocprim17ROCPRIM_400000_NS6detail17trampoline_kernelINS0_14default_configENS1_38merge_sort_block_merge_config_selectorIiNS0_10empty_typeEEEZZNS1_27merge_sort_block_merge_implIS3_N6thrust23THRUST_200600_302600_NS6detail15normal_iteratorINS9_10device_ptrIiEEEEPS5_m9comp_mod3IiEEE10hipError_tT0_T1_T2_jT3_P12ihipStream_tbPNSt15iterator_traitsISJ_E10value_typeEPNSP_ISK_E10value_typeEPSL_NS1_7vsmem_tEENKUlT_SJ_SK_SL_E_clISE_PiSF_SF_EESI_SY_SJ_SK_SL_EUlSY_E_NS1_11comp_targetILNS1_3genE3ELNS1_11target_archE908ELNS1_3gpuE7ELNS1_3repE0EEENS1_48merge_mergepath_partition_config_static_selectorELNS0_4arch9wavefront6targetE0EEEvSK_.has_indirect_call, 0
	.section	.AMDGPU.csdata,"",@progbits
; Kernel info:
; codeLenInByte = 0
; TotalNumSgprs: 0
; NumVgprs: 0
; ScratchSize: 0
; MemoryBound: 0
; FloatMode: 240
; IeeeMode: 1
; LDSByteSize: 0 bytes/workgroup (compile time only)
; SGPRBlocks: 0
; VGPRBlocks: 0
; NumSGPRsForWavesPerEU: 1
; NumVGPRsForWavesPerEU: 1
; Occupancy: 16
; WaveLimiterHint : 0
; COMPUTE_PGM_RSRC2:SCRATCH_EN: 0
; COMPUTE_PGM_RSRC2:USER_SGPR: 6
; COMPUTE_PGM_RSRC2:TRAP_HANDLER: 0
; COMPUTE_PGM_RSRC2:TGID_X_EN: 1
; COMPUTE_PGM_RSRC2:TGID_Y_EN: 0
; COMPUTE_PGM_RSRC2:TGID_Z_EN: 0
; COMPUTE_PGM_RSRC2:TIDIG_COMP_CNT: 0
	.section	.text._ZN7rocprim17ROCPRIM_400000_NS6detail17trampoline_kernelINS0_14default_configENS1_38merge_sort_block_merge_config_selectorIiNS0_10empty_typeEEEZZNS1_27merge_sort_block_merge_implIS3_N6thrust23THRUST_200600_302600_NS6detail15normal_iteratorINS9_10device_ptrIiEEEEPS5_m9comp_mod3IiEEE10hipError_tT0_T1_T2_jT3_P12ihipStream_tbPNSt15iterator_traitsISJ_E10value_typeEPNSP_ISK_E10value_typeEPSL_NS1_7vsmem_tEENKUlT_SJ_SK_SL_E_clISE_PiSF_SF_EESI_SY_SJ_SK_SL_EUlSY_E_NS1_11comp_targetILNS1_3genE2ELNS1_11target_archE906ELNS1_3gpuE6ELNS1_3repE0EEENS1_48merge_mergepath_partition_config_static_selectorELNS0_4arch9wavefront6targetE0EEEvSK_,"axG",@progbits,_ZN7rocprim17ROCPRIM_400000_NS6detail17trampoline_kernelINS0_14default_configENS1_38merge_sort_block_merge_config_selectorIiNS0_10empty_typeEEEZZNS1_27merge_sort_block_merge_implIS3_N6thrust23THRUST_200600_302600_NS6detail15normal_iteratorINS9_10device_ptrIiEEEEPS5_m9comp_mod3IiEEE10hipError_tT0_T1_T2_jT3_P12ihipStream_tbPNSt15iterator_traitsISJ_E10value_typeEPNSP_ISK_E10value_typeEPSL_NS1_7vsmem_tEENKUlT_SJ_SK_SL_E_clISE_PiSF_SF_EESI_SY_SJ_SK_SL_EUlSY_E_NS1_11comp_targetILNS1_3genE2ELNS1_11target_archE906ELNS1_3gpuE6ELNS1_3repE0EEENS1_48merge_mergepath_partition_config_static_selectorELNS0_4arch9wavefront6targetE0EEEvSK_,comdat
	.protected	_ZN7rocprim17ROCPRIM_400000_NS6detail17trampoline_kernelINS0_14default_configENS1_38merge_sort_block_merge_config_selectorIiNS0_10empty_typeEEEZZNS1_27merge_sort_block_merge_implIS3_N6thrust23THRUST_200600_302600_NS6detail15normal_iteratorINS9_10device_ptrIiEEEEPS5_m9comp_mod3IiEEE10hipError_tT0_T1_T2_jT3_P12ihipStream_tbPNSt15iterator_traitsISJ_E10value_typeEPNSP_ISK_E10value_typeEPSL_NS1_7vsmem_tEENKUlT_SJ_SK_SL_E_clISE_PiSF_SF_EESI_SY_SJ_SK_SL_EUlSY_E_NS1_11comp_targetILNS1_3genE2ELNS1_11target_archE906ELNS1_3gpuE6ELNS1_3repE0EEENS1_48merge_mergepath_partition_config_static_selectorELNS0_4arch9wavefront6targetE0EEEvSK_ ; -- Begin function _ZN7rocprim17ROCPRIM_400000_NS6detail17trampoline_kernelINS0_14default_configENS1_38merge_sort_block_merge_config_selectorIiNS0_10empty_typeEEEZZNS1_27merge_sort_block_merge_implIS3_N6thrust23THRUST_200600_302600_NS6detail15normal_iteratorINS9_10device_ptrIiEEEEPS5_m9comp_mod3IiEEE10hipError_tT0_T1_T2_jT3_P12ihipStream_tbPNSt15iterator_traitsISJ_E10value_typeEPNSP_ISK_E10value_typeEPSL_NS1_7vsmem_tEENKUlT_SJ_SK_SL_E_clISE_PiSF_SF_EESI_SY_SJ_SK_SL_EUlSY_E_NS1_11comp_targetILNS1_3genE2ELNS1_11target_archE906ELNS1_3gpuE6ELNS1_3repE0EEENS1_48merge_mergepath_partition_config_static_selectorELNS0_4arch9wavefront6targetE0EEEvSK_
	.globl	_ZN7rocprim17ROCPRIM_400000_NS6detail17trampoline_kernelINS0_14default_configENS1_38merge_sort_block_merge_config_selectorIiNS0_10empty_typeEEEZZNS1_27merge_sort_block_merge_implIS3_N6thrust23THRUST_200600_302600_NS6detail15normal_iteratorINS9_10device_ptrIiEEEEPS5_m9comp_mod3IiEEE10hipError_tT0_T1_T2_jT3_P12ihipStream_tbPNSt15iterator_traitsISJ_E10value_typeEPNSP_ISK_E10value_typeEPSL_NS1_7vsmem_tEENKUlT_SJ_SK_SL_E_clISE_PiSF_SF_EESI_SY_SJ_SK_SL_EUlSY_E_NS1_11comp_targetILNS1_3genE2ELNS1_11target_archE906ELNS1_3gpuE6ELNS1_3repE0EEENS1_48merge_mergepath_partition_config_static_selectorELNS0_4arch9wavefront6targetE0EEEvSK_
	.p2align	8
	.type	_ZN7rocprim17ROCPRIM_400000_NS6detail17trampoline_kernelINS0_14default_configENS1_38merge_sort_block_merge_config_selectorIiNS0_10empty_typeEEEZZNS1_27merge_sort_block_merge_implIS3_N6thrust23THRUST_200600_302600_NS6detail15normal_iteratorINS9_10device_ptrIiEEEEPS5_m9comp_mod3IiEEE10hipError_tT0_T1_T2_jT3_P12ihipStream_tbPNSt15iterator_traitsISJ_E10value_typeEPNSP_ISK_E10value_typeEPSL_NS1_7vsmem_tEENKUlT_SJ_SK_SL_E_clISE_PiSF_SF_EESI_SY_SJ_SK_SL_EUlSY_E_NS1_11comp_targetILNS1_3genE2ELNS1_11target_archE906ELNS1_3gpuE6ELNS1_3repE0EEENS1_48merge_mergepath_partition_config_static_selectorELNS0_4arch9wavefront6targetE0EEEvSK_,@function
_ZN7rocprim17ROCPRIM_400000_NS6detail17trampoline_kernelINS0_14default_configENS1_38merge_sort_block_merge_config_selectorIiNS0_10empty_typeEEEZZNS1_27merge_sort_block_merge_implIS3_N6thrust23THRUST_200600_302600_NS6detail15normal_iteratorINS9_10device_ptrIiEEEEPS5_m9comp_mod3IiEEE10hipError_tT0_T1_T2_jT3_P12ihipStream_tbPNSt15iterator_traitsISJ_E10value_typeEPNSP_ISK_E10value_typeEPSL_NS1_7vsmem_tEENKUlT_SJ_SK_SL_E_clISE_PiSF_SF_EESI_SY_SJ_SK_SL_EUlSY_E_NS1_11comp_targetILNS1_3genE2ELNS1_11target_archE906ELNS1_3gpuE6ELNS1_3repE0EEENS1_48merge_mergepath_partition_config_static_selectorELNS0_4arch9wavefront6targetE0EEEvSK_: ; @_ZN7rocprim17ROCPRIM_400000_NS6detail17trampoline_kernelINS0_14default_configENS1_38merge_sort_block_merge_config_selectorIiNS0_10empty_typeEEEZZNS1_27merge_sort_block_merge_implIS3_N6thrust23THRUST_200600_302600_NS6detail15normal_iteratorINS9_10device_ptrIiEEEEPS5_m9comp_mod3IiEEE10hipError_tT0_T1_T2_jT3_P12ihipStream_tbPNSt15iterator_traitsISJ_E10value_typeEPNSP_ISK_E10value_typeEPSL_NS1_7vsmem_tEENKUlT_SJ_SK_SL_E_clISE_PiSF_SF_EESI_SY_SJ_SK_SL_EUlSY_E_NS1_11comp_targetILNS1_3genE2ELNS1_11target_archE906ELNS1_3gpuE6ELNS1_3repE0EEENS1_48merge_mergepath_partition_config_static_selectorELNS0_4arch9wavefront6targetE0EEEvSK_
; %bb.0:
	.section	.rodata,"a",@progbits
	.p2align	6, 0x0
	.amdhsa_kernel _ZN7rocprim17ROCPRIM_400000_NS6detail17trampoline_kernelINS0_14default_configENS1_38merge_sort_block_merge_config_selectorIiNS0_10empty_typeEEEZZNS1_27merge_sort_block_merge_implIS3_N6thrust23THRUST_200600_302600_NS6detail15normal_iteratorINS9_10device_ptrIiEEEEPS5_m9comp_mod3IiEEE10hipError_tT0_T1_T2_jT3_P12ihipStream_tbPNSt15iterator_traitsISJ_E10value_typeEPNSP_ISK_E10value_typeEPSL_NS1_7vsmem_tEENKUlT_SJ_SK_SL_E_clISE_PiSF_SF_EESI_SY_SJ_SK_SL_EUlSY_E_NS1_11comp_targetILNS1_3genE2ELNS1_11target_archE906ELNS1_3gpuE6ELNS1_3repE0EEENS1_48merge_mergepath_partition_config_static_selectorELNS0_4arch9wavefront6targetE0EEEvSK_
		.amdhsa_group_segment_fixed_size 0
		.amdhsa_private_segment_fixed_size 0
		.amdhsa_kernarg_size 48
		.amdhsa_user_sgpr_count 6
		.amdhsa_user_sgpr_private_segment_buffer 1
		.amdhsa_user_sgpr_dispatch_ptr 0
		.amdhsa_user_sgpr_queue_ptr 0
		.amdhsa_user_sgpr_kernarg_segment_ptr 1
		.amdhsa_user_sgpr_dispatch_id 0
		.amdhsa_user_sgpr_flat_scratch_init 0
		.amdhsa_user_sgpr_private_segment_size 0
		.amdhsa_wavefront_size32 1
		.amdhsa_uses_dynamic_stack 0
		.amdhsa_system_sgpr_private_segment_wavefront_offset 0
		.amdhsa_system_sgpr_workgroup_id_x 1
		.amdhsa_system_sgpr_workgroup_id_y 0
		.amdhsa_system_sgpr_workgroup_id_z 0
		.amdhsa_system_sgpr_workgroup_info 0
		.amdhsa_system_vgpr_workitem_id 0
		.amdhsa_next_free_vgpr 1
		.amdhsa_next_free_sgpr 1
		.amdhsa_reserve_vcc 0
		.amdhsa_reserve_flat_scratch 0
		.amdhsa_float_round_mode_32 0
		.amdhsa_float_round_mode_16_64 0
		.amdhsa_float_denorm_mode_32 3
		.amdhsa_float_denorm_mode_16_64 3
		.amdhsa_dx10_clamp 1
		.amdhsa_ieee_mode 1
		.amdhsa_fp16_overflow 0
		.amdhsa_workgroup_processor_mode 1
		.amdhsa_memory_ordered 1
		.amdhsa_forward_progress 1
		.amdhsa_shared_vgpr_count 0
		.amdhsa_exception_fp_ieee_invalid_op 0
		.amdhsa_exception_fp_denorm_src 0
		.amdhsa_exception_fp_ieee_div_zero 0
		.amdhsa_exception_fp_ieee_overflow 0
		.amdhsa_exception_fp_ieee_underflow 0
		.amdhsa_exception_fp_ieee_inexact 0
		.amdhsa_exception_int_div_zero 0
	.end_amdhsa_kernel
	.section	.text._ZN7rocprim17ROCPRIM_400000_NS6detail17trampoline_kernelINS0_14default_configENS1_38merge_sort_block_merge_config_selectorIiNS0_10empty_typeEEEZZNS1_27merge_sort_block_merge_implIS3_N6thrust23THRUST_200600_302600_NS6detail15normal_iteratorINS9_10device_ptrIiEEEEPS5_m9comp_mod3IiEEE10hipError_tT0_T1_T2_jT3_P12ihipStream_tbPNSt15iterator_traitsISJ_E10value_typeEPNSP_ISK_E10value_typeEPSL_NS1_7vsmem_tEENKUlT_SJ_SK_SL_E_clISE_PiSF_SF_EESI_SY_SJ_SK_SL_EUlSY_E_NS1_11comp_targetILNS1_3genE2ELNS1_11target_archE906ELNS1_3gpuE6ELNS1_3repE0EEENS1_48merge_mergepath_partition_config_static_selectorELNS0_4arch9wavefront6targetE0EEEvSK_,"axG",@progbits,_ZN7rocprim17ROCPRIM_400000_NS6detail17trampoline_kernelINS0_14default_configENS1_38merge_sort_block_merge_config_selectorIiNS0_10empty_typeEEEZZNS1_27merge_sort_block_merge_implIS3_N6thrust23THRUST_200600_302600_NS6detail15normal_iteratorINS9_10device_ptrIiEEEEPS5_m9comp_mod3IiEEE10hipError_tT0_T1_T2_jT3_P12ihipStream_tbPNSt15iterator_traitsISJ_E10value_typeEPNSP_ISK_E10value_typeEPSL_NS1_7vsmem_tEENKUlT_SJ_SK_SL_E_clISE_PiSF_SF_EESI_SY_SJ_SK_SL_EUlSY_E_NS1_11comp_targetILNS1_3genE2ELNS1_11target_archE906ELNS1_3gpuE6ELNS1_3repE0EEENS1_48merge_mergepath_partition_config_static_selectorELNS0_4arch9wavefront6targetE0EEEvSK_,comdat
.Lfunc_end1017:
	.size	_ZN7rocprim17ROCPRIM_400000_NS6detail17trampoline_kernelINS0_14default_configENS1_38merge_sort_block_merge_config_selectorIiNS0_10empty_typeEEEZZNS1_27merge_sort_block_merge_implIS3_N6thrust23THRUST_200600_302600_NS6detail15normal_iteratorINS9_10device_ptrIiEEEEPS5_m9comp_mod3IiEEE10hipError_tT0_T1_T2_jT3_P12ihipStream_tbPNSt15iterator_traitsISJ_E10value_typeEPNSP_ISK_E10value_typeEPSL_NS1_7vsmem_tEENKUlT_SJ_SK_SL_E_clISE_PiSF_SF_EESI_SY_SJ_SK_SL_EUlSY_E_NS1_11comp_targetILNS1_3genE2ELNS1_11target_archE906ELNS1_3gpuE6ELNS1_3repE0EEENS1_48merge_mergepath_partition_config_static_selectorELNS0_4arch9wavefront6targetE0EEEvSK_, .Lfunc_end1017-_ZN7rocprim17ROCPRIM_400000_NS6detail17trampoline_kernelINS0_14default_configENS1_38merge_sort_block_merge_config_selectorIiNS0_10empty_typeEEEZZNS1_27merge_sort_block_merge_implIS3_N6thrust23THRUST_200600_302600_NS6detail15normal_iteratorINS9_10device_ptrIiEEEEPS5_m9comp_mod3IiEEE10hipError_tT0_T1_T2_jT3_P12ihipStream_tbPNSt15iterator_traitsISJ_E10value_typeEPNSP_ISK_E10value_typeEPSL_NS1_7vsmem_tEENKUlT_SJ_SK_SL_E_clISE_PiSF_SF_EESI_SY_SJ_SK_SL_EUlSY_E_NS1_11comp_targetILNS1_3genE2ELNS1_11target_archE906ELNS1_3gpuE6ELNS1_3repE0EEENS1_48merge_mergepath_partition_config_static_selectorELNS0_4arch9wavefront6targetE0EEEvSK_
                                        ; -- End function
	.set _ZN7rocprim17ROCPRIM_400000_NS6detail17trampoline_kernelINS0_14default_configENS1_38merge_sort_block_merge_config_selectorIiNS0_10empty_typeEEEZZNS1_27merge_sort_block_merge_implIS3_N6thrust23THRUST_200600_302600_NS6detail15normal_iteratorINS9_10device_ptrIiEEEEPS5_m9comp_mod3IiEEE10hipError_tT0_T1_T2_jT3_P12ihipStream_tbPNSt15iterator_traitsISJ_E10value_typeEPNSP_ISK_E10value_typeEPSL_NS1_7vsmem_tEENKUlT_SJ_SK_SL_E_clISE_PiSF_SF_EESI_SY_SJ_SK_SL_EUlSY_E_NS1_11comp_targetILNS1_3genE2ELNS1_11target_archE906ELNS1_3gpuE6ELNS1_3repE0EEENS1_48merge_mergepath_partition_config_static_selectorELNS0_4arch9wavefront6targetE0EEEvSK_.num_vgpr, 0
	.set _ZN7rocprim17ROCPRIM_400000_NS6detail17trampoline_kernelINS0_14default_configENS1_38merge_sort_block_merge_config_selectorIiNS0_10empty_typeEEEZZNS1_27merge_sort_block_merge_implIS3_N6thrust23THRUST_200600_302600_NS6detail15normal_iteratorINS9_10device_ptrIiEEEEPS5_m9comp_mod3IiEEE10hipError_tT0_T1_T2_jT3_P12ihipStream_tbPNSt15iterator_traitsISJ_E10value_typeEPNSP_ISK_E10value_typeEPSL_NS1_7vsmem_tEENKUlT_SJ_SK_SL_E_clISE_PiSF_SF_EESI_SY_SJ_SK_SL_EUlSY_E_NS1_11comp_targetILNS1_3genE2ELNS1_11target_archE906ELNS1_3gpuE6ELNS1_3repE0EEENS1_48merge_mergepath_partition_config_static_selectorELNS0_4arch9wavefront6targetE0EEEvSK_.num_agpr, 0
	.set _ZN7rocprim17ROCPRIM_400000_NS6detail17trampoline_kernelINS0_14default_configENS1_38merge_sort_block_merge_config_selectorIiNS0_10empty_typeEEEZZNS1_27merge_sort_block_merge_implIS3_N6thrust23THRUST_200600_302600_NS6detail15normal_iteratorINS9_10device_ptrIiEEEEPS5_m9comp_mod3IiEEE10hipError_tT0_T1_T2_jT3_P12ihipStream_tbPNSt15iterator_traitsISJ_E10value_typeEPNSP_ISK_E10value_typeEPSL_NS1_7vsmem_tEENKUlT_SJ_SK_SL_E_clISE_PiSF_SF_EESI_SY_SJ_SK_SL_EUlSY_E_NS1_11comp_targetILNS1_3genE2ELNS1_11target_archE906ELNS1_3gpuE6ELNS1_3repE0EEENS1_48merge_mergepath_partition_config_static_selectorELNS0_4arch9wavefront6targetE0EEEvSK_.numbered_sgpr, 0
	.set _ZN7rocprim17ROCPRIM_400000_NS6detail17trampoline_kernelINS0_14default_configENS1_38merge_sort_block_merge_config_selectorIiNS0_10empty_typeEEEZZNS1_27merge_sort_block_merge_implIS3_N6thrust23THRUST_200600_302600_NS6detail15normal_iteratorINS9_10device_ptrIiEEEEPS5_m9comp_mod3IiEEE10hipError_tT0_T1_T2_jT3_P12ihipStream_tbPNSt15iterator_traitsISJ_E10value_typeEPNSP_ISK_E10value_typeEPSL_NS1_7vsmem_tEENKUlT_SJ_SK_SL_E_clISE_PiSF_SF_EESI_SY_SJ_SK_SL_EUlSY_E_NS1_11comp_targetILNS1_3genE2ELNS1_11target_archE906ELNS1_3gpuE6ELNS1_3repE0EEENS1_48merge_mergepath_partition_config_static_selectorELNS0_4arch9wavefront6targetE0EEEvSK_.num_named_barrier, 0
	.set _ZN7rocprim17ROCPRIM_400000_NS6detail17trampoline_kernelINS0_14default_configENS1_38merge_sort_block_merge_config_selectorIiNS0_10empty_typeEEEZZNS1_27merge_sort_block_merge_implIS3_N6thrust23THRUST_200600_302600_NS6detail15normal_iteratorINS9_10device_ptrIiEEEEPS5_m9comp_mod3IiEEE10hipError_tT0_T1_T2_jT3_P12ihipStream_tbPNSt15iterator_traitsISJ_E10value_typeEPNSP_ISK_E10value_typeEPSL_NS1_7vsmem_tEENKUlT_SJ_SK_SL_E_clISE_PiSF_SF_EESI_SY_SJ_SK_SL_EUlSY_E_NS1_11comp_targetILNS1_3genE2ELNS1_11target_archE906ELNS1_3gpuE6ELNS1_3repE0EEENS1_48merge_mergepath_partition_config_static_selectorELNS0_4arch9wavefront6targetE0EEEvSK_.private_seg_size, 0
	.set _ZN7rocprim17ROCPRIM_400000_NS6detail17trampoline_kernelINS0_14default_configENS1_38merge_sort_block_merge_config_selectorIiNS0_10empty_typeEEEZZNS1_27merge_sort_block_merge_implIS3_N6thrust23THRUST_200600_302600_NS6detail15normal_iteratorINS9_10device_ptrIiEEEEPS5_m9comp_mod3IiEEE10hipError_tT0_T1_T2_jT3_P12ihipStream_tbPNSt15iterator_traitsISJ_E10value_typeEPNSP_ISK_E10value_typeEPSL_NS1_7vsmem_tEENKUlT_SJ_SK_SL_E_clISE_PiSF_SF_EESI_SY_SJ_SK_SL_EUlSY_E_NS1_11comp_targetILNS1_3genE2ELNS1_11target_archE906ELNS1_3gpuE6ELNS1_3repE0EEENS1_48merge_mergepath_partition_config_static_selectorELNS0_4arch9wavefront6targetE0EEEvSK_.uses_vcc, 0
	.set _ZN7rocprim17ROCPRIM_400000_NS6detail17trampoline_kernelINS0_14default_configENS1_38merge_sort_block_merge_config_selectorIiNS0_10empty_typeEEEZZNS1_27merge_sort_block_merge_implIS3_N6thrust23THRUST_200600_302600_NS6detail15normal_iteratorINS9_10device_ptrIiEEEEPS5_m9comp_mod3IiEEE10hipError_tT0_T1_T2_jT3_P12ihipStream_tbPNSt15iterator_traitsISJ_E10value_typeEPNSP_ISK_E10value_typeEPSL_NS1_7vsmem_tEENKUlT_SJ_SK_SL_E_clISE_PiSF_SF_EESI_SY_SJ_SK_SL_EUlSY_E_NS1_11comp_targetILNS1_3genE2ELNS1_11target_archE906ELNS1_3gpuE6ELNS1_3repE0EEENS1_48merge_mergepath_partition_config_static_selectorELNS0_4arch9wavefront6targetE0EEEvSK_.uses_flat_scratch, 0
	.set _ZN7rocprim17ROCPRIM_400000_NS6detail17trampoline_kernelINS0_14default_configENS1_38merge_sort_block_merge_config_selectorIiNS0_10empty_typeEEEZZNS1_27merge_sort_block_merge_implIS3_N6thrust23THRUST_200600_302600_NS6detail15normal_iteratorINS9_10device_ptrIiEEEEPS5_m9comp_mod3IiEEE10hipError_tT0_T1_T2_jT3_P12ihipStream_tbPNSt15iterator_traitsISJ_E10value_typeEPNSP_ISK_E10value_typeEPSL_NS1_7vsmem_tEENKUlT_SJ_SK_SL_E_clISE_PiSF_SF_EESI_SY_SJ_SK_SL_EUlSY_E_NS1_11comp_targetILNS1_3genE2ELNS1_11target_archE906ELNS1_3gpuE6ELNS1_3repE0EEENS1_48merge_mergepath_partition_config_static_selectorELNS0_4arch9wavefront6targetE0EEEvSK_.has_dyn_sized_stack, 0
	.set _ZN7rocprim17ROCPRIM_400000_NS6detail17trampoline_kernelINS0_14default_configENS1_38merge_sort_block_merge_config_selectorIiNS0_10empty_typeEEEZZNS1_27merge_sort_block_merge_implIS3_N6thrust23THRUST_200600_302600_NS6detail15normal_iteratorINS9_10device_ptrIiEEEEPS5_m9comp_mod3IiEEE10hipError_tT0_T1_T2_jT3_P12ihipStream_tbPNSt15iterator_traitsISJ_E10value_typeEPNSP_ISK_E10value_typeEPSL_NS1_7vsmem_tEENKUlT_SJ_SK_SL_E_clISE_PiSF_SF_EESI_SY_SJ_SK_SL_EUlSY_E_NS1_11comp_targetILNS1_3genE2ELNS1_11target_archE906ELNS1_3gpuE6ELNS1_3repE0EEENS1_48merge_mergepath_partition_config_static_selectorELNS0_4arch9wavefront6targetE0EEEvSK_.has_recursion, 0
	.set _ZN7rocprim17ROCPRIM_400000_NS6detail17trampoline_kernelINS0_14default_configENS1_38merge_sort_block_merge_config_selectorIiNS0_10empty_typeEEEZZNS1_27merge_sort_block_merge_implIS3_N6thrust23THRUST_200600_302600_NS6detail15normal_iteratorINS9_10device_ptrIiEEEEPS5_m9comp_mod3IiEEE10hipError_tT0_T1_T2_jT3_P12ihipStream_tbPNSt15iterator_traitsISJ_E10value_typeEPNSP_ISK_E10value_typeEPSL_NS1_7vsmem_tEENKUlT_SJ_SK_SL_E_clISE_PiSF_SF_EESI_SY_SJ_SK_SL_EUlSY_E_NS1_11comp_targetILNS1_3genE2ELNS1_11target_archE906ELNS1_3gpuE6ELNS1_3repE0EEENS1_48merge_mergepath_partition_config_static_selectorELNS0_4arch9wavefront6targetE0EEEvSK_.has_indirect_call, 0
	.section	.AMDGPU.csdata,"",@progbits
; Kernel info:
; codeLenInByte = 0
; TotalNumSgprs: 0
; NumVgprs: 0
; ScratchSize: 0
; MemoryBound: 0
; FloatMode: 240
; IeeeMode: 1
; LDSByteSize: 0 bytes/workgroup (compile time only)
; SGPRBlocks: 0
; VGPRBlocks: 0
; NumSGPRsForWavesPerEU: 1
; NumVGPRsForWavesPerEU: 1
; Occupancy: 16
; WaveLimiterHint : 0
; COMPUTE_PGM_RSRC2:SCRATCH_EN: 0
; COMPUTE_PGM_RSRC2:USER_SGPR: 6
; COMPUTE_PGM_RSRC2:TRAP_HANDLER: 0
; COMPUTE_PGM_RSRC2:TGID_X_EN: 1
; COMPUTE_PGM_RSRC2:TGID_Y_EN: 0
; COMPUTE_PGM_RSRC2:TGID_Z_EN: 0
; COMPUTE_PGM_RSRC2:TIDIG_COMP_CNT: 0
	.section	.text._ZN7rocprim17ROCPRIM_400000_NS6detail17trampoline_kernelINS0_14default_configENS1_38merge_sort_block_merge_config_selectorIiNS0_10empty_typeEEEZZNS1_27merge_sort_block_merge_implIS3_N6thrust23THRUST_200600_302600_NS6detail15normal_iteratorINS9_10device_ptrIiEEEEPS5_m9comp_mod3IiEEE10hipError_tT0_T1_T2_jT3_P12ihipStream_tbPNSt15iterator_traitsISJ_E10value_typeEPNSP_ISK_E10value_typeEPSL_NS1_7vsmem_tEENKUlT_SJ_SK_SL_E_clISE_PiSF_SF_EESI_SY_SJ_SK_SL_EUlSY_E_NS1_11comp_targetILNS1_3genE9ELNS1_11target_archE1100ELNS1_3gpuE3ELNS1_3repE0EEENS1_48merge_mergepath_partition_config_static_selectorELNS0_4arch9wavefront6targetE0EEEvSK_,"axG",@progbits,_ZN7rocprim17ROCPRIM_400000_NS6detail17trampoline_kernelINS0_14default_configENS1_38merge_sort_block_merge_config_selectorIiNS0_10empty_typeEEEZZNS1_27merge_sort_block_merge_implIS3_N6thrust23THRUST_200600_302600_NS6detail15normal_iteratorINS9_10device_ptrIiEEEEPS5_m9comp_mod3IiEEE10hipError_tT0_T1_T2_jT3_P12ihipStream_tbPNSt15iterator_traitsISJ_E10value_typeEPNSP_ISK_E10value_typeEPSL_NS1_7vsmem_tEENKUlT_SJ_SK_SL_E_clISE_PiSF_SF_EESI_SY_SJ_SK_SL_EUlSY_E_NS1_11comp_targetILNS1_3genE9ELNS1_11target_archE1100ELNS1_3gpuE3ELNS1_3repE0EEENS1_48merge_mergepath_partition_config_static_selectorELNS0_4arch9wavefront6targetE0EEEvSK_,comdat
	.protected	_ZN7rocprim17ROCPRIM_400000_NS6detail17trampoline_kernelINS0_14default_configENS1_38merge_sort_block_merge_config_selectorIiNS0_10empty_typeEEEZZNS1_27merge_sort_block_merge_implIS3_N6thrust23THRUST_200600_302600_NS6detail15normal_iteratorINS9_10device_ptrIiEEEEPS5_m9comp_mod3IiEEE10hipError_tT0_T1_T2_jT3_P12ihipStream_tbPNSt15iterator_traitsISJ_E10value_typeEPNSP_ISK_E10value_typeEPSL_NS1_7vsmem_tEENKUlT_SJ_SK_SL_E_clISE_PiSF_SF_EESI_SY_SJ_SK_SL_EUlSY_E_NS1_11comp_targetILNS1_3genE9ELNS1_11target_archE1100ELNS1_3gpuE3ELNS1_3repE0EEENS1_48merge_mergepath_partition_config_static_selectorELNS0_4arch9wavefront6targetE0EEEvSK_ ; -- Begin function _ZN7rocprim17ROCPRIM_400000_NS6detail17trampoline_kernelINS0_14default_configENS1_38merge_sort_block_merge_config_selectorIiNS0_10empty_typeEEEZZNS1_27merge_sort_block_merge_implIS3_N6thrust23THRUST_200600_302600_NS6detail15normal_iteratorINS9_10device_ptrIiEEEEPS5_m9comp_mod3IiEEE10hipError_tT0_T1_T2_jT3_P12ihipStream_tbPNSt15iterator_traitsISJ_E10value_typeEPNSP_ISK_E10value_typeEPSL_NS1_7vsmem_tEENKUlT_SJ_SK_SL_E_clISE_PiSF_SF_EESI_SY_SJ_SK_SL_EUlSY_E_NS1_11comp_targetILNS1_3genE9ELNS1_11target_archE1100ELNS1_3gpuE3ELNS1_3repE0EEENS1_48merge_mergepath_partition_config_static_selectorELNS0_4arch9wavefront6targetE0EEEvSK_
	.globl	_ZN7rocprim17ROCPRIM_400000_NS6detail17trampoline_kernelINS0_14default_configENS1_38merge_sort_block_merge_config_selectorIiNS0_10empty_typeEEEZZNS1_27merge_sort_block_merge_implIS3_N6thrust23THRUST_200600_302600_NS6detail15normal_iteratorINS9_10device_ptrIiEEEEPS5_m9comp_mod3IiEEE10hipError_tT0_T1_T2_jT3_P12ihipStream_tbPNSt15iterator_traitsISJ_E10value_typeEPNSP_ISK_E10value_typeEPSL_NS1_7vsmem_tEENKUlT_SJ_SK_SL_E_clISE_PiSF_SF_EESI_SY_SJ_SK_SL_EUlSY_E_NS1_11comp_targetILNS1_3genE9ELNS1_11target_archE1100ELNS1_3gpuE3ELNS1_3repE0EEENS1_48merge_mergepath_partition_config_static_selectorELNS0_4arch9wavefront6targetE0EEEvSK_
	.p2align	8
	.type	_ZN7rocprim17ROCPRIM_400000_NS6detail17trampoline_kernelINS0_14default_configENS1_38merge_sort_block_merge_config_selectorIiNS0_10empty_typeEEEZZNS1_27merge_sort_block_merge_implIS3_N6thrust23THRUST_200600_302600_NS6detail15normal_iteratorINS9_10device_ptrIiEEEEPS5_m9comp_mod3IiEEE10hipError_tT0_T1_T2_jT3_P12ihipStream_tbPNSt15iterator_traitsISJ_E10value_typeEPNSP_ISK_E10value_typeEPSL_NS1_7vsmem_tEENKUlT_SJ_SK_SL_E_clISE_PiSF_SF_EESI_SY_SJ_SK_SL_EUlSY_E_NS1_11comp_targetILNS1_3genE9ELNS1_11target_archE1100ELNS1_3gpuE3ELNS1_3repE0EEENS1_48merge_mergepath_partition_config_static_selectorELNS0_4arch9wavefront6targetE0EEEvSK_,@function
_ZN7rocprim17ROCPRIM_400000_NS6detail17trampoline_kernelINS0_14default_configENS1_38merge_sort_block_merge_config_selectorIiNS0_10empty_typeEEEZZNS1_27merge_sort_block_merge_implIS3_N6thrust23THRUST_200600_302600_NS6detail15normal_iteratorINS9_10device_ptrIiEEEEPS5_m9comp_mod3IiEEE10hipError_tT0_T1_T2_jT3_P12ihipStream_tbPNSt15iterator_traitsISJ_E10value_typeEPNSP_ISK_E10value_typeEPSL_NS1_7vsmem_tEENKUlT_SJ_SK_SL_E_clISE_PiSF_SF_EESI_SY_SJ_SK_SL_EUlSY_E_NS1_11comp_targetILNS1_3genE9ELNS1_11target_archE1100ELNS1_3gpuE3ELNS1_3repE0EEENS1_48merge_mergepath_partition_config_static_selectorELNS0_4arch9wavefront6targetE0EEEvSK_: ; @_ZN7rocprim17ROCPRIM_400000_NS6detail17trampoline_kernelINS0_14default_configENS1_38merge_sort_block_merge_config_selectorIiNS0_10empty_typeEEEZZNS1_27merge_sort_block_merge_implIS3_N6thrust23THRUST_200600_302600_NS6detail15normal_iteratorINS9_10device_ptrIiEEEEPS5_m9comp_mod3IiEEE10hipError_tT0_T1_T2_jT3_P12ihipStream_tbPNSt15iterator_traitsISJ_E10value_typeEPNSP_ISK_E10value_typeEPSL_NS1_7vsmem_tEENKUlT_SJ_SK_SL_E_clISE_PiSF_SF_EESI_SY_SJ_SK_SL_EUlSY_E_NS1_11comp_targetILNS1_3genE9ELNS1_11target_archE1100ELNS1_3gpuE3ELNS1_3repE0EEENS1_48merge_mergepath_partition_config_static_selectorELNS0_4arch9wavefront6targetE0EEEvSK_
; %bb.0:
	.section	.rodata,"a",@progbits
	.p2align	6, 0x0
	.amdhsa_kernel _ZN7rocprim17ROCPRIM_400000_NS6detail17trampoline_kernelINS0_14default_configENS1_38merge_sort_block_merge_config_selectorIiNS0_10empty_typeEEEZZNS1_27merge_sort_block_merge_implIS3_N6thrust23THRUST_200600_302600_NS6detail15normal_iteratorINS9_10device_ptrIiEEEEPS5_m9comp_mod3IiEEE10hipError_tT0_T1_T2_jT3_P12ihipStream_tbPNSt15iterator_traitsISJ_E10value_typeEPNSP_ISK_E10value_typeEPSL_NS1_7vsmem_tEENKUlT_SJ_SK_SL_E_clISE_PiSF_SF_EESI_SY_SJ_SK_SL_EUlSY_E_NS1_11comp_targetILNS1_3genE9ELNS1_11target_archE1100ELNS1_3gpuE3ELNS1_3repE0EEENS1_48merge_mergepath_partition_config_static_selectorELNS0_4arch9wavefront6targetE0EEEvSK_
		.amdhsa_group_segment_fixed_size 0
		.amdhsa_private_segment_fixed_size 0
		.amdhsa_kernarg_size 48
		.amdhsa_user_sgpr_count 6
		.amdhsa_user_sgpr_private_segment_buffer 1
		.amdhsa_user_sgpr_dispatch_ptr 0
		.amdhsa_user_sgpr_queue_ptr 0
		.amdhsa_user_sgpr_kernarg_segment_ptr 1
		.amdhsa_user_sgpr_dispatch_id 0
		.amdhsa_user_sgpr_flat_scratch_init 0
		.amdhsa_user_sgpr_private_segment_size 0
		.amdhsa_wavefront_size32 1
		.amdhsa_uses_dynamic_stack 0
		.amdhsa_system_sgpr_private_segment_wavefront_offset 0
		.amdhsa_system_sgpr_workgroup_id_x 1
		.amdhsa_system_sgpr_workgroup_id_y 0
		.amdhsa_system_sgpr_workgroup_id_z 0
		.amdhsa_system_sgpr_workgroup_info 0
		.amdhsa_system_vgpr_workitem_id 0
		.amdhsa_next_free_vgpr 1
		.amdhsa_next_free_sgpr 1
		.amdhsa_reserve_vcc 0
		.amdhsa_reserve_flat_scratch 0
		.amdhsa_float_round_mode_32 0
		.amdhsa_float_round_mode_16_64 0
		.amdhsa_float_denorm_mode_32 3
		.amdhsa_float_denorm_mode_16_64 3
		.amdhsa_dx10_clamp 1
		.amdhsa_ieee_mode 1
		.amdhsa_fp16_overflow 0
		.amdhsa_workgroup_processor_mode 1
		.amdhsa_memory_ordered 1
		.amdhsa_forward_progress 1
		.amdhsa_shared_vgpr_count 0
		.amdhsa_exception_fp_ieee_invalid_op 0
		.amdhsa_exception_fp_denorm_src 0
		.amdhsa_exception_fp_ieee_div_zero 0
		.amdhsa_exception_fp_ieee_overflow 0
		.amdhsa_exception_fp_ieee_underflow 0
		.amdhsa_exception_fp_ieee_inexact 0
		.amdhsa_exception_int_div_zero 0
	.end_amdhsa_kernel
	.section	.text._ZN7rocprim17ROCPRIM_400000_NS6detail17trampoline_kernelINS0_14default_configENS1_38merge_sort_block_merge_config_selectorIiNS0_10empty_typeEEEZZNS1_27merge_sort_block_merge_implIS3_N6thrust23THRUST_200600_302600_NS6detail15normal_iteratorINS9_10device_ptrIiEEEEPS5_m9comp_mod3IiEEE10hipError_tT0_T1_T2_jT3_P12ihipStream_tbPNSt15iterator_traitsISJ_E10value_typeEPNSP_ISK_E10value_typeEPSL_NS1_7vsmem_tEENKUlT_SJ_SK_SL_E_clISE_PiSF_SF_EESI_SY_SJ_SK_SL_EUlSY_E_NS1_11comp_targetILNS1_3genE9ELNS1_11target_archE1100ELNS1_3gpuE3ELNS1_3repE0EEENS1_48merge_mergepath_partition_config_static_selectorELNS0_4arch9wavefront6targetE0EEEvSK_,"axG",@progbits,_ZN7rocprim17ROCPRIM_400000_NS6detail17trampoline_kernelINS0_14default_configENS1_38merge_sort_block_merge_config_selectorIiNS0_10empty_typeEEEZZNS1_27merge_sort_block_merge_implIS3_N6thrust23THRUST_200600_302600_NS6detail15normal_iteratorINS9_10device_ptrIiEEEEPS5_m9comp_mod3IiEEE10hipError_tT0_T1_T2_jT3_P12ihipStream_tbPNSt15iterator_traitsISJ_E10value_typeEPNSP_ISK_E10value_typeEPSL_NS1_7vsmem_tEENKUlT_SJ_SK_SL_E_clISE_PiSF_SF_EESI_SY_SJ_SK_SL_EUlSY_E_NS1_11comp_targetILNS1_3genE9ELNS1_11target_archE1100ELNS1_3gpuE3ELNS1_3repE0EEENS1_48merge_mergepath_partition_config_static_selectorELNS0_4arch9wavefront6targetE0EEEvSK_,comdat
.Lfunc_end1018:
	.size	_ZN7rocprim17ROCPRIM_400000_NS6detail17trampoline_kernelINS0_14default_configENS1_38merge_sort_block_merge_config_selectorIiNS0_10empty_typeEEEZZNS1_27merge_sort_block_merge_implIS3_N6thrust23THRUST_200600_302600_NS6detail15normal_iteratorINS9_10device_ptrIiEEEEPS5_m9comp_mod3IiEEE10hipError_tT0_T1_T2_jT3_P12ihipStream_tbPNSt15iterator_traitsISJ_E10value_typeEPNSP_ISK_E10value_typeEPSL_NS1_7vsmem_tEENKUlT_SJ_SK_SL_E_clISE_PiSF_SF_EESI_SY_SJ_SK_SL_EUlSY_E_NS1_11comp_targetILNS1_3genE9ELNS1_11target_archE1100ELNS1_3gpuE3ELNS1_3repE0EEENS1_48merge_mergepath_partition_config_static_selectorELNS0_4arch9wavefront6targetE0EEEvSK_, .Lfunc_end1018-_ZN7rocprim17ROCPRIM_400000_NS6detail17trampoline_kernelINS0_14default_configENS1_38merge_sort_block_merge_config_selectorIiNS0_10empty_typeEEEZZNS1_27merge_sort_block_merge_implIS3_N6thrust23THRUST_200600_302600_NS6detail15normal_iteratorINS9_10device_ptrIiEEEEPS5_m9comp_mod3IiEEE10hipError_tT0_T1_T2_jT3_P12ihipStream_tbPNSt15iterator_traitsISJ_E10value_typeEPNSP_ISK_E10value_typeEPSL_NS1_7vsmem_tEENKUlT_SJ_SK_SL_E_clISE_PiSF_SF_EESI_SY_SJ_SK_SL_EUlSY_E_NS1_11comp_targetILNS1_3genE9ELNS1_11target_archE1100ELNS1_3gpuE3ELNS1_3repE0EEENS1_48merge_mergepath_partition_config_static_selectorELNS0_4arch9wavefront6targetE0EEEvSK_
                                        ; -- End function
	.set _ZN7rocprim17ROCPRIM_400000_NS6detail17trampoline_kernelINS0_14default_configENS1_38merge_sort_block_merge_config_selectorIiNS0_10empty_typeEEEZZNS1_27merge_sort_block_merge_implIS3_N6thrust23THRUST_200600_302600_NS6detail15normal_iteratorINS9_10device_ptrIiEEEEPS5_m9comp_mod3IiEEE10hipError_tT0_T1_T2_jT3_P12ihipStream_tbPNSt15iterator_traitsISJ_E10value_typeEPNSP_ISK_E10value_typeEPSL_NS1_7vsmem_tEENKUlT_SJ_SK_SL_E_clISE_PiSF_SF_EESI_SY_SJ_SK_SL_EUlSY_E_NS1_11comp_targetILNS1_3genE9ELNS1_11target_archE1100ELNS1_3gpuE3ELNS1_3repE0EEENS1_48merge_mergepath_partition_config_static_selectorELNS0_4arch9wavefront6targetE0EEEvSK_.num_vgpr, 0
	.set _ZN7rocprim17ROCPRIM_400000_NS6detail17trampoline_kernelINS0_14default_configENS1_38merge_sort_block_merge_config_selectorIiNS0_10empty_typeEEEZZNS1_27merge_sort_block_merge_implIS3_N6thrust23THRUST_200600_302600_NS6detail15normal_iteratorINS9_10device_ptrIiEEEEPS5_m9comp_mod3IiEEE10hipError_tT0_T1_T2_jT3_P12ihipStream_tbPNSt15iterator_traitsISJ_E10value_typeEPNSP_ISK_E10value_typeEPSL_NS1_7vsmem_tEENKUlT_SJ_SK_SL_E_clISE_PiSF_SF_EESI_SY_SJ_SK_SL_EUlSY_E_NS1_11comp_targetILNS1_3genE9ELNS1_11target_archE1100ELNS1_3gpuE3ELNS1_3repE0EEENS1_48merge_mergepath_partition_config_static_selectorELNS0_4arch9wavefront6targetE0EEEvSK_.num_agpr, 0
	.set _ZN7rocprim17ROCPRIM_400000_NS6detail17trampoline_kernelINS0_14default_configENS1_38merge_sort_block_merge_config_selectorIiNS0_10empty_typeEEEZZNS1_27merge_sort_block_merge_implIS3_N6thrust23THRUST_200600_302600_NS6detail15normal_iteratorINS9_10device_ptrIiEEEEPS5_m9comp_mod3IiEEE10hipError_tT0_T1_T2_jT3_P12ihipStream_tbPNSt15iterator_traitsISJ_E10value_typeEPNSP_ISK_E10value_typeEPSL_NS1_7vsmem_tEENKUlT_SJ_SK_SL_E_clISE_PiSF_SF_EESI_SY_SJ_SK_SL_EUlSY_E_NS1_11comp_targetILNS1_3genE9ELNS1_11target_archE1100ELNS1_3gpuE3ELNS1_3repE0EEENS1_48merge_mergepath_partition_config_static_selectorELNS0_4arch9wavefront6targetE0EEEvSK_.numbered_sgpr, 0
	.set _ZN7rocprim17ROCPRIM_400000_NS6detail17trampoline_kernelINS0_14default_configENS1_38merge_sort_block_merge_config_selectorIiNS0_10empty_typeEEEZZNS1_27merge_sort_block_merge_implIS3_N6thrust23THRUST_200600_302600_NS6detail15normal_iteratorINS9_10device_ptrIiEEEEPS5_m9comp_mod3IiEEE10hipError_tT0_T1_T2_jT3_P12ihipStream_tbPNSt15iterator_traitsISJ_E10value_typeEPNSP_ISK_E10value_typeEPSL_NS1_7vsmem_tEENKUlT_SJ_SK_SL_E_clISE_PiSF_SF_EESI_SY_SJ_SK_SL_EUlSY_E_NS1_11comp_targetILNS1_3genE9ELNS1_11target_archE1100ELNS1_3gpuE3ELNS1_3repE0EEENS1_48merge_mergepath_partition_config_static_selectorELNS0_4arch9wavefront6targetE0EEEvSK_.num_named_barrier, 0
	.set _ZN7rocprim17ROCPRIM_400000_NS6detail17trampoline_kernelINS0_14default_configENS1_38merge_sort_block_merge_config_selectorIiNS0_10empty_typeEEEZZNS1_27merge_sort_block_merge_implIS3_N6thrust23THRUST_200600_302600_NS6detail15normal_iteratorINS9_10device_ptrIiEEEEPS5_m9comp_mod3IiEEE10hipError_tT0_T1_T2_jT3_P12ihipStream_tbPNSt15iterator_traitsISJ_E10value_typeEPNSP_ISK_E10value_typeEPSL_NS1_7vsmem_tEENKUlT_SJ_SK_SL_E_clISE_PiSF_SF_EESI_SY_SJ_SK_SL_EUlSY_E_NS1_11comp_targetILNS1_3genE9ELNS1_11target_archE1100ELNS1_3gpuE3ELNS1_3repE0EEENS1_48merge_mergepath_partition_config_static_selectorELNS0_4arch9wavefront6targetE0EEEvSK_.private_seg_size, 0
	.set _ZN7rocprim17ROCPRIM_400000_NS6detail17trampoline_kernelINS0_14default_configENS1_38merge_sort_block_merge_config_selectorIiNS0_10empty_typeEEEZZNS1_27merge_sort_block_merge_implIS3_N6thrust23THRUST_200600_302600_NS6detail15normal_iteratorINS9_10device_ptrIiEEEEPS5_m9comp_mod3IiEEE10hipError_tT0_T1_T2_jT3_P12ihipStream_tbPNSt15iterator_traitsISJ_E10value_typeEPNSP_ISK_E10value_typeEPSL_NS1_7vsmem_tEENKUlT_SJ_SK_SL_E_clISE_PiSF_SF_EESI_SY_SJ_SK_SL_EUlSY_E_NS1_11comp_targetILNS1_3genE9ELNS1_11target_archE1100ELNS1_3gpuE3ELNS1_3repE0EEENS1_48merge_mergepath_partition_config_static_selectorELNS0_4arch9wavefront6targetE0EEEvSK_.uses_vcc, 0
	.set _ZN7rocprim17ROCPRIM_400000_NS6detail17trampoline_kernelINS0_14default_configENS1_38merge_sort_block_merge_config_selectorIiNS0_10empty_typeEEEZZNS1_27merge_sort_block_merge_implIS3_N6thrust23THRUST_200600_302600_NS6detail15normal_iteratorINS9_10device_ptrIiEEEEPS5_m9comp_mod3IiEEE10hipError_tT0_T1_T2_jT3_P12ihipStream_tbPNSt15iterator_traitsISJ_E10value_typeEPNSP_ISK_E10value_typeEPSL_NS1_7vsmem_tEENKUlT_SJ_SK_SL_E_clISE_PiSF_SF_EESI_SY_SJ_SK_SL_EUlSY_E_NS1_11comp_targetILNS1_3genE9ELNS1_11target_archE1100ELNS1_3gpuE3ELNS1_3repE0EEENS1_48merge_mergepath_partition_config_static_selectorELNS0_4arch9wavefront6targetE0EEEvSK_.uses_flat_scratch, 0
	.set _ZN7rocprim17ROCPRIM_400000_NS6detail17trampoline_kernelINS0_14default_configENS1_38merge_sort_block_merge_config_selectorIiNS0_10empty_typeEEEZZNS1_27merge_sort_block_merge_implIS3_N6thrust23THRUST_200600_302600_NS6detail15normal_iteratorINS9_10device_ptrIiEEEEPS5_m9comp_mod3IiEEE10hipError_tT0_T1_T2_jT3_P12ihipStream_tbPNSt15iterator_traitsISJ_E10value_typeEPNSP_ISK_E10value_typeEPSL_NS1_7vsmem_tEENKUlT_SJ_SK_SL_E_clISE_PiSF_SF_EESI_SY_SJ_SK_SL_EUlSY_E_NS1_11comp_targetILNS1_3genE9ELNS1_11target_archE1100ELNS1_3gpuE3ELNS1_3repE0EEENS1_48merge_mergepath_partition_config_static_selectorELNS0_4arch9wavefront6targetE0EEEvSK_.has_dyn_sized_stack, 0
	.set _ZN7rocprim17ROCPRIM_400000_NS6detail17trampoline_kernelINS0_14default_configENS1_38merge_sort_block_merge_config_selectorIiNS0_10empty_typeEEEZZNS1_27merge_sort_block_merge_implIS3_N6thrust23THRUST_200600_302600_NS6detail15normal_iteratorINS9_10device_ptrIiEEEEPS5_m9comp_mod3IiEEE10hipError_tT0_T1_T2_jT3_P12ihipStream_tbPNSt15iterator_traitsISJ_E10value_typeEPNSP_ISK_E10value_typeEPSL_NS1_7vsmem_tEENKUlT_SJ_SK_SL_E_clISE_PiSF_SF_EESI_SY_SJ_SK_SL_EUlSY_E_NS1_11comp_targetILNS1_3genE9ELNS1_11target_archE1100ELNS1_3gpuE3ELNS1_3repE0EEENS1_48merge_mergepath_partition_config_static_selectorELNS0_4arch9wavefront6targetE0EEEvSK_.has_recursion, 0
	.set _ZN7rocprim17ROCPRIM_400000_NS6detail17trampoline_kernelINS0_14default_configENS1_38merge_sort_block_merge_config_selectorIiNS0_10empty_typeEEEZZNS1_27merge_sort_block_merge_implIS3_N6thrust23THRUST_200600_302600_NS6detail15normal_iteratorINS9_10device_ptrIiEEEEPS5_m9comp_mod3IiEEE10hipError_tT0_T1_T2_jT3_P12ihipStream_tbPNSt15iterator_traitsISJ_E10value_typeEPNSP_ISK_E10value_typeEPSL_NS1_7vsmem_tEENKUlT_SJ_SK_SL_E_clISE_PiSF_SF_EESI_SY_SJ_SK_SL_EUlSY_E_NS1_11comp_targetILNS1_3genE9ELNS1_11target_archE1100ELNS1_3gpuE3ELNS1_3repE0EEENS1_48merge_mergepath_partition_config_static_selectorELNS0_4arch9wavefront6targetE0EEEvSK_.has_indirect_call, 0
	.section	.AMDGPU.csdata,"",@progbits
; Kernel info:
; codeLenInByte = 0
; TotalNumSgprs: 0
; NumVgprs: 0
; ScratchSize: 0
; MemoryBound: 0
; FloatMode: 240
; IeeeMode: 1
; LDSByteSize: 0 bytes/workgroup (compile time only)
; SGPRBlocks: 0
; VGPRBlocks: 0
; NumSGPRsForWavesPerEU: 1
; NumVGPRsForWavesPerEU: 1
; Occupancy: 16
; WaveLimiterHint : 0
; COMPUTE_PGM_RSRC2:SCRATCH_EN: 0
; COMPUTE_PGM_RSRC2:USER_SGPR: 6
; COMPUTE_PGM_RSRC2:TRAP_HANDLER: 0
; COMPUTE_PGM_RSRC2:TGID_X_EN: 1
; COMPUTE_PGM_RSRC2:TGID_Y_EN: 0
; COMPUTE_PGM_RSRC2:TGID_Z_EN: 0
; COMPUTE_PGM_RSRC2:TIDIG_COMP_CNT: 0
	.section	.text._ZN7rocprim17ROCPRIM_400000_NS6detail17trampoline_kernelINS0_14default_configENS1_38merge_sort_block_merge_config_selectorIiNS0_10empty_typeEEEZZNS1_27merge_sort_block_merge_implIS3_N6thrust23THRUST_200600_302600_NS6detail15normal_iteratorINS9_10device_ptrIiEEEEPS5_m9comp_mod3IiEEE10hipError_tT0_T1_T2_jT3_P12ihipStream_tbPNSt15iterator_traitsISJ_E10value_typeEPNSP_ISK_E10value_typeEPSL_NS1_7vsmem_tEENKUlT_SJ_SK_SL_E_clISE_PiSF_SF_EESI_SY_SJ_SK_SL_EUlSY_E_NS1_11comp_targetILNS1_3genE8ELNS1_11target_archE1030ELNS1_3gpuE2ELNS1_3repE0EEENS1_48merge_mergepath_partition_config_static_selectorELNS0_4arch9wavefront6targetE0EEEvSK_,"axG",@progbits,_ZN7rocprim17ROCPRIM_400000_NS6detail17trampoline_kernelINS0_14default_configENS1_38merge_sort_block_merge_config_selectorIiNS0_10empty_typeEEEZZNS1_27merge_sort_block_merge_implIS3_N6thrust23THRUST_200600_302600_NS6detail15normal_iteratorINS9_10device_ptrIiEEEEPS5_m9comp_mod3IiEEE10hipError_tT0_T1_T2_jT3_P12ihipStream_tbPNSt15iterator_traitsISJ_E10value_typeEPNSP_ISK_E10value_typeEPSL_NS1_7vsmem_tEENKUlT_SJ_SK_SL_E_clISE_PiSF_SF_EESI_SY_SJ_SK_SL_EUlSY_E_NS1_11comp_targetILNS1_3genE8ELNS1_11target_archE1030ELNS1_3gpuE2ELNS1_3repE0EEENS1_48merge_mergepath_partition_config_static_selectorELNS0_4arch9wavefront6targetE0EEEvSK_,comdat
	.protected	_ZN7rocprim17ROCPRIM_400000_NS6detail17trampoline_kernelINS0_14default_configENS1_38merge_sort_block_merge_config_selectorIiNS0_10empty_typeEEEZZNS1_27merge_sort_block_merge_implIS3_N6thrust23THRUST_200600_302600_NS6detail15normal_iteratorINS9_10device_ptrIiEEEEPS5_m9comp_mod3IiEEE10hipError_tT0_T1_T2_jT3_P12ihipStream_tbPNSt15iterator_traitsISJ_E10value_typeEPNSP_ISK_E10value_typeEPSL_NS1_7vsmem_tEENKUlT_SJ_SK_SL_E_clISE_PiSF_SF_EESI_SY_SJ_SK_SL_EUlSY_E_NS1_11comp_targetILNS1_3genE8ELNS1_11target_archE1030ELNS1_3gpuE2ELNS1_3repE0EEENS1_48merge_mergepath_partition_config_static_selectorELNS0_4arch9wavefront6targetE0EEEvSK_ ; -- Begin function _ZN7rocprim17ROCPRIM_400000_NS6detail17trampoline_kernelINS0_14default_configENS1_38merge_sort_block_merge_config_selectorIiNS0_10empty_typeEEEZZNS1_27merge_sort_block_merge_implIS3_N6thrust23THRUST_200600_302600_NS6detail15normal_iteratorINS9_10device_ptrIiEEEEPS5_m9comp_mod3IiEEE10hipError_tT0_T1_T2_jT3_P12ihipStream_tbPNSt15iterator_traitsISJ_E10value_typeEPNSP_ISK_E10value_typeEPSL_NS1_7vsmem_tEENKUlT_SJ_SK_SL_E_clISE_PiSF_SF_EESI_SY_SJ_SK_SL_EUlSY_E_NS1_11comp_targetILNS1_3genE8ELNS1_11target_archE1030ELNS1_3gpuE2ELNS1_3repE0EEENS1_48merge_mergepath_partition_config_static_selectorELNS0_4arch9wavefront6targetE0EEEvSK_
	.globl	_ZN7rocprim17ROCPRIM_400000_NS6detail17trampoline_kernelINS0_14default_configENS1_38merge_sort_block_merge_config_selectorIiNS0_10empty_typeEEEZZNS1_27merge_sort_block_merge_implIS3_N6thrust23THRUST_200600_302600_NS6detail15normal_iteratorINS9_10device_ptrIiEEEEPS5_m9comp_mod3IiEEE10hipError_tT0_T1_T2_jT3_P12ihipStream_tbPNSt15iterator_traitsISJ_E10value_typeEPNSP_ISK_E10value_typeEPSL_NS1_7vsmem_tEENKUlT_SJ_SK_SL_E_clISE_PiSF_SF_EESI_SY_SJ_SK_SL_EUlSY_E_NS1_11comp_targetILNS1_3genE8ELNS1_11target_archE1030ELNS1_3gpuE2ELNS1_3repE0EEENS1_48merge_mergepath_partition_config_static_selectorELNS0_4arch9wavefront6targetE0EEEvSK_
	.p2align	8
	.type	_ZN7rocprim17ROCPRIM_400000_NS6detail17trampoline_kernelINS0_14default_configENS1_38merge_sort_block_merge_config_selectorIiNS0_10empty_typeEEEZZNS1_27merge_sort_block_merge_implIS3_N6thrust23THRUST_200600_302600_NS6detail15normal_iteratorINS9_10device_ptrIiEEEEPS5_m9comp_mod3IiEEE10hipError_tT0_T1_T2_jT3_P12ihipStream_tbPNSt15iterator_traitsISJ_E10value_typeEPNSP_ISK_E10value_typeEPSL_NS1_7vsmem_tEENKUlT_SJ_SK_SL_E_clISE_PiSF_SF_EESI_SY_SJ_SK_SL_EUlSY_E_NS1_11comp_targetILNS1_3genE8ELNS1_11target_archE1030ELNS1_3gpuE2ELNS1_3repE0EEENS1_48merge_mergepath_partition_config_static_selectorELNS0_4arch9wavefront6targetE0EEEvSK_,@function
_ZN7rocprim17ROCPRIM_400000_NS6detail17trampoline_kernelINS0_14default_configENS1_38merge_sort_block_merge_config_selectorIiNS0_10empty_typeEEEZZNS1_27merge_sort_block_merge_implIS3_N6thrust23THRUST_200600_302600_NS6detail15normal_iteratorINS9_10device_ptrIiEEEEPS5_m9comp_mod3IiEEE10hipError_tT0_T1_T2_jT3_P12ihipStream_tbPNSt15iterator_traitsISJ_E10value_typeEPNSP_ISK_E10value_typeEPSL_NS1_7vsmem_tEENKUlT_SJ_SK_SL_E_clISE_PiSF_SF_EESI_SY_SJ_SK_SL_EUlSY_E_NS1_11comp_targetILNS1_3genE8ELNS1_11target_archE1030ELNS1_3gpuE2ELNS1_3repE0EEENS1_48merge_mergepath_partition_config_static_selectorELNS0_4arch9wavefront6targetE0EEEvSK_: ; @_ZN7rocprim17ROCPRIM_400000_NS6detail17trampoline_kernelINS0_14default_configENS1_38merge_sort_block_merge_config_selectorIiNS0_10empty_typeEEEZZNS1_27merge_sort_block_merge_implIS3_N6thrust23THRUST_200600_302600_NS6detail15normal_iteratorINS9_10device_ptrIiEEEEPS5_m9comp_mod3IiEEE10hipError_tT0_T1_T2_jT3_P12ihipStream_tbPNSt15iterator_traitsISJ_E10value_typeEPNSP_ISK_E10value_typeEPSL_NS1_7vsmem_tEENKUlT_SJ_SK_SL_E_clISE_PiSF_SF_EESI_SY_SJ_SK_SL_EUlSY_E_NS1_11comp_targetILNS1_3genE8ELNS1_11target_archE1030ELNS1_3gpuE2ELNS1_3repE0EEENS1_48merge_mergepath_partition_config_static_selectorELNS0_4arch9wavefront6targetE0EEEvSK_
; %bb.0:
	s_load_dword s0, s[4:5], 0x0
	v_lshl_or_b32 v0, s6, 7, v0
	s_waitcnt lgkmcnt(0)
	v_cmp_gt_u32_e32 vcc_lo, s0, v0
	s_and_saveexec_b32 s0, vcc_lo
	s_cbranch_execz .LBB1019_6
; %bb.1:
	s_clause 0x1
	s_load_dwordx4 s[0:3], s[4:5], 0x8
	s_load_dwordx4 s[8:11], s[4:5], 0x20
	v_mov_b32_e32 v2, 0
	v_mov_b32_e32 v11, v2
	s_waitcnt lgkmcnt(0)
	s_lshr_b64 s[6:7], s[0:1], 9
	s_and_b32 s6, s6, -2
	s_sub_i32 s7, 0, s6
	s_add_i32 s6, s6, -1
	v_and_b32_e32 v1, s7, v0
	v_and_b32_e32 v10, s6, v0
	v_lshlrev_b64 v[4:5], 10, v[1:2]
	v_add_co_u32 v6, vcc_lo, v4, s0
	v_add_co_ci_u32_e64 v7, null, s1, v5, vcc_lo
	v_cmp_lt_u64_e32 vcc_lo, s[2:3], v[6:7]
	v_cndmask_b32_e64 v8, v6, s2, vcc_lo
	v_cndmask_b32_e64 v9, v7, s3, vcc_lo
	v_add_co_u32 v6, vcc_lo, v8, s0
	v_add_co_ci_u32_e64 v7, null, s1, v9, vcc_lo
	v_cmp_lt_u64_e32 vcc_lo, s[2:3], v[4:5]
	s_mov_b32 s1, 0
	v_cmp_lt_u64_e64 s0, s[2:3], v[6:7]
	v_cndmask_b32_e64 v2, v4, s2, vcc_lo
	v_cndmask_b32_e64 v3, v5, s3, vcc_lo
	v_lshlrev_b64 v[4:5], 10, v[10:11]
	v_cndmask_b32_e64 v12, v6, s2, s0
	v_cndmask_b32_e64 v1, v7, s3, s0
	v_sub_co_u32 v6, vcc_lo, v12, v2
	v_sub_co_ci_u32_e64 v7, null, v1, v3, vcc_lo
	v_cmp_lt_u64_e32 vcc_lo, v[6:7], v[4:5]
	v_cndmask_b32_e32 v11, v5, v7, vcc_lo
	v_cndmask_b32_e32 v10, v4, v6, vcc_lo
	v_sub_co_u32 v4, vcc_lo, v8, v12
	v_sub_co_ci_u32_e64 v1, null, v9, v1, vcc_lo
	v_add_co_u32 v4, vcc_lo, v10, v4
	v_add_co_ci_u32_e64 v5, null, v11, v1, vcc_lo
	v_sub_co_u32 v6, vcc_lo, v8, v2
	v_sub_co_ci_u32_e64 v7, null, v9, v3, vcc_lo
	v_cmp_gt_u64_e32 vcc_lo, v[4:5], v[10:11]
	v_cmp_lt_u64_e64 s0, v[10:11], v[6:7]
	v_cndmask_b32_e64 v5, v5, 0, vcc_lo
	v_cndmask_b32_e64 v4, v4, 0, vcc_lo
	v_cndmask_b32_e64 v7, v7, v11, s0
	v_cndmask_b32_e64 v6, v6, v10, s0
	s_mov_b32 s0, exec_lo
	v_cmpx_lt_u64_e64 v[4:5], v[6:7]
	s_cbranch_execz .LBB1019_5
; %bb.2:
	s_load_dwordx2 s[2:3], s[4:5], 0x18
	v_lshlrev_b64 v[8:9], 2, v[8:9]
	v_lshlrev_b64 v[12:13], 2, v[2:3]
	;; [unrolled: 1-line block ×3, first 2 shown]
	s_waitcnt lgkmcnt(0)
	v_add_co_u32 v14, vcc_lo, s2, v8
	v_add_co_ci_u32_e64 v15, null, s3, v9, vcc_lo
	v_add_co_u32 v1, vcc_lo, s2, v12
	v_add_co_ci_u32_e64 v8, null, s3, v13, vcc_lo
	;; [unrolled: 2-line block ×3, first 2 shown]
.LBB1019_3:                             ; =>This Inner Loop Header: Depth=1
	v_add_co_u32 v11, vcc_lo, v6, v4
	v_add_co_ci_u32_e64 v12, null, v7, v5, vcc_lo
	v_lshrrev_b64 v[11:12], 1, v[11:12]
	v_lshlrev_b64 v[13:14], 2, v[11:12]
	v_xor_b32_e32 v15, -4, v13
	v_xor_b32_e32 v16, -1, v14
	v_add_co_u32 v13, vcc_lo, v1, v13
	v_add_co_ci_u32_e64 v14, null, v8, v14, vcc_lo
	v_add_co_u32 v15, vcc_lo, v9, v15
	v_add_co_ci_u32_e64 v16, null, v10, v16, vcc_lo
	flat_load_dword v13, v[13:14]
	flat_load_dword v15, v[15:16]
	s_waitcnt vmcnt(1) lgkmcnt(1)
	v_ashrrev_i32_e32 v14, 31, v13
	s_waitcnt vmcnt(0) lgkmcnt(0)
	v_ashrrev_i32_e32 v16, 31, v15
	v_lshlrev_b64 v[13:14], 2, v[13:14]
	v_lshlrev_b64 v[15:16], 2, v[15:16]
	v_add_co_u32 v13, vcc_lo, s8, v13
	v_add_co_ci_u32_e64 v14, null, s9, v14, vcc_lo
	v_add_co_u32 v15, vcc_lo, s8, v15
	v_add_co_ci_u32_e64 v16, null, s9, v16, vcc_lo
	s_clause 0x1
	global_load_dword v15, v[15:16], off
	global_load_dword v13, v[13:14], off
	v_add_co_u32 v14, vcc_lo, v11, 1
	v_add_co_ci_u32_e64 v16, null, 0, v12, vcc_lo
	s_waitcnt vmcnt(0)
	v_cmp_lt_i32_e32 vcc_lo, v15, v13
	v_cndmask_b32_e32 v7, v7, v12, vcc_lo
	v_cndmask_b32_e32 v6, v6, v11, vcc_lo
	v_cndmask_b32_e32 v5, v16, v5, vcc_lo
	v_cndmask_b32_e32 v4, v14, v4, vcc_lo
	v_cmp_ge_u64_e32 vcc_lo, v[4:5], v[6:7]
	s_or_b32 s1, vcc_lo, s1
	s_andn2_b32 exec_lo, exec_lo, s1
	s_cbranch_execnz .LBB1019_3
; %bb.4:
	s_or_b32 exec_lo, exec_lo, s1
.LBB1019_5:
	s_or_b32 exec_lo, exec_lo, s0
	v_mov_b32_e32 v1, 0
	v_add_co_u32 v2, vcc_lo, v4, v2
	v_add_co_ci_u32_e64 v3, null, v5, v3, vcc_lo
	v_lshlrev_b64 v[0:1], 3, v[0:1]
	v_add_co_u32 v0, vcc_lo, s10, v0
	v_add_co_ci_u32_e64 v1, null, s11, v1, vcc_lo
	global_store_dwordx2 v[0:1], v[2:3], off
.LBB1019_6:
	s_endpgm
	.section	.rodata,"a",@progbits
	.p2align	6, 0x0
	.amdhsa_kernel _ZN7rocprim17ROCPRIM_400000_NS6detail17trampoline_kernelINS0_14default_configENS1_38merge_sort_block_merge_config_selectorIiNS0_10empty_typeEEEZZNS1_27merge_sort_block_merge_implIS3_N6thrust23THRUST_200600_302600_NS6detail15normal_iteratorINS9_10device_ptrIiEEEEPS5_m9comp_mod3IiEEE10hipError_tT0_T1_T2_jT3_P12ihipStream_tbPNSt15iterator_traitsISJ_E10value_typeEPNSP_ISK_E10value_typeEPSL_NS1_7vsmem_tEENKUlT_SJ_SK_SL_E_clISE_PiSF_SF_EESI_SY_SJ_SK_SL_EUlSY_E_NS1_11comp_targetILNS1_3genE8ELNS1_11target_archE1030ELNS1_3gpuE2ELNS1_3repE0EEENS1_48merge_mergepath_partition_config_static_selectorELNS0_4arch9wavefront6targetE0EEEvSK_
		.amdhsa_group_segment_fixed_size 0
		.amdhsa_private_segment_fixed_size 0
		.amdhsa_kernarg_size 48
		.amdhsa_user_sgpr_count 6
		.amdhsa_user_sgpr_private_segment_buffer 1
		.amdhsa_user_sgpr_dispatch_ptr 0
		.amdhsa_user_sgpr_queue_ptr 0
		.amdhsa_user_sgpr_kernarg_segment_ptr 1
		.amdhsa_user_sgpr_dispatch_id 0
		.amdhsa_user_sgpr_flat_scratch_init 0
		.amdhsa_user_sgpr_private_segment_size 0
		.amdhsa_wavefront_size32 1
		.amdhsa_uses_dynamic_stack 0
		.amdhsa_system_sgpr_private_segment_wavefront_offset 0
		.amdhsa_system_sgpr_workgroup_id_x 1
		.amdhsa_system_sgpr_workgroup_id_y 0
		.amdhsa_system_sgpr_workgroup_id_z 0
		.amdhsa_system_sgpr_workgroup_info 0
		.amdhsa_system_vgpr_workitem_id 0
		.amdhsa_next_free_vgpr 17
		.amdhsa_next_free_sgpr 12
		.amdhsa_reserve_vcc 1
		.amdhsa_reserve_flat_scratch 0
		.amdhsa_float_round_mode_32 0
		.amdhsa_float_round_mode_16_64 0
		.amdhsa_float_denorm_mode_32 3
		.amdhsa_float_denorm_mode_16_64 3
		.amdhsa_dx10_clamp 1
		.amdhsa_ieee_mode 1
		.amdhsa_fp16_overflow 0
		.amdhsa_workgroup_processor_mode 1
		.amdhsa_memory_ordered 1
		.amdhsa_forward_progress 1
		.amdhsa_shared_vgpr_count 0
		.amdhsa_exception_fp_ieee_invalid_op 0
		.amdhsa_exception_fp_denorm_src 0
		.amdhsa_exception_fp_ieee_div_zero 0
		.amdhsa_exception_fp_ieee_overflow 0
		.amdhsa_exception_fp_ieee_underflow 0
		.amdhsa_exception_fp_ieee_inexact 0
		.amdhsa_exception_int_div_zero 0
	.end_amdhsa_kernel
	.section	.text._ZN7rocprim17ROCPRIM_400000_NS6detail17trampoline_kernelINS0_14default_configENS1_38merge_sort_block_merge_config_selectorIiNS0_10empty_typeEEEZZNS1_27merge_sort_block_merge_implIS3_N6thrust23THRUST_200600_302600_NS6detail15normal_iteratorINS9_10device_ptrIiEEEEPS5_m9comp_mod3IiEEE10hipError_tT0_T1_T2_jT3_P12ihipStream_tbPNSt15iterator_traitsISJ_E10value_typeEPNSP_ISK_E10value_typeEPSL_NS1_7vsmem_tEENKUlT_SJ_SK_SL_E_clISE_PiSF_SF_EESI_SY_SJ_SK_SL_EUlSY_E_NS1_11comp_targetILNS1_3genE8ELNS1_11target_archE1030ELNS1_3gpuE2ELNS1_3repE0EEENS1_48merge_mergepath_partition_config_static_selectorELNS0_4arch9wavefront6targetE0EEEvSK_,"axG",@progbits,_ZN7rocprim17ROCPRIM_400000_NS6detail17trampoline_kernelINS0_14default_configENS1_38merge_sort_block_merge_config_selectorIiNS0_10empty_typeEEEZZNS1_27merge_sort_block_merge_implIS3_N6thrust23THRUST_200600_302600_NS6detail15normal_iteratorINS9_10device_ptrIiEEEEPS5_m9comp_mod3IiEEE10hipError_tT0_T1_T2_jT3_P12ihipStream_tbPNSt15iterator_traitsISJ_E10value_typeEPNSP_ISK_E10value_typeEPSL_NS1_7vsmem_tEENKUlT_SJ_SK_SL_E_clISE_PiSF_SF_EESI_SY_SJ_SK_SL_EUlSY_E_NS1_11comp_targetILNS1_3genE8ELNS1_11target_archE1030ELNS1_3gpuE2ELNS1_3repE0EEENS1_48merge_mergepath_partition_config_static_selectorELNS0_4arch9wavefront6targetE0EEEvSK_,comdat
.Lfunc_end1019:
	.size	_ZN7rocprim17ROCPRIM_400000_NS6detail17trampoline_kernelINS0_14default_configENS1_38merge_sort_block_merge_config_selectorIiNS0_10empty_typeEEEZZNS1_27merge_sort_block_merge_implIS3_N6thrust23THRUST_200600_302600_NS6detail15normal_iteratorINS9_10device_ptrIiEEEEPS5_m9comp_mod3IiEEE10hipError_tT0_T1_T2_jT3_P12ihipStream_tbPNSt15iterator_traitsISJ_E10value_typeEPNSP_ISK_E10value_typeEPSL_NS1_7vsmem_tEENKUlT_SJ_SK_SL_E_clISE_PiSF_SF_EESI_SY_SJ_SK_SL_EUlSY_E_NS1_11comp_targetILNS1_3genE8ELNS1_11target_archE1030ELNS1_3gpuE2ELNS1_3repE0EEENS1_48merge_mergepath_partition_config_static_selectorELNS0_4arch9wavefront6targetE0EEEvSK_, .Lfunc_end1019-_ZN7rocprim17ROCPRIM_400000_NS6detail17trampoline_kernelINS0_14default_configENS1_38merge_sort_block_merge_config_selectorIiNS0_10empty_typeEEEZZNS1_27merge_sort_block_merge_implIS3_N6thrust23THRUST_200600_302600_NS6detail15normal_iteratorINS9_10device_ptrIiEEEEPS5_m9comp_mod3IiEEE10hipError_tT0_T1_T2_jT3_P12ihipStream_tbPNSt15iterator_traitsISJ_E10value_typeEPNSP_ISK_E10value_typeEPSL_NS1_7vsmem_tEENKUlT_SJ_SK_SL_E_clISE_PiSF_SF_EESI_SY_SJ_SK_SL_EUlSY_E_NS1_11comp_targetILNS1_3genE8ELNS1_11target_archE1030ELNS1_3gpuE2ELNS1_3repE0EEENS1_48merge_mergepath_partition_config_static_selectorELNS0_4arch9wavefront6targetE0EEEvSK_
                                        ; -- End function
	.set _ZN7rocprim17ROCPRIM_400000_NS6detail17trampoline_kernelINS0_14default_configENS1_38merge_sort_block_merge_config_selectorIiNS0_10empty_typeEEEZZNS1_27merge_sort_block_merge_implIS3_N6thrust23THRUST_200600_302600_NS6detail15normal_iteratorINS9_10device_ptrIiEEEEPS5_m9comp_mod3IiEEE10hipError_tT0_T1_T2_jT3_P12ihipStream_tbPNSt15iterator_traitsISJ_E10value_typeEPNSP_ISK_E10value_typeEPSL_NS1_7vsmem_tEENKUlT_SJ_SK_SL_E_clISE_PiSF_SF_EESI_SY_SJ_SK_SL_EUlSY_E_NS1_11comp_targetILNS1_3genE8ELNS1_11target_archE1030ELNS1_3gpuE2ELNS1_3repE0EEENS1_48merge_mergepath_partition_config_static_selectorELNS0_4arch9wavefront6targetE0EEEvSK_.num_vgpr, 17
	.set _ZN7rocprim17ROCPRIM_400000_NS6detail17trampoline_kernelINS0_14default_configENS1_38merge_sort_block_merge_config_selectorIiNS0_10empty_typeEEEZZNS1_27merge_sort_block_merge_implIS3_N6thrust23THRUST_200600_302600_NS6detail15normal_iteratorINS9_10device_ptrIiEEEEPS5_m9comp_mod3IiEEE10hipError_tT0_T1_T2_jT3_P12ihipStream_tbPNSt15iterator_traitsISJ_E10value_typeEPNSP_ISK_E10value_typeEPSL_NS1_7vsmem_tEENKUlT_SJ_SK_SL_E_clISE_PiSF_SF_EESI_SY_SJ_SK_SL_EUlSY_E_NS1_11comp_targetILNS1_3genE8ELNS1_11target_archE1030ELNS1_3gpuE2ELNS1_3repE0EEENS1_48merge_mergepath_partition_config_static_selectorELNS0_4arch9wavefront6targetE0EEEvSK_.num_agpr, 0
	.set _ZN7rocprim17ROCPRIM_400000_NS6detail17trampoline_kernelINS0_14default_configENS1_38merge_sort_block_merge_config_selectorIiNS0_10empty_typeEEEZZNS1_27merge_sort_block_merge_implIS3_N6thrust23THRUST_200600_302600_NS6detail15normal_iteratorINS9_10device_ptrIiEEEEPS5_m9comp_mod3IiEEE10hipError_tT0_T1_T2_jT3_P12ihipStream_tbPNSt15iterator_traitsISJ_E10value_typeEPNSP_ISK_E10value_typeEPSL_NS1_7vsmem_tEENKUlT_SJ_SK_SL_E_clISE_PiSF_SF_EESI_SY_SJ_SK_SL_EUlSY_E_NS1_11comp_targetILNS1_3genE8ELNS1_11target_archE1030ELNS1_3gpuE2ELNS1_3repE0EEENS1_48merge_mergepath_partition_config_static_selectorELNS0_4arch9wavefront6targetE0EEEvSK_.numbered_sgpr, 12
	.set _ZN7rocprim17ROCPRIM_400000_NS6detail17trampoline_kernelINS0_14default_configENS1_38merge_sort_block_merge_config_selectorIiNS0_10empty_typeEEEZZNS1_27merge_sort_block_merge_implIS3_N6thrust23THRUST_200600_302600_NS6detail15normal_iteratorINS9_10device_ptrIiEEEEPS5_m9comp_mod3IiEEE10hipError_tT0_T1_T2_jT3_P12ihipStream_tbPNSt15iterator_traitsISJ_E10value_typeEPNSP_ISK_E10value_typeEPSL_NS1_7vsmem_tEENKUlT_SJ_SK_SL_E_clISE_PiSF_SF_EESI_SY_SJ_SK_SL_EUlSY_E_NS1_11comp_targetILNS1_3genE8ELNS1_11target_archE1030ELNS1_3gpuE2ELNS1_3repE0EEENS1_48merge_mergepath_partition_config_static_selectorELNS0_4arch9wavefront6targetE0EEEvSK_.num_named_barrier, 0
	.set _ZN7rocprim17ROCPRIM_400000_NS6detail17trampoline_kernelINS0_14default_configENS1_38merge_sort_block_merge_config_selectorIiNS0_10empty_typeEEEZZNS1_27merge_sort_block_merge_implIS3_N6thrust23THRUST_200600_302600_NS6detail15normal_iteratorINS9_10device_ptrIiEEEEPS5_m9comp_mod3IiEEE10hipError_tT0_T1_T2_jT3_P12ihipStream_tbPNSt15iterator_traitsISJ_E10value_typeEPNSP_ISK_E10value_typeEPSL_NS1_7vsmem_tEENKUlT_SJ_SK_SL_E_clISE_PiSF_SF_EESI_SY_SJ_SK_SL_EUlSY_E_NS1_11comp_targetILNS1_3genE8ELNS1_11target_archE1030ELNS1_3gpuE2ELNS1_3repE0EEENS1_48merge_mergepath_partition_config_static_selectorELNS0_4arch9wavefront6targetE0EEEvSK_.private_seg_size, 0
	.set _ZN7rocprim17ROCPRIM_400000_NS6detail17trampoline_kernelINS0_14default_configENS1_38merge_sort_block_merge_config_selectorIiNS0_10empty_typeEEEZZNS1_27merge_sort_block_merge_implIS3_N6thrust23THRUST_200600_302600_NS6detail15normal_iteratorINS9_10device_ptrIiEEEEPS5_m9comp_mod3IiEEE10hipError_tT0_T1_T2_jT3_P12ihipStream_tbPNSt15iterator_traitsISJ_E10value_typeEPNSP_ISK_E10value_typeEPSL_NS1_7vsmem_tEENKUlT_SJ_SK_SL_E_clISE_PiSF_SF_EESI_SY_SJ_SK_SL_EUlSY_E_NS1_11comp_targetILNS1_3genE8ELNS1_11target_archE1030ELNS1_3gpuE2ELNS1_3repE0EEENS1_48merge_mergepath_partition_config_static_selectorELNS0_4arch9wavefront6targetE0EEEvSK_.uses_vcc, 1
	.set _ZN7rocprim17ROCPRIM_400000_NS6detail17trampoline_kernelINS0_14default_configENS1_38merge_sort_block_merge_config_selectorIiNS0_10empty_typeEEEZZNS1_27merge_sort_block_merge_implIS3_N6thrust23THRUST_200600_302600_NS6detail15normal_iteratorINS9_10device_ptrIiEEEEPS5_m9comp_mod3IiEEE10hipError_tT0_T1_T2_jT3_P12ihipStream_tbPNSt15iterator_traitsISJ_E10value_typeEPNSP_ISK_E10value_typeEPSL_NS1_7vsmem_tEENKUlT_SJ_SK_SL_E_clISE_PiSF_SF_EESI_SY_SJ_SK_SL_EUlSY_E_NS1_11comp_targetILNS1_3genE8ELNS1_11target_archE1030ELNS1_3gpuE2ELNS1_3repE0EEENS1_48merge_mergepath_partition_config_static_selectorELNS0_4arch9wavefront6targetE0EEEvSK_.uses_flat_scratch, 0
	.set _ZN7rocprim17ROCPRIM_400000_NS6detail17trampoline_kernelINS0_14default_configENS1_38merge_sort_block_merge_config_selectorIiNS0_10empty_typeEEEZZNS1_27merge_sort_block_merge_implIS3_N6thrust23THRUST_200600_302600_NS6detail15normal_iteratorINS9_10device_ptrIiEEEEPS5_m9comp_mod3IiEEE10hipError_tT0_T1_T2_jT3_P12ihipStream_tbPNSt15iterator_traitsISJ_E10value_typeEPNSP_ISK_E10value_typeEPSL_NS1_7vsmem_tEENKUlT_SJ_SK_SL_E_clISE_PiSF_SF_EESI_SY_SJ_SK_SL_EUlSY_E_NS1_11comp_targetILNS1_3genE8ELNS1_11target_archE1030ELNS1_3gpuE2ELNS1_3repE0EEENS1_48merge_mergepath_partition_config_static_selectorELNS0_4arch9wavefront6targetE0EEEvSK_.has_dyn_sized_stack, 0
	.set _ZN7rocprim17ROCPRIM_400000_NS6detail17trampoline_kernelINS0_14default_configENS1_38merge_sort_block_merge_config_selectorIiNS0_10empty_typeEEEZZNS1_27merge_sort_block_merge_implIS3_N6thrust23THRUST_200600_302600_NS6detail15normal_iteratorINS9_10device_ptrIiEEEEPS5_m9comp_mod3IiEEE10hipError_tT0_T1_T2_jT3_P12ihipStream_tbPNSt15iterator_traitsISJ_E10value_typeEPNSP_ISK_E10value_typeEPSL_NS1_7vsmem_tEENKUlT_SJ_SK_SL_E_clISE_PiSF_SF_EESI_SY_SJ_SK_SL_EUlSY_E_NS1_11comp_targetILNS1_3genE8ELNS1_11target_archE1030ELNS1_3gpuE2ELNS1_3repE0EEENS1_48merge_mergepath_partition_config_static_selectorELNS0_4arch9wavefront6targetE0EEEvSK_.has_recursion, 0
	.set _ZN7rocprim17ROCPRIM_400000_NS6detail17trampoline_kernelINS0_14default_configENS1_38merge_sort_block_merge_config_selectorIiNS0_10empty_typeEEEZZNS1_27merge_sort_block_merge_implIS3_N6thrust23THRUST_200600_302600_NS6detail15normal_iteratorINS9_10device_ptrIiEEEEPS5_m9comp_mod3IiEEE10hipError_tT0_T1_T2_jT3_P12ihipStream_tbPNSt15iterator_traitsISJ_E10value_typeEPNSP_ISK_E10value_typeEPSL_NS1_7vsmem_tEENKUlT_SJ_SK_SL_E_clISE_PiSF_SF_EESI_SY_SJ_SK_SL_EUlSY_E_NS1_11comp_targetILNS1_3genE8ELNS1_11target_archE1030ELNS1_3gpuE2ELNS1_3repE0EEENS1_48merge_mergepath_partition_config_static_selectorELNS0_4arch9wavefront6targetE0EEEvSK_.has_indirect_call, 0
	.section	.AMDGPU.csdata,"",@progbits
; Kernel info:
; codeLenInByte = 716
; TotalNumSgprs: 14
; NumVgprs: 17
; ScratchSize: 0
; MemoryBound: 0
; FloatMode: 240
; IeeeMode: 1
; LDSByteSize: 0 bytes/workgroup (compile time only)
; SGPRBlocks: 0
; VGPRBlocks: 2
; NumSGPRsForWavesPerEU: 14
; NumVGPRsForWavesPerEU: 17
; Occupancy: 16
; WaveLimiterHint : 1
; COMPUTE_PGM_RSRC2:SCRATCH_EN: 0
; COMPUTE_PGM_RSRC2:USER_SGPR: 6
; COMPUTE_PGM_RSRC2:TRAP_HANDLER: 0
; COMPUTE_PGM_RSRC2:TGID_X_EN: 1
; COMPUTE_PGM_RSRC2:TGID_Y_EN: 0
; COMPUTE_PGM_RSRC2:TGID_Z_EN: 0
; COMPUTE_PGM_RSRC2:TIDIG_COMP_CNT: 0
	.section	.text._ZN7rocprim17ROCPRIM_400000_NS6detail17trampoline_kernelINS0_14default_configENS1_38merge_sort_block_merge_config_selectorIiNS0_10empty_typeEEEZZNS1_27merge_sort_block_merge_implIS3_N6thrust23THRUST_200600_302600_NS6detail15normal_iteratorINS9_10device_ptrIiEEEEPS5_m9comp_mod3IiEEE10hipError_tT0_T1_T2_jT3_P12ihipStream_tbPNSt15iterator_traitsISJ_E10value_typeEPNSP_ISK_E10value_typeEPSL_NS1_7vsmem_tEENKUlT_SJ_SK_SL_E_clISE_PiSF_SF_EESI_SY_SJ_SK_SL_EUlSY_E0_NS1_11comp_targetILNS1_3genE0ELNS1_11target_archE4294967295ELNS1_3gpuE0ELNS1_3repE0EEENS1_38merge_mergepath_config_static_selectorELNS0_4arch9wavefront6targetE0EEEvSK_,"axG",@progbits,_ZN7rocprim17ROCPRIM_400000_NS6detail17trampoline_kernelINS0_14default_configENS1_38merge_sort_block_merge_config_selectorIiNS0_10empty_typeEEEZZNS1_27merge_sort_block_merge_implIS3_N6thrust23THRUST_200600_302600_NS6detail15normal_iteratorINS9_10device_ptrIiEEEEPS5_m9comp_mod3IiEEE10hipError_tT0_T1_T2_jT3_P12ihipStream_tbPNSt15iterator_traitsISJ_E10value_typeEPNSP_ISK_E10value_typeEPSL_NS1_7vsmem_tEENKUlT_SJ_SK_SL_E_clISE_PiSF_SF_EESI_SY_SJ_SK_SL_EUlSY_E0_NS1_11comp_targetILNS1_3genE0ELNS1_11target_archE4294967295ELNS1_3gpuE0ELNS1_3repE0EEENS1_38merge_mergepath_config_static_selectorELNS0_4arch9wavefront6targetE0EEEvSK_,comdat
	.protected	_ZN7rocprim17ROCPRIM_400000_NS6detail17trampoline_kernelINS0_14default_configENS1_38merge_sort_block_merge_config_selectorIiNS0_10empty_typeEEEZZNS1_27merge_sort_block_merge_implIS3_N6thrust23THRUST_200600_302600_NS6detail15normal_iteratorINS9_10device_ptrIiEEEEPS5_m9comp_mod3IiEEE10hipError_tT0_T1_T2_jT3_P12ihipStream_tbPNSt15iterator_traitsISJ_E10value_typeEPNSP_ISK_E10value_typeEPSL_NS1_7vsmem_tEENKUlT_SJ_SK_SL_E_clISE_PiSF_SF_EESI_SY_SJ_SK_SL_EUlSY_E0_NS1_11comp_targetILNS1_3genE0ELNS1_11target_archE4294967295ELNS1_3gpuE0ELNS1_3repE0EEENS1_38merge_mergepath_config_static_selectorELNS0_4arch9wavefront6targetE0EEEvSK_ ; -- Begin function _ZN7rocprim17ROCPRIM_400000_NS6detail17trampoline_kernelINS0_14default_configENS1_38merge_sort_block_merge_config_selectorIiNS0_10empty_typeEEEZZNS1_27merge_sort_block_merge_implIS3_N6thrust23THRUST_200600_302600_NS6detail15normal_iteratorINS9_10device_ptrIiEEEEPS5_m9comp_mod3IiEEE10hipError_tT0_T1_T2_jT3_P12ihipStream_tbPNSt15iterator_traitsISJ_E10value_typeEPNSP_ISK_E10value_typeEPSL_NS1_7vsmem_tEENKUlT_SJ_SK_SL_E_clISE_PiSF_SF_EESI_SY_SJ_SK_SL_EUlSY_E0_NS1_11comp_targetILNS1_3genE0ELNS1_11target_archE4294967295ELNS1_3gpuE0ELNS1_3repE0EEENS1_38merge_mergepath_config_static_selectorELNS0_4arch9wavefront6targetE0EEEvSK_
	.globl	_ZN7rocprim17ROCPRIM_400000_NS6detail17trampoline_kernelINS0_14default_configENS1_38merge_sort_block_merge_config_selectorIiNS0_10empty_typeEEEZZNS1_27merge_sort_block_merge_implIS3_N6thrust23THRUST_200600_302600_NS6detail15normal_iteratorINS9_10device_ptrIiEEEEPS5_m9comp_mod3IiEEE10hipError_tT0_T1_T2_jT3_P12ihipStream_tbPNSt15iterator_traitsISJ_E10value_typeEPNSP_ISK_E10value_typeEPSL_NS1_7vsmem_tEENKUlT_SJ_SK_SL_E_clISE_PiSF_SF_EESI_SY_SJ_SK_SL_EUlSY_E0_NS1_11comp_targetILNS1_3genE0ELNS1_11target_archE4294967295ELNS1_3gpuE0ELNS1_3repE0EEENS1_38merge_mergepath_config_static_selectorELNS0_4arch9wavefront6targetE0EEEvSK_
	.p2align	8
	.type	_ZN7rocprim17ROCPRIM_400000_NS6detail17trampoline_kernelINS0_14default_configENS1_38merge_sort_block_merge_config_selectorIiNS0_10empty_typeEEEZZNS1_27merge_sort_block_merge_implIS3_N6thrust23THRUST_200600_302600_NS6detail15normal_iteratorINS9_10device_ptrIiEEEEPS5_m9comp_mod3IiEEE10hipError_tT0_T1_T2_jT3_P12ihipStream_tbPNSt15iterator_traitsISJ_E10value_typeEPNSP_ISK_E10value_typeEPSL_NS1_7vsmem_tEENKUlT_SJ_SK_SL_E_clISE_PiSF_SF_EESI_SY_SJ_SK_SL_EUlSY_E0_NS1_11comp_targetILNS1_3genE0ELNS1_11target_archE4294967295ELNS1_3gpuE0ELNS1_3repE0EEENS1_38merge_mergepath_config_static_selectorELNS0_4arch9wavefront6targetE0EEEvSK_,@function
_ZN7rocprim17ROCPRIM_400000_NS6detail17trampoline_kernelINS0_14default_configENS1_38merge_sort_block_merge_config_selectorIiNS0_10empty_typeEEEZZNS1_27merge_sort_block_merge_implIS3_N6thrust23THRUST_200600_302600_NS6detail15normal_iteratorINS9_10device_ptrIiEEEEPS5_m9comp_mod3IiEEE10hipError_tT0_T1_T2_jT3_P12ihipStream_tbPNSt15iterator_traitsISJ_E10value_typeEPNSP_ISK_E10value_typeEPSL_NS1_7vsmem_tEENKUlT_SJ_SK_SL_E_clISE_PiSF_SF_EESI_SY_SJ_SK_SL_EUlSY_E0_NS1_11comp_targetILNS1_3genE0ELNS1_11target_archE4294967295ELNS1_3gpuE0ELNS1_3repE0EEENS1_38merge_mergepath_config_static_selectorELNS0_4arch9wavefront6targetE0EEEvSK_: ; @_ZN7rocprim17ROCPRIM_400000_NS6detail17trampoline_kernelINS0_14default_configENS1_38merge_sort_block_merge_config_selectorIiNS0_10empty_typeEEEZZNS1_27merge_sort_block_merge_implIS3_N6thrust23THRUST_200600_302600_NS6detail15normal_iteratorINS9_10device_ptrIiEEEEPS5_m9comp_mod3IiEEE10hipError_tT0_T1_T2_jT3_P12ihipStream_tbPNSt15iterator_traitsISJ_E10value_typeEPNSP_ISK_E10value_typeEPSL_NS1_7vsmem_tEENKUlT_SJ_SK_SL_E_clISE_PiSF_SF_EESI_SY_SJ_SK_SL_EUlSY_E0_NS1_11comp_targetILNS1_3genE0ELNS1_11target_archE4294967295ELNS1_3gpuE0ELNS1_3repE0EEENS1_38merge_mergepath_config_static_selectorELNS0_4arch9wavefront6targetE0EEEvSK_
; %bb.0:
	.section	.rodata,"a",@progbits
	.p2align	6, 0x0
	.amdhsa_kernel _ZN7rocprim17ROCPRIM_400000_NS6detail17trampoline_kernelINS0_14default_configENS1_38merge_sort_block_merge_config_selectorIiNS0_10empty_typeEEEZZNS1_27merge_sort_block_merge_implIS3_N6thrust23THRUST_200600_302600_NS6detail15normal_iteratorINS9_10device_ptrIiEEEEPS5_m9comp_mod3IiEEE10hipError_tT0_T1_T2_jT3_P12ihipStream_tbPNSt15iterator_traitsISJ_E10value_typeEPNSP_ISK_E10value_typeEPSL_NS1_7vsmem_tEENKUlT_SJ_SK_SL_E_clISE_PiSF_SF_EESI_SY_SJ_SK_SL_EUlSY_E0_NS1_11comp_targetILNS1_3genE0ELNS1_11target_archE4294967295ELNS1_3gpuE0ELNS1_3repE0EEENS1_38merge_mergepath_config_static_selectorELNS0_4arch9wavefront6targetE0EEEvSK_
		.amdhsa_group_segment_fixed_size 0
		.amdhsa_private_segment_fixed_size 0
		.amdhsa_kernarg_size 80
		.amdhsa_user_sgpr_count 6
		.amdhsa_user_sgpr_private_segment_buffer 1
		.amdhsa_user_sgpr_dispatch_ptr 0
		.amdhsa_user_sgpr_queue_ptr 0
		.amdhsa_user_sgpr_kernarg_segment_ptr 1
		.amdhsa_user_sgpr_dispatch_id 0
		.amdhsa_user_sgpr_flat_scratch_init 0
		.amdhsa_user_sgpr_private_segment_size 0
		.amdhsa_wavefront_size32 1
		.amdhsa_uses_dynamic_stack 0
		.amdhsa_system_sgpr_private_segment_wavefront_offset 0
		.amdhsa_system_sgpr_workgroup_id_x 1
		.amdhsa_system_sgpr_workgroup_id_y 0
		.amdhsa_system_sgpr_workgroup_id_z 0
		.amdhsa_system_sgpr_workgroup_info 0
		.amdhsa_system_vgpr_workitem_id 0
		.amdhsa_next_free_vgpr 1
		.amdhsa_next_free_sgpr 1
		.amdhsa_reserve_vcc 0
		.amdhsa_reserve_flat_scratch 0
		.amdhsa_float_round_mode_32 0
		.amdhsa_float_round_mode_16_64 0
		.amdhsa_float_denorm_mode_32 3
		.amdhsa_float_denorm_mode_16_64 3
		.amdhsa_dx10_clamp 1
		.amdhsa_ieee_mode 1
		.amdhsa_fp16_overflow 0
		.amdhsa_workgroup_processor_mode 1
		.amdhsa_memory_ordered 1
		.amdhsa_forward_progress 1
		.amdhsa_shared_vgpr_count 0
		.amdhsa_exception_fp_ieee_invalid_op 0
		.amdhsa_exception_fp_denorm_src 0
		.amdhsa_exception_fp_ieee_div_zero 0
		.amdhsa_exception_fp_ieee_overflow 0
		.amdhsa_exception_fp_ieee_underflow 0
		.amdhsa_exception_fp_ieee_inexact 0
		.amdhsa_exception_int_div_zero 0
	.end_amdhsa_kernel
	.section	.text._ZN7rocprim17ROCPRIM_400000_NS6detail17trampoline_kernelINS0_14default_configENS1_38merge_sort_block_merge_config_selectorIiNS0_10empty_typeEEEZZNS1_27merge_sort_block_merge_implIS3_N6thrust23THRUST_200600_302600_NS6detail15normal_iteratorINS9_10device_ptrIiEEEEPS5_m9comp_mod3IiEEE10hipError_tT0_T1_T2_jT3_P12ihipStream_tbPNSt15iterator_traitsISJ_E10value_typeEPNSP_ISK_E10value_typeEPSL_NS1_7vsmem_tEENKUlT_SJ_SK_SL_E_clISE_PiSF_SF_EESI_SY_SJ_SK_SL_EUlSY_E0_NS1_11comp_targetILNS1_3genE0ELNS1_11target_archE4294967295ELNS1_3gpuE0ELNS1_3repE0EEENS1_38merge_mergepath_config_static_selectorELNS0_4arch9wavefront6targetE0EEEvSK_,"axG",@progbits,_ZN7rocprim17ROCPRIM_400000_NS6detail17trampoline_kernelINS0_14default_configENS1_38merge_sort_block_merge_config_selectorIiNS0_10empty_typeEEEZZNS1_27merge_sort_block_merge_implIS3_N6thrust23THRUST_200600_302600_NS6detail15normal_iteratorINS9_10device_ptrIiEEEEPS5_m9comp_mod3IiEEE10hipError_tT0_T1_T2_jT3_P12ihipStream_tbPNSt15iterator_traitsISJ_E10value_typeEPNSP_ISK_E10value_typeEPSL_NS1_7vsmem_tEENKUlT_SJ_SK_SL_E_clISE_PiSF_SF_EESI_SY_SJ_SK_SL_EUlSY_E0_NS1_11comp_targetILNS1_3genE0ELNS1_11target_archE4294967295ELNS1_3gpuE0ELNS1_3repE0EEENS1_38merge_mergepath_config_static_selectorELNS0_4arch9wavefront6targetE0EEEvSK_,comdat
.Lfunc_end1020:
	.size	_ZN7rocprim17ROCPRIM_400000_NS6detail17trampoline_kernelINS0_14default_configENS1_38merge_sort_block_merge_config_selectorIiNS0_10empty_typeEEEZZNS1_27merge_sort_block_merge_implIS3_N6thrust23THRUST_200600_302600_NS6detail15normal_iteratorINS9_10device_ptrIiEEEEPS5_m9comp_mod3IiEEE10hipError_tT0_T1_T2_jT3_P12ihipStream_tbPNSt15iterator_traitsISJ_E10value_typeEPNSP_ISK_E10value_typeEPSL_NS1_7vsmem_tEENKUlT_SJ_SK_SL_E_clISE_PiSF_SF_EESI_SY_SJ_SK_SL_EUlSY_E0_NS1_11comp_targetILNS1_3genE0ELNS1_11target_archE4294967295ELNS1_3gpuE0ELNS1_3repE0EEENS1_38merge_mergepath_config_static_selectorELNS0_4arch9wavefront6targetE0EEEvSK_, .Lfunc_end1020-_ZN7rocprim17ROCPRIM_400000_NS6detail17trampoline_kernelINS0_14default_configENS1_38merge_sort_block_merge_config_selectorIiNS0_10empty_typeEEEZZNS1_27merge_sort_block_merge_implIS3_N6thrust23THRUST_200600_302600_NS6detail15normal_iteratorINS9_10device_ptrIiEEEEPS5_m9comp_mod3IiEEE10hipError_tT0_T1_T2_jT3_P12ihipStream_tbPNSt15iterator_traitsISJ_E10value_typeEPNSP_ISK_E10value_typeEPSL_NS1_7vsmem_tEENKUlT_SJ_SK_SL_E_clISE_PiSF_SF_EESI_SY_SJ_SK_SL_EUlSY_E0_NS1_11comp_targetILNS1_3genE0ELNS1_11target_archE4294967295ELNS1_3gpuE0ELNS1_3repE0EEENS1_38merge_mergepath_config_static_selectorELNS0_4arch9wavefront6targetE0EEEvSK_
                                        ; -- End function
	.set _ZN7rocprim17ROCPRIM_400000_NS6detail17trampoline_kernelINS0_14default_configENS1_38merge_sort_block_merge_config_selectorIiNS0_10empty_typeEEEZZNS1_27merge_sort_block_merge_implIS3_N6thrust23THRUST_200600_302600_NS6detail15normal_iteratorINS9_10device_ptrIiEEEEPS5_m9comp_mod3IiEEE10hipError_tT0_T1_T2_jT3_P12ihipStream_tbPNSt15iterator_traitsISJ_E10value_typeEPNSP_ISK_E10value_typeEPSL_NS1_7vsmem_tEENKUlT_SJ_SK_SL_E_clISE_PiSF_SF_EESI_SY_SJ_SK_SL_EUlSY_E0_NS1_11comp_targetILNS1_3genE0ELNS1_11target_archE4294967295ELNS1_3gpuE0ELNS1_3repE0EEENS1_38merge_mergepath_config_static_selectorELNS0_4arch9wavefront6targetE0EEEvSK_.num_vgpr, 0
	.set _ZN7rocprim17ROCPRIM_400000_NS6detail17trampoline_kernelINS0_14default_configENS1_38merge_sort_block_merge_config_selectorIiNS0_10empty_typeEEEZZNS1_27merge_sort_block_merge_implIS3_N6thrust23THRUST_200600_302600_NS6detail15normal_iteratorINS9_10device_ptrIiEEEEPS5_m9comp_mod3IiEEE10hipError_tT0_T1_T2_jT3_P12ihipStream_tbPNSt15iterator_traitsISJ_E10value_typeEPNSP_ISK_E10value_typeEPSL_NS1_7vsmem_tEENKUlT_SJ_SK_SL_E_clISE_PiSF_SF_EESI_SY_SJ_SK_SL_EUlSY_E0_NS1_11comp_targetILNS1_3genE0ELNS1_11target_archE4294967295ELNS1_3gpuE0ELNS1_3repE0EEENS1_38merge_mergepath_config_static_selectorELNS0_4arch9wavefront6targetE0EEEvSK_.num_agpr, 0
	.set _ZN7rocprim17ROCPRIM_400000_NS6detail17trampoline_kernelINS0_14default_configENS1_38merge_sort_block_merge_config_selectorIiNS0_10empty_typeEEEZZNS1_27merge_sort_block_merge_implIS3_N6thrust23THRUST_200600_302600_NS6detail15normal_iteratorINS9_10device_ptrIiEEEEPS5_m9comp_mod3IiEEE10hipError_tT0_T1_T2_jT3_P12ihipStream_tbPNSt15iterator_traitsISJ_E10value_typeEPNSP_ISK_E10value_typeEPSL_NS1_7vsmem_tEENKUlT_SJ_SK_SL_E_clISE_PiSF_SF_EESI_SY_SJ_SK_SL_EUlSY_E0_NS1_11comp_targetILNS1_3genE0ELNS1_11target_archE4294967295ELNS1_3gpuE0ELNS1_3repE0EEENS1_38merge_mergepath_config_static_selectorELNS0_4arch9wavefront6targetE0EEEvSK_.numbered_sgpr, 0
	.set _ZN7rocprim17ROCPRIM_400000_NS6detail17trampoline_kernelINS0_14default_configENS1_38merge_sort_block_merge_config_selectorIiNS0_10empty_typeEEEZZNS1_27merge_sort_block_merge_implIS3_N6thrust23THRUST_200600_302600_NS6detail15normal_iteratorINS9_10device_ptrIiEEEEPS5_m9comp_mod3IiEEE10hipError_tT0_T1_T2_jT3_P12ihipStream_tbPNSt15iterator_traitsISJ_E10value_typeEPNSP_ISK_E10value_typeEPSL_NS1_7vsmem_tEENKUlT_SJ_SK_SL_E_clISE_PiSF_SF_EESI_SY_SJ_SK_SL_EUlSY_E0_NS1_11comp_targetILNS1_3genE0ELNS1_11target_archE4294967295ELNS1_3gpuE0ELNS1_3repE0EEENS1_38merge_mergepath_config_static_selectorELNS0_4arch9wavefront6targetE0EEEvSK_.num_named_barrier, 0
	.set _ZN7rocprim17ROCPRIM_400000_NS6detail17trampoline_kernelINS0_14default_configENS1_38merge_sort_block_merge_config_selectorIiNS0_10empty_typeEEEZZNS1_27merge_sort_block_merge_implIS3_N6thrust23THRUST_200600_302600_NS6detail15normal_iteratorINS9_10device_ptrIiEEEEPS5_m9comp_mod3IiEEE10hipError_tT0_T1_T2_jT3_P12ihipStream_tbPNSt15iterator_traitsISJ_E10value_typeEPNSP_ISK_E10value_typeEPSL_NS1_7vsmem_tEENKUlT_SJ_SK_SL_E_clISE_PiSF_SF_EESI_SY_SJ_SK_SL_EUlSY_E0_NS1_11comp_targetILNS1_3genE0ELNS1_11target_archE4294967295ELNS1_3gpuE0ELNS1_3repE0EEENS1_38merge_mergepath_config_static_selectorELNS0_4arch9wavefront6targetE0EEEvSK_.private_seg_size, 0
	.set _ZN7rocprim17ROCPRIM_400000_NS6detail17trampoline_kernelINS0_14default_configENS1_38merge_sort_block_merge_config_selectorIiNS0_10empty_typeEEEZZNS1_27merge_sort_block_merge_implIS3_N6thrust23THRUST_200600_302600_NS6detail15normal_iteratorINS9_10device_ptrIiEEEEPS5_m9comp_mod3IiEEE10hipError_tT0_T1_T2_jT3_P12ihipStream_tbPNSt15iterator_traitsISJ_E10value_typeEPNSP_ISK_E10value_typeEPSL_NS1_7vsmem_tEENKUlT_SJ_SK_SL_E_clISE_PiSF_SF_EESI_SY_SJ_SK_SL_EUlSY_E0_NS1_11comp_targetILNS1_3genE0ELNS1_11target_archE4294967295ELNS1_3gpuE0ELNS1_3repE0EEENS1_38merge_mergepath_config_static_selectorELNS0_4arch9wavefront6targetE0EEEvSK_.uses_vcc, 0
	.set _ZN7rocprim17ROCPRIM_400000_NS6detail17trampoline_kernelINS0_14default_configENS1_38merge_sort_block_merge_config_selectorIiNS0_10empty_typeEEEZZNS1_27merge_sort_block_merge_implIS3_N6thrust23THRUST_200600_302600_NS6detail15normal_iteratorINS9_10device_ptrIiEEEEPS5_m9comp_mod3IiEEE10hipError_tT0_T1_T2_jT3_P12ihipStream_tbPNSt15iterator_traitsISJ_E10value_typeEPNSP_ISK_E10value_typeEPSL_NS1_7vsmem_tEENKUlT_SJ_SK_SL_E_clISE_PiSF_SF_EESI_SY_SJ_SK_SL_EUlSY_E0_NS1_11comp_targetILNS1_3genE0ELNS1_11target_archE4294967295ELNS1_3gpuE0ELNS1_3repE0EEENS1_38merge_mergepath_config_static_selectorELNS0_4arch9wavefront6targetE0EEEvSK_.uses_flat_scratch, 0
	.set _ZN7rocprim17ROCPRIM_400000_NS6detail17trampoline_kernelINS0_14default_configENS1_38merge_sort_block_merge_config_selectorIiNS0_10empty_typeEEEZZNS1_27merge_sort_block_merge_implIS3_N6thrust23THRUST_200600_302600_NS6detail15normal_iteratorINS9_10device_ptrIiEEEEPS5_m9comp_mod3IiEEE10hipError_tT0_T1_T2_jT3_P12ihipStream_tbPNSt15iterator_traitsISJ_E10value_typeEPNSP_ISK_E10value_typeEPSL_NS1_7vsmem_tEENKUlT_SJ_SK_SL_E_clISE_PiSF_SF_EESI_SY_SJ_SK_SL_EUlSY_E0_NS1_11comp_targetILNS1_3genE0ELNS1_11target_archE4294967295ELNS1_3gpuE0ELNS1_3repE0EEENS1_38merge_mergepath_config_static_selectorELNS0_4arch9wavefront6targetE0EEEvSK_.has_dyn_sized_stack, 0
	.set _ZN7rocprim17ROCPRIM_400000_NS6detail17trampoline_kernelINS0_14default_configENS1_38merge_sort_block_merge_config_selectorIiNS0_10empty_typeEEEZZNS1_27merge_sort_block_merge_implIS3_N6thrust23THRUST_200600_302600_NS6detail15normal_iteratorINS9_10device_ptrIiEEEEPS5_m9comp_mod3IiEEE10hipError_tT0_T1_T2_jT3_P12ihipStream_tbPNSt15iterator_traitsISJ_E10value_typeEPNSP_ISK_E10value_typeEPSL_NS1_7vsmem_tEENKUlT_SJ_SK_SL_E_clISE_PiSF_SF_EESI_SY_SJ_SK_SL_EUlSY_E0_NS1_11comp_targetILNS1_3genE0ELNS1_11target_archE4294967295ELNS1_3gpuE0ELNS1_3repE0EEENS1_38merge_mergepath_config_static_selectorELNS0_4arch9wavefront6targetE0EEEvSK_.has_recursion, 0
	.set _ZN7rocprim17ROCPRIM_400000_NS6detail17trampoline_kernelINS0_14default_configENS1_38merge_sort_block_merge_config_selectorIiNS0_10empty_typeEEEZZNS1_27merge_sort_block_merge_implIS3_N6thrust23THRUST_200600_302600_NS6detail15normal_iteratorINS9_10device_ptrIiEEEEPS5_m9comp_mod3IiEEE10hipError_tT0_T1_T2_jT3_P12ihipStream_tbPNSt15iterator_traitsISJ_E10value_typeEPNSP_ISK_E10value_typeEPSL_NS1_7vsmem_tEENKUlT_SJ_SK_SL_E_clISE_PiSF_SF_EESI_SY_SJ_SK_SL_EUlSY_E0_NS1_11comp_targetILNS1_3genE0ELNS1_11target_archE4294967295ELNS1_3gpuE0ELNS1_3repE0EEENS1_38merge_mergepath_config_static_selectorELNS0_4arch9wavefront6targetE0EEEvSK_.has_indirect_call, 0
	.section	.AMDGPU.csdata,"",@progbits
; Kernel info:
; codeLenInByte = 0
; TotalNumSgprs: 0
; NumVgprs: 0
; ScratchSize: 0
; MemoryBound: 0
; FloatMode: 240
; IeeeMode: 1
; LDSByteSize: 0 bytes/workgroup (compile time only)
; SGPRBlocks: 0
; VGPRBlocks: 0
; NumSGPRsForWavesPerEU: 1
; NumVGPRsForWavesPerEU: 1
; Occupancy: 16
; WaveLimiterHint : 0
; COMPUTE_PGM_RSRC2:SCRATCH_EN: 0
; COMPUTE_PGM_RSRC2:USER_SGPR: 6
; COMPUTE_PGM_RSRC2:TRAP_HANDLER: 0
; COMPUTE_PGM_RSRC2:TGID_X_EN: 1
; COMPUTE_PGM_RSRC2:TGID_Y_EN: 0
; COMPUTE_PGM_RSRC2:TGID_Z_EN: 0
; COMPUTE_PGM_RSRC2:TIDIG_COMP_CNT: 0
	.section	.text._ZN7rocprim17ROCPRIM_400000_NS6detail17trampoline_kernelINS0_14default_configENS1_38merge_sort_block_merge_config_selectorIiNS0_10empty_typeEEEZZNS1_27merge_sort_block_merge_implIS3_N6thrust23THRUST_200600_302600_NS6detail15normal_iteratorINS9_10device_ptrIiEEEEPS5_m9comp_mod3IiEEE10hipError_tT0_T1_T2_jT3_P12ihipStream_tbPNSt15iterator_traitsISJ_E10value_typeEPNSP_ISK_E10value_typeEPSL_NS1_7vsmem_tEENKUlT_SJ_SK_SL_E_clISE_PiSF_SF_EESI_SY_SJ_SK_SL_EUlSY_E0_NS1_11comp_targetILNS1_3genE10ELNS1_11target_archE1201ELNS1_3gpuE5ELNS1_3repE0EEENS1_38merge_mergepath_config_static_selectorELNS0_4arch9wavefront6targetE0EEEvSK_,"axG",@progbits,_ZN7rocprim17ROCPRIM_400000_NS6detail17trampoline_kernelINS0_14default_configENS1_38merge_sort_block_merge_config_selectorIiNS0_10empty_typeEEEZZNS1_27merge_sort_block_merge_implIS3_N6thrust23THRUST_200600_302600_NS6detail15normal_iteratorINS9_10device_ptrIiEEEEPS5_m9comp_mod3IiEEE10hipError_tT0_T1_T2_jT3_P12ihipStream_tbPNSt15iterator_traitsISJ_E10value_typeEPNSP_ISK_E10value_typeEPSL_NS1_7vsmem_tEENKUlT_SJ_SK_SL_E_clISE_PiSF_SF_EESI_SY_SJ_SK_SL_EUlSY_E0_NS1_11comp_targetILNS1_3genE10ELNS1_11target_archE1201ELNS1_3gpuE5ELNS1_3repE0EEENS1_38merge_mergepath_config_static_selectorELNS0_4arch9wavefront6targetE0EEEvSK_,comdat
	.protected	_ZN7rocprim17ROCPRIM_400000_NS6detail17trampoline_kernelINS0_14default_configENS1_38merge_sort_block_merge_config_selectorIiNS0_10empty_typeEEEZZNS1_27merge_sort_block_merge_implIS3_N6thrust23THRUST_200600_302600_NS6detail15normal_iteratorINS9_10device_ptrIiEEEEPS5_m9comp_mod3IiEEE10hipError_tT0_T1_T2_jT3_P12ihipStream_tbPNSt15iterator_traitsISJ_E10value_typeEPNSP_ISK_E10value_typeEPSL_NS1_7vsmem_tEENKUlT_SJ_SK_SL_E_clISE_PiSF_SF_EESI_SY_SJ_SK_SL_EUlSY_E0_NS1_11comp_targetILNS1_3genE10ELNS1_11target_archE1201ELNS1_3gpuE5ELNS1_3repE0EEENS1_38merge_mergepath_config_static_selectorELNS0_4arch9wavefront6targetE0EEEvSK_ ; -- Begin function _ZN7rocprim17ROCPRIM_400000_NS6detail17trampoline_kernelINS0_14default_configENS1_38merge_sort_block_merge_config_selectorIiNS0_10empty_typeEEEZZNS1_27merge_sort_block_merge_implIS3_N6thrust23THRUST_200600_302600_NS6detail15normal_iteratorINS9_10device_ptrIiEEEEPS5_m9comp_mod3IiEEE10hipError_tT0_T1_T2_jT3_P12ihipStream_tbPNSt15iterator_traitsISJ_E10value_typeEPNSP_ISK_E10value_typeEPSL_NS1_7vsmem_tEENKUlT_SJ_SK_SL_E_clISE_PiSF_SF_EESI_SY_SJ_SK_SL_EUlSY_E0_NS1_11comp_targetILNS1_3genE10ELNS1_11target_archE1201ELNS1_3gpuE5ELNS1_3repE0EEENS1_38merge_mergepath_config_static_selectorELNS0_4arch9wavefront6targetE0EEEvSK_
	.globl	_ZN7rocprim17ROCPRIM_400000_NS6detail17trampoline_kernelINS0_14default_configENS1_38merge_sort_block_merge_config_selectorIiNS0_10empty_typeEEEZZNS1_27merge_sort_block_merge_implIS3_N6thrust23THRUST_200600_302600_NS6detail15normal_iteratorINS9_10device_ptrIiEEEEPS5_m9comp_mod3IiEEE10hipError_tT0_T1_T2_jT3_P12ihipStream_tbPNSt15iterator_traitsISJ_E10value_typeEPNSP_ISK_E10value_typeEPSL_NS1_7vsmem_tEENKUlT_SJ_SK_SL_E_clISE_PiSF_SF_EESI_SY_SJ_SK_SL_EUlSY_E0_NS1_11comp_targetILNS1_3genE10ELNS1_11target_archE1201ELNS1_3gpuE5ELNS1_3repE0EEENS1_38merge_mergepath_config_static_selectorELNS0_4arch9wavefront6targetE0EEEvSK_
	.p2align	8
	.type	_ZN7rocprim17ROCPRIM_400000_NS6detail17trampoline_kernelINS0_14default_configENS1_38merge_sort_block_merge_config_selectorIiNS0_10empty_typeEEEZZNS1_27merge_sort_block_merge_implIS3_N6thrust23THRUST_200600_302600_NS6detail15normal_iteratorINS9_10device_ptrIiEEEEPS5_m9comp_mod3IiEEE10hipError_tT0_T1_T2_jT3_P12ihipStream_tbPNSt15iterator_traitsISJ_E10value_typeEPNSP_ISK_E10value_typeEPSL_NS1_7vsmem_tEENKUlT_SJ_SK_SL_E_clISE_PiSF_SF_EESI_SY_SJ_SK_SL_EUlSY_E0_NS1_11comp_targetILNS1_3genE10ELNS1_11target_archE1201ELNS1_3gpuE5ELNS1_3repE0EEENS1_38merge_mergepath_config_static_selectorELNS0_4arch9wavefront6targetE0EEEvSK_,@function
_ZN7rocprim17ROCPRIM_400000_NS6detail17trampoline_kernelINS0_14default_configENS1_38merge_sort_block_merge_config_selectorIiNS0_10empty_typeEEEZZNS1_27merge_sort_block_merge_implIS3_N6thrust23THRUST_200600_302600_NS6detail15normal_iteratorINS9_10device_ptrIiEEEEPS5_m9comp_mod3IiEEE10hipError_tT0_T1_T2_jT3_P12ihipStream_tbPNSt15iterator_traitsISJ_E10value_typeEPNSP_ISK_E10value_typeEPSL_NS1_7vsmem_tEENKUlT_SJ_SK_SL_E_clISE_PiSF_SF_EESI_SY_SJ_SK_SL_EUlSY_E0_NS1_11comp_targetILNS1_3genE10ELNS1_11target_archE1201ELNS1_3gpuE5ELNS1_3repE0EEENS1_38merge_mergepath_config_static_selectorELNS0_4arch9wavefront6targetE0EEEvSK_: ; @_ZN7rocprim17ROCPRIM_400000_NS6detail17trampoline_kernelINS0_14default_configENS1_38merge_sort_block_merge_config_selectorIiNS0_10empty_typeEEEZZNS1_27merge_sort_block_merge_implIS3_N6thrust23THRUST_200600_302600_NS6detail15normal_iteratorINS9_10device_ptrIiEEEEPS5_m9comp_mod3IiEEE10hipError_tT0_T1_T2_jT3_P12ihipStream_tbPNSt15iterator_traitsISJ_E10value_typeEPNSP_ISK_E10value_typeEPSL_NS1_7vsmem_tEENKUlT_SJ_SK_SL_E_clISE_PiSF_SF_EESI_SY_SJ_SK_SL_EUlSY_E0_NS1_11comp_targetILNS1_3genE10ELNS1_11target_archE1201ELNS1_3gpuE5ELNS1_3repE0EEENS1_38merge_mergepath_config_static_selectorELNS0_4arch9wavefront6targetE0EEEvSK_
; %bb.0:
	.section	.rodata,"a",@progbits
	.p2align	6, 0x0
	.amdhsa_kernel _ZN7rocprim17ROCPRIM_400000_NS6detail17trampoline_kernelINS0_14default_configENS1_38merge_sort_block_merge_config_selectorIiNS0_10empty_typeEEEZZNS1_27merge_sort_block_merge_implIS3_N6thrust23THRUST_200600_302600_NS6detail15normal_iteratorINS9_10device_ptrIiEEEEPS5_m9comp_mod3IiEEE10hipError_tT0_T1_T2_jT3_P12ihipStream_tbPNSt15iterator_traitsISJ_E10value_typeEPNSP_ISK_E10value_typeEPSL_NS1_7vsmem_tEENKUlT_SJ_SK_SL_E_clISE_PiSF_SF_EESI_SY_SJ_SK_SL_EUlSY_E0_NS1_11comp_targetILNS1_3genE10ELNS1_11target_archE1201ELNS1_3gpuE5ELNS1_3repE0EEENS1_38merge_mergepath_config_static_selectorELNS0_4arch9wavefront6targetE0EEEvSK_
		.amdhsa_group_segment_fixed_size 0
		.amdhsa_private_segment_fixed_size 0
		.amdhsa_kernarg_size 80
		.amdhsa_user_sgpr_count 6
		.amdhsa_user_sgpr_private_segment_buffer 1
		.amdhsa_user_sgpr_dispatch_ptr 0
		.amdhsa_user_sgpr_queue_ptr 0
		.amdhsa_user_sgpr_kernarg_segment_ptr 1
		.amdhsa_user_sgpr_dispatch_id 0
		.amdhsa_user_sgpr_flat_scratch_init 0
		.amdhsa_user_sgpr_private_segment_size 0
		.amdhsa_wavefront_size32 1
		.amdhsa_uses_dynamic_stack 0
		.amdhsa_system_sgpr_private_segment_wavefront_offset 0
		.amdhsa_system_sgpr_workgroup_id_x 1
		.amdhsa_system_sgpr_workgroup_id_y 0
		.amdhsa_system_sgpr_workgroup_id_z 0
		.amdhsa_system_sgpr_workgroup_info 0
		.amdhsa_system_vgpr_workitem_id 0
		.amdhsa_next_free_vgpr 1
		.amdhsa_next_free_sgpr 1
		.amdhsa_reserve_vcc 0
		.amdhsa_reserve_flat_scratch 0
		.amdhsa_float_round_mode_32 0
		.amdhsa_float_round_mode_16_64 0
		.amdhsa_float_denorm_mode_32 3
		.amdhsa_float_denorm_mode_16_64 3
		.amdhsa_dx10_clamp 1
		.amdhsa_ieee_mode 1
		.amdhsa_fp16_overflow 0
		.amdhsa_workgroup_processor_mode 1
		.amdhsa_memory_ordered 1
		.amdhsa_forward_progress 1
		.amdhsa_shared_vgpr_count 0
		.amdhsa_exception_fp_ieee_invalid_op 0
		.amdhsa_exception_fp_denorm_src 0
		.amdhsa_exception_fp_ieee_div_zero 0
		.amdhsa_exception_fp_ieee_overflow 0
		.amdhsa_exception_fp_ieee_underflow 0
		.amdhsa_exception_fp_ieee_inexact 0
		.amdhsa_exception_int_div_zero 0
	.end_amdhsa_kernel
	.section	.text._ZN7rocprim17ROCPRIM_400000_NS6detail17trampoline_kernelINS0_14default_configENS1_38merge_sort_block_merge_config_selectorIiNS0_10empty_typeEEEZZNS1_27merge_sort_block_merge_implIS3_N6thrust23THRUST_200600_302600_NS6detail15normal_iteratorINS9_10device_ptrIiEEEEPS5_m9comp_mod3IiEEE10hipError_tT0_T1_T2_jT3_P12ihipStream_tbPNSt15iterator_traitsISJ_E10value_typeEPNSP_ISK_E10value_typeEPSL_NS1_7vsmem_tEENKUlT_SJ_SK_SL_E_clISE_PiSF_SF_EESI_SY_SJ_SK_SL_EUlSY_E0_NS1_11comp_targetILNS1_3genE10ELNS1_11target_archE1201ELNS1_3gpuE5ELNS1_3repE0EEENS1_38merge_mergepath_config_static_selectorELNS0_4arch9wavefront6targetE0EEEvSK_,"axG",@progbits,_ZN7rocprim17ROCPRIM_400000_NS6detail17trampoline_kernelINS0_14default_configENS1_38merge_sort_block_merge_config_selectorIiNS0_10empty_typeEEEZZNS1_27merge_sort_block_merge_implIS3_N6thrust23THRUST_200600_302600_NS6detail15normal_iteratorINS9_10device_ptrIiEEEEPS5_m9comp_mod3IiEEE10hipError_tT0_T1_T2_jT3_P12ihipStream_tbPNSt15iterator_traitsISJ_E10value_typeEPNSP_ISK_E10value_typeEPSL_NS1_7vsmem_tEENKUlT_SJ_SK_SL_E_clISE_PiSF_SF_EESI_SY_SJ_SK_SL_EUlSY_E0_NS1_11comp_targetILNS1_3genE10ELNS1_11target_archE1201ELNS1_3gpuE5ELNS1_3repE0EEENS1_38merge_mergepath_config_static_selectorELNS0_4arch9wavefront6targetE0EEEvSK_,comdat
.Lfunc_end1021:
	.size	_ZN7rocprim17ROCPRIM_400000_NS6detail17trampoline_kernelINS0_14default_configENS1_38merge_sort_block_merge_config_selectorIiNS0_10empty_typeEEEZZNS1_27merge_sort_block_merge_implIS3_N6thrust23THRUST_200600_302600_NS6detail15normal_iteratorINS9_10device_ptrIiEEEEPS5_m9comp_mod3IiEEE10hipError_tT0_T1_T2_jT3_P12ihipStream_tbPNSt15iterator_traitsISJ_E10value_typeEPNSP_ISK_E10value_typeEPSL_NS1_7vsmem_tEENKUlT_SJ_SK_SL_E_clISE_PiSF_SF_EESI_SY_SJ_SK_SL_EUlSY_E0_NS1_11comp_targetILNS1_3genE10ELNS1_11target_archE1201ELNS1_3gpuE5ELNS1_3repE0EEENS1_38merge_mergepath_config_static_selectorELNS0_4arch9wavefront6targetE0EEEvSK_, .Lfunc_end1021-_ZN7rocprim17ROCPRIM_400000_NS6detail17trampoline_kernelINS0_14default_configENS1_38merge_sort_block_merge_config_selectorIiNS0_10empty_typeEEEZZNS1_27merge_sort_block_merge_implIS3_N6thrust23THRUST_200600_302600_NS6detail15normal_iteratorINS9_10device_ptrIiEEEEPS5_m9comp_mod3IiEEE10hipError_tT0_T1_T2_jT3_P12ihipStream_tbPNSt15iterator_traitsISJ_E10value_typeEPNSP_ISK_E10value_typeEPSL_NS1_7vsmem_tEENKUlT_SJ_SK_SL_E_clISE_PiSF_SF_EESI_SY_SJ_SK_SL_EUlSY_E0_NS1_11comp_targetILNS1_3genE10ELNS1_11target_archE1201ELNS1_3gpuE5ELNS1_3repE0EEENS1_38merge_mergepath_config_static_selectorELNS0_4arch9wavefront6targetE0EEEvSK_
                                        ; -- End function
	.set _ZN7rocprim17ROCPRIM_400000_NS6detail17trampoline_kernelINS0_14default_configENS1_38merge_sort_block_merge_config_selectorIiNS0_10empty_typeEEEZZNS1_27merge_sort_block_merge_implIS3_N6thrust23THRUST_200600_302600_NS6detail15normal_iteratorINS9_10device_ptrIiEEEEPS5_m9comp_mod3IiEEE10hipError_tT0_T1_T2_jT3_P12ihipStream_tbPNSt15iterator_traitsISJ_E10value_typeEPNSP_ISK_E10value_typeEPSL_NS1_7vsmem_tEENKUlT_SJ_SK_SL_E_clISE_PiSF_SF_EESI_SY_SJ_SK_SL_EUlSY_E0_NS1_11comp_targetILNS1_3genE10ELNS1_11target_archE1201ELNS1_3gpuE5ELNS1_3repE0EEENS1_38merge_mergepath_config_static_selectorELNS0_4arch9wavefront6targetE0EEEvSK_.num_vgpr, 0
	.set _ZN7rocprim17ROCPRIM_400000_NS6detail17trampoline_kernelINS0_14default_configENS1_38merge_sort_block_merge_config_selectorIiNS0_10empty_typeEEEZZNS1_27merge_sort_block_merge_implIS3_N6thrust23THRUST_200600_302600_NS6detail15normal_iteratorINS9_10device_ptrIiEEEEPS5_m9comp_mod3IiEEE10hipError_tT0_T1_T2_jT3_P12ihipStream_tbPNSt15iterator_traitsISJ_E10value_typeEPNSP_ISK_E10value_typeEPSL_NS1_7vsmem_tEENKUlT_SJ_SK_SL_E_clISE_PiSF_SF_EESI_SY_SJ_SK_SL_EUlSY_E0_NS1_11comp_targetILNS1_3genE10ELNS1_11target_archE1201ELNS1_3gpuE5ELNS1_3repE0EEENS1_38merge_mergepath_config_static_selectorELNS0_4arch9wavefront6targetE0EEEvSK_.num_agpr, 0
	.set _ZN7rocprim17ROCPRIM_400000_NS6detail17trampoline_kernelINS0_14default_configENS1_38merge_sort_block_merge_config_selectorIiNS0_10empty_typeEEEZZNS1_27merge_sort_block_merge_implIS3_N6thrust23THRUST_200600_302600_NS6detail15normal_iteratorINS9_10device_ptrIiEEEEPS5_m9comp_mod3IiEEE10hipError_tT0_T1_T2_jT3_P12ihipStream_tbPNSt15iterator_traitsISJ_E10value_typeEPNSP_ISK_E10value_typeEPSL_NS1_7vsmem_tEENKUlT_SJ_SK_SL_E_clISE_PiSF_SF_EESI_SY_SJ_SK_SL_EUlSY_E0_NS1_11comp_targetILNS1_3genE10ELNS1_11target_archE1201ELNS1_3gpuE5ELNS1_3repE0EEENS1_38merge_mergepath_config_static_selectorELNS0_4arch9wavefront6targetE0EEEvSK_.numbered_sgpr, 0
	.set _ZN7rocprim17ROCPRIM_400000_NS6detail17trampoline_kernelINS0_14default_configENS1_38merge_sort_block_merge_config_selectorIiNS0_10empty_typeEEEZZNS1_27merge_sort_block_merge_implIS3_N6thrust23THRUST_200600_302600_NS6detail15normal_iteratorINS9_10device_ptrIiEEEEPS5_m9comp_mod3IiEEE10hipError_tT0_T1_T2_jT3_P12ihipStream_tbPNSt15iterator_traitsISJ_E10value_typeEPNSP_ISK_E10value_typeEPSL_NS1_7vsmem_tEENKUlT_SJ_SK_SL_E_clISE_PiSF_SF_EESI_SY_SJ_SK_SL_EUlSY_E0_NS1_11comp_targetILNS1_3genE10ELNS1_11target_archE1201ELNS1_3gpuE5ELNS1_3repE0EEENS1_38merge_mergepath_config_static_selectorELNS0_4arch9wavefront6targetE0EEEvSK_.num_named_barrier, 0
	.set _ZN7rocprim17ROCPRIM_400000_NS6detail17trampoline_kernelINS0_14default_configENS1_38merge_sort_block_merge_config_selectorIiNS0_10empty_typeEEEZZNS1_27merge_sort_block_merge_implIS3_N6thrust23THRUST_200600_302600_NS6detail15normal_iteratorINS9_10device_ptrIiEEEEPS5_m9comp_mod3IiEEE10hipError_tT0_T1_T2_jT3_P12ihipStream_tbPNSt15iterator_traitsISJ_E10value_typeEPNSP_ISK_E10value_typeEPSL_NS1_7vsmem_tEENKUlT_SJ_SK_SL_E_clISE_PiSF_SF_EESI_SY_SJ_SK_SL_EUlSY_E0_NS1_11comp_targetILNS1_3genE10ELNS1_11target_archE1201ELNS1_3gpuE5ELNS1_3repE0EEENS1_38merge_mergepath_config_static_selectorELNS0_4arch9wavefront6targetE0EEEvSK_.private_seg_size, 0
	.set _ZN7rocprim17ROCPRIM_400000_NS6detail17trampoline_kernelINS0_14default_configENS1_38merge_sort_block_merge_config_selectorIiNS0_10empty_typeEEEZZNS1_27merge_sort_block_merge_implIS3_N6thrust23THRUST_200600_302600_NS6detail15normal_iteratorINS9_10device_ptrIiEEEEPS5_m9comp_mod3IiEEE10hipError_tT0_T1_T2_jT3_P12ihipStream_tbPNSt15iterator_traitsISJ_E10value_typeEPNSP_ISK_E10value_typeEPSL_NS1_7vsmem_tEENKUlT_SJ_SK_SL_E_clISE_PiSF_SF_EESI_SY_SJ_SK_SL_EUlSY_E0_NS1_11comp_targetILNS1_3genE10ELNS1_11target_archE1201ELNS1_3gpuE5ELNS1_3repE0EEENS1_38merge_mergepath_config_static_selectorELNS0_4arch9wavefront6targetE0EEEvSK_.uses_vcc, 0
	.set _ZN7rocprim17ROCPRIM_400000_NS6detail17trampoline_kernelINS0_14default_configENS1_38merge_sort_block_merge_config_selectorIiNS0_10empty_typeEEEZZNS1_27merge_sort_block_merge_implIS3_N6thrust23THRUST_200600_302600_NS6detail15normal_iteratorINS9_10device_ptrIiEEEEPS5_m9comp_mod3IiEEE10hipError_tT0_T1_T2_jT3_P12ihipStream_tbPNSt15iterator_traitsISJ_E10value_typeEPNSP_ISK_E10value_typeEPSL_NS1_7vsmem_tEENKUlT_SJ_SK_SL_E_clISE_PiSF_SF_EESI_SY_SJ_SK_SL_EUlSY_E0_NS1_11comp_targetILNS1_3genE10ELNS1_11target_archE1201ELNS1_3gpuE5ELNS1_3repE0EEENS1_38merge_mergepath_config_static_selectorELNS0_4arch9wavefront6targetE0EEEvSK_.uses_flat_scratch, 0
	.set _ZN7rocprim17ROCPRIM_400000_NS6detail17trampoline_kernelINS0_14default_configENS1_38merge_sort_block_merge_config_selectorIiNS0_10empty_typeEEEZZNS1_27merge_sort_block_merge_implIS3_N6thrust23THRUST_200600_302600_NS6detail15normal_iteratorINS9_10device_ptrIiEEEEPS5_m9comp_mod3IiEEE10hipError_tT0_T1_T2_jT3_P12ihipStream_tbPNSt15iterator_traitsISJ_E10value_typeEPNSP_ISK_E10value_typeEPSL_NS1_7vsmem_tEENKUlT_SJ_SK_SL_E_clISE_PiSF_SF_EESI_SY_SJ_SK_SL_EUlSY_E0_NS1_11comp_targetILNS1_3genE10ELNS1_11target_archE1201ELNS1_3gpuE5ELNS1_3repE0EEENS1_38merge_mergepath_config_static_selectorELNS0_4arch9wavefront6targetE0EEEvSK_.has_dyn_sized_stack, 0
	.set _ZN7rocprim17ROCPRIM_400000_NS6detail17trampoline_kernelINS0_14default_configENS1_38merge_sort_block_merge_config_selectorIiNS0_10empty_typeEEEZZNS1_27merge_sort_block_merge_implIS3_N6thrust23THRUST_200600_302600_NS6detail15normal_iteratorINS9_10device_ptrIiEEEEPS5_m9comp_mod3IiEEE10hipError_tT0_T1_T2_jT3_P12ihipStream_tbPNSt15iterator_traitsISJ_E10value_typeEPNSP_ISK_E10value_typeEPSL_NS1_7vsmem_tEENKUlT_SJ_SK_SL_E_clISE_PiSF_SF_EESI_SY_SJ_SK_SL_EUlSY_E0_NS1_11comp_targetILNS1_3genE10ELNS1_11target_archE1201ELNS1_3gpuE5ELNS1_3repE0EEENS1_38merge_mergepath_config_static_selectorELNS0_4arch9wavefront6targetE0EEEvSK_.has_recursion, 0
	.set _ZN7rocprim17ROCPRIM_400000_NS6detail17trampoline_kernelINS0_14default_configENS1_38merge_sort_block_merge_config_selectorIiNS0_10empty_typeEEEZZNS1_27merge_sort_block_merge_implIS3_N6thrust23THRUST_200600_302600_NS6detail15normal_iteratorINS9_10device_ptrIiEEEEPS5_m9comp_mod3IiEEE10hipError_tT0_T1_T2_jT3_P12ihipStream_tbPNSt15iterator_traitsISJ_E10value_typeEPNSP_ISK_E10value_typeEPSL_NS1_7vsmem_tEENKUlT_SJ_SK_SL_E_clISE_PiSF_SF_EESI_SY_SJ_SK_SL_EUlSY_E0_NS1_11comp_targetILNS1_3genE10ELNS1_11target_archE1201ELNS1_3gpuE5ELNS1_3repE0EEENS1_38merge_mergepath_config_static_selectorELNS0_4arch9wavefront6targetE0EEEvSK_.has_indirect_call, 0
	.section	.AMDGPU.csdata,"",@progbits
; Kernel info:
; codeLenInByte = 0
; TotalNumSgprs: 0
; NumVgprs: 0
; ScratchSize: 0
; MemoryBound: 0
; FloatMode: 240
; IeeeMode: 1
; LDSByteSize: 0 bytes/workgroup (compile time only)
; SGPRBlocks: 0
; VGPRBlocks: 0
; NumSGPRsForWavesPerEU: 1
; NumVGPRsForWavesPerEU: 1
; Occupancy: 16
; WaveLimiterHint : 0
; COMPUTE_PGM_RSRC2:SCRATCH_EN: 0
; COMPUTE_PGM_RSRC2:USER_SGPR: 6
; COMPUTE_PGM_RSRC2:TRAP_HANDLER: 0
; COMPUTE_PGM_RSRC2:TGID_X_EN: 1
; COMPUTE_PGM_RSRC2:TGID_Y_EN: 0
; COMPUTE_PGM_RSRC2:TGID_Z_EN: 0
; COMPUTE_PGM_RSRC2:TIDIG_COMP_CNT: 0
	.section	.text._ZN7rocprim17ROCPRIM_400000_NS6detail17trampoline_kernelINS0_14default_configENS1_38merge_sort_block_merge_config_selectorIiNS0_10empty_typeEEEZZNS1_27merge_sort_block_merge_implIS3_N6thrust23THRUST_200600_302600_NS6detail15normal_iteratorINS9_10device_ptrIiEEEEPS5_m9comp_mod3IiEEE10hipError_tT0_T1_T2_jT3_P12ihipStream_tbPNSt15iterator_traitsISJ_E10value_typeEPNSP_ISK_E10value_typeEPSL_NS1_7vsmem_tEENKUlT_SJ_SK_SL_E_clISE_PiSF_SF_EESI_SY_SJ_SK_SL_EUlSY_E0_NS1_11comp_targetILNS1_3genE5ELNS1_11target_archE942ELNS1_3gpuE9ELNS1_3repE0EEENS1_38merge_mergepath_config_static_selectorELNS0_4arch9wavefront6targetE0EEEvSK_,"axG",@progbits,_ZN7rocprim17ROCPRIM_400000_NS6detail17trampoline_kernelINS0_14default_configENS1_38merge_sort_block_merge_config_selectorIiNS0_10empty_typeEEEZZNS1_27merge_sort_block_merge_implIS3_N6thrust23THRUST_200600_302600_NS6detail15normal_iteratorINS9_10device_ptrIiEEEEPS5_m9comp_mod3IiEEE10hipError_tT0_T1_T2_jT3_P12ihipStream_tbPNSt15iterator_traitsISJ_E10value_typeEPNSP_ISK_E10value_typeEPSL_NS1_7vsmem_tEENKUlT_SJ_SK_SL_E_clISE_PiSF_SF_EESI_SY_SJ_SK_SL_EUlSY_E0_NS1_11comp_targetILNS1_3genE5ELNS1_11target_archE942ELNS1_3gpuE9ELNS1_3repE0EEENS1_38merge_mergepath_config_static_selectorELNS0_4arch9wavefront6targetE0EEEvSK_,comdat
	.protected	_ZN7rocprim17ROCPRIM_400000_NS6detail17trampoline_kernelINS0_14default_configENS1_38merge_sort_block_merge_config_selectorIiNS0_10empty_typeEEEZZNS1_27merge_sort_block_merge_implIS3_N6thrust23THRUST_200600_302600_NS6detail15normal_iteratorINS9_10device_ptrIiEEEEPS5_m9comp_mod3IiEEE10hipError_tT0_T1_T2_jT3_P12ihipStream_tbPNSt15iterator_traitsISJ_E10value_typeEPNSP_ISK_E10value_typeEPSL_NS1_7vsmem_tEENKUlT_SJ_SK_SL_E_clISE_PiSF_SF_EESI_SY_SJ_SK_SL_EUlSY_E0_NS1_11comp_targetILNS1_3genE5ELNS1_11target_archE942ELNS1_3gpuE9ELNS1_3repE0EEENS1_38merge_mergepath_config_static_selectorELNS0_4arch9wavefront6targetE0EEEvSK_ ; -- Begin function _ZN7rocprim17ROCPRIM_400000_NS6detail17trampoline_kernelINS0_14default_configENS1_38merge_sort_block_merge_config_selectorIiNS0_10empty_typeEEEZZNS1_27merge_sort_block_merge_implIS3_N6thrust23THRUST_200600_302600_NS6detail15normal_iteratorINS9_10device_ptrIiEEEEPS5_m9comp_mod3IiEEE10hipError_tT0_T1_T2_jT3_P12ihipStream_tbPNSt15iterator_traitsISJ_E10value_typeEPNSP_ISK_E10value_typeEPSL_NS1_7vsmem_tEENKUlT_SJ_SK_SL_E_clISE_PiSF_SF_EESI_SY_SJ_SK_SL_EUlSY_E0_NS1_11comp_targetILNS1_3genE5ELNS1_11target_archE942ELNS1_3gpuE9ELNS1_3repE0EEENS1_38merge_mergepath_config_static_selectorELNS0_4arch9wavefront6targetE0EEEvSK_
	.globl	_ZN7rocprim17ROCPRIM_400000_NS6detail17trampoline_kernelINS0_14default_configENS1_38merge_sort_block_merge_config_selectorIiNS0_10empty_typeEEEZZNS1_27merge_sort_block_merge_implIS3_N6thrust23THRUST_200600_302600_NS6detail15normal_iteratorINS9_10device_ptrIiEEEEPS5_m9comp_mod3IiEEE10hipError_tT0_T1_T2_jT3_P12ihipStream_tbPNSt15iterator_traitsISJ_E10value_typeEPNSP_ISK_E10value_typeEPSL_NS1_7vsmem_tEENKUlT_SJ_SK_SL_E_clISE_PiSF_SF_EESI_SY_SJ_SK_SL_EUlSY_E0_NS1_11comp_targetILNS1_3genE5ELNS1_11target_archE942ELNS1_3gpuE9ELNS1_3repE0EEENS1_38merge_mergepath_config_static_selectorELNS0_4arch9wavefront6targetE0EEEvSK_
	.p2align	8
	.type	_ZN7rocprim17ROCPRIM_400000_NS6detail17trampoline_kernelINS0_14default_configENS1_38merge_sort_block_merge_config_selectorIiNS0_10empty_typeEEEZZNS1_27merge_sort_block_merge_implIS3_N6thrust23THRUST_200600_302600_NS6detail15normal_iteratorINS9_10device_ptrIiEEEEPS5_m9comp_mod3IiEEE10hipError_tT0_T1_T2_jT3_P12ihipStream_tbPNSt15iterator_traitsISJ_E10value_typeEPNSP_ISK_E10value_typeEPSL_NS1_7vsmem_tEENKUlT_SJ_SK_SL_E_clISE_PiSF_SF_EESI_SY_SJ_SK_SL_EUlSY_E0_NS1_11comp_targetILNS1_3genE5ELNS1_11target_archE942ELNS1_3gpuE9ELNS1_3repE0EEENS1_38merge_mergepath_config_static_selectorELNS0_4arch9wavefront6targetE0EEEvSK_,@function
_ZN7rocprim17ROCPRIM_400000_NS6detail17trampoline_kernelINS0_14default_configENS1_38merge_sort_block_merge_config_selectorIiNS0_10empty_typeEEEZZNS1_27merge_sort_block_merge_implIS3_N6thrust23THRUST_200600_302600_NS6detail15normal_iteratorINS9_10device_ptrIiEEEEPS5_m9comp_mod3IiEEE10hipError_tT0_T1_T2_jT3_P12ihipStream_tbPNSt15iterator_traitsISJ_E10value_typeEPNSP_ISK_E10value_typeEPSL_NS1_7vsmem_tEENKUlT_SJ_SK_SL_E_clISE_PiSF_SF_EESI_SY_SJ_SK_SL_EUlSY_E0_NS1_11comp_targetILNS1_3genE5ELNS1_11target_archE942ELNS1_3gpuE9ELNS1_3repE0EEENS1_38merge_mergepath_config_static_selectorELNS0_4arch9wavefront6targetE0EEEvSK_: ; @_ZN7rocprim17ROCPRIM_400000_NS6detail17trampoline_kernelINS0_14default_configENS1_38merge_sort_block_merge_config_selectorIiNS0_10empty_typeEEEZZNS1_27merge_sort_block_merge_implIS3_N6thrust23THRUST_200600_302600_NS6detail15normal_iteratorINS9_10device_ptrIiEEEEPS5_m9comp_mod3IiEEE10hipError_tT0_T1_T2_jT3_P12ihipStream_tbPNSt15iterator_traitsISJ_E10value_typeEPNSP_ISK_E10value_typeEPSL_NS1_7vsmem_tEENKUlT_SJ_SK_SL_E_clISE_PiSF_SF_EESI_SY_SJ_SK_SL_EUlSY_E0_NS1_11comp_targetILNS1_3genE5ELNS1_11target_archE942ELNS1_3gpuE9ELNS1_3repE0EEENS1_38merge_mergepath_config_static_selectorELNS0_4arch9wavefront6targetE0EEEvSK_
; %bb.0:
	.section	.rodata,"a",@progbits
	.p2align	6, 0x0
	.amdhsa_kernel _ZN7rocprim17ROCPRIM_400000_NS6detail17trampoline_kernelINS0_14default_configENS1_38merge_sort_block_merge_config_selectorIiNS0_10empty_typeEEEZZNS1_27merge_sort_block_merge_implIS3_N6thrust23THRUST_200600_302600_NS6detail15normal_iteratorINS9_10device_ptrIiEEEEPS5_m9comp_mod3IiEEE10hipError_tT0_T1_T2_jT3_P12ihipStream_tbPNSt15iterator_traitsISJ_E10value_typeEPNSP_ISK_E10value_typeEPSL_NS1_7vsmem_tEENKUlT_SJ_SK_SL_E_clISE_PiSF_SF_EESI_SY_SJ_SK_SL_EUlSY_E0_NS1_11comp_targetILNS1_3genE5ELNS1_11target_archE942ELNS1_3gpuE9ELNS1_3repE0EEENS1_38merge_mergepath_config_static_selectorELNS0_4arch9wavefront6targetE0EEEvSK_
		.amdhsa_group_segment_fixed_size 0
		.amdhsa_private_segment_fixed_size 0
		.amdhsa_kernarg_size 80
		.amdhsa_user_sgpr_count 6
		.amdhsa_user_sgpr_private_segment_buffer 1
		.amdhsa_user_sgpr_dispatch_ptr 0
		.amdhsa_user_sgpr_queue_ptr 0
		.amdhsa_user_sgpr_kernarg_segment_ptr 1
		.amdhsa_user_sgpr_dispatch_id 0
		.amdhsa_user_sgpr_flat_scratch_init 0
		.amdhsa_user_sgpr_private_segment_size 0
		.amdhsa_wavefront_size32 1
		.amdhsa_uses_dynamic_stack 0
		.amdhsa_system_sgpr_private_segment_wavefront_offset 0
		.amdhsa_system_sgpr_workgroup_id_x 1
		.amdhsa_system_sgpr_workgroup_id_y 0
		.amdhsa_system_sgpr_workgroup_id_z 0
		.amdhsa_system_sgpr_workgroup_info 0
		.amdhsa_system_vgpr_workitem_id 0
		.amdhsa_next_free_vgpr 1
		.amdhsa_next_free_sgpr 1
		.amdhsa_reserve_vcc 0
		.amdhsa_reserve_flat_scratch 0
		.amdhsa_float_round_mode_32 0
		.amdhsa_float_round_mode_16_64 0
		.amdhsa_float_denorm_mode_32 3
		.amdhsa_float_denorm_mode_16_64 3
		.amdhsa_dx10_clamp 1
		.amdhsa_ieee_mode 1
		.amdhsa_fp16_overflow 0
		.amdhsa_workgroup_processor_mode 1
		.amdhsa_memory_ordered 1
		.amdhsa_forward_progress 1
		.amdhsa_shared_vgpr_count 0
		.amdhsa_exception_fp_ieee_invalid_op 0
		.amdhsa_exception_fp_denorm_src 0
		.amdhsa_exception_fp_ieee_div_zero 0
		.amdhsa_exception_fp_ieee_overflow 0
		.amdhsa_exception_fp_ieee_underflow 0
		.amdhsa_exception_fp_ieee_inexact 0
		.amdhsa_exception_int_div_zero 0
	.end_amdhsa_kernel
	.section	.text._ZN7rocprim17ROCPRIM_400000_NS6detail17trampoline_kernelINS0_14default_configENS1_38merge_sort_block_merge_config_selectorIiNS0_10empty_typeEEEZZNS1_27merge_sort_block_merge_implIS3_N6thrust23THRUST_200600_302600_NS6detail15normal_iteratorINS9_10device_ptrIiEEEEPS5_m9comp_mod3IiEEE10hipError_tT0_T1_T2_jT3_P12ihipStream_tbPNSt15iterator_traitsISJ_E10value_typeEPNSP_ISK_E10value_typeEPSL_NS1_7vsmem_tEENKUlT_SJ_SK_SL_E_clISE_PiSF_SF_EESI_SY_SJ_SK_SL_EUlSY_E0_NS1_11comp_targetILNS1_3genE5ELNS1_11target_archE942ELNS1_3gpuE9ELNS1_3repE0EEENS1_38merge_mergepath_config_static_selectorELNS0_4arch9wavefront6targetE0EEEvSK_,"axG",@progbits,_ZN7rocprim17ROCPRIM_400000_NS6detail17trampoline_kernelINS0_14default_configENS1_38merge_sort_block_merge_config_selectorIiNS0_10empty_typeEEEZZNS1_27merge_sort_block_merge_implIS3_N6thrust23THRUST_200600_302600_NS6detail15normal_iteratorINS9_10device_ptrIiEEEEPS5_m9comp_mod3IiEEE10hipError_tT0_T1_T2_jT3_P12ihipStream_tbPNSt15iterator_traitsISJ_E10value_typeEPNSP_ISK_E10value_typeEPSL_NS1_7vsmem_tEENKUlT_SJ_SK_SL_E_clISE_PiSF_SF_EESI_SY_SJ_SK_SL_EUlSY_E0_NS1_11comp_targetILNS1_3genE5ELNS1_11target_archE942ELNS1_3gpuE9ELNS1_3repE0EEENS1_38merge_mergepath_config_static_selectorELNS0_4arch9wavefront6targetE0EEEvSK_,comdat
.Lfunc_end1022:
	.size	_ZN7rocprim17ROCPRIM_400000_NS6detail17trampoline_kernelINS0_14default_configENS1_38merge_sort_block_merge_config_selectorIiNS0_10empty_typeEEEZZNS1_27merge_sort_block_merge_implIS3_N6thrust23THRUST_200600_302600_NS6detail15normal_iteratorINS9_10device_ptrIiEEEEPS5_m9comp_mod3IiEEE10hipError_tT0_T1_T2_jT3_P12ihipStream_tbPNSt15iterator_traitsISJ_E10value_typeEPNSP_ISK_E10value_typeEPSL_NS1_7vsmem_tEENKUlT_SJ_SK_SL_E_clISE_PiSF_SF_EESI_SY_SJ_SK_SL_EUlSY_E0_NS1_11comp_targetILNS1_3genE5ELNS1_11target_archE942ELNS1_3gpuE9ELNS1_3repE0EEENS1_38merge_mergepath_config_static_selectorELNS0_4arch9wavefront6targetE0EEEvSK_, .Lfunc_end1022-_ZN7rocprim17ROCPRIM_400000_NS6detail17trampoline_kernelINS0_14default_configENS1_38merge_sort_block_merge_config_selectorIiNS0_10empty_typeEEEZZNS1_27merge_sort_block_merge_implIS3_N6thrust23THRUST_200600_302600_NS6detail15normal_iteratorINS9_10device_ptrIiEEEEPS5_m9comp_mod3IiEEE10hipError_tT0_T1_T2_jT3_P12ihipStream_tbPNSt15iterator_traitsISJ_E10value_typeEPNSP_ISK_E10value_typeEPSL_NS1_7vsmem_tEENKUlT_SJ_SK_SL_E_clISE_PiSF_SF_EESI_SY_SJ_SK_SL_EUlSY_E0_NS1_11comp_targetILNS1_3genE5ELNS1_11target_archE942ELNS1_3gpuE9ELNS1_3repE0EEENS1_38merge_mergepath_config_static_selectorELNS0_4arch9wavefront6targetE0EEEvSK_
                                        ; -- End function
	.set _ZN7rocprim17ROCPRIM_400000_NS6detail17trampoline_kernelINS0_14default_configENS1_38merge_sort_block_merge_config_selectorIiNS0_10empty_typeEEEZZNS1_27merge_sort_block_merge_implIS3_N6thrust23THRUST_200600_302600_NS6detail15normal_iteratorINS9_10device_ptrIiEEEEPS5_m9comp_mod3IiEEE10hipError_tT0_T1_T2_jT3_P12ihipStream_tbPNSt15iterator_traitsISJ_E10value_typeEPNSP_ISK_E10value_typeEPSL_NS1_7vsmem_tEENKUlT_SJ_SK_SL_E_clISE_PiSF_SF_EESI_SY_SJ_SK_SL_EUlSY_E0_NS1_11comp_targetILNS1_3genE5ELNS1_11target_archE942ELNS1_3gpuE9ELNS1_3repE0EEENS1_38merge_mergepath_config_static_selectorELNS0_4arch9wavefront6targetE0EEEvSK_.num_vgpr, 0
	.set _ZN7rocprim17ROCPRIM_400000_NS6detail17trampoline_kernelINS0_14default_configENS1_38merge_sort_block_merge_config_selectorIiNS0_10empty_typeEEEZZNS1_27merge_sort_block_merge_implIS3_N6thrust23THRUST_200600_302600_NS6detail15normal_iteratorINS9_10device_ptrIiEEEEPS5_m9comp_mod3IiEEE10hipError_tT0_T1_T2_jT3_P12ihipStream_tbPNSt15iterator_traitsISJ_E10value_typeEPNSP_ISK_E10value_typeEPSL_NS1_7vsmem_tEENKUlT_SJ_SK_SL_E_clISE_PiSF_SF_EESI_SY_SJ_SK_SL_EUlSY_E0_NS1_11comp_targetILNS1_3genE5ELNS1_11target_archE942ELNS1_3gpuE9ELNS1_3repE0EEENS1_38merge_mergepath_config_static_selectorELNS0_4arch9wavefront6targetE0EEEvSK_.num_agpr, 0
	.set _ZN7rocprim17ROCPRIM_400000_NS6detail17trampoline_kernelINS0_14default_configENS1_38merge_sort_block_merge_config_selectorIiNS0_10empty_typeEEEZZNS1_27merge_sort_block_merge_implIS3_N6thrust23THRUST_200600_302600_NS6detail15normal_iteratorINS9_10device_ptrIiEEEEPS5_m9comp_mod3IiEEE10hipError_tT0_T1_T2_jT3_P12ihipStream_tbPNSt15iterator_traitsISJ_E10value_typeEPNSP_ISK_E10value_typeEPSL_NS1_7vsmem_tEENKUlT_SJ_SK_SL_E_clISE_PiSF_SF_EESI_SY_SJ_SK_SL_EUlSY_E0_NS1_11comp_targetILNS1_3genE5ELNS1_11target_archE942ELNS1_3gpuE9ELNS1_3repE0EEENS1_38merge_mergepath_config_static_selectorELNS0_4arch9wavefront6targetE0EEEvSK_.numbered_sgpr, 0
	.set _ZN7rocprim17ROCPRIM_400000_NS6detail17trampoline_kernelINS0_14default_configENS1_38merge_sort_block_merge_config_selectorIiNS0_10empty_typeEEEZZNS1_27merge_sort_block_merge_implIS3_N6thrust23THRUST_200600_302600_NS6detail15normal_iteratorINS9_10device_ptrIiEEEEPS5_m9comp_mod3IiEEE10hipError_tT0_T1_T2_jT3_P12ihipStream_tbPNSt15iterator_traitsISJ_E10value_typeEPNSP_ISK_E10value_typeEPSL_NS1_7vsmem_tEENKUlT_SJ_SK_SL_E_clISE_PiSF_SF_EESI_SY_SJ_SK_SL_EUlSY_E0_NS1_11comp_targetILNS1_3genE5ELNS1_11target_archE942ELNS1_3gpuE9ELNS1_3repE0EEENS1_38merge_mergepath_config_static_selectorELNS0_4arch9wavefront6targetE0EEEvSK_.num_named_barrier, 0
	.set _ZN7rocprim17ROCPRIM_400000_NS6detail17trampoline_kernelINS0_14default_configENS1_38merge_sort_block_merge_config_selectorIiNS0_10empty_typeEEEZZNS1_27merge_sort_block_merge_implIS3_N6thrust23THRUST_200600_302600_NS6detail15normal_iteratorINS9_10device_ptrIiEEEEPS5_m9comp_mod3IiEEE10hipError_tT0_T1_T2_jT3_P12ihipStream_tbPNSt15iterator_traitsISJ_E10value_typeEPNSP_ISK_E10value_typeEPSL_NS1_7vsmem_tEENKUlT_SJ_SK_SL_E_clISE_PiSF_SF_EESI_SY_SJ_SK_SL_EUlSY_E0_NS1_11comp_targetILNS1_3genE5ELNS1_11target_archE942ELNS1_3gpuE9ELNS1_3repE0EEENS1_38merge_mergepath_config_static_selectorELNS0_4arch9wavefront6targetE0EEEvSK_.private_seg_size, 0
	.set _ZN7rocprim17ROCPRIM_400000_NS6detail17trampoline_kernelINS0_14default_configENS1_38merge_sort_block_merge_config_selectorIiNS0_10empty_typeEEEZZNS1_27merge_sort_block_merge_implIS3_N6thrust23THRUST_200600_302600_NS6detail15normal_iteratorINS9_10device_ptrIiEEEEPS5_m9comp_mod3IiEEE10hipError_tT0_T1_T2_jT3_P12ihipStream_tbPNSt15iterator_traitsISJ_E10value_typeEPNSP_ISK_E10value_typeEPSL_NS1_7vsmem_tEENKUlT_SJ_SK_SL_E_clISE_PiSF_SF_EESI_SY_SJ_SK_SL_EUlSY_E0_NS1_11comp_targetILNS1_3genE5ELNS1_11target_archE942ELNS1_3gpuE9ELNS1_3repE0EEENS1_38merge_mergepath_config_static_selectorELNS0_4arch9wavefront6targetE0EEEvSK_.uses_vcc, 0
	.set _ZN7rocprim17ROCPRIM_400000_NS6detail17trampoline_kernelINS0_14default_configENS1_38merge_sort_block_merge_config_selectorIiNS0_10empty_typeEEEZZNS1_27merge_sort_block_merge_implIS3_N6thrust23THRUST_200600_302600_NS6detail15normal_iteratorINS9_10device_ptrIiEEEEPS5_m9comp_mod3IiEEE10hipError_tT0_T1_T2_jT3_P12ihipStream_tbPNSt15iterator_traitsISJ_E10value_typeEPNSP_ISK_E10value_typeEPSL_NS1_7vsmem_tEENKUlT_SJ_SK_SL_E_clISE_PiSF_SF_EESI_SY_SJ_SK_SL_EUlSY_E0_NS1_11comp_targetILNS1_3genE5ELNS1_11target_archE942ELNS1_3gpuE9ELNS1_3repE0EEENS1_38merge_mergepath_config_static_selectorELNS0_4arch9wavefront6targetE0EEEvSK_.uses_flat_scratch, 0
	.set _ZN7rocprim17ROCPRIM_400000_NS6detail17trampoline_kernelINS0_14default_configENS1_38merge_sort_block_merge_config_selectorIiNS0_10empty_typeEEEZZNS1_27merge_sort_block_merge_implIS3_N6thrust23THRUST_200600_302600_NS6detail15normal_iteratorINS9_10device_ptrIiEEEEPS5_m9comp_mod3IiEEE10hipError_tT0_T1_T2_jT3_P12ihipStream_tbPNSt15iterator_traitsISJ_E10value_typeEPNSP_ISK_E10value_typeEPSL_NS1_7vsmem_tEENKUlT_SJ_SK_SL_E_clISE_PiSF_SF_EESI_SY_SJ_SK_SL_EUlSY_E0_NS1_11comp_targetILNS1_3genE5ELNS1_11target_archE942ELNS1_3gpuE9ELNS1_3repE0EEENS1_38merge_mergepath_config_static_selectorELNS0_4arch9wavefront6targetE0EEEvSK_.has_dyn_sized_stack, 0
	.set _ZN7rocprim17ROCPRIM_400000_NS6detail17trampoline_kernelINS0_14default_configENS1_38merge_sort_block_merge_config_selectorIiNS0_10empty_typeEEEZZNS1_27merge_sort_block_merge_implIS3_N6thrust23THRUST_200600_302600_NS6detail15normal_iteratorINS9_10device_ptrIiEEEEPS5_m9comp_mod3IiEEE10hipError_tT0_T1_T2_jT3_P12ihipStream_tbPNSt15iterator_traitsISJ_E10value_typeEPNSP_ISK_E10value_typeEPSL_NS1_7vsmem_tEENKUlT_SJ_SK_SL_E_clISE_PiSF_SF_EESI_SY_SJ_SK_SL_EUlSY_E0_NS1_11comp_targetILNS1_3genE5ELNS1_11target_archE942ELNS1_3gpuE9ELNS1_3repE0EEENS1_38merge_mergepath_config_static_selectorELNS0_4arch9wavefront6targetE0EEEvSK_.has_recursion, 0
	.set _ZN7rocprim17ROCPRIM_400000_NS6detail17trampoline_kernelINS0_14default_configENS1_38merge_sort_block_merge_config_selectorIiNS0_10empty_typeEEEZZNS1_27merge_sort_block_merge_implIS3_N6thrust23THRUST_200600_302600_NS6detail15normal_iteratorINS9_10device_ptrIiEEEEPS5_m9comp_mod3IiEEE10hipError_tT0_T1_T2_jT3_P12ihipStream_tbPNSt15iterator_traitsISJ_E10value_typeEPNSP_ISK_E10value_typeEPSL_NS1_7vsmem_tEENKUlT_SJ_SK_SL_E_clISE_PiSF_SF_EESI_SY_SJ_SK_SL_EUlSY_E0_NS1_11comp_targetILNS1_3genE5ELNS1_11target_archE942ELNS1_3gpuE9ELNS1_3repE0EEENS1_38merge_mergepath_config_static_selectorELNS0_4arch9wavefront6targetE0EEEvSK_.has_indirect_call, 0
	.section	.AMDGPU.csdata,"",@progbits
; Kernel info:
; codeLenInByte = 0
; TotalNumSgprs: 0
; NumVgprs: 0
; ScratchSize: 0
; MemoryBound: 0
; FloatMode: 240
; IeeeMode: 1
; LDSByteSize: 0 bytes/workgroup (compile time only)
; SGPRBlocks: 0
; VGPRBlocks: 0
; NumSGPRsForWavesPerEU: 1
; NumVGPRsForWavesPerEU: 1
; Occupancy: 16
; WaveLimiterHint : 0
; COMPUTE_PGM_RSRC2:SCRATCH_EN: 0
; COMPUTE_PGM_RSRC2:USER_SGPR: 6
; COMPUTE_PGM_RSRC2:TRAP_HANDLER: 0
; COMPUTE_PGM_RSRC2:TGID_X_EN: 1
; COMPUTE_PGM_RSRC2:TGID_Y_EN: 0
; COMPUTE_PGM_RSRC2:TGID_Z_EN: 0
; COMPUTE_PGM_RSRC2:TIDIG_COMP_CNT: 0
	.section	.text._ZN7rocprim17ROCPRIM_400000_NS6detail17trampoline_kernelINS0_14default_configENS1_38merge_sort_block_merge_config_selectorIiNS0_10empty_typeEEEZZNS1_27merge_sort_block_merge_implIS3_N6thrust23THRUST_200600_302600_NS6detail15normal_iteratorINS9_10device_ptrIiEEEEPS5_m9comp_mod3IiEEE10hipError_tT0_T1_T2_jT3_P12ihipStream_tbPNSt15iterator_traitsISJ_E10value_typeEPNSP_ISK_E10value_typeEPSL_NS1_7vsmem_tEENKUlT_SJ_SK_SL_E_clISE_PiSF_SF_EESI_SY_SJ_SK_SL_EUlSY_E0_NS1_11comp_targetILNS1_3genE4ELNS1_11target_archE910ELNS1_3gpuE8ELNS1_3repE0EEENS1_38merge_mergepath_config_static_selectorELNS0_4arch9wavefront6targetE0EEEvSK_,"axG",@progbits,_ZN7rocprim17ROCPRIM_400000_NS6detail17trampoline_kernelINS0_14default_configENS1_38merge_sort_block_merge_config_selectorIiNS0_10empty_typeEEEZZNS1_27merge_sort_block_merge_implIS3_N6thrust23THRUST_200600_302600_NS6detail15normal_iteratorINS9_10device_ptrIiEEEEPS5_m9comp_mod3IiEEE10hipError_tT0_T1_T2_jT3_P12ihipStream_tbPNSt15iterator_traitsISJ_E10value_typeEPNSP_ISK_E10value_typeEPSL_NS1_7vsmem_tEENKUlT_SJ_SK_SL_E_clISE_PiSF_SF_EESI_SY_SJ_SK_SL_EUlSY_E0_NS1_11comp_targetILNS1_3genE4ELNS1_11target_archE910ELNS1_3gpuE8ELNS1_3repE0EEENS1_38merge_mergepath_config_static_selectorELNS0_4arch9wavefront6targetE0EEEvSK_,comdat
	.protected	_ZN7rocprim17ROCPRIM_400000_NS6detail17trampoline_kernelINS0_14default_configENS1_38merge_sort_block_merge_config_selectorIiNS0_10empty_typeEEEZZNS1_27merge_sort_block_merge_implIS3_N6thrust23THRUST_200600_302600_NS6detail15normal_iteratorINS9_10device_ptrIiEEEEPS5_m9comp_mod3IiEEE10hipError_tT0_T1_T2_jT3_P12ihipStream_tbPNSt15iterator_traitsISJ_E10value_typeEPNSP_ISK_E10value_typeEPSL_NS1_7vsmem_tEENKUlT_SJ_SK_SL_E_clISE_PiSF_SF_EESI_SY_SJ_SK_SL_EUlSY_E0_NS1_11comp_targetILNS1_3genE4ELNS1_11target_archE910ELNS1_3gpuE8ELNS1_3repE0EEENS1_38merge_mergepath_config_static_selectorELNS0_4arch9wavefront6targetE0EEEvSK_ ; -- Begin function _ZN7rocprim17ROCPRIM_400000_NS6detail17trampoline_kernelINS0_14default_configENS1_38merge_sort_block_merge_config_selectorIiNS0_10empty_typeEEEZZNS1_27merge_sort_block_merge_implIS3_N6thrust23THRUST_200600_302600_NS6detail15normal_iteratorINS9_10device_ptrIiEEEEPS5_m9comp_mod3IiEEE10hipError_tT0_T1_T2_jT3_P12ihipStream_tbPNSt15iterator_traitsISJ_E10value_typeEPNSP_ISK_E10value_typeEPSL_NS1_7vsmem_tEENKUlT_SJ_SK_SL_E_clISE_PiSF_SF_EESI_SY_SJ_SK_SL_EUlSY_E0_NS1_11comp_targetILNS1_3genE4ELNS1_11target_archE910ELNS1_3gpuE8ELNS1_3repE0EEENS1_38merge_mergepath_config_static_selectorELNS0_4arch9wavefront6targetE0EEEvSK_
	.globl	_ZN7rocprim17ROCPRIM_400000_NS6detail17trampoline_kernelINS0_14default_configENS1_38merge_sort_block_merge_config_selectorIiNS0_10empty_typeEEEZZNS1_27merge_sort_block_merge_implIS3_N6thrust23THRUST_200600_302600_NS6detail15normal_iteratorINS9_10device_ptrIiEEEEPS5_m9comp_mod3IiEEE10hipError_tT0_T1_T2_jT3_P12ihipStream_tbPNSt15iterator_traitsISJ_E10value_typeEPNSP_ISK_E10value_typeEPSL_NS1_7vsmem_tEENKUlT_SJ_SK_SL_E_clISE_PiSF_SF_EESI_SY_SJ_SK_SL_EUlSY_E0_NS1_11comp_targetILNS1_3genE4ELNS1_11target_archE910ELNS1_3gpuE8ELNS1_3repE0EEENS1_38merge_mergepath_config_static_selectorELNS0_4arch9wavefront6targetE0EEEvSK_
	.p2align	8
	.type	_ZN7rocprim17ROCPRIM_400000_NS6detail17trampoline_kernelINS0_14default_configENS1_38merge_sort_block_merge_config_selectorIiNS0_10empty_typeEEEZZNS1_27merge_sort_block_merge_implIS3_N6thrust23THRUST_200600_302600_NS6detail15normal_iteratorINS9_10device_ptrIiEEEEPS5_m9comp_mod3IiEEE10hipError_tT0_T1_T2_jT3_P12ihipStream_tbPNSt15iterator_traitsISJ_E10value_typeEPNSP_ISK_E10value_typeEPSL_NS1_7vsmem_tEENKUlT_SJ_SK_SL_E_clISE_PiSF_SF_EESI_SY_SJ_SK_SL_EUlSY_E0_NS1_11comp_targetILNS1_3genE4ELNS1_11target_archE910ELNS1_3gpuE8ELNS1_3repE0EEENS1_38merge_mergepath_config_static_selectorELNS0_4arch9wavefront6targetE0EEEvSK_,@function
_ZN7rocprim17ROCPRIM_400000_NS6detail17trampoline_kernelINS0_14default_configENS1_38merge_sort_block_merge_config_selectorIiNS0_10empty_typeEEEZZNS1_27merge_sort_block_merge_implIS3_N6thrust23THRUST_200600_302600_NS6detail15normal_iteratorINS9_10device_ptrIiEEEEPS5_m9comp_mod3IiEEE10hipError_tT0_T1_T2_jT3_P12ihipStream_tbPNSt15iterator_traitsISJ_E10value_typeEPNSP_ISK_E10value_typeEPSL_NS1_7vsmem_tEENKUlT_SJ_SK_SL_E_clISE_PiSF_SF_EESI_SY_SJ_SK_SL_EUlSY_E0_NS1_11comp_targetILNS1_3genE4ELNS1_11target_archE910ELNS1_3gpuE8ELNS1_3repE0EEENS1_38merge_mergepath_config_static_selectorELNS0_4arch9wavefront6targetE0EEEvSK_: ; @_ZN7rocprim17ROCPRIM_400000_NS6detail17trampoline_kernelINS0_14default_configENS1_38merge_sort_block_merge_config_selectorIiNS0_10empty_typeEEEZZNS1_27merge_sort_block_merge_implIS3_N6thrust23THRUST_200600_302600_NS6detail15normal_iteratorINS9_10device_ptrIiEEEEPS5_m9comp_mod3IiEEE10hipError_tT0_T1_T2_jT3_P12ihipStream_tbPNSt15iterator_traitsISJ_E10value_typeEPNSP_ISK_E10value_typeEPSL_NS1_7vsmem_tEENKUlT_SJ_SK_SL_E_clISE_PiSF_SF_EESI_SY_SJ_SK_SL_EUlSY_E0_NS1_11comp_targetILNS1_3genE4ELNS1_11target_archE910ELNS1_3gpuE8ELNS1_3repE0EEENS1_38merge_mergepath_config_static_selectorELNS0_4arch9wavefront6targetE0EEEvSK_
; %bb.0:
	.section	.rodata,"a",@progbits
	.p2align	6, 0x0
	.amdhsa_kernel _ZN7rocprim17ROCPRIM_400000_NS6detail17trampoline_kernelINS0_14default_configENS1_38merge_sort_block_merge_config_selectorIiNS0_10empty_typeEEEZZNS1_27merge_sort_block_merge_implIS3_N6thrust23THRUST_200600_302600_NS6detail15normal_iteratorINS9_10device_ptrIiEEEEPS5_m9comp_mod3IiEEE10hipError_tT0_T1_T2_jT3_P12ihipStream_tbPNSt15iterator_traitsISJ_E10value_typeEPNSP_ISK_E10value_typeEPSL_NS1_7vsmem_tEENKUlT_SJ_SK_SL_E_clISE_PiSF_SF_EESI_SY_SJ_SK_SL_EUlSY_E0_NS1_11comp_targetILNS1_3genE4ELNS1_11target_archE910ELNS1_3gpuE8ELNS1_3repE0EEENS1_38merge_mergepath_config_static_selectorELNS0_4arch9wavefront6targetE0EEEvSK_
		.amdhsa_group_segment_fixed_size 0
		.amdhsa_private_segment_fixed_size 0
		.amdhsa_kernarg_size 80
		.amdhsa_user_sgpr_count 6
		.amdhsa_user_sgpr_private_segment_buffer 1
		.amdhsa_user_sgpr_dispatch_ptr 0
		.amdhsa_user_sgpr_queue_ptr 0
		.amdhsa_user_sgpr_kernarg_segment_ptr 1
		.amdhsa_user_sgpr_dispatch_id 0
		.amdhsa_user_sgpr_flat_scratch_init 0
		.amdhsa_user_sgpr_private_segment_size 0
		.amdhsa_wavefront_size32 1
		.amdhsa_uses_dynamic_stack 0
		.amdhsa_system_sgpr_private_segment_wavefront_offset 0
		.amdhsa_system_sgpr_workgroup_id_x 1
		.amdhsa_system_sgpr_workgroup_id_y 0
		.amdhsa_system_sgpr_workgroup_id_z 0
		.amdhsa_system_sgpr_workgroup_info 0
		.amdhsa_system_vgpr_workitem_id 0
		.amdhsa_next_free_vgpr 1
		.amdhsa_next_free_sgpr 1
		.amdhsa_reserve_vcc 0
		.amdhsa_reserve_flat_scratch 0
		.amdhsa_float_round_mode_32 0
		.amdhsa_float_round_mode_16_64 0
		.amdhsa_float_denorm_mode_32 3
		.amdhsa_float_denorm_mode_16_64 3
		.amdhsa_dx10_clamp 1
		.amdhsa_ieee_mode 1
		.amdhsa_fp16_overflow 0
		.amdhsa_workgroup_processor_mode 1
		.amdhsa_memory_ordered 1
		.amdhsa_forward_progress 1
		.amdhsa_shared_vgpr_count 0
		.amdhsa_exception_fp_ieee_invalid_op 0
		.amdhsa_exception_fp_denorm_src 0
		.amdhsa_exception_fp_ieee_div_zero 0
		.amdhsa_exception_fp_ieee_overflow 0
		.amdhsa_exception_fp_ieee_underflow 0
		.amdhsa_exception_fp_ieee_inexact 0
		.amdhsa_exception_int_div_zero 0
	.end_amdhsa_kernel
	.section	.text._ZN7rocprim17ROCPRIM_400000_NS6detail17trampoline_kernelINS0_14default_configENS1_38merge_sort_block_merge_config_selectorIiNS0_10empty_typeEEEZZNS1_27merge_sort_block_merge_implIS3_N6thrust23THRUST_200600_302600_NS6detail15normal_iteratorINS9_10device_ptrIiEEEEPS5_m9comp_mod3IiEEE10hipError_tT0_T1_T2_jT3_P12ihipStream_tbPNSt15iterator_traitsISJ_E10value_typeEPNSP_ISK_E10value_typeEPSL_NS1_7vsmem_tEENKUlT_SJ_SK_SL_E_clISE_PiSF_SF_EESI_SY_SJ_SK_SL_EUlSY_E0_NS1_11comp_targetILNS1_3genE4ELNS1_11target_archE910ELNS1_3gpuE8ELNS1_3repE0EEENS1_38merge_mergepath_config_static_selectorELNS0_4arch9wavefront6targetE0EEEvSK_,"axG",@progbits,_ZN7rocprim17ROCPRIM_400000_NS6detail17trampoline_kernelINS0_14default_configENS1_38merge_sort_block_merge_config_selectorIiNS0_10empty_typeEEEZZNS1_27merge_sort_block_merge_implIS3_N6thrust23THRUST_200600_302600_NS6detail15normal_iteratorINS9_10device_ptrIiEEEEPS5_m9comp_mod3IiEEE10hipError_tT0_T1_T2_jT3_P12ihipStream_tbPNSt15iterator_traitsISJ_E10value_typeEPNSP_ISK_E10value_typeEPSL_NS1_7vsmem_tEENKUlT_SJ_SK_SL_E_clISE_PiSF_SF_EESI_SY_SJ_SK_SL_EUlSY_E0_NS1_11comp_targetILNS1_3genE4ELNS1_11target_archE910ELNS1_3gpuE8ELNS1_3repE0EEENS1_38merge_mergepath_config_static_selectorELNS0_4arch9wavefront6targetE0EEEvSK_,comdat
.Lfunc_end1023:
	.size	_ZN7rocprim17ROCPRIM_400000_NS6detail17trampoline_kernelINS0_14default_configENS1_38merge_sort_block_merge_config_selectorIiNS0_10empty_typeEEEZZNS1_27merge_sort_block_merge_implIS3_N6thrust23THRUST_200600_302600_NS6detail15normal_iteratorINS9_10device_ptrIiEEEEPS5_m9comp_mod3IiEEE10hipError_tT0_T1_T2_jT3_P12ihipStream_tbPNSt15iterator_traitsISJ_E10value_typeEPNSP_ISK_E10value_typeEPSL_NS1_7vsmem_tEENKUlT_SJ_SK_SL_E_clISE_PiSF_SF_EESI_SY_SJ_SK_SL_EUlSY_E0_NS1_11comp_targetILNS1_3genE4ELNS1_11target_archE910ELNS1_3gpuE8ELNS1_3repE0EEENS1_38merge_mergepath_config_static_selectorELNS0_4arch9wavefront6targetE0EEEvSK_, .Lfunc_end1023-_ZN7rocprim17ROCPRIM_400000_NS6detail17trampoline_kernelINS0_14default_configENS1_38merge_sort_block_merge_config_selectorIiNS0_10empty_typeEEEZZNS1_27merge_sort_block_merge_implIS3_N6thrust23THRUST_200600_302600_NS6detail15normal_iteratorINS9_10device_ptrIiEEEEPS5_m9comp_mod3IiEEE10hipError_tT0_T1_T2_jT3_P12ihipStream_tbPNSt15iterator_traitsISJ_E10value_typeEPNSP_ISK_E10value_typeEPSL_NS1_7vsmem_tEENKUlT_SJ_SK_SL_E_clISE_PiSF_SF_EESI_SY_SJ_SK_SL_EUlSY_E0_NS1_11comp_targetILNS1_3genE4ELNS1_11target_archE910ELNS1_3gpuE8ELNS1_3repE0EEENS1_38merge_mergepath_config_static_selectorELNS0_4arch9wavefront6targetE0EEEvSK_
                                        ; -- End function
	.set _ZN7rocprim17ROCPRIM_400000_NS6detail17trampoline_kernelINS0_14default_configENS1_38merge_sort_block_merge_config_selectorIiNS0_10empty_typeEEEZZNS1_27merge_sort_block_merge_implIS3_N6thrust23THRUST_200600_302600_NS6detail15normal_iteratorINS9_10device_ptrIiEEEEPS5_m9comp_mod3IiEEE10hipError_tT0_T1_T2_jT3_P12ihipStream_tbPNSt15iterator_traitsISJ_E10value_typeEPNSP_ISK_E10value_typeEPSL_NS1_7vsmem_tEENKUlT_SJ_SK_SL_E_clISE_PiSF_SF_EESI_SY_SJ_SK_SL_EUlSY_E0_NS1_11comp_targetILNS1_3genE4ELNS1_11target_archE910ELNS1_3gpuE8ELNS1_3repE0EEENS1_38merge_mergepath_config_static_selectorELNS0_4arch9wavefront6targetE0EEEvSK_.num_vgpr, 0
	.set _ZN7rocprim17ROCPRIM_400000_NS6detail17trampoline_kernelINS0_14default_configENS1_38merge_sort_block_merge_config_selectorIiNS0_10empty_typeEEEZZNS1_27merge_sort_block_merge_implIS3_N6thrust23THRUST_200600_302600_NS6detail15normal_iteratorINS9_10device_ptrIiEEEEPS5_m9comp_mod3IiEEE10hipError_tT0_T1_T2_jT3_P12ihipStream_tbPNSt15iterator_traitsISJ_E10value_typeEPNSP_ISK_E10value_typeEPSL_NS1_7vsmem_tEENKUlT_SJ_SK_SL_E_clISE_PiSF_SF_EESI_SY_SJ_SK_SL_EUlSY_E0_NS1_11comp_targetILNS1_3genE4ELNS1_11target_archE910ELNS1_3gpuE8ELNS1_3repE0EEENS1_38merge_mergepath_config_static_selectorELNS0_4arch9wavefront6targetE0EEEvSK_.num_agpr, 0
	.set _ZN7rocprim17ROCPRIM_400000_NS6detail17trampoline_kernelINS0_14default_configENS1_38merge_sort_block_merge_config_selectorIiNS0_10empty_typeEEEZZNS1_27merge_sort_block_merge_implIS3_N6thrust23THRUST_200600_302600_NS6detail15normal_iteratorINS9_10device_ptrIiEEEEPS5_m9comp_mod3IiEEE10hipError_tT0_T1_T2_jT3_P12ihipStream_tbPNSt15iterator_traitsISJ_E10value_typeEPNSP_ISK_E10value_typeEPSL_NS1_7vsmem_tEENKUlT_SJ_SK_SL_E_clISE_PiSF_SF_EESI_SY_SJ_SK_SL_EUlSY_E0_NS1_11comp_targetILNS1_3genE4ELNS1_11target_archE910ELNS1_3gpuE8ELNS1_3repE0EEENS1_38merge_mergepath_config_static_selectorELNS0_4arch9wavefront6targetE0EEEvSK_.numbered_sgpr, 0
	.set _ZN7rocprim17ROCPRIM_400000_NS6detail17trampoline_kernelINS0_14default_configENS1_38merge_sort_block_merge_config_selectorIiNS0_10empty_typeEEEZZNS1_27merge_sort_block_merge_implIS3_N6thrust23THRUST_200600_302600_NS6detail15normal_iteratorINS9_10device_ptrIiEEEEPS5_m9comp_mod3IiEEE10hipError_tT0_T1_T2_jT3_P12ihipStream_tbPNSt15iterator_traitsISJ_E10value_typeEPNSP_ISK_E10value_typeEPSL_NS1_7vsmem_tEENKUlT_SJ_SK_SL_E_clISE_PiSF_SF_EESI_SY_SJ_SK_SL_EUlSY_E0_NS1_11comp_targetILNS1_3genE4ELNS1_11target_archE910ELNS1_3gpuE8ELNS1_3repE0EEENS1_38merge_mergepath_config_static_selectorELNS0_4arch9wavefront6targetE0EEEvSK_.num_named_barrier, 0
	.set _ZN7rocprim17ROCPRIM_400000_NS6detail17trampoline_kernelINS0_14default_configENS1_38merge_sort_block_merge_config_selectorIiNS0_10empty_typeEEEZZNS1_27merge_sort_block_merge_implIS3_N6thrust23THRUST_200600_302600_NS6detail15normal_iteratorINS9_10device_ptrIiEEEEPS5_m9comp_mod3IiEEE10hipError_tT0_T1_T2_jT3_P12ihipStream_tbPNSt15iterator_traitsISJ_E10value_typeEPNSP_ISK_E10value_typeEPSL_NS1_7vsmem_tEENKUlT_SJ_SK_SL_E_clISE_PiSF_SF_EESI_SY_SJ_SK_SL_EUlSY_E0_NS1_11comp_targetILNS1_3genE4ELNS1_11target_archE910ELNS1_3gpuE8ELNS1_3repE0EEENS1_38merge_mergepath_config_static_selectorELNS0_4arch9wavefront6targetE0EEEvSK_.private_seg_size, 0
	.set _ZN7rocprim17ROCPRIM_400000_NS6detail17trampoline_kernelINS0_14default_configENS1_38merge_sort_block_merge_config_selectorIiNS0_10empty_typeEEEZZNS1_27merge_sort_block_merge_implIS3_N6thrust23THRUST_200600_302600_NS6detail15normal_iteratorINS9_10device_ptrIiEEEEPS5_m9comp_mod3IiEEE10hipError_tT0_T1_T2_jT3_P12ihipStream_tbPNSt15iterator_traitsISJ_E10value_typeEPNSP_ISK_E10value_typeEPSL_NS1_7vsmem_tEENKUlT_SJ_SK_SL_E_clISE_PiSF_SF_EESI_SY_SJ_SK_SL_EUlSY_E0_NS1_11comp_targetILNS1_3genE4ELNS1_11target_archE910ELNS1_3gpuE8ELNS1_3repE0EEENS1_38merge_mergepath_config_static_selectorELNS0_4arch9wavefront6targetE0EEEvSK_.uses_vcc, 0
	.set _ZN7rocprim17ROCPRIM_400000_NS6detail17trampoline_kernelINS0_14default_configENS1_38merge_sort_block_merge_config_selectorIiNS0_10empty_typeEEEZZNS1_27merge_sort_block_merge_implIS3_N6thrust23THRUST_200600_302600_NS6detail15normal_iteratorINS9_10device_ptrIiEEEEPS5_m9comp_mod3IiEEE10hipError_tT0_T1_T2_jT3_P12ihipStream_tbPNSt15iterator_traitsISJ_E10value_typeEPNSP_ISK_E10value_typeEPSL_NS1_7vsmem_tEENKUlT_SJ_SK_SL_E_clISE_PiSF_SF_EESI_SY_SJ_SK_SL_EUlSY_E0_NS1_11comp_targetILNS1_3genE4ELNS1_11target_archE910ELNS1_3gpuE8ELNS1_3repE0EEENS1_38merge_mergepath_config_static_selectorELNS0_4arch9wavefront6targetE0EEEvSK_.uses_flat_scratch, 0
	.set _ZN7rocprim17ROCPRIM_400000_NS6detail17trampoline_kernelINS0_14default_configENS1_38merge_sort_block_merge_config_selectorIiNS0_10empty_typeEEEZZNS1_27merge_sort_block_merge_implIS3_N6thrust23THRUST_200600_302600_NS6detail15normal_iteratorINS9_10device_ptrIiEEEEPS5_m9comp_mod3IiEEE10hipError_tT0_T1_T2_jT3_P12ihipStream_tbPNSt15iterator_traitsISJ_E10value_typeEPNSP_ISK_E10value_typeEPSL_NS1_7vsmem_tEENKUlT_SJ_SK_SL_E_clISE_PiSF_SF_EESI_SY_SJ_SK_SL_EUlSY_E0_NS1_11comp_targetILNS1_3genE4ELNS1_11target_archE910ELNS1_3gpuE8ELNS1_3repE0EEENS1_38merge_mergepath_config_static_selectorELNS0_4arch9wavefront6targetE0EEEvSK_.has_dyn_sized_stack, 0
	.set _ZN7rocprim17ROCPRIM_400000_NS6detail17trampoline_kernelINS0_14default_configENS1_38merge_sort_block_merge_config_selectorIiNS0_10empty_typeEEEZZNS1_27merge_sort_block_merge_implIS3_N6thrust23THRUST_200600_302600_NS6detail15normal_iteratorINS9_10device_ptrIiEEEEPS5_m9comp_mod3IiEEE10hipError_tT0_T1_T2_jT3_P12ihipStream_tbPNSt15iterator_traitsISJ_E10value_typeEPNSP_ISK_E10value_typeEPSL_NS1_7vsmem_tEENKUlT_SJ_SK_SL_E_clISE_PiSF_SF_EESI_SY_SJ_SK_SL_EUlSY_E0_NS1_11comp_targetILNS1_3genE4ELNS1_11target_archE910ELNS1_3gpuE8ELNS1_3repE0EEENS1_38merge_mergepath_config_static_selectorELNS0_4arch9wavefront6targetE0EEEvSK_.has_recursion, 0
	.set _ZN7rocprim17ROCPRIM_400000_NS6detail17trampoline_kernelINS0_14default_configENS1_38merge_sort_block_merge_config_selectorIiNS0_10empty_typeEEEZZNS1_27merge_sort_block_merge_implIS3_N6thrust23THRUST_200600_302600_NS6detail15normal_iteratorINS9_10device_ptrIiEEEEPS5_m9comp_mod3IiEEE10hipError_tT0_T1_T2_jT3_P12ihipStream_tbPNSt15iterator_traitsISJ_E10value_typeEPNSP_ISK_E10value_typeEPSL_NS1_7vsmem_tEENKUlT_SJ_SK_SL_E_clISE_PiSF_SF_EESI_SY_SJ_SK_SL_EUlSY_E0_NS1_11comp_targetILNS1_3genE4ELNS1_11target_archE910ELNS1_3gpuE8ELNS1_3repE0EEENS1_38merge_mergepath_config_static_selectorELNS0_4arch9wavefront6targetE0EEEvSK_.has_indirect_call, 0
	.section	.AMDGPU.csdata,"",@progbits
; Kernel info:
; codeLenInByte = 0
; TotalNumSgprs: 0
; NumVgprs: 0
; ScratchSize: 0
; MemoryBound: 0
; FloatMode: 240
; IeeeMode: 1
; LDSByteSize: 0 bytes/workgroup (compile time only)
; SGPRBlocks: 0
; VGPRBlocks: 0
; NumSGPRsForWavesPerEU: 1
; NumVGPRsForWavesPerEU: 1
; Occupancy: 16
; WaveLimiterHint : 0
; COMPUTE_PGM_RSRC2:SCRATCH_EN: 0
; COMPUTE_PGM_RSRC2:USER_SGPR: 6
; COMPUTE_PGM_RSRC2:TRAP_HANDLER: 0
; COMPUTE_PGM_RSRC2:TGID_X_EN: 1
; COMPUTE_PGM_RSRC2:TGID_Y_EN: 0
; COMPUTE_PGM_RSRC2:TGID_Z_EN: 0
; COMPUTE_PGM_RSRC2:TIDIG_COMP_CNT: 0
	.section	.text._ZN7rocprim17ROCPRIM_400000_NS6detail17trampoline_kernelINS0_14default_configENS1_38merge_sort_block_merge_config_selectorIiNS0_10empty_typeEEEZZNS1_27merge_sort_block_merge_implIS3_N6thrust23THRUST_200600_302600_NS6detail15normal_iteratorINS9_10device_ptrIiEEEEPS5_m9comp_mod3IiEEE10hipError_tT0_T1_T2_jT3_P12ihipStream_tbPNSt15iterator_traitsISJ_E10value_typeEPNSP_ISK_E10value_typeEPSL_NS1_7vsmem_tEENKUlT_SJ_SK_SL_E_clISE_PiSF_SF_EESI_SY_SJ_SK_SL_EUlSY_E0_NS1_11comp_targetILNS1_3genE3ELNS1_11target_archE908ELNS1_3gpuE7ELNS1_3repE0EEENS1_38merge_mergepath_config_static_selectorELNS0_4arch9wavefront6targetE0EEEvSK_,"axG",@progbits,_ZN7rocprim17ROCPRIM_400000_NS6detail17trampoline_kernelINS0_14default_configENS1_38merge_sort_block_merge_config_selectorIiNS0_10empty_typeEEEZZNS1_27merge_sort_block_merge_implIS3_N6thrust23THRUST_200600_302600_NS6detail15normal_iteratorINS9_10device_ptrIiEEEEPS5_m9comp_mod3IiEEE10hipError_tT0_T1_T2_jT3_P12ihipStream_tbPNSt15iterator_traitsISJ_E10value_typeEPNSP_ISK_E10value_typeEPSL_NS1_7vsmem_tEENKUlT_SJ_SK_SL_E_clISE_PiSF_SF_EESI_SY_SJ_SK_SL_EUlSY_E0_NS1_11comp_targetILNS1_3genE3ELNS1_11target_archE908ELNS1_3gpuE7ELNS1_3repE0EEENS1_38merge_mergepath_config_static_selectorELNS0_4arch9wavefront6targetE0EEEvSK_,comdat
	.protected	_ZN7rocprim17ROCPRIM_400000_NS6detail17trampoline_kernelINS0_14default_configENS1_38merge_sort_block_merge_config_selectorIiNS0_10empty_typeEEEZZNS1_27merge_sort_block_merge_implIS3_N6thrust23THRUST_200600_302600_NS6detail15normal_iteratorINS9_10device_ptrIiEEEEPS5_m9comp_mod3IiEEE10hipError_tT0_T1_T2_jT3_P12ihipStream_tbPNSt15iterator_traitsISJ_E10value_typeEPNSP_ISK_E10value_typeEPSL_NS1_7vsmem_tEENKUlT_SJ_SK_SL_E_clISE_PiSF_SF_EESI_SY_SJ_SK_SL_EUlSY_E0_NS1_11comp_targetILNS1_3genE3ELNS1_11target_archE908ELNS1_3gpuE7ELNS1_3repE0EEENS1_38merge_mergepath_config_static_selectorELNS0_4arch9wavefront6targetE0EEEvSK_ ; -- Begin function _ZN7rocprim17ROCPRIM_400000_NS6detail17trampoline_kernelINS0_14default_configENS1_38merge_sort_block_merge_config_selectorIiNS0_10empty_typeEEEZZNS1_27merge_sort_block_merge_implIS3_N6thrust23THRUST_200600_302600_NS6detail15normal_iteratorINS9_10device_ptrIiEEEEPS5_m9comp_mod3IiEEE10hipError_tT0_T1_T2_jT3_P12ihipStream_tbPNSt15iterator_traitsISJ_E10value_typeEPNSP_ISK_E10value_typeEPSL_NS1_7vsmem_tEENKUlT_SJ_SK_SL_E_clISE_PiSF_SF_EESI_SY_SJ_SK_SL_EUlSY_E0_NS1_11comp_targetILNS1_3genE3ELNS1_11target_archE908ELNS1_3gpuE7ELNS1_3repE0EEENS1_38merge_mergepath_config_static_selectorELNS0_4arch9wavefront6targetE0EEEvSK_
	.globl	_ZN7rocprim17ROCPRIM_400000_NS6detail17trampoline_kernelINS0_14default_configENS1_38merge_sort_block_merge_config_selectorIiNS0_10empty_typeEEEZZNS1_27merge_sort_block_merge_implIS3_N6thrust23THRUST_200600_302600_NS6detail15normal_iteratorINS9_10device_ptrIiEEEEPS5_m9comp_mod3IiEEE10hipError_tT0_T1_T2_jT3_P12ihipStream_tbPNSt15iterator_traitsISJ_E10value_typeEPNSP_ISK_E10value_typeEPSL_NS1_7vsmem_tEENKUlT_SJ_SK_SL_E_clISE_PiSF_SF_EESI_SY_SJ_SK_SL_EUlSY_E0_NS1_11comp_targetILNS1_3genE3ELNS1_11target_archE908ELNS1_3gpuE7ELNS1_3repE0EEENS1_38merge_mergepath_config_static_selectorELNS0_4arch9wavefront6targetE0EEEvSK_
	.p2align	8
	.type	_ZN7rocprim17ROCPRIM_400000_NS6detail17trampoline_kernelINS0_14default_configENS1_38merge_sort_block_merge_config_selectorIiNS0_10empty_typeEEEZZNS1_27merge_sort_block_merge_implIS3_N6thrust23THRUST_200600_302600_NS6detail15normal_iteratorINS9_10device_ptrIiEEEEPS5_m9comp_mod3IiEEE10hipError_tT0_T1_T2_jT3_P12ihipStream_tbPNSt15iterator_traitsISJ_E10value_typeEPNSP_ISK_E10value_typeEPSL_NS1_7vsmem_tEENKUlT_SJ_SK_SL_E_clISE_PiSF_SF_EESI_SY_SJ_SK_SL_EUlSY_E0_NS1_11comp_targetILNS1_3genE3ELNS1_11target_archE908ELNS1_3gpuE7ELNS1_3repE0EEENS1_38merge_mergepath_config_static_selectorELNS0_4arch9wavefront6targetE0EEEvSK_,@function
_ZN7rocprim17ROCPRIM_400000_NS6detail17trampoline_kernelINS0_14default_configENS1_38merge_sort_block_merge_config_selectorIiNS0_10empty_typeEEEZZNS1_27merge_sort_block_merge_implIS3_N6thrust23THRUST_200600_302600_NS6detail15normal_iteratorINS9_10device_ptrIiEEEEPS5_m9comp_mod3IiEEE10hipError_tT0_T1_T2_jT3_P12ihipStream_tbPNSt15iterator_traitsISJ_E10value_typeEPNSP_ISK_E10value_typeEPSL_NS1_7vsmem_tEENKUlT_SJ_SK_SL_E_clISE_PiSF_SF_EESI_SY_SJ_SK_SL_EUlSY_E0_NS1_11comp_targetILNS1_3genE3ELNS1_11target_archE908ELNS1_3gpuE7ELNS1_3repE0EEENS1_38merge_mergepath_config_static_selectorELNS0_4arch9wavefront6targetE0EEEvSK_: ; @_ZN7rocprim17ROCPRIM_400000_NS6detail17trampoline_kernelINS0_14default_configENS1_38merge_sort_block_merge_config_selectorIiNS0_10empty_typeEEEZZNS1_27merge_sort_block_merge_implIS3_N6thrust23THRUST_200600_302600_NS6detail15normal_iteratorINS9_10device_ptrIiEEEEPS5_m9comp_mod3IiEEE10hipError_tT0_T1_T2_jT3_P12ihipStream_tbPNSt15iterator_traitsISJ_E10value_typeEPNSP_ISK_E10value_typeEPSL_NS1_7vsmem_tEENKUlT_SJ_SK_SL_E_clISE_PiSF_SF_EESI_SY_SJ_SK_SL_EUlSY_E0_NS1_11comp_targetILNS1_3genE3ELNS1_11target_archE908ELNS1_3gpuE7ELNS1_3repE0EEENS1_38merge_mergepath_config_static_selectorELNS0_4arch9wavefront6targetE0EEEvSK_
; %bb.0:
	.section	.rodata,"a",@progbits
	.p2align	6, 0x0
	.amdhsa_kernel _ZN7rocprim17ROCPRIM_400000_NS6detail17trampoline_kernelINS0_14default_configENS1_38merge_sort_block_merge_config_selectorIiNS0_10empty_typeEEEZZNS1_27merge_sort_block_merge_implIS3_N6thrust23THRUST_200600_302600_NS6detail15normal_iteratorINS9_10device_ptrIiEEEEPS5_m9comp_mod3IiEEE10hipError_tT0_T1_T2_jT3_P12ihipStream_tbPNSt15iterator_traitsISJ_E10value_typeEPNSP_ISK_E10value_typeEPSL_NS1_7vsmem_tEENKUlT_SJ_SK_SL_E_clISE_PiSF_SF_EESI_SY_SJ_SK_SL_EUlSY_E0_NS1_11comp_targetILNS1_3genE3ELNS1_11target_archE908ELNS1_3gpuE7ELNS1_3repE0EEENS1_38merge_mergepath_config_static_selectorELNS0_4arch9wavefront6targetE0EEEvSK_
		.amdhsa_group_segment_fixed_size 0
		.amdhsa_private_segment_fixed_size 0
		.amdhsa_kernarg_size 80
		.amdhsa_user_sgpr_count 6
		.amdhsa_user_sgpr_private_segment_buffer 1
		.amdhsa_user_sgpr_dispatch_ptr 0
		.amdhsa_user_sgpr_queue_ptr 0
		.amdhsa_user_sgpr_kernarg_segment_ptr 1
		.amdhsa_user_sgpr_dispatch_id 0
		.amdhsa_user_sgpr_flat_scratch_init 0
		.amdhsa_user_sgpr_private_segment_size 0
		.amdhsa_wavefront_size32 1
		.amdhsa_uses_dynamic_stack 0
		.amdhsa_system_sgpr_private_segment_wavefront_offset 0
		.amdhsa_system_sgpr_workgroup_id_x 1
		.amdhsa_system_sgpr_workgroup_id_y 0
		.amdhsa_system_sgpr_workgroup_id_z 0
		.amdhsa_system_sgpr_workgroup_info 0
		.amdhsa_system_vgpr_workitem_id 0
		.amdhsa_next_free_vgpr 1
		.amdhsa_next_free_sgpr 1
		.amdhsa_reserve_vcc 0
		.amdhsa_reserve_flat_scratch 0
		.amdhsa_float_round_mode_32 0
		.amdhsa_float_round_mode_16_64 0
		.amdhsa_float_denorm_mode_32 3
		.amdhsa_float_denorm_mode_16_64 3
		.amdhsa_dx10_clamp 1
		.amdhsa_ieee_mode 1
		.amdhsa_fp16_overflow 0
		.amdhsa_workgroup_processor_mode 1
		.amdhsa_memory_ordered 1
		.amdhsa_forward_progress 1
		.amdhsa_shared_vgpr_count 0
		.amdhsa_exception_fp_ieee_invalid_op 0
		.amdhsa_exception_fp_denorm_src 0
		.amdhsa_exception_fp_ieee_div_zero 0
		.amdhsa_exception_fp_ieee_overflow 0
		.amdhsa_exception_fp_ieee_underflow 0
		.amdhsa_exception_fp_ieee_inexact 0
		.amdhsa_exception_int_div_zero 0
	.end_amdhsa_kernel
	.section	.text._ZN7rocprim17ROCPRIM_400000_NS6detail17trampoline_kernelINS0_14default_configENS1_38merge_sort_block_merge_config_selectorIiNS0_10empty_typeEEEZZNS1_27merge_sort_block_merge_implIS3_N6thrust23THRUST_200600_302600_NS6detail15normal_iteratorINS9_10device_ptrIiEEEEPS5_m9comp_mod3IiEEE10hipError_tT0_T1_T2_jT3_P12ihipStream_tbPNSt15iterator_traitsISJ_E10value_typeEPNSP_ISK_E10value_typeEPSL_NS1_7vsmem_tEENKUlT_SJ_SK_SL_E_clISE_PiSF_SF_EESI_SY_SJ_SK_SL_EUlSY_E0_NS1_11comp_targetILNS1_3genE3ELNS1_11target_archE908ELNS1_3gpuE7ELNS1_3repE0EEENS1_38merge_mergepath_config_static_selectorELNS0_4arch9wavefront6targetE0EEEvSK_,"axG",@progbits,_ZN7rocprim17ROCPRIM_400000_NS6detail17trampoline_kernelINS0_14default_configENS1_38merge_sort_block_merge_config_selectorIiNS0_10empty_typeEEEZZNS1_27merge_sort_block_merge_implIS3_N6thrust23THRUST_200600_302600_NS6detail15normal_iteratorINS9_10device_ptrIiEEEEPS5_m9comp_mod3IiEEE10hipError_tT0_T1_T2_jT3_P12ihipStream_tbPNSt15iterator_traitsISJ_E10value_typeEPNSP_ISK_E10value_typeEPSL_NS1_7vsmem_tEENKUlT_SJ_SK_SL_E_clISE_PiSF_SF_EESI_SY_SJ_SK_SL_EUlSY_E0_NS1_11comp_targetILNS1_3genE3ELNS1_11target_archE908ELNS1_3gpuE7ELNS1_3repE0EEENS1_38merge_mergepath_config_static_selectorELNS0_4arch9wavefront6targetE0EEEvSK_,comdat
.Lfunc_end1024:
	.size	_ZN7rocprim17ROCPRIM_400000_NS6detail17trampoline_kernelINS0_14default_configENS1_38merge_sort_block_merge_config_selectorIiNS0_10empty_typeEEEZZNS1_27merge_sort_block_merge_implIS3_N6thrust23THRUST_200600_302600_NS6detail15normal_iteratorINS9_10device_ptrIiEEEEPS5_m9comp_mod3IiEEE10hipError_tT0_T1_T2_jT3_P12ihipStream_tbPNSt15iterator_traitsISJ_E10value_typeEPNSP_ISK_E10value_typeEPSL_NS1_7vsmem_tEENKUlT_SJ_SK_SL_E_clISE_PiSF_SF_EESI_SY_SJ_SK_SL_EUlSY_E0_NS1_11comp_targetILNS1_3genE3ELNS1_11target_archE908ELNS1_3gpuE7ELNS1_3repE0EEENS1_38merge_mergepath_config_static_selectorELNS0_4arch9wavefront6targetE0EEEvSK_, .Lfunc_end1024-_ZN7rocprim17ROCPRIM_400000_NS6detail17trampoline_kernelINS0_14default_configENS1_38merge_sort_block_merge_config_selectorIiNS0_10empty_typeEEEZZNS1_27merge_sort_block_merge_implIS3_N6thrust23THRUST_200600_302600_NS6detail15normal_iteratorINS9_10device_ptrIiEEEEPS5_m9comp_mod3IiEEE10hipError_tT0_T1_T2_jT3_P12ihipStream_tbPNSt15iterator_traitsISJ_E10value_typeEPNSP_ISK_E10value_typeEPSL_NS1_7vsmem_tEENKUlT_SJ_SK_SL_E_clISE_PiSF_SF_EESI_SY_SJ_SK_SL_EUlSY_E0_NS1_11comp_targetILNS1_3genE3ELNS1_11target_archE908ELNS1_3gpuE7ELNS1_3repE0EEENS1_38merge_mergepath_config_static_selectorELNS0_4arch9wavefront6targetE0EEEvSK_
                                        ; -- End function
	.set _ZN7rocprim17ROCPRIM_400000_NS6detail17trampoline_kernelINS0_14default_configENS1_38merge_sort_block_merge_config_selectorIiNS0_10empty_typeEEEZZNS1_27merge_sort_block_merge_implIS3_N6thrust23THRUST_200600_302600_NS6detail15normal_iteratorINS9_10device_ptrIiEEEEPS5_m9comp_mod3IiEEE10hipError_tT0_T1_T2_jT3_P12ihipStream_tbPNSt15iterator_traitsISJ_E10value_typeEPNSP_ISK_E10value_typeEPSL_NS1_7vsmem_tEENKUlT_SJ_SK_SL_E_clISE_PiSF_SF_EESI_SY_SJ_SK_SL_EUlSY_E0_NS1_11comp_targetILNS1_3genE3ELNS1_11target_archE908ELNS1_3gpuE7ELNS1_3repE0EEENS1_38merge_mergepath_config_static_selectorELNS0_4arch9wavefront6targetE0EEEvSK_.num_vgpr, 0
	.set _ZN7rocprim17ROCPRIM_400000_NS6detail17trampoline_kernelINS0_14default_configENS1_38merge_sort_block_merge_config_selectorIiNS0_10empty_typeEEEZZNS1_27merge_sort_block_merge_implIS3_N6thrust23THRUST_200600_302600_NS6detail15normal_iteratorINS9_10device_ptrIiEEEEPS5_m9comp_mod3IiEEE10hipError_tT0_T1_T2_jT3_P12ihipStream_tbPNSt15iterator_traitsISJ_E10value_typeEPNSP_ISK_E10value_typeEPSL_NS1_7vsmem_tEENKUlT_SJ_SK_SL_E_clISE_PiSF_SF_EESI_SY_SJ_SK_SL_EUlSY_E0_NS1_11comp_targetILNS1_3genE3ELNS1_11target_archE908ELNS1_3gpuE7ELNS1_3repE0EEENS1_38merge_mergepath_config_static_selectorELNS0_4arch9wavefront6targetE0EEEvSK_.num_agpr, 0
	.set _ZN7rocprim17ROCPRIM_400000_NS6detail17trampoline_kernelINS0_14default_configENS1_38merge_sort_block_merge_config_selectorIiNS0_10empty_typeEEEZZNS1_27merge_sort_block_merge_implIS3_N6thrust23THRUST_200600_302600_NS6detail15normal_iteratorINS9_10device_ptrIiEEEEPS5_m9comp_mod3IiEEE10hipError_tT0_T1_T2_jT3_P12ihipStream_tbPNSt15iterator_traitsISJ_E10value_typeEPNSP_ISK_E10value_typeEPSL_NS1_7vsmem_tEENKUlT_SJ_SK_SL_E_clISE_PiSF_SF_EESI_SY_SJ_SK_SL_EUlSY_E0_NS1_11comp_targetILNS1_3genE3ELNS1_11target_archE908ELNS1_3gpuE7ELNS1_3repE0EEENS1_38merge_mergepath_config_static_selectorELNS0_4arch9wavefront6targetE0EEEvSK_.numbered_sgpr, 0
	.set _ZN7rocprim17ROCPRIM_400000_NS6detail17trampoline_kernelINS0_14default_configENS1_38merge_sort_block_merge_config_selectorIiNS0_10empty_typeEEEZZNS1_27merge_sort_block_merge_implIS3_N6thrust23THRUST_200600_302600_NS6detail15normal_iteratorINS9_10device_ptrIiEEEEPS5_m9comp_mod3IiEEE10hipError_tT0_T1_T2_jT3_P12ihipStream_tbPNSt15iterator_traitsISJ_E10value_typeEPNSP_ISK_E10value_typeEPSL_NS1_7vsmem_tEENKUlT_SJ_SK_SL_E_clISE_PiSF_SF_EESI_SY_SJ_SK_SL_EUlSY_E0_NS1_11comp_targetILNS1_3genE3ELNS1_11target_archE908ELNS1_3gpuE7ELNS1_3repE0EEENS1_38merge_mergepath_config_static_selectorELNS0_4arch9wavefront6targetE0EEEvSK_.num_named_barrier, 0
	.set _ZN7rocprim17ROCPRIM_400000_NS6detail17trampoline_kernelINS0_14default_configENS1_38merge_sort_block_merge_config_selectorIiNS0_10empty_typeEEEZZNS1_27merge_sort_block_merge_implIS3_N6thrust23THRUST_200600_302600_NS6detail15normal_iteratorINS9_10device_ptrIiEEEEPS5_m9comp_mod3IiEEE10hipError_tT0_T1_T2_jT3_P12ihipStream_tbPNSt15iterator_traitsISJ_E10value_typeEPNSP_ISK_E10value_typeEPSL_NS1_7vsmem_tEENKUlT_SJ_SK_SL_E_clISE_PiSF_SF_EESI_SY_SJ_SK_SL_EUlSY_E0_NS1_11comp_targetILNS1_3genE3ELNS1_11target_archE908ELNS1_3gpuE7ELNS1_3repE0EEENS1_38merge_mergepath_config_static_selectorELNS0_4arch9wavefront6targetE0EEEvSK_.private_seg_size, 0
	.set _ZN7rocprim17ROCPRIM_400000_NS6detail17trampoline_kernelINS0_14default_configENS1_38merge_sort_block_merge_config_selectorIiNS0_10empty_typeEEEZZNS1_27merge_sort_block_merge_implIS3_N6thrust23THRUST_200600_302600_NS6detail15normal_iteratorINS9_10device_ptrIiEEEEPS5_m9comp_mod3IiEEE10hipError_tT0_T1_T2_jT3_P12ihipStream_tbPNSt15iterator_traitsISJ_E10value_typeEPNSP_ISK_E10value_typeEPSL_NS1_7vsmem_tEENKUlT_SJ_SK_SL_E_clISE_PiSF_SF_EESI_SY_SJ_SK_SL_EUlSY_E0_NS1_11comp_targetILNS1_3genE3ELNS1_11target_archE908ELNS1_3gpuE7ELNS1_3repE0EEENS1_38merge_mergepath_config_static_selectorELNS0_4arch9wavefront6targetE0EEEvSK_.uses_vcc, 0
	.set _ZN7rocprim17ROCPRIM_400000_NS6detail17trampoline_kernelINS0_14default_configENS1_38merge_sort_block_merge_config_selectorIiNS0_10empty_typeEEEZZNS1_27merge_sort_block_merge_implIS3_N6thrust23THRUST_200600_302600_NS6detail15normal_iteratorINS9_10device_ptrIiEEEEPS5_m9comp_mod3IiEEE10hipError_tT0_T1_T2_jT3_P12ihipStream_tbPNSt15iterator_traitsISJ_E10value_typeEPNSP_ISK_E10value_typeEPSL_NS1_7vsmem_tEENKUlT_SJ_SK_SL_E_clISE_PiSF_SF_EESI_SY_SJ_SK_SL_EUlSY_E0_NS1_11comp_targetILNS1_3genE3ELNS1_11target_archE908ELNS1_3gpuE7ELNS1_3repE0EEENS1_38merge_mergepath_config_static_selectorELNS0_4arch9wavefront6targetE0EEEvSK_.uses_flat_scratch, 0
	.set _ZN7rocprim17ROCPRIM_400000_NS6detail17trampoline_kernelINS0_14default_configENS1_38merge_sort_block_merge_config_selectorIiNS0_10empty_typeEEEZZNS1_27merge_sort_block_merge_implIS3_N6thrust23THRUST_200600_302600_NS6detail15normal_iteratorINS9_10device_ptrIiEEEEPS5_m9comp_mod3IiEEE10hipError_tT0_T1_T2_jT3_P12ihipStream_tbPNSt15iterator_traitsISJ_E10value_typeEPNSP_ISK_E10value_typeEPSL_NS1_7vsmem_tEENKUlT_SJ_SK_SL_E_clISE_PiSF_SF_EESI_SY_SJ_SK_SL_EUlSY_E0_NS1_11comp_targetILNS1_3genE3ELNS1_11target_archE908ELNS1_3gpuE7ELNS1_3repE0EEENS1_38merge_mergepath_config_static_selectorELNS0_4arch9wavefront6targetE0EEEvSK_.has_dyn_sized_stack, 0
	.set _ZN7rocprim17ROCPRIM_400000_NS6detail17trampoline_kernelINS0_14default_configENS1_38merge_sort_block_merge_config_selectorIiNS0_10empty_typeEEEZZNS1_27merge_sort_block_merge_implIS3_N6thrust23THRUST_200600_302600_NS6detail15normal_iteratorINS9_10device_ptrIiEEEEPS5_m9comp_mod3IiEEE10hipError_tT0_T1_T2_jT3_P12ihipStream_tbPNSt15iterator_traitsISJ_E10value_typeEPNSP_ISK_E10value_typeEPSL_NS1_7vsmem_tEENKUlT_SJ_SK_SL_E_clISE_PiSF_SF_EESI_SY_SJ_SK_SL_EUlSY_E0_NS1_11comp_targetILNS1_3genE3ELNS1_11target_archE908ELNS1_3gpuE7ELNS1_3repE0EEENS1_38merge_mergepath_config_static_selectorELNS0_4arch9wavefront6targetE0EEEvSK_.has_recursion, 0
	.set _ZN7rocprim17ROCPRIM_400000_NS6detail17trampoline_kernelINS0_14default_configENS1_38merge_sort_block_merge_config_selectorIiNS0_10empty_typeEEEZZNS1_27merge_sort_block_merge_implIS3_N6thrust23THRUST_200600_302600_NS6detail15normal_iteratorINS9_10device_ptrIiEEEEPS5_m9comp_mod3IiEEE10hipError_tT0_T1_T2_jT3_P12ihipStream_tbPNSt15iterator_traitsISJ_E10value_typeEPNSP_ISK_E10value_typeEPSL_NS1_7vsmem_tEENKUlT_SJ_SK_SL_E_clISE_PiSF_SF_EESI_SY_SJ_SK_SL_EUlSY_E0_NS1_11comp_targetILNS1_3genE3ELNS1_11target_archE908ELNS1_3gpuE7ELNS1_3repE0EEENS1_38merge_mergepath_config_static_selectorELNS0_4arch9wavefront6targetE0EEEvSK_.has_indirect_call, 0
	.section	.AMDGPU.csdata,"",@progbits
; Kernel info:
; codeLenInByte = 0
; TotalNumSgprs: 0
; NumVgprs: 0
; ScratchSize: 0
; MemoryBound: 0
; FloatMode: 240
; IeeeMode: 1
; LDSByteSize: 0 bytes/workgroup (compile time only)
; SGPRBlocks: 0
; VGPRBlocks: 0
; NumSGPRsForWavesPerEU: 1
; NumVGPRsForWavesPerEU: 1
; Occupancy: 16
; WaveLimiterHint : 0
; COMPUTE_PGM_RSRC2:SCRATCH_EN: 0
; COMPUTE_PGM_RSRC2:USER_SGPR: 6
; COMPUTE_PGM_RSRC2:TRAP_HANDLER: 0
; COMPUTE_PGM_RSRC2:TGID_X_EN: 1
; COMPUTE_PGM_RSRC2:TGID_Y_EN: 0
; COMPUTE_PGM_RSRC2:TGID_Z_EN: 0
; COMPUTE_PGM_RSRC2:TIDIG_COMP_CNT: 0
	.section	.text._ZN7rocprim17ROCPRIM_400000_NS6detail17trampoline_kernelINS0_14default_configENS1_38merge_sort_block_merge_config_selectorIiNS0_10empty_typeEEEZZNS1_27merge_sort_block_merge_implIS3_N6thrust23THRUST_200600_302600_NS6detail15normal_iteratorINS9_10device_ptrIiEEEEPS5_m9comp_mod3IiEEE10hipError_tT0_T1_T2_jT3_P12ihipStream_tbPNSt15iterator_traitsISJ_E10value_typeEPNSP_ISK_E10value_typeEPSL_NS1_7vsmem_tEENKUlT_SJ_SK_SL_E_clISE_PiSF_SF_EESI_SY_SJ_SK_SL_EUlSY_E0_NS1_11comp_targetILNS1_3genE2ELNS1_11target_archE906ELNS1_3gpuE6ELNS1_3repE0EEENS1_38merge_mergepath_config_static_selectorELNS0_4arch9wavefront6targetE0EEEvSK_,"axG",@progbits,_ZN7rocprim17ROCPRIM_400000_NS6detail17trampoline_kernelINS0_14default_configENS1_38merge_sort_block_merge_config_selectorIiNS0_10empty_typeEEEZZNS1_27merge_sort_block_merge_implIS3_N6thrust23THRUST_200600_302600_NS6detail15normal_iteratorINS9_10device_ptrIiEEEEPS5_m9comp_mod3IiEEE10hipError_tT0_T1_T2_jT3_P12ihipStream_tbPNSt15iterator_traitsISJ_E10value_typeEPNSP_ISK_E10value_typeEPSL_NS1_7vsmem_tEENKUlT_SJ_SK_SL_E_clISE_PiSF_SF_EESI_SY_SJ_SK_SL_EUlSY_E0_NS1_11comp_targetILNS1_3genE2ELNS1_11target_archE906ELNS1_3gpuE6ELNS1_3repE0EEENS1_38merge_mergepath_config_static_selectorELNS0_4arch9wavefront6targetE0EEEvSK_,comdat
	.protected	_ZN7rocprim17ROCPRIM_400000_NS6detail17trampoline_kernelINS0_14default_configENS1_38merge_sort_block_merge_config_selectorIiNS0_10empty_typeEEEZZNS1_27merge_sort_block_merge_implIS3_N6thrust23THRUST_200600_302600_NS6detail15normal_iteratorINS9_10device_ptrIiEEEEPS5_m9comp_mod3IiEEE10hipError_tT0_T1_T2_jT3_P12ihipStream_tbPNSt15iterator_traitsISJ_E10value_typeEPNSP_ISK_E10value_typeEPSL_NS1_7vsmem_tEENKUlT_SJ_SK_SL_E_clISE_PiSF_SF_EESI_SY_SJ_SK_SL_EUlSY_E0_NS1_11comp_targetILNS1_3genE2ELNS1_11target_archE906ELNS1_3gpuE6ELNS1_3repE0EEENS1_38merge_mergepath_config_static_selectorELNS0_4arch9wavefront6targetE0EEEvSK_ ; -- Begin function _ZN7rocprim17ROCPRIM_400000_NS6detail17trampoline_kernelINS0_14default_configENS1_38merge_sort_block_merge_config_selectorIiNS0_10empty_typeEEEZZNS1_27merge_sort_block_merge_implIS3_N6thrust23THRUST_200600_302600_NS6detail15normal_iteratorINS9_10device_ptrIiEEEEPS5_m9comp_mod3IiEEE10hipError_tT0_T1_T2_jT3_P12ihipStream_tbPNSt15iterator_traitsISJ_E10value_typeEPNSP_ISK_E10value_typeEPSL_NS1_7vsmem_tEENKUlT_SJ_SK_SL_E_clISE_PiSF_SF_EESI_SY_SJ_SK_SL_EUlSY_E0_NS1_11comp_targetILNS1_3genE2ELNS1_11target_archE906ELNS1_3gpuE6ELNS1_3repE0EEENS1_38merge_mergepath_config_static_selectorELNS0_4arch9wavefront6targetE0EEEvSK_
	.globl	_ZN7rocprim17ROCPRIM_400000_NS6detail17trampoline_kernelINS0_14default_configENS1_38merge_sort_block_merge_config_selectorIiNS0_10empty_typeEEEZZNS1_27merge_sort_block_merge_implIS3_N6thrust23THRUST_200600_302600_NS6detail15normal_iteratorINS9_10device_ptrIiEEEEPS5_m9comp_mod3IiEEE10hipError_tT0_T1_T2_jT3_P12ihipStream_tbPNSt15iterator_traitsISJ_E10value_typeEPNSP_ISK_E10value_typeEPSL_NS1_7vsmem_tEENKUlT_SJ_SK_SL_E_clISE_PiSF_SF_EESI_SY_SJ_SK_SL_EUlSY_E0_NS1_11comp_targetILNS1_3genE2ELNS1_11target_archE906ELNS1_3gpuE6ELNS1_3repE0EEENS1_38merge_mergepath_config_static_selectorELNS0_4arch9wavefront6targetE0EEEvSK_
	.p2align	8
	.type	_ZN7rocprim17ROCPRIM_400000_NS6detail17trampoline_kernelINS0_14default_configENS1_38merge_sort_block_merge_config_selectorIiNS0_10empty_typeEEEZZNS1_27merge_sort_block_merge_implIS3_N6thrust23THRUST_200600_302600_NS6detail15normal_iteratorINS9_10device_ptrIiEEEEPS5_m9comp_mod3IiEEE10hipError_tT0_T1_T2_jT3_P12ihipStream_tbPNSt15iterator_traitsISJ_E10value_typeEPNSP_ISK_E10value_typeEPSL_NS1_7vsmem_tEENKUlT_SJ_SK_SL_E_clISE_PiSF_SF_EESI_SY_SJ_SK_SL_EUlSY_E0_NS1_11comp_targetILNS1_3genE2ELNS1_11target_archE906ELNS1_3gpuE6ELNS1_3repE0EEENS1_38merge_mergepath_config_static_selectorELNS0_4arch9wavefront6targetE0EEEvSK_,@function
_ZN7rocprim17ROCPRIM_400000_NS6detail17trampoline_kernelINS0_14default_configENS1_38merge_sort_block_merge_config_selectorIiNS0_10empty_typeEEEZZNS1_27merge_sort_block_merge_implIS3_N6thrust23THRUST_200600_302600_NS6detail15normal_iteratorINS9_10device_ptrIiEEEEPS5_m9comp_mod3IiEEE10hipError_tT0_T1_T2_jT3_P12ihipStream_tbPNSt15iterator_traitsISJ_E10value_typeEPNSP_ISK_E10value_typeEPSL_NS1_7vsmem_tEENKUlT_SJ_SK_SL_E_clISE_PiSF_SF_EESI_SY_SJ_SK_SL_EUlSY_E0_NS1_11comp_targetILNS1_3genE2ELNS1_11target_archE906ELNS1_3gpuE6ELNS1_3repE0EEENS1_38merge_mergepath_config_static_selectorELNS0_4arch9wavefront6targetE0EEEvSK_: ; @_ZN7rocprim17ROCPRIM_400000_NS6detail17trampoline_kernelINS0_14default_configENS1_38merge_sort_block_merge_config_selectorIiNS0_10empty_typeEEEZZNS1_27merge_sort_block_merge_implIS3_N6thrust23THRUST_200600_302600_NS6detail15normal_iteratorINS9_10device_ptrIiEEEEPS5_m9comp_mod3IiEEE10hipError_tT0_T1_T2_jT3_P12ihipStream_tbPNSt15iterator_traitsISJ_E10value_typeEPNSP_ISK_E10value_typeEPSL_NS1_7vsmem_tEENKUlT_SJ_SK_SL_E_clISE_PiSF_SF_EESI_SY_SJ_SK_SL_EUlSY_E0_NS1_11comp_targetILNS1_3genE2ELNS1_11target_archE906ELNS1_3gpuE6ELNS1_3repE0EEENS1_38merge_mergepath_config_static_selectorELNS0_4arch9wavefront6targetE0EEEvSK_
; %bb.0:
	.section	.rodata,"a",@progbits
	.p2align	6, 0x0
	.amdhsa_kernel _ZN7rocprim17ROCPRIM_400000_NS6detail17trampoline_kernelINS0_14default_configENS1_38merge_sort_block_merge_config_selectorIiNS0_10empty_typeEEEZZNS1_27merge_sort_block_merge_implIS3_N6thrust23THRUST_200600_302600_NS6detail15normal_iteratorINS9_10device_ptrIiEEEEPS5_m9comp_mod3IiEEE10hipError_tT0_T1_T2_jT3_P12ihipStream_tbPNSt15iterator_traitsISJ_E10value_typeEPNSP_ISK_E10value_typeEPSL_NS1_7vsmem_tEENKUlT_SJ_SK_SL_E_clISE_PiSF_SF_EESI_SY_SJ_SK_SL_EUlSY_E0_NS1_11comp_targetILNS1_3genE2ELNS1_11target_archE906ELNS1_3gpuE6ELNS1_3repE0EEENS1_38merge_mergepath_config_static_selectorELNS0_4arch9wavefront6targetE0EEEvSK_
		.amdhsa_group_segment_fixed_size 0
		.amdhsa_private_segment_fixed_size 0
		.amdhsa_kernarg_size 80
		.amdhsa_user_sgpr_count 6
		.amdhsa_user_sgpr_private_segment_buffer 1
		.amdhsa_user_sgpr_dispatch_ptr 0
		.amdhsa_user_sgpr_queue_ptr 0
		.amdhsa_user_sgpr_kernarg_segment_ptr 1
		.amdhsa_user_sgpr_dispatch_id 0
		.amdhsa_user_sgpr_flat_scratch_init 0
		.amdhsa_user_sgpr_private_segment_size 0
		.amdhsa_wavefront_size32 1
		.amdhsa_uses_dynamic_stack 0
		.amdhsa_system_sgpr_private_segment_wavefront_offset 0
		.amdhsa_system_sgpr_workgroup_id_x 1
		.amdhsa_system_sgpr_workgroup_id_y 0
		.amdhsa_system_sgpr_workgroup_id_z 0
		.amdhsa_system_sgpr_workgroup_info 0
		.amdhsa_system_vgpr_workitem_id 0
		.amdhsa_next_free_vgpr 1
		.amdhsa_next_free_sgpr 1
		.amdhsa_reserve_vcc 0
		.amdhsa_reserve_flat_scratch 0
		.amdhsa_float_round_mode_32 0
		.amdhsa_float_round_mode_16_64 0
		.amdhsa_float_denorm_mode_32 3
		.amdhsa_float_denorm_mode_16_64 3
		.amdhsa_dx10_clamp 1
		.amdhsa_ieee_mode 1
		.amdhsa_fp16_overflow 0
		.amdhsa_workgroup_processor_mode 1
		.amdhsa_memory_ordered 1
		.amdhsa_forward_progress 1
		.amdhsa_shared_vgpr_count 0
		.amdhsa_exception_fp_ieee_invalid_op 0
		.amdhsa_exception_fp_denorm_src 0
		.amdhsa_exception_fp_ieee_div_zero 0
		.amdhsa_exception_fp_ieee_overflow 0
		.amdhsa_exception_fp_ieee_underflow 0
		.amdhsa_exception_fp_ieee_inexact 0
		.amdhsa_exception_int_div_zero 0
	.end_amdhsa_kernel
	.section	.text._ZN7rocprim17ROCPRIM_400000_NS6detail17trampoline_kernelINS0_14default_configENS1_38merge_sort_block_merge_config_selectorIiNS0_10empty_typeEEEZZNS1_27merge_sort_block_merge_implIS3_N6thrust23THRUST_200600_302600_NS6detail15normal_iteratorINS9_10device_ptrIiEEEEPS5_m9comp_mod3IiEEE10hipError_tT0_T1_T2_jT3_P12ihipStream_tbPNSt15iterator_traitsISJ_E10value_typeEPNSP_ISK_E10value_typeEPSL_NS1_7vsmem_tEENKUlT_SJ_SK_SL_E_clISE_PiSF_SF_EESI_SY_SJ_SK_SL_EUlSY_E0_NS1_11comp_targetILNS1_3genE2ELNS1_11target_archE906ELNS1_3gpuE6ELNS1_3repE0EEENS1_38merge_mergepath_config_static_selectorELNS0_4arch9wavefront6targetE0EEEvSK_,"axG",@progbits,_ZN7rocprim17ROCPRIM_400000_NS6detail17trampoline_kernelINS0_14default_configENS1_38merge_sort_block_merge_config_selectorIiNS0_10empty_typeEEEZZNS1_27merge_sort_block_merge_implIS3_N6thrust23THRUST_200600_302600_NS6detail15normal_iteratorINS9_10device_ptrIiEEEEPS5_m9comp_mod3IiEEE10hipError_tT0_T1_T2_jT3_P12ihipStream_tbPNSt15iterator_traitsISJ_E10value_typeEPNSP_ISK_E10value_typeEPSL_NS1_7vsmem_tEENKUlT_SJ_SK_SL_E_clISE_PiSF_SF_EESI_SY_SJ_SK_SL_EUlSY_E0_NS1_11comp_targetILNS1_3genE2ELNS1_11target_archE906ELNS1_3gpuE6ELNS1_3repE0EEENS1_38merge_mergepath_config_static_selectorELNS0_4arch9wavefront6targetE0EEEvSK_,comdat
.Lfunc_end1025:
	.size	_ZN7rocprim17ROCPRIM_400000_NS6detail17trampoline_kernelINS0_14default_configENS1_38merge_sort_block_merge_config_selectorIiNS0_10empty_typeEEEZZNS1_27merge_sort_block_merge_implIS3_N6thrust23THRUST_200600_302600_NS6detail15normal_iteratorINS9_10device_ptrIiEEEEPS5_m9comp_mod3IiEEE10hipError_tT0_T1_T2_jT3_P12ihipStream_tbPNSt15iterator_traitsISJ_E10value_typeEPNSP_ISK_E10value_typeEPSL_NS1_7vsmem_tEENKUlT_SJ_SK_SL_E_clISE_PiSF_SF_EESI_SY_SJ_SK_SL_EUlSY_E0_NS1_11comp_targetILNS1_3genE2ELNS1_11target_archE906ELNS1_3gpuE6ELNS1_3repE0EEENS1_38merge_mergepath_config_static_selectorELNS0_4arch9wavefront6targetE0EEEvSK_, .Lfunc_end1025-_ZN7rocprim17ROCPRIM_400000_NS6detail17trampoline_kernelINS0_14default_configENS1_38merge_sort_block_merge_config_selectorIiNS0_10empty_typeEEEZZNS1_27merge_sort_block_merge_implIS3_N6thrust23THRUST_200600_302600_NS6detail15normal_iteratorINS9_10device_ptrIiEEEEPS5_m9comp_mod3IiEEE10hipError_tT0_T1_T2_jT3_P12ihipStream_tbPNSt15iterator_traitsISJ_E10value_typeEPNSP_ISK_E10value_typeEPSL_NS1_7vsmem_tEENKUlT_SJ_SK_SL_E_clISE_PiSF_SF_EESI_SY_SJ_SK_SL_EUlSY_E0_NS1_11comp_targetILNS1_3genE2ELNS1_11target_archE906ELNS1_3gpuE6ELNS1_3repE0EEENS1_38merge_mergepath_config_static_selectorELNS0_4arch9wavefront6targetE0EEEvSK_
                                        ; -- End function
	.set _ZN7rocprim17ROCPRIM_400000_NS6detail17trampoline_kernelINS0_14default_configENS1_38merge_sort_block_merge_config_selectorIiNS0_10empty_typeEEEZZNS1_27merge_sort_block_merge_implIS3_N6thrust23THRUST_200600_302600_NS6detail15normal_iteratorINS9_10device_ptrIiEEEEPS5_m9comp_mod3IiEEE10hipError_tT0_T1_T2_jT3_P12ihipStream_tbPNSt15iterator_traitsISJ_E10value_typeEPNSP_ISK_E10value_typeEPSL_NS1_7vsmem_tEENKUlT_SJ_SK_SL_E_clISE_PiSF_SF_EESI_SY_SJ_SK_SL_EUlSY_E0_NS1_11comp_targetILNS1_3genE2ELNS1_11target_archE906ELNS1_3gpuE6ELNS1_3repE0EEENS1_38merge_mergepath_config_static_selectorELNS0_4arch9wavefront6targetE0EEEvSK_.num_vgpr, 0
	.set _ZN7rocprim17ROCPRIM_400000_NS6detail17trampoline_kernelINS0_14default_configENS1_38merge_sort_block_merge_config_selectorIiNS0_10empty_typeEEEZZNS1_27merge_sort_block_merge_implIS3_N6thrust23THRUST_200600_302600_NS6detail15normal_iteratorINS9_10device_ptrIiEEEEPS5_m9comp_mod3IiEEE10hipError_tT0_T1_T2_jT3_P12ihipStream_tbPNSt15iterator_traitsISJ_E10value_typeEPNSP_ISK_E10value_typeEPSL_NS1_7vsmem_tEENKUlT_SJ_SK_SL_E_clISE_PiSF_SF_EESI_SY_SJ_SK_SL_EUlSY_E0_NS1_11comp_targetILNS1_3genE2ELNS1_11target_archE906ELNS1_3gpuE6ELNS1_3repE0EEENS1_38merge_mergepath_config_static_selectorELNS0_4arch9wavefront6targetE0EEEvSK_.num_agpr, 0
	.set _ZN7rocprim17ROCPRIM_400000_NS6detail17trampoline_kernelINS0_14default_configENS1_38merge_sort_block_merge_config_selectorIiNS0_10empty_typeEEEZZNS1_27merge_sort_block_merge_implIS3_N6thrust23THRUST_200600_302600_NS6detail15normal_iteratorINS9_10device_ptrIiEEEEPS5_m9comp_mod3IiEEE10hipError_tT0_T1_T2_jT3_P12ihipStream_tbPNSt15iterator_traitsISJ_E10value_typeEPNSP_ISK_E10value_typeEPSL_NS1_7vsmem_tEENKUlT_SJ_SK_SL_E_clISE_PiSF_SF_EESI_SY_SJ_SK_SL_EUlSY_E0_NS1_11comp_targetILNS1_3genE2ELNS1_11target_archE906ELNS1_3gpuE6ELNS1_3repE0EEENS1_38merge_mergepath_config_static_selectorELNS0_4arch9wavefront6targetE0EEEvSK_.numbered_sgpr, 0
	.set _ZN7rocprim17ROCPRIM_400000_NS6detail17trampoline_kernelINS0_14default_configENS1_38merge_sort_block_merge_config_selectorIiNS0_10empty_typeEEEZZNS1_27merge_sort_block_merge_implIS3_N6thrust23THRUST_200600_302600_NS6detail15normal_iteratorINS9_10device_ptrIiEEEEPS5_m9comp_mod3IiEEE10hipError_tT0_T1_T2_jT3_P12ihipStream_tbPNSt15iterator_traitsISJ_E10value_typeEPNSP_ISK_E10value_typeEPSL_NS1_7vsmem_tEENKUlT_SJ_SK_SL_E_clISE_PiSF_SF_EESI_SY_SJ_SK_SL_EUlSY_E0_NS1_11comp_targetILNS1_3genE2ELNS1_11target_archE906ELNS1_3gpuE6ELNS1_3repE0EEENS1_38merge_mergepath_config_static_selectorELNS0_4arch9wavefront6targetE0EEEvSK_.num_named_barrier, 0
	.set _ZN7rocprim17ROCPRIM_400000_NS6detail17trampoline_kernelINS0_14default_configENS1_38merge_sort_block_merge_config_selectorIiNS0_10empty_typeEEEZZNS1_27merge_sort_block_merge_implIS3_N6thrust23THRUST_200600_302600_NS6detail15normal_iteratorINS9_10device_ptrIiEEEEPS5_m9comp_mod3IiEEE10hipError_tT0_T1_T2_jT3_P12ihipStream_tbPNSt15iterator_traitsISJ_E10value_typeEPNSP_ISK_E10value_typeEPSL_NS1_7vsmem_tEENKUlT_SJ_SK_SL_E_clISE_PiSF_SF_EESI_SY_SJ_SK_SL_EUlSY_E0_NS1_11comp_targetILNS1_3genE2ELNS1_11target_archE906ELNS1_3gpuE6ELNS1_3repE0EEENS1_38merge_mergepath_config_static_selectorELNS0_4arch9wavefront6targetE0EEEvSK_.private_seg_size, 0
	.set _ZN7rocprim17ROCPRIM_400000_NS6detail17trampoline_kernelINS0_14default_configENS1_38merge_sort_block_merge_config_selectorIiNS0_10empty_typeEEEZZNS1_27merge_sort_block_merge_implIS3_N6thrust23THRUST_200600_302600_NS6detail15normal_iteratorINS9_10device_ptrIiEEEEPS5_m9comp_mod3IiEEE10hipError_tT0_T1_T2_jT3_P12ihipStream_tbPNSt15iterator_traitsISJ_E10value_typeEPNSP_ISK_E10value_typeEPSL_NS1_7vsmem_tEENKUlT_SJ_SK_SL_E_clISE_PiSF_SF_EESI_SY_SJ_SK_SL_EUlSY_E0_NS1_11comp_targetILNS1_3genE2ELNS1_11target_archE906ELNS1_3gpuE6ELNS1_3repE0EEENS1_38merge_mergepath_config_static_selectorELNS0_4arch9wavefront6targetE0EEEvSK_.uses_vcc, 0
	.set _ZN7rocprim17ROCPRIM_400000_NS6detail17trampoline_kernelINS0_14default_configENS1_38merge_sort_block_merge_config_selectorIiNS0_10empty_typeEEEZZNS1_27merge_sort_block_merge_implIS3_N6thrust23THRUST_200600_302600_NS6detail15normal_iteratorINS9_10device_ptrIiEEEEPS5_m9comp_mod3IiEEE10hipError_tT0_T1_T2_jT3_P12ihipStream_tbPNSt15iterator_traitsISJ_E10value_typeEPNSP_ISK_E10value_typeEPSL_NS1_7vsmem_tEENKUlT_SJ_SK_SL_E_clISE_PiSF_SF_EESI_SY_SJ_SK_SL_EUlSY_E0_NS1_11comp_targetILNS1_3genE2ELNS1_11target_archE906ELNS1_3gpuE6ELNS1_3repE0EEENS1_38merge_mergepath_config_static_selectorELNS0_4arch9wavefront6targetE0EEEvSK_.uses_flat_scratch, 0
	.set _ZN7rocprim17ROCPRIM_400000_NS6detail17trampoline_kernelINS0_14default_configENS1_38merge_sort_block_merge_config_selectorIiNS0_10empty_typeEEEZZNS1_27merge_sort_block_merge_implIS3_N6thrust23THRUST_200600_302600_NS6detail15normal_iteratorINS9_10device_ptrIiEEEEPS5_m9comp_mod3IiEEE10hipError_tT0_T1_T2_jT3_P12ihipStream_tbPNSt15iterator_traitsISJ_E10value_typeEPNSP_ISK_E10value_typeEPSL_NS1_7vsmem_tEENKUlT_SJ_SK_SL_E_clISE_PiSF_SF_EESI_SY_SJ_SK_SL_EUlSY_E0_NS1_11comp_targetILNS1_3genE2ELNS1_11target_archE906ELNS1_3gpuE6ELNS1_3repE0EEENS1_38merge_mergepath_config_static_selectorELNS0_4arch9wavefront6targetE0EEEvSK_.has_dyn_sized_stack, 0
	.set _ZN7rocprim17ROCPRIM_400000_NS6detail17trampoline_kernelINS0_14default_configENS1_38merge_sort_block_merge_config_selectorIiNS0_10empty_typeEEEZZNS1_27merge_sort_block_merge_implIS3_N6thrust23THRUST_200600_302600_NS6detail15normal_iteratorINS9_10device_ptrIiEEEEPS5_m9comp_mod3IiEEE10hipError_tT0_T1_T2_jT3_P12ihipStream_tbPNSt15iterator_traitsISJ_E10value_typeEPNSP_ISK_E10value_typeEPSL_NS1_7vsmem_tEENKUlT_SJ_SK_SL_E_clISE_PiSF_SF_EESI_SY_SJ_SK_SL_EUlSY_E0_NS1_11comp_targetILNS1_3genE2ELNS1_11target_archE906ELNS1_3gpuE6ELNS1_3repE0EEENS1_38merge_mergepath_config_static_selectorELNS0_4arch9wavefront6targetE0EEEvSK_.has_recursion, 0
	.set _ZN7rocprim17ROCPRIM_400000_NS6detail17trampoline_kernelINS0_14default_configENS1_38merge_sort_block_merge_config_selectorIiNS0_10empty_typeEEEZZNS1_27merge_sort_block_merge_implIS3_N6thrust23THRUST_200600_302600_NS6detail15normal_iteratorINS9_10device_ptrIiEEEEPS5_m9comp_mod3IiEEE10hipError_tT0_T1_T2_jT3_P12ihipStream_tbPNSt15iterator_traitsISJ_E10value_typeEPNSP_ISK_E10value_typeEPSL_NS1_7vsmem_tEENKUlT_SJ_SK_SL_E_clISE_PiSF_SF_EESI_SY_SJ_SK_SL_EUlSY_E0_NS1_11comp_targetILNS1_3genE2ELNS1_11target_archE906ELNS1_3gpuE6ELNS1_3repE0EEENS1_38merge_mergepath_config_static_selectorELNS0_4arch9wavefront6targetE0EEEvSK_.has_indirect_call, 0
	.section	.AMDGPU.csdata,"",@progbits
; Kernel info:
; codeLenInByte = 0
; TotalNumSgprs: 0
; NumVgprs: 0
; ScratchSize: 0
; MemoryBound: 0
; FloatMode: 240
; IeeeMode: 1
; LDSByteSize: 0 bytes/workgroup (compile time only)
; SGPRBlocks: 0
; VGPRBlocks: 0
; NumSGPRsForWavesPerEU: 1
; NumVGPRsForWavesPerEU: 1
; Occupancy: 16
; WaveLimiterHint : 0
; COMPUTE_PGM_RSRC2:SCRATCH_EN: 0
; COMPUTE_PGM_RSRC2:USER_SGPR: 6
; COMPUTE_PGM_RSRC2:TRAP_HANDLER: 0
; COMPUTE_PGM_RSRC2:TGID_X_EN: 1
; COMPUTE_PGM_RSRC2:TGID_Y_EN: 0
; COMPUTE_PGM_RSRC2:TGID_Z_EN: 0
; COMPUTE_PGM_RSRC2:TIDIG_COMP_CNT: 0
	.section	.text._ZN7rocprim17ROCPRIM_400000_NS6detail17trampoline_kernelINS0_14default_configENS1_38merge_sort_block_merge_config_selectorIiNS0_10empty_typeEEEZZNS1_27merge_sort_block_merge_implIS3_N6thrust23THRUST_200600_302600_NS6detail15normal_iteratorINS9_10device_ptrIiEEEEPS5_m9comp_mod3IiEEE10hipError_tT0_T1_T2_jT3_P12ihipStream_tbPNSt15iterator_traitsISJ_E10value_typeEPNSP_ISK_E10value_typeEPSL_NS1_7vsmem_tEENKUlT_SJ_SK_SL_E_clISE_PiSF_SF_EESI_SY_SJ_SK_SL_EUlSY_E0_NS1_11comp_targetILNS1_3genE9ELNS1_11target_archE1100ELNS1_3gpuE3ELNS1_3repE0EEENS1_38merge_mergepath_config_static_selectorELNS0_4arch9wavefront6targetE0EEEvSK_,"axG",@progbits,_ZN7rocprim17ROCPRIM_400000_NS6detail17trampoline_kernelINS0_14default_configENS1_38merge_sort_block_merge_config_selectorIiNS0_10empty_typeEEEZZNS1_27merge_sort_block_merge_implIS3_N6thrust23THRUST_200600_302600_NS6detail15normal_iteratorINS9_10device_ptrIiEEEEPS5_m9comp_mod3IiEEE10hipError_tT0_T1_T2_jT3_P12ihipStream_tbPNSt15iterator_traitsISJ_E10value_typeEPNSP_ISK_E10value_typeEPSL_NS1_7vsmem_tEENKUlT_SJ_SK_SL_E_clISE_PiSF_SF_EESI_SY_SJ_SK_SL_EUlSY_E0_NS1_11comp_targetILNS1_3genE9ELNS1_11target_archE1100ELNS1_3gpuE3ELNS1_3repE0EEENS1_38merge_mergepath_config_static_selectorELNS0_4arch9wavefront6targetE0EEEvSK_,comdat
	.protected	_ZN7rocprim17ROCPRIM_400000_NS6detail17trampoline_kernelINS0_14default_configENS1_38merge_sort_block_merge_config_selectorIiNS0_10empty_typeEEEZZNS1_27merge_sort_block_merge_implIS3_N6thrust23THRUST_200600_302600_NS6detail15normal_iteratorINS9_10device_ptrIiEEEEPS5_m9comp_mod3IiEEE10hipError_tT0_T1_T2_jT3_P12ihipStream_tbPNSt15iterator_traitsISJ_E10value_typeEPNSP_ISK_E10value_typeEPSL_NS1_7vsmem_tEENKUlT_SJ_SK_SL_E_clISE_PiSF_SF_EESI_SY_SJ_SK_SL_EUlSY_E0_NS1_11comp_targetILNS1_3genE9ELNS1_11target_archE1100ELNS1_3gpuE3ELNS1_3repE0EEENS1_38merge_mergepath_config_static_selectorELNS0_4arch9wavefront6targetE0EEEvSK_ ; -- Begin function _ZN7rocprim17ROCPRIM_400000_NS6detail17trampoline_kernelINS0_14default_configENS1_38merge_sort_block_merge_config_selectorIiNS0_10empty_typeEEEZZNS1_27merge_sort_block_merge_implIS3_N6thrust23THRUST_200600_302600_NS6detail15normal_iteratorINS9_10device_ptrIiEEEEPS5_m9comp_mod3IiEEE10hipError_tT0_T1_T2_jT3_P12ihipStream_tbPNSt15iterator_traitsISJ_E10value_typeEPNSP_ISK_E10value_typeEPSL_NS1_7vsmem_tEENKUlT_SJ_SK_SL_E_clISE_PiSF_SF_EESI_SY_SJ_SK_SL_EUlSY_E0_NS1_11comp_targetILNS1_3genE9ELNS1_11target_archE1100ELNS1_3gpuE3ELNS1_3repE0EEENS1_38merge_mergepath_config_static_selectorELNS0_4arch9wavefront6targetE0EEEvSK_
	.globl	_ZN7rocprim17ROCPRIM_400000_NS6detail17trampoline_kernelINS0_14default_configENS1_38merge_sort_block_merge_config_selectorIiNS0_10empty_typeEEEZZNS1_27merge_sort_block_merge_implIS3_N6thrust23THRUST_200600_302600_NS6detail15normal_iteratorINS9_10device_ptrIiEEEEPS5_m9comp_mod3IiEEE10hipError_tT0_T1_T2_jT3_P12ihipStream_tbPNSt15iterator_traitsISJ_E10value_typeEPNSP_ISK_E10value_typeEPSL_NS1_7vsmem_tEENKUlT_SJ_SK_SL_E_clISE_PiSF_SF_EESI_SY_SJ_SK_SL_EUlSY_E0_NS1_11comp_targetILNS1_3genE9ELNS1_11target_archE1100ELNS1_3gpuE3ELNS1_3repE0EEENS1_38merge_mergepath_config_static_selectorELNS0_4arch9wavefront6targetE0EEEvSK_
	.p2align	8
	.type	_ZN7rocprim17ROCPRIM_400000_NS6detail17trampoline_kernelINS0_14default_configENS1_38merge_sort_block_merge_config_selectorIiNS0_10empty_typeEEEZZNS1_27merge_sort_block_merge_implIS3_N6thrust23THRUST_200600_302600_NS6detail15normal_iteratorINS9_10device_ptrIiEEEEPS5_m9comp_mod3IiEEE10hipError_tT0_T1_T2_jT3_P12ihipStream_tbPNSt15iterator_traitsISJ_E10value_typeEPNSP_ISK_E10value_typeEPSL_NS1_7vsmem_tEENKUlT_SJ_SK_SL_E_clISE_PiSF_SF_EESI_SY_SJ_SK_SL_EUlSY_E0_NS1_11comp_targetILNS1_3genE9ELNS1_11target_archE1100ELNS1_3gpuE3ELNS1_3repE0EEENS1_38merge_mergepath_config_static_selectorELNS0_4arch9wavefront6targetE0EEEvSK_,@function
_ZN7rocprim17ROCPRIM_400000_NS6detail17trampoline_kernelINS0_14default_configENS1_38merge_sort_block_merge_config_selectorIiNS0_10empty_typeEEEZZNS1_27merge_sort_block_merge_implIS3_N6thrust23THRUST_200600_302600_NS6detail15normal_iteratorINS9_10device_ptrIiEEEEPS5_m9comp_mod3IiEEE10hipError_tT0_T1_T2_jT3_P12ihipStream_tbPNSt15iterator_traitsISJ_E10value_typeEPNSP_ISK_E10value_typeEPSL_NS1_7vsmem_tEENKUlT_SJ_SK_SL_E_clISE_PiSF_SF_EESI_SY_SJ_SK_SL_EUlSY_E0_NS1_11comp_targetILNS1_3genE9ELNS1_11target_archE1100ELNS1_3gpuE3ELNS1_3repE0EEENS1_38merge_mergepath_config_static_selectorELNS0_4arch9wavefront6targetE0EEEvSK_: ; @_ZN7rocprim17ROCPRIM_400000_NS6detail17trampoline_kernelINS0_14default_configENS1_38merge_sort_block_merge_config_selectorIiNS0_10empty_typeEEEZZNS1_27merge_sort_block_merge_implIS3_N6thrust23THRUST_200600_302600_NS6detail15normal_iteratorINS9_10device_ptrIiEEEEPS5_m9comp_mod3IiEEE10hipError_tT0_T1_T2_jT3_P12ihipStream_tbPNSt15iterator_traitsISJ_E10value_typeEPNSP_ISK_E10value_typeEPSL_NS1_7vsmem_tEENKUlT_SJ_SK_SL_E_clISE_PiSF_SF_EESI_SY_SJ_SK_SL_EUlSY_E0_NS1_11comp_targetILNS1_3genE9ELNS1_11target_archE1100ELNS1_3gpuE3ELNS1_3repE0EEENS1_38merge_mergepath_config_static_selectorELNS0_4arch9wavefront6targetE0EEEvSK_
; %bb.0:
	.section	.rodata,"a",@progbits
	.p2align	6, 0x0
	.amdhsa_kernel _ZN7rocprim17ROCPRIM_400000_NS6detail17trampoline_kernelINS0_14default_configENS1_38merge_sort_block_merge_config_selectorIiNS0_10empty_typeEEEZZNS1_27merge_sort_block_merge_implIS3_N6thrust23THRUST_200600_302600_NS6detail15normal_iteratorINS9_10device_ptrIiEEEEPS5_m9comp_mod3IiEEE10hipError_tT0_T1_T2_jT3_P12ihipStream_tbPNSt15iterator_traitsISJ_E10value_typeEPNSP_ISK_E10value_typeEPSL_NS1_7vsmem_tEENKUlT_SJ_SK_SL_E_clISE_PiSF_SF_EESI_SY_SJ_SK_SL_EUlSY_E0_NS1_11comp_targetILNS1_3genE9ELNS1_11target_archE1100ELNS1_3gpuE3ELNS1_3repE0EEENS1_38merge_mergepath_config_static_selectorELNS0_4arch9wavefront6targetE0EEEvSK_
		.amdhsa_group_segment_fixed_size 0
		.amdhsa_private_segment_fixed_size 0
		.amdhsa_kernarg_size 80
		.amdhsa_user_sgpr_count 6
		.amdhsa_user_sgpr_private_segment_buffer 1
		.amdhsa_user_sgpr_dispatch_ptr 0
		.amdhsa_user_sgpr_queue_ptr 0
		.amdhsa_user_sgpr_kernarg_segment_ptr 1
		.amdhsa_user_sgpr_dispatch_id 0
		.amdhsa_user_sgpr_flat_scratch_init 0
		.amdhsa_user_sgpr_private_segment_size 0
		.amdhsa_wavefront_size32 1
		.amdhsa_uses_dynamic_stack 0
		.amdhsa_system_sgpr_private_segment_wavefront_offset 0
		.amdhsa_system_sgpr_workgroup_id_x 1
		.amdhsa_system_sgpr_workgroup_id_y 0
		.amdhsa_system_sgpr_workgroup_id_z 0
		.amdhsa_system_sgpr_workgroup_info 0
		.amdhsa_system_vgpr_workitem_id 0
		.amdhsa_next_free_vgpr 1
		.amdhsa_next_free_sgpr 1
		.amdhsa_reserve_vcc 0
		.amdhsa_reserve_flat_scratch 0
		.amdhsa_float_round_mode_32 0
		.amdhsa_float_round_mode_16_64 0
		.amdhsa_float_denorm_mode_32 3
		.amdhsa_float_denorm_mode_16_64 3
		.amdhsa_dx10_clamp 1
		.amdhsa_ieee_mode 1
		.amdhsa_fp16_overflow 0
		.amdhsa_workgroup_processor_mode 1
		.amdhsa_memory_ordered 1
		.amdhsa_forward_progress 1
		.amdhsa_shared_vgpr_count 0
		.amdhsa_exception_fp_ieee_invalid_op 0
		.amdhsa_exception_fp_denorm_src 0
		.amdhsa_exception_fp_ieee_div_zero 0
		.amdhsa_exception_fp_ieee_overflow 0
		.amdhsa_exception_fp_ieee_underflow 0
		.amdhsa_exception_fp_ieee_inexact 0
		.amdhsa_exception_int_div_zero 0
	.end_amdhsa_kernel
	.section	.text._ZN7rocprim17ROCPRIM_400000_NS6detail17trampoline_kernelINS0_14default_configENS1_38merge_sort_block_merge_config_selectorIiNS0_10empty_typeEEEZZNS1_27merge_sort_block_merge_implIS3_N6thrust23THRUST_200600_302600_NS6detail15normal_iteratorINS9_10device_ptrIiEEEEPS5_m9comp_mod3IiEEE10hipError_tT0_T1_T2_jT3_P12ihipStream_tbPNSt15iterator_traitsISJ_E10value_typeEPNSP_ISK_E10value_typeEPSL_NS1_7vsmem_tEENKUlT_SJ_SK_SL_E_clISE_PiSF_SF_EESI_SY_SJ_SK_SL_EUlSY_E0_NS1_11comp_targetILNS1_3genE9ELNS1_11target_archE1100ELNS1_3gpuE3ELNS1_3repE0EEENS1_38merge_mergepath_config_static_selectorELNS0_4arch9wavefront6targetE0EEEvSK_,"axG",@progbits,_ZN7rocprim17ROCPRIM_400000_NS6detail17trampoline_kernelINS0_14default_configENS1_38merge_sort_block_merge_config_selectorIiNS0_10empty_typeEEEZZNS1_27merge_sort_block_merge_implIS3_N6thrust23THRUST_200600_302600_NS6detail15normal_iteratorINS9_10device_ptrIiEEEEPS5_m9comp_mod3IiEEE10hipError_tT0_T1_T2_jT3_P12ihipStream_tbPNSt15iterator_traitsISJ_E10value_typeEPNSP_ISK_E10value_typeEPSL_NS1_7vsmem_tEENKUlT_SJ_SK_SL_E_clISE_PiSF_SF_EESI_SY_SJ_SK_SL_EUlSY_E0_NS1_11comp_targetILNS1_3genE9ELNS1_11target_archE1100ELNS1_3gpuE3ELNS1_3repE0EEENS1_38merge_mergepath_config_static_selectorELNS0_4arch9wavefront6targetE0EEEvSK_,comdat
.Lfunc_end1026:
	.size	_ZN7rocprim17ROCPRIM_400000_NS6detail17trampoline_kernelINS0_14default_configENS1_38merge_sort_block_merge_config_selectorIiNS0_10empty_typeEEEZZNS1_27merge_sort_block_merge_implIS3_N6thrust23THRUST_200600_302600_NS6detail15normal_iteratorINS9_10device_ptrIiEEEEPS5_m9comp_mod3IiEEE10hipError_tT0_T1_T2_jT3_P12ihipStream_tbPNSt15iterator_traitsISJ_E10value_typeEPNSP_ISK_E10value_typeEPSL_NS1_7vsmem_tEENKUlT_SJ_SK_SL_E_clISE_PiSF_SF_EESI_SY_SJ_SK_SL_EUlSY_E0_NS1_11comp_targetILNS1_3genE9ELNS1_11target_archE1100ELNS1_3gpuE3ELNS1_3repE0EEENS1_38merge_mergepath_config_static_selectorELNS0_4arch9wavefront6targetE0EEEvSK_, .Lfunc_end1026-_ZN7rocprim17ROCPRIM_400000_NS6detail17trampoline_kernelINS0_14default_configENS1_38merge_sort_block_merge_config_selectorIiNS0_10empty_typeEEEZZNS1_27merge_sort_block_merge_implIS3_N6thrust23THRUST_200600_302600_NS6detail15normal_iteratorINS9_10device_ptrIiEEEEPS5_m9comp_mod3IiEEE10hipError_tT0_T1_T2_jT3_P12ihipStream_tbPNSt15iterator_traitsISJ_E10value_typeEPNSP_ISK_E10value_typeEPSL_NS1_7vsmem_tEENKUlT_SJ_SK_SL_E_clISE_PiSF_SF_EESI_SY_SJ_SK_SL_EUlSY_E0_NS1_11comp_targetILNS1_3genE9ELNS1_11target_archE1100ELNS1_3gpuE3ELNS1_3repE0EEENS1_38merge_mergepath_config_static_selectorELNS0_4arch9wavefront6targetE0EEEvSK_
                                        ; -- End function
	.set _ZN7rocprim17ROCPRIM_400000_NS6detail17trampoline_kernelINS0_14default_configENS1_38merge_sort_block_merge_config_selectorIiNS0_10empty_typeEEEZZNS1_27merge_sort_block_merge_implIS3_N6thrust23THRUST_200600_302600_NS6detail15normal_iteratorINS9_10device_ptrIiEEEEPS5_m9comp_mod3IiEEE10hipError_tT0_T1_T2_jT3_P12ihipStream_tbPNSt15iterator_traitsISJ_E10value_typeEPNSP_ISK_E10value_typeEPSL_NS1_7vsmem_tEENKUlT_SJ_SK_SL_E_clISE_PiSF_SF_EESI_SY_SJ_SK_SL_EUlSY_E0_NS1_11comp_targetILNS1_3genE9ELNS1_11target_archE1100ELNS1_3gpuE3ELNS1_3repE0EEENS1_38merge_mergepath_config_static_selectorELNS0_4arch9wavefront6targetE0EEEvSK_.num_vgpr, 0
	.set _ZN7rocprim17ROCPRIM_400000_NS6detail17trampoline_kernelINS0_14default_configENS1_38merge_sort_block_merge_config_selectorIiNS0_10empty_typeEEEZZNS1_27merge_sort_block_merge_implIS3_N6thrust23THRUST_200600_302600_NS6detail15normal_iteratorINS9_10device_ptrIiEEEEPS5_m9comp_mod3IiEEE10hipError_tT0_T1_T2_jT3_P12ihipStream_tbPNSt15iterator_traitsISJ_E10value_typeEPNSP_ISK_E10value_typeEPSL_NS1_7vsmem_tEENKUlT_SJ_SK_SL_E_clISE_PiSF_SF_EESI_SY_SJ_SK_SL_EUlSY_E0_NS1_11comp_targetILNS1_3genE9ELNS1_11target_archE1100ELNS1_3gpuE3ELNS1_3repE0EEENS1_38merge_mergepath_config_static_selectorELNS0_4arch9wavefront6targetE0EEEvSK_.num_agpr, 0
	.set _ZN7rocprim17ROCPRIM_400000_NS6detail17trampoline_kernelINS0_14default_configENS1_38merge_sort_block_merge_config_selectorIiNS0_10empty_typeEEEZZNS1_27merge_sort_block_merge_implIS3_N6thrust23THRUST_200600_302600_NS6detail15normal_iteratorINS9_10device_ptrIiEEEEPS5_m9comp_mod3IiEEE10hipError_tT0_T1_T2_jT3_P12ihipStream_tbPNSt15iterator_traitsISJ_E10value_typeEPNSP_ISK_E10value_typeEPSL_NS1_7vsmem_tEENKUlT_SJ_SK_SL_E_clISE_PiSF_SF_EESI_SY_SJ_SK_SL_EUlSY_E0_NS1_11comp_targetILNS1_3genE9ELNS1_11target_archE1100ELNS1_3gpuE3ELNS1_3repE0EEENS1_38merge_mergepath_config_static_selectorELNS0_4arch9wavefront6targetE0EEEvSK_.numbered_sgpr, 0
	.set _ZN7rocprim17ROCPRIM_400000_NS6detail17trampoline_kernelINS0_14default_configENS1_38merge_sort_block_merge_config_selectorIiNS0_10empty_typeEEEZZNS1_27merge_sort_block_merge_implIS3_N6thrust23THRUST_200600_302600_NS6detail15normal_iteratorINS9_10device_ptrIiEEEEPS5_m9comp_mod3IiEEE10hipError_tT0_T1_T2_jT3_P12ihipStream_tbPNSt15iterator_traitsISJ_E10value_typeEPNSP_ISK_E10value_typeEPSL_NS1_7vsmem_tEENKUlT_SJ_SK_SL_E_clISE_PiSF_SF_EESI_SY_SJ_SK_SL_EUlSY_E0_NS1_11comp_targetILNS1_3genE9ELNS1_11target_archE1100ELNS1_3gpuE3ELNS1_3repE0EEENS1_38merge_mergepath_config_static_selectorELNS0_4arch9wavefront6targetE0EEEvSK_.num_named_barrier, 0
	.set _ZN7rocprim17ROCPRIM_400000_NS6detail17trampoline_kernelINS0_14default_configENS1_38merge_sort_block_merge_config_selectorIiNS0_10empty_typeEEEZZNS1_27merge_sort_block_merge_implIS3_N6thrust23THRUST_200600_302600_NS6detail15normal_iteratorINS9_10device_ptrIiEEEEPS5_m9comp_mod3IiEEE10hipError_tT0_T1_T2_jT3_P12ihipStream_tbPNSt15iterator_traitsISJ_E10value_typeEPNSP_ISK_E10value_typeEPSL_NS1_7vsmem_tEENKUlT_SJ_SK_SL_E_clISE_PiSF_SF_EESI_SY_SJ_SK_SL_EUlSY_E0_NS1_11comp_targetILNS1_3genE9ELNS1_11target_archE1100ELNS1_3gpuE3ELNS1_3repE0EEENS1_38merge_mergepath_config_static_selectorELNS0_4arch9wavefront6targetE0EEEvSK_.private_seg_size, 0
	.set _ZN7rocprim17ROCPRIM_400000_NS6detail17trampoline_kernelINS0_14default_configENS1_38merge_sort_block_merge_config_selectorIiNS0_10empty_typeEEEZZNS1_27merge_sort_block_merge_implIS3_N6thrust23THRUST_200600_302600_NS6detail15normal_iteratorINS9_10device_ptrIiEEEEPS5_m9comp_mod3IiEEE10hipError_tT0_T1_T2_jT3_P12ihipStream_tbPNSt15iterator_traitsISJ_E10value_typeEPNSP_ISK_E10value_typeEPSL_NS1_7vsmem_tEENKUlT_SJ_SK_SL_E_clISE_PiSF_SF_EESI_SY_SJ_SK_SL_EUlSY_E0_NS1_11comp_targetILNS1_3genE9ELNS1_11target_archE1100ELNS1_3gpuE3ELNS1_3repE0EEENS1_38merge_mergepath_config_static_selectorELNS0_4arch9wavefront6targetE0EEEvSK_.uses_vcc, 0
	.set _ZN7rocprim17ROCPRIM_400000_NS6detail17trampoline_kernelINS0_14default_configENS1_38merge_sort_block_merge_config_selectorIiNS0_10empty_typeEEEZZNS1_27merge_sort_block_merge_implIS3_N6thrust23THRUST_200600_302600_NS6detail15normal_iteratorINS9_10device_ptrIiEEEEPS5_m9comp_mod3IiEEE10hipError_tT0_T1_T2_jT3_P12ihipStream_tbPNSt15iterator_traitsISJ_E10value_typeEPNSP_ISK_E10value_typeEPSL_NS1_7vsmem_tEENKUlT_SJ_SK_SL_E_clISE_PiSF_SF_EESI_SY_SJ_SK_SL_EUlSY_E0_NS1_11comp_targetILNS1_3genE9ELNS1_11target_archE1100ELNS1_3gpuE3ELNS1_3repE0EEENS1_38merge_mergepath_config_static_selectorELNS0_4arch9wavefront6targetE0EEEvSK_.uses_flat_scratch, 0
	.set _ZN7rocprim17ROCPRIM_400000_NS6detail17trampoline_kernelINS0_14default_configENS1_38merge_sort_block_merge_config_selectorIiNS0_10empty_typeEEEZZNS1_27merge_sort_block_merge_implIS3_N6thrust23THRUST_200600_302600_NS6detail15normal_iteratorINS9_10device_ptrIiEEEEPS5_m9comp_mod3IiEEE10hipError_tT0_T1_T2_jT3_P12ihipStream_tbPNSt15iterator_traitsISJ_E10value_typeEPNSP_ISK_E10value_typeEPSL_NS1_7vsmem_tEENKUlT_SJ_SK_SL_E_clISE_PiSF_SF_EESI_SY_SJ_SK_SL_EUlSY_E0_NS1_11comp_targetILNS1_3genE9ELNS1_11target_archE1100ELNS1_3gpuE3ELNS1_3repE0EEENS1_38merge_mergepath_config_static_selectorELNS0_4arch9wavefront6targetE0EEEvSK_.has_dyn_sized_stack, 0
	.set _ZN7rocprim17ROCPRIM_400000_NS6detail17trampoline_kernelINS0_14default_configENS1_38merge_sort_block_merge_config_selectorIiNS0_10empty_typeEEEZZNS1_27merge_sort_block_merge_implIS3_N6thrust23THRUST_200600_302600_NS6detail15normal_iteratorINS9_10device_ptrIiEEEEPS5_m9comp_mod3IiEEE10hipError_tT0_T1_T2_jT3_P12ihipStream_tbPNSt15iterator_traitsISJ_E10value_typeEPNSP_ISK_E10value_typeEPSL_NS1_7vsmem_tEENKUlT_SJ_SK_SL_E_clISE_PiSF_SF_EESI_SY_SJ_SK_SL_EUlSY_E0_NS1_11comp_targetILNS1_3genE9ELNS1_11target_archE1100ELNS1_3gpuE3ELNS1_3repE0EEENS1_38merge_mergepath_config_static_selectorELNS0_4arch9wavefront6targetE0EEEvSK_.has_recursion, 0
	.set _ZN7rocprim17ROCPRIM_400000_NS6detail17trampoline_kernelINS0_14default_configENS1_38merge_sort_block_merge_config_selectorIiNS0_10empty_typeEEEZZNS1_27merge_sort_block_merge_implIS3_N6thrust23THRUST_200600_302600_NS6detail15normal_iteratorINS9_10device_ptrIiEEEEPS5_m9comp_mod3IiEEE10hipError_tT0_T1_T2_jT3_P12ihipStream_tbPNSt15iterator_traitsISJ_E10value_typeEPNSP_ISK_E10value_typeEPSL_NS1_7vsmem_tEENKUlT_SJ_SK_SL_E_clISE_PiSF_SF_EESI_SY_SJ_SK_SL_EUlSY_E0_NS1_11comp_targetILNS1_3genE9ELNS1_11target_archE1100ELNS1_3gpuE3ELNS1_3repE0EEENS1_38merge_mergepath_config_static_selectorELNS0_4arch9wavefront6targetE0EEEvSK_.has_indirect_call, 0
	.section	.AMDGPU.csdata,"",@progbits
; Kernel info:
; codeLenInByte = 0
; TotalNumSgprs: 0
; NumVgprs: 0
; ScratchSize: 0
; MemoryBound: 0
; FloatMode: 240
; IeeeMode: 1
; LDSByteSize: 0 bytes/workgroup (compile time only)
; SGPRBlocks: 0
; VGPRBlocks: 0
; NumSGPRsForWavesPerEU: 1
; NumVGPRsForWavesPerEU: 1
; Occupancy: 16
; WaveLimiterHint : 0
; COMPUTE_PGM_RSRC2:SCRATCH_EN: 0
; COMPUTE_PGM_RSRC2:USER_SGPR: 6
; COMPUTE_PGM_RSRC2:TRAP_HANDLER: 0
; COMPUTE_PGM_RSRC2:TGID_X_EN: 1
; COMPUTE_PGM_RSRC2:TGID_Y_EN: 0
; COMPUTE_PGM_RSRC2:TGID_Z_EN: 0
; COMPUTE_PGM_RSRC2:TIDIG_COMP_CNT: 0
	.section	.text._ZN7rocprim17ROCPRIM_400000_NS6detail17trampoline_kernelINS0_14default_configENS1_38merge_sort_block_merge_config_selectorIiNS0_10empty_typeEEEZZNS1_27merge_sort_block_merge_implIS3_N6thrust23THRUST_200600_302600_NS6detail15normal_iteratorINS9_10device_ptrIiEEEEPS5_m9comp_mod3IiEEE10hipError_tT0_T1_T2_jT3_P12ihipStream_tbPNSt15iterator_traitsISJ_E10value_typeEPNSP_ISK_E10value_typeEPSL_NS1_7vsmem_tEENKUlT_SJ_SK_SL_E_clISE_PiSF_SF_EESI_SY_SJ_SK_SL_EUlSY_E0_NS1_11comp_targetILNS1_3genE8ELNS1_11target_archE1030ELNS1_3gpuE2ELNS1_3repE0EEENS1_38merge_mergepath_config_static_selectorELNS0_4arch9wavefront6targetE0EEEvSK_,"axG",@progbits,_ZN7rocprim17ROCPRIM_400000_NS6detail17trampoline_kernelINS0_14default_configENS1_38merge_sort_block_merge_config_selectorIiNS0_10empty_typeEEEZZNS1_27merge_sort_block_merge_implIS3_N6thrust23THRUST_200600_302600_NS6detail15normal_iteratorINS9_10device_ptrIiEEEEPS5_m9comp_mod3IiEEE10hipError_tT0_T1_T2_jT3_P12ihipStream_tbPNSt15iterator_traitsISJ_E10value_typeEPNSP_ISK_E10value_typeEPSL_NS1_7vsmem_tEENKUlT_SJ_SK_SL_E_clISE_PiSF_SF_EESI_SY_SJ_SK_SL_EUlSY_E0_NS1_11comp_targetILNS1_3genE8ELNS1_11target_archE1030ELNS1_3gpuE2ELNS1_3repE0EEENS1_38merge_mergepath_config_static_selectorELNS0_4arch9wavefront6targetE0EEEvSK_,comdat
	.protected	_ZN7rocprim17ROCPRIM_400000_NS6detail17trampoline_kernelINS0_14default_configENS1_38merge_sort_block_merge_config_selectorIiNS0_10empty_typeEEEZZNS1_27merge_sort_block_merge_implIS3_N6thrust23THRUST_200600_302600_NS6detail15normal_iteratorINS9_10device_ptrIiEEEEPS5_m9comp_mod3IiEEE10hipError_tT0_T1_T2_jT3_P12ihipStream_tbPNSt15iterator_traitsISJ_E10value_typeEPNSP_ISK_E10value_typeEPSL_NS1_7vsmem_tEENKUlT_SJ_SK_SL_E_clISE_PiSF_SF_EESI_SY_SJ_SK_SL_EUlSY_E0_NS1_11comp_targetILNS1_3genE8ELNS1_11target_archE1030ELNS1_3gpuE2ELNS1_3repE0EEENS1_38merge_mergepath_config_static_selectorELNS0_4arch9wavefront6targetE0EEEvSK_ ; -- Begin function _ZN7rocprim17ROCPRIM_400000_NS6detail17trampoline_kernelINS0_14default_configENS1_38merge_sort_block_merge_config_selectorIiNS0_10empty_typeEEEZZNS1_27merge_sort_block_merge_implIS3_N6thrust23THRUST_200600_302600_NS6detail15normal_iteratorINS9_10device_ptrIiEEEEPS5_m9comp_mod3IiEEE10hipError_tT0_T1_T2_jT3_P12ihipStream_tbPNSt15iterator_traitsISJ_E10value_typeEPNSP_ISK_E10value_typeEPSL_NS1_7vsmem_tEENKUlT_SJ_SK_SL_E_clISE_PiSF_SF_EESI_SY_SJ_SK_SL_EUlSY_E0_NS1_11comp_targetILNS1_3genE8ELNS1_11target_archE1030ELNS1_3gpuE2ELNS1_3repE0EEENS1_38merge_mergepath_config_static_selectorELNS0_4arch9wavefront6targetE0EEEvSK_
	.globl	_ZN7rocprim17ROCPRIM_400000_NS6detail17trampoline_kernelINS0_14default_configENS1_38merge_sort_block_merge_config_selectorIiNS0_10empty_typeEEEZZNS1_27merge_sort_block_merge_implIS3_N6thrust23THRUST_200600_302600_NS6detail15normal_iteratorINS9_10device_ptrIiEEEEPS5_m9comp_mod3IiEEE10hipError_tT0_T1_T2_jT3_P12ihipStream_tbPNSt15iterator_traitsISJ_E10value_typeEPNSP_ISK_E10value_typeEPSL_NS1_7vsmem_tEENKUlT_SJ_SK_SL_E_clISE_PiSF_SF_EESI_SY_SJ_SK_SL_EUlSY_E0_NS1_11comp_targetILNS1_3genE8ELNS1_11target_archE1030ELNS1_3gpuE2ELNS1_3repE0EEENS1_38merge_mergepath_config_static_selectorELNS0_4arch9wavefront6targetE0EEEvSK_
	.p2align	8
	.type	_ZN7rocprim17ROCPRIM_400000_NS6detail17trampoline_kernelINS0_14default_configENS1_38merge_sort_block_merge_config_selectorIiNS0_10empty_typeEEEZZNS1_27merge_sort_block_merge_implIS3_N6thrust23THRUST_200600_302600_NS6detail15normal_iteratorINS9_10device_ptrIiEEEEPS5_m9comp_mod3IiEEE10hipError_tT0_T1_T2_jT3_P12ihipStream_tbPNSt15iterator_traitsISJ_E10value_typeEPNSP_ISK_E10value_typeEPSL_NS1_7vsmem_tEENKUlT_SJ_SK_SL_E_clISE_PiSF_SF_EESI_SY_SJ_SK_SL_EUlSY_E0_NS1_11comp_targetILNS1_3genE8ELNS1_11target_archE1030ELNS1_3gpuE2ELNS1_3repE0EEENS1_38merge_mergepath_config_static_selectorELNS0_4arch9wavefront6targetE0EEEvSK_,@function
_ZN7rocprim17ROCPRIM_400000_NS6detail17trampoline_kernelINS0_14default_configENS1_38merge_sort_block_merge_config_selectorIiNS0_10empty_typeEEEZZNS1_27merge_sort_block_merge_implIS3_N6thrust23THRUST_200600_302600_NS6detail15normal_iteratorINS9_10device_ptrIiEEEEPS5_m9comp_mod3IiEEE10hipError_tT0_T1_T2_jT3_P12ihipStream_tbPNSt15iterator_traitsISJ_E10value_typeEPNSP_ISK_E10value_typeEPSL_NS1_7vsmem_tEENKUlT_SJ_SK_SL_E_clISE_PiSF_SF_EESI_SY_SJ_SK_SL_EUlSY_E0_NS1_11comp_targetILNS1_3genE8ELNS1_11target_archE1030ELNS1_3gpuE2ELNS1_3repE0EEENS1_38merge_mergepath_config_static_selectorELNS0_4arch9wavefront6targetE0EEEvSK_: ; @_ZN7rocprim17ROCPRIM_400000_NS6detail17trampoline_kernelINS0_14default_configENS1_38merge_sort_block_merge_config_selectorIiNS0_10empty_typeEEEZZNS1_27merge_sort_block_merge_implIS3_N6thrust23THRUST_200600_302600_NS6detail15normal_iteratorINS9_10device_ptrIiEEEEPS5_m9comp_mod3IiEEE10hipError_tT0_T1_T2_jT3_P12ihipStream_tbPNSt15iterator_traitsISJ_E10value_typeEPNSP_ISK_E10value_typeEPSL_NS1_7vsmem_tEENKUlT_SJ_SK_SL_E_clISE_PiSF_SF_EESI_SY_SJ_SK_SL_EUlSY_E0_NS1_11comp_targetILNS1_3genE8ELNS1_11target_archE1030ELNS1_3gpuE2ELNS1_3repE0EEENS1_38merge_mergepath_config_static_selectorELNS0_4arch9wavefront6targetE0EEEvSK_
; %bb.0:
	s_clause 0x1
	s_load_dwordx2 s[22:23], s[4:5], 0x50
	s_load_dword s0, s[4:5], 0x38
	s_add_u32 s20, s4, 0x50
	s_addc_u32 s21, s5, 0
	s_waitcnt lgkmcnt(0)
	s_mul_i32 s1, s23, s8
	s_add_i32 s1, s1, s7
	s_mul_i32 s1, s1, s22
	s_add_i32 s18, s1, s6
	s_cmp_ge_u32 s18, s0
	s_cbranch_scc1 .LBB1027_35
; %bb.1:
	s_clause 0x1
	s_load_dwordx2 s[0:1], s[4:5], 0x48
	s_load_dwordx4 s[8:11], s[4:5], 0x28
	s_mov_b32 s19, 0
	s_lshl_b64 s[2:3], s[18:19], 3
	s_waitcnt lgkmcnt(0)
	s_add_u32 s0, s0, s2
	s_addc_u32 s1, s1, s3
	s_lshl_b64 s[16:17], s[18:19], 10
	s_load_dwordx4 s[12:15], s[0:1], 0x0
	s_lshr_b64 s[0:1], s[10:11], 9
	s_mov_b32 s1, s19
	s_and_b32 s0, s0, -2
	s_sub_i32 s29, 0, s0
	s_and_b32 s0, s18, s29
	s_lshl_b64 s[24:25], s[0:1], 10
	s_sub_u32 s23, s16, s24
	s_subb_u32 s30, s17, s25
	s_lshl_b64 s[26:27], s[0:1], 11
	s_load_dwordx4 s[0:3], s[4:5], 0x8
	s_add_u32 s7, s26, s10
	s_addc_u32 s28, s27, s11
	s_add_u32 s23, s7, s23
	s_addc_u32 s26, s28, s30
	s_waitcnt lgkmcnt(0)
	s_sub_u32 s27, s23, s14
	s_subb_u32 s15, s26, s15
	s_add_u32 s30, s27, 0x400
	s_addc_u32 s31, s15, 0
	v_cmp_lt_u64_e64 s15, s[8:9], s[30:31]
	s_and_b32 s15, s15, exec_lo
	s_cselect_b32 s27, s8, s30
	s_or_b32 s15, s18, s29
	s_cmp_lg_u32 s15, -1
	s_mov_b32 s15, -1
	s_cbranch_scc1 .LBB1027_3
; %bb.2:
	s_sub_u32 s24, s7, s24
	s_subb_u32 s25, s28, s25
	v_cmp_lt_u64_e64 s7, s[8:9], s[24:25]
	s_and_b32 s7, s7, exec_lo
	s_cselect_b32 s14, s8, s24
	s_add_u32 s10, s24, s10
	s_addc_u32 s11, s25, s11
	v_cmp_lt_u64_e64 s7, s[8:9], s[10:11]
	s_and_b32 s7, s7, exec_lo
	s_cselect_b32 s27, s8, s10
.LBB1027_3:
	s_lshr_b64 s[24:25], s[8:9], 10
	v_mov_b32_e32 v3, 0
	s_cmp_lg_u64 s[24:25], s[18:19]
	v_lshlrev_b32_e32 v8, 2, v0
	s_cselect_b32 s7, -1, 0
	s_sub_u32 s10, s23, s12
	s_subb_u32 s11, s26, s13
	global_load_dword v1, v3, s[20:21] offset:14
	v_cmp_lt_u64_e64 s23, s[8:9], s[10:11]
                                        ; implicit-def: $vgpr7
	s_and_b32 s23, s23, exec_lo
	s_cselect_b32 s28, s8, s10
	s_cselect_b32 s29, s9, s11
	s_sub_i32 s9, s14, s12
	s_lshl_b64 s[12:13], s[12:13], 2
	s_sub_i32 s10, s27, s28
	s_add_u32 s12, s0, s12
	s_addc_u32 s13, s1, s13
	s_lshl_b64 s[26:27], s[28:29], 2
	s_add_u32 s11, s0, s26
	s_addc_u32 s1, s1, s27
	s_cmp_lt_u32 s6, s22
	s_cselect_b32 s0, 12, 18
	s_add_u32 s20, s20, s0
	s_addc_u32 s21, s21, 0
	s_cmp_eq_u64 s[24:25], s[18:19]
	global_load_ushort v2, v3, s[20:21]
	s_waitcnt vmcnt(1)
	v_lshrrev_b32_e32 v4, 16, v1
	v_and_b32_e32 v1, 0xffff, v1
	v_mul_lo_u32 v1, v1, v4
                                        ; implicit-def: $vgpr4
	s_waitcnt vmcnt(0)
	v_mul_lo_u32 v5, v1, v2
                                        ; implicit-def: $vgpr2
	v_add_nc_u32_e32 v1, v5, v0
	s_cbranch_scc0 .LBB1027_25
; %bb.4:
	s_andn2_b32 vcc_lo, exec_lo, s15
	s_cbranch_vccz .LBB1027_26
.LBB1027_5:
	s_load_dwordx2 s[4:5], s[4:5], 0x40
	v_mov_b32_e32 v1, 0
	s_and_saveexec_b32 s6, s19
	s_cbranch_execz .LBB1027_7
.LBB1027_6:
	v_mov_b32_e32 v6, 0
	v_mov_b32_e32 v3, v6
	v_lshlrev_b64 v[9:10], 2, v[2:3]
	v_add_co_u32 v3, vcc_lo, s12, v9
	v_add_co_ci_u32_e64 v9, null, s13, v10, vcc_lo
	v_sub_co_u32 v5, vcc_lo, v2, s9
	v_lshlrev_b64 v[1:2], 2, v[5:6]
	v_add_co_u32 v1, s0, s11, v1
	v_add_co_ci_u32_e64 v2, null, s1, v2, s0
	v_cndmask_b32_e32 v1, v1, v3, vcc_lo
	v_cndmask_b32_e32 v2, v2, v9, vcc_lo
	global_load_dword v1, v[1:2], off
.LBB1027_7:
	s_or_b32 exec_lo, exec_lo, s6
	v_lshlrev_b32_e32 v9, 1, v0
	s_mov_b32 s0, exec_lo
	s_waitcnt vmcnt(0)
	ds_write2st64_b32 v8, v4, v1 offset1:8
	s_waitcnt lgkmcnt(0)
	s_barrier
	v_min_u32_e32 v3, v7, v9
	buffer_gl0_inv
	v_sub_nc_u32_e64 v2, v3, s10 clamp
	v_min_u32_e32 v5, s9, v3
	v_cmpx_lt_u32_e64 v2, v5
	s_cbranch_execz .LBB1027_11
; %bb.8:
	v_lshlrev_b32_e32 v6, 2, v3
	s_mov_b32 s1, 0
	v_lshl_add_u32 v6, s9, 2, v6
	s_inst_prefetch 0x1
	.p2align	6
.LBB1027_9:                             ; =>This Inner Loop Header: Depth=1
	v_add_nc_u32_e32 v10, v5, v2
	v_lshrrev_b32_e32 v14, 1, v10
	v_not_b32_e32 v10, v14
	v_lshlrev_b32_e32 v11, 2, v14
	v_lshl_add_u32 v12, v10, 2, v6
	ds_read_b32 v10, v11
	ds_read_b32 v12, v12
	s_waitcnt lgkmcnt(1)
	v_ashrrev_i32_e32 v11, 31, v10
	s_waitcnt lgkmcnt(0)
	v_ashrrev_i32_e32 v13, 31, v12
	v_lshlrev_b64 v[10:11], 2, v[10:11]
	v_lshlrev_b64 v[12:13], 2, v[12:13]
	v_add_co_u32 v10, vcc_lo, s4, v10
	v_add_co_ci_u32_e64 v11, null, s5, v11, vcc_lo
	v_add_co_u32 v12, vcc_lo, s4, v12
	v_add_co_ci_u32_e64 v13, null, s5, v13, vcc_lo
	s_clause 0x1
	global_load_dword v12, v[12:13], off
	global_load_dword v10, v[10:11], off
	v_add_nc_u32_e32 v11, 1, v14
	s_waitcnt vmcnt(0)
	v_cmp_lt_i32_e32 vcc_lo, v12, v10
	v_cndmask_b32_e32 v5, v5, v14, vcc_lo
	v_cndmask_b32_e32 v2, v11, v2, vcc_lo
	v_cmp_ge_u32_e32 vcc_lo, v2, v5
	s_or_b32 s1, vcc_lo, s1
	s_andn2_b32 exec_lo, exec_lo, s1
	s_cbranch_execnz .LBB1027_9
; %bb.10:
	s_inst_prefetch 0x2
	s_or_b32 exec_lo, exec_lo, s1
.LBB1027_11:
	s_or_b32 exec_lo, exec_lo, s0
	v_sub_nc_u32_e32 v3, v3, v2
	v_cmp_ge_u32_e32 vcc_lo, s9, v2
	v_add_nc_u32_e32 v10, s9, v3
	v_cmp_le_u32_e64 s0, v10, v7
	s_or_b32 s0, vcc_lo, s0
	s_and_saveexec_b32 s1, s0
	s_cbranch_execz .LBB1027_23
; %bb.12:
	s_mov_b32 s6, exec_lo
	v_cmp_le_u32_e32 vcc_lo, s9, v2
                                        ; implicit-def: $vgpr3
	v_cmpx_gt_u32_e64 s9, v2
; %bb.13:
	v_lshlrev_b32_e32 v1, 2, v2
	ds_read_b32 v3, v1
; %bb.14:
	s_or_b32 exec_lo, exec_lo, s6
	v_cmp_ge_u32_e64 s6, v10, v7
	s_mov_b32 s10, exec_lo
                                        ; implicit-def: $vgpr5
	v_cmpx_lt_u32_e64 v10, v7
; %bb.15:
	v_lshlrev_b32_e32 v1, 2, v10
	ds_read_b32 v5, v1
; %bb.16:
	s_or_b32 exec_lo, exec_lo, s10
	s_nor_b32 s10, vcc_lo, s6
	s_and_saveexec_b32 s0, s10
	s_cbranch_execz .LBB1027_18
; %bb.17:
	s_waitcnt lgkmcnt(0)
	v_ashrrev_i32_e32 v6, 31, v5
	v_ashrrev_i32_e32 v4, 31, v3
	s_andn2_b32 s6, s6, exec_lo
	v_lshlrev_b64 v[11:12], 2, v[5:6]
	v_lshlrev_b64 v[13:14], 2, v[3:4]
	v_add_co_u32 v11, vcc_lo, s4, v11
	v_add_co_ci_u32_e64 v12, null, s5, v12, vcc_lo
	v_add_co_u32 v13, vcc_lo, s4, v13
	v_add_co_ci_u32_e64 v14, null, s5, v14, vcc_lo
	s_clause 0x1
	global_load_dword v1, v[11:12], off
	global_load_dword v4, v[13:14], off
	s_waitcnt vmcnt(0)
	v_cmp_ge_i32_e32 vcc_lo, v1, v4
	s_and_b32 s10, vcc_lo, exec_lo
	s_or_b32 s6, s6, s10
.LBB1027_18:
	s_or_b32 exec_lo, exec_lo, s0
	v_cndmask_b32_e64 v1, v10, v2, s6
	v_cndmask_b32_e64 v6, v7, s9, s6
	s_mov_b32 s0, exec_lo
	v_add_nc_u32_e32 v4, 1, v1
	v_add_nc_u32_e32 v1, -1, v6
	v_cndmask_b32_e64 v10, v4, v10, s6
	v_min_u32_e32 v1, v4, v1
	v_lshlrev_b32_e32 v1, 2, v1
	ds_read_b32 v6, v1
	s_waitcnt lgkmcnt(0)
	v_cndmask_b32_e64 v1, v3, v6, s6
	v_cmpx_lt_u32_e64 v10, v7
	s_cbranch_execz .LBB1027_22
; %bb.19:
	v_cndmask_b32_e64 v2, v2, v4, s6
	v_cndmask_b32_e64 v6, v6, v5, s6
	v_cmp_gt_u32_e32 vcc_lo, s9, v2
	s_and_saveexec_b32 s9, vcc_lo
	s_cbranch_execz .LBB1027_21
; %bb.20:
	v_ashrrev_i32_e32 v7, 31, v6
	v_ashrrev_i32_e32 v2, 31, v1
	v_lshlrev_b64 v[10:11], 2, v[6:7]
	v_lshlrev_b64 v[12:13], 2, v[1:2]
	v_add_co_u32 v10, vcc_lo, s4, v10
	v_add_co_ci_u32_e64 v11, null, s5, v11, vcc_lo
	v_add_co_u32 v12, vcc_lo, s4, v12
	v_add_co_ci_u32_e64 v13, null, s5, v13, vcc_lo
	s_clause 0x1
	global_load_dword v2, v[10:11], off
	global_load_dword v4, v[12:13], off
	s_waitcnt vmcnt(0)
	v_cmp_lt_i32_e32 vcc_lo, v2, v4
	v_cndmask_b32_e32 v6, v1, v6, vcc_lo
.LBB1027_21:
	s_or_b32 exec_lo, exec_lo, s9
	v_mov_b32_e32 v1, v6
.LBB1027_22:
	s_or_b32 exec_lo, exec_lo, s0
	v_cndmask_b32_e64 v4, v5, v3, s6
.LBB1027_23:
	s_or_b32 exec_lo, exec_lo, s1
	v_lshrrev_b32_e32 v2, 2, v0
	v_or_b32_e32 v3, 0x200, v0
	v_lshrrev_b32_e32 v5, 3, v0
	s_lshl_b64 s[0:1], s[16:17], 2
	v_and_b32_e32 v2, 0x7c, v2
	v_lshrrev_b32_e32 v6, 3, v3
	v_and_b32_e32 v5, 60, v5
	s_add_u32 s0, s2, s0
	s_barrier
	v_lshl_add_u32 v2, v9, 2, v2
	v_and_b32_e32 v6, 0x7c, v6
	buffer_gl0_inv
	s_barrier
	buffer_gl0_inv
	s_addc_u32 s1, s3, s1
	ds_write2_b32 v2, v4, v1 offset1:1
	v_add_co_u32 v1, s0, s0, v8
	v_add_nc_u32_e32 v5, v5, v8
	v_add_nc_u32_e32 v6, v6, v8
	v_add_co_ci_u32_e64 v2, null, s1, 0, s0
	s_and_b32 vcc_lo, exec_lo, s7
	s_waitcnt lgkmcnt(0)
	s_cbranch_vccz .LBB1027_29
; %bb.24:
	s_barrier
	buffer_gl0_inv
	ds_read_b32 v7, v5
	ds_read_b32 v4, v6 offset:2048
	s_mov_b32 s0, -1
	s_waitcnt lgkmcnt(1)
	global_store_dword v[1:2], v7, off
	s_cbranch_execz .LBB1027_30
	s_branch .LBB1027_33
.LBB1027_25:
	v_sub_co_u32 v2, vcc_lo, v0, s9
	v_add_co_u32 v4, s0, s12, v8
	v_add_co_ci_u32_e64 v6, null, s13, 0, s0
	v_lshlrev_b64 v[2:3], 2, v[2:3]
	s_mov_b32 s19, -1
	v_add_co_u32 v2, s0, s11, v2
	v_add_co_ci_u32_e64 v3, null, s1, v3, s0
	s_add_i32 s0, s9, s10
	v_cndmask_b32_e32 v2, v2, v4, vcc_lo
	v_mov_b32_e32 v7, s0
	v_cndmask_b32_e32 v3, v3, v6, vcc_lo
	global_load_dword v4, v[2:3], off
	v_add_nc_u32_e32 v2, v5, v0
	s_cbranch_execnz .LBB1027_5
.LBB1027_26:
	s_waitcnt vmcnt(0)
	v_mov_b32_e32 v4, 0
	s_add_i32 s6, s9, s10
	s_mov_b32 s14, exec_lo
	v_cmpx_gt_u32_e64 s6, v0
	s_cbranch_execz .LBB1027_28
; %bb.27:
	v_sub_co_u32 v2, vcc_lo, v0, s9
	v_mov_b32_e32 v3, 0
	v_add_co_u32 v4, s0, s12, v8
	v_add_co_ci_u32_e64 v5, null, s13, 0, s0
	v_lshlrev_b64 v[2:3], 2, v[2:3]
	v_add_co_u32 v2, s0, s11, v2
	v_add_co_ci_u32_e64 v3, null, s1, v3, s0
	v_cndmask_b32_e32 v2, v2, v4, vcc_lo
	v_cndmask_b32_e32 v3, v3, v5, vcc_lo
	global_load_dword v4, v[2:3], off
.LBB1027_28:
	s_or_b32 exec_lo, exec_lo, s14
	v_cmp_gt_u32_e64 s19, s6, v1
	v_mov_b32_e32 v7, s6
	v_mov_b32_e32 v2, v1
	s_load_dwordx2 s[4:5], s[4:5], 0x40
	v_mov_b32_e32 v1, 0
	s_and_saveexec_b32 s6, s19
	s_cbranch_execnz .LBB1027_6
	s_branch .LBB1027_7
.LBB1027_29:
	s_mov_b32 s0, 0
                                        ; implicit-def: $vgpr4
.LBB1027_30:
	s_barrier
	s_waitcnt lgkmcnt(0)
	s_waitcnt_vscnt null, 0x0
	buffer_gl0_inv
	ds_read_b32 v4, v6 offset:2048
	s_sub_i32 s0, s8, s16
	s_mov_b32 s1, exec_lo
	v_cmpx_gt_u32_e64 s0, v0
	s_cbranch_execz .LBB1027_32
; %bb.31:
	ds_read_b32 v0, v5
	s_waitcnt lgkmcnt(0)
	global_store_dword v[1:2], v0, off
.LBB1027_32:
	s_or_b32 exec_lo, exec_lo, s1
	v_cmp_gt_u32_e64 s0, s0, v3
.LBB1027_33:
	s_and_saveexec_b32 s1, s0
	s_cbranch_execz .LBB1027_35
; %bb.34:
	v_add_co_u32 v0, vcc_lo, 0x800, v1
	v_add_co_ci_u32_e64 v1, null, 0, v2, vcc_lo
	s_waitcnt lgkmcnt(0)
	global_store_dword v[0:1], v4, off
.LBB1027_35:
	s_endpgm
	.section	.rodata,"a",@progbits
	.p2align	6, 0x0
	.amdhsa_kernel _ZN7rocprim17ROCPRIM_400000_NS6detail17trampoline_kernelINS0_14default_configENS1_38merge_sort_block_merge_config_selectorIiNS0_10empty_typeEEEZZNS1_27merge_sort_block_merge_implIS3_N6thrust23THRUST_200600_302600_NS6detail15normal_iteratorINS9_10device_ptrIiEEEEPS5_m9comp_mod3IiEEE10hipError_tT0_T1_T2_jT3_P12ihipStream_tbPNSt15iterator_traitsISJ_E10value_typeEPNSP_ISK_E10value_typeEPSL_NS1_7vsmem_tEENKUlT_SJ_SK_SL_E_clISE_PiSF_SF_EESI_SY_SJ_SK_SL_EUlSY_E0_NS1_11comp_targetILNS1_3genE8ELNS1_11target_archE1030ELNS1_3gpuE2ELNS1_3repE0EEENS1_38merge_mergepath_config_static_selectorELNS0_4arch9wavefront6targetE0EEEvSK_
		.amdhsa_group_segment_fixed_size 4224
		.amdhsa_private_segment_fixed_size 0
		.amdhsa_kernarg_size 336
		.amdhsa_user_sgpr_count 6
		.amdhsa_user_sgpr_private_segment_buffer 1
		.amdhsa_user_sgpr_dispatch_ptr 0
		.amdhsa_user_sgpr_queue_ptr 0
		.amdhsa_user_sgpr_kernarg_segment_ptr 1
		.amdhsa_user_sgpr_dispatch_id 0
		.amdhsa_user_sgpr_flat_scratch_init 0
		.amdhsa_user_sgpr_private_segment_size 0
		.amdhsa_wavefront_size32 1
		.amdhsa_uses_dynamic_stack 0
		.amdhsa_system_sgpr_private_segment_wavefront_offset 0
		.amdhsa_system_sgpr_workgroup_id_x 1
		.amdhsa_system_sgpr_workgroup_id_y 1
		.amdhsa_system_sgpr_workgroup_id_z 1
		.amdhsa_system_sgpr_workgroup_info 0
		.amdhsa_system_vgpr_workitem_id 0
		.amdhsa_next_free_vgpr 15
		.amdhsa_next_free_sgpr 32
		.amdhsa_reserve_vcc 1
		.amdhsa_reserve_flat_scratch 0
		.amdhsa_float_round_mode_32 0
		.amdhsa_float_round_mode_16_64 0
		.amdhsa_float_denorm_mode_32 3
		.amdhsa_float_denorm_mode_16_64 3
		.amdhsa_dx10_clamp 1
		.amdhsa_ieee_mode 1
		.amdhsa_fp16_overflow 0
		.amdhsa_workgroup_processor_mode 1
		.amdhsa_memory_ordered 1
		.amdhsa_forward_progress 1
		.amdhsa_shared_vgpr_count 0
		.amdhsa_exception_fp_ieee_invalid_op 0
		.amdhsa_exception_fp_denorm_src 0
		.amdhsa_exception_fp_ieee_div_zero 0
		.amdhsa_exception_fp_ieee_overflow 0
		.amdhsa_exception_fp_ieee_underflow 0
		.amdhsa_exception_fp_ieee_inexact 0
		.amdhsa_exception_int_div_zero 0
	.end_amdhsa_kernel
	.section	.text._ZN7rocprim17ROCPRIM_400000_NS6detail17trampoline_kernelINS0_14default_configENS1_38merge_sort_block_merge_config_selectorIiNS0_10empty_typeEEEZZNS1_27merge_sort_block_merge_implIS3_N6thrust23THRUST_200600_302600_NS6detail15normal_iteratorINS9_10device_ptrIiEEEEPS5_m9comp_mod3IiEEE10hipError_tT0_T1_T2_jT3_P12ihipStream_tbPNSt15iterator_traitsISJ_E10value_typeEPNSP_ISK_E10value_typeEPSL_NS1_7vsmem_tEENKUlT_SJ_SK_SL_E_clISE_PiSF_SF_EESI_SY_SJ_SK_SL_EUlSY_E0_NS1_11comp_targetILNS1_3genE8ELNS1_11target_archE1030ELNS1_3gpuE2ELNS1_3repE0EEENS1_38merge_mergepath_config_static_selectorELNS0_4arch9wavefront6targetE0EEEvSK_,"axG",@progbits,_ZN7rocprim17ROCPRIM_400000_NS6detail17trampoline_kernelINS0_14default_configENS1_38merge_sort_block_merge_config_selectorIiNS0_10empty_typeEEEZZNS1_27merge_sort_block_merge_implIS3_N6thrust23THRUST_200600_302600_NS6detail15normal_iteratorINS9_10device_ptrIiEEEEPS5_m9comp_mod3IiEEE10hipError_tT0_T1_T2_jT3_P12ihipStream_tbPNSt15iterator_traitsISJ_E10value_typeEPNSP_ISK_E10value_typeEPSL_NS1_7vsmem_tEENKUlT_SJ_SK_SL_E_clISE_PiSF_SF_EESI_SY_SJ_SK_SL_EUlSY_E0_NS1_11comp_targetILNS1_3genE8ELNS1_11target_archE1030ELNS1_3gpuE2ELNS1_3repE0EEENS1_38merge_mergepath_config_static_selectorELNS0_4arch9wavefront6targetE0EEEvSK_,comdat
.Lfunc_end1027:
	.size	_ZN7rocprim17ROCPRIM_400000_NS6detail17trampoline_kernelINS0_14default_configENS1_38merge_sort_block_merge_config_selectorIiNS0_10empty_typeEEEZZNS1_27merge_sort_block_merge_implIS3_N6thrust23THRUST_200600_302600_NS6detail15normal_iteratorINS9_10device_ptrIiEEEEPS5_m9comp_mod3IiEEE10hipError_tT0_T1_T2_jT3_P12ihipStream_tbPNSt15iterator_traitsISJ_E10value_typeEPNSP_ISK_E10value_typeEPSL_NS1_7vsmem_tEENKUlT_SJ_SK_SL_E_clISE_PiSF_SF_EESI_SY_SJ_SK_SL_EUlSY_E0_NS1_11comp_targetILNS1_3genE8ELNS1_11target_archE1030ELNS1_3gpuE2ELNS1_3repE0EEENS1_38merge_mergepath_config_static_selectorELNS0_4arch9wavefront6targetE0EEEvSK_, .Lfunc_end1027-_ZN7rocprim17ROCPRIM_400000_NS6detail17trampoline_kernelINS0_14default_configENS1_38merge_sort_block_merge_config_selectorIiNS0_10empty_typeEEEZZNS1_27merge_sort_block_merge_implIS3_N6thrust23THRUST_200600_302600_NS6detail15normal_iteratorINS9_10device_ptrIiEEEEPS5_m9comp_mod3IiEEE10hipError_tT0_T1_T2_jT3_P12ihipStream_tbPNSt15iterator_traitsISJ_E10value_typeEPNSP_ISK_E10value_typeEPSL_NS1_7vsmem_tEENKUlT_SJ_SK_SL_E_clISE_PiSF_SF_EESI_SY_SJ_SK_SL_EUlSY_E0_NS1_11comp_targetILNS1_3genE8ELNS1_11target_archE1030ELNS1_3gpuE2ELNS1_3repE0EEENS1_38merge_mergepath_config_static_selectorELNS0_4arch9wavefront6targetE0EEEvSK_
                                        ; -- End function
	.set _ZN7rocprim17ROCPRIM_400000_NS6detail17trampoline_kernelINS0_14default_configENS1_38merge_sort_block_merge_config_selectorIiNS0_10empty_typeEEEZZNS1_27merge_sort_block_merge_implIS3_N6thrust23THRUST_200600_302600_NS6detail15normal_iteratorINS9_10device_ptrIiEEEEPS5_m9comp_mod3IiEEE10hipError_tT0_T1_T2_jT3_P12ihipStream_tbPNSt15iterator_traitsISJ_E10value_typeEPNSP_ISK_E10value_typeEPSL_NS1_7vsmem_tEENKUlT_SJ_SK_SL_E_clISE_PiSF_SF_EESI_SY_SJ_SK_SL_EUlSY_E0_NS1_11comp_targetILNS1_3genE8ELNS1_11target_archE1030ELNS1_3gpuE2ELNS1_3repE0EEENS1_38merge_mergepath_config_static_selectorELNS0_4arch9wavefront6targetE0EEEvSK_.num_vgpr, 15
	.set _ZN7rocprim17ROCPRIM_400000_NS6detail17trampoline_kernelINS0_14default_configENS1_38merge_sort_block_merge_config_selectorIiNS0_10empty_typeEEEZZNS1_27merge_sort_block_merge_implIS3_N6thrust23THRUST_200600_302600_NS6detail15normal_iteratorINS9_10device_ptrIiEEEEPS5_m9comp_mod3IiEEE10hipError_tT0_T1_T2_jT3_P12ihipStream_tbPNSt15iterator_traitsISJ_E10value_typeEPNSP_ISK_E10value_typeEPSL_NS1_7vsmem_tEENKUlT_SJ_SK_SL_E_clISE_PiSF_SF_EESI_SY_SJ_SK_SL_EUlSY_E0_NS1_11comp_targetILNS1_3genE8ELNS1_11target_archE1030ELNS1_3gpuE2ELNS1_3repE0EEENS1_38merge_mergepath_config_static_selectorELNS0_4arch9wavefront6targetE0EEEvSK_.num_agpr, 0
	.set _ZN7rocprim17ROCPRIM_400000_NS6detail17trampoline_kernelINS0_14default_configENS1_38merge_sort_block_merge_config_selectorIiNS0_10empty_typeEEEZZNS1_27merge_sort_block_merge_implIS3_N6thrust23THRUST_200600_302600_NS6detail15normal_iteratorINS9_10device_ptrIiEEEEPS5_m9comp_mod3IiEEE10hipError_tT0_T1_T2_jT3_P12ihipStream_tbPNSt15iterator_traitsISJ_E10value_typeEPNSP_ISK_E10value_typeEPSL_NS1_7vsmem_tEENKUlT_SJ_SK_SL_E_clISE_PiSF_SF_EESI_SY_SJ_SK_SL_EUlSY_E0_NS1_11comp_targetILNS1_3genE8ELNS1_11target_archE1030ELNS1_3gpuE2ELNS1_3repE0EEENS1_38merge_mergepath_config_static_selectorELNS0_4arch9wavefront6targetE0EEEvSK_.numbered_sgpr, 32
	.set _ZN7rocprim17ROCPRIM_400000_NS6detail17trampoline_kernelINS0_14default_configENS1_38merge_sort_block_merge_config_selectorIiNS0_10empty_typeEEEZZNS1_27merge_sort_block_merge_implIS3_N6thrust23THRUST_200600_302600_NS6detail15normal_iteratorINS9_10device_ptrIiEEEEPS5_m9comp_mod3IiEEE10hipError_tT0_T1_T2_jT3_P12ihipStream_tbPNSt15iterator_traitsISJ_E10value_typeEPNSP_ISK_E10value_typeEPSL_NS1_7vsmem_tEENKUlT_SJ_SK_SL_E_clISE_PiSF_SF_EESI_SY_SJ_SK_SL_EUlSY_E0_NS1_11comp_targetILNS1_3genE8ELNS1_11target_archE1030ELNS1_3gpuE2ELNS1_3repE0EEENS1_38merge_mergepath_config_static_selectorELNS0_4arch9wavefront6targetE0EEEvSK_.num_named_barrier, 0
	.set _ZN7rocprim17ROCPRIM_400000_NS6detail17trampoline_kernelINS0_14default_configENS1_38merge_sort_block_merge_config_selectorIiNS0_10empty_typeEEEZZNS1_27merge_sort_block_merge_implIS3_N6thrust23THRUST_200600_302600_NS6detail15normal_iteratorINS9_10device_ptrIiEEEEPS5_m9comp_mod3IiEEE10hipError_tT0_T1_T2_jT3_P12ihipStream_tbPNSt15iterator_traitsISJ_E10value_typeEPNSP_ISK_E10value_typeEPSL_NS1_7vsmem_tEENKUlT_SJ_SK_SL_E_clISE_PiSF_SF_EESI_SY_SJ_SK_SL_EUlSY_E0_NS1_11comp_targetILNS1_3genE8ELNS1_11target_archE1030ELNS1_3gpuE2ELNS1_3repE0EEENS1_38merge_mergepath_config_static_selectorELNS0_4arch9wavefront6targetE0EEEvSK_.private_seg_size, 0
	.set _ZN7rocprim17ROCPRIM_400000_NS6detail17trampoline_kernelINS0_14default_configENS1_38merge_sort_block_merge_config_selectorIiNS0_10empty_typeEEEZZNS1_27merge_sort_block_merge_implIS3_N6thrust23THRUST_200600_302600_NS6detail15normal_iteratorINS9_10device_ptrIiEEEEPS5_m9comp_mod3IiEEE10hipError_tT0_T1_T2_jT3_P12ihipStream_tbPNSt15iterator_traitsISJ_E10value_typeEPNSP_ISK_E10value_typeEPSL_NS1_7vsmem_tEENKUlT_SJ_SK_SL_E_clISE_PiSF_SF_EESI_SY_SJ_SK_SL_EUlSY_E0_NS1_11comp_targetILNS1_3genE8ELNS1_11target_archE1030ELNS1_3gpuE2ELNS1_3repE0EEENS1_38merge_mergepath_config_static_selectorELNS0_4arch9wavefront6targetE0EEEvSK_.uses_vcc, 1
	.set _ZN7rocprim17ROCPRIM_400000_NS6detail17trampoline_kernelINS0_14default_configENS1_38merge_sort_block_merge_config_selectorIiNS0_10empty_typeEEEZZNS1_27merge_sort_block_merge_implIS3_N6thrust23THRUST_200600_302600_NS6detail15normal_iteratorINS9_10device_ptrIiEEEEPS5_m9comp_mod3IiEEE10hipError_tT0_T1_T2_jT3_P12ihipStream_tbPNSt15iterator_traitsISJ_E10value_typeEPNSP_ISK_E10value_typeEPSL_NS1_7vsmem_tEENKUlT_SJ_SK_SL_E_clISE_PiSF_SF_EESI_SY_SJ_SK_SL_EUlSY_E0_NS1_11comp_targetILNS1_3genE8ELNS1_11target_archE1030ELNS1_3gpuE2ELNS1_3repE0EEENS1_38merge_mergepath_config_static_selectorELNS0_4arch9wavefront6targetE0EEEvSK_.uses_flat_scratch, 0
	.set _ZN7rocprim17ROCPRIM_400000_NS6detail17trampoline_kernelINS0_14default_configENS1_38merge_sort_block_merge_config_selectorIiNS0_10empty_typeEEEZZNS1_27merge_sort_block_merge_implIS3_N6thrust23THRUST_200600_302600_NS6detail15normal_iteratorINS9_10device_ptrIiEEEEPS5_m9comp_mod3IiEEE10hipError_tT0_T1_T2_jT3_P12ihipStream_tbPNSt15iterator_traitsISJ_E10value_typeEPNSP_ISK_E10value_typeEPSL_NS1_7vsmem_tEENKUlT_SJ_SK_SL_E_clISE_PiSF_SF_EESI_SY_SJ_SK_SL_EUlSY_E0_NS1_11comp_targetILNS1_3genE8ELNS1_11target_archE1030ELNS1_3gpuE2ELNS1_3repE0EEENS1_38merge_mergepath_config_static_selectorELNS0_4arch9wavefront6targetE0EEEvSK_.has_dyn_sized_stack, 0
	.set _ZN7rocprim17ROCPRIM_400000_NS6detail17trampoline_kernelINS0_14default_configENS1_38merge_sort_block_merge_config_selectorIiNS0_10empty_typeEEEZZNS1_27merge_sort_block_merge_implIS3_N6thrust23THRUST_200600_302600_NS6detail15normal_iteratorINS9_10device_ptrIiEEEEPS5_m9comp_mod3IiEEE10hipError_tT0_T1_T2_jT3_P12ihipStream_tbPNSt15iterator_traitsISJ_E10value_typeEPNSP_ISK_E10value_typeEPSL_NS1_7vsmem_tEENKUlT_SJ_SK_SL_E_clISE_PiSF_SF_EESI_SY_SJ_SK_SL_EUlSY_E0_NS1_11comp_targetILNS1_3genE8ELNS1_11target_archE1030ELNS1_3gpuE2ELNS1_3repE0EEENS1_38merge_mergepath_config_static_selectorELNS0_4arch9wavefront6targetE0EEEvSK_.has_recursion, 0
	.set _ZN7rocprim17ROCPRIM_400000_NS6detail17trampoline_kernelINS0_14default_configENS1_38merge_sort_block_merge_config_selectorIiNS0_10empty_typeEEEZZNS1_27merge_sort_block_merge_implIS3_N6thrust23THRUST_200600_302600_NS6detail15normal_iteratorINS9_10device_ptrIiEEEEPS5_m9comp_mod3IiEEE10hipError_tT0_T1_T2_jT3_P12ihipStream_tbPNSt15iterator_traitsISJ_E10value_typeEPNSP_ISK_E10value_typeEPSL_NS1_7vsmem_tEENKUlT_SJ_SK_SL_E_clISE_PiSF_SF_EESI_SY_SJ_SK_SL_EUlSY_E0_NS1_11comp_targetILNS1_3genE8ELNS1_11target_archE1030ELNS1_3gpuE2ELNS1_3repE0EEENS1_38merge_mergepath_config_static_selectorELNS0_4arch9wavefront6targetE0EEEvSK_.has_indirect_call, 0
	.section	.AMDGPU.csdata,"",@progbits
; Kernel info:
; codeLenInByte = 1776
; TotalNumSgprs: 34
; NumVgprs: 15
; ScratchSize: 0
; MemoryBound: 0
; FloatMode: 240
; IeeeMode: 1
; LDSByteSize: 4224 bytes/workgroup (compile time only)
; SGPRBlocks: 0
; VGPRBlocks: 1
; NumSGPRsForWavesPerEU: 34
; NumVGPRsForWavesPerEU: 15
; Occupancy: 16
; WaveLimiterHint : 1
; COMPUTE_PGM_RSRC2:SCRATCH_EN: 0
; COMPUTE_PGM_RSRC2:USER_SGPR: 6
; COMPUTE_PGM_RSRC2:TRAP_HANDLER: 0
; COMPUTE_PGM_RSRC2:TGID_X_EN: 1
; COMPUTE_PGM_RSRC2:TGID_Y_EN: 1
; COMPUTE_PGM_RSRC2:TGID_Z_EN: 1
; COMPUTE_PGM_RSRC2:TIDIG_COMP_CNT: 0
	.section	.text._ZN7rocprim17ROCPRIM_400000_NS6detail17trampoline_kernelINS0_14default_configENS1_38merge_sort_block_merge_config_selectorIiNS0_10empty_typeEEEZZNS1_27merge_sort_block_merge_implIS3_N6thrust23THRUST_200600_302600_NS6detail15normal_iteratorINS9_10device_ptrIiEEEEPS5_m9comp_mod3IiEEE10hipError_tT0_T1_T2_jT3_P12ihipStream_tbPNSt15iterator_traitsISJ_E10value_typeEPNSP_ISK_E10value_typeEPSL_NS1_7vsmem_tEENKUlT_SJ_SK_SL_E_clISE_PiSF_SF_EESI_SY_SJ_SK_SL_EUlSY_E1_NS1_11comp_targetILNS1_3genE0ELNS1_11target_archE4294967295ELNS1_3gpuE0ELNS1_3repE0EEENS1_36merge_oddeven_config_static_selectorELNS0_4arch9wavefront6targetE0EEEvSK_,"axG",@progbits,_ZN7rocprim17ROCPRIM_400000_NS6detail17trampoline_kernelINS0_14default_configENS1_38merge_sort_block_merge_config_selectorIiNS0_10empty_typeEEEZZNS1_27merge_sort_block_merge_implIS3_N6thrust23THRUST_200600_302600_NS6detail15normal_iteratorINS9_10device_ptrIiEEEEPS5_m9comp_mod3IiEEE10hipError_tT0_T1_T2_jT3_P12ihipStream_tbPNSt15iterator_traitsISJ_E10value_typeEPNSP_ISK_E10value_typeEPSL_NS1_7vsmem_tEENKUlT_SJ_SK_SL_E_clISE_PiSF_SF_EESI_SY_SJ_SK_SL_EUlSY_E1_NS1_11comp_targetILNS1_3genE0ELNS1_11target_archE4294967295ELNS1_3gpuE0ELNS1_3repE0EEENS1_36merge_oddeven_config_static_selectorELNS0_4arch9wavefront6targetE0EEEvSK_,comdat
	.protected	_ZN7rocprim17ROCPRIM_400000_NS6detail17trampoline_kernelINS0_14default_configENS1_38merge_sort_block_merge_config_selectorIiNS0_10empty_typeEEEZZNS1_27merge_sort_block_merge_implIS3_N6thrust23THRUST_200600_302600_NS6detail15normal_iteratorINS9_10device_ptrIiEEEEPS5_m9comp_mod3IiEEE10hipError_tT0_T1_T2_jT3_P12ihipStream_tbPNSt15iterator_traitsISJ_E10value_typeEPNSP_ISK_E10value_typeEPSL_NS1_7vsmem_tEENKUlT_SJ_SK_SL_E_clISE_PiSF_SF_EESI_SY_SJ_SK_SL_EUlSY_E1_NS1_11comp_targetILNS1_3genE0ELNS1_11target_archE4294967295ELNS1_3gpuE0ELNS1_3repE0EEENS1_36merge_oddeven_config_static_selectorELNS0_4arch9wavefront6targetE0EEEvSK_ ; -- Begin function _ZN7rocprim17ROCPRIM_400000_NS6detail17trampoline_kernelINS0_14default_configENS1_38merge_sort_block_merge_config_selectorIiNS0_10empty_typeEEEZZNS1_27merge_sort_block_merge_implIS3_N6thrust23THRUST_200600_302600_NS6detail15normal_iteratorINS9_10device_ptrIiEEEEPS5_m9comp_mod3IiEEE10hipError_tT0_T1_T2_jT3_P12ihipStream_tbPNSt15iterator_traitsISJ_E10value_typeEPNSP_ISK_E10value_typeEPSL_NS1_7vsmem_tEENKUlT_SJ_SK_SL_E_clISE_PiSF_SF_EESI_SY_SJ_SK_SL_EUlSY_E1_NS1_11comp_targetILNS1_3genE0ELNS1_11target_archE4294967295ELNS1_3gpuE0ELNS1_3repE0EEENS1_36merge_oddeven_config_static_selectorELNS0_4arch9wavefront6targetE0EEEvSK_
	.globl	_ZN7rocprim17ROCPRIM_400000_NS6detail17trampoline_kernelINS0_14default_configENS1_38merge_sort_block_merge_config_selectorIiNS0_10empty_typeEEEZZNS1_27merge_sort_block_merge_implIS3_N6thrust23THRUST_200600_302600_NS6detail15normal_iteratorINS9_10device_ptrIiEEEEPS5_m9comp_mod3IiEEE10hipError_tT0_T1_T2_jT3_P12ihipStream_tbPNSt15iterator_traitsISJ_E10value_typeEPNSP_ISK_E10value_typeEPSL_NS1_7vsmem_tEENKUlT_SJ_SK_SL_E_clISE_PiSF_SF_EESI_SY_SJ_SK_SL_EUlSY_E1_NS1_11comp_targetILNS1_3genE0ELNS1_11target_archE4294967295ELNS1_3gpuE0ELNS1_3repE0EEENS1_36merge_oddeven_config_static_selectorELNS0_4arch9wavefront6targetE0EEEvSK_
	.p2align	8
	.type	_ZN7rocprim17ROCPRIM_400000_NS6detail17trampoline_kernelINS0_14default_configENS1_38merge_sort_block_merge_config_selectorIiNS0_10empty_typeEEEZZNS1_27merge_sort_block_merge_implIS3_N6thrust23THRUST_200600_302600_NS6detail15normal_iteratorINS9_10device_ptrIiEEEEPS5_m9comp_mod3IiEEE10hipError_tT0_T1_T2_jT3_P12ihipStream_tbPNSt15iterator_traitsISJ_E10value_typeEPNSP_ISK_E10value_typeEPSL_NS1_7vsmem_tEENKUlT_SJ_SK_SL_E_clISE_PiSF_SF_EESI_SY_SJ_SK_SL_EUlSY_E1_NS1_11comp_targetILNS1_3genE0ELNS1_11target_archE4294967295ELNS1_3gpuE0ELNS1_3repE0EEENS1_36merge_oddeven_config_static_selectorELNS0_4arch9wavefront6targetE0EEEvSK_,@function
_ZN7rocprim17ROCPRIM_400000_NS6detail17trampoline_kernelINS0_14default_configENS1_38merge_sort_block_merge_config_selectorIiNS0_10empty_typeEEEZZNS1_27merge_sort_block_merge_implIS3_N6thrust23THRUST_200600_302600_NS6detail15normal_iteratorINS9_10device_ptrIiEEEEPS5_m9comp_mod3IiEEE10hipError_tT0_T1_T2_jT3_P12ihipStream_tbPNSt15iterator_traitsISJ_E10value_typeEPNSP_ISK_E10value_typeEPSL_NS1_7vsmem_tEENKUlT_SJ_SK_SL_E_clISE_PiSF_SF_EESI_SY_SJ_SK_SL_EUlSY_E1_NS1_11comp_targetILNS1_3genE0ELNS1_11target_archE4294967295ELNS1_3gpuE0ELNS1_3repE0EEENS1_36merge_oddeven_config_static_selectorELNS0_4arch9wavefront6targetE0EEEvSK_: ; @_ZN7rocprim17ROCPRIM_400000_NS6detail17trampoline_kernelINS0_14default_configENS1_38merge_sort_block_merge_config_selectorIiNS0_10empty_typeEEEZZNS1_27merge_sort_block_merge_implIS3_N6thrust23THRUST_200600_302600_NS6detail15normal_iteratorINS9_10device_ptrIiEEEEPS5_m9comp_mod3IiEEE10hipError_tT0_T1_T2_jT3_P12ihipStream_tbPNSt15iterator_traitsISJ_E10value_typeEPNSP_ISK_E10value_typeEPSL_NS1_7vsmem_tEENKUlT_SJ_SK_SL_E_clISE_PiSF_SF_EESI_SY_SJ_SK_SL_EUlSY_E1_NS1_11comp_targetILNS1_3genE0ELNS1_11target_archE4294967295ELNS1_3gpuE0ELNS1_3repE0EEENS1_36merge_oddeven_config_static_selectorELNS0_4arch9wavefront6targetE0EEEvSK_
; %bb.0:
	.section	.rodata,"a",@progbits
	.p2align	6, 0x0
	.amdhsa_kernel _ZN7rocprim17ROCPRIM_400000_NS6detail17trampoline_kernelINS0_14default_configENS1_38merge_sort_block_merge_config_selectorIiNS0_10empty_typeEEEZZNS1_27merge_sort_block_merge_implIS3_N6thrust23THRUST_200600_302600_NS6detail15normal_iteratorINS9_10device_ptrIiEEEEPS5_m9comp_mod3IiEEE10hipError_tT0_T1_T2_jT3_P12ihipStream_tbPNSt15iterator_traitsISJ_E10value_typeEPNSP_ISK_E10value_typeEPSL_NS1_7vsmem_tEENKUlT_SJ_SK_SL_E_clISE_PiSF_SF_EESI_SY_SJ_SK_SL_EUlSY_E1_NS1_11comp_targetILNS1_3genE0ELNS1_11target_archE4294967295ELNS1_3gpuE0ELNS1_3repE0EEENS1_36merge_oddeven_config_static_selectorELNS0_4arch9wavefront6targetE0EEEvSK_
		.amdhsa_group_segment_fixed_size 0
		.amdhsa_private_segment_fixed_size 0
		.amdhsa_kernarg_size 56
		.amdhsa_user_sgpr_count 6
		.amdhsa_user_sgpr_private_segment_buffer 1
		.amdhsa_user_sgpr_dispatch_ptr 0
		.amdhsa_user_sgpr_queue_ptr 0
		.amdhsa_user_sgpr_kernarg_segment_ptr 1
		.amdhsa_user_sgpr_dispatch_id 0
		.amdhsa_user_sgpr_flat_scratch_init 0
		.amdhsa_user_sgpr_private_segment_size 0
		.amdhsa_wavefront_size32 1
		.amdhsa_uses_dynamic_stack 0
		.amdhsa_system_sgpr_private_segment_wavefront_offset 0
		.amdhsa_system_sgpr_workgroup_id_x 1
		.amdhsa_system_sgpr_workgroup_id_y 0
		.amdhsa_system_sgpr_workgroup_id_z 0
		.amdhsa_system_sgpr_workgroup_info 0
		.amdhsa_system_vgpr_workitem_id 0
		.amdhsa_next_free_vgpr 1
		.amdhsa_next_free_sgpr 1
		.amdhsa_reserve_vcc 0
		.amdhsa_reserve_flat_scratch 0
		.amdhsa_float_round_mode_32 0
		.amdhsa_float_round_mode_16_64 0
		.amdhsa_float_denorm_mode_32 3
		.amdhsa_float_denorm_mode_16_64 3
		.amdhsa_dx10_clamp 1
		.amdhsa_ieee_mode 1
		.amdhsa_fp16_overflow 0
		.amdhsa_workgroup_processor_mode 1
		.amdhsa_memory_ordered 1
		.amdhsa_forward_progress 1
		.amdhsa_shared_vgpr_count 0
		.amdhsa_exception_fp_ieee_invalid_op 0
		.amdhsa_exception_fp_denorm_src 0
		.amdhsa_exception_fp_ieee_div_zero 0
		.amdhsa_exception_fp_ieee_overflow 0
		.amdhsa_exception_fp_ieee_underflow 0
		.amdhsa_exception_fp_ieee_inexact 0
		.amdhsa_exception_int_div_zero 0
	.end_amdhsa_kernel
	.section	.text._ZN7rocprim17ROCPRIM_400000_NS6detail17trampoline_kernelINS0_14default_configENS1_38merge_sort_block_merge_config_selectorIiNS0_10empty_typeEEEZZNS1_27merge_sort_block_merge_implIS3_N6thrust23THRUST_200600_302600_NS6detail15normal_iteratorINS9_10device_ptrIiEEEEPS5_m9comp_mod3IiEEE10hipError_tT0_T1_T2_jT3_P12ihipStream_tbPNSt15iterator_traitsISJ_E10value_typeEPNSP_ISK_E10value_typeEPSL_NS1_7vsmem_tEENKUlT_SJ_SK_SL_E_clISE_PiSF_SF_EESI_SY_SJ_SK_SL_EUlSY_E1_NS1_11comp_targetILNS1_3genE0ELNS1_11target_archE4294967295ELNS1_3gpuE0ELNS1_3repE0EEENS1_36merge_oddeven_config_static_selectorELNS0_4arch9wavefront6targetE0EEEvSK_,"axG",@progbits,_ZN7rocprim17ROCPRIM_400000_NS6detail17trampoline_kernelINS0_14default_configENS1_38merge_sort_block_merge_config_selectorIiNS0_10empty_typeEEEZZNS1_27merge_sort_block_merge_implIS3_N6thrust23THRUST_200600_302600_NS6detail15normal_iteratorINS9_10device_ptrIiEEEEPS5_m9comp_mod3IiEEE10hipError_tT0_T1_T2_jT3_P12ihipStream_tbPNSt15iterator_traitsISJ_E10value_typeEPNSP_ISK_E10value_typeEPSL_NS1_7vsmem_tEENKUlT_SJ_SK_SL_E_clISE_PiSF_SF_EESI_SY_SJ_SK_SL_EUlSY_E1_NS1_11comp_targetILNS1_3genE0ELNS1_11target_archE4294967295ELNS1_3gpuE0ELNS1_3repE0EEENS1_36merge_oddeven_config_static_selectorELNS0_4arch9wavefront6targetE0EEEvSK_,comdat
.Lfunc_end1028:
	.size	_ZN7rocprim17ROCPRIM_400000_NS6detail17trampoline_kernelINS0_14default_configENS1_38merge_sort_block_merge_config_selectorIiNS0_10empty_typeEEEZZNS1_27merge_sort_block_merge_implIS3_N6thrust23THRUST_200600_302600_NS6detail15normal_iteratorINS9_10device_ptrIiEEEEPS5_m9comp_mod3IiEEE10hipError_tT0_T1_T2_jT3_P12ihipStream_tbPNSt15iterator_traitsISJ_E10value_typeEPNSP_ISK_E10value_typeEPSL_NS1_7vsmem_tEENKUlT_SJ_SK_SL_E_clISE_PiSF_SF_EESI_SY_SJ_SK_SL_EUlSY_E1_NS1_11comp_targetILNS1_3genE0ELNS1_11target_archE4294967295ELNS1_3gpuE0ELNS1_3repE0EEENS1_36merge_oddeven_config_static_selectorELNS0_4arch9wavefront6targetE0EEEvSK_, .Lfunc_end1028-_ZN7rocprim17ROCPRIM_400000_NS6detail17trampoline_kernelINS0_14default_configENS1_38merge_sort_block_merge_config_selectorIiNS0_10empty_typeEEEZZNS1_27merge_sort_block_merge_implIS3_N6thrust23THRUST_200600_302600_NS6detail15normal_iteratorINS9_10device_ptrIiEEEEPS5_m9comp_mod3IiEEE10hipError_tT0_T1_T2_jT3_P12ihipStream_tbPNSt15iterator_traitsISJ_E10value_typeEPNSP_ISK_E10value_typeEPSL_NS1_7vsmem_tEENKUlT_SJ_SK_SL_E_clISE_PiSF_SF_EESI_SY_SJ_SK_SL_EUlSY_E1_NS1_11comp_targetILNS1_3genE0ELNS1_11target_archE4294967295ELNS1_3gpuE0ELNS1_3repE0EEENS1_36merge_oddeven_config_static_selectorELNS0_4arch9wavefront6targetE0EEEvSK_
                                        ; -- End function
	.set _ZN7rocprim17ROCPRIM_400000_NS6detail17trampoline_kernelINS0_14default_configENS1_38merge_sort_block_merge_config_selectorIiNS0_10empty_typeEEEZZNS1_27merge_sort_block_merge_implIS3_N6thrust23THRUST_200600_302600_NS6detail15normal_iteratorINS9_10device_ptrIiEEEEPS5_m9comp_mod3IiEEE10hipError_tT0_T1_T2_jT3_P12ihipStream_tbPNSt15iterator_traitsISJ_E10value_typeEPNSP_ISK_E10value_typeEPSL_NS1_7vsmem_tEENKUlT_SJ_SK_SL_E_clISE_PiSF_SF_EESI_SY_SJ_SK_SL_EUlSY_E1_NS1_11comp_targetILNS1_3genE0ELNS1_11target_archE4294967295ELNS1_3gpuE0ELNS1_3repE0EEENS1_36merge_oddeven_config_static_selectorELNS0_4arch9wavefront6targetE0EEEvSK_.num_vgpr, 0
	.set _ZN7rocprim17ROCPRIM_400000_NS6detail17trampoline_kernelINS0_14default_configENS1_38merge_sort_block_merge_config_selectorIiNS0_10empty_typeEEEZZNS1_27merge_sort_block_merge_implIS3_N6thrust23THRUST_200600_302600_NS6detail15normal_iteratorINS9_10device_ptrIiEEEEPS5_m9comp_mod3IiEEE10hipError_tT0_T1_T2_jT3_P12ihipStream_tbPNSt15iterator_traitsISJ_E10value_typeEPNSP_ISK_E10value_typeEPSL_NS1_7vsmem_tEENKUlT_SJ_SK_SL_E_clISE_PiSF_SF_EESI_SY_SJ_SK_SL_EUlSY_E1_NS1_11comp_targetILNS1_3genE0ELNS1_11target_archE4294967295ELNS1_3gpuE0ELNS1_3repE0EEENS1_36merge_oddeven_config_static_selectorELNS0_4arch9wavefront6targetE0EEEvSK_.num_agpr, 0
	.set _ZN7rocprim17ROCPRIM_400000_NS6detail17trampoline_kernelINS0_14default_configENS1_38merge_sort_block_merge_config_selectorIiNS0_10empty_typeEEEZZNS1_27merge_sort_block_merge_implIS3_N6thrust23THRUST_200600_302600_NS6detail15normal_iteratorINS9_10device_ptrIiEEEEPS5_m9comp_mod3IiEEE10hipError_tT0_T1_T2_jT3_P12ihipStream_tbPNSt15iterator_traitsISJ_E10value_typeEPNSP_ISK_E10value_typeEPSL_NS1_7vsmem_tEENKUlT_SJ_SK_SL_E_clISE_PiSF_SF_EESI_SY_SJ_SK_SL_EUlSY_E1_NS1_11comp_targetILNS1_3genE0ELNS1_11target_archE4294967295ELNS1_3gpuE0ELNS1_3repE0EEENS1_36merge_oddeven_config_static_selectorELNS0_4arch9wavefront6targetE0EEEvSK_.numbered_sgpr, 0
	.set _ZN7rocprim17ROCPRIM_400000_NS6detail17trampoline_kernelINS0_14default_configENS1_38merge_sort_block_merge_config_selectorIiNS0_10empty_typeEEEZZNS1_27merge_sort_block_merge_implIS3_N6thrust23THRUST_200600_302600_NS6detail15normal_iteratorINS9_10device_ptrIiEEEEPS5_m9comp_mod3IiEEE10hipError_tT0_T1_T2_jT3_P12ihipStream_tbPNSt15iterator_traitsISJ_E10value_typeEPNSP_ISK_E10value_typeEPSL_NS1_7vsmem_tEENKUlT_SJ_SK_SL_E_clISE_PiSF_SF_EESI_SY_SJ_SK_SL_EUlSY_E1_NS1_11comp_targetILNS1_3genE0ELNS1_11target_archE4294967295ELNS1_3gpuE0ELNS1_3repE0EEENS1_36merge_oddeven_config_static_selectorELNS0_4arch9wavefront6targetE0EEEvSK_.num_named_barrier, 0
	.set _ZN7rocprim17ROCPRIM_400000_NS6detail17trampoline_kernelINS0_14default_configENS1_38merge_sort_block_merge_config_selectorIiNS0_10empty_typeEEEZZNS1_27merge_sort_block_merge_implIS3_N6thrust23THRUST_200600_302600_NS6detail15normal_iteratorINS9_10device_ptrIiEEEEPS5_m9comp_mod3IiEEE10hipError_tT0_T1_T2_jT3_P12ihipStream_tbPNSt15iterator_traitsISJ_E10value_typeEPNSP_ISK_E10value_typeEPSL_NS1_7vsmem_tEENKUlT_SJ_SK_SL_E_clISE_PiSF_SF_EESI_SY_SJ_SK_SL_EUlSY_E1_NS1_11comp_targetILNS1_3genE0ELNS1_11target_archE4294967295ELNS1_3gpuE0ELNS1_3repE0EEENS1_36merge_oddeven_config_static_selectorELNS0_4arch9wavefront6targetE0EEEvSK_.private_seg_size, 0
	.set _ZN7rocprim17ROCPRIM_400000_NS6detail17trampoline_kernelINS0_14default_configENS1_38merge_sort_block_merge_config_selectorIiNS0_10empty_typeEEEZZNS1_27merge_sort_block_merge_implIS3_N6thrust23THRUST_200600_302600_NS6detail15normal_iteratorINS9_10device_ptrIiEEEEPS5_m9comp_mod3IiEEE10hipError_tT0_T1_T2_jT3_P12ihipStream_tbPNSt15iterator_traitsISJ_E10value_typeEPNSP_ISK_E10value_typeEPSL_NS1_7vsmem_tEENKUlT_SJ_SK_SL_E_clISE_PiSF_SF_EESI_SY_SJ_SK_SL_EUlSY_E1_NS1_11comp_targetILNS1_3genE0ELNS1_11target_archE4294967295ELNS1_3gpuE0ELNS1_3repE0EEENS1_36merge_oddeven_config_static_selectorELNS0_4arch9wavefront6targetE0EEEvSK_.uses_vcc, 0
	.set _ZN7rocprim17ROCPRIM_400000_NS6detail17trampoline_kernelINS0_14default_configENS1_38merge_sort_block_merge_config_selectorIiNS0_10empty_typeEEEZZNS1_27merge_sort_block_merge_implIS3_N6thrust23THRUST_200600_302600_NS6detail15normal_iteratorINS9_10device_ptrIiEEEEPS5_m9comp_mod3IiEEE10hipError_tT0_T1_T2_jT3_P12ihipStream_tbPNSt15iterator_traitsISJ_E10value_typeEPNSP_ISK_E10value_typeEPSL_NS1_7vsmem_tEENKUlT_SJ_SK_SL_E_clISE_PiSF_SF_EESI_SY_SJ_SK_SL_EUlSY_E1_NS1_11comp_targetILNS1_3genE0ELNS1_11target_archE4294967295ELNS1_3gpuE0ELNS1_3repE0EEENS1_36merge_oddeven_config_static_selectorELNS0_4arch9wavefront6targetE0EEEvSK_.uses_flat_scratch, 0
	.set _ZN7rocprim17ROCPRIM_400000_NS6detail17trampoline_kernelINS0_14default_configENS1_38merge_sort_block_merge_config_selectorIiNS0_10empty_typeEEEZZNS1_27merge_sort_block_merge_implIS3_N6thrust23THRUST_200600_302600_NS6detail15normal_iteratorINS9_10device_ptrIiEEEEPS5_m9comp_mod3IiEEE10hipError_tT0_T1_T2_jT3_P12ihipStream_tbPNSt15iterator_traitsISJ_E10value_typeEPNSP_ISK_E10value_typeEPSL_NS1_7vsmem_tEENKUlT_SJ_SK_SL_E_clISE_PiSF_SF_EESI_SY_SJ_SK_SL_EUlSY_E1_NS1_11comp_targetILNS1_3genE0ELNS1_11target_archE4294967295ELNS1_3gpuE0ELNS1_3repE0EEENS1_36merge_oddeven_config_static_selectorELNS0_4arch9wavefront6targetE0EEEvSK_.has_dyn_sized_stack, 0
	.set _ZN7rocprim17ROCPRIM_400000_NS6detail17trampoline_kernelINS0_14default_configENS1_38merge_sort_block_merge_config_selectorIiNS0_10empty_typeEEEZZNS1_27merge_sort_block_merge_implIS3_N6thrust23THRUST_200600_302600_NS6detail15normal_iteratorINS9_10device_ptrIiEEEEPS5_m9comp_mod3IiEEE10hipError_tT0_T1_T2_jT3_P12ihipStream_tbPNSt15iterator_traitsISJ_E10value_typeEPNSP_ISK_E10value_typeEPSL_NS1_7vsmem_tEENKUlT_SJ_SK_SL_E_clISE_PiSF_SF_EESI_SY_SJ_SK_SL_EUlSY_E1_NS1_11comp_targetILNS1_3genE0ELNS1_11target_archE4294967295ELNS1_3gpuE0ELNS1_3repE0EEENS1_36merge_oddeven_config_static_selectorELNS0_4arch9wavefront6targetE0EEEvSK_.has_recursion, 0
	.set _ZN7rocprim17ROCPRIM_400000_NS6detail17trampoline_kernelINS0_14default_configENS1_38merge_sort_block_merge_config_selectorIiNS0_10empty_typeEEEZZNS1_27merge_sort_block_merge_implIS3_N6thrust23THRUST_200600_302600_NS6detail15normal_iteratorINS9_10device_ptrIiEEEEPS5_m9comp_mod3IiEEE10hipError_tT0_T1_T2_jT3_P12ihipStream_tbPNSt15iterator_traitsISJ_E10value_typeEPNSP_ISK_E10value_typeEPSL_NS1_7vsmem_tEENKUlT_SJ_SK_SL_E_clISE_PiSF_SF_EESI_SY_SJ_SK_SL_EUlSY_E1_NS1_11comp_targetILNS1_3genE0ELNS1_11target_archE4294967295ELNS1_3gpuE0ELNS1_3repE0EEENS1_36merge_oddeven_config_static_selectorELNS0_4arch9wavefront6targetE0EEEvSK_.has_indirect_call, 0
	.section	.AMDGPU.csdata,"",@progbits
; Kernel info:
; codeLenInByte = 0
; TotalNumSgprs: 0
; NumVgprs: 0
; ScratchSize: 0
; MemoryBound: 0
; FloatMode: 240
; IeeeMode: 1
; LDSByteSize: 0 bytes/workgroup (compile time only)
; SGPRBlocks: 0
; VGPRBlocks: 0
; NumSGPRsForWavesPerEU: 1
; NumVGPRsForWavesPerEU: 1
; Occupancy: 16
; WaveLimiterHint : 0
; COMPUTE_PGM_RSRC2:SCRATCH_EN: 0
; COMPUTE_PGM_RSRC2:USER_SGPR: 6
; COMPUTE_PGM_RSRC2:TRAP_HANDLER: 0
; COMPUTE_PGM_RSRC2:TGID_X_EN: 1
; COMPUTE_PGM_RSRC2:TGID_Y_EN: 0
; COMPUTE_PGM_RSRC2:TGID_Z_EN: 0
; COMPUTE_PGM_RSRC2:TIDIG_COMP_CNT: 0
	.section	.text._ZN7rocprim17ROCPRIM_400000_NS6detail17trampoline_kernelINS0_14default_configENS1_38merge_sort_block_merge_config_selectorIiNS0_10empty_typeEEEZZNS1_27merge_sort_block_merge_implIS3_N6thrust23THRUST_200600_302600_NS6detail15normal_iteratorINS9_10device_ptrIiEEEEPS5_m9comp_mod3IiEEE10hipError_tT0_T1_T2_jT3_P12ihipStream_tbPNSt15iterator_traitsISJ_E10value_typeEPNSP_ISK_E10value_typeEPSL_NS1_7vsmem_tEENKUlT_SJ_SK_SL_E_clISE_PiSF_SF_EESI_SY_SJ_SK_SL_EUlSY_E1_NS1_11comp_targetILNS1_3genE10ELNS1_11target_archE1201ELNS1_3gpuE5ELNS1_3repE0EEENS1_36merge_oddeven_config_static_selectorELNS0_4arch9wavefront6targetE0EEEvSK_,"axG",@progbits,_ZN7rocprim17ROCPRIM_400000_NS6detail17trampoline_kernelINS0_14default_configENS1_38merge_sort_block_merge_config_selectorIiNS0_10empty_typeEEEZZNS1_27merge_sort_block_merge_implIS3_N6thrust23THRUST_200600_302600_NS6detail15normal_iteratorINS9_10device_ptrIiEEEEPS5_m9comp_mod3IiEEE10hipError_tT0_T1_T2_jT3_P12ihipStream_tbPNSt15iterator_traitsISJ_E10value_typeEPNSP_ISK_E10value_typeEPSL_NS1_7vsmem_tEENKUlT_SJ_SK_SL_E_clISE_PiSF_SF_EESI_SY_SJ_SK_SL_EUlSY_E1_NS1_11comp_targetILNS1_3genE10ELNS1_11target_archE1201ELNS1_3gpuE5ELNS1_3repE0EEENS1_36merge_oddeven_config_static_selectorELNS0_4arch9wavefront6targetE0EEEvSK_,comdat
	.protected	_ZN7rocprim17ROCPRIM_400000_NS6detail17trampoline_kernelINS0_14default_configENS1_38merge_sort_block_merge_config_selectorIiNS0_10empty_typeEEEZZNS1_27merge_sort_block_merge_implIS3_N6thrust23THRUST_200600_302600_NS6detail15normal_iteratorINS9_10device_ptrIiEEEEPS5_m9comp_mod3IiEEE10hipError_tT0_T1_T2_jT3_P12ihipStream_tbPNSt15iterator_traitsISJ_E10value_typeEPNSP_ISK_E10value_typeEPSL_NS1_7vsmem_tEENKUlT_SJ_SK_SL_E_clISE_PiSF_SF_EESI_SY_SJ_SK_SL_EUlSY_E1_NS1_11comp_targetILNS1_3genE10ELNS1_11target_archE1201ELNS1_3gpuE5ELNS1_3repE0EEENS1_36merge_oddeven_config_static_selectorELNS0_4arch9wavefront6targetE0EEEvSK_ ; -- Begin function _ZN7rocprim17ROCPRIM_400000_NS6detail17trampoline_kernelINS0_14default_configENS1_38merge_sort_block_merge_config_selectorIiNS0_10empty_typeEEEZZNS1_27merge_sort_block_merge_implIS3_N6thrust23THRUST_200600_302600_NS6detail15normal_iteratorINS9_10device_ptrIiEEEEPS5_m9comp_mod3IiEEE10hipError_tT0_T1_T2_jT3_P12ihipStream_tbPNSt15iterator_traitsISJ_E10value_typeEPNSP_ISK_E10value_typeEPSL_NS1_7vsmem_tEENKUlT_SJ_SK_SL_E_clISE_PiSF_SF_EESI_SY_SJ_SK_SL_EUlSY_E1_NS1_11comp_targetILNS1_3genE10ELNS1_11target_archE1201ELNS1_3gpuE5ELNS1_3repE0EEENS1_36merge_oddeven_config_static_selectorELNS0_4arch9wavefront6targetE0EEEvSK_
	.globl	_ZN7rocprim17ROCPRIM_400000_NS6detail17trampoline_kernelINS0_14default_configENS1_38merge_sort_block_merge_config_selectorIiNS0_10empty_typeEEEZZNS1_27merge_sort_block_merge_implIS3_N6thrust23THRUST_200600_302600_NS6detail15normal_iteratorINS9_10device_ptrIiEEEEPS5_m9comp_mod3IiEEE10hipError_tT0_T1_T2_jT3_P12ihipStream_tbPNSt15iterator_traitsISJ_E10value_typeEPNSP_ISK_E10value_typeEPSL_NS1_7vsmem_tEENKUlT_SJ_SK_SL_E_clISE_PiSF_SF_EESI_SY_SJ_SK_SL_EUlSY_E1_NS1_11comp_targetILNS1_3genE10ELNS1_11target_archE1201ELNS1_3gpuE5ELNS1_3repE0EEENS1_36merge_oddeven_config_static_selectorELNS0_4arch9wavefront6targetE0EEEvSK_
	.p2align	8
	.type	_ZN7rocprim17ROCPRIM_400000_NS6detail17trampoline_kernelINS0_14default_configENS1_38merge_sort_block_merge_config_selectorIiNS0_10empty_typeEEEZZNS1_27merge_sort_block_merge_implIS3_N6thrust23THRUST_200600_302600_NS6detail15normal_iteratorINS9_10device_ptrIiEEEEPS5_m9comp_mod3IiEEE10hipError_tT0_T1_T2_jT3_P12ihipStream_tbPNSt15iterator_traitsISJ_E10value_typeEPNSP_ISK_E10value_typeEPSL_NS1_7vsmem_tEENKUlT_SJ_SK_SL_E_clISE_PiSF_SF_EESI_SY_SJ_SK_SL_EUlSY_E1_NS1_11comp_targetILNS1_3genE10ELNS1_11target_archE1201ELNS1_3gpuE5ELNS1_3repE0EEENS1_36merge_oddeven_config_static_selectorELNS0_4arch9wavefront6targetE0EEEvSK_,@function
_ZN7rocprim17ROCPRIM_400000_NS6detail17trampoline_kernelINS0_14default_configENS1_38merge_sort_block_merge_config_selectorIiNS0_10empty_typeEEEZZNS1_27merge_sort_block_merge_implIS3_N6thrust23THRUST_200600_302600_NS6detail15normal_iteratorINS9_10device_ptrIiEEEEPS5_m9comp_mod3IiEEE10hipError_tT0_T1_T2_jT3_P12ihipStream_tbPNSt15iterator_traitsISJ_E10value_typeEPNSP_ISK_E10value_typeEPSL_NS1_7vsmem_tEENKUlT_SJ_SK_SL_E_clISE_PiSF_SF_EESI_SY_SJ_SK_SL_EUlSY_E1_NS1_11comp_targetILNS1_3genE10ELNS1_11target_archE1201ELNS1_3gpuE5ELNS1_3repE0EEENS1_36merge_oddeven_config_static_selectorELNS0_4arch9wavefront6targetE0EEEvSK_: ; @_ZN7rocprim17ROCPRIM_400000_NS6detail17trampoline_kernelINS0_14default_configENS1_38merge_sort_block_merge_config_selectorIiNS0_10empty_typeEEEZZNS1_27merge_sort_block_merge_implIS3_N6thrust23THRUST_200600_302600_NS6detail15normal_iteratorINS9_10device_ptrIiEEEEPS5_m9comp_mod3IiEEE10hipError_tT0_T1_T2_jT3_P12ihipStream_tbPNSt15iterator_traitsISJ_E10value_typeEPNSP_ISK_E10value_typeEPSL_NS1_7vsmem_tEENKUlT_SJ_SK_SL_E_clISE_PiSF_SF_EESI_SY_SJ_SK_SL_EUlSY_E1_NS1_11comp_targetILNS1_3genE10ELNS1_11target_archE1201ELNS1_3gpuE5ELNS1_3repE0EEENS1_36merge_oddeven_config_static_selectorELNS0_4arch9wavefront6targetE0EEEvSK_
; %bb.0:
	.section	.rodata,"a",@progbits
	.p2align	6, 0x0
	.amdhsa_kernel _ZN7rocprim17ROCPRIM_400000_NS6detail17trampoline_kernelINS0_14default_configENS1_38merge_sort_block_merge_config_selectorIiNS0_10empty_typeEEEZZNS1_27merge_sort_block_merge_implIS3_N6thrust23THRUST_200600_302600_NS6detail15normal_iteratorINS9_10device_ptrIiEEEEPS5_m9comp_mod3IiEEE10hipError_tT0_T1_T2_jT3_P12ihipStream_tbPNSt15iterator_traitsISJ_E10value_typeEPNSP_ISK_E10value_typeEPSL_NS1_7vsmem_tEENKUlT_SJ_SK_SL_E_clISE_PiSF_SF_EESI_SY_SJ_SK_SL_EUlSY_E1_NS1_11comp_targetILNS1_3genE10ELNS1_11target_archE1201ELNS1_3gpuE5ELNS1_3repE0EEENS1_36merge_oddeven_config_static_selectorELNS0_4arch9wavefront6targetE0EEEvSK_
		.amdhsa_group_segment_fixed_size 0
		.amdhsa_private_segment_fixed_size 0
		.amdhsa_kernarg_size 56
		.amdhsa_user_sgpr_count 6
		.amdhsa_user_sgpr_private_segment_buffer 1
		.amdhsa_user_sgpr_dispatch_ptr 0
		.amdhsa_user_sgpr_queue_ptr 0
		.amdhsa_user_sgpr_kernarg_segment_ptr 1
		.amdhsa_user_sgpr_dispatch_id 0
		.amdhsa_user_sgpr_flat_scratch_init 0
		.amdhsa_user_sgpr_private_segment_size 0
		.amdhsa_wavefront_size32 1
		.amdhsa_uses_dynamic_stack 0
		.amdhsa_system_sgpr_private_segment_wavefront_offset 0
		.amdhsa_system_sgpr_workgroup_id_x 1
		.amdhsa_system_sgpr_workgroup_id_y 0
		.amdhsa_system_sgpr_workgroup_id_z 0
		.amdhsa_system_sgpr_workgroup_info 0
		.amdhsa_system_vgpr_workitem_id 0
		.amdhsa_next_free_vgpr 1
		.amdhsa_next_free_sgpr 1
		.amdhsa_reserve_vcc 0
		.amdhsa_reserve_flat_scratch 0
		.amdhsa_float_round_mode_32 0
		.amdhsa_float_round_mode_16_64 0
		.amdhsa_float_denorm_mode_32 3
		.amdhsa_float_denorm_mode_16_64 3
		.amdhsa_dx10_clamp 1
		.amdhsa_ieee_mode 1
		.amdhsa_fp16_overflow 0
		.amdhsa_workgroup_processor_mode 1
		.amdhsa_memory_ordered 1
		.amdhsa_forward_progress 1
		.amdhsa_shared_vgpr_count 0
		.amdhsa_exception_fp_ieee_invalid_op 0
		.amdhsa_exception_fp_denorm_src 0
		.amdhsa_exception_fp_ieee_div_zero 0
		.amdhsa_exception_fp_ieee_overflow 0
		.amdhsa_exception_fp_ieee_underflow 0
		.amdhsa_exception_fp_ieee_inexact 0
		.amdhsa_exception_int_div_zero 0
	.end_amdhsa_kernel
	.section	.text._ZN7rocprim17ROCPRIM_400000_NS6detail17trampoline_kernelINS0_14default_configENS1_38merge_sort_block_merge_config_selectorIiNS0_10empty_typeEEEZZNS1_27merge_sort_block_merge_implIS3_N6thrust23THRUST_200600_302600_NS6detail15normal_iteratorINS9_10device_ptrIiEEEEPS5_m9comp_mod3IiEEE10hipError_tT0_T1_T2_jT3_P12ihipStream_tbPNSt15iterator_traitsISJ_E10value_typeEPNSP_ISK_E10value_typeEPSL_NS1_7vsmem_tEENKUlT_SJ_SK_SL_E_clISE_PiSF_SF_EESI_SY_SJ_SK_SL_EUlSY_E1_NS1_11comp_targetILNS1_3genE10ELNS1_11target_archE1201ELNS1_3gpuE5ELNS1_3repE0EEENS1_36merge_oddeven_config_static_selectorELNS0_4arch9wavefront6targetE0EEEvSK_,"axG",@progbits,_ZN7rocprim17ROCPRIM_400000_NS6detail17trampoline_kernelINS0_14default_configENS1_38merge_sort_block_merge_config_selectorIiNS0_10empty_typeEEEZZNS1_27merge_sort_block_merge_implIS3_N6thrust23THRUST_200600_302600_NS6detail15normal_iteratorINS9_10device_ptrIiEEEEPS5_m9comp_mod3IiEEE10hipError_tT0_T1_T2_jT3_P12ihipStream_tbPNSt15iterator_traitsISJ_E10value_typeEPNSP_ISK_E10value_typeEPSL_NS1_7vsmem_tEENKUlT_SJ_SK_SL_E_clISE_PiSF_SF_EESI_SY_SJ_SK_SL_EUlSY_E1_NS1_11comp_targetILNS1_3genE10ELNS1_11target_archE1201ELNS1_3gpuE5ELNS1_3repE0EEENS1_36merge_oddeven_config_static_selectorELNS0_4arch9wavefront6targetE0EEEvSK_,comdat
.Lfunc_end1029:
	.size	_ZN7rocprim17ROCPRIM_400000_NS6detail17trampoline_kernelINS0_14default_configENS1_38merge_sort_block_merge_config_selectorIiNS0_10empty_typeEEEZZNS1_27merge_sort_block_merge_implIS3_N6thrust23THRUST_200600_302600_NS6detail15normal_iteratorINS9_10device_ptrIiEEEEPS5_m9comp_mod3IiEEE10hipError_tT0_T1_T2_jT3_P12ihipStream_tbPNSt15iterator_traitsISJ_E10value_typeEPNSP_ISK_E10value_typeEPSL_NS1_7vsmem_tEENKUlT_SJ_SK_SL_E_clISE_PiSF_SF_EESI_SY_SJ_SK_SL_EUlSY_E1_NS1_11comp_targetILNS1_3genE10ELNS1_11target_archE1201ELNS1_3gpuE5ELNS1_3repE0EEENS1_36merge_oddeven_config_static_selectorELNS0_4arch9wavefront6targetE0EEEvSK_, .Lfunc_end1029-_ZN7rocprim17ROCPRIM_400000_NS6detail17trampoline_kernelINS0_14default_configENS1_38merge_sort_block_merge_config_selectorIiNS0_10empty_typeEEEZZNS1_27merge_sort_block_merge_implIS3_N6thrust23THRUST_200600_302600_NS6detail15normal_iteratorINS9_10device_ptrIiEEEEPS5_m9comp_mod3IiEEE10hipError_tT0_T1_T2_jT3_P12ihipStream_tbPNSt15iterator_traitsISJ_E10value_typeEPNSP_ISK_E10value_typeEPSL_NS1_7vsmem_tEENKUlT_SJ_SK_SL_E_clISE_PiSF_SF_EESI_SY_SJ_SK_SL_EUlSY_E1_NS1_11comp_targetILNS1_3genE10ELNS1_11target_archE1201ELNS1_3gpuE5ELNS1_3repE0EEENS1_36merge_oddeven_config_static_selectorELNS0_4arch9wavefront6targetE0EEEvSK_
                                        ; -- End function
	.set _ZN7rocprim17ROCPRIM_400000_NS6detail17trampoline_kernelINS0_14default_configENS1_38merge_sort_block_merge_config_selectorIiNS0_10empty_typeEEEZZNS1_27merge_sort_block_merge_implIS3_N6thrust23THRUST_200600_302600_NS6detail15normal_iteratorINS9_10device_ptrIiEEEEPS5_m9comp_mod3IiEEE10hipError_tT0_T1_T2_jT3_P12ihipStream_tbPNSt15iterator_traitsISJ_E10value_typeEPNSP_ISK_E10value_typeEPSL_NS1_7vsmem_tEENKUlT_SJ_SK_SL_E_clISE_PiSF_SF_EESI_SY_SJ_SK_SL_EUlSY_E1_NS1_11comp_targetILNS1_3genE10ELNS1_11target_archE1201ELNS1_3gpuE5ELNS1_3repE0EEENS1_36merge_oddeven_config_static_selectorELNS0_4arch9wavefront6targetE0EEEvSK_.num_vgpr, 0
	.set _ZN7rocprim17ROCPRIM_400000_NS6detail17trampoline_kernelINS0_14default_configENS1_38merge_sort_block_merge_config_selectorIiNS0_10empty_typeEEEZZNS1_27merge_sort_block_merge_implIS3_N6thrust23THRUST_200600_302600_NS6detail15normal_iteratorINS9_10device_ptrIiEEEEPS5_m9comp_mod3IiEEE10hipError_tT0_T1_T2_jT3_P12ihipStream_tbPNSt15iterator_traitsISJ_E10value_typeEPNSP_ISK_E10value_typeEPSL_NS1_7vsmem_tEENKUlT_SJ_SK_SL_E_clISE_PiSF_SF_EESI_SY_SJ_SK_SL_EUlSY_E1_NS1_11comp_targetILNS1_3genE10ELNS1_11target_archE1201ELNS1_3gpuE5ELNS1_3repE0EEENS1_36merge_oddeven_config_static_selectorELNS0_4arch9wavefront6targetE0EEEvSK_.num_agpr, 0
	.set _ZN7rocprim17ROCPRIM_400000_NS6detail17trampoline_kernelINS0_14default_configENS1_38merge_sort_block_merge_config_selectorIiNS0_10empty_typeEEEZZNS1_27merge_sort_block_merge_implIS3_N6thrust23THRUST_200600_302600_NS6detail15normal_iteratorINS9_10device_ptrIiEEEEPS5_m9comp_mod3IiEEE10hipError_tT0_T1_T2_jT3_P12ihipStream_tbPNSt15iterator_traitsISJ_E10value_typeEPNSP_ISK_E10value_typeEPSL_NS1_7vsmem_tEENKUlT_SJ_SK_SL_E_clISE_PiSF_SF_EESI_SY_SJ_SK_SL_EUlSY_E1_NS1_11comp_targetILNS1_3genE10ELNS1_11target_archE1201ELNS1_3gpuE5ELNS1_3repE0EEENS1_36merge_oddeven_config_static_selectorELNS0_4arch9wavefront6targetE0EEEvSK_.numbered_sgpr, 0
	.set _ZN7rocprim17ROCPRIM_400000_NS6detail17trampoline_kernelINS0_14default_configENS1_38merge_sort_block_merge_config_selectorIiNS0_10empty_typeEEEZZNS1_27merge_sort_block_merge_implIS3_N6thrust23THRUST_200600_302600_NS6detail15normal_iteratorINS9_10device_ptrIiEEEEPS5_m9comp_mod3IiEEE10hipError_tT0_T1_T2_jT3_P12ihipStream_tbPNSt15iterator_traitsISJ_E10value_typeEPNSP_ISK_E10value_typeEPSL_NS1_7vsmem_tEENKUlT_SJ_SK_SL_E_clISE_PiSF_SF_EESI_SY_SJ_SK_SL_EUlSY_E1_NS1_11comp_targetILNS1_3genE10ELNS1_11target_archE1201ELNS1_3gpuE5ELNS1_3repE0EEENS1_36merge_oddeven_config_static_selectorELNS0_4arch9wavefront6targetE0EEEvSK_.num_named_barrier, 0
	.set _ZN7rocprim17ROCPRIM_400000_NS6detail17trampoline_kernelINS0_14default_configENS1_38merge_sort_block_merge_config_selectorIiNS0_10empty_typeEEEZZNS1_27merge_sort_block_merge_implIS3_N6thrust23THRUST_200600_302600_NS6detail15normal_iteratorINS9_10device_ptrIiEEEEPS5_m9comp_mod3IiEEE10hipError_tT0_T1_T2_jT3_P12ihipStream_tbPNSt15iterator_traitsISJ_E10value_typeEPNSP_ISK_E10value_typeEPSL_NS1_7vsmem_tEENKUlT_SJ_SK_SL_E_clISE_PiSF_SF_EESI_SY_SJ_SK_SL_EUlSY_E1_NS1_11comp_targetILNS1_3genE10ELNS1_11target_archE1201ELNS1_3gpuE5ELNS1_3repE0EEENS1_36merge_oddeven_config_static_selectorELNS0_4arch9wavefront6targetE0EEEvSK_.private_seg_size, 0
	.set _ZN7rocprim17ROCPRIM_400000_NS6detail17trampoline_kernelINS0_14default_configENS1_38merge_sort_block_merge_config_selectorIiNS0_10empty_typeEEEZZNS1_27merge_sort_block_merge_implIS3_N6thrust23THRUST_200600_302600_NS6detail15normal_iteratorINS9_10device_ptrIiEEEEPS5_m9comp_mod3IiEEE10hipError_tT0_T1_T2_jT3_P12ihipStream_tbPNSt15iterator_traitsISJ_E10value_typeEPNSP_ISK_E10value_typeEPSL_NS1_7vsmem_tEENKUlT_SJ_SK_SL_E_clISE_PiSF_SF_EESI_SY_SJ_SK_SL_EUlSY_E1_NS1_11comp_targetILNS1_3genE10ELNS1_11target_archE1201ELNS1_3gpuE5ELNS1_3repE0EEENS1_36merge_oddeven_config_static_selectorELNS0_4arch9wavefront6targetE0EEEvSK_.uses_vcc, 0
	.set _ZN7rocprim17ROCPRIM_400000_NS6detail17trampoline_kernelINS0_14default_configENS1_38merge_sort_block_merge_config_selectorIiNS0_10empty_typeEEEZZNS1_27merge_sort_block_merge_implIS3_N6thrust23THRUST_200600_302600_NS6detail15normal_iteratorINS9_10device_ptrIiEEEEPS5_m9comp_mod3IiEEE10hipError_tT0_T1_T2_jT3_P12ihipStream_tbPNSt15iterator_traitsISJ_E10value_typeEPNSP_ISK_E10value_typeEPSL_NS1_7vsmem_tEENKUlT_SJ_SK_SL_E_clISE_PiSF_SF_EESI_SY_SJ_SK_SL_EUlSY_E1_NS1_11comp_targetILNS1_3genE10ELNS1_11target_archE1201ELNS1_3gpuE5ELNS1_3repE0EEENS1_36merge_oddeven_config_static_selectorELNS0_4arch9wavefront6targetE0EEEvSK_.uses_flat_scratch, 0
	.set _ZN7rocprim17ROCPRIM_400000_NS6detail17trampoline_kernelINS0_14default_configENS1_38merge_sort_block_merge_config_selectorIiNS0_10empty_typeEEEZZNS1_27merge_sort_block_merge_implIS3_N6thrust23THRUST_200600_302600_NS6detail15normal_iteratorINS9_10device_ptrIiEEEEPS5_m9comp_mod3IiEEE10hipError_tT0_T1_T2_jT3_P12ihipStream_tbPNSt15iterator_traitsISJ_E10value_typeEPNSP_ISK_E10value_typeEPSL_NS1_7vsmem_tEENKUlT_SJ_SK_SL_E_clISE_PiSF_SF_EESI_SY_SJ_SK_SL_EUlSY_E1_NS1_11comp_targetILNS1_3genE10ELNS1_11target_archE1201ELNS1_3gpuE5ELNS1_3repE0EEENS1_36merge_oddeven_config_static_selectorELNS0_4arch9wavefront6targetE0EEEvSK_.has_dyn_sized_stack, 0
	.set _ZN7rocprim17ROCPRIM_400000_NS6detail17trampoline_kernelINS0_14default_configENS1_38merge_sort_block_merge_config_selectorIiNS0_10empty_typeEEEZZNS1_27merge_sort_block_merge_implIS3_N6thrust23THRUST_200600_302600_NS6detail15normal_iteratorINS9_10device_ptrIiEEEEPS5_m9comp_mod3IiEEE10hipError_tT0_T1_T2_jT3_P12ihipStream_tbPNSt15iterator_traitsISJ_E10value_typeEPNSP_ISK_E10value_typeEPSL_NS1_7vsmem_tEENKUlT_SJ_SK_SL_E_clISE_PiSF_SF_EESI_SY_SJ_SK_SL_EUlSY_E1_NS1_11comp_targetILNS1_3genE10ELNS1_11target_archE1201ELNS1_3gpuE5ELNS1_3repE0EEENS1_36merge_oddeven_config_static_selectorELNS0_4arch9wavefront6targetE0EEEvSK_.has_recursion, 0
	.set _ZN7rocprim17ROCPRIM_400000_NS6detail17trampoline_kernelINS0_14default_configENS1_38merge_sort_block_merge_config_selectorIiNS0_10empty_typeEEEZZNS1_27merge_sort_block_merge_implIS3_N6thrust23THRUST_200600_302600_NS6detail15normal_iteratorINS9_10device_ptrIiEEEEPS5_m9comp_mod3IiEEE10hipError_tT0_T1_T2_jT3_P12ihipStream_tbPNSt15iterator_traitsISJ_E10value_typeEPNSP_ISK_E10value_typeEPSL_NS1_7vsmem_tEENKUlT_SJ_SK_SL_E_clISE_PiSF_SF_EESI_SY_SJ_SK_SL_EUlSY_E1_NS1_11comp_targetILNS1_3genE10ELNS1_11target_archE1201ELNS1_3gpuE5ELNS1_3repE0EEENS1_36merge_oddeven_config_static_selectorELNS0_4arch9wavefront6targetE0EEEvSK_.has_indirect_call, 0
	.section	.AMDGPU.csdata,"",@progbits
; Kernel info:
; codeLenInByte = 0
; TotalNumSgprs: 0
; NumVgprs: 0
; ScratchSize: 0
; MemoryBound: 0
; FloatMode: 240
; IeeeMode: 1
; LDSByteSize: 0 bytes/workgroup (compile time only)
; SGPRBlocks: 0
; VGPRBlocks: 0
; NumSGPRsForWavesPerEU: 1
; NumVGPRsForWavesPerEU: 1
; Occupancy: 16
; WaveLimiterHint : 0
; COMPUTE_PGM_RSRC2:SCRATCH_EN: 0
; COMPUTE_PGM_RSRC2:USER_SGPR: 6
; COMPUTE_PGM_RSRC2:TRAP_HANDLER: 0
; COMPUTE_PGM_RSRC2:TGID_X_EN: 1
; COMPUTE_PGM_RSRC2:TGID_Y_EN: 0
; COMPUTE_PGM_RSRC2:TGID_Z_EN: 0
; COMPUTE_PGM_RSRC2:TIDIG_COMP_CNT: 0
	.section	.text._ZN7rocprim17ROCPRIM_400000_NS6detail17trampoline_kernelINS0_14default_configENS1_38merge_sort_block_merge_config_selectorIiNS0_10empty_typeEEEZZNS1_27merge_sort_block_merge_implIS3_N6thrust23THRUST_200600_302600_NS6detail15normal_iteratorINS9_10device_ptrIiEEEEPS5_m9comp_mod3IiEEE10hipError_tT0_T1_T2_jT3_P12ihipStream_tbPNSt15iterator_traitsISJ_E10value_typeEPNSP_ISK_E10value_typeEPSL_NS1_7vsmem_tEENKUlT_SJ_SK_SL_E_clISE_PiSF_SF_EESI_SY_SJ_SK_SL_EUlSY_E1_NS1_11comp_targetILNS1_3genE5ELNS1_11target_archE942ELNS1_3gpuE9ELNS1_3repE0EEENS1_36merge_oddeven_config_static_selectorELNS0_4arch9wavefront6targetE0EEEvSK_,"axG",@progbits,_ZN7rocprim17ROCPRIM_400000_NS6detail17trampoline_kernelINS0_14default_configENS1_38merge_sort_block_merge_config_selectorIiNS0_10empty_typeEEEZZNS1_27merge_sort_block_merge_implIS3_N6thrust23THRUST_200600_302600_NS6detail15normal_iteratorINS9_10device_ptrIiEEEEPS5_m9comp_mod3IiEEE10hipError_tT0_T1_T2_jT3_P12ihipStream_tbPNSt15iterator_traitsISJ_E10value_typeEPNSP_ISK_E10value_typeEPSL_NS1_7vsmem_tEENKUlT_SJ_SK_SL_E_clISE_PiSF_SF_EESI_SY_SJ_SK_SL_EUlSY_E1_NS1_11comp_targetILNS1_3genE5ELNS1_11target_archE942ELNS1_3gpuE9ELNS1_3repE0EEENS1_36merge_oddeven_config_static_selectorELNS0_4arch9wavefront6targetE0EEEvSK_,comdat
	.protected	_ZN7rocprim17ROCPRIM_400000_NS6detail17trampoline_kernelINS0_14default_configENS1_38merge_sort_block_merge_config_selectorIiNS0_10empty_typeEEEZZNS1_27merge_sort_block_merge_implIS3_N6thrust23THRUST_200600_302600_NS6detail15normal_iteratorINS9_10device_ptrIiEEEEPS5_m9comp_mod3IiEEE10hipError_tT0_T1_T2_jT3_P12ihipStream_tbPNSt15iterator_traitsISJ_E10value_typeEPNSP_ISK_E10value_typeEPSL_NS1_7vsmem_tEENKUlT_SJ_SK_SL_E_clISE_PiSF_SF_EESI_SY_SJ_SK_SL_EUlSY_E1_NS1_11comp_targetILNS1_3genE5ELNS1_11target_archE942ELNS1_3gpuE9ELNS1_3repE0EEENS1_36merge_oddeven_config_static_selectorELNS0_4arch9wavefront6targetE0EEEvSK_ ; -- Begin function _ZN7rocprim17ROCPRIM_400000_NS6detail17trampoline_kernelINS0_14default_configENS1_38merge_sort_block_merge_config_selectorIiNS0_10empty_typeEEEZZNS1_27merge_sort_block_merge_implIS3_N6thrust23THRUST_200600_302600_NS6detail15normal_iteratorINS9_10device_ptrIiEEEEPS5_m9comp_mod3IiEEE10hipError_tT0_T1_T2_jT3_P12ihipStream_tbPNSt15iterator_traitsISJ_E10value_typeEPNSP_ISK_E10value_typeEPSL_NS1_7vsmem_tEENKUlT_SJ_SK_SL_E_clISE_PiSF_SF_EESI_SY_SJ_SK_SL_EUlSY_E1_NS1_11comp_targetILNS1_3genE5ELNS1_11target_archE942ELNS1_3gpuE9ELNS1_3repE0EEENS1_36merge_oddeven_config_static_selectorELNS0_4arch9wavefront6targetE0EEEvSK_
	.globl	_ZN7rocprim17ROCPRIM_400000_NS6detail17trampoline_kernelINS0_14default_configENS1_38merge_sort_block_merge_config_selectorIiNS0_10empty_typeEEEZZNS1_27merge_sort_block_merge_implIS3_N6thrust23THRUST_200600_302600_NS6detail15normal_iteratorINS9_10device_ptrIiEEEEPS5_m9comp_mod3IiEEE10hipError_tT0_T1_T2_jT3_P12ihipStream_tbPNSt15iterator_traitsISJ_E10value_typeEPNSP_ISK_E10value_typeEPSL_NS1_7vsmem_tEENKUlT_SJ_SK_SL_E_clISE_PiSF_SF_EESI_SY_SJ_SK_SL_EUlSY_E1_NS1_11comp_targetILNS1_3genE5ELNS1_11target_archE942ELNS1_3gpuE9ELNS1_3repE0EEENS1_36merge_oddeven_config_static_selectorELNS0_4arch9wavefront6targetE0EEEvSK_
	.p2align	8
	.type	_ZN7rocprim17ROCPRIM_400000_NS6detail17trampoline_kernelINS0_14default_configENS1_38merge_sort_block_merge_config_selectorIiNS0_10empty_typeEEEZZNS1_27merge_sort_block_merge_implIS3_N6thrust23THRUST_200600_302600_NS6detail15normal_iteratorINS9_10device_ptrIiEEEEPS5_m9comp_mod3IiEEE10hipError_tT0_T1_T2_jT3_P12ihipStream_tbPNSt15iterator_traitsISJ_E10value_typeEPNSP_ISK_E10value_typeEPSL_NS1_7vsmem_tEENKUlT_SJ_SK_SL_E_clISE_PiSF_SF_EESI_SY_SJ_SK_SL_EUlSY_E1_NS1_11comp_targetILNS1_3genE5ELNS1_11target_archE942ELNS1_3gpuE9ELNS1_3repE0EEENS1_36merge_oddeven_config_static_selectorELNS0_4arch9wavefront6targetE0EEEvSK_,@function
_ZN7rocprim17ROCPRIM_400000_NS6detail17trampoline_kernelINS0_14default_configENS1_38merge_sort_block_merge_config_selectorIiNS0_10empty_typeEEEZZNS1_27merge_sort_block_merge_implIS3_N6thrust23THRUST_200600_302600_NS6detail15normal_iteratorINS9_10device_ptrIiEEEEPS5_m9comp_mod3IiEEE10hipError_tT0_T1_T2_jT3_P12ihipStream_tbPNSt15iterator_traitsISJ_E10value_typeEPNSP_ISK_E10value_typeEPSL_NS1_7vsmem_tEENKUlT_SJ_SK_SL_E_clISE_PiSF_SF_EESI_SY_SJ_SK_SL_EUlSY_E1_NS1_11comp_targetILNS1_3genE5ELNS1_11target_archE942ELNS1_3gpuE9ELNS1_3repE0EEENS1_36merge_oddeven_config_static_selectorELNS0_4arch9wavefront6targetE0EEEvSK_: ; @_ZN7rocprim17ROCPRIM_400000_NS6detail17trampoline_kernelINS0_14default_configENS1_38merge_sort_block_merge_config_selectorIiNS0_10empty_typeEEEZZNS1_27merge_sort_block_merge_implIS3_N6thrust23THRUST_200600_302600_NS6detail15normal_iteratorINS9_10device_ptrIiEEEEPS5_m9comp_mod3IiEEE10hipError_tT0_T1_T2_jT3_P12ihipStream_tbPNSt15iterator_traitsISJ_E10value_typeEPNSP_ISK_E10value_typeEPSL_NS1_7vsmem_tEENKUlT_SJ_SK_SL_E_clISE_PiSF_SF_EESI_SY_SJ_SK_SL_EUlSY_E1_NS1_11comp_targetILNS1_3genE5ELNS1_11target_archE942ELNS1_3gpuE9ELNS1_3repE0EEENS1_36merge_oddeven_config_static_selectorELNS0_4arch9wavefront6targetE0EEEvSK_
; %bb.0:
	.section	.rodata,"a",@progbits
	.p2align	6, 0x0
	.amdhsa_kernel _ZN7rocprim17ROCPRIM_400000_NS6detail17trampoline_kernelINS0_14default_configENS1_38merge_sort_block_merge_config_selectorIiNS0_10empty_typeEEEZZNS1_27merge_sort_block_merge_implIS3_N6thrust23THRUST_200600_302600_NS6detail15normal_iteratorINS9_10device_ptrIiEEEEPS5_m9comp_mod3IiEEE10hipError_tT0_T1_T2_jT3_P12ihipStream_tbPNSt15iterator_traitsISJ_E10value_typeEPNSP_ISK_E10value_typeEPSL_NS1_7vsmem_tEENKUlT_SJ_SK_SL_E_clISE_PiSF_SF_EESI_SY_SJ_SK_SL_EUlSY_E1_NS1_11comp_targetILNS1_3genE5ELNS1_11target_archE942ELNS1_3gpuE9ELNS1_3repE0EEENS1_36merge_oddeven_config_static_selectorELNS0_4arch9wavefront6targetE0EEEvSK_
		.amdhsa_group_segment_fixed_size 0
		.amdhsa_private_segment_fixed_size 0
		.amdhsa_kernarg_size 56
		.amdhsa_user_sgpr_count 6
		.amdhsa_user_sgpr_private_segment_buffer 1
		.amdhsa_user_sgpr_dispatch_ptr 0
		.amdhsa_user_sgpr_queue_ptr 0
		.amdhsa_user_sgpr_kernarg_segment_ptr 1
		.amdhsa_user_sgpr_dispatch_id 0
		.amdhsa_user_sgpr_flat_scratch_init 0
		.amdhsa_user_sgpr_private_segment_size 0
		.amdhsa_wavefront_size32 1
		.amdhsa_uses_dynamic_stack 0
		.amdhsa_system_sgpr_private_segment_wavefront_offset 0
		.amdhsa_system_sgpr_workgroup_id_x 1
		.amdhsa_system_sgpr_workgroup_id_y 0
		.amdhsa_system_sgpr_workgroup_id_z 0
		.amdhsa_system_sgpr_workgroup_info 0
		.amdhsa_system_vgpr_workitem_id 0
		.amdhsa_next_free_vgpr 1
		.amdhsa_next_free_sgpr 1
		.amdhsa_reserve_vcc 0
		.amdhsa_reserve_flat_scratch 0
		.amdhsa_float_round_mode_32 0
		.amdhsa_float_round_mode_16_64 0
		.amdhsa_float_denorm_mode_32 3
		.amdhsa_float_denorm_mode_16_64 3
		.amdhsa_dx10_clamp 1
		.amdhsa_ieee_mode 1
		.amdhsa_fp16_overflow 0
		.amdhsa_workgroup_processor_mode 1
		.amdhsa_memory_ordered 1
		.amdhsa_forward_progress 1
		.amdhsa_shared_vgpr_count 0
		.amdhsa_exception_fp_ieee_invalid_op 0
		.amdhsa_exception_fp_denorm_src 0
		.amdhsa_exception_fp_ieee_div_zero 0
		.amdhsa_exception_fp_ieee_overflow 0
		.amdhsa_exception_fp_ieee_underflow 0
		.amdhsa_exception_fp_ieee_inexact 0
		.amdhsa_exception_int_div_zero 0
	.end_amdhsa_kernel
	.section	.text._ZN7rocprim17ROCPRIM_400000_NS6detail17trampoline_kernelINS0_14default_configENS1_38merge_sort_block_merge_config_selectorIiNS0_10empty_typeEEEZZNS1_27merge_sort_block_merge_implIS3_N6thrust23THRUST_200600_302600_NS6detail15normal_iteratorINS9_10device_ptrIiEEEEPS5_m9comp_mod3IiEEE10hipError_tT0_T1_T2_jT3_P12ihipStream_tbPNSt15iterator_traitsISJ_E10value_typeEPNSP_ISK_E10value_typeEPSL_NS1_7vsmem_tEENKUlT_SJ_SK_SL_E_clISE_PiSF_SF_EESI_SY_SJ_SK_SL_EUlSY_E1_NS1_11comp_targetILNS1_3genE5ELNS1_11target_archE942ELNS1_3gpuE9ELNS1_3repE0EEENS1_36merge_oddeven_config_static_selectorELNS0_4arch9wavefront6targetE0EEEvSK_,"axG",@progbits,_ZN7rocprim17ROCPRIM_400000_NS6detail17trampoline_kernelINS0_14default_configENS1_38merge_sort_block_merge_config_selectorIiNS0_10empty_typeEEEZZNS1_27merge_sort_block_merge_implIS3_N6thrust23THRUST_200600_302600_NS6detail15normal_iteratorINS9_10device_ptrIiEEEEPS5_m9comp_mod3IiEEE10hipError_tT0_T1_T2_jT3_P12ihipStream_tbPNSt15iterator_traitsISJ_E10value_typeEPNSP_ISK_E10value_typeEPSL_NS1_7vsmem_tEENKUlT_SJ_SK_SL_E_clISE_PiSF_SF_EESI_SY_SJ_SK_SL_EUlSY_E1_NS1_11comp_targetILNS1_3genE5ELNS1_11target_archE942ELNS1_3gpuE9ELNS1_3repE0EEENS1_36merge_oddeven_config_static_selectorELNS0_4arch9wavefront6targetE0EEEvSK_,comdat
.Lfunc_end1030:
	.size	_ZN7rocprim17ROCPRIM_400000_NS6detail17trampoline_kernelINS0_14default_configENS1_38merge_sort_block_merge_config_selectorIiNS0_10empty_typeEEEZZNS1_27merge_sort_block_merge_implIS3_N6thrust23THRUST_200600_302600_NS6detail15normal_iteratorINS9_10device_ptrIiEEEEPS5_m9comp_mod3IiEEE10hipError_tT0_T1_T2_jT3_P12ihipStream_tbPNSt15iterator_traitsISJ_E10value_typeEPNSP_ISK_E10value_typeEPSL_NS1_7vsmem_tEENKUlT_SJ_SK_SL_E_clISE_PiSF_SF_EESI_SY_SJ_SK_SL_EUlSY_E1_NS1_11comp_targetILNS1_3genE5ELNS1_11target_archE942ELNS1_3gpuE9ELNS1_3repE0EEENS1_36merge_oddeven_config_static_selectorELNS0_4arch9wavefront6targetE0EEEvSK_, .Lfunc_end1030-_ZN7rocprim17ROCPRIM_400000_NS6detail17trampoline_kernelINS0_14default_configENS1_38merge_sort_block_merge_config_selectorIiNS0_10empty_typeEEEZZNS1_27merge_sort_block_merge_implIS3_N6thrust23THRUST_200600_302600_NS6detail15normal_iteratorINS9_10device_ptrIiEEEEPS5_m9comp_mod3IiEEE10hipError_tT0_T1_T2_jT3_P12ihipStream_tbPNSt15iterator_traitsISJ_E10value_typeEPNSP_ISK_E10value_typeEPSL_NS1_7vsmem_tEENKUlT_SJ_SK_SL_E_clISE_PiSF_SF_EESI_SY_SJ_SK_SL_EUlSY_E1_NS1_11comp_targetILNS1_3genE5ELNS1_11target_archE942ELNS1_3gpuE9ELNS1_3repE0EEENS1_36merge_oddeven_config_static_selectorELNS0_4arch9wavefront6targetE0EEEvSK_
                                        ; -- End function
	.set _ZN7rocprim17ROCPRIM_400000_NS6detail17trampoline_kernelINS0_14default_configENS1_38merge_sort_block_merge_config_selectorIiNS0_10empty_typeEEEZZNS1_27merge_sort_block_merge_implIS3_N6thrust23THRUST_200600_302600_NS6detail15normal_iteratorINS9_10device_ptrIiEEEEPS5_m9comp_mod3IiEEE10hipError_tT0_T1_T2_jT3_P12ihipStream_tbPNSt15iterator_traitsISJ_E10value_typeEPNSP_ISK_E10value_typeEPSL_NS1_7vsmem_tEENKUlT_SJ_SK_SL_E_clISE_PiSF_SF_EESI_SY_SJ_SK_SL_EUlSY_E1_NS1_11comp_targetILNS1_3genE5ELNS1_11target_archE942ELNS1_3gpuE9ELNS1_3repE0EEENS1_36merge_oddeven_config_static_selectorELNS0_4arch9wavefront6targetE0EEEvSK_.num_vgpr, 0
	.set _ZN7rocprim17ROCPRIM_400000_NS6detail17trampoline_kernelINS0_14default_configENS1_38merge_sort_block_merge_config_selectorIiNS0_10empty_typeEEEZZNS1_27merge_sort_block_merge_implIS3_N6thrust23THRUST_200600_302600_NS6detail15normal_iteratorINS9_10device_ptrIiEEEEPS5_m9comp_mod3IiEEE10hipError_tT0_T1_T2_jT3_P12ihipStream_tbPNSt15iterator_traitsISJ_E10value_typeEPNSP_ISK_E10value_typeEPSL_NS1_7vsmem_tEENKUlT_SJ_SK_SL_E_clISE_PiSF_SF_EESI_SY_SJ_SK_SL_EUlSY_E1_NS1_11comp_targetILNS1_3genE5ELNS1_11target_archE942ELNS1_3gpuE9ELNS1_3repE0EEENS1_36merge_oddeven_config_static_selectorELNS0_4arch9wavefront6targetE0EEEvSK_.num_agpr, 0
	.set _ZN7rocprim17ROCPRIM_400000_NS6detail17trampoline_kernelINS0_14default_configENS1_38merge_sort_block_merge_config_selectorIiNS0_10empty_typeEEEZZNS1_27merge_sort_block_merge_implIS3_N6thrust23THRUST_200600_302600_NS6detail15normal_iteratorINS9_10device_ptrIiEEEEPS5_m9comp_mod3IiEEE10hipError_tT0_T1_T2_jT3_P12ihipStream_tbPNSt15iterator_traitsISJ_E10value_typeEPNSP_ISK_E10value_typeEPSL_NS1_7vsmem_tEENKUlT_SJ_SK_SL_E_clISE_PiSF_SF_EESI_SY_SJ_SK_SL_EUlSY_E1_NS1_11comp_targetILNS1_3genE5ELNS1_11target_archE942ELNS1_3gpuE9ELNS1_3repE0EEENS1_36merge_oddeven_config_static_selectorELNS0_4arch9wavefront6targetE0EEEvSK_.numbered_sgpr, 0
	.set _ZN7rocprim17ROCPRIM_400000_NS6detail17trampoline_kernelINS0_14default_configENS1_38merge_sort_block_merge_config_selectorIiNS0_10empty_typeEEEZZNS1_27merge_sort_block_merge_implIS3_N6thrust23THRUST_200600_302600_NS6detail15normal_iteratorINS9_10device_ptrIiEEEEPS5_m9comp_mod3IiEEE10hipError_tT0_T1_T2_jT3_P12ihipStream_tbPNSt15iterator_traitsISJ_E10value_typeEPNSP_ISK_E10value_typeEPSL_NS1_7vsmem_tEENKUlT_SJ_SK_SL_E_clISE_PiSF_SF_EESI_SY_SJ_SK_SL_EUlSY_E1_NS1_11comp_targetILNS1_3genE5ELNS1_11target_archE942ELNS1_3gpuE9ELNS1_3repE0EEENS1_36merge_oddeven_config_static_selectorELNS0_4arch9wavefront6targetE0EEEvSK_.num_named_barrier, 0
	.set _ZN7rocprim17ROCPRIM_400000_NS6detail17trampoline_kernelINS0_14default_configENS1_38merge_sort_block_merge_config_selectorIiNS0_10empty_typeEEEZZNS1_27merge_sort_block_merge_implIS3_N6thrust23THRUST_200600_302600_NS6detail15normal_iteratorINS9_10device_ptrIiEEEEPS5_m9comp_mod3IiEEE10hipError_tT0_T1_T2_jT3_P12ihipStream_tbPNSt15iterator_traitsISJ_E10value_typeEPNSP_ISK_E10value_typeEPSL_NS1_7vsmem_tEENKUlT_SJ_SK_SL_E_clISE_PiSF_SF_EESI_SY_SJ_SK_SL_EUlSY_E1_NS1_11comp_targetILNS1_3genE5ELNS1_11target_archE942ELNS1_3gpuE9ELNS1_3repE0EEENS1_36merge_oddeven_config_static_selectorELNS0_4arch9wavefront6targetE0EEEvSK_.private_seg_size, 0
	.set _ZN7rocprim17ROCPRIM_400000_NS6detail17trampoline_kernelINS0_14default_configENS1_38merge_sort_block_merge_config_selectorIiNS0_10empty_typeEEEZZNS1_27merge_sort_block_merge_implIS3_N6thrust23THRUST_200600_302600_NS6detail15normal_iteratorINS9_10device_ptrIiEEEEPS5_m9comp_mod3IiEEE10hipError_tT0_T1_T2_jT3_P12ihipStream_tbPNSt15iterator_traitsISJ_E10value_typeEPNSP_ISK_E10value_typeEPSL_NS1_7vsmem_tEENKUlT_SJ_SK_SL_E_clISE_PiSF_SF_EESI_SY_SJ_SK_SL_EUlSY_E1_NS1_11comp_targetILNS1_3genE5ELNS1_11target_archE942ELNS1_3gpuE9ELNS1_3repE0EEENS1_36merge_oddeven_config_static_selectorELNS0_4arch9wavefront6targetE0EEEvSK_.uses_vcc, 0
	.set _ZN7rocprim17ROCPRIM_400000_NS6detail17trampoline_kernelINS0_14default_configENS1_38merge_sort_block_merge_config_selectorIiNS0_10empty_typeEEEZZNS1_27merge_sort_block_merge_implIS3_N6thrust23THRUST_200600_302600_NS6detail15normal_iteratorINS9_10device_ptrIiEEEEPS5_m9comp_mod3IiEEE10hipError_tT0_T1_T2_jT3_P12ihipStream_tbPNSt15iterator_traitsISJ_E10value_typeEPNSP_ISK_E10value_typeEPSL_NS1_7vsmem_tEENKUlT_SJ_SK_SL_E_clISE_PiSF_SF_EESI_SY_SJ_SK_SL_EUlSY_E1_NS1_11comp_targetILNS1_3genE5ELNS1_11target_archE942ELNS1_3gpuE9ELNS1_3repE0EEENS1_36merge_oddeven_config_static_selectorELNS0_4arch9wavefront6targetE0EEEvSK_.uses_flat_scratch, 0
	.set _ZN7rocprim17ROCPRIM_400000_NS6detail17trampoline_kernelINS0_14default_configENS1_38merge_sort_block_merge_config_selectorIiNS0_10empty_typeEEEZZNS1_27merge_sort_block_merge_implIS3_N6thrust23THRUST_200600_302600_NS6detail15normal_iteratorINS9_10device_ptrIiEEEEPS5_m9comp_mod3IiEEE10hipError_tT0_T1_T2_jT3_P12ihipStream_tbPNSt15iterator_traitsISJ_E10value_typeEPNSP_ISK_E10value_typeEPSL_NS1_7vsmem_tEENKUlT_SJ_SK_SL_E_clISE_PiSF_SF_EESI_SY_SJ_SK_SL_EUlSY_E1_NS1_11comp_targetILNS1_3genE5ELNS1_11target_archE942ELNS1_3gpuE9ELNS1_3repE0EEENS1_36merge_oddeven_config_static_selectorELNS0_4arch9wavefront6targetE0EEEvSK_.has_dyn_sized_stack, 0
	.set _ZN7rocprim17ROCPRIM_400000_NS6detail17trampoline_kernelINS0_14default_configENS1_38merge_sort_block_merge_config_selectorIiNS0_10empty_typeEEEZZNS1_27merge_sort_block_merge_implIS3_N6thrust23THRUST_200600_302600_NS6detail15normal_iteratorINS9_10device_ptrIiEEEEPS5_m9comp_mod3IiEEE10hipError_tT0_T1_T2_jT3_P12ihipStream_tbPNSt15iterator_traitsISJ_E10value_typeEPNSP_ISK_E10value_typeEPSL_NS1_7vsmem_tEENKUlT_SJ_SK_SL_E_clISE_PiSF_SF_EESI_SY_SJ_SK_SL_EUlSY_E1_NS1_11comp_targetILNS1_3genE5ELNS1_11target_archE942ELNS1_3gpuE9ELNS1_3repE0EEENS1_36merge_oddeven_config_static_selectorELNS0_4arch9wavefront6targetE0EEEvSK_.has_recursion, 0
	.set _ZN7rocprim17ROCPRIM_400000_NS6detail17trampoline_kernelINS0_14default_configENS1_38merge_sort_block_merge_config_selectorIiNS0_10empty_typeEEEZZNS1_27merge_sort_block_merge_implIS3_N6thrust23THRUST_200600_302600_NS6detail15normal_iteratorINS9_10device_ptrIiEEEEPS5_m9comp_mod3IiEEE10hipError_tT0_T1_T2_jT3_P12ihipStream_tbPNSt15iterator_traitsISJ_E10value_typeEPNSP_ISK_E10value_typeEPSL_NS1_7vsmem_tEENKUlT_SJ_SK_SL_E_clISE_PiSF_SF_EESI_SY_SJ_SK_SL_EUlSY_E1_NS1_11comp_targetILNS1_3genE5ELNS1_11target_archE942ELNS1_3gpuE9ELNS1_3repE0EEENS1_36merge_oddeven_config_static_selectorELNS0_4arch9wavefront6targetE0EEEvSK_.has_indirect_call, 0
	.section	.AMDGPU.csdata,"",@progbits
; Kernel info:
; codeLenInByte = 0
; TotalNumSgprs: 0
; NumVgprs: 0
; ScratchSize: 0
; MemoryBound: 0
; FloatMode: 240
; IeeeMode: 1
; LDSByteSize: 0 bytes/workgroup (compile time only)
; SGPRBlocks: 0
; VGPRBlocks: 0
; NumSGPRsForWavesPerEU: 1
; NumVGPRsForWavesPerEU: 1
; Occupancy: 16
; WaveLimiterHint : 0
; COMPUTE_PGM_RSRC2:SCRATCH_EN: 0
; COMPUTE_PGM_RSRC2:USER_SGPR: 6
; COMPUTE_PGM_RSRC2:TRAP_HANDLER: 0
; COMPUTE_PGM_RSRC2:TGID_X_EN: 1
; COMPUTE_PGM_RSRC2:TGID_Y_EN: 0
; COMPUTE_PGM_RSRC2:TGID_Z_EN: 0
; COMPUTE_PGM_RSRC2:TIDIG_COMP_CNT: 0
	.section	.text._ZN7rocprim17ROCPRIM_400000_NS6detail17trampoline_kernelINS0_14default_configENS1_38merge_sort_block_merge_config_selectorIiNS0_10empty_typeEEEZZNS1_27merge_sort_block_merge_implIS3_N6thrust23THRUST_200600_302600_NS6detail15normal_iteratorINS9_10device_ptrIiEEEEPS5_m9comp_mod3IiEEE10hipError_tT0_T1_T2_jT3_P12ihipStream_tbPNSt15iterator_traitsISJ_E10value_typeEPNSP_ISK_E10value_typeEPSL_NS1_7vsmem_tEENKUlT_SJ_SK_SL_E_clISE_PiSF_SF_EESI_SY_SJ_SK_SL_EUlSY_E1_NS1_11comp_targetILNS1_3genE4ELNS1_11target_archE910ELNS1_3gpuE8ELNS1_3repE0EEENS1_36merge_oddeven_config_static_selectorELNS0_4arch9wavefront6targetE0EEEvSK_,"axG",@progbits,_ZN7rocprim17ROCPRIM_400000_NS6detail17trampoline_kernelINS0_14default_configENS1_38merge_sort_block_merge_config_selectorIiNS0_10empty_typeEEEZZNS1_27merge_sort_block_merge_implIS3_N6thrust23THRUST_200600_302600_NS6detail15normal_iteratorINS9_10device_ptrIiEEEEPS5_m9comp_mod3IiEEE10hipError_tT0_T1_T2_jT3_P12ihipStream_tbPNSt15iterator_traitsISJ_E10value_typeEPNSP_ISK_E10value_typeEPSL_NS1_7vsmem_tEENKUlT_SJ_SK_SL_E_clISE_PiSF_SF_EESI_SY_SJ_SK_SL_EUlSY_E1_NS1_11comp_targetILNS1_3genE4ELNS1_11target_archE910ELNS1_3gpuE8ELNS1_3repE0EEENS1_36merge_oddeven_config_static_selectorELNS0_4arch9wavefront6targetE0EEEvSK_,comdat
	.protected	_ZN7rocprim17ROCPRIM_400000_NS6detail17trampoline_kernelINS0_14default_configENS1_38merge_sort_block_merge_config_selectorIiNS0_10empty_typeEEEZZNS1_27merge_sort_block_merge_implIS3_N6thrust23THRUST_200600_302600_NS6detail15normal_iteratorINS9_10device_ptrIiEEEEPS5_m9comp_mod3IiEEE10hipError_tT0_T1_T2_jT3_P12ihipStream_tbPNSt15iterator_traitsISJ_E10value_typeEPNSP_ISK_E10value_typeEPSL_NS1_7vsmem_tEENKUlT_SJ_SK_SL_E_clISE_PiSF_SF_EESI_SY_SJ_SK_SL_EUlSY_E1_NS1_11comp_targetILNS1_3genE4ELNS1_11target_archE910ELNS1_3gpuE8ELNS1_3repE0EEENS1_36merge_oddeven_config_static_selectorELNS0_4arch9wavefront6targetE0EEEvSK_ ; -- Begin function _ZN7rocprim17ROCPRIM_400000_NS6detail17trampoline_kernelINS0_14default_configENS1_38merge_sort_block_merge_config_selectorIiNS0_10empty_typeEEEZZNS1_27merge_sort_block_merge_implIS3_N6thrust23THRUST_200600_302600_NS6detail15normal_iteratorINS9_10device_ptrIiEEEEPS5_m9comp_mod3IiEEE10hipError_tT0_T1_T2_jT3_P12ihipStream_tbPNSt15iterator_traitsISJ_E10value_typeEPNSP_ISK_E10value_typeEPSL_NS1_7vsmem_tEENKUlT_SJ_SK_SL_E_clISE_PiSF_SF_EESI_SY_SJ_SK_SL_EUlSY_E1_NS1_11comp_targetILNS1_3genE4ELNS1_11target_archE910ELNS1_3gpuE8ELNS1_3repE0EEENS1_36merge_oddeven_config_static_selectorELNS0_4arch9wavefront6targetE0EEEvSK_
	.globl	_ZN7rocprim17ROCPRIM_400000_NS6detail17trampoline_kernelINS0_14default_configENS1_38merge_sort_block_merge_config_selectorIiNS0_10empty_typeEEEZZNS1_27merge_sort_block_merge_implIS3_N6thrust23THRUST_200600_302600_NS6detail15normal_iteratorINS9_10device_ptrIiEEEEPS5_m9comp_mod3IiEEE10hipError_tT0_T1_T2_jT3_P12ihipStream_tbPNSt15iterator_traitsISJ_E10value_typeEPNSP_ISK_E10value_typeEPSL_NS1_7vsmem_tEENKUlT_SJ_SK_SL_E_clISE_PiSF_SF_EESI_SY_SJ_SK_SL_EUlSY_E1_NS1_11comp_targetILNS1_3genE4ELNS1_11target_archE910ELNS1_3gpuE8ELNS1_3repE0EEENS1_36merge_oddeven_config_static_selectorELNS0_4arch9wavefront6targetE0EEEvSK_
	.p2align	8
	.type	_ZN7rocprim17ROCPRIM_400000_NS6detail17trampoline_kernelINS0_14default_configENS1_38merge_sort_block_merge_config_selectorIiNS0_10empty_typeEEEZZNS1_27merge_sort_block_merge_implIS3_N6thrust23THRUST_200600_302600_NS6detail15normal_iteratorINS9_10device_ptrIiEEEEPS5_m9comp_mod3IiEEE10hipError_tT0_T1_T2_jT3_P12ihipStream_tbPNSt15iterator_traitsISJ_E10value_typeEPNSP_ISK_E10value_typeEPSL_NS1_7vsmem_tEENKUlT_SJ_SK_SL_E_clISE_PiSF_SF_EESI_SY_SJ_SK_SL_EUlSY_E1_NS1_11comp_targetILNS1_3genE4ELNS1_11target_archE910ELNS1_3gpuE8ELNS1_3repE0EEENS1_36merge_oddeven_config_static_selectorELNS0_4arch9wavefront6targetE0EEEvSK_,@function
_ZN7rocprim17ROCPRIM_400000_NS6detail17trampoline_kernelINS0_14default_configENS1_38merge_sort_block_merge_config_selectorIiNS0_10empty_typeEEEZZNS1_27merge_sort_block_merge_implIS3_N6thrust23THRUST_200600_302600_NS6detail15normal_iteratorINS9_10device_ptrIiEEEEPS5_m9comp_mod3IiEEE10hipError_tT0_T1_T2_jT3_P12ihipStream_tbPNSt15iterator_traitsISJ_E10value_typeEPNSP_ISK_E10value_typeEPSL_NS1_7vsmem_tEENKUlT_SJ_SK_SL_E_clISE_PiSF_SF_EESI_SY_SJ_SK_SL_EUlSY_E1_NS1_11comp_targetILNS1_3genE4ELNS1_11target_archE910ELNS1_3gpuE8ELNS1_3repE0EEENS1_36merge_oddeven_config_static_selectorELNS0_4arch9wavefront6targetE0EEEvSK_: ; @_ZN7rocprim17ROCPRIM_400000_NS6detail17trampoline_kernelINS0_14default_configENS1_38merge_sort_block_merge_config_selectorIiNS0_10empty_typeEEEZZNS1_27merge_sort_block_merge_implIS3_N6thrust23THRUST_200600_302600_NS6detail15normal_iteratorINS9_10device_ptrIiEEEEPS5_m9comp_mod3IiEEE10hipError_tT0_T1_T2_jT3_P12ihipStream_tbPNSt15iterator_traitsISJ_E10value_typeEPNSP_ISK_E10value_typeEPSL_NS1_7vsmem_tEENKUlT_SJ_SK_SL_E_clISE_PiSF_SF_EESI_SY_SJ_SK_SL_EUlSY_E1_NS1_11comp_targetILNS1_3genE4ELNS1_11target_archE910ELNS1_3gpuE8ELNS1_3repE0EEENS1_36merge_oddeven_config_static_selectorELNS0_4arch9wavefront6targetE0EEEvSK_
; %bb.0:
	.section	.rodata,"a",@progbits
	.p2align	6, 0x0
	.amdhsa_kernel _ZN7rocprim17ROCPRIM_400000_NS6detail17trampoline_kernelINS0_14default_configENS1_38merge_sort_block_merge_config_selectorIiNS0_10empty_typeEEEZZNS1_27merge_sort_block_merge_implIS3_N6thrust23THRUST_200600_302600_NS6detail15normal_iteratorINS9_10device_ptrIiEEEEPS5_m9comp_mod3IiEEE10hipError_tT0_T1_T2_jT3_P12ihipStream_tbPNSt15iterator_traitsISJ_E10value_typeEPNSP_ISK_E10value_typeEPSL_NS1_7vsmem_tEENKUlT_SJ_SK_SL_E_clISE_PiSF_SF_EESI_SY_SJ_SK_SL_EUlSY_E1_NS1_11comp_targetILNS1_3genE4ELNS1_11target_archE910ELNS1_3gpuE8ELNS1_3repE0EEENS1_36merge_oddeven_config_static_selectorELNS0_4arch9wavefront6targetE0EEEvSK_
		.amdhsa_group_segment_fixed_size 0
		.amdhsa_private_segment_fixed_size 0
		.amdhsa_kernarg_size 56
		.amdhsa_user_sgpr_count 6
		.amdhsa_user_sgpr_private_segment_buffer 1
		.amdhsa_user_sgpr_dispatch_ptr 0
		.amdhsa_user_sgpr_queue_ptr 0
		.amdhsa_user_sgpr_kernarg_segment_ptr 1
		.amdhsa_user_sgpr_dispatch_id 0
		.amdhsa_user_sgpr_flat_scratch_init 0
		.amdhsa_user_sgpr_private_segment_size 0
		.amdhsa_wavefront_size32 1
		.amdhsa_uses_dynamic_stack 0
		.amdhsa_system_sgpr_private_segment_wavefront_offset 0
		.amdhsa_system_sgpr_workgroup_id_x 1
		.amdhsa_system_sgpr_workgroup_id_y 0
		.amdhsa_system_sgpr_workgroup_id_z 0
		.amdhsa_system_sgpr_workgroup_info 0
		.amdhsa_system_vgpr_workitem_id 0
		.amdhsa_next_free_vgpr 1
		.amdhsa_next_free_sgpr 1
		.amdhsa_reserve_vcc 0
		.amdhsa_reserve_flat_scratch 0
		.amdhsa_float_round_mode_32 0
		.amdhsa_float_round_mode_16_64 0
		.amdhsa_float_denorm_mode_32 3
		.amdhsa_float_denorm_mode_16_64 3
		.amdhsa_dx10_clamp 1
		.amdhsa_ieee_mode 1
		.amdhsa_fp16_overflow 0
		.amdhsa_workgroup_processor_mode 1
		.amdhsa_memory_ordered 1
		.amdhsa_forward_progress 1
		.amdhsa_shared_vgpr_count 0
		.amdhsa_exception_fp_ieee_invalid_op 0
		.amdhsa_exception_fp_denorm_src 0
		.amdhsa_exception_fp_ieee_div_zero 0
		.amdhsa_exception_fp_ieee_overflow 0
		.amdhsa_exception_fp_ieee_underflow 0
		.amdhsa_exception_fp_ieee_inexact 0
		.amdhsa_exception_int_div_zero 0
	.end_amdhsa_kernel
	.section	.text._ZN7rocprim17ROCPRIM_400000_NS6detail17trampoline_kernelINS0_14default_configENS1_38merge_sort_block_merge_config_selectorIiNS0_10empty_typeEEEZZNS1_27merge_sort_block_merge_implIS3_N6thrust23THRUST_200600_302600_NS6detail15normal_iteratorINS9_10device_ptrIiEEEEPS5_m9comp_mod3IiEEE10hipError_tT0_T1_T2_jT3_P12ihipStream_tbPNSt15iterator_traitsISJ_E10value_typeEPNSP_ISK_E10value_typeEPSL_NS1_7vsmem_tEENKUlT_SJ_SK_SL_E_clISE_PiSF_SF_EESI_SY_SJ_SK_SL_EUlSY_E1_NS1_11comp_targetILNS1_3genE4ELNS1_11target_archE910ELNS1_3gpuE8ELNS1_3repE0EEENS1_36merge_oddeven_config_static_selectorELNS0_4arch9wavefront6targetE0EEEvSK_,"axG",@progbits,_ZN7rocprim17ROCPRIM_400000_NS6detail17trampoline_kernelINS0_14default_configENS1_38merge_sort_block_merge_config_selectorIiNS0_10empty_typeEEEZZNS1_27merge_sort_block_merge_implIS3_N6thrust23THRUST_200600_302600_NS6detail15normal_iteratorINS9_10device_ptrIiEEEEPS5_m9comp_mod3IiEEE10hipError_tT0_T1_T2_jT3_P12ihipStream_tbPNSt15iterator_traitsISJ_E10value_typeEPNSP_ISK_E10value_typeEPSL_NS1_7vsmem_tEENKUlT_SJ_SK_SL_E_clISE_PiSF_SF_EESI_SY_SJ_SK_SL_EUlSY_E1_NS1_11comp_targetILNS1_3genE4ELNS1_11target_archE910ELNS1_3gpuE8ELNS1_3repE0EEENS1_36merge_oddeven_config_static_selectorELNS0_4arch9wavefront6targetE0EEEvSK_,comdat
.Lfunc_end1031:
	.size	_ZN7rocprim17ROCPRIM_400000_NS6detail17trampoline_kernelINS0_14default_configENS1_38merge_sort_block_merge_config_selectorIiNS0_10empty_typeEEEZZNS1_27merge_sort_block_merge_implIS3_N6thrust23THRUST_200600_302600_NS6detail15normal_iteratorINS9_10device_ptrIiEEEEPS5_m9comp_mod3IiEEE10hipError_tT0_T1_T2_jT3_P12ihipStream_tbPNSt15iterator_traitsISJ_E10value_typeEPNSP_ISK_E10value_typeEPSL_NS1_7vsmem_tEENKUlT_SJ_SK_SL_E_clISE_PiSF_SF_EESI_SY_SJ_SK_SL_EUlSY_E1_NS1_11comp_targetILNS1_3genE4ELNS1_11target_archE910ELNS1_3gpuE8ELNS1_3repE0EEENS1_36merge_oddeven_config_static_selectorELNS0_4arch9wavefront6targetE0EEEvSK_, .Lfunc_end1031-_ZN7rocprim17ROCPRIM_400000_NS6detail17trampoline_kernelINS0_14default_configENS1_38merge_sort_block_merge_config_selectorIiNS0_10empty_typeEEEZZNS1_27merge_sort_block_merge_implIS3_N6thrust23THRUST_200600_302600_NS6detail15normal_iteratorINS9_10device_ptrIiEEEEPS5_m9comp_mod3IiEEE10hipError_tT0_T1_T2_jT3_P12ihipStream_tbPNSt15iterator_traitsISJ_E10value_typeEPNSP_ISK_E10value_typeEPSL_NS1_7vsmem_tEENKUlT_SJ_SK_SL_E_clISE_PiSF_SF_EESI_SY_SJ_SK_SL_EUlSY_E1_NS1_11comp_targetILNS1_3genE4ELNS1_11target_archE910ELNS1_3gpuE8ELNS1_3repE0EEENS1_36merge_oddeven_config_static_selectorELNS0_4arch9wavefront6targetE0EEEvSK_
                                        ; -- End function
	.set _ZN7rocprim17ROCPRIM_400000_NS6detail17trampoline_kernelINS0_14default_configENS1_38merge_sort_block_merge_config_selectorIiNS0_10empty_typeEEEZZNS1_27merge_sort_block_merge_implIS3_N6thrust23THRUST_200600_302600_NS6detail15normal_iteratorINS9_10device_ptrIiEEEEPS5_m9comp_mod3IiEEE10hipError_tT0_T1_T2_jT3_P12ihipStream_tbPNSt15iterator_traitsISJ_E10value_typeEPNSP_ISK_E10value_typeEPSL_NS1_7vsmem_tEENKUlT_SJ_SK_SL_E_clISE_PiSF_SF_EESI_SY_SJ_SK_SL_EUlSY_E1_NS1_11comp_targetILNS1_3genE4ELNS1_11target_archE910ELNS1_3gpuE8ELNS1_3repE0EEENS1_36merge_oddeven_config_static_selectorELNS0_4arch9wavefront6targetE0EEEvSK_.num_vgpr, 0
	.set _ZN7rocprim17ROCPRIM_400000_NS6detail17trampoline_kernelINS0_14default_configENS1_38merge_sort_block_merge_config_selectorIiNS0_10empty_typeEEEZZNS1_27merge_sort_block_merge_implIS3_N6thrust23THRUST_200600_302600_NS6detail15normal_iteratorINS9_10device_ptrIiEEEEPS5_m9comp_mod3IiEEE10hipError_tT0_T1_T2_jT3_P12ihipStream_tbPNSt15iterator_traitsISJ_E10value_typeEPNSP_ISK_E10value_typeEPSL_NS1_7vsmem_tEENKUlT_SJ_SK_SL_E_clISE_PiSF_SF_EESI_SY_SJ_SK_SL_EUlSY_E1_NS1_11comp_targetILNS1_3genE4ELNS1_11target_archE910ELNS1_3gpuE8ELNS1_3repE0EEENS1_36merge_oddeven_config_static_selectorELNS0_4arch9wavefront6targetE0EEEvSK_.num_agpr, 0
	.set _ZN7rocprim17ROCPRIM_400000_NS6detail17trampoline_kernelINS0_14default_configENS1_38merge_sort_block_merge_config_selectorIiNS0_10empty_typeEEEZZNS1_27merge_sort_block_merge_implIS3_N6thrust23THRUST_200600_302600_NS6detail15normal_iteratorINS9_10device_ptrIiEEEEPS5_m9comp_mod3IiEEE10hipError_tT0_T1_T2_jT3_P12ihipStream_tbPNSt15iterator_traitsISJ_E10value_typeEPNSP_ISK_E10value_typeEPSL_NS1_7vsmem_tEENKUlT_SJ_SK_SL_E_clISE_PiSF_SF_EESI_SY_SJ_SK_SL_EUlSY_E1_NS1_11comp_targetILNS1_3genE4ELNS1_11target_archE910ELNS1_3gpuE8ELNS1_3repE0EEENS1_36merge_oddeven_config_static_selectorELNS0_4arch9wavefront6targetE0EEEvSK_.numbered_sgpr, 0
	.set _ZN7rocprim17ROCPRIM_400000_NS6detail17trampoline_kernelINS0_14default_configENS1_38merge_sort_block_merge_config_selectorIiNS0_10empty_typeEEEZZNS1_27merge_sort_block_merge_implIS3_N6thrust23THRUST_200600_302600_NS6detail15normal_iteratorINS9_10device_ptrIiEEEEPS5_m9comp_mod3IiEEE10hipError_tT0_T1_T2_jT3_P12ihipStream_tbPNSt15iterator_traitsISJ_E10value_typeEPNSP_ISK_E10value_typeEPSL_NS1_7vsmem_tEENKUlT_SJ_SK_SL_E_clISE_PiSF_SF_EESI_SY_SJ_SK_SL_EUlSY_E1_NS1_11comp_targetILNS1_3genE4ELNS1_11target_archE910ELNS1_3gpuE8ELNS1_3repE0EEENS1_36merge_oddeven_config_static_selectorELNS0_4arch9wavefront6targetE0EEEvSK_.num_named_barrier, 0
	.set _ZN7rocprim17ROCPRIM_400000_NS6detail17trampoline_kernelINS0_14default_configENS1_38merge_sort_block_merge_config_selectorIiNS0_10empty_typeEEEZZNS1_27merge_sort_block_merge_implIS3_N6thrust23THRUST_200600_302600_NS6detail15normal_iteratorINS9_10device_ptrIiEEEEPS5_m9comp_mod3IiEEE10hipError_tT0_T1_T2_jT3_P12ihipStream_tbPNSt15iterator_traitsISJ_E10value_typeEPNSP_ISK_E10value_typeEPSL_NS1_7vsmem_tEENKUlT_SJ_SK_SL_E_clISE_PiSF_SF_EESI_SY_SJ_SK_SL_EUlSY_E1_NS1_11comp_targetILNS1_3genE4ELNS1_11target_archE910ELNS1_3gpuE8ELNS1_3repE0EEENS1_36merge_oddeven_config_static_selectorELNS0_4arch9wavefront6targetE0EEEvSK_.private_seg_size, 0
	.set _ZN7rocprim17ROCPRIM_400000_NS6detail17trampoline_kernelINS0_14default_configENS1_38merge_sort_block_merge_config_selectorIiNS0_10empty_typeEEEZZNS1_27merge_sort_block_merge_implIS3_N6thrust23THRUST_200600_302600_NS6detail15normal_iteratorINS9_10device_ptrIiEEEEPS5_m9comp_mod3IiEEE10hipError_tT0_T1_T2_jT3_P12ihipStream_tbPNSt15iterator_traitsISJ_E10value_typeEPNSP_ISK_E10value_typeEPSL_NS1_7vsmem_tEENKUlT_SJ_SK_SL_E_clISE_PiSF_SF_EESI_SY_SJ_SK_SL_EUlSY_E1_NS1_11comp_targetILNS1_3genE4ELNS1_11target_archE910ELNS1_3gpuE8ELNS1_3repE0EEENS1_36merge_oddeven_config_static_selectorELNS0_4arch9wavefront6targetE0EEEvSK_.uses_vcc, 0
	.set _ZN7rocprim17ROCPRIM_400000_NS6detail17trampoline_kernelINS0_14default_configENS1_38merge_sort_block_merge_config_selectorIiNS0_10empty_typeEEEZZNS1_27merge_sort_block_merge_implIS3_N6thrust23THRUST_200600_302600_NS6detail15normal_iteratorINS9_10device_ptrIiEEEEPS5_m9comp_mod3IiEEE10hipError_tT0_T1_T2_jT3_P12ihipStream_tbPNSt15iterator_traitsISJ_E10value_typeEPNSP_ISK_E10value_typeEPSL_NS1_7vsmem_tEENKUlT_SJ_SK_SL_E_clISE_PiSF_SF_EESI_SY_SJ_SK_SL_EUlSY_E1_NS1_11comp_targetILNS1_3genE4ELNS1_11target_archE910ELNS1_3gpuE8ELNS1_3repE0EEENS1_36merge_oddeven_config_static_selectorELNS0_4arch9wavefront6targetE0EEEvSK_.uses_flat_scratch, 0
	.set _ZN7rocprim17ROCPRIM_400000_NS6detail17trampoline_kernelINS0_14default_configENS1_38merge_sort_block_merge_config_selectorIiNS0_10empty_typeEEEZZNS1_27merge_sort_block_merge_implIS3_N6thrust23THRUST_200600_302600_NS6detail15normal_iteratorINS9_10device_ptrIiEEEEPS5_m9comp_mod3IiEEE10hipError_tT0_T1_T2_jT3_P12ihipStream_tbPNSt15iterator_traitsISJ_E10value_typeEPNSP_ISK_E10value_typeEPSL_NS1_7vsmem_tEENKUlT_SJ_SK_SL_E_clISE_PiSF_SF_EESI_SY_SJ_SK_SL_EUlSY_E1_NS1_11comp_targetILNS1_3genE4ELNS1_11target_archE910ELNS1_3gpuE8ELNS1_3repE0EEENS1_36merge_oddeven_config_static_selectorELNS0_4arch9wavefront6targetE0EEEvSK_.has_dyn_sized_stack, 0
	.set _ZN7rocprim17ROCPRIM_400000_NS6detail17trampoline_kernelINS0_14default_configENS1_38merge_sort_block_merge_config_selectorIiNS0_10empty_typeEEEZZNS1_27merge_sort_block_merge_implIS3_N6thrust23THRUST_200600_302600_NS6detail15normal_iteratorINS9_10device_ptrIiEEEEPS5_m9comp_mod3IiEEE10hipError_tT0_T1_T2_jT3_P12ihipStream_tbPNSt15iterator_traitsISJ_E10value_typeEPNSP_ISK_E10value_typeEPSL_NS1_7vsmem_tEENKUlT_SJ_SK_SL_E_clISE_PiSF_SF_EESI_SY_SJ_SK_SL_EUlSY_E1_NS1_11comp_targetILNS1_3genE4ELNS1_11target_archE910ELNS1_3gpuE8ELNS1_3repE0EEENS1_36merge_oddeven_config_static_selectorELNS0_4arch9wavefront6targetE0EEEvSK_.has_recursion, 0
	.set _ZN7rocprim17ROCPRIM_400000_NS6detail17trampoline_kernelINS0_14default_configENS1_38merge_sort_block_merge_config_selectorIiNS0_10empty_typeEEEZZNS1_27merge_sort_block_merge_implIS3_N6thrust23THRUST_200600_302600_NS6detail15normal_iteratorINS9_10device_ptrIiEEEEPS5_m9comp_mod3IiEEE10hipError_tT0_T1_T2_jT3_P12ihipStream_tbPNSt15iterator_traitsISJ_E10value_typeEPNSP_ISK_E10value_typeEPSL_NS1_7vsmem_tEENKUlT_SJ_SK_SL_E_clISE_PiSF_SF_EESI_SY_SJ_SK_SL_EUlSY_E1_NS1_11comp_targetILNS1_3genE4ELNS1_11target_archE910ELNS1_3gpuE8ELNS1_3repE0EEENS1_36merge_oddeven_config_static_selectorELNS0_4arch9wavefront6targetE0EEEvSK_.has_indirect_call, 0
	.section	.AMDGPU.csdata,"",@progbits
; Kernel info:
; codeLenInByte = 0
; TotalNumSgprs: 0
; NumVgprs: 0
; ScratchSize: 0
; MemoryBound: 0
; FloatMode: 240
; IeeeMode: 1
; LDSByteSize: 0 bytes/workgroup (compile time only)
; SGPRBlocks: 0
; VGPRBlocks: 0
; NumSGPRsForWavesPerEU: 1
; NumVGPRsForWavesPerEU: 1
; Occupancy: 16
; WaveLimiterHint : 0
; COMPUTE_PGM_RSRC2:SCRATCH_EN: 0
; COMPUTE_PGM_RSRC2:USER_SGPR: 6
; COMPUTE_PGM_RSRC2:TRAP_HANDLER: 0
; COMPUTE_PGM_RSRC2:TGID_X_EN: 1
; COMPUTE_PGM_RSRC2:TGID_Y_EN: 0
; COMPUTE_PGM_RSRC2:TGID_Z_EN: 0
; COMPUTE_PGM_RSRC2:TIDIG_COMP_CNT: 0
	.section	.text._ZN7rocprim17ROCPRIM_400000_NS6detail17trampoline_kernelINS0_14default_configENS1_38merge_sort_block_merge_config_selectorIiNS0_10empty_typeEEEZZNS1_27merge_sort_block_merge_implIS3_N6thrust23THRUST_200600_302600_NS6detail15normal_iteratorINS9_10device_ptrIiEEEEPS5_m9comp_mod3IiEEE10hipError_tT0_T1_T2_jT3_P12ihipStream_tbPNSt15iterator_traitsISJ_E10value_typeEPNSP_ISK_E10value_typeEPSL_NS1_7vsmem_tEENKUlT_SJ_SK_SL_E_clISE_PiSF_SF_EESI_SY_SJ_SK_SL_EUlSY_E1_NS1_11comp_targetILNS1_3genE3ELNS1_11target_archE908ELNS1_3gpuE7ELNS1_3repE0EEENS1_36merge_oddeven_config_static_selectorELNS0_4arch9wavefront6targetE0EEEvSK_,"axG",@progbits,_ZN7rocprim17ROCPRIM_400000_NS6detail17trampoline_kernelINS0_14default_configENS1_38merge_sort_block_merge_config_selectorIiNS0_10empty_typeEEEZZNS1_27merge_sort_block_merge_implIS3_N6thrust23THRUST_200600_302600_NS6detail15normal_iteratorINS9_10device_ptrIiEEEEPS5_m9comp_mod3IiEEE10hipError_tT0_T1_T2_jT3_P12ihipStream_tbPNSt15iterator_traitsISJ_E10value_typeEPNSP_ISK_E10value_typeEPSL_NS1_7vsmem_tEENKUlT_SJ_SK_SL_E_clISE_PiSF_SF_EESI_SY_SJ_SK_SL_EUlSY_E1_NS1_11comp_targetILNS1_3genE3ELNS1_11target_archE908ELNS1_3gpuE7ELNS1_3repE0EEENS1_36merge_oddeven_config_static_selectorELNS0_4arch9wavefront6targetE0EEEvSK_,comdat
	.protected	_ZN7rocprim17ROCPRIM_400000_NS6detail17trampoline_kernelINS0_14default_configENS1_38merge_sort_block_merge_config_selectorIiNS0_10empty_typeEEEZZNS1_27merge_sort_block_merge_implIS3_N6thrust23THRUST_200600_302600_NS6detail15normal_iteratorINS9_10device_ptrIiEEEEPS5_m9comp_mod3IiEEE10hipError_tT0_T1_T2_jT3_P12ihipStream_tbPNSt15iterator_traitsISJ_E10value_typeEPNSP_ISK_E10value_typeEPSL_NS1_7vsmem_tEENKUlT_SJ_SK_SL_E_clISE_PiSF_SF_EESI_SY_SJ_SK_SL_EUlSY_E1_NS1_11comp_targetILNS1_3genE3ELNS1_11target_archE908ELNS1_3gpuE7ELNS1_3repE0EEENS1_36merge_oddeven_config_static_selectorELNS0_4arch9wavefront6targetE0EEEvSK_ ; -- Begin function _ZN7rocprim17ROCPRIM_400000_NS6detail17trampoline_kernelINS0_14default_configENS1_38merge_sort_block_merge_config_selectorIiNS0_10empty_typeEEEZZNS1_27merge_sort_block_merge_implIS3_N6thrust23THRUST_200600_302600_NS6detail15normal_iteratorINS9_10device_ptrIiEEEEPS5_m9comp_mod3IiEEE10hipError_tT0_T1_T2_jT3_P12ihipStream_tbPNSt15iterator_traitsISJ_E10value_typeEPNSP_ISK_E10value_typeEPSL_NS1_7vsmem_tEENKUlT_SJ_SK_SL_E_clISE_PiSF_SF_EESI_SY_SJ_SK_SL_EUlSY_E1_NS1_11comp_targetILNS1_3genE3ELNS1_11target_archE908ELNS1_3gpuE7ELNS1_3repE0EEENS1_36merge_oddeven_config_static_selectorELNS0_4arch9wavefront6targetE0EEEvSK_
	.globl	_ZN7rocprim17ROCPRIM_400000_NS6detail17trampoline_kernelINS0_14default_configENS1_38merge_sort_block_merge_config_selectorIiNS0_10empty_typeEEEZZNS1_27merge_sort_block_merge_implIS3_N6thrust23THRUST_200600_302600_NS6detail15normal_iteratorINS9_10device_ptrIiEEEEPS5_m9comp_mod3IiEEE10hipError_tT0_T1_T2_jT3_P12ihipStream_tbPNSt15iterator_traitsISJ_E10value_typeEPNSP_ISK_E10value_typeEPSL_NS1_7vsmem_tEENKUlT_SJ_SK_SL_E_clISE_PiSF_SF_EESI_SY_SJ_SK_SL_EUlSY_E1_NS1_11comp_targetILNS1_3genE3ELNS1_11target_archE908ELNS1_3gpuE7ELNS1_3repE0EEENS1_36merge_oddeven_config_static_selectorELNS0_4arch9wavefront6targetE0EEEvSK_
	.p2align	8
	.type	_ZN7rocprim17ROCPRIM_400000_NS6detail17trampoline_kernelINS0_14default_configENS1_38merge_sort_block_merge_config_selectorIiNS0_10empty_typeEEEZZNS1_27merge_sort_block_merge_implIS3_N6thrust23THRUST_200600_302600_NS6detail15normal_iteratorINS9_10device_ptrIiEEEEPS5_m9comp_mod3IiEEE10hipError_tT0_T1_T2_jT3_P12ihipStream_tbPNSt15iterator_traitsISJ_E10value_typeEPNSP_ISK_E10value_typeEPSL_NS1_7vsmem_tEENKUlT_SJ_SK_SL_E_clISE_PiSF_SF_EESI_SY_SJ_SK_SL_EUlSY_E1_NS1_11comp_targetILNS1_3genE3ELNS1_11target_archE908ELNS1_3gpuE7ELNS1_3repE0EEENS1_36merge_oddeven_config_static_selectorELNS0_4arch9wavefront6targetE0EEEvSK_,@function
_ZN7rocprim17ROCPRIM_400000_NS6detail17trampoline_kernelINS0_14default_configENS1_38merge_sort_block_merge_config_selectorIiNS0_10empty_typeEEEZZNS1_27merge_sort_block_merge_implIS3_N6thrust23THRUST_200600_302600_NS6detail15normal_iteratorINS9_10device_ptrIiEEEEPS5_m9comp_mod3IiEEE10hipError_tT0_T1_T2_jT3_P12ihipStream_tbPNSt15iterator_traitsISJ_E10value_typeEPNSP_ISK_E10value_typeEPSL_NS1_7vsmem_tEENKUlT_SJ_SK_SL_E_clISE_PiSF_SF_EESI_SY_SJ_SK_SL_EUlSY_E1_NS1_11comp_targetILNS1_3genE3ELNS1_11target_archE908ELNS1_3gpuE7ELNS1_3repE0EEENS1_36merge_oddeven_config_static_selectorELNS0_4arch9wavefront6targetE0EEEvSK_: ; @_ZN7rocprim17ROCPRIM_400000_NS6detail17trampoline_kernelINS0_14default_configENS1_38merge_sort_block_merge_config_selectorIiNS0_10empty_typeEEEZZNS1_27merge_sort_block_merge_implIS3_N6thrust23THRUST_200600_302600_NS6detail15normal_iteratorINS9_10device_ptrIiEEEEPS5_m9comp_mod3IiEEE10hipError_tT0_T1_T2_jT3_P12ihipStream_tbPNSt15iterator_traitsISJ_E10value_typeEPNSP_ISK_E10value_typeEPSL_NS1_7vsmem_tEENKUlT_SJ_SK_SL_E_clISE_PiSF_SF_EESI_SY_SJ_SK_SL_EUlSY_E1_NS1_11comp_targetILNS1_3genE3ELNS1_11target_archE908ELNS1_3gpuE7ELNS1_3repE0EEENS1_36merge_oddeven_config_static_selectorELNS0_4arch9wavefront6targetE0EEEvSK_
; %bb.0:
	.section	.rodata,"a",@progbits
	.p2align	6, 0x0
	.amdhsa_kernel _ZN7rocprim17ROCPRIM_400000_NS6detail17trampoline_kernelINS0_14default_configENS1_38merge_sort_block_merge_config_selectorIiNS0_10empty_typeEEEZZNS1_27merge_sort_block_merge_implIS3_N6thrust23THRUST_200600_302600_NS6detail15normal_iteratorINS9_10device_ptrIiEEEEPS5_m9comp_mod3IiEEE10hipError_tT0_T1_T2_jT3_P12ihipStream_tbPNSt15iterator_traitsISJ_E10value_typeEPNSP_ISK_E10value_typeEPSL_NS1_7vsmem_tEENKUlT_SJ_SK_SL_E_clISE_PiSF_SF_EESI_SY_SJ_SK_SL_EUlSY_E1_NS1_11comp_targetILNS1_3genE3ELNS1_11target_archE908ELNS1_3gpuE7ELNS1_3repE0EEENS1_36merge_oddeven_config_static_selectorELNS0_4arch9wavefront6targetE0EEEvSK_
		.amdhsa_group_segment_fixed_size 0
		.amdhsa_private_segment_fixed_size 0
		.amdhsa_kernarg_size 56
		.amdhsa_user_sgpr_count 6
		.amdhsa_user_sgpr_private_segment_buffer 1
		.amdhsa_user_sgpr_dispatch_ptr 0
		.amdhsa_user_sgpr_queue_ptr 0
		.amdhsa_user_sgpr_kernarg_segment_ptr 1
		.amdhsa_user_sgpr_dispatch_id 0
		.amdhsa_user_sgpr_flat_scratch_init 0
		.amdhsa_user_sgpr_private_segment_size 0
		.amdhsa_wavefront_size32 1
		.amdhsa_uses_dynamic_stack 0
		.amdhsa_system_sgpr_private_segment_wavefront_offset 0
		.amdhsa_system_sgpr_workgroup_id_x 1
		.amdhsa_system_sgpr_workgroup_id_y 0
		.amdhsa_system_sgpr_workgroup_id_z 0
		.amdhsa_system_sgpr_workgroup_info 0
		.amdhsa_system_vgpr_workitem_id 0
		.amdhsa_next_free_vgpr 1
		.amdhsa_next_free_sgpr 1
		.amdhsa_reserve_vcc 0
		.amdhsa_reserve_flat_scratch 0
		.amdhsa_float_round_mode_32 0
		.amdhsa_float_round_mode_16_64 0
		.amdhsa_float_denorm_mode_32 3
		.amdhsa_float_denorm_mode_16_64 3
		.amdhsa_dx10_clamp 1
		.amdhsa_ieee_mode 1
		.amdhsa_fp16_overflow 0
		.amdhsa_workgroup_processor_mode 1
		.amdhsa_memory_ordered 1
		.amdhsa_forward_progress 1
		.amdhsa_shared_vgpr_count 0
		.amdhsa_exception_fp_ieee_invalid_op 0
		.amdhsa_exception_fp_denorm_src 0
		.amdhsa_exception_fp_ieee_div_zero 0
		.amdhsa_exception_fp_ieee_overflow 0
		.amdhsa_exception_fp_ieee_underflow 0
		.amdhsa_exception_fp_ieee_inexact 0
		.amdhsa_exception_int_div_zero 0
	.end_amdhsa_kernel
	.section	.text._ZN7rocprim17ROCPRIM_400000_NS6detail17trampoline_kernelINS0_14default_configENS1_38merge_sort_block_merge_config_selectorIiNS0_10empty_typeEEEZZNS1_27merge_sort_block_merge_implIS3_N6thrust23THRUST_200600_302600_NS6detail15normal_iteratorINS9_10device_ptrIiEEEEPS5_m9comp_mod3IiEEE10hipError_tT0_T1_T2_jT3_P12ihipStream_tbPNSt15iterator_traitsISJ_E10value_typeEPNSP_ISK_E10value_typeEPSL_NS1_7vsmem_tEENKUlT_SJ_SK_SL_E_clISE_PiSF_SF_EESI_SY_SJ_SK_SL_EUlSY_E1_NS1_11comp_targetILNS1_3genE3ELNS1_11target_archE908ELNS1_3gpuE7ELNS1_3repE0EEENS1_36merge_oddeven_config_static_selectorELNS0_4arch9wavefront6targetE0EEEvSK_,"axG",@progbits,_ZN7rocprim17ROCPRIM_400000_NS6detail17trampoline_kernelINS0_14default_configENS1_38merge_sort_block_merge_config_selectorIiNS0_10empty_typeEEEZZNS1_27merge_sort_block_merge_implIS3_N6thrust23THRUST_200600_302600_NS6detail15normal_iteratorINS9_10device_ptrIiEEEEPS5_m9comp_mod3IiEEE10hipError_tT0_T1_T2_jT3_P12ihipStream_tbPNSt15iterator_traitsISJ_E10value_typeEPNSP_ISK_E10value_typeEPSL_NS1_7vsmem_tEENKUlT_SJ_SK_SL_E_clISE_PiSF_SF_EESI_SY_SJ_SK_SL_EUlSY_E1_NS1_11comp_targetILNS1_3genE3ELNS1_11target_archE908ELNS1_3gpuE7ELNS1_3repE0EEENS1_36merge_oddeven_config_static_selectorELNS0_4arch9wavefront6targetE0EEEvSK_,comdat
.Lfunc_end1032:
	.size	_ZN7rocprim17ROCPRIM_400000_NS6detail17trampoline_kernelINS0_14default_configENS1_38merge_sort_block_merge_config_selectorIiNS0_10empty_typeEEEZZNS1_27merge_sort_block_merge_implIS3_N6thrust23THRUST_200600_302600_NS6detail15normal_iteratorINS9_10device_ptrIiEEEEPS5_m9comp_mod3IiEEE10hipError_tT0_T1_T2_jT3_P12ihipStream_tbPNSt15iterator_traitsISJ_E10value_typeEPNSP_ISK_E10value_typeEPSL_NS1_7vsmem_tEENKUlT_SJ_SK_SL_E_clISE_PiSF_SF_EESI_SY_SJ_SK_SL_EUlSY_E1_NS1_11comp_targetILNS1_3genE3ELNS1_11target_archE908ELNS1_3gpuE7ELNS1_3repE0EEENS1_36merge_oddeven_config_static_selectorELNS0_4arch9wavefront6targetE0EEEvSK_, .Lfunc_end1032-_ZN7rocprim17ROCPRIM_400000_NS6detail17trampoline_kernelINS0_14default_configENS1_38merge_sort_block_merge_config_selectorIiNS0_10empty_typeEEEZZNS1_27merge_sort_block_merge_implIS3_N6thrust23THRUST_200600_302600_NS6detail15normal_iteratorINS9_10device_ptrIiEEEEPS5_m9comp_mod3IiEEE10hipError_tT0_T1_T2_jT3_P12ihipStream_tbPNSt15iterator_traitsISJ_E10value_typeEPNSP_ISK_E10value_typeEPSL_NS1_7vsmem_tEENKUlT_SJ_SK_SL_E_clISE_PiSF_SF_EESI_SY_SJ_SK_SL_EUlSY_E1_NS1_11comp_targetILNS1_3genE3ELNS1_11target_archE908ELNS1_3gpuE7ELNS1_3repE0EEENS1_36merge_oddeven_config_static_selectorELNS0_4arch9wavefront6targetE0EEEvSK_
                                        ; -- End function
	.set _ZN7rocprim17ROCPRIM_400000_NS6detail17trampoline_kernelINS0_14default_configENS1_38merge_sort_block_merge_config_selectorIiNS0_10empty_typeEEEZZNS1_27merge_sort_block_merge_implIS3_N6thrust23THRUST_200600_302600_NS6detail15normal_iteratorINS9_10device_ptrIiEEEEPS5_m9comp_mod3IiEEE10hipError_tT0_T1_T2_jT3_P12ihipStream_tbPNSt15iterator_traitsISJ_E10value_typeEPNSP_ISK_E10value_typeEPSL_NS1_7vsmem_tEENKUlT_SJ_SK_SL_E_clISE_PiSF_SF_EESI_SY_SJ_SK_SL_EUlSY_E1_NS1_11comp_targetILNS1_3genE3ELNS1_11target_archE908ELNS1_3gpuE7ELNS1_3repE0EEENS1_36merge_oddeven_config_static_selectorELNS0_4arch9wavefront6targetE0EEEvSK_.num_vgpr, 0
	.set _ZN7rocprim17ROCPRIM_400000_NS6detail17trampoline_kernelINS0_14default_configENS1_38merge_sort_block_merge_config_selectorIiNS0_10empty_typeEEEZZNS1_27merge_sort_block_merge_implIS3_N6thrust23THRUST_200600_302600_NS6detail15normal_iteratorINS9_10device_ptrIiEEEEPS5_m9comp_mod3IiEEE10hipError_tT0_T1_T2_jT3_P12ihipStream_tbPNSt15iterator_traitsISJ_E10value_typeEPNSP_ISK_E10value_typeEPSL_NS1_7vsmem_tEENKUlT_SJ_SK_SL_E_clISE_PiSF_SF_EESI_SY_SJ_SK_SL_EUlSY_E1_NS1_11comp_targetILNS1_3genE3ELNS1_11target_archE908ELNS1_3gpuE7ELNS1_3repE0EEENS1_36merge_oddeven_config_static_selectorELNS0_4arch9wavefront6targetE0EEEvSK_.num_agpr, 0
	.set _ZN7rocprim17ROCPRIM_400000_NS6detail17trampoline_kernelINS0_14default_configENS1_38merge_sort_block_merge_config_selectorIiNS0_10empty_typeEEEZZNS1_27merge_sort_block_merge_implIS3_N6thrust23THRUST_200600_302600_NS6detail15normal_iteratorINS9_10device_ptrIiEEEEPS5_m9comp_mod3IiEEE10hipError_tT0_T1_T2_jT3_P12ihipStream_tbPNSt15iterator_traitsISJ_E10value_typeEPNSP_ISK_E10value_typeEPSL_NS1_7vsmem_tEENKUlT_SJ_SK_SL_E_clISE_PiSF_SF_EESI_SY_SJ_SK_SL_EUlSY_E1_NS1_11comp_targetILNS1_3genE3ELNS1_11target_archE908ELNS1_3gpuE7ELNS1_3repE0EEENS1_36merge_oddeven_config_static_selectorELNS0_4arch9wavefront6targetE0EEEvSK_.numbered_sgpr, 0
	.set _ZN7rocprim17ROCPRIM_400000_NS6detail17trampoline_kernelINS0_14default_configENS1_38merge_sort_block_merge_config_selectorIiNS0_10empty_typeEEEZZNS1_27merge_sort_block_merge_implIS3_N6thrust23THRUST_200600_302600_NS6detail15normal_iteratorINS9_10device_ptrIiEEEEPS5_m9comp_mod3IiEEE10hipError_tT0_T1_T2_jT3_P12ihipStream_tbPNSt15iterator_traitsISJ_E10value_typeEPNSP_ISK_E10value_typeEPSL_NS1_7vsmem_tEENKUlT_SJ_SK_SL_E_clISE_PiSF_SF_EESI_SY_SJ_SK_SL_EUlSY_E1_NS1_11comp_targetILNS1_3genE3ELNS1_11target_archE908ELNS1_3gpuE7ELNS1_3repE0EEENS1_36merge_oddeven_config_static_selectorELNS0_4arch9wavefront6targetE0EEEvSK_.num_named_barrier, 0
	.set _ZN7rocprim17ROCPRIM_400000_NS6detail17trampoline_kernelINS0_14default_configENS1_38merge_sort_block_merge_config_selectorIiNS0_10empty_typeEEEZZNS1_27merge_sort_block_merge_implIS3_N6thrust23THRUST_200600_302600_NS6detail15normal_iteratorINS9_10device_ptrIiEEEEPS5_m9comp_mod3IiEEE10hipError_tT0_T1_T2_jT3_P12ihipStream_tbPNSt15iterator_traitsISJ_E10value_typeEPNSP_ISK_E10value_typeEPSL_NS1_7vsmem_tEENKUlT_SJ_SK_SL_E_clISE_PiSF_SF_EESI_SY_SJ_SK_SL_EUlSY_E1_NS1_11comp_targetILNS1_3genE3ELNS1_11target_archE908ELNS1_3gpuE7ELNS1_3repE0EEENS1_36merge_oddeven_config_static_selectorELNS0_4arch9wavefront6targetE0EEEvSK_.private_seg_size, 0
	.set _ZN7rocprim17ROCPRIM_400000_NS6detail17trampoline_kernelINS0_14default_configENS1_38merge_sort_block_merge_config_selectorIiNS0_10empty_typeEEEZZNS1_27merge_sort_block_merge_implIS3_N6thrust23THRUST_200600_302600_NS6detail15normal_iteratorINS9_10device_ptrIiEEEEPS5_m9comp_mod3IiEEE10hipError_tT0_T1_T2_jT3_P12ihipStream_tbPNSt15iterator_traitsISJ_E10value_typeEPNSP_ISK_E10value_typeEPSL_NS1_7vsmem_tEENKUlT_SJ_SK_SL_E_clISE_PiSF_SF_EESI_SY_SJ_SK_SL_EUlSY_E1_NS1_11comp_targetILNS1_3genE3ELNS1_11target_archE908ELNS1_3gpuE7ELNS1_3repE0EEENS1_36merge_oddeven_config_static_selectorELNS0_4arch9wavefront6targetE0EEEvSK_.uses_vcc, 0
	.set _ZN7rocprim17ROCPRIM_400000_NS6detail17trampoline_kernelINS0_14default_configENS1_38merge_sort_block_merge_config_selectorIiNS0_10empty_typeEEEZZNS1_27merge_sort_block_merge_implIS3_N6thrust23THRUST_200600_302600_NS6detail15normal_iteratorINS9_10device_ptrIiEEEEPS5_m9comp_mod3IiEEE10hipError_tT0_T1_T2_jT3_P12ihipStream_tbPNSt15iterator_traitsISJ_E10value_typeEPNSP_ISK_E10value_typeEPSL_NS1_7vsmem_tEENKUlT_SJ_SK_SL_E_clISE_PiSF_SF_EESI_SY_SJ_SK_SL_EUlSY_E1_NS1_11comp_targetILNS1_3genE3ELNS1_11target_archE908ELNS1_3gpuE7ELNS1_3repE0EEENS1_36merge_oddeven_config_static_selectorELNS0_4arch9wavefront6targetE0EEEvSK_.uses_flat_scratch, 0
	.set _ZN7rocprim17ROCPRIM_400000_NS6detail17trampoline_kernelINS0_14default_configENS1_38merge_sort_block_merge_config_selectorIiNS0_10empty_typeEEEZZNS1_27merge_sort_block_merge_implIS3_N6thrust23THRUST_200600_302600_NS6detail15normal_iteratorINS9_10device_ptrIiEEEEPS5_m9comp_mod3IiEEE10hipError_tT0_T1_T2_jT3_P12ihipStream_tbPNSt15iterator_traitsISJ_E10value_typeEPNSP_ISK_E10value_typeEPSL_NS1_7vsmem_tEENKUlT_SJ_SK_SL_E_clISE_PiSF_SF_EESI_SY_SJ_SK_SL_EUlSY_E1_NS1_11comp_targetILNS1_3genE3ELNS1_11target_archE908ELNS1_3gpuE7ELNS1_3repE0EEENS1_36merge_oddeven_config_static_selectorELNS0_4arch9wavefront6targetE0EEEvSK_.has_dyn_sized_stack, 0
	.set _ZN7rocprim17ROCPRIM_400000_NS6detail17trampoline_kernelINS0_14default_configENS1_38merge_sort_block_merge_config_selectorIiNS0_10empty_typeEEEZZNS1_27merge_sort_block_merge_implIS3_N6thrust23THRUST_200600_302600_NS6detail15normal_iteratorINS9_10device_ptrIiEEEEPS5_m9comp_mod3IiEEE10hipError_tT0_T1_T2_jT3_P12ihipStream_tbPNSt15iterator_traitsISJ_E10value_typeEPNSP_ISK_E10value_typeEPSL_NS1_7vsmem_tEENKUlT_SJ_SK_SL_E_clISE_PiSF_SF_EESI_SY_SJ_SK_SL_EUlSY_E1_NS1_11comp_targetILNS1_3genE3ELNS1_11target_archE908ELNS1_3gpuE7ELNS1_3repE0EEENS1_36merge_oddeven_config_static_selectorELNS0_4arch9wavefront6targetE0EEEvSK_.has_recursion, 0
	.set _ZN7rocprim17ROCPRIM_400000_NS6detail17trampoline_kernelINS0_14default_configENS1_38merge_sort_block_merge_config_selectorIiNS0_10empty_typeEEEZZNS1_27merge_sort_block_merge_implIS3_N6thrust23THRUST_200600_302600_NS6detail15normal_iteratorINS9_10device_ptrIiEEEEPS5_m9comp_mod3IiEEE10hipError_tT0_T1_T2_jT3_P12ihipStream_tbPNSt15iterator_traitsISJ_E10value_typeEPNSP_ISK_E10value_typeEPSL_NS1_7vsmem_tEENKUlT_SJ_SK_SL_E_clISE_PiSF_SF_EESI_SY_SJ_SK_SL_EUlSY_E1_NS1_11comp_targetILNS1_3genE3ELNS1_11target_archE908ELNS1_3gpuE7ELNS1_3repE0EEENS1_36merge_oddeven_config_static_selectorELNS0_4arch9wavefront6targetE0EEEvSK_.has_indirect_call, 0
	.section	.AMDGPU.csdata,"",@progbits
; Kernel info:
; codeLenInByte = 0
; TotalNumSgprs: 0
; NumVgprs: 0
; ScratchSize: 0
; MemoryBound: 0
; FloatMode: 240
; IeeeMode: 1
; LDSByteSize: 0 bytes/workgroup (compile time only)
; SGPRBlocks: 0
; VGPRBlocks: 0
; NumSGPRsForWavesPerEU: 1
; NumVGPRsForWavesPerEU: 1
; Occupancy: 16
; WaveLimiterHint : 0
; COMPUTE_PGM_RSRC2:SCRATCH_EN: 0
; COMPUTE_PGM_RSRC2:USER_SGPR: 6
; COMPUTE_PGM_RSRC2:TRAP_HANDLER: 0
; COMPUTE_PGM_RSRC2:TGID_X_EN: 1
; COMPUTE_PGM_RSRC2:TGID_Y_EN: 0
; COMPUTE_PGM_RSRC2:TGID_Z_EN: 0
; COMPUTE_PGM_RSRC2:TIDIG_COMP_CNT: 0
	.section	.text._ZN7rocprim17ROCPRIM_400000_NS6detail17trampoline_kernelINS0_14default_configENS1_38merge_sort_block_merge_config_selectorIiNS0_10empty_typeEEEZZNS1_27merge_sort_block_merge_implIS3_N6thrust23THRUST_200600_302600_NS6detail15normal_iteratorINS9_10device_ptrIiEEEEPS5_m9comp_mod3IiEEE10hipError_tT0_T1_T2_jT3_P12ihipStream_tbPNSt15iterator_traitsISJ_E10value_typeEPNSP_ISK_E10value_typeEPSL_NS1_7vsmem_tEENKUlT_SJ_SK_SL_E_clISE_PiSF_SF_EESI_SY_SJ_SK_SL_EUlSY_E1_NS1_11comp_targetILNS1_3genE2ELNS1_11target_archE906ELNS1_3gpuE6ELNS1_3repE0EEENS1_36merge_oddeven_config_static_selectorELNS0_4arch9wavefront6targetE0EEEvSK_,"axG",@progbits,_ZN7rocprim17ROCPRIM_400000_NS6detail17trampoline_kernelINS0_14default_configENS1_38merge_sort_block_merge_config_selectorIiNS0_10empty_typeEEEZZNS1_27merge_sort_block_merge_implIS3_N6thrust23THRUST_200600_302600_NS6detail15normal_iteratorINS9_10device_ptrIiEEEEPS5_m9comp_mod3IiEEE10hipError_tT0_T1_T2_jT3_P12ihipStream_tbPNSt15iterator_traitsISJ_E10value_typeEPNSP_ISK_E10value_typeEPSL_NS1_7vsmem_tEENKUlT_SJ_SK_SL_E_clISE_PiSF_SF_EESI_SY_SJ_SK_SL_EUlSY_E1_NS1_11comp_targetILNS1_3genE2ELNS1_11target_archE906ELNS1_3gpuE6ELNS1_3repE0EEENS1_36merge_oddeven_config_static_selectorELNS0_4arch9wavefront6targetE0EEEvSK_,comdat
	.protected	_ZN7rocprim17ROCPRIM_400000_NS6detail17trampoline_kernelINS0_14default_configENS1_38merge_sort_block_merge_config_selectorIiNS0_10empty_typeEEEZZNS1_27merge_sort_block_merge_implIS3_N6thrust23THRUST_200600_302600_NS6detail15normal_iteratorINS9_10device_ptrIiEEEEPS5_m9comp_mod3IiEEE10hipError_tT0_T1_T2_jT3_P12ihipStream_tbPNSt15iterator_traitsISJ_E10value_typeEPNSP_ISK_E10value_typeEPSL_NS1_7vsmem_tEENKUlT_SJ_SK_SL_E_clISE_PiSF_SF_EESI_SY_SJ_SK_SL_EUlSY_E1_NS1_11comp_targetILNS1_3genE2ELNS1_11target_archE906ELNS1_3gpuE6ELNS1_3repE0EEENS1_36merge_oddeven_config_static_selectorELNS0_4arch9wavefront6targetE0EEEvSK_ ; -- Begin function _ZN7rocprim17ROCPRIM_400000_NS6detail17trampoline_kernelINS0_14default_configENS1_38merge_sort_block_merge_config_selectorIiNS0_10empty_typeEEEZZNS1_27merge_sort_block_merge_implIS3_N6thrust23THRUST_200600_302600_NS6detail15normal_iteratorINS9_10device_ptrIiEEEEPS5_m9comp_mod3IiEEE10hipError_tT0_T1_T2_jT3_P12ihipStream_tbPNSt15iterator_traitsISJ_E10value_typeEPNSP_ISK_E10value_typeEPSL_NS1_7vsmem_tEENKUlT_SJ_SK_SL_E_clISE_PiSF_SF_EESI_SY_SJ_SK_SL_EUlSY_E1_NS1_11comp_targetILNS1_3genE2ELNS1_11target_archE906ELNS1_3gpuE6ELNS1_3repE0EEENS1_36merge_oddeven_config_static_selectorELNS0_4arch9wavefront6targetE0EEEvSK_
	.globl	_ZN7rocprim17ROCPRIM_400000_NS6detail17trampoline_kernelINS0_14default_configENS1_38merge_sort_block_merge_config_selectorIiNS0_10empty_typeEEEZZNS1_27merge_sort_block_merge_implIS3_N6thrust23THRUST_200600_302600_NS6detail15normal_iteratorINS9_10device_ptrIiEEEEPS5_m9comp_mod3IiEEE10hipError_tT0_T1_T2_jT3_P12ihipStream_tbPNSt15iterator_traitsISJ_E10value_typeEPNSP_ISK_E10value_typeEPSL_NS1_7vsmem_tEENKUlT_SJ_SK_SL_E_clISE_PiSF_SF_EESI_SY_SJ_SK_SL_EUlSY_E1_NS1_11comp_targetILNS1_3genE2ELNS1_11target_archE906ELNS1_3gpuE6ELNS1_3repE0EEENS1_36merge_oddeven_config_static_selectorELNS0_4arch9wavefront6targetE0EEEvSK_
	.p2align	8
	.type	_ZN7rocprim17ROCPRIM_400000_NS6detail17trampoline_kernelINS0_14default_configENS1_38merge_sort_block_merge_config_selectorIiNS0_10empty_typeEEEZZNS1_27merge_sort_block_merge_implIS3_N6thrust23THRUST_200600_302600_NS6detail15normal_iteratorINS9_10device_ptrIiEEEEPS5_m9comp_mod3IiEEE10hipError_tT0_T1_T2_jT3_P12ihipStream_tbPNSt15iterator_traitsISJ_E10value_typeEPNSP_ISK_E10value_typeEPSL_NS1_7vsmem_tEENKUlT_SJ_SK_SL_E_clISE_PiSF_SF_EESI_SY_SJ_SK_SL_EUlSY_E1_NS1_11comp_targetILNS1_3genE2ELNS1_11target_archE906ELNS1_3gpuE6ELNS1_3repE0EEENS1_36merge_oddeven_config_static_selectorELNS0_4arch9wavefront6targetE0EEEvSK_,@function
_ZN7rocprim17ROCPRIM_400000_NS6detail17trampoline_kernelINS0_14default_configENS1_38merge_sort_block_merge_config_selectorIiNS0_10empty_typeEEEZZNS1_27merge_sort_block_merge_implIS3_N6thrust23THRUST_200600_302600_NS6detail15normal_iteratorINS9_10device_ptrIiEEEEPS5_m9comp_mod3IiEEE10hipError_tT0_T1_T2_jT3_P12ihipStream_tbPNSt15iterator_traitsISJ_E10value_typeEPNSP_ISK_E10value_typeEPSL_NS1_7vsmem_tEENKUlT_SJ_SK_SL_E_clISE_PiSF_SF_EESI_SY_SJ_SK_SL_EUlSY_E1_NS1_11comp_targetILNS1_3genE2ELNS1_11target_archE906ELNS1_3gpuE6ELNS1_3repE0EEENS1_36merge_oddeven_config_static_selectorELNS0_4arch9wavefront6targetE0EEEvSK_: ; @_ZN7rocprim17ROCPRIM_400000_NS6detail17trampoline_kernelINS0_14default_configENS1_38merge_sort_block_merge_config_selectorIiNS0_10empty_typeEEEZZNS1_27merge_sort_block_merge_implIS3_N6thrust23THRUST_200600_302600_NS6detail15normal_iteratorINS9_10device_ptrIiEEEEPS5_m9comp_mod3IiEEE10hipError_tT0_T1_T2_jT3_P12ihipStream_tbPNSt15iterator_traitsISJ_E10value_typeEPNSP_ISK_E10value_typeEPSL_NS1_7vsmem_tEENKUlT_SJ_SK_SL_E_clISE_PiSF_SF_EESI_SY_SJ_SK_SL_EUlSY_E1_NS1_11comp_targetILNS1_3genE2ELNS1_11target_archE906ELNS1_3gpuE6ELNS1_3repE0EEENS1_36merge_oddeven_config_static_selectorELNS0_4arch9wavefront6targetE0EEEvSK_
; %bb.0:
	.section	.rodata,"a",@progbits
	.p2align	6, 0x0
	.amdhsa_kernel _ZN7rocprim17ROCPRIM_400000_NS6detail17trampoline_kernelINS0_14default_configENS1_38merge_sort_block_merge_config_selectorIiNS0_10empty_typeEEEZZNS1_27merge_sort_block_merge_implIS3_N6thrust23THRUST_200600_302600_NS6detail15normal_iteratorINS9_10device_ptrIiEEEEPS5_m9comp_mod3IiEEE10hipError_tT0_T1_T2_jT3_P12ihipStream_tbPNSt15iterator_traitsISJ_E10value_typeEPNSP_ISK_E10value_typeEPSL_NS1_7vsmem_tEENKUlT_SJ_SK_SL_E_clISE_PiSF_SF_EESI_SY_SJ_SK_SL_EUlSY_E1_NS1_11comp_targetILNS1_3genE2ELNS1_11target_archE906ELNS1_3gpuE6ELNS1_3repE0EEENS1_36merge_oddeven_config_static_selectorELNS0_4arch9wavefront6targetE0EEEvSK_
		.amdhsa_group_segment_fixed_size 0
		.amdhsa_private_segment_fixed_size 0
		.amdhsa_kernarg_size 56
		.amdhsa_user_sgpr_count 6
		.amdhsa_user_sgpr_private_segment_buffer 1
		.amdhsa_user_sgpr_dispatch_ptr 0
		.amdhsa_user_sgpr_queue_ptr 0
		.amdhsa_user_sgpr_kernarg_segment_ptr 1
		.amdhsa_user_sgpr_dispatch_id 0
		.amdhsa_user_sgpr_flat_scratch_init 0
		.amdhsa_user_sgpr_private_segment_size 0
		.amdhsa_wavefront_size32 1
		.amdhsa_uses_dynamic_stack 0
		.amdhsa_system_sgpr_private_segment_wavefront_offset 0
		.amdhsa_system_sgpr_workgroup_id_x 1
		.amdhsa_system_sgpr_workgroup_id_y 0
		.amdhsa_system_sgpr_workgroup_id_z 0
		.amdhsa_system_sgpr_workgroup_info 0
		.amdhsa_system_vgpr_workitem_id 0
		.amdhsa_next_free_vgpr 1
		.amdhsa_next_free_sgpr 1
		.amdhsa_reserve_vcc 0
		.amdhsa_reserve_flat_scratch 0
		.amdhsa_float_round_mode_32 0
		.amdhsa_float_round_mode_16_64 0
		.amdhsa_float_denorm_mode_32 3
		.amdhsa_float_denorm_mode_16_64 3
		.amdhsa_dx10_clamp 1
		.amdhsa_ieee_mode 1
		.amdhsa_fp16_overflow 0
		.amdhsa_workgroup_processor_mode 1
		.amdhsa_memory_ordered 1
		.amdhsa_forward_progress 1
		.amdhsa_shared_vgpr_count 0
		.amdhsa_exception_fp_ieee_invalid_op 0
		.amdhsa_exception_fp_denorm_src 0
		.amdhsa_exception_fp_ieee_div_zero 0
		.amdhsa_exception_fp_ieee_overflow 0
		.amdhsa_exception_fp_ieee_underflow 0
		.amdhsa_exception_fp_ieee_inexact 0
		.amdhsa_exception_int_div_zero 0
	.end_amdhsa_kernel
	.section	.text._ZN7rocprim17ROCPRIM_400000_NS6detail17trampoline_kernelINS0_14default_configENS1_38merge_sort_block_merge_config_selectorIiNS0_10empty_typeEEEZZNS1_27merge_sort_block_merge_implIS3_N6thrust23THRUST_200600_302600_NS6detail15normal_iteratorINS9_10device_ptrIiEEEEPS5_m9comp_mod3IiEEE10hipError_tT0_T1_T2_jT3_P12ihipStream_tbPNSt15iterator_traitsISJ_E10value_typeEPNSP_ISK_E10value_typeEPSL_NS1_7vsmem_tEENKUlT_SJ_SK_SL_E_clISE_PiSF_SF_EESI_SY_SJ_SK_SL_EUlSY_E1_NS1_11comp_targetILNS1_3genE2ELNS1_11target_archE906ELNS1_3gpuE6ELNS1_3repE0EEENS1_36merge_oddeven_config_static_selectorELNS0_4arch9wavefront6targetE0EEEvSK_,"axG",@progbits,_ZN7rocprim17ROCPRIM_400000_NS6detail17trampoline_kernelINS0_14default_configENS1_38merge_sort_block_merge_config_selectorIiNS0_10empty_typeEEEZZNS1_27merge_sort_block_merge_implIS3_N6thrust23THRUST_200600_302600_NS6detail15normal_iteratorINS9_10device_ptrIiEEEEPS5_m9comp_mod3IiEEE10hipError_tT0_T1_T2_jT3_P12ihipStream_tbPNSt15iterator_traitsISJ_E10value_typeEPNSP_ISK_E10value_typeEPSL_NS1_7vsmem_tEENKUlT_SJ_SK_SL_E_clISE_PiSF_SF_EESI_SY_SJ_SK_SL_EUlSY_E1_NS1_11comp_targetILNS1_3genE2ELNS1_11target_archE906ELNS1_3gpuE6ELNS1_3repE0EEENS1_36merge_oddeven_config_static_selectorELNS0_4arch9wavefront6targetE0EEEvSK_,comdat
.Lfunc_end1033:
	.size	_ZN7rocprim17ROCPRIM_400000_NS6detail17trampoline_kernelINS0_14default_configENS1_38merge_sort_block_merge_config_selectorIiNS0_10empty_typeEEEZZNS1_27merge_sort_block_merge_implIS3_N6thrust23THRUST_200600_302600_NS6detail15normal_iteratorINS9_10device_ptrIiEEEEPS5_m9comp_mod3IiEEE10hipError_tT0_T1_T2_jT3_P12ihipStream_tbPNSt15iterator_traitsISJ_E10value_typeEPNSP_ISK_E10value_typeEPSL_NS1_7vsmem_tEENKUlT_SJ_SK_SL_E_clISE_PiSF_SF_EESI_SY_SJ_SK_SL_EUlSY_E1_NS1_11comp_targetILNS1_3genE2ELNS1_11target_archE906ELNS1_3gpuE6ELNS1_3repE0EEENS1_36merge_oddeven_config_static_selectorELNS0_4arch9wavefront6targetE0EEEvSK_, .Lfunc_end1033-_ZN7rocprim17ROCPRIM_400000_NS6detail17trampoline_kernelINS0_14default_configENS1_38merge_sort_block_merge_config_selectorIiNS0_10empty_typeEEEZZNS1_27merge_sort_block_merge_implIS3_N6thrust23THRUST_200600_302600_NS6detail15normal_iteratorINS9_10device_ptrIiEEEEPS5_m9comp_mod3IiEEE10hipError_tT0_T1_T2_jT3_P12ihipStream_tbPNSt15iterator_traitsISJ_E10value_typeEPNSP_ISK_E10value_typeEPSL_NS1_7vsmem_tEENKUlT_SJ_SK_SL_E_clISE_PiSF_SF_EESI_SY_SJ_SK_SL_EUlSY_E1_NS1_11comp_targetILNS1_3genE2ELNS1_11target_archE906ELNS1_3gpuE6ELNS1_3repE0EEENS1_36merge_oddeven_config_static_selectorELNS0_4arch9wavefront6targetE0EEEvSK_
                                        ; -- End function
	.set _ZN7rocprim17ROCPRIM_400000_NS6detail17trampoline_kernelINS0_14default_configENS1_38merge_sort_block_merge_config_selectorIiNS0_10empty_typeEEEZZNS1_27merge_sort_block_merge_implIS3_N6thrust23THRUST_200600_302600_NS6detail15normal_iteratorINS9_10device_ptrIiEEEEPS5_m9comp_mod3IiEEE10hipError_tT0_T1_T2_jT3_P12ihipStream_tbPNSt15iterator_traitsISJ_E10value_typeEPNSP_ISK_E10value_typeEPSL_NS1_7vsmem_tEENKUlT_SJ_SK_SL_E_clISE_PiSF_SF_EESI_SY_SJ_SK_SL_EUlSY_E1_NS1_11comp_targetILNS1_3genE2ELNS1_11target_archE906ELNS1_3gpuE6ELNS1_3repE0EEENS1_36merge_oddeven_config_static_selectorELNS0_4arch9wavefront6targetE0EEEvSK_.num_vgpr, 0
	.set _ZN7rocprim17ROCPRIM_400000_NS6detail17trampoline_kernelINS0_14default_configENS1_38merge_sort_block_merge_config_selectorIiNS0_10empty_typeEEEZZNS1_27merge_sort_block_merge_implIS3_N6thrust23THRUST_200600_302600_NS6detail15normal_iteratorINS9_10device_ptrIiEEEEPS5_m9comp_mod3IiEEE10hipError_tT0_T1_T2_jT3_P12ihipStream_tbPNSt15iterator_traitsISJ_E10value_typeEPNSP_ISK_E10value_typeEPSL_NS1_7vsmem_tEENKUlT_SJ_SK_SL_E_clISE_PiSF_SF_EESI_SY_SJ_SK_SL_EUlSY_E1_NS1_11comp_targetILNS1_3genE2ELNS1_11target_archE906ELNS1_3gpuE6ELNS1_3repE0EEENS1_36merge_oddeven_config_static_selectorELNS0_4arch9wavefront6targetE0EEEvSK_.num_agpr, 0
	.set _ZN7rocprim17ROCPRIM_400000_NS6detail17trampoline_kernelINS0_14default_configENS1_38merge_sort_block_merge_config_selectorIiNS0_10empty_typeEEEZZNS1_27merge_sort_block_merge_implIS3_N6thrust23THRUST_200600_302600_NS6detail15normal_iteratorINS9_10device_ptrIiEEEEPS5_m9comp_mod3IiEEE10hipError_tT0_T1_T2_jT3_P12ihipStream_tbPNSt15iterator_traitsISJ_E10value_typeEPNSP_ISK_E10value_typeEPSL_NS1_7vsmem_tEENKUlT_SJ_SK_SL_E_clISE_PiSF_SF_EESI_SY_SJ_SK_SL_EUlSY_E1_NS1_11comp_targetILNS1_3genE2ELNS1_11target_archE906ELNS1_3gpuE6ELNS1_3repE0EEENS1_36merge_oddeven_config_static_selectorELNS0_4arch9wavefront6targetE0EEEvSK_.numbered_sgpr, 0
	.set _ZN7rocprim17ROCPRIM_400000_NS6detail17trampoline_kernelINS0_14default_configENS1_38merge_sort_block_merge_config_selectorIiNS0_10empty_typeEEEZZNS1_27merge_sort_block_merge_implIS3_N6thrust23THRUST_200600_302600_NS6detail15normal_iteratorINS9_10device_ptrIiEEEEPS5_m9comp_mod3IiEEE10hipError_tT0_T1_T2_jT3_P12ihipStream_tbPNSt15iterator_traitsISJ_E10value_typeEPNSP_ISK_E10value_typeEPSL_NS1_7vsmem_tEENKUlT_SJ_SK_SL_E_clISE_PiSF_SF_EESI_SY_SJ_SK_SL_EUlSY_E1_NS1_11comp_targetILNS1_3genE2ELNS1_11target_archE906ELNS1_3gpuE6ELNS1_3repE0EEENS1_36merge_oddeven_config_static_selectorELNS0_4arch9wavefront6targetE0EEEvSK_.num_named_barrier, 0
	.set _ZN7rocprim17ROCPRIM_400000_NS6detail17trampoline_kernelINS0_14default_configENS1_38merge_sort_block_merge_config_selectorIiNS0_10empty_typeEEEZZNS1_27merge_sort_block_merge_implIS3_N6thrust23THRUST_200600_302600_NS6detail15normal_iteratorINS9_10device_ptrIiEEEEPS5_m9comp_mod3IiEEE10hipError_tT0_T1_T2_jT3_P12ihipStream_tbPNSt15iterator_traitsISJ_E10value_typeEPNSP_ISK_E10value_typeEPSL_NS1_7vsmem_tEENKUlT_SJ_SK_SL_E_clISE_PiSF_SF_EESI_SY_SJ_SK_SL_EUlSY_E1_NS1_11comp_targetILNS1_3genE2ELNS1_11target_archE906ELNS1_3gpuE6ELNS1_3repE0EEENS1_36merge_oddeven_config_static_selectorELNS0_4arch9wavefront6targetE0EEEvSK_.private_seg_size, 0
	.set _ZN7rocprim17ROCPRIM_400000_NS6detail17trampoline_kernelINS0_14default_configENS1_38merge_sort_block_merge_config_selectorIiNS0_10empty_typeEEEZZNS1_27merge_sort_block_merge_implIS3_N6thrust23THRUST_200600_302600_NS6detail15normal_iteratorINS9_10device_ptrIiEEEEPS5_m9comp_mod3IiEEE10hipError_tT0_T1_T2_jT3_P12ihipStream_tbPNSt15iterator_traitsISJ_E10value_typeEPNSP_ISK_E10value_typeEPSL_NS1_7vsmem_tEENKUlT_SJ_SK_SL_E_clISE_PiSF_SF_EESI_SY_SJ_SK_SL_EUlSY_E1_NS1_11comp_targetILNS1_3genE2ELNS1_11target_archE906ELNS1_3gpuE6ELNS1_3repE0EEENS1_36merge_oddeven_config_static_selectorELNS0_4arch9wavefront6targetE0EEEvSK_.uses_vcc, 0
	.set _ZN7rocprim17ROCPRIM_400000_NS6detail17trampoline_kernelINS0_14default_configENS1_38merge_sort_block_merge_config_selectorIiNS0_10empty_typeEEEZZNS1_27merge_sort_block_merge_implIS3_N6thrust23THRUST_200600_302600_NS6detail15normal_iteratorINS9_10device_ptrIiEEEEPS5_m9comp_mod3IiEEE10hipError_tT0_T1_T2_jT3_P12ihipStream_tbPNSt15iterator_traitsISJ_E10value_typeEPNSP_ISK_E10value_typeEPSL_NS1_7vsmem_tEENKUlT_SJ_SK_SL_E_clISE_PiSF_SF_EESI_SY_SJ_SK_SL_EUlSY_E1_NS1_11comp_targetILNS1_3genE2ELNS1_11target_archE906ELNS1_3gpuE6ELNS1_3repE0EEENS1_36merge_oddeven_config_static_selectorELNS0_4arch9wavefront6targetE0EEEvSK_.uses_flat_scratch, 0
	.set _ZN7rocprim17ROCPRIM_400000_NS6detail17trampoline_kernelINS0_14default_configENS1_38merge_sort_block_merge_config_selectorIiNS0_10empty_typeEEEZZNS1_27merge_sort_block_merge_implIS3_N6thrust23THRUST_200600_302600_NS6detail15normal_iteratorINS9_10device_ptrIiEEEEPS5_m9comp_mod3IiEEE10hipError_tT0_T1_T2_jT3_P12ihipStream_tbPNSt15iterator_traitsISJ_E10value_typeEPNSP_ISK_E10value_typeEPSL_NS1_7vsmem_tEENKUlT_SJ_SK_SL_E_clISE_PiSF_SF_EESI_SY_SJ_SK_SL_EUlSY_E1_NS1_11comp_targetILNS1_3genE2ELNS1_11target_archE906ELNS1_3gpuE6ELNS1_3repE0EEENS1_36merge_oddeven_config_static_selectorELNS0_4arch9wavefront6targetE0EEEvSK_.has_dyn_sized_stack, 0
	.set _ZN7rocprim17ROCPRIM_400000_NS6detail17trampoline_kernelINS0_14default_configENS1_38merge_sort_block_merge_config_selectorIiNS0_10empty_typeEEEZZNS1_27merge_sort_block_merge_implIS3_N6thrust23THRUST_200600_302600_NS6detail15normal_iteratorINS9_10device_ptrIiEEEEPS5_m9comp_mod3IiEEE10hipError_tT0_T1_T2_jT3_P12ihipStream_tbPNSt15iterator_traitsISJ_E10value_typeEPNSP_ISK_E10value_typeEPSL_NS1_7vsmem_tEENKUlT_SJ_SK_SL_E_clISE_PiSF_SF_EESI_SY_SJ_SK_SL_EUlSY_E1_NS1_11comp_targetILNS1_3genE2ELNS1_11target_archE906ELNS1_3gpuE6ELNS1_3repE0EEENS1_36merge_oddeven_config_static_selectorELNS0_4arch9wavefront6targetE0EEEvSK_.has_recursion, 0
	.set _ZN7rocprim17ROCPRIM_400000_NS6detail17trampoline_kernelINS0_14default_configENS1_38merge_sort_block_merge_config_selectorIiNS0_10empty_typeEEEZZNS1_27merge_sort_block_merge_implIS3_N6thrust23THRUST_200600_302600_NS6detail15normal_iteratorINS9_10device_ptrIiEEEEPS5_m9comp_mod3IiEEE10hipError_tT0_T1_T2_jT3_P12ihipStream_tbPNSt15iterator_traitsISJ_E10value_typeEPNSP_ISK_E10value_typeEPSL_NS1_7vsmem_tEENKUlT_SJ_SK_SL_E_clISE_PiSF_SF_EESI_SY_SJ_SK_SL_EUlSY_E1_NS1_11comp_targetILNS1_3genE2ELNS1_11target_archE906ELNS1_3gpuE6ELNS1_3repE0EEENS1_36merge_oddeven_config_static_selectorELNS0_4arch9wavefront6targetE0EEEvSK_.has_indirect_call, 0
	.section	.AMDGPU.csdata,"",@progbits
; Kernel info:
; codeLenInByte = 0
; TotalNumSgprs: 0
; NumVgprs: 0
; ScratchSize: 0
; MemoryBound: 0
; FloatMode: 240
; IeeeMode: 1
; LDSByteSize: 0 bytes/workgroup (compile time only)
; SGPRBlocks: 0
; VGPRBlocks: 0
; NumSGPRsForWavesPerEU: 1
; NumVGPRsForWavesPerEU: 1
; Occupancy: 16
; WaveLimiterHint : 0
; COMPUTE_PGM_RSRC2:SCRATCH_EN: 0
; COMPUTE_PGM_RSRC2:USER_SGPR: 6
; COMPUTE_PGM_RSRC2:TRAP_HANDLER: 0
; COMPUTE_PGM_RSRC2:TGID_X_EN: 1
; COMPUTE_PGM_RSRC2:TGID_Y_EN: 0
; COMPUTE_PGM_RSRC2:TGID_Z_EN: 0
; COMPUTE_PGM_RSRC2:TIDIG_COMP_CNT: 0
	.section	.text._ZN7rocprim17ROCPRIM_400000_NS6detail17trampoline_kernelINS0_14default_configENS1_38merge_sort_block_merge_config_selectorIiNS0_10empty_typeEEEZZNS1_27merge_sort_block_merge_implIS3_N6thrust23THRUST_200600_302600_NS6detail15normal_iteratorINS9_10device_ptrIiEEEEPS5_m9comp_mod3IiEEE10hipError_tT0_T1_T2_jT3_P12ihipStream_tbPNSt15iterator_traitsISJ_E10value_typeEPNSP_ISK_E10value_typeEPSL_NS1_7vsmem_tEENKUlT_SJ_SK_SL_E_clISE_PiSF_SF_EESI_SY_SJ_SK_SL_EUlSY_E1_NS1_11comp_targetILNS1_3genE9ELNS1_11target_archE1100ELNS1_3gpuE3ELNS1_3repE0EEENS1_36merge_oddeven_config_static_selectorELNS0_4arch9wavefront6targetE0EEEvSK_,"axG",@progbits,_ZN7rocprim17ROCPRIM_400000_NS6detail17trampoline_kernelINS0_14default_configENS1_38merge_sort_block_merge_config_selectorIiNS0_10empty_typeEEEZZNS1_27merge_sort_block_merge_implIS3_N6thrust23THRUST_200600_302600_NS6detail15normal_iteratorINS9_10device_ptrIiEEEEPS5_m9comp_mod3IiEEE10hipError_tT0_T1_T2_jT3_P12ihipStream_tbPNSt15iterator_traitsISJ_E10value_typeEPNSP_ISK_E10value_typeEPSL_NS1_7vsmem_tEENKUlT_SJ_SK_SL_E_clISE_PiSF_SF_EESI_SY_SJ_SK_SL_EUlSY_E1_NS1_11comp_targetILNS1_3genE9ELNS1_11target_archE1100ELNS1_3gpuE3ELNS1_3repE0EEENS1_36merge_oddeven_config_static_selectorELNS0_4arch9wavefront6targetE0EEEvSK_,comdat
	.protected	_ZN7rocprim17ROCPRIM_400000_NS6detail17trampoline_kernelINS0_14default_configENS1_38merge_sort_block_merge_config_selectorIiNS0_10empty_typeEEEZZNS1_27merge_sort_block_merge_implIS3_N6thrust23THRUST_200600_302600_NS6detail15normal_iteratorINS9_10device_ptrIiEEEEPS5_m9comp_mod3IiEEE10hipError_tT0_T1_T2_jT3_P12ihipStream_tbPNSt15iterator_traitsISJ_E10value_typeEPNSP_ISK_E10value_typeEPSL_NS1_7vsmem_tEENKUlT_SJ_SK_SL_E_clISE_PiSF_SF_EESI_SY_SJ_SK_SL_EUlSY_E1_NS1_11comp_targetILNS1_3genE9ELNS1_11target_archE1100ELNS1_3gpuE3ELNS1_3repE0EEENS1_36merge_oddeven_config_static_selectorELNS0_4arch9wavefront6targetE0EEEvSK_ ; -- Begin function _ZN7rocprim17ROCPRIM_400000_NS6detail17trampoline_kernelINS0_14default_configENS1_38merge_sort_block_merge_config_selectorIiNS0_10empty_typeEEEZZNS1_27merge_sort_block_merge_implIS3_N6thrust23THRUST_200600_302600_NS6detail15normal_iteratorINS9_10device_ptrIiEEEEPS5_m9comp_mod3IiEEE10hipError_tT0_T1_T2_jT3_P12ihipStream_tbPNSt15iterator_traitsISJ_E10value_typeEPNSP_ISK_E10value_typeEPSL_NS1_7vsmem_tEENKUlT_SJ_SK_SL_E_clISE_PiSF_SF_EESI_SY_SJ_SK_SL_EUlSY_E1_NS1_11comp_targetILNS1_3genE9ELNS1_11target_archE1100ELNS1_3gpuE3ELNS1_3repE0EEENS1_36merge_oddeven_config_static_selectorELNS0_4arch9wavefront6targetE0EEEvSK_
	.globl	_ZN7rocprim17ROCPRIM_400000_NS6detail17trampoline_kernelINS0_14default_configENS1_38merge_sort_block_merge_config_selectorIiNS0_10empty_typeEEEZZNS1_27merge_sort_block_merge_implIS3_N6thrust23THRUST_200600_302600_NS6detail15normal_iteratorINS9_10device_ptrIiEEEEPS5_m9comp_mod3IiEEE10hipError_tT0_T1_T2_jT3_P12ihipStream_tbPNSt15iterator_traitsISJ_E10value_typeEPNSP_ISK_E10value_typeEPSL_NS1_7vsmem_tEENKUlT_SJ_SK_SL_E_clISE_PiSF_SF_EESI_SY_SJ_SK_SL_EUlSY_E1_NS1_11comp_targetILNS1_3genE9ELNS1_11target_archE1100ELNS1_3gpuE3ELNS1_3repE0EEENS1_36merge_oddeven_config_static_selectorELNS0_4arch9wavefront6targetE0EEEvSK_
	.p2align	8
	.type	_ZN7rocprim17ROCPRIM_400000_NS6detail17trampoline_kernelINS0_14default_configENS1_38merge_sort_block_merge_config_selectorIiNS0_10empty_typeEEEZZNS1_27merge_sort_block_merge_implIS3_N6thrust23THRUST_200600_302600_NS6detail15normal_iteratorINS9_10device_ptrIiEEEEPS5_m9comp_mod3IiEEE10hipError_tT0_T1_T2_jT3_P12ihipStream_tbPNSt15iterator_traitsISJ_E10value_typeEPNSP_ISK_E10value_typeEPSL_NS1_7vsmem_tEENKUlT_SJ_SK_SL_E_clISE_PiSF_SF_EESI_SY_SJ_SK_SL_EUlSY_E1_NS1_11comp_targetILNS1_3genE9ELNS1_11target_archE1100ELNS1_3gpuE3ELNS1_3repE0EEENS1_36merge_oddeven_config_static_selectorELNS0_4arch9wavefront6targetE0EEEvSK_,@function
_ZN7rocprim17ROCPRIM_400000_NS6detail17trampoline_kernelINS0_14default_configENS1_38merge_sort_block_merge_config_selectorIiNS0_10empty_typeEEEZZNS1_27merge_sort_block_merge_implIS3_N6thrust23THRUST_200600_302600_NS6detail15normal_iteratorINS9_10device_ptrIiEEEEPS5_m9comp_mod3IiEEE10hipError_tT0_T1_T2_jT3_P12ihipStream_tbPNSt15iterator_traitsISJ_E10value_typeEPNSP_ISK_E10value_typeEPSL_NS1_7vsmem_tEENKUlT_SJ_SK_SL_E_clISE_PiSF_SF_EESI_SY_SJ_SK_SL_EUlSY_E1_NS1_11comp_targetILNS1_3genE9ELNS1_11target_archE1100ELNS1_3gpuE3ELNS1_3repE0EEENS1_36merge_oddeven_config_static_selectorELNS0_4arch9wavefront6targetE0EEEvSK_: ; @_ZN7rocprim17ROCPRIM_400000_NS6detail17trampoline_kernelINS0_14default_configENS1_38merge_sort_block_merge_config_selectorIiNS0_10empty_typeEEEZZNS1_27merge_sort_block_merge_implIS3_N6thrust23THRUST_200600_302600_NS6detail15normal_iteratorINS9_10device_ptrIiEEEEPS5_m9comp_mod3IiEEE10hipError_tT0_T1_T2_jT3_P12ihipStream_tbPNSt15iterator_traitsISJ_E10value_typeEPNSP_ISK_E10value_typeEPSL_NS1_7vsmem_tEENKUlT_SJ_SK_SL_E_clISE_PiSF_SF_EESI_SY_SJ_SK_SL_EUlSY_E1_NS1_11comp_targetILNS1_3genE9ELNS1_11target_archE1100ELNS1_3gpuE3ELNS1_3repE0EEENS1_36merge_oddeven_config_static_selectorELNS0_4arch9wavefront6targetE0EEEvSK_
; %bb.0:
	.section	.rodata,"a",@progbits
	.p2align	6, 0x0
	.amdhsa_kernel _ZN7rocprim17ROCPRIM_400000_NS6detail17trampoline_kernelINS0_14default_configENS1_38merge_sort_block_merge_config_selectorIiNS0_10empty_typeEEEZZNS1_27merge_sort_block_merge_implIS3_N6thrust23THRUST_200600_302600_NS6detail15normal_iteratorINS9_10device_ptrIiEEEEPS5_m9comp_mod3IiEEE10hipError_tT0_T1_T2_jT3_P12ihipStream_tbPNSt15iterator_traitsISJ_E10value_typeEPNSP_ISK_E10value_typeEPSL_NS1_7vsmem_tEENKUlT_SJ_SK_SL_E_clISE_PiSF_SF_EESI_SY_SJ_SK_SL_EUlSY_E1_NS1_11comp_targetILNS1_3genE9ELNS1_11target_archE1100ELNS1_3gpuE3ELNS1_3repE0EEENS1_36merge_oddeven_config_static_selectorELNS0_4arch9wavefront6targetE0EEEvSK_
		.amdhsa_group_segment_fixed_size 0
		.amdhsa_private_segment_fixed_size 0
		.amdhsa_kernarg_size 56
		.amdhsa_user_sgpr_count 6
		.amdhsa_user_sgpr_private_segment_buffer 1
		.amdhsa_user_sgpr_dispatch_ptr 0
		.amdhsa_user_sgpr_queue_ptr 0
		.amdhsa_user_sgpr_kernarg_segment_ptr 1
		.amdhsa_user_sgpr_dispatch_id 0
		.amdhsa_user_sgpr_flat_scratch_init 0
		.amdhsa_user_sgpr_private_segment_size 0
		.amdhsa_wavefront_size32 1
		.amdhsa_uses_dynamic_stack 0
		.amdhsa_system_sgpr_private_segment_wavefront_offset 0
		.amdhsa_system_sgpr_workgroup_id_x 1
		.amdhsa_system_sgpr_workgroup_id_y 0
		.amdhsa_system_sgpr_workgroup_id_z 0
		.amdhsa_system_sgpr_workgroup_info 0
		.amdhsa_system_vgpr_workitem_id 0
		.amdhsa_next_free_vgpr 1
		.amdhsa_next_free_sgpr 1
		.amdhsa_reserve_vcc 0
		.amdhsa_reserve_flat_scratch 0
		.amdhsa_float_round_mode_32 0
		.amdhsa_float_round_mode_16_64 0
		.amdhsa_float_denorm_mode_32 3
		.amdhsa_float_denorm_mode_16_64 3
		.amdhsa_dx10_clamp 1
		.amdhsa_ieee_mode 1
		.amdhsa_fp16_overflow 0
		.amdhsa_workgroup_processor_mode 1
		.amdhsa_memory_ordered 1
		.amdhsa_forward_progress 1
		.amdhsa_shared_vgpr_count 0
		.amdhsa_exception_fp_ieee_invalid_op 0
		.amdhsa_exception_fp_denorm_src 0
		.amdhsa_exception_fp_ieee_div_zero 0
		.amdhsa_exception_fp_ieee_overflow 0
		.amdhsa_exception_fp_ieee_underflow 0
		.amdhsa_exception_fp_ieee_inexact 0
		.amdhsa_exception_int_div_zero 0
	.end_amdhsa_kernel
	.section	.text._ZN7rocprim17ROCPRIM_400000_NS6detail17trampoline_kernelINS0_14default_configENS1_38merge_sort_block_merge_config_selectorIiNS0_10empty_typeEEEZZNS1_27merge_sort_block_merge_implIS3_N6thrust23THRUST_200600_302600_NS6detail15normal_iteratorINS9_10device_ptrIiEEEEPS5_m9comp_mod3IiEEE10hipError_tT0_T1_T2_jT3_P12ihipStream_tbPNSt15iterator_traitsISJ_E10value_typeEPNSP_ISK_E10value_typeEPSL_NS1_7vsmem_tEENKUlT_SJ_SK_SL_E_clISE_PiSF_SF_EESI_SY_SJ_SK_SL_EUlSY_E1_NS1_11comp_targetILNS1_3genE9ELNS1_11target_archE1100ELNS1_3gpuE3ELNS1_3repE0EEENS1_36merge_oddeven_config_static_selectorELNS0_4arch9wavefront6targetE0EEEvSK_,"axG",@progbits,_ZN7rocprim17ROCPRIM_400000_NS6detail17trampoline_kernelINS0_14default_configENS1_38merge_sort_block_merge_config_selectorIiNS0_10empty_typeEEEZZNS1_27merge_sort_block_merge_implIS3_N6thrust23THRUST_200600_302600_NS6detail15normal_iteratorINS9_10device_ptrIiEEEEPS5_m9comp_mod3IiEEE10hipError_tT0_T1_T2_jT3_P12ihipStream_tbPNSt15iterator_traitsISJ_E10value_typeEPNSP_ISK_E10value_typeEPSL_NS1_7vsmem_tEENKUlT_SJ_SK_SL_E_clISE_PiSF_SF_EESI_SY_SJ_SK_SL_EUlSY_E1_NS1_11comp_targetILNS1_3genE9ELNS1_11target_archE1100ELNS1_3gpuE3ELNS1_3repE0EEENS1_36merge_oddeven_config_static_selectorELNS0_4arch9wavefront6targetE0EEEvSK_,comdat
.Lfunc_end1034:
	.size	_ZN7rocprim17ROCPRIM_400000_NS6detail17trampoline_kernelINS0_14default_configENS1_38merge_sort_block_merge_config_selectorIiNS0_10empty_typeEEEZZNS1_27merge_sort_block_merge_implIS3_N6thrust23THRUST_200600_302600_NS6detail15normal_iteratorINS9_10device_ptrIiEEEEPS5_m9comp_mod3IiEEE10hipError_tT0_T1_T2_jT3_P12ihipStream_tbPNSt15iterator_traitsISJ_E10value_typeEPNSP_ISK_E10value_typeEPSL_NS1_7vsmem_tEENKUlT_SJ_SK_SL_E_clISE_PiSF_SF_EESI_SY_SJ_SK_SL_EUlSY_E1_NS1_11comp_targetILNS1_3genE9ELNS1_11target_archE1100ELNS1_3gpuE3ELNS1_3repE0EEENS1_36merge_oddeven_config_static_selectorELNS0_4arch9wavefront6targetE0EEEvSK_, .Lfunc_end1034-_ZN7rocprim17ROCPRIM_400000_NS6detail17trampoline_kernelINS0_14default_configENS1_38merge_sort_block_merge_config_selectorIiNS0_10empty_typeEEEZZNS1_27merge_sort_block_merge_implIS3_N6thrust23THRUST_200600_302600_NS6detail15normal_iteratorINS9_10device_ptrIiEEEEPS5_m9comp_mod3IiEEE10hipError_tT0_T1_T2_jT3_P12ihipStream_tbPNSt15iterator_traitsISJ_E10value_typeEPNSP_ISK_E10value_typeEPSL_NS1_7vsmem_tEENKUlT_SJ_SK_SL_E_clISE_PiSF_SF_EESI_SY_SJ_SK_SL_EUlSY_E1_NS1_11comp_targetILNS1_3genE9ELNS1_11target_archE1100ELNS1_3gpuE3ELNS1_3repE0EEENS1_36merge_oddeven_config_static_selectorELNS0_4arch9wavefront6targetE0EEEvSK_
                                        ; -- End function
	.set _ZN7rocprim17ROCPRIM_400000_NS6detail17trampoline_kernelINS0_14default_configENS1_38merge_sort_block_merge_config_selectorIiNS0_10empty_typeEEEZZNS1_27merge_sort_block_merge_implIS3_N6thrust23THRUST_200600_302600_NS6detail15normal_iteratorINS9_10device_ptrIiEEEEPS5_m9comp_mod3IiEEE10hipError_tT0_T1_T2_jT3_P12ihipStream_tbPNSt15iterator_traitsISJ_E10value_typeEPNSP_ISK_E10value_typeEPSL_NS1_7vsmem_tEENKUlT_SJ_SK_SL_E_clISE_PiSF_SF_EESI_SY_SJ_SK_SL_EUlSY_E1_NS1_11comp_targetILNS1_3genE9ELNS1_11target_archE1100ELNS1_3gpuE3ELNS1_3repE0EEENS1_36merge_oddeven_config_static_selectorELNS0_4arch9wavefront6targetE0EEEvSK_.num_vgpr, 0
	.set _ZN7rocprim17ROCPRIM_400000_NS6detail17trampoline_kernelINS0_14default_configENS1_38merge_sort_block_merge_config_selectorIiNS0_10empty_typeEEEZZNS1_27merge_sort_block_merge_implIS3_N6thrust23THRUST_200600_302600_NS6detail15normal_iteratorINS9_10device_ptrIiEEEEPS5_m9comp_mod3IiEEE10hipError_tT0_T1_T2_jT3_P12ihipStream_tbPNSt15iterator_traitsISJ_E10value_typeEPNSP_ISK_E10value_typeEPSL_NS1_7vsmem_tEENKUlT_SJ_SK_SL_E_clISE_PiSF_SF_EESI_SY_SJ_SK_SL_EUlSY_E1_NS1_11comp_targetILNS1_3genE9ELNS1_11target_archE1100ELNS1_3gpuE3ELNS1_3repE0EEENS1_36merge_oddeven_config_static_selectorELNS0_4arch9wavefront6targetE0EEEvSK_.num_agpr, 0
	.set _ZN7rocprim17ROCPRIM_400000_NS6detail17trampoline_kernelINS0_14default_configENS1_38merge_sort_block_merge_config_selectorIiNS0_10empty_typeEEEZZNS1_27merge_sort_block_merge_implIS3_N6thrust23THRUST_200600_302600_NS6detail15normal_iteratorINS9_10device_ptrIiEEEEPS5_m9comp_mod3IiEEE10hipError_tT0_T1_T2_jT3_P12ihipStream_tbPNSt15iterator_traitsISJ_E10value_typeEPNSP_ISK_E10value_typeEPSL_NS1_7vsmem_tEENKUlT_SJ_SK_SL_E_clISE_PiSF_SF_EESI_SY_SJ_SK_SL_EUlSY_E1_NS1_11comp_targetILNS1_3genE9ELNS1_11target_archE1100ELNS1_3gpuE3ELNS1_3repE0EEENS1_36merge_oddeven_config_static_selectorELNS0_4arch9wavefront6targetE0EEEvSK_.numbered_sgpr, 0
	.set _ZN7rocprim17ROCPRIM_400000_NS6detail17trampoline_kernelINS0_14default_configENS1_38merge_sort_block_merge_config_selectorIiNS0_10empty_typeEEEZZNS1_27merge_sort_block_merge_implIS3_N6thrust23THRUST_200600_302600_NS6detail15normal_iteratorINS9_10device_ptrIiEEEEPS5_m9comp_mod3IiEEE10hipError_tT0_T1_T2_jT3_P12ihipStream_tbPNSt15iterator_traitsISJ_E10value_typeEPNSP_ISK_E10value_typeEPSL_NS1_7vsmem_tEENKUlT_SJ_SK_SL_E_clISE_PiSF_SF_EESI_SY_SJ_SK_SL_EUlSY_E1_NS1_11comp_targetILNS1_3genE9ELNS1_11target_archE1100ELNS1_3gpuE3ELNS1_3repE0EEENS1_36merge_oddeven_config_static_selectorELNS0_4arch9wavefront6targetE0EEEvSK_.num_named_barrier, 0
	.set _ZN7rocprim17ROCPRIM_400000_NS6detail17trampoline_kernelINS0_14default_configENS1_38merge_sort_block_merge_config_selectorIiNS0_10empty_typeEEEZZNS1_27merge_sort_block_merge_implIS3_N6thrust23THRUST_200600_302600_NS6detail15normal_iteratorINS9_10device_ptrIiEEEEPS5_m9comp_mod3IiEEE10hipError_tT0_T1_T2_jT3_P12ihipStream_tbPNSt15iterator_traitsISJ_E10value_typeEPNSP_ISK_E10value_typeEPSL_NS1_7vsmem_tEENKUlT_SJ_SK_SL_E_clISE_PiSF_SF_EESI_SY_SJ_SK_SL_EUlSY_E1_NS1_11comp_targetILNS1_3genE9ELNS1_11target_archE1100ELNS1_3gpuE3ELNS1_3repE0EEENS1_36merge_oddeven_config_static_selectorELNS0_4arch9wavefront6targetE0EEEvSK_.private_seg_size, 0
	.set _ZN7rocprim17ROCPRIM_400000_NS6detail17trampoline_kernelINS0_14default_configENS1_38merge_sort_block_merge_config_selectorIiNS0_10empty_typeEEEZZNS1_27merge_sort_block_merge_implIS3_N6thrust23THRUST_200600_302600_NS6detail15normal_iteratorINS9_10device_ptrIiEEEEPS5_m9comp_mod3IiEEE10hipError_tT0_T1_T2_jT3_P12ihipStream_tbPNSt15iterator_traitsISJ_E10value_typeEPNSP_ISK_E10value_typeEPSL_NS1_7vsmem_tEENKUlT_SJ_SK_SL_E_clISE_PiSF_SF_EESI_SY_SJ_SK_SL_EUlSY_E1_NS1_11comp_targetILNS1_3genE9ELNS1_11target_archE1100ELNS1_3gpuE3ELNS1_3repE0EEENS1_36merge_oddeven_config_static_selectorELNS0_4arch9wavefront6targetE0EEEvSK_.uses_vcc, 0
	.set _ZN7rocprim17ROCPRIM_400000_NS6detail17trampoline_kernelINS0_14default_configENS1_38merge_sort_block_merge_config_selectorIiNS0_10empty_typeEEEZZNS1_27merge_sort_block_merge_implIS3_N6thrust23THRUST_200600_302600_NS6detail15normal_iteratorINS9_10device_ptrIiEEEEPS5_m9comp_mod3IiEEE10hipError_tT0_T1_T2_jT3_P12ihipStream_tbPNSt15iterator_traitsISJ_E10value_typeEPNSP_ISK_E10value_typeEPSL_NS1_7vsmem_tEENKUlT_SJ_SK_SL_E_clISE_PiSF_SF_EESI_SY_SJ_SK_SL_EUlSY_E1_NS1_11comp_targetILNS1_3genE9ELNS1_11target_archE1100ELNS1_3gpuE3ELNS1_3repE0EEENS1_36merge_oddeven_config_static_selectorELNS0_4arch9wavefront6targetE0EEEvSK_.uses_flat_scratch, 0
	.set _ZN7rocprim17ROCPRIM_400000_NS6detail17trampoline_kernelINS0_14default_configENS1_38merge_sort_block_merge_config_selectorIiNS0_10empty_typeEEEZZNS1_27merge_sort_block_merge_implIS3_N6thrust23THRUST_200600_302600_NS6detail15normal_iteratorINS9_10device_ptrIiEEEEPS5_m9comp_mod3IiEEE10hipError_tT0_T1_T2_jT3_P12ihipStream_tbPNSt15iterator_traitsISJ_E10value_typeEPNSP_ISK_E10value_typeEPSL_NS1_7vsmem_tEENKUlT_SJ_SK_SL_E_clISE_PiSF_SF_EESI_SY_SJ_SK_SL_EUlSY_E1_NS1_11comp_targetILNS1_3genE9ELNS1_11target_archE1100ELNS1_3gpuE3ELNS1_3repE0EEENS1_36merge_oddeven_config_static_selectorELNS0_4arch9wavefront6targetE0EEEvSK_.has_dyn_sized_stack, 0
	.set _ZN7rocprim17ROCPRIM_400000_NS6detail17trampoline_kernelINS0_14default_configENS1_38merge_sort_block_merge_config_selectorIiNS0_10empty_typeEEEZZNS1_27merge_sort_block_merge_implIS3_N6thrust23THRUST_200600_302600_NS6detail15normal_iteratorINS9_10device_ptrIiEEEEPS5_m9comp_mod3IiEEE10hipError_tT0_T1_T2_jT3_P12ihipStream_tbPNSt15iterator_traitsISJ_E10value_typeEPNSP_ISK_E10value_typeEPSL_NS1_7vsmem_tEENKUlT_SJ_SK_SL_E_clISE_PiSF_SF_EESI_SY_SJ_SK_SL_EUlSY_E1_NS1_11comp_targetILNS1_3genE9ELNS1_11target_archE1100ELNS1_3gpuE3ELNS1_3repE0EEENS1_36merge_oddeven_config_static_selectorELNS0_4arch9wavefront6targetE0EEEvSK_.has_recursion, 0
	.set _ZN7rocprim17ROCPRIM_400000_NS6detail17trampoline_kernelINS0_14default_configENS1_38merge_sort_block_merge_config_selectorIiNS0_10empty_typeEEEZZNS1_27merge_sort_block_merge_implIS3_N6thrust23THRUST_200600_302600_NS6detail15normal_iteratorINS9_10device_ptrIiEEEEPS5_m9comp_mod3IiEEE10hipError_tT0_T1_T2_jT3_P12ihipStream_tbPNSt15iterator_traitsISJ_E10value_typeEPNSP_ISK_E10value_typeEPSL_NS1_7vsmem_tEENKUlT_SJ_SK_SL_E_clISE_PiSF_SF_EESI_SY_SJ_SK_SL_EUlSY_E1_NS1_11comp_targetILNS1_3genE9ELNS1_11target_archE1100ELNS1_3gpuE3ELNS1_3repE0EEENS1_36merge_oddeven_config_static_selectorELNS0_4arch9wavefront6targetE0EEEvSK_.has_indirect_call, 0
	.section	.AMDGPU.csdata,"",@progbits
; Kernel info:
; codeLenInByte = 0
; TotalNumSgprs: 0
; NumVgprs: 0
; ScratchSize: 0
; MemoryBound: 0
; FloatMode: 240
; IeeeMode: 1
; LDSByteSize: 0 bytes/workgroup (compile time only)
; SGPRBlocks: 0
; VGPRBlocks: 0
; NumSGPRsForWavesPerEU: 1
; NumVGPRsForWavesPerEU: 1
; Occupancy: 16
; WaveLimiterHint : 0
; COMPUTE_PGM_RSRC2:SCRATCH_EN: 0
; COMPUTE_PGM_RSRC2:USER_SGPR: 6
; COMPUTE_PGM_RSRC2:TRAP_HANDLER: 0
; COMPUTE_PGM_RSRC2:TGID_X_EN: 1
; COMPUTE_PGM_RSRC2:TGID_Y_EN: 0
; COMPUTE_PGM_RSRC2:TGID_Z_EN: 0
; COMPUTE_PGM_RSRC2:TIDIG_COMP_CNT: 0
	.section	.text._ZN7rocprim17ROCPRIM_400000_NS6detail17trampoline_kernelINS0_14default_configENS1_38merge_sort_block_merge_config_selectorIiNS0_10empty_typeEEEZZNS1_27merge_sort_block_merge_implIS3_N6thrust23THRUST_200600_302600_NS6detail15normal_iteratorINS9_10device_ptrIiEEEEPS5_m9comp_mod3IiEEE10hipError_tT0_T1_T2_jT3_P12ihipStream_tbPNSt15iterator_traitsISJ_E10value_typeEPNSP_ISK_E10value_typeEPSL_NS1_7vsmem_tEENKUlT_SJ_SK_SL_E_clISE_PiSF_SF_EESI_SY_SJ_SK_SL_EUlSY_E1_NS1_11comp_targetILNS1_3genE8ELNS1_11target_archE1030ELNS1_3gpuE2ELNS1_3repE0EEENS1_36merge_oddeven_config_static_selectorELNS0_4arch9wavefront6targetE0EEEvSK_,"axG",@progbits,_ZN7rocprim17ROCPRIM_400000_NS6detail17trampoline_kernelINS0_14default_configENS1_38merge_sort_block_merge_config_selectorIiNS0_10empty_typeEEEZZNS1_27merge_sort_block_merge_implIS3_N6thrust23THRUST_200600_302600_NS6detail15normal_iteratorINS9_10device_ptrIiEEEEPS5_m9comp_mod3IiEEE10hipError_tT0_T1_T2_jT3_P12ihipStream_tbPNSt15iterator_traitsISJ_E10value_typeEPNSP_ISK_E10value_typeEPSL_NS1_7vsmem_tEENKUlT_SJ_SK_SL_E_clISE_PiSF_SF_EESI_SY_SJ_SK_SL_EUlSY_E1_NS1_11comp_targetILNS1_3genE8ELNS1_11target_archE1030ELNS1_3gpuE2ELNS1_3repE0EEENS1_36merge_oddeven_config_static_selectorELNS0_4arch9wavefront6targetE0EEEvSK_,comdat
	.protected	_ZN7rocprim17ROCPRIM_400000_NS6detail17trampoline_kernelINS0_14default_configENS1_38merge_sort_block_merge_config_selectorIiNS0_10empty_typeEEEZZNS1_27merge_sort_block_merge_implIS3_N6thrust23THRUST_200600_302600_NS6detail15normal_iteratorINS9_10device_ptrIiEEEEPS5_m9comp_mod3IiEEE10hipError_tT0_T1_T2_jT3_P12ihipStream_tbPNSt15iterator_traitsISJ_E10value_typeEPNSP_ISK_E10value_typeEPSL_NS1_7vsmem_tEENKUlT_SJ_SK_SL_E_clISE_PiSF_SF_EESI_SY_SJ_SK_SL_EUlSY_E1_NS1_11comp_targetILNS1_3genE8ELNS1_11target_archE1030ELNS1_3gpuE2ELNS1_3repE0EEENS1_36merge_oddeven_config_static_selectorELNS0_4arch9wavefront6targetE0EEEvSK_ ; -- Begin function _ZN7rocprim17ROCPRIM_400000_NS6detail17trampoline_kernelINS0_14default_configENS1_38merge_sort_block_merge_config_selectorIiNS0_10empty_typeEEEZZNS1_27merge_sort_block_merge_implIS3_N6thrust23THRUST_200600_302600_NS6detail15normal_iteratorINS9_10device_ptrIiEEEEPS5_m9comp_mod3IiEEE10hipError_tT0_T1_T2_jT3_P12ihipStream_tbPNSt15iterator_traitsISJ_E10value_typeEPNSP_ISK_E10value_typeEPSL_NS1_7vsmem_tEENKUlT_SJ_SK_SL_E_clISE_PiSF_SF_EESI_SY_SJ_SK_SL_EUlSY_E1_NS1_11comp_targetILNS1_3genE8ELNS1_11target_archE1030ELNS1_3gpuE2ELNS1_3repE0EEENS1_36merge_oddeven_config_static_selectorELNS0_4arch9wavefront6targetE0EEEvSK_
	.globl	_ZN7rocprim17ROCPRIM_400000_NS6detail17trampoline_kernelINS0_14default_configENS1_38merge_sort_block_merge_config_selectorIiNS0_10empty_typeEEEZZNS1_27merge_sort_block_merge_implIS3_N6thrust23THRUST_200600_302600_NS6detail15normal_iteratorINS9_10device_ptrIiEEEEPS5_m9comp_mod3IiEEE10hipError_tT0_T1_T2_jT3_P12ihipStream_tbPNSt15iterator_traitsISJ_E10value_typeEPNSP_ISK_E10value_typeEPSL_NS1_7vsmem_tEENKUlT_SJ_SK_SL_E_clISE_PiSF_SF_EESI_SY_SJ_SK_SL_EUlSY_E1_NS1_11comp_targetILNS1_3genE8ELNS1_11target_archE1030ELNS1_3gpuE2ELNS1_3repE0EEENS1_36merge_oddeven_config_static_selectorELNS0_4arch9wavefront6targetE0EEEvSK_
	.p2align	8
	.type	_ZN7rocprim17ROCPRIM_400000_NS6detail17trampoline_kernelINS0_14default_configENS1_38merge_sort_block_merge_config_selectorIiNS0_10empty_typeEEEZZNS1_27merge_sort_block_merge_implIS3_N6thrust23THRUST_200600_302600_NS6detail15normal_iteratorINS9_10device_ptrIiEEEEPS5_m9comp_mod3IiEEE10hipError_tT0_T1_T2_jT3_P12ihipStream_tbPNSt15iterator_traitsISJ_E10value_typeEPNSP_ISK_E10value_typeEPSL_NS1_7vsmem_tEENKUlT_SJ_SK_SL_E_clISE_PiSF_SF_EESI_SY_SJ_SK_SL_EUlSY_E1_NS1_11comp_targetILNS1_3genE8ELNS1_11target_archE1030ELNS1_3gpuE2ELNS1_3repE0EEENS1_36merge_oddeven_config_static_selectorELNS0_4arch9wavefront6targetE0EEEvSK_,@function
_ZN7rocprim17ROCPRIM_400000_NS6detail17trampoline_kernelINS0_14default_configENS1_38merge_sort_block_merge_config_selectorIiNS0_10empty_typeEEEZZNS1_27merge_sort_block_merge_implIS3_N6thrust23THRUST_200600_302600_NS6detail15normal_iteratorINS9_10device_ptrIiEEEEPS5_m9comp_mod3IiEEE10hipError_tT0_T1_T2_jT3_P12ihipStream_tbPNSt15iterator_traitsISJ_E10value_typeEPNSP_ISK_E10value_typeEPSL_NS1_7vsmem_tEENKUlT_SJ_SK_SL_E_clISE_PiSF_SF_EESI_SY_SJ_SK_SL_EUlSY_E1_NS1_11comp_targetILNS1_3genE8ELNS1_11target_archE1030ELNS1_3gpuE2ELNS1_3repE0EEENS1_36merge_oddeven_config_static_selectorELNS0_4arch9wavefront6targetE0EEEvSK_: ; @_ZN7rocprim17ROCPRIM_400000_NS6detail17trampoline_kernelINS0_14default_configENS1_38merge_sort_block_merge_config_selectorIiNS0_10empty_typeEEEZZNS1_27merge_sort_block_merge_implIS3_N6thrust23THRUST_200600_302600_NS6detail15normal_iteratorINS9_10device_ptrIiEEEEPS5_m9comp_mod3IiEEE10hipError_tT0_T1_T2_jT3_P12ihipStream_tbPNSt15iterator_traitsISJ_E10value_typeEPNSP_ISK_E10value_typeEPSL_NS1_7vsmem_tEENKUlT_SJ_SK_SL_E_clISE_PiSF_SF_EESI_SY_SJ_SK_SL_EUlSY_E1_NS1_11comp_targetILNS1_3genE8ELNS1_11target_archE1030ELNS1_3gpuE2ELNS1_3repE0EEENS1_36merge_oddeven_config_static_selectorELNS0_4arch9wavefront6targetE0EEEvSK_
; %bb.0:
	s_load_dword s7, s[4:5], 0x20
	s_waitcnt lgkmcnt(0)
	s_lshr_b32 s0, s7, 8
	s_cmp_lg_u32 s6, s0
	s_cselect_b32 s2, -1, 0
	s_cmp_eq_u32 s6, s0
	s_cselect_b32 s14, -1, 0
	s_lshl_b32 s12, s6, 8
	s_sub_i32 s0, s7, s12
	v_cmp_gt_u32_e64 s0, s0, v0
	s_or_b32 s1, s2, s0
	s_and_saveexec_b32 s3, s1
	s_cbranch_execz .LBB1035_28
; %bb.1:
	s_clause 0x1
	s_load_dwordx4 s[8:11], s[4:5], 0x0
	s_load_dword s15, s[4:5], 0x28
	s_mov_b32 s13, 0
	v_lshlrev_b32_e32 v1, 2, v0
	s_lshl_b64 s[16:17], s[12:13], 2
	v_add_nc_u32_e32 v4, s12, v0
	s_waitcnt lgkmcnt(0)
	s_add_u32 s16, s8, s16
	s_addc_u32 s17, s9, s17
	s_lshr_b32 s1, s15, 8
	global_load_dword v1, v1, s[16:17]
	s_sub_i32 s3, 0, s1
	s_and_b32 s3, s6, s3
	s_and_b32 s6, s3, s1
	s_cmp_lg_u32 s6, 0
	s_cselect_b32 s1, -1, 0
	s_lshl_b32 s16, s3, 8
	s_sub_i32 s3, 0, s15
	s_cmp_eq_u32 s6, 0
	s_cselect_b32 s6, s15, s3
	s_add_i32 s6, s6, s16
	s_cmp_lt_u32 s6, s7
	s_cbranch_scc1 .LBB1035_3
; %bb.2:
	v_cmp_gt_u32_e32 vcc_lo, s7, v4
	s_or_b32 s3, vcc_lo, s2
	s_and_b32 s13, s3, exec_lo
	s_cbranch_execz .LBB1035_4
	s_branch .LBB1035_26
.LBB1035_3:
.LBB1035_4:
	s_load_dwordx2 s[2:3], s[4:5], 0x30
	s_waitcnt vmcnt(0)
	v_ashrrev_i32_e32 v2, 31, v1
	s_min_u32 s4, s6, s7
	s_add_i32 s5, s16, s4
	s_add_i32 s12, s4, s15
	v_lshlrev_b64 v[2:3], 2, v[1:2]
	v_subrev_nc_u32_e32 v0, s5, v4
	s_min_u32 s5, s16, s4
	v_add_nc_u32_e32 v0, s5, v0
	s_min_u32 s5, s12, s7
	s_waitcnt lgkmcnt(0)
	v_add_co_u32 v2, vcc_lo, s2, v2
	v_add_co_ci_u32_e64 v3, null, s3, v3, vcc_lo
	s_and_b32 vcc_lo, exec_lo, s14
	s_cbranch_vccz .LBB1035_13
; %bb.5:
                                        ; implicit-def: $vgpr4
	s_and_saveexec_b32 s7, s0
	s_cbranch_execz .LBB1035_16
; %bb.6:
	v_mov_b32_e32 v8, s4
	s_cmp_ge_u32 s6, s5
	s_cbranch_scc1 .LBB1035_15
; %bb.7:
	v_mov_b32_e32 v9, s5
	v_mov_b32_e32 v8, s4
	;; [unrolled: 1-line block ×3, first 2 shown]
	s_mov_b32 s0, 0
	s_branch .LBB1035_9
.LBB1035_8:                             ;   in Loop: Header=BB1035_9 Depth=1
	v_add_nc_u32_e32 v6, 1, v4
	v_cndmask_b32_e64 v9, v4, v9, s12
	v_cndmask_b32_e64 v8, v8, v6, s12
	v_cmp_ge_u32_e32 vcc_lo, v8, v9
	s_or_b32 s0, vcc_lo, s0
	s_andn2_b32 exec_lo, exec_lo, s0
	s_cbranch_execz .LBB1035_14
.LBB1035_9:                             ; =>This Inner Loop Header: Depth=1
	v_add_nc_u32_e32 v4, v8, v9
	s_mov_b32 s14, -1
                                        ; implicit-def: $sgpr12
	v_lshrrev_b32_e32 v4, 1, v4
	v_lshlrev_b64 v[6:7], 2, v[4:5]
	v_add_co_u32 v6, vcc_lo, s8, v6
	v_add_co_ci_u32_e64 v7, null, s9, v7, vcc_lo
	s_andn2_b32 vcc_lo, exec_lo, s1
	global_load_dword v6, v[6:7], off
	s_waitcnt vmcnt(0)
	v_ashrrev_i32_e32 v7, 31, v6
	s_cbranch_vccnz .LBB1035_11
; %bb.10:                               ;   in Loop: Header=BB1035_9 Depth=1
	v_lshlrev_b64 v[10:11], 2, v[6:7]
	s_mov_b32 s14, 0
	v_add_co_u32 v10, vcc_lo, s2, v10
	v_add_co_ci_u32_e64 v11, null, s3, v11, vcc_lo
	s_clause 0x1
	global_load_dword v12, v[2:3], off
	global_load_dword v10, v[10:11], off
	s_waitcnt vmcnt(0)
	v_cmp_ge_i32_e64 s12, v12, v10
.LBB1035_11:                            ;   in Loop: Header=BB1035_9 Depth=1
	s_andn2_b32 vcc_lo, exec_lo, s14
	s_cbranch_vccnz .LBB1035_8
; %bb.12:                               ;   in Loop: Header=BB1035_9 Depth=1
	v_lshlrev_b64 v[6:7], 2, v[6:7]
	s_andn2_b32 s12, s12, exec_lo
	v_add_co_u32 v6, vcc_lo, s2, v6
	v_add_co_ci_u32_e64 v7, null, s3, v7, vcc_lo
	s_clause 0x1
	global_load_dword v6, v[6:7], off
	global_load_dword v7, v[2:3], off
	s_waitcnt vmcnt(0)
	v_cmp_lt_i32_e32 vcc_lo, v6, v7
	s_and_b32 s14, vcc_lo, exec_lo
	s_or_b32 s12, s12, s14
	s_branch .LBB1035_8
.LBB1035_13:
                                        ; implicit-def: $vgpr4
	s_cbranch_execnz .LBB1035_17
	s_branch .LBB1035_26
.LBB1035_14:
	s_or_b32 exec_lo, exec_lo, s0
.LBB1035_15:
	v_add_nc_u32_e32 v4, v8, v0
	s_or_b32 s13, s13, exec_lo
.LBB1035_16:
	s_or_b32 exec_lo, exec_lo, s7
	s_branch .LBB1035_26
.LBB1035_17:
	v_mov_b32_e32 v8, s4
	s_cmp_ge_u32 s6, s5
	s_cbranch_scc1 .LBB1035_25
; %bb.18:
	v_mov_b32_e32 v9, s5
	v_mov_b32_e32 v8, s4
	;; [unrolled: 1-line block ×3, first 2 shown]
	s_mov_b32 s0, 0
	s_branch .LBB1035_20
.LBB1035_19:                            ;   in Loop: Header=BB1035_20 Depth=1
	v_add_nc_u32_e32 v6, 1, v4
	v_cndmask_b32_e64 v9, v4, v9, s4
	v_cndmask_b32_e64 v8, v8, v6, s4
	v_cmp_ge_u32_e32 vcc_lo, v8, v9
	s_or_b32 s0, vcc_lo, s0
	s_andn2_b32 exec_lo, exec_lo, s0
	s_cbranch_execz .LBB1035_24
.LBB1035_20:                            ; =>This Inner Loop Header: Depth=1
	v_add_nc_u32_e32 v4, v8, v9
	s_mov_b32 s5, -1
                                        ; implicit-def: $sgpr4
	v_lshrrev_b32_e32 v4, 1, v4
	v_lshlrev_b64 v[6:7], 2, v[4:5]
	v_add_co_u32 v6, vcc_lo, s8, v6
	v_add_co_ci_u32_e64 v7, null, s9, v7, vcc_lo
	s_andn2_b32 vcc_lo, exec_lo, s1
	global_load_dword v6, v[6:7], off
	s_waitcnt vmcnt(0)
	v_ashrrev_i32_e32 v7, 31, v6
	s_cbranch_vccnz .LBB1035_22
; %bb.21:                               ;   in Loop: Header=BB1035_20 Depth=1
	v_lshlrev_b64 v[10:11], 2, v[6:7]
	s_mov_b32 s5, 0
	v_add_co_u32 v10, vcc_lo, s2, v10
	v_add_co_ci_u32_e64 v11, null, s3, v11, vcc_lo
	s_clause 0x1
	global_load_dword v12, v[2:3], off
	global_load_dword v10, v[10:11], off
	s_waitcnt vmcnt(0)
	v_cmp_ge_i32_e64 s4, v12, v10
.LBB1035_22:                            ;   in Loop: Header=BB1035_20 Depth=1
	s_andn2_b32 vcc_lo, exec_lo, s5
	s_cbranch_vccnz .LBB1035_19
; %bb.23:                               ;   in Loop: Header=BB1035_20 Depth=1
	v_lshlrev_b64 v[6:7], 2, v[6:7]
	s_andn2_b32 s4, s4, exec_lo
	v_add_co_u32 v6, vcc_lo, s2, v6
	v_add_co_ci_u32_e64 v7, null, s3, v7, vcc_lo
	s_clause 0x1
	global_load_dword v6, v[6:7], off
	global_load_dword v7, v[2:3], off
	s_waitcnt vmcnt(0)
	v_cmp_lt_i32_e32 vcc_lo, v6, v7
	s_and_b32 s5, vcc_lo, exec_lo
	s_or_b32 s4, s4, s5
	s_branch .LBB1035_19
.LBB1035_24:
	s_or_b32 exec_lo, exec_lo, s0
.LBB1035_25:
	v_add_nc_u32_e32 v4, v8, v0
	s_mov_b32 s13, -1
.LBB1035_26:
	s_and_b32 exec_lo, exec_lo, s13
	s_cbranch_execz .LBB1035_28
; %bb.27:
	v_mov_b32_e32 v5, 0
	v_lshlrev_b64 v[2:3], 2, v[4:5]
	v_add_co_u32 v2, vcc_lo, s10, v2
	v_add_co_ci_u32_e64 v3, null, s11, v3, vcc_lo
	s_waitcnt vmcnt(0)
	global_store_dword v[2:3], v1, off
.LBB1035_28:
	s_endpgm
	.section	.rodata,"a",@progbits
	.p2align	6, 0x0
	.amdhsa_kernel _ZN7rocprim17ROCPRIM_400000_NS6detail17trampoline_kernelINS0_14default_configENS1_38merge_sort_block_merge_config_selectorIiNS0_10empty_typeEEEZZNS1_27merge_sort_block_merge_implIS3_N6thrust23THRUST_200600_302600_NS6detail15normal_iteratorINS9_10device_ptrIiEEEEPS5_m9comp_mod3IiEEE10hipError_tT0_T1_T2_jT3_P12ihipStream_tbPNSt15iterator_traitsISJ_E10value_typeEPNSP_ISK_E10value_typeEPSL_NS1_7vsmem_tEENKUlT_SJ_SK_SL_E_clISE_PiSF_SF_EESI_SY_SJ_SK_SL_EUlSY_E1_NS1_11comp_targetILNS1_3genE8ELNS1_11target_archE1030ELNS1_3gpuE2ELNS1_3repE0EEENS1_36merge_oddeven_config_static_selectorELNS0_4arch9wavefront6targetE0EEEvSK_
		.amdhsa_group_segment_fixed_size 0
		.amdhsa_private_segment_fixed_size 0
		.amdhsa_kernarg_size 56
		.amdhsa_user_sgpr_count 6
		.amdhsa_user_sgpr_private_segment_buffer 1
		.amdhsa_user_sgpr_dispatch_ptr 0
		.amdhsa_user_sgpr_queue_ptr 0
		.amdhsa_user_sgpr_kernarg_segment_ptr 1
		.amdhsa_user_sgpr_dispatch_id 0
		.amdhsa_user_sgpr_flat_scratch_init 0
		.amdhsa_user_sgpr_private_segment_size 0
		.amdhsa_wavefront_size32 1
		.amdhsa_uses_dynamic_stack 0
		.amdhsa_system_sgpr_private_segment_wavefront_offset 0
		.amdhsa_system_sgpr_workgroup_id_x 1
		.amdhsa_system_sgpr_workgroup_id_y 0
		.amdhsa_system_sgpr_workgroup_id_z 0
		.amdhsa_system_sgpr_workgroup_info 0
		.amdhsa_system_vgpr_workitem_id 0
		.amdhsa_next_free_vgpr 13
		.amdhsa_next_free_sgpr 18
		.amdhsa_reserve_vcc 1
		.amdhsa_reserve_flat_scratch 0
		.amdhsa_float_round_mode_32 0
		.amdhsa_float_round_mode_16_64 0
		.amdhsa_float_denorm_mode_32 3
		.amdhsa_float_denorm_mode_16_64 3
		.amdhsa_dx10_clamp 1
		.amdhsa_ieee_mode 1
		.amdhsa_fp16_overflow 0
		.amdhsa_workgroup_processor_mode 1
		.amdhsa_memory_ordered 1
		.amdhsa_forward_progress 1
		.amdhsa_shared_vgpr_count 0
		.amdhsa_exception_fp_ieee_invalid_op 0
		.amdhsa_exception_fp_denorm_src 0
		.amdhsa_exception_fp_ieee_div_zero 0
		.amdhsa_exception_fp_ieee_overflow 0
		.amdhsa_exception_fp_ieee_underflow 0
		.amdhsa_exception_fp_ieee_inexact 0
		.amdhsa_exception_int_div_zero 0
	.end_amdhsa_kernel
	.section	.text._ZN7rocprim17ROCPRIM_400000_NS6detail17trampoline_kernelINS0_14default_configENS1_38merge_sort_block_merge_config_selectorIiNS0_10empty_typeEEEZZNS1_27merge_sort_block_merge_implIS3_N6thrust23THRUST_200600_302600_NS6detail15normal_iteratorINS9_10device_ptrIiEEEEPS5_m9comp_mod3IiEEE10hipError_tT0_T1_T2_jT3_P12ihipStream_tbPNSt15iterator_traitsISJ_E10value_typeEPNSP_ISK_E10value_typeEPSL_NS1_7vsmem_tEENKUlT_SJ_SK_SL_E_clISE_PiSF_SF_EESI_SY_SJ_SK_SL_EUlSY_E1_NS1_11comp_targetILNS1_3genE8ELNS1_11target_archE1030ELNS1_3gpuE2ELNS1_3repE0EEENS1_36merge_oddeven_config_static_selectorELNS0_4arch9wavefront6targetE0EEEvSK_,"axG",@progbits,_ZN7rocprim17ROCPRIM_400000_NS6detail17trampoline_kernelINS0_14default_configENS1_38merge_sort_block_merge_config_selectorIiNS0_10empty_typeEEEZZNS1_27merge_sort_block_merge_implIS3_N6thrust23THRUST_200600_302600_NS6detail15normal_iteratorINS9_10device_ptrIiEEEEPS5_m9comp_mod3IiEEE10hipError_tT0_T1_T2_jT3_P12ihipStream_tbPNSt15iterator_traitsISJ_E10value_typeEPNSP_ISK_E10value_typeEPSL_NS1_7vsmem_tEENKUlT_SJ_SK_SL_E_clISE_PiSF_SF_EESI_SY_SJ_SK_SL_EUlSY_E1_NS1_11comp_targetILNS1_3genE8ELNS1_11target_archE1030ELNS1_3gpuE2ELNS1_3repE0EEENS1_36merge_oddeven_config_static_selectorELNS0_4arch9wavefront6targetE0EEEvSK_,comdat
.Lfunc_end1035:
	.size	_ZN7rocprim17ROCPRIM_400000_NS6detail17trampoline_kernelINS0_14default_configENS1_38merge_sort_block_merge_config_selectorIiNS0_10empty_typeEEEZZNS1_27merge_sort_block_merge_implIS3_N6thrust23THRUST_200600_302600_NS6detail15normal_iteratorINS9_10device_ptrIiEEEEPS5_m9comp_mod3IiEEE10hipError_tT0_T1_T2_jT3_P12ihipStream_tbPNSt15iterator_traitsISJ_E10value_typeEPNSP_ISK_E10value_typeEPSL_NS1_7vsmem_tEENKUlT_SJ_SK_SL_E_clISE_PiSF_SF_EESI_SY_SJ_SK_SL_EUlSY_E1_NS1_11comp_targetILNS1_3genE8ELNS1_11target_archE1030ELNS1_3gpuE2ELNS1_3repE0EEENS1_36merge_oddeven_config_static_selectorELNS0_4arch9wavefront6targetE0EEEvSK_, .Lfunc_end1035-_ZN7rocprim17ROCPRIM_400000_NS6detail17trampoline_kernelINS0_14default_configENS1_38merge_sort_block_merge_config_selectorIiNS0_10empty_typeEEEZZNS1_27merge_sort_block_merge_implIS3_N6thrust23THRUST_200600_302600_NS6detail15normal_iteratorINS9_10device_ptrIiEEEEPS5_m9comp_mod3IiEEE10hipError_tT0_T1_T2_jT3_P12ihipStream_tbPNSt15iterator_traitsISJ_E10value_typeEPNSP_ISK_E10value_typeEPSL_NS1_7vsmem_tEENKUlT_SJ_SK_SL_E_clISE_PiSF_SF_EESI_SY_SJ_SK_SL_EUlSY_E1_NS1_11comp_targetILNS1_3genE8ELNS1_11target_archE1030ELNS1_3gpuE2ELNS1_3repE0EEENS1_36merge_oddeven_config_static_selectorELNS0_4arch9wavefront6targetE0EEEvSK_
                                        ; -- End function
	.set _ZN7rocprim17ROCPRIM_400000_NS6detail17trampoline_kernelINS0_14default_configENS1_38merge_sort_block_merge_config_selectorIiNS0_10empty_typeEEEZZNS1_27merge_sort_block_merge_implIS3_N6thrust23THRUST_200600_302600_NS6detail15normal_iteratorINS9_10device_ptrIiEEEEPS5_m9comp_mod3IiEEE10hipError_tT0_T1_T2_jT3_P12ihipStream_tbPNSt15iterator_traitsISJ_E10value_typeEPNSP_ISK_E10value_typeEPSL_NS1_7vsmem_tEENKUlT_SJ_SK_SL_E_clISE_PiSF_SF_EESI_SY_SJ_SK_SL_EUlSY_E1_NS1_11comp_targetILNS1_3genE8ELNS1_11target_archE1030ELNS1_3gpuE2ELNS1_3repE0EEENS1_36merge_oddeven_config_static_selectorELNS0_4arch9wavefront6targetE0EEEvSK_.num_vgpr, 13
	.set _ZN7rocprim17ROCPRIM_400000_NS6detail17trampoline_kernelINS0_14default_configENS1_38merge_sort_block_merge_config_selectorIiNS0_10empty_typeEEEZZNS1_27merge_sort_block_merge_implIS3_N6thrust23THRUST_200600_302600_NS6detail15normal_iteratorINS9_10device_ptrIiEEEEPS5_m9comp_mod3IiEEE10hipError_tT0_T1_T2_jT3_P12ihipStream_tbPNSt15iterator_traitsISJ_E10value_typeEPNSP_ISK_E10value_typeEPSL_NS1_7vsmem_tEENKUlT_SJ_SK_SL_E_clISE_PiSF_SF_EESI_SY_SJ_SK_SL_EUlSY_E1_NS1_11comp_targetILNS1_3genE8ELNS1_11target_archE1030ELNS1_3gpuE2ELNS1_3repE0EEENS1_36merge_oddeven_config_static_selectorELNS0_4arch9wavefront6targetE0EEEvSK_.num_agpr, 0
	.set _ZN7rocprim17ROCPRIM_400000_NS6detail17trampoline_kernelINS0_14default_configENS1_38merge_sort_block_merge_config_selectorIiNS0_10empty_typeEEEZZNS1_27merge_sort_block_merge_implIS3_N6thrust23THRUST_200600_302600_NS6detail15normal_iteratorINS9_10device_ptrIiEEEEPS5_m9comp_mod3IiEEE10hipError_tT0_T1_T2_jT3_P12ihipStream_tbPNSt15iterator_traitsISJ_E10value_typeEPNSP_ISK_E10value_typeEPSL_NS1_7vsmem_tEENKUlT_SJ_SK_SL_E_clISE_PiSF_SF_EESI_SY_SJ_SK_SL_EUlSY_E1_NS1_11comp_targetILNS1_3genE8ELNS1_11target_archE1030ELNS1_3gpuE2ELNS1_3repE0EEENS1_36merge_oddeven_config_static_selectorELNS0_4arch9wavefront6targetE0EEEvSK_.numbered_sgpr, 18
	.set _ZN7rocprim17ROCPRIM_400000_NS6detail17trampoline_kernelINS0_14default_configENS1_38merge_sort_block_merge_config_selectorIiNS0_10empty_typeEEEZZNS1_27merge_sort_block_merge_implIS3_N6thrust23THRUST_200600_302600_NS6detail15normal_iteratorINS9_10device_ptrIiEEEEPS5_m9comp_mod3IiEEE10hipError_tT0_T1_T2_jT3_P12ihipStream_tbPNSt15iterator_traitsISJ_E10value_typeEPNSP_ISK_E10value_typeEPSL_NS1_7vsmem_tEENKUlT_SJ_SK_SL_E_clISE_PiSF_SF_EESI_SY_SJ_SK_SL_EUlSY_E1_NS1_11comp_targetILNS1_3genE8ELNS1_11target_archE1030ELNS1_3gpuE2ELNS1_3repE0EEENS1_36merge_oddeven_config_static_selectorELNS0_4arch9wavefront6targetE0EEEvSK_.num_named_barrier, 0
	.set _ZN7rocprim17ROCPRIM_400000_NS6detail17trampoline_kernelINS0_14default_configENS1_38merge_sort_block_merge_config_selectorIiNS0_10empty_typeEEEZZNS1_27merge_sort_block_merge_implIS3_N6thrust23THRUST_200600_302600_NS6detail15normal_iteratorINS9_10device_ptrIiEEEEPS5_m9comp_mod3IiEEE10hipError_tT0_T1_T2_jT3_P12ihipStream_tbPNSt15iterator_traitsISJ_E10value_typeEPNSP_ISK_E10value_typeEPSL_NS1_7vsmem_tEENKUlT_SJ_SK_SL_E_clISE_PiSF_SF_EESI_SY_SJ_SK_SL_EUlSY_E1_NS1_11comp_targetILNS1_3genE8ELNS1_11target_archE1030ELNS1_3gpuE2ELNS1_3repE0EEENS1_36merge_oddeven_config_static_selectorELNS0_4arch9wavefront6targetE0EEEvSK_.private_seg_size, 0
	.set _ZN7rocprim17ROCPRIM_400000_NS6detail17trampoline_kernelINS0_14default_configENS1_38merge_sort_block_merge_config_selectorIiNS0_10empty_typeEEEZZNS1_27merge_sort_block_merge_implIS3_N6thrust23THRUST_200600_302600_NS6detail15normal_iteratorINS9_10device_ptrIiEEEEPS5_m9comp_mod3IiEEE10hipError_tT0_T1_T2_jT3_P12ihipStream_tbPNSt15iterator_traitsISJ_E10value_typeEPNSP_ISK_E10value_typeEPSL_NS1_7vsmem_tEENKUlT_SJ_SK_SL_E_clISE_PiSF_SF_EESI_SY_SJ_SK_SL_EUlSY_E1_NS1_11comp_targetILNS1_3genE8ELNS1_11target_archE1030ELNS1_3gpuE2ELNS1_3repE0EEENS1_36merge_oddeven_config_static_selectorELNS0_4arch9wavefront6targetE0EEEvSK_.uses_vcc, 1
	.set _ZN7rocprim17ROCPRIM_400000_NS6detail17trampoline_kernelINS0_14default_configENS1_38merge_sort_block_merge_config_selectorIiNS0_10empty_typeEEEZZNS1_27merge_sort_block_merge_implIS3_N6thrust23THRUST_200600_302600_NS6detail15normal_iteratorINS9_10device_ptrIiEEEEPS5_m9comp_mod3IiEEE10hipError_tT0_T1_T2_jT3_P12ihipStream_tbPNSt15iterator_traitsISJ_E10value_typeEPNSP_ISK_E10value_typeEPSL_NS1_7vsmem_tEENKUlT_SJ_SK_SL_E_clISE_PiSF_SF_EESI_SY_SJ_SK_SL_EUlSY_E1_NS1_11comp_targetILNS1_3genE8ELNS1_11target_archE1030ELNS1_3gpuE2ELNS1_3repE0EEENS1_36merge_oddeven_config_static_selectorELNS0_4arch9wavefront6targetE0EEEvSK_.uses_flat_scratch, 0
	.set _ZN7rocprim17ROCPRIM_400000_NS6detail17trampoline_kernelINS0_14default_configENS1_38merge_sort_block_merge_config_selectorIiNS0_10empty_typeEEEZZNS1_27merge_sort_block_merge_implIS3_N6thrust23THRUST_200600_302600_NS6detail15normal_iteratorINS9_10device_ptrIiEEEEPS5_m9comp_mod3IiEEE10hipError_tT0_T1_T2_jT3_P12ihipStream_tbPNSt15iterator_traitsISJ_E10value_typeEPNSP_ISK_E10value_typeEPSL_NS1_7vsmem_tEENKUlT_SJ_SK_SL_E_clISE_PiSF_SF_EESI_SY_SJ_SK_SL_EUlSY_E1_NS1_11comp_targetILNS1_3genE8ELNS1_11target_archE1030ELNS1_3gpuE2ELNS1_3repE0EEENS1_36merge_oddeven_config_static_selectorELNS0_4arch9wavefront6targetE0EEEvSK_.has_dyn_sized_stack, 0
	.set _ZN7rocprim17ROCPRIM_400000_NS6detail17trampoline_kernelINS0_14default_configENS1_38merge_sort_block_merge_config_selectorIiNS0_10empty_typeEEEZZNS1_27merge_sort_block_merge_implIS3_N6thrust23THRUST_200600_302600_NS6detail15normal_iteratorINS9_10device_ptrIiEEEEPS5_m9comp_mod3IiEEE10hipError_tT0_T1_T2_jT3_P12ihipStream_tbPNSt15iterator_traitsISJ_E10value_typeEPNSP_ISK_E10value_typeEPSL_NS1_7vsmem_tEENKUlT_SJ_SK_SL_E_clISE_PiSF_SF_EESI_SY_SJ_SK_SL_EUlSY_E1_NS1_11comp_targetILNS1_3genE8ELNS1_11target_archE1030ELNS1_3gpuE2ELNS1_3repE0EEENS1_36merge_oddeven_config_static_selectorELNS0_4arch9wavefront6targetE0EEEvSK_.has_recursion, 0
	.set _ZN7rocprim17ROCPRIM_400000_NS6detail17trampoline_kernelINS0_14default_configENS1_38merge_sort_block_merge_config_selectorIiNS0_10empty_typeEEEZZNS1_27merge_sort_block_merge_implIS3_N6thrust23THRUST_200600_302600_NS6detail15normal_iteratorINS9_10device_ptrIiEEEEPS5_m9comp_mod3IiEEE10hipError_tT0_T1_T2_jT3_P12ihipStream_tbPNSt15iterator_traitsISJ_E10value_typeEPNSP_ISK_E10value_typeEPSL_NS1_7vsmem_tEENKUlT_SJ_SK_SL_E_clISE_PiSF_SF_EESI_SY_SJ_SK_SL_EUlSY_E1_NS1_11comp_targetILNS1_3genE8ELNS1_11target_archE1030ELNS1_3gpuE2ELNS1_3repE0EEENS1_36merge_oddeven_config_static_selectorELNS0_4arch9wavefront6targetE0EEEvSK_.has_indirect_call, 0
	.section	.AMDGPU.csdata,"",@progbits
; Kernel info:
; codeLenInByte = 896
; TotalNumSgprs: 20
; NumVgprs: 13
; ScratchSize: 0
; MemoryBound: 0
; FloatMode: 240
; IeeeMode: 1
; LDSByteSize: 0 bytes/workgroup (compile time only)
; SGPRBlocks: 0
; VGPRBlocks: 1
; NumSGPRsForWavesPerEU: 20
; NumVGPRsForWavesPerEU: 13
; Occupancy: 16
; WaveLimiterHint : 1
; COMPUTE_PGM_RSRC2:SCRATCH_EN: 0
; COMPUTE_PGM_RSRC2:USER_SGPR: 6
; COMPUTE_PGM_RSRC2:TRAP_HANDLER: 0
; COMPUTE_PGM_RSRC2:TGID_X_EN: 1
; COMPUTE_PGM_RSRC2:TGID_Y_EN: 0
; COMPUTE_PGM_RSRC2:TGID_Z_EN: 0
; COMPUTE_PGM_RSRC2:TIDIG_COMP_CNT: 0
	.section	.text._ZN7rocprim17ROCPRIM_400000_NS6detail17trampoline_kernelINS0_14default_configENS1_37merge_sort_block_sort_config_selectorIsNS0_10empty_typeEEEZNS1_21merge_sort_block_sortIS3_N6thrust23THRUST_200600_302600_NS6detail15normal_iteratorINS9_10device_ptrIsEEEESE_PS5_SF_9comp_mod3IsEEE10hipError_tT0_T1_T2_T3_mRjT4_P12ihipStream_tbNS1_7vsmem_tEEUlT_E_NS1_11comp_targetILNS1_3genE0ELNS1_11target_archE4294967295ELNS1_3gpuE0ELNS1_3repE0EEENS1_30default_config_static_selectorELNS0_4arch9wavefront6targetE0EEEvSK_,"axG",@progbits,_ZN7rocprim17ROCPRIM_400000_NS6detail17trampoline_kernelINS0_14default_configENS1_37merge_sort_block_sort_config_selectorIsNS0_10empty_typeEEEZNS1_21merge_sort_block_sortIS3_N6thrust23THRUST_200600_302600_NS6detail15normal_iteratorINS9_10device_ptrIsEEEESE_PS5_SF_9comp_mod3IsEEE10hipError_tT0_T1_T2_T3_mRjT4_P12ihipStream_tbNS1_7vsmem_tEEUlT_E_NS1_11comp_targetILNS1_3genE0ELNS1_11target_archE4294967295ELNS1_3gpuE0ELNS1_3repE0EEENS1_30default_config_static_selectorELNS0_4arch9wavefront6targetE0EEEvSK_,comdat
	.protected	_ZN7rocprim17ROCPRIM_400000_NS6detail17trampoline_kernelINS0_14default_configENS1_37merge_sort_block_sort_config_selectorIsNS0_10empty_typeEEEZNS1_21merge_sort_block_sortIS3_N6thrust23THRUST_200600_302600_NS6detail15normal_iteratorINS9_10device_ptrIsEEEESE_PS5_SF_9comp_mod3IsEEE10hipError_tT0_T1_T2_T3_mRjT4_P12ihipStream_tbNS1_7vsmem_tEEUlT_E_NS1_11comp_targetILNS1_3genE0ELNS1_11target_archE4294967295ELNS1_3gpuE0ELNS1_3repE0EEENS1_30default_config_static_selectorELNS0_4arch9wavefront6targetE0EEEvSK_ ; -- Begin function _ZN7rocprim17ROCPRIM_400000_NS6detail17trampoline_kernelINS0_14default_configENS1_37merge_sort_block_sort_config_selectorIsNS0_10empty_typeEEEZNS1_21merge_sort_block_sortIS3_N6thrust23THRUST_200600_302600_NS6detail15normal_iteratorINS9_10device_ptrIsEEEESE_PS5_SF_9comp_mod3IsEEE10hipError_tT0_T1_T2_T3_mRjT4_P12ihipStream_tbNS1_7vsmem_tEEUlT_E_NS1_11comp_targetILNS1_3genE0ELNS1_11target_archE4294967295ELNS1_3gpuE0ELNS1_3repE0EEENS1_30default_config_static_selectorELNS0_4arch9wavefront6targetE0EEEvSK_
	.globl	_ZN7rocprim17ROCPRIM_400000_NS6detail17trampoline_kernelINS0_14default_configENS1_37merge_sort_block_sort_config_selectorIsNS0_10empty_typeEEEZNS1_21merge_sort_block_sortIS3_N6thrust23THRUST_200600_302600_NS6detail15normal_iteratorINS9_10device_ptrIsEEEESE_PS5_SF_9comp_mod3IsEEE10hipError_tT0_T1_T2_T3_mRjT4_P12ihipStream_tbNS1_7vsmem_tEEUlT_E_NS1_11comp_targetILNS1_3genE0ELNS1_11target_archE4294967295ELNS1_3gpuE0ELNS1_3repE0EEENS1_30default_config_static_selectorELNS0_4arch9wavefront6targetE0EEEvSK_
	.p2align	8
	.type	_ZN7rocprim17ROCPRIM_400000_NS6detail17trampoline_kernelINS0_14default_configENS1_37merge_sort_block_sort_config_selectorIsNS0_10empty_typeEEEZNS1_21merge_sort_block_sortIS3_N6thrust23THRUST_200600_302600_NS6detail15normal_iteratorINS9_10device_ptrIsEEEESE_PS5_SF_9comp_mod3IsEEE10hipError_tT0_T1_T2_T3_mRjT4_P12ihipStream_tbNS1_7vsmem_tEEUlT_E_NS1_11comp_targetILNS1_3genE0ELNS1_11target_archE4294967295ELNS1_3gpuE0ELNS1_3repE0EEENS1_30default_config_static_selectorELNS0_4arch9wavefront6targetE0EEEvSK_,@function
_ZN7rocprim17ROCPRIM_400000_NS6detail17trampoline_kernelINS0_14default_configENS1_37merge_sort_block_sort_config_selectorIsNS0_10empty_typeEEEZNS1_21merge_sort_block_sortIS3_N6thrust23THRUST_200600_302600_NS6detail15normal_iteratorINS9_10device_ptrIsEEEESE_PS5_SF_9comp_mod3IsEEE10hipError_tT0_T1_T2_T3_mRjT4_P12ihipStream_tbNS1_7vsmem_tEEUlT_E_NS1_11comp_targetILNS1_3genE0ELNS1_11target_archE4294967295ELNS1_3gpuE0ELNS1_3repE0EEENS1_30default_config_static_selectorELNS0_4arch9wavefront6targetE0EEEvSK_: ; @_ZN7rocprim17ROCPRIM_400000_NS6detail17trampoline_kernelINS0_14default_configENS1_37merge_sort_block_sort_config_selectorIsNS0_10empty_typeEEEZNS1_21merge_sort_block_sortIS3_N6thrust23THRUST_200600_302600_NS6detail15normal_iteratorINS9_10device_ptrIsEEEESE_PS5_SF_9comp_mod3IsEEE10hipError_tT0_T1_T2_T3_mRjT4_P12ihipStream_tbNS1_7vsmem_tEEUlT_E_NS1_11comp_targetILNS1_3genE0ELNS1_11target_archE4294967295ELNS1_3gpuE0ELNS1_3repE0EEENS1_30default_config_static_selectorELNS0_4arch9wavefront6targetE0EEEvSK_
; %bb.0:
	.section	.rodata,"a",@progbits
	.p2align	6, 0x0
	.amdhsa_kernel _ZN7rocprim17ROCPRIM_400000_NS6detail17trampoline_kernelINS0_14default_configENS1_37merge_sort_block_sort_config_selectorIsNS0_10empty_typeEEEZNS1_21merge_sort_block_sortIS3_N6thrust23THRUST_200600_302600_NS6detail15normal_iteratorINS9_10device_ptrIsEEEESE_PS5_SF_9comp_mod3IsEEE10hipError_tT0_T1_T2_T3_mRjT4_P12ihipStream_tbNS1_7vsmem_tEEUlT_E_NS1_11comp_targetILNS1_3genE0ELNS1_11target_archE4294967295ELNS1_3gpuE0ELNS1_3repE0EEENS1_30default_config_static_selectorELNS0_4arch9wavefront6targetE0EEEvSK_
		.amdhsa_group_segment_fixed_size 0
		.amdhsa_private_segment_fixed_size 0
		.amdhsa_kernarg_size 64
		.amdhsa_user_sgpr_count 6
		.amdhsa_user_sgpr_private_segment_buffer 1
		.amdhsa_user_sgpr_dispatch_ptr 0
		.amdhsa_user_sgpr_queue_ptr 0
		.amdhsa_user_sgpr_kernarg_segment_ptr 1
		.amdhsa_user_sgpr_dispatch_id 0
		.amdhsa_user_sgpr_flat_scratch_init 0
		.amdhsa_user_sgpr_private_segment_size 0
		.amdhsa_wavefront_size32 1
		.amdhsa_uses_dynamic_stack 0
		.amdhsa_system_sgpr_private_segment_wavefront_offset 0
		.amdhsa_system_sgpr_workgroup_id_x 1
		.amdhsa_system_sgpr_workgroup_id_y 0
		.amdhsa_system_sgpr_workgroup_id_z 0
		.amdhsa_system_sgpr_workgroup_info 0
		.amdhsa_system_vgpr_workitem_id 0
		.amdhsa_next_free_vgpr 1
		.amdhsa_next_free_sgpr 1
		.amdhsa_reserve_vcc 0
		.amdhsa_reserve_flat_scratch 0
		.amdhsa_float_round_mode_32 0
		.amdhsa_float_round_mode_16_64 0
		.amdhsa_float_denorm_mode_32 3
		.amdhsa_float_denorm_mode_16_64 3
		.amdhsa_dx10_clamp 1
		.amdhsa_ieee_mode 1
		.amdhsa_fp16_overflow 0
		.amdhsa_workgroup_processor_mode 1
		.amdhsa_memory_ordered 1
		.amdhsa_forward_progress 1
		.amdhsa_shared_vgpr_count 0
		.amdhsa_exception_fp_ieee_invalid_op 0
		.amdhsa_exception_fp_denorm_src 0
		.amdhsa_exception_fp_ieee_div_zero 0
		.amdhsa_exception_fp_ieee_overflow 0
		.amdhsa_exception_fp_ieee_underflow 0
		.amdhsa_exception_fp_ieee_inexact 0
		.amdhsa_exception_int_div_zero 0
	.end_amdhsa_kernel
	.section	.text._ZN7rocprim17ROCPRIM_400000_NS6detail17trampoline_kernelINS0_14default_configENS1_37merge_sort_block_sort_config_selectorIsNS0_10empty_typeEEEZNS1_21merge_sort_block_sortIS3_N6thrust23THRUST_200600_302600_NS6detail15normal_iteratorINS9_10device_ptrIsEEEESE_PS5_SF_9comp_mod3IsEEE10hipError_tT0_T1_T2_T3_mRjT4_P12ihipStream_tbNS1_7vsmem_tEEUlT_E_NS1_11comp_targetILNS1_3genE0ELNS1_11target_archE4294967295ELNS1_3gpuE0ELNS1_3repE0EEENS1_30default_config_static_selectorELNS0_4arch9wavefront6targetE0EEEvSK_,"axG",@progbits,_ZN7rocprim17ROCPRIM_400000_NS6detail17trampoline_kernelINS0_14default_configENS1_37merge_sort_block_sort_config_selectorIsNS0_10empty_typeEEEZNS1_21merge_sort_block_sortIS3_N6thrust23THRUST_200600_302600_NS6detail15normal_iteratorINS9_10device_ptrIsEEEESE_PS5_SF_9comp_mod3IsEEE10hipError_tT0_T1_T2_T3_mRjT4_P12ihipStream_tbNS1_7vsmem_tEEUlT_E_NS1_11comp_targetILNS1_3genE0ELNS1_11target_archE4294967295ELNS1_3gpuE0ELNS1_3repE0EEENS1_30default_config_static_selectorELNS0_4arch9wavefront6targetE0EEEvSK_,comdat
.Lfunc_end1036:
	.size	_ZN7rocprim17ROCPRIM_400000_NS6detail17trampoline_kernelINS0_14default_configENS1_37merge_sort_block_sort_config_selectorIsNS0_10empty_typeEEEZNS1_21merge_sort_block_sortIS3_N6thrust23THRUST_200600_302600_NS6detail15normal_iteratorINS9_10device_ptrIsEEEESE_PS5_SF_9comp_mod3IsEEE10hipError_tT0_T1_T2_T3_mRjT4_P12ihipStream_tbNS1_7vsmem_tEEUlT_E_NS1_11comp_targetILNS1_3genE0ELNS1_11target_archE4294967295ELNS1_3gpuE0ELNS1_3repE0EEENS1_30default_config_static_selectorELNS0_4arch9wavefront6targetE0EEEvSK_, .Lfunc_end1036-_ZN7rocprim17ROCPRIM_400000_NS6detail17trampoline_kernelINS0_14default_configENS1_37merge_sort_block_sort_config_selectorIsNS0_10empty_typeEEEZNS1_21merge_sort_block_sortIS3_N6thrust23THRUST_200600_302600_NS6detail15normal_iteratorINS9_10device_ptrIsEEEESE_PS5_SF_9comp_mod3IsEEE10hipError_tT0_T1_T2_T3_mRjT4_P12ihipStream_tbNS1_7vsmem_tEEUlT_E_NS1_11comp_targetILNS1_3genE0ELNS1_11target_archE4294967295ELNS1_3gpuE0ELNS1_3repE0EEENS1_30default_config_static_selectorELNS0_4arch9wavefront6targetE0EEEvSK_
                                        ; -- End function
	.set _ZN7rocprim17ROCPRIM_400000_NS6detail17trampoline_kernelINS0_14default_configENS1_37merge_sort_block_sort_config_selectorIsNS0_10empty_typeEEEZNS1_21merge_sort_block_sortIS3_N6thrust23THRUST_200600_302600_NS6detail15normal_iteratorINS9_10device_ptrIsEEEESE_PS5_SF_9comp_mod3IsEEE10hipError_tT0_T1_T2_T3_mRjT4_P12ihipStream_tbNS1_7vsmem_tEEUlT_E_NS1_11comp_targetILNS1_3genE0ELNS1_11target_archE4294967295ELNS1_3gpuE0ELNS1_3repE0EEENS1_30default_config_static_selectorELNS0_4arch9wavefront6targetE0EEEvSK_.num_vgpr, 0
	.set _ZN7rocprim17ROCPRIM_400000_NS6detail17trampoline_kernelINS0_14default_configENS1_37merge_sort_block_sort_config_selectorIsNS0_10empty_typeEEEZNS1_21merge_sort_block_sortIS3_N6thrust23THRUST_200600_302600_NS6detail15normal_iteratorINS9_10device_ptrIsEEEESE_PS5_SF_9comp_mod3IsEEE10hipError_tT0_T1_T2_T3_mRjT4_P12ihipStream_tbNS1_7vsmem_tEEUlT_E_NS1_11comp_targetILNS1_3genE0ELNS1_11target_archE4294967295ELNS1_3gpuE0ELNS1_3repE0EEENS1_30default_config_static_selectorELNS0_4arch9wavefront6targetE0EEEvSK_.num_agpr, 0
	.set _ZN7rocprim17ROCPRIM_400000_NS6detail17trampoline_kernelINS0_14default_configENS1_37merge_sort_block_sort_config_selectorIsNS0_10empty_typeEEEZNS1_21merge_sort_block_sortIS3_N6thrust23THRUST_200600_302600_NS6detail15normal_iteratorINS9_10device_ptrIsEEEESE_PS5_SF_9comp_mod3IsEEE10hipError_tT0_T1_T2_T3_mRjT4_P12ihipStream_tbNS1_7vsmem_tEEUlT_E_NS1_11comp_targetILNS1_3genE0ELNS1_11target_archE4294967295ELNS1_3gpuE0ELNS1_3repE0EEENS1_30default_config_static_selectorELNS0_4arch9wavefront6targetE0EEEvSK_.numbered_sgpr, 0
	.set _ZN7rocprim17ROCPRIM_400000_NS6detail17trampoline_kernelINS0_14default_configENS1_37merge_sort_block_sort_config_selectorIsNS0_10empty_typeEEEZNS1_21merge_sort_block_sortIS3_N6thrust23THRUST_200600_302600_NS6detail15normal_iteratorINS9_10device_ptrIsEEEESE_PS5_SF_9comp_mod3IsEEE10hipError_tT0_T1_T2_T3_mRjT4_P12ihipStream_tbNS1_7vsmem_tEEUlT_E_NS1_11comp_targetILNS1_3genE0ELNS1_11target_archE4294967295ELNS1_3gpuE0ELNS1_3repE0EEENS1_30default_config_static_selectorELNS0_4arch9wavefront6targetE0EEEvSK_.num_named_barrier, 0
	.set _ZN7rocprim17ROCPRIM_400000_NS6detail17trampoline_kernelINS0_14default_configENS1_37merge_sort_block_sort_config_selectorIsNS0_10empty_typeEEEZNS1_21merge_sort_block_sortIS3_N6thrust23THRUST_200600_302600_NS6detail15normal_iteratorINS9_10device_ptrIsEEEESE_PS5_SF_9comp_mod3IsEEE10hipError_tT0_T1_T2_T3_mRjT4_P12ihipStream_tbNS1_7vsmem_tEEUlT_E_NS1_11comp_targetILNS1_3genE0ELNS1_11target_archE4294967295ELNS1_3gpuE0ELNS1_3repE0EEENS1_30default_config_static_selectorELNS0_4arch9wavefront6targetE0EEEvSK_.private_seg_size, 0
	.set _ZN7rocprim17ROCPRIM_400000_NS6detail17trampoline_kernelINS0_14default_configENS1_37merge_sort_block_sort_config_selectorIsNS0_10empty_typeEEEZNS1_21merge_sort_block_sortIS3_N6thrust23THRUST_200600_302600_NS6detail15normal_iteratorINS9_10device_ptrIsEEEESE_PS5_SF_9comp_mod3IsEEE10hipError_tT0_T1_T2_T3_mRjT4_P12ihipStream_tbNS1_7vsmem_tEEUlT_E_NS1_11comp_targetILNS1_3genE0ELNS1_11target_archE4294967295ELNS1_3gpuE0ELNS1_3repE0EEENS1_30default_config_static_selectorELNS0_4arch9wavefront6targetE0EEEvSK_.uses_vcc, 0
	.set _ZN7rocprim17ROCPRIM_400000_NS6detail17trampoline_kernelINS0_14default_configENS1_37merge_sort_block_sort_config_selectorIsNS0_10empty_typeEEEZNS1_21merge_sort_block_sortIS3_N6thrust23THRUST_200600_302600_NS6detail15normal_iteratorINS9_10device_ptrIsEEEESE_PS5_SF_9comp_mod3IsEEE10hipError_tT0_T1_T2_T3_mRjT4_P12ihipStream_tbNS1_7vsmem_tEEUlT_E_NS1_11comp_targetILNS1_3genE0ELNS1_11target_archE4294967295ELNS1_3gpuE0ELNS1_3repE0EEENS1_30default_config_static_selectorELNS0_4arch9wavefront6targetE0EEEvSK_.uses_flat_scratch, 0
	.set _ZN7rocprim17ROCPRIM_400000_NS6detail17trampoline_kernelINS0_14default_configENS1_37merge_sort_block_sort_config_selectorIsNS0_10empty_typeEEEZNS1_21merge_sort_block_sortIS3_N6thrust23THRUST_200600_302600_NS6detail15normal_iteratorINS9_10device_ptrIsEEEESE_PS5_SF_9comp_mod3IsEEE10hipError_tT0_T1_T2_T3_mRjT4_P12ihipStream_tbNS1_7vsmem_tEEUlT_E_NS1_11comp_targetILNS1_3genE0ELNS1_11target_archE4294967295ELNS1_3gpuE0ELNS1_3repE0EEENS1_30default_config_static_selectorELNS0_4arch9wavefront6targetE0EEEvSK_.has_dyn_sized_stack, 0
	.set _ZN7rocprim17ROCPRIM_400000_NS6detail17trampoline_kernelINS0_14default_configENS1_37merge_sort_block_sort_config_selectorIsNS0_10empty_typeEEEZNS1_21merge_sort_block_sortIS3_N6thrust23THRUST_200600_302600_NS6detail15normal_iteratorINS9_10device_ptrIsEEEESE_PS5_SF_9comp_mod3IsEEE10hipError_tT0_T1_T2_T3_mRjT4_P12ihipStream_tbNS1_7vsmem_tEEUlT_E_NS1_11comp_targetILNS1_3genE0ELNS1_11target_archE4294967295ELNS1_3gpuE0ELNS1_3repE0EEENS1_30default_config_static_selectorELNS0_4arch9wavefront6targetE0EEEvSK_.has_recursion, 0
	.set _ZN7rocprim17ROCPRIM_400000_NS6detail17trampoline_kernelINS0_14default_configENS1_37merge_sort_block_sort_config_selectorIsNS0_10empty_typeEEEZNS1_21merge_sort_block_sortIS3_N6thrust23THRUST_200600_302600_NS6detail15normal_iteratorINS9_10device_ptrIsEEEESE_PS5_SF_9comp_mod3IsEEE10hipError_tT0_T1_T2_T3_mRjT4_P12ihipStream_tbNS1_7vsmem_tEEUlT_E_NS1_11comp_targetILNS1_3genE0ELNS1_11target_archE4294967295ELNS1_3gpuE0ELNS1_3repE0EEENS1_30default_config_static_selectorELNS0_4arch9wavefront6targetE0EEEvSK_.has_indirect_call, 0
	.section	.AMDGPU.csdata,"",@progbits
; Kernel info:
; codeLenInByte = 0
; TotalNumSgprs: 0
; NumVgprs: 0
; ScratchSize: 0
; MemoryBound: 0
; FloatMode: 240
; IeeeMode: 1
; LDSByteSize: 0 bytes/workgroup (compile time only)
; SGPRBlocks: 0
; VGPRBlocks: 0
; NumSGPRsForWavesPerEU: 1
; NumVGPRsForWavesPerEU: 1
; Occupancy: 16
; WaveLimiterHint : 0
; COMPUTE_PGM_RSRC2:SCRATCH_EN: 0
; COMPUTE_PGM_RSRC2:USER_SGPR: 6
; COMPUTE_PGM_RSRC2:TRAP_HANDLER: 0
; COMPUTE_PGM_RSRC2:TGID_X_EN: 1
; COMPUTE_PGM_RSRC2:TGID_Y_EN: 0
; COMPUTE_PGM_RSRC2:TGID_Z_EN: 0
; COMPUTE_PGM_RSRC2:TIDIG_COMP_CNT: 0
	.section	.text._ZN7rocprim17ROCPRIM_400000_NS6detail17trampoline_kernelINS0_14default_configENS1_37merge_sort_block_sort_config_selectorIsNS0_10empty_typeEEEZNS1_21merge_sort_block_sortIS3_N6thrust23THRUST_200600_302600_NS6detail15normal_iteratorINS9_10device_ptrIsEEEESE_PS5_SF_9comp_mod3IsEEE10hipError_tT0_T1_T2_T3_mRjT4_P12ihipStream_tbNS1_7vsmem_tEEUlT_E_NS1_11comp_targetILNS1_3genE5ELNS1_11target_archE942ELNS1_3gpuE9ELNS1_3repE0EEENS1_30default_config_static_selectorELNS0_4arch9wavefront6targetE0EEEvSK_,"axG",@progbits,_ZN7rocprim17ROCPRIM_400000_NS6detail17trampoline_kernelINS0_14default_configENS1_37merge_sort_block_sort_config_selectorIsNS0_10empty_typeEEEZNS1_21merge_sort_block_sortIS3_N6thrust23THRUST_200600_302600_NS6detail15normal_iteratorINS9_10device_ptrIsEEEESE_PS5_SF_9comp_mod3IsEEE10hipError_tT0_T1_T2_T3_mRjT4_P12ihipStream_tbNS1_7vsmem_tEEUlT_E_NS1_11comp_targetILNS1_3genE5ELNS1_11target_archE942ELNS1_3gpuE9ELNS1_3repE0EEENS1_30default_config_static_selectorELNS0_4arch9wavefront6targetE0EEEvSK_,comdat
	.protected	_ZN7rocprim17ROCPRIM_400000_NS6detail17trampoline_kernelINS0_14default_configENS1_37merge_sort_block_sort_config_selectorIsNS0_10empty_typeEEEZNS1_21merge_sort_block_sortIS3_N6thrust23THRUST_200600_302600_NS6detail15normal_iteratorINS9_10device_ptrIsEEEESE_PS5_SF_9comp_mod3IsEEE10hipError_tT0_T1_T2_T3_mRjT4_P12ihipStream_tbNS1_7vsmem_tEEUlT_E_NS1_11comp_targetILNS1_3genE5ELNS1_11target_archE942ELNS1_3gpuE9ELNS1_3repE0EEENS1_30default_config_static_selectorELNS0_4arch9wavefront6targetE0EEEvSK_ ; -- Begin function _ZN7rocprim17ROCPRIM_400000_NS6detail17trampoline_kernelINS0_14default_configENS1_37merge_sort_block_sort_config_selectorIsNS0_10empty_typeEEEZNS1_21merge_sort_block_sortIS3_N6thrust23THRUST_200600_302600_NS6detail15normal_iteratorINS9_10device_ptrIsEEEESE_PS5_SF_9comp_mod3IsEEE10hipError_tT0_T1_T2_T3_mRjT4_P12ihipStream_tbNS1_7vsmem_tEEUlT_E_NS1_11comp_targetILNS1_3genE5ELNS1_11target_archE942ELNS1_3gpuE9ELNS1_3repE0EEENS1_30default_config_static_selectorELNS0_4arch9wavefront6targetE0EEEvSK_
	.globl	_ZN7rocprim17ROCPRIM_400000_NS6detail17trampoline_kernelINS0_14default_configENS1_37merge_sort_block_sort_config_selectorIsNS0_10empty_typeEEEZNS1_21merge_sort_block_sortIS3_N6thrust23THRUST_200600_302600_NS6detail15normal_iteratorINS9_10device_ptrIsEEEESE_PS5_SF_9comp_mod3IsEEE10hipError_tT0_T1_T2_T3_mRjT4_P12ihipStream_tbNS1_7vsmem_tEEUlT_E_NS1_11comp_targetILNS1_3genE5ELNS1_11target_archE942ELNS1_3gpuE9ELNS1_3repE0EEENS1_30default_config_static_selectorELNS0_4arch9wavefront6targetE0EEEvSK_
	.p2align	8
	.type	_ZN7rocprim17ROCPRIM_400000_NS6detail17trampoline_kernelINS0_14default_configENS1_37merge_sort_block_sort_config_selectorIsNS0_10empty_typeEEEZNS1_21merge_sort_block_sortIS3_N6thrust23THRUST_200600_302600_NS6detail15normal_iteratorINS9_10device_ptrIsEEEESE_PS5_SF_9comp_mod3IsEEE10hipError_tT0_T1_T2_T3_mRjT4_P12ihipStream_tbNS1_7vsmem_tEEUlT_E_NS1_11comp_targetILNS1_3genE5ELNS1_11target_archE942ELNS1_3gpuE9ELNS1_3repE0EEENS1_30default_config_static_selectorELNS0_4arch9wavefront6targetE0EEEvSK_,@function
_ZN7rocprim17ROCPRIM_400000_NS6detail17trampoline_kernelINS0_14default_configENS1_37merge_sort_block_sort_config_selectorIsNS0_10empty_typeEEEZNS1_21merge_sort_block_sortIS3_N6thrust23THRUST_200600_302600_NS6detail15normal_iteratorINS9_10device_ptrIsEEEESE_PS5_SF_9comp_mod3IsEEE10hipError_tT0_T1_T2_T3_mRjT4_P12ihipStream_tbNS1_7vsmem_tEEUlT_E_NS1_11comp_targetILNS1_3genE5ELNS1_11target_archE942ELNS1_3gpuE9ELNS1_3repE0EEENS1_30default_config_static_selectorELNS0_4arch9wavefront6targetE0EEEvSK_: ; @_ZN7rocprim17ROCPRIM_400000_NS6detail17trampoline_kernelINS0_14default_configENS1_37merge_sort_block_sort_config_selectorIsNS0_10empty_typeEEEZNS1_21merge_sort_block_sortIS3_N6thrust23THRUST_200600_302600_NS6detail15normal_iteratorINS9_10device_ptrIsEEEESE_PS5_SF_9comp_mod3IsEEE10hipError_tT0_T1_T2_T3_mRjT4_P12ihipStream_tbNS1_7vsmem_tEEUlT_E_NS1_11comp_targetILNS1_3genE5ELNS1_11target_archE942ELNS1_3gpuE9ELNS1_3repE0EEENS1_30default_config_static_selectorELNS0_4arch9wavefront6targetE0EEEvSK_
; %bb.0:
	.section	.rodata,"a",@progbits
	.p2align	6, 0x0
	.amdhsa_kernel _ZN7rocprim17ROCPRIM_400000_NS6detail17trampoline_kernelINS0_14default_configENS1_37merge_sort_block_sort_config_selectorIsNS0_10empty_typeEEEZNS1_21merge_sort_block_sortIS3_N6thrust23THRUST_200600_302600_NS6detail15normal_iteratorINS9_10device_ptrIsEEEESE_PS5_SF_9comp_mod3IsEEE10hipError_tT0_T1_T2_T3_mRjT4_P12ihipStream_tbNS1_7vsmem_tEEUlT_E_NS1_11comp_targetILNS1_3genE5ELNS1_11target_archE942ELNS1_3gpuE9ELNS1_3repE0EEENS1_30default_config_static_selectorELNS0_4arch9wavefront6targetE0EEEvSK_
		.amdhsa_group_segment_fixed_size 0
		.amdhsa_private_segment_fixed_size 0
		.amdhsa_kernarg_size 64
		.amdhsa_user_sgpr_count 6
		.amdhsa_user_sgpr_private_segment_buffer 1
		.amdhsa_user_sgpr_dispatch_ptr 0
		.amdhsa_user_sgpr_queue_ptr 0
		.amdhsa_user_sgpr_kernarg_segment_ptr 1
		.amdhsa_user_sgpr_dispatch_id 0
		.amdhsa_user_sgpr_flat_scratch_init 0
		.amdhsa_user_sgpr_private_segment_size 0
		.amdhsa_wavefront_size32 1
		.amdhsa_uses_dynamic_stack 0
		.amdhsa_system_sgpr_private_segment_wavefront_offset 0
		.amdhsa_system_sgpr_workgroup_id_x 1
		.amdhsa_system_sgpr_workgroup_id_y 0
		.amdhsa_system_sgpr_workgroup_id_z 0
		.amdhsa_system_sgpr_workgroup_info 0
		.amdhsa_system_vgpr_workitem_id 0
		.amdhsa_next_free_vgpr 1
		.amdhsa_next_free_sgpr 1
		.amdhsa_reserve_vcc 0
		.amdhsa_reserve_flat_scratch 0
		.amdhsa_float_round_mode_32 0
		.amdhsa_float_round_mode_16_64 0
		.amdhsa_float_denorm_mode_32 3
		.amdhsa_float_denorm_mode_16_64 3
		.amdhsa_dx10_clamp 1
		.amdhsa_ieee_mode 1
		.amdhsa_fp16_overflow 0
		.amdhsa_workgroup_processor_mode 1
		.amdhsa_memory_ordered 1
		.amdhsa_forward_progress 1
		.amdhsa_shared_vgpr_count 0
		.amdhsa_exception_fp_ieee_invalid_op 0
		.amdhsa_exception_fp_denorm_src 0
		.amdhsa_exception_fp_ieee_div_zero 0
		.amdhsa_exception_fp_ieee_overflow 0
		.amdhsa_exception_fp_ieee_underflow 0
		.amdhsa_exception_fp_ieee_inexact 0
		.amdhsa_exception_int_div_zero 0
	.end_amdhsa_kernel
	.section	.text._ZN7rocprim17ROCPRIM_400000_NS6detail17trampoline_kernelINS0_14default_configENS1_37merge_sort_block_sort_config_selectorIsNS0_10empty_typeEEEZNS1_21merge_sort_block_sortIS3_N6thrust23THRUST_200600_302600_NS6detail15normal_iteratorINS9_10device_ptrIsEEEESE_PS5_SF_9comp_mod3IsEEE10hipError_tT0_T1_T2_T3_mRjT4_P12ihipStream_tbNS1_7vsmem_tEEUlT_E_NS1_11comp_targetILNS1_3genE5ELNS1_11target_archE942ELNS1_3gpuE9ELNS1_3repE0EEENS1_30default_config_static_selectorELNS0_4arch9wavefront6targetE0EEEvSK_,"axG",@progbits,_ZN7rocprim17ROCPRIM_400000_NS6detail17trampoline_kernelINS0_14default_configENS1_37merge_sort_block_sort_config_selectorIsNS0_10empty_typeEEEZNS1_21merge_sort_block_sortIS3_N6thrust23THRUST_200600_302600_NS6detail15normal_iteratorINS9_10device_ptrIsEEEESE_PS5_SF_9comp_mod3IsEEE10hipError_tT0_T1_T2_T3_mRjT4_P12ihipStream_tbNS1_7vsmem_tEEUlT_E_NS1_11comp_targetILNS1_3genE5ELNS1_11target_archE942ELNS1_3gpuE9ELNS1_3repE0EEENS1_30default_config_static_selectorELNS0_4arch9wavefront6targetE0EEEvSK_,comdat
.Lfunc_end1037:
	.size	_ZN7rocprim17ROCPRIM_400000_NS6detail17trampoline_kernelINS0_14default_configENS1_37merge_sort_block_sort_config_selectorIsNS0_10empty_typeEEEZNS1_21merge_sort_block_sortIS3_N6thrust23THRUST_200600_302600_NS6detail15normal_iteratorINS9_10device_ptrIsEEEESE_PS5_SF_9comp_mod3IsEEE10hipError_tT0_T1_T2_T3_mRjT4_P12ihipStream_tbNS1_7vsmem_tEEUlT_E_NS1_11comp_targetILNS1_3genE5ELNS1_11target_archE942ELNS1_3gpuE9ELNS1_3repE0EEENS1_30default_config_static_selectorELNS0_4arch9wavefront6targetE0EEEvSK_, .Lfunc_end1037-_ZN7rocprim17ROCPRIM_400000_NS6detail17trampoline_kernelINS0_14default_configENS1_37merge_sort_block_sort_config_selectorIsNS0_10empty_typeEEEZNS1_21merge_sort_block_sortIS3_N6thrust23THRUST_200600_302600_NS6detail15normal_iteratorINS9_10device_ptrIsEEEESE_PS5_SF_9comp_mod3IsEEE10hipError_tT0_T1_T2_T3_mRjT4_P12ihipStream_tbNS1_7vsmem_tEEUlT_E_NS1_11comp_targetILNS1_3genE5ELNS1_11target_archE942ELNS1_3gpuE9ELNS1_3repE0EEENS1_30default_config_static_selectorELNS0_4arch9wavefront6targetE0EEEvSK_
                                        ; -- End function
	.set _ZN7rocprim17ROCPRIM_400000_NS6detail17trampoline_kernelINS0_14default_configENS1_37merge_sort_block_sort_config_selectorIsNS0_10empty_typeEEEZNS1_21merge_sort_block_sortIS3_N6thrust23THRUST_200600_302600_NS6detail15normal_iteratorINS9_10device_ptrIsEEEESE_PS5_SF_9comp_mod3IsEEE10hipError_tT0_T1_T2_T3_mRjT4_P12ihipStream_tbNS1_7vsmem_tEEUlT_E_NS1_11comp_targetILNS1_3genE5ELNS1_11target_archE942ELNS1_3gpuE9ELNS1_3repE0EEENS1_30default_config_static_selectorELNS0_4arch9wavefront6targetE0EEEvSK_.num_vgpr, 0
	.set _ZN7rocprim17ROCPRIM_400000_NS6detail17trampoline_kernelINS0_14default_configENS1_37merge_sort_block_sort_config_selectorIsNS0_10empty_typeEEEZNS1_21merge_sort_block_sortIS3_N6thrust23THRUST_200600_302600_NS6detail15normal_iteratorINS9_10device_ptrIsEEEESE_PS5_SF_9comp_mod3IsEEE10hipError_tT0_T1_T2_T3_mRjT4_P12ihipStream_tbNS1_7vsmem_tEEUlT_E_NS1_11comp_targetILNS1_3genE5ELNS1_11target_archE942ELNS1_3gpuE9ELNS1_3repE0EEENS1_30default_config_static_selectorELNS0_4arch9wavefront6targetE0EEEvSK_.num_agpr, 0
	.set _ZN7rocprim17ROCPRIM_400000_NS6detail17trampoline_kernelINS0_14default_configENS1_37merge_sort_block_sort_config_selectorIsNS0_10empty_typeEEEZNS1_21merge_sort_block_sortIS3_N6thrust23THRUST_200600_302600_NS6detail15normal_iteratorINS9_10device_ptrIsEEEESE_PS5_SF_9comp_mod3IsEEE10hipError_tT0_T1_T2_T3_mRjT4_P12ihipStream_tbNS1_7vsmem_tEEUlT_E_NS1_11comp_targetILNS1_3genE5ELNS1_11target_archE942ELNS1_3gpuE9ELNS1_3repE0EEENS1_30default_config_static_selectorELNS0_4arch9wavefront6targetE0EEEvSK_.numbered_sgpr, 0
	.set _ZN7rocprim17ROCPRIM_400000_NS6detail17trampoline_kernelINS0_14default_configENS1_37merge_sort_block_sort_config_selectorIsNS0_10empty_typeEEEZNS1_21merge_sort_block_sortIS3_N6thrust23THRUST_200600_302600_NS6detail15normal_iteratorINS9_10device_ptrIsEEEESE_PS5_SF_9comp_mod3IsEEE10hipError_tT0_T1_T2_T3_mRjT4_P12ihipStream_tbNS1_7vsmem_tEEUlT_E_NS1_11comp_targetILNS1_3genE5ELNS1_11target_archE942ELNS1_3gpuE9ELNS1_3repE0EEENS1_30default_config_static_selectorELNS0_4arch9wavefront6targetE0EEEvSK_.num_named_barrier, 0
	.set _ZN7rocprim17ROCPRIM_400000_NS6detail17trampoline_kernelINS0_14default_configENS1_37merge_sort_block_sort_config_selectorIsNS0_10empty_typeEEEZNS1_21merge_sort_block_sortIS3_N6thrust23THRUST_200600_302600_NS6detail15normal_iteratorINS9_10device_ptrIsEEEESE_PS5_SF_9comp_mod3IsEEE10hipError_tT0_T1_T2_T3_mRjT4_P12ihipStream_tbNS1_7vsmem_tEEUlT_E_NS1_11comp_targetILNS1_3genE5ELNS1_11target_archE942ELNS1_3gpuE9ELNS1_3repE0EEENS1_30default_config_static_selectorELNS0_4arch9wavefront6targetE0EEEvSK_.private_seg_size, 0
	.set _ZN7rocprim17ROCPRIM_400000_NS6detail17trampoline_kernelINS0_14default_configENS1_37merge_sort_block_sort_config_selectorIsNS0_10empty_typeEEEZNS1_21merge_sort_block_sortIS3_N6thrust23THRUST_200600_302600_NS6detail15normal_iteratorINS9_10device_ptrIsEEEESE_PS5_SF_9comp_mod3IsEEE10hipError_tT0_T1_T2_T3_mRjT4_P12ihipStream_tbNS1_7vsmem_tEEUlT_E_NS1_11comp_targetILNS1_3genE5ELNS1_11target_archE942ELNS1_3gpuE9ELNS1_3repE0EEENS1_30default_config_static_selectorELNS0_4arch9wavefront6targetE0EEEvSK_.uses_vcc, 0
	.set _ZN7rocprim17ROCPRIM_400000_NS6detail17trampoline_kernelINS0_14default_configENS1_37merge_sort_block_sort_config_selectorIsNS0_10empty_typeEEEZNS1_21merge_sort_block_sortIS3_N6thrust23THRUST_200600_302600_NS6detail15normal_iteratorINS9_10device_ptrIsEEEESE_PS5_SF_9comp_mod3IsEEE10hipError_tT0_T1_T2_T3_mRjT4_P12ihipStream_tbNS1_7vsmem_tEEUlT_E_NS1_11comp_targetILNS1_3genE5ELNS1_11target_archE942ELNS1_3gpuE9ELNS1_3repE0EEENS1_30default_config_static_selectorELNS0_4arch9wavefront6targetE0EEEvSK_.uses_flat_scratch, 0
	.set _ZN7rocprim17ROCPRIM_400000_NS6detail17trampoline_kernelINS0_14default_configENS1_37merge_sort_block_sort_config_selectorIsNS0_10empty_typeEEEZNS1_21merge_sort_block_sortIS3_N6thrust23THRUST_200600_302600_NS6detail15normal_iteratorINS9_10device_ptrIsEEEESE_PS5_SF_9comp_mod3IsEEE10hipError_tT0_T1_T2_T3_mRjT4_P12ihipStream_tbNS1_7vsmem_tEEUlT_E_NS1_11comp_targetILNS1_3genE5ELNS1_11target_archE942ELNS1_3gpuE9ELNS1_3repE0EEENS1_30default_config_static_selectorELNS0_4arch9wavefront6targetE0EEEvSK_.has_dyn_sized_stack, 0
	.set _ZN7rocprim17ROCPRIM_400000_NS6detail17trampoline_kernelINS0_14default_configENS1_37merge_sort_block_sort_config_selectorIsNS0_10empty_typeEEEZNS1_21merge_sort_block_sortIS3_N6thrust23THRUST_200600_302600_NS6detail15normal_iteratorINS9_10device_ptrIsEEEESE_PS5_SF_9comp_mod3IsEEE10hipError_tT0_T1_T2_T3_mRjT4_P12ihipStream_tbNS1_7vsmem_tEEUlT_E_NS1_11comp_targetILNS1_3genE5ELNS1_11target_archE942ELNS1_3gpuE9ELNS1_3repE0EEENS1_30default_config_static_selectorELNS0_4arch9wavefront6targetE0EEEvSK_.has_recursion, 0
	.set _ZN7rocprim17ROCPRIM_400000_NS6detail17trampoline_kernelINS0_14default_configENS1_37merge_sort_block_sort_config_selectorIsNS0_10empty_typeEEEZNS1_21merge_sort_block_sortIS3_N6thrust23THRUST_200600_302600_NS6detail15normal_iteratorINS9_10device_ptrIsEEEESE_PS5_SF_9comp_mod3IsEEE10hipError_tT0_T1_T2_T3_mRjT4_P12ihipStream_tbNS1_7vsmem_tEEUlT_E_NS1_11comp_targetILNS1_3genE5ELNS1_11target_archE942ELNS1_3gpuE9ELNS1_3repE0EEENS1_30default_config_static_selectorELNS0_4arch9wavefront6targetE0EEEvSK_.has_indirect_call, 0
	.section	.AMDGPU.csdata,"",@progbits
; Kernel info:
; codeLenInByte = 0
; TotalNumSgprs: 0
; NumVgprs: 0
; ScratchSize: 0
; MemoryBound: 0
; FloatMode: 240
; IeeeMode: 1
; LDSByteSize: 0 bytes/workgroup (compile time only)
; SGPRBlocks: 0
; VGPRBlocks: 0
; NumSGPRsForWavesPerEU: 1
; NumVGPRsForWavesPerEU: 1
; Occupancy: 16
; WaveLimiterHint : 0
; COMPUTE_PGM_RSRC2:SCRATCH_EN: 0
; COMPUTE_PGM_RSRC2:USER_SGPR: 6
; COMPUTE_PGM_RSRC2:TRAP_HANDLER: 0
; COMPUTE_PGM_RSRC2:TGID_X_EN: 1
; COMPUTE_PGM_RSRC2:TGID_Y_EN: 0
; COMPUTE_PGM_RSRC2:TGID_Z_EN: 0
; COMPUTE_PGM_RSRC2:TIDIG_COMP_CNT: 0
	.section	.text._ZN7rocprim17ROCPRIM_400000_NS6detail17trampoline_kernelINS0_14default_configENS1_37merge_sort_block_sort_config_selectorIsNS0_10empty_typeEEEZNS1_21merge_sort_block_sortIS3_N6thrust23THRUST_200600_302600_NS6detail15normal_iteratorINS9_10device_ptrIsEEEESE_PS5_SF_9comp_mod3IsEEE10hipError_tT0_T1_T2_T3_mRjT4_P12ihipStream_tbNS1_7vsmem_tEEUlT_E_NS1_11comp_targetILNS1_3genE4ELNS1_11target_archE910ELNS1_3gpuE8ELNS1_3repE0EEENS1_30default_config_static_selectorELNS0_4arch9wavefront6targetE0EEEvSK_,"axG",@progbits,_ZN7rocprim17ROCPRIM_400000_NS6detail17trampoline_kernelINS0_14default_configENS1_37merge_sort_block_sort_config_selectorIsNS0_10empty_typeEEEZNS1_21merge_sort_block_sortIS3_N6thrust23THRUST_200600_302600_NS6detail15normal_iteratorINS9_10device_ptrIsEEEESE_PS5_SF_9comp_mod3IsEEE10hipError_tT0_T1_T2_T3_mRjT4_P12ihipStream_tbNS1_7vsmem_tEEUlT_E_NS1_11comp_targetILNS1_3genE4ELNS1_11target_archE910ELNS1_3gpuE8ELNS1_3repE0EEENS1_30default_config_static_selectorELNS0_4arch9wavefront6targetE0EEEvSK_,comdat
	.protected	_ZN7rocprim17ROCPRIM_400000_NS6detail17trampoline_kernelINS0_14default_configENS1_37merge_sort_block_sort_config_selectorIsNS0_10empty_typeEEEZNS1_21merge_sort_block_sortIS3_N6thrust23THRUST_200600_302600_NS6detail15normal_iteratorINS9_10device_ptrIsEEEESE_PS5_SF_9comp_mod3IsEEE10hipError_tT0_T1_T2_T3_mRjT4_P12ihipStream_tbNS1_7vsmem_tEEUlT_E_NS1_11comp_targetILNS1_3genE4ELNS1_11target_archE910ELNS1_3gpuE8ELNS1_3repE0EEENS1_30default_config_static_selectorELNS0_4arch9wavefront6targetE0EEEvSK_ ; -- Begin function _ZN7rocprim17ROCPRIM_400000_NS6detail17trampoline_kernelINS0_14default_configENS1_37merge_sort_block_sort_config_selectorIsNS0_10empty_typeEEEZNS1_21merge_sort_block_sortIS3_N6thrust23THRUST_200600_302600_NS6detail15normal_iteratorINS9_10device_ptrIsEEEESE_PS5_SF_9comp_mod3IsEEE10hipError_tT0_T1_T2_T3_mRjT4_P12ihipStream_tbNS1_7vsmem_tEEUlT_E_NS1_11comp_targetILNS1_3genE4ELNS1_11target_archE910ELNS1_3gpuE8ELNS1_3repE0EEENS1_30default_config_static_selectorELNS0_4arch9wavefront6targetE0EEEvSK_
	.globl	_ZN7rocprim17ROCPRIM_400000_NS6detail17trampoline_kernelINS0_14default_configENS1_37merge_sort_block_sort_config_selectorIsNS0_10empty_typeEEEZNS1_21merge_sort_block_sortIS3_N6thrust23THRUST_200600_302600_NS6detail15normal_iteratorINS9_10device_ptrIsEEEESE_PS5_SF_9comp_mod3IsEEE10hipError_tT0_T1_T2_T3_mRjT4_P12ihipStream_tbNS1_7vsmem_tEEUlT_E_NS1_11comp_targetILNS1_3genE4ELNS1_11target_archE910ELNS1_3gpuE8ELNS1_3repE0EEENS1_30default_config_static_selectorELNS0_4arch9wavefront6targetE0EEEvSK_
	.p2align	8
	.type	_ZN7rocprim17ROCPRIM_400000_NS6detail17trampoline_kernelINS0_14default_configENS1_37merge_sort_block_sort_config_selectorIsNS0_10empty_typeEEEZNS1_21merge_sort_block_sortIS3_N6thrust23THRUST_200600_302600_NS6detail15normal_iteratorINS9_10device_ptrIsEEEESE_PS5_SF_9comp_mod3IsEEE10hipError_tT0_T1_T2_T3_mRjT4_P12ihipStream_tbNS1_7vsmem_tEEUlT_E_NS1_11comp_targetILNS1_3genE4ELNS1_11target_archE910ELNS1_3gpuE8ELNS1_3repE0EEENS1_30default_config_static_selectorELNS0_4arch9wavefront6targetE0EEEvSK_,@function
_ZN7rocprim17ROCPRIM_400000_NS6detail17trampoline_kernelINS0_14default_configENS1_37merge_sort_block_sort_config_selectorIsNS0_10empty_typeEEEZNS1_21merge_sort_block_sortIS3_N6thrust23THRUST_200600_302600_NS6detail15normal_iteratorINS9_10device_ptrIsEEEESE_PS5_SF_9comp_mod3IsEEE10hipError_tT0_T1_T2_T3_mRjT4_P12ihipStream_tbNS1_7vsmem_tEEUlT_E_NS1_11comp_targetILNS1_3genE4ELNS1_11target_archE910ELNS1_3gpuE8ELNS1_3repE0EEENS1_30default_config_static_selectorELNS0_4arch9wavefront6targetE0EEEvSK_: ; @_ZN7rocprim17ROCPRIM_400000_NS6detail17trampoline_kernelINS0_14default_configENS1_37merge_sort_block_sort_config_selectorIsNS0_10empty_typeEEEZNS1_21merge_sort_block_sortIS3_N6thrust23THRUST_200600_302600_NS6detail15normal_iteratorINS9_10device_ptrIsEEEESE_PS5_SF_9comp_mod3IsEEE10hipError_tT0_T1_T2_T3_mRjT4_P12ihipStream_tbNS1_7vsmem_tEEUlT_E_NS1_11comp_targetILNS1_3genE4ELNS1_11target_archE910ELNS1_3gpuE8ELNS1_3repE0EEENS1_30default_config_static_selectorELNS0_4arch9wavefront6targetE0EEEvSK_
; %bb.0:
	.section	.rodata,"a",@progbits
	.p2align	6, 0x0
	.amdhsa_kernel _ZN7rocprim17ROCPRIM_400000_NS6detail17trampoline_kernelINS0_14default_configENS1_37merge_sort_block_sort_config_selectorIsNS0_10empty_typeEEEZNS1_21merge_sort_block_sortIS3_N6thrust23THRUST_200600_302600_NS6detail15normal_iteratorINS9_10device_ptrIsEEEESE_PS5_SF_9comp_mod3IsEEE10hipError_tT0_T1_T2_T3_mRjT4_P12ihipStream_tbNS1_7vsmem_tEEUlT_E_NS1_11comp_targetILNS1_3genE4ELNS1_11target_archE910ELNS1_3gpuE8ELNS1_3repE0EEENS1_30default_config_static_selectorELNS0_4arch9wavefront6targetE0EEEvSK_
		.amdhsa_group_segment_fixed_size 0
		.amdhsa_private_segment_fixed_size 0
		.amdhsa_kernarg_size 64
		.amdhsa_user_sgpr_count 6
		.amdhsa_user_sgpr_private_segment_buffer 1
		.amdhsa_user_sgpr_dispatch_ptr 0
		.amdhsa_user_sgpr_queue_ptr 0
		.amdhsa_user_sgpr_kernarg_segment_ptr 1
		.amdhsa_user_sgpr_dispatch_id 0
		.amdhsa_user_sgpr_flat_scratch_init 0
		.amdhsa_user_sgpr_private_segment_size 0
		.amdhsa_wavefront_size32 1
		.amdhsa_uses_dynamic_stack 0
		.amdhsa_system_sgpr_private_segment_wavefront_offset 0
		.amdhsa_system_sgpr_workgroup_id_x 1
		.amdhsa_system_sgpr_workgroup_id_y 0
		.amdhsa_system_sgpr_workgroup_id_z 0
		.amdhsa_system_sgpr_workgroup_info 0
		.amdhsa_system_vgpr_workitem_id 0
		.amdhsa_next_free_vgpr 1
		.amdhsa_next_free_sgpr 1
		.amdhsa_reserve_vcc 0
		.amdhsa_reserve_flat_scratch 0
		.amdhsa_float_round_mode_32 0
		.amdhsa_float_round_mode_16_64 0
		.amdhsa_float_denorm_mode_32 3
		.amdhsa_float_denorm_mode_16_64 3
		.amdhsa_dx10_clamp 1
		.amdhsa_ieee_mode 1
		.amdhsa_fp16_overflow 0
		.amdhsa_workgroup_processor_mode 1
		.amdhsa_memory_ordered 1
		.amdhsa_forward_progress 1
		.amdhsa_shared_vgpr_count 0
		.amdhsa_exception_fp_ieee_invalid_op 0
		.amdhsa_exception_fp_denorm_src 0
		.amdhsa_exception_fp_ieee_div_zero 0
		.amdhsa_exception_fp_ieee_overflow 0
		.amdhsa_exception_fp_ieee_underflow 0
		.amdhsa_exception_fp_ieee_inexact 0
		.amdhsa_exception_int_div_zero 0
	.end_amdhsa_kernel
	.section	.text._ZN7rocprim17ROCPRIM_400000_NS6detail17trampoline_kernelINS0_14default_configENS1_37merge_sort_block_sort_config_selectorIsNS0_10empty_typeEEEZNS1_21merge_sort_block_sortIS3_N6thrust23THRUST_200600_302600_NS6detail15normal_iteratorINS9_10device_ptrIsEEEESE_PS5_SF_9comp_mod3IsEEE10hipError_tT0_T1_T2_T3_mRjT4_P12ihipStream_tbNS1_7vsmem_tEEUlT_E_NS1_11comp_targetILNS1_3genE4ELNS1_11target_archE910ELNS1_3gpuE8ELNS1_3repE0EEENS1_30default_config_static_selectorELNS0_4arch9wavefront6targetE0EEEvSK_,"axG",@progbits,_ZN7rocprim17ROCPRIM_400000_NS6detail17trampoline_kernelINS0_14default_configENS1_37merge_sort_block_sort_config_selectorIsNS0_10empty_typeEEEZNS1_21merge_sort_block_sortIS3_N6thrust23THRUST_200600_302600_NS6detail15normal_iteratorINS9_10device_ptrIsEEEESE_PS5_SF_9comp_mod3IsEEE10hipError_tT0_T1_T2_T3_mRjT4_P12ihipStream_tbNS1_7vsmem_tEEUlT_E_NS1_11comp_targetILNS1_3genE4ELNS1_11target_archE910ELNS1_3gpuE8ELNS1_3repE0EEENS1_30default_config_static_selectorELNS0_4arch9wavefront6targetE0EEEvSK_,comdat
.Lfunc_end1038:
	.size	_ZN7rocprim17ROCPRIM_400000_NS6detail17trampoline_kernelINS0_14default_configENS1_37merge_sort_block_sort_config_selectorIsNS0_10empty_typeEEEZNS1_21merge_sort_block_sortIS3_N6thrust23THRUST_200600_302600_NS6detail15normal_iteratorINS9_10device_ptrIsEEEESE_PS5_SF_9comp_mod3IsEEE10hipError_tT0_T1_T2_T3_mRjT4_P12ihipStream_tbNS1_7vsmem_tEEUlT_E_NS1_11comp_targetILNS1_3genE4ELNS1_11target_archE910ELNS1_3gpuE8ELNS1_3repE0EEENS1_30default_config_static_selectorELNS0_4arch9wavefront6targetE0EEEvSK_, .Lfunc_end1038-_ZN7rocprim17ROCPRIM_400000_NS6detail17trampoline_kernelINS0_14default_configENS1_37merge_sort_block_sort_config_selectorIsNS0_10empty_typeEEEZNS1_21merge_sort_block_sortIS3_N6thrust23THRUST_200600_302600_NS6detail15normal_iteratorINS9_10device_ptrIsEEEESE_PS5_SF_9comp_mod3IsEEE10hipError_tT0_T1_T2_T3_mRjT4_P12ihipStream_tbNS1_7vsmem_tEEUlT_E_NS1_11comp_targetILNS1_3genE4ELNS1_11target_archE910ELNS1_3gpuE8ELNS1_3repE0EEENS1_30default_config_static_selectorELNS0_4arch9wavefront6targetE0EEEvSK_
                                        ; -- End function
	.set _ZN7rocprim17ROCPRIM_400000_NS6detail17trampoline_kernelINS0_14default_configENS1_37merge_sort_block_sort_config_selectorIsNS0_10empty_typeEEEZNS1_21merge_sort_block_sortIS3_N6thrust23THRUST_200600_302600_NS6detail15normal_iteratorINS9_10device_ptrIsEEEESE_PS5_SF_9comp_mod3IsEEE10hipError_tT0_T1_T2_T3_mRjT4_P12ihipStream_tbNS1_7vsmem_tEEUlT_E_NS1_11comp_targetILNS1_3genE4ELNS1_11target_archE910ELNS1_3gpuE8ELNS1_3repE0EEENS1_30default_config_static_selectorELNS0_4arch9wavefront6targetE0EEEvSK_.num_vgpr, 0
	.set _ZN7rocprim17ROCPRIM_400000_NS6detail17trampoline_kernelINS0_14default_configENS1_37merge_sort_block_sort_config_selectorIsNS0_10empty_typeEEEZNS1_21merge_sort_block_sortIS3_N6thrust23THRUST_200600_302600_NS6detail15normal_iteratorINS9_10device_ptrIsEEEESE_PS5_SF_9comp_mod3IsEEE10hipError_tT0_T1_T2_T3_mRjT4_P12ihipStream_tbNS1_7vsmem_tEEUlT_E_NS1_11comp_targetILNS1_3genE4ELNS1_11target_archE910ELNS1_3gpuE8ELNS1_3repE0EEENS1_30default_config_static_selectorELNS0_4arch9wavefront6targetE0EEEvSK_.num_agpr, 0
	.set _ZN7rocprim17ROCPRIM_400000_NS6detail17trampoline_kernelINS0_14default_configENS1_37merge_sort_block_sort_config_selectorIsNS0_10empty_typeEEEZNS1_21merge_sort_block_sortIS3_N6thrust23THRUST_200600_302600_NS6detail15normal_iteratorINS9_10device_ptrIsEEEESE_PS5_SF_9comp_mod3IsEEE10hipError_tT0_T1_T2_T3_mRjT4_P12ihipStream_tbNS1_7vsmem_tEEUlT_E_NS1_11comp_targetILNS1_3genE4ELNS1_11target_archE910ELNS1_3gpuE8ELNS1_3repE0EEENS1_30default_config_static_selectorELNS0_4arch9wavefront6targetE0EEEvSK_.numbered_sgpr, 0
	.set _ZN7rocprim17ROCPRIM_400000_NS6detail17trampoline_kernelINS0_14default_configENS1_37merge_sort_block_sort_config_selectorIsNS0_10empty_typeEEEZNS1_21merge_sort_block_sortIS3_N6thrust23THRUST_200600_302600_NS6detail15normal_iteratorINS9_10device_ptrIsEEEESE_PS5_SF_9comp_mod3IsEEE10hipError_tT0_T1_T2_T3_mRjT4_P12ihipStream_tbNS1_7vsmem_tEEUlT_E_NS1_11comp_targetILNS1_3genE4ELNS1_11target_archE910ELNS1_3gpuE8ELNS1_3repE0EEENS1_30default_config_static_selectorELNS0_4arch9wavefront6targetE0EEEvSK_.num_named_barrier, 0
	.set _ZN7rocprim17ROCPRIM_400000_NS6detail17trampoline_kernelINS0_14default_configENS1_37merge_sort_block_sort_config_selectorIsNS0_10empty_typeEEEZNS1_21merge_sort_block_sortIS3_N6thrust23THRUST_200600_302600_NS6detail15normal_iteratorINS9_10device_ptrIsEEEESE_PS5_SF_9comp_mod3IsEEE10hipError_tT0_T1_T2_T3_mRjT4_P12ihipStream_tbNS1_7vsmem_tEEUlT_E_NS1_11comp_targetILNS1_3genE4ELNS1_11target_archE910ELNS1_3gpuE8ELNS1_3repE0EEENS1_30default_config_static_selectorELNS0_4arch9wavefront6targetE0EEEvSK_.private_seg_size, 0
	.set _ZN7rocprim17ROCPRIM_400000_NS6detail17trampoline_kernelINS0_14default_configENS1_37merge_sort_block_sort_config_selectorIsNS0_10empty_typeEEEZNS1_21merge_sort_block_sortIS3_N6thrust23THRUST_200600_302600_NS6detail15normal_iteratorINS9_10device_ptrIsEEEESE_PS5_SF_9comp_mod3IsEEE10hipError_tT0_T1_T2_T3_mRjT4_P12ihipStream_tbNS1_7vsmem_tEEUlT_E_NS1_11comp_targetILNS1_3genE4ELNS1_11target_archE910ELNS1_3gpuE8ELNS1_3repE0EEENS1_30default_config_static_selectorELNS0_4arch9wavefront6targetE0EEEvSK_.uses_vcc, 0
	.set _ZN7rocprim17ROCPRIM_400000_NS6detail17trampoline_kernelINS0_14default_configENS1_37merge_sort_block_sort_config_selectorIsNS0_10empty_typeEEEZNS1_21merge_sort_block_sortIS3_N6thrust23THRUST_200600_302600_NS6detail15normal_iteratorINS9_10device_ptrIsEEEESE_PS5_SF_9comp_mod3IsEEE10hipError_tT0_T1_T2_T3_mRjT4_P12ihipStream_tbNS1_7vsmem_tEEUlT_E_NS1_11comp_targetILNS1_3genE4ELNS1_11target_archE910ELNS1_3gpuE8ELNS1_3repE0EEENS1_30default_config_static_selectorELNS0_4arch9wavefront6targetE0EEEvSK_.uses_flat_scratch, 0
	.set _ZN7rocprim17ROCPRIM_400000_NS6detail17trampoline_kernelINS0_14default_configENS1_37merge_sort_block_sort_config_selectorIsNS0_10empty_typeEEEZNS1_21merge_sort_block_sortIS3_N6thrust23THRUST_200600_302600_NS6detail15normal_iteratorINS9_10device_ptrIsEEEESE_PS5_SF_9comp_mod3IsEEE10hipError_tT0_T1_T2_T3_mRjT4_P12ihipStream_tbNS1_7vsmem_tEEUlT_E_NS1_11comp_targetILNS1_3genE4ELNS1_11target_archE910ELNS1_3gpuE8ELNS1_3repE0EEENS1_30default_config_static_selectorELNS0_4arch9wavefront6targetE0EEEvSK_.has_dyn_sized_stack, 0
	.set _ZN7rocprim17ROCPRIM_400000_NS6detail17trampoline_kernelINS0_14default_configENS1_37merge_sort_block_sort_config_selectorIsNS0_10empty_typeEEEZNS1_21merge_sort_block_sortIS3_N6thrust23THRUST_200600_302600_NS6detail15normal_iteratorINS9_10device_ptrIsEEEESE_PS5_SF_9comp_mod3IsEEE10hipError_tT0_T1_T2_T3_mRjT4_P12ihipStream_tbNS1_7vsmem_tEEUlT_E_NS1_11comp_targetILNS1_3genE4ELNS1_11target_archE910ELNS1_3gpuE8ELNS1_3repE0EEENS1_30default_config_static_selectorELNS0_4arch9wavefront6targetE0EEEvSK_.has_recursion, 0
	.set _ZN7rocprim17ROCPRIM_400000_NS6detail17trampoline_kernelINS0_14default_configENS1_37merge_sort_block_sort_config_selectorIsNS0_10empty_typeEEEZNS1_21merge_sort_block_sortIS3_N6thrust23THRUST_200600_302600_NS6detail15normal_iteratorINS9_10device_ptrIsEEEESE_PS5_SF_9comp_mod3IsEEE10hipError_tT0_T1_T2_T3_mRjT4_P12ihipStream_tbNS1_7vsmem_tEEUlT_E_NS1_11comp_targetILNS1_3genE4ELNS1_11target_archE910ELNS1_3gpuE8ELNS1_3repE0EEENS1_30default_config_static_selectorELNS0_4arch9wavefront6targetE0EEEvSK_.has_indirect_call, 0
	.section	.AMDGPU.csdata,"",@progbits
; Kernel info:
; codeLenInByte = 0
; TotalNumSgprs: 0
; NumVgprs: 0
; ScratchSize: 0
; MemoryBound: 0
; FloatMode: 240
; IeeeMode: 1
; LDSByteSize: 0 bytes/workgroup (compile time only)
; SGPRBlocks: 0
; VGPRBlocks: 0
; NumSGPRsForWavesPerEU: 1
; NumVGPRsForWavesPerEU: 1
; Occupancy: 16
; WaveLimiterHint : 0
; COMPUTE_PGM_RSRC2:SCRATCH_EN: 0
; COMPUTE_PGM_RSRC2:USER_SGPR: 6
; COMPUTE_PGM_RSRC2:TRAP_HANDLER: 0
; COMPUTE_PGM_RSRC2:TGID_X_EN: 1
; COMPUTE_PGM_RSRC2:TGID_Y_EN: 0
; COMPUTE_PGM_RSRC2:TGID_Z_EN: 0
; COMPUTE_PGM_RSRC2:TIDIG_COMP_CNT: 0
	.section	.text._ZN7rocprim17ROCPRIM_400000_NS6detail17trampoline_kernelINS0_14default_configENS1_37merge_sort_block_sort_config_selectorIsNS0_10empty_typeEEEZNS1_21merge_sort_block_sortIS3_N6thrust23THRUST_200600_302600_NS6detail15normal_iteratorINS9_10device_ptrIsEEEESE_PS5_SF_9comp_mod3IsEEE10hipError_tT0_T1_T2_T3_mRjT4_P12ihipStream_tbNS1_7vsmem_tEEUlT_E_NS1_11comp_targetILNS1_3genE3ELNS1_11target_archE908ELNS1_3gpuE7ELNS1_3repE0EEENS1_30default_config_static_selectorELNS0_4arch9wavefront6targetE0EEEvSK_,"axG",@progbits,_ZN7rocprim17ROCPRIM_400000_NS6detail17trampoline_kernelINS0_14default_configENS1_37merge_sort_block_sort_config_selectorIsNS0_10empty_typeEEEZNS1_21merge_sort_block_sortIS3_N6thrust23THRUST_200600_302600_NS6detail15normal_iteratorINS9_10device_ptrIsEEEESE_PS5_SF_9comp_mod3IsEEE10hipError_tT0_T1_T2_T3_mRjT4_P12ihipStream_tbNS1_7vsmem_tEEUlT_E_NS1_11comp_targetILNS1_3genE3ELNS1_11target_archE908ELNS1_3gpuE7ELNS1_3repE0EEENS1_30default_config_static_selectorELNS0_4arch9wavefront6targetE0EEEvSK_,comdat
	.protected	_ZN7rocprim17ROCPRIM_400000_NS6detail17trampoline_kernelINS0_14default_configENS1_37merge_sort_block_sort_config_selectorIsNS0_10empty_typeEEEZNS1_21merge_sort_block_sortIS3_N6thrust23THRUST_200600_302600_NS6detail15normal_iteratorINS9_10device_ptrIsEEEESE_PS5_SF_9comp_mod3IsEEE10hipError_tT0_T1_T2_T3_mRjT4_P12ihipStream_tbNS1_7vsmem_tEEUlT_E_NS1_11comp_targetILNS1_3genE3ELNS1_11target_archE908ELNS1_3gpuE7ELNS1_3repE0EEENS1_30default_config_static_selectorELNS0_4arch9wavefront6targetE0EEEvSK_ ; -- Begin function _ZN7rocprim17ROCPRIM_400000_NS6detail17trampoline_kernelINS0_14default_configENS1_37merge_sort_block_sort_config_selectorIsNS0_10empty_typeEEEZNS1_21merge_sort_block_sortIS3_N6thrust23THRUST_200600_302600_NS6detail15normal_iteratorINS9_10device_ptrIsEEEESE_PS5_SF_9comp_mod3IsEEE10hipError_tT0_T1_T2_T3_mRjT4_P12ihipStream_tbNS1_7vsmem_tEEUlT_E_NS1_11comp_targetILNS1_3genE3ELNS1_11target_archE908ELNS1_3gpuE7ELNS1_3repE0EEENS1_30default_config_static_selectorELNS0_4arch9wavefront6targetE0EEEvSK_
	.globl	_ZN7rocprim17ROCPRIM_400000_NS6detail17trampoline_kernelINS0_14default_configENS1_37merge_sort_block_sort_config_selectorIsNS0_10empty_typeEEEZNS1_21merge_sort_block_sortIS3_N6thrust23THRUST_200600_302600_NS6detail15normal_iteratorINS9_10device_ptrIsEEEESE_PS5_SF_9comp_mod3IsEEE10hipError_tT0_T1_T2_T3_mRjT4_P12ihipStream_tbNS1_7vsmem_tEEUlT_E_NS1_11comp_targetILNS1_3genE3ELNS1_11target_archE908ELNS1_3gpuE7ELNS1_3repE0EEENS1_30default_config_static_selectorELNS0_4arch9wavefront6targetE0EEEvSK_
	.p2align	8
	.type	_ZN7rocprim17ROCPRIM_400000_NS6detail17trampoline_kernelINS0_14default_configENS1_37merge_sort_block_sort_config_selectorIsNS0_10empty_typeEEEZNS1_21merge_sort_block_sortIS3_N6thrust23THRUST_200600_302600_NS6detail15normal_iteratorINS9_10device_ptrIsEEEESE_PS5_SF_9comp_mod3IsEEE10hipError_tT0_T1_T2_T3_mRjT4_P12ihipStream_tbNS1_7vsmem_tEEUlT_E_NS1_11comp_targetILNS1_3genE3ELNS1_11target_archE908ELNS1_3gpuE7ELNS1_3repE0EEENS1_30default_config_static_selectorELNS0_4arch9wavefront6targetE0EEEvSK_,@function
_ZN7rocprim17ROCPRIM_400000_NS6detail17trampoline_kernelINS0_14default_configENS1_37merge_sort_block_sort_config_selectorIsNS0_10empty_typeEEEZNS1_21merge_sort_block_sortIS3_N6thrust23THRUST_200600_302600_NS6detail15normal_iteratorINS9_10device_ptrIsEEEESE_PS5_SF_9comp_mod3IsEEE10hipError_tT0_T1_T2_T3_mRjT4_P12ihipStream_tbNS1_7vsmem_tEEUlT_E_NS1_11comp_targetILNS1_3genE3ELNS1_11target_archE908ELNS1_3gpuE7ELNS1_3repE0EEENS1_30default_config_static_selectorELNS0_4arch9wavefront6targetE0EEEvSK_: ; @_ZN7rocprim17ROCPRIM_400000_NS6detail17trampoline_kernelINS0_14default_configENS1_37merge_sort_block_sort_config_selectorIsNS0_10empty_typeEEEZNS1_21merge_sort_block_sortIS3_N6thrust23THRUST_200600_302600_NS6detail15normal_iteratorINS9_10device_ptrIsEEEESE_PS5_SF_9comp_mod3IsEEE10hipError_tT0_T1_T2_T3_mRjT4_P12ihipStream_tbNS1_7vsmem_tEEUlT_E_NS1_11comp_targetILNS1_3genE3ELNS1_11target_archE908ELNS1_3gpuE7ELNS1_3repE0EEENS1_30default_config_static_selectorELNS0_4arch9wavefront6targetE0EEEvSK_
; %bb.0:
	.section	.rodata,"a",@progbits
	.p2align	6, 0x0
	.amdhsa_kernel _ZN7rocprim17ROCPRIM_400000_NS6detail17trampoline_kernelINS0_14default_configENS1_37merge_sort_block_sort_config_selectorIsNS0_10empty_typeEEEZNS1_21merge_sort_block_sortIS3_N6thrust23THRUST_200600_302600_NS6detail15normal_iteratorINS9_10device_ptrIsEEEESE_PS5_SF_9comp_mod3IsEEE10hipError_tT0_T1_T2_T3_mRjT4_P12ihipStream_tbNS1_7vsmem_tEEUlT_E_NS1_11comp_targetILNS1_3genE3ELNS1_11target_archE908ELNS1_3gpuE7ELNS1_3repE0EEENS1_30default_config_static_selectorELNS0_4arch9wavefront6targetE0EEEvSK_
		.amdhsa_group_segment_fixed_size 0
		.amdhsa_private_segment_fixed_size 0
		.amdhsa_kernarg_size 64
		.amdhsa_user_sgpr_count 6
		.amdhsa_user_sgpr_private_segment_buffer 1
		.amdhsa_user_sgpr_dispatch_ptr 0
		.amdhsa_user_sgpr_queue_ptr 0
		.amdhsa_user_sgpr_kernarg_segment_ptr 1
		.amdhsa_user_sgpr_dispatch_id 0
		.amdhsa_user_sgpr_flat_scratch_init 0
		.amdhsa_user_sgpr_private_segment_size 0
		.amdhsa_wavefront_size32 1
		.amdhsa_uses_dynamic_stack 0
		.amdhsa_system_sgpr_private_segment_wavefront_offset 0
		.amdhsa_system_sgpr_workgroup_id_x 1
		.amdhsa_system_sgpr_workgroup_id_y 0
		.amdhsa_system_sgpr_workgroup_id_z 0
		.amdhsa_system_sgpr_workgroup_info 0
		.amdhsa_system_vgpr_workitem_id 0
		.amdhsa_next_free_vgpr 1
		.amdhsa_next_free_sgpr 1
		.amdhsa_reserve_vcc 0
		.amdhsa_reserve_flat_scratch 0
		.amdhsa_float_round_mode_32 0
		.amdhsa_float_round_mode_16_64 0
		.amdhsa_float_denorm_mode_32 3
		.amdhsa_float_denorm_mode_16_64 3
		.amdhsa_dx10_clamp 1
		.amdhsa_ieee_mode 1
		.amdhsa_fp16_overflow 0
		.amdhsa_workgroup_processor_mode 1
		.amdhsa_memory_ordered 1
		.amdhsa_forward_progress 1
		.amdhsa_shared_vgpr_count 0
		.amdhsa_exception_fp_ieee_invalid_op 0
		.amdhsa_exception_fp_denorm_src 0
		.amdhsa_exception_fp_ieee_div_zero 0
		.amdhsa_exception_fp_ieee_overflow 0
		.amdhsa_exception_fp_ieee_underflow 0
		.amdhsa_exception_fp_ieee_inexact 0
		.amdhsa_exception_int_div_zero 0
	.end_amdhsa_kernel
	.section	.text._ZN7rocprim17ROCPRIM_400000_NS6detail17trampoline_kernelINS0_14default_configENS1_37merge_sort_block_sort_config_selectorIsNS0_10empty_typeEEEZNS1_21merge_sort_block_sortIS3_N6thrust23THRUST_200600_302600_NS6detail15normal_iteratorINS9_10device_ptrIsEEEESE_PS5_SF_9comp_mod3IsEEE10hipError_tT0_T1_T2_T3_mRjT4_P12ihipStream_tbNS1_7vsmem_tEEUlT_E_NS1_11comp_targetILNS1_3genE3ELNS1_11target_archE908ELNS1_3gpuE7ELNS1_3repE0EEENS1_30default_config_static_selectorELNS0_4arch9wavefront6targetE0EEEvSK_,"axG",@progbits,_ZN7rocprim17ROCPRIM_400000_NS6detail17trampoline_kernelINS0_14default_configENS1_37merge_sort_block_sort_config_selectorIsNS0_10empty_typeEEEZNS1_21merge_sort_block_sortIS3_N6thrust23THRUST_200600_302600_NS6detail15normal_iteratorINS9_10device_ptrIsEEEESE_PS5_SF_9comp_mod3IsEEE10hipError_tT0_T1_T2_T3_mRjT4_P12ihipStream_tbNS1_7vsmem_tEEUlT_E_NS1_11comp_targetILNS1_3genE3ELNS1_11target_archE908ELNS1_3gpuE7ELNS1_3repE0EEENS1_30default_config_static_selectorELNS0_4arch9wavefront6targetE0EEEvSK_,comdat
.Lfunc_end1039:
	.size	_ZN7rocprim17ROCPRIM_400000_NS6detail17trampoline_kernelINS0_14default_configENS1_37merge_sort_block_sort_config_selectorIsNS0_10empty_typeEEEZNS1_21merge_sort_block_sortIS3_N6thrust23THRUST_200600_302600_NS6detail15normal_iteratorINS9_10device_ptrIsEEEESE_PS5_SF_9comp_mod3IsEEE10hipError_tT0_T1_T2_T3_mRjT4_P12ihipStream_tbNS1_7vsmem_tEEUlT_E_NS1_11comp_targetILNS1_3genE3ELNS1_11target_archE908ELNS1_3gpuE7ELNS1_3repE0EEENS1_30default_config_static_selectorELNS0_4arch9wavefront6targetE0EEEvSK_, .Lfunc_end1039-_ZN7rocprim17ROCPRIM_400000_NS6detail17trampoline_kernelINS0_14default_configENS1_37merge_sort_block_sort_config_selectorIsNS0_10empty_typeEEEZNS1_21merge_sort_block_sortIS3_N6thrust23THRUST_200600_302600_NS6detail15normal_iteratorINS9_10device_ptrIsEEEESE_PS5_SF_9comp_mod3IsEEE10hipError_tT0_T1_T2_T3_mRjT4_P12ihipStream_tbNS1_7vsmem_tEEUlT_E_NS1_11comp_targetILNS1_3genE3ELNS1_11target_archE908ELNS1_3gpuE7ELNS1_3repE0EEENS1_30default_config_static_selectorELNS0_4arch9wavefront6targetE0EEEvSK_
                                        ; -- End function
	.set _ZN7rocprim17ROCPRIM_400000_NS6detail17trampoline_kernelINS0_14default_configENS1_37merge_sort_block_sort_config_selectorIsNS0_10empty_typeEEEZNS1_21merge_sort_block_sortIS3_N6thrust23THRUST_200600_302600_NS6detail15normal_iteratorINS9_10device_ptrIsEEEESE_PS5_SF_9comp_mod3IsEEE10hipError_tT0_T1_T2_T3_mRjT4_P12ihipStream_tbNS1_7vsmem_tEEUlT_E_NS1_11comp_targetILNS1_3genE3ELNS1_11target_archE908ELNS1_3gpuE7ELNS1_3repE0EEENS1_30default_config_static_selectorELNS0_4arch9wavefront6targetE0EEEvSK_.num_vgpr, 0
	.set _ZN7rocprim17ROCPRIM_400000_NS6detail17trampoline_kernelINS0_14default_configENS1_37merge_sort_block_sort_config_selectorIsNS0_10empty_typeEEEZNS1_21merge_sort_block_sortIS3_N6thrust23THRUST_200600_302600_NS6detail15normal_iteratorINS9_10device_ptrIsEEEESE_PS5_SF_9comp_mod3IsEEE10hipError_tT0_T1_T2_T3_mRjT4_P12ihipStream_tbNS1_7vsmem_tEEUlT_E_NS1_11comp_targetILNS1_3genE3ELNS1_11target_archE908ELNS1_3gpuE7ELNS1_3repE0EEENS1_30default_config_static_selectorELNS0_4arch9wavefront6targetE0EEEvSK_.num_agpr, 0
	.set _ZN7rocprim17ROCPRIM_400000_NS6detail17trampoline_kernelINS0_14default_configENS1_37merge_sort_block_sort_config_selectorIsNS0_10empty_typeEEEZNS1_21merge_sort_block_sortIS3_N6thrust23THRUST_200600_302600_NS6detail15normal_iteratorINS9_10device_ptrIsEEEESE_PS5_SF_9comp_mod3IsEEE10hipError_tT0_T1_T2_T3_mRjT4_P12ihipStream_tbNS1_7vsmem_tEEUlT_E_NS1_11comp_targetILNS1_3genE3ELNS1_11target_archE908ELNS1_3gpuE7ELNS1_3repE0EEENS1_30default_config_static_selectorELNS0_4arch9wavefront6targetE0EEEvSK_.numbered_sgpr, 0
	.set _ZN7rocprim17ROCPRIM_400000_NS6detail17trampoline_kernelINS0_14default_configENS1_37merge_sort_block_sort_config_selectorIsNS0_10empty_typeEEEZNS1_21merge_sort_block_sortIS3_N6thrust23THRUST_200600_302600_NS6detail15normal_iteratorINS9_10device_ptrIsEEEESE_PS5_SF_9comp_mod3IsEEE10hipError_tT0_T1_T2_T3_mRjT4_P12ihipStream_tbNS1_7vsmem_tEEUlT_E_NS1_11comp_targetILNS1_3genE3ELNS1_11target_archE908ELNS1_3gpuE7ELNS1_3repE0EEENS1_30default_config_static_selectorELNS0_4arch9wavefront6targetE0EEEvSK_.num_named_barrier, 0
	.set _ZN7rocprim17ROCPRIM_400000_NS6detail17trampoline_kernelINS0_14default_configENS1_37merge_sort_block_sort_config_selectorIsNS0_10empty_typeEEEZNS1_21merge_sort_block_sortIS3_N6thrust23THRUST_200600_302600_NS6detail15normal_iteratorINS9_10device_ptrIsEEEESE_PS5_SF_9comp_mod3IsEEE10hipError_tT0_T1_T2_T3_mRjT4_P12ihipStream_tbNS1_7vsmem_tEEUlT_E_NS1_11comp_targetILNS1_3genE3ELNS1_11target_archE908ELNS1_3gpuE7ELNS1_3repE0EEENS1_30default_config_static_selectorELNS0_4arch9wavefront6targetE0EEEvSK_.private_seg_size, 0
	.set _ZN7rocprim17ROCPRIM_400000_NS6detail17trampoline_kernelINS0_14default_configENS1_37merge_sort_block_sort_config_selectorIsNS0_10empty_typeEEEZNS1_21merge_sort_block_sortIS3_N6thrust23THRUST_200600_302600_NS6detail15normal_iteratorINS9_10device_ptrIsEEEESE_PS5_SF_9comp_mod3IsEEE10hipError_tT0_T1_T2_T3_mRjT4_P12ihipStream_tbNS1_7vsmem_tEEUlT_E_NS1_11comp_targetILNS1_3genE3ELNS1_11target_archE908ELNS1_3gpuE7ELNS1_3repE0EEENS1_30default_config_static_selectorELNS0_4arch9wavefront6targetE0EEEvSK_.uses_vcc, 0
	.set _ZN7rocprim17ROCPRIM_400000_NS6detail17trampoline_kernelINS0_14default_configENS1_37merge_sort_block_sort_config_selectorIsNS0_10empty_typeEEEZNS1_21merge_sort_block_sortIS3_N6thrust23THRUST_200600_302600_NS6detail15normal_iteratorINS9_10device_ptrIsEEEESE_PS5_SF_9comp_mod3IsEEE10hipError_tT0_T1_T2_T3_mRjT4_P12ihipStream_tbNS1_7vsmem_tEEUlT_E_NS1_11comp_targetILNS1_3genE3ELNS1_11target_archE908ELNS1_3gpuE7ELNS1_3repE0EEENS1_30default_config_static_selectorELNS0_4arch9wavefront6targetE0EEEvSK_.uses_flat_scratch, 0
	.set _ZN7rocprim17ROCPRIM_400000_NS6detail17trampoline_kernelINS0_14default_configENS1_37merge_sort_block_sort_config_selectorIsNS0_10empty_typeEEEZNS1_21merge_sort_block_sortIS3_N6thrust23THRUST_200600_302600_NS6detail15normal_iteratorINS9_10device_ptrIsEEEESE_PS5_SF_9comp_mod3IsEEE10hipError_tT0_T1_T2_T3_mRjT4_P12ihipStream_tbNS1_7vsmem_tEEUlT_E_NS1_11comp_targetILNS1_3genE3ELNS1_11target_archE908ELNS1_3gpuE7ELNS1_3repE0EEENS1_30default_config_static_selectorELNS0_4arch9wavefront6targetE0EEEvSK_.has_dyn_sized_stack, 0
	.set _ZN7rocprim17ROCPRIM_400000_NS6detail17trampoline_kernelINS0_14default_configENS1_37merge_sort_block_sort_config_selectorIsNS0_10empty_typeEEEZNS1_21merge_sort_block_sortIS3_N6thrust23THRUST_200600_302600_NS6detail15normal_iteratorINS9_10device_ptrIsEEEESE_PS5_SF_9comp_mod3IsEEE10hipError_tT0_T1_T2_T3_mRjT4_P12ihipStream_tbNS1_7vsmem_tEEUlT_E_NS1_11comp_targetILNS1_3genE3ELNS1_11target_archE908ELNS1_3gpuE7ELNS1_3repE0EEENS1_30default_config_static_selectorELNS0_4arch9wavefront6targetE0EEEvSK_.has_recursion, 0
	.set _ZN7rocprim17ROCPRIM_400000_NS6detail17trampoline_kernelINS0_14default_configENS1_37merge_sort_block_sort_config_selectorIsNS0_10empty_typeEEEZNS1_21merge_sort_block_sortIS3_N6thrust23THRUST_200600_302600_NS6detail15normal_iteratorINS9_10device_ptrIsEEEESE_PS5_SF_9comp_mod3IsEEE10hipError_tT0_T1_T2_T3_mRjT4_P12ihipStream_tbNS1_7vsmem_tEEUlT_E_NS1_11comp_targetILNS1_3genE3ELNS1_11target_archE908ELNS1_3gpuE7ELNS1_3repE0EEENS1_30default_config_static_selectorELNS0_4arch9wavefront6targetE0EEEvSK_.has_indirect_call, 0
	.section	.AMDGPU.csdata,"",@progbits
; Kernel info:
; codeLenInByte = 0
; TotalNumSgprs: 0
; NumVgprs: 0
; ScratchSize: 0
; MemoryBound: 0
; FloatMode: 240
; IeeeMode: 1
; LDSByteSize: 0 bytes/workgroup (compile time only)
; SGPRBlocks: 0
; VGPRBlocks: 0
; NumSGPRsForWavesPerEU: 1
; NumVGPRsForWavesPerEU: 1
; Occupancy: 16
; WaveLimiterHint : 0
; COMPUTE_PGM_RSRC2:SCRATCH_EN: 0
; COMPUTE_PGM_RSRC2:USER_SGPR: 6
; COMPUTE_PGM_RSRC2:TRAP_HANDLER: 0
; COMPUTE_PGM_RSRC2:TGID_X_EN: 1
; COMPUTE_PGM_RSRC2:TGID_Y_EN: 0
; COMPUTE_PGM_RSRC2:TGID_Z_EN: 0
; COMPUTE_PGM_RSRC2:TIDIG_COMP_CNT: 0
	.section	.text._ZN7rocprim17ROCPRIM_400000_NS6detail17trampoline_kernelINS0_14default_configENS1_37merge_sort_block_sort_config_selectorIsNS0_10empty_typeEEEZNS1_21merge_sort_block_sortIS3_N6thrust23THRUST_200600_302600_NS6detail15normal_iteratorINS9_10device_ptrIsEEEESE_PS5_SF_9comp_mod3IsEEE10hipError_tT0_T1_T2_T3_mRjT4_P12ihipStream_tbNS1_7vsmem_tEEUlT_E_NS1_11comp_targetILNS1_3genE2ELNS1_11target_archE906ELNS1_3gpuE6ELNS1_3repE0EEENS1_30default_config_static_selectorELNS0_4arch9wavefront6targetE0EEEvSK_,"axG",@progbits,_ZN7rocprim17ROCPRIM_400000_NS6detail17trampoline_kernelINS0_14default_configENS1_37merge_sort_block_sort_config_selectorIsNS0_10empty_typeEEEZNS1_21merge_sort_block_sortIS3_N6thrust23THRUST_200600_302600_NS6detail15normal_iteratorINS9_10device_ptrIsEEEESE_PS5_SF_9comp_mod3IsEEE10hipError_tT0_T1_T2_T3_mRjT4_P12ihipStream_tbNS1_7vsmem_tEEUlT_E_NS1_11comp_targetILNS1_3genE2ELNS1_11target_archE906ELNS1_3gpuE6ELNS1_3repE0EEENS1_30default_config_static_selectorELNS0_4arch9wavefront6targetE0EEEvSK_,comdat
	.protected	_ZN7rocprim17ROCPRIM_400000_NS6detail17trampoline_kernelINS0_14default_configENS1_37merge_sort_block_sort_config_selectorIsNS0_10empty_typeEEEZNS1_21merge_sort_block_sortIS3_N6thrust23THRUST_200600_302600_NS6detail15normal_iteratorINS9_10device_ptrIsEEEESE_PS5_SF_9comp_mod3IsEEE10hipError_tT0_T1_T2_T3_mRjT4_P12ihipStream_tbNS1_7vsmem_tEEUlT_E_NS1_11comp_targetILNS1_3genE2ELNS1_11target_archE906ELNS1_3gpuE6ELNS1_3repE0EEENS1_30default_config_static_selectorELNS0_4arch9wavefront6targetE0EEEvSK_ ; -- Begin function _ZN7rocprim17ROCPRIM_400000_NS6detail17trampoline_kernelINS0_14default_configENS1_37merge_sort_block_sort_config_selectorIsNS0_10empty_typeEEEZNS1_21merge_sort_block_sortIS3_N6thrust23THRUST_200600_302600_NS6detail15normal_iteratorINS9_10device_ptrIsEEEESE_PS5_SF_9comp_mod3IsEEE10hipError_tT0_T1_T2_T3_mRjT4_P12ihipStream_tbNS1_7vsmem_tEEUlT_E_NS1_11comp_targetILNS1_3genE2ELNS1_11target_archE906ELNS1_3gpuE6ELNS1_3repE0EEENS1_30default_config_static_selectorELNS0_4arch9wavefront6targetE0EEEvSK_
	.globl	_ZN7rocprim17ROCPRIM_400000_NS6detail17trampoline_kernelINS0_14default_configENS1_37merge_sort_block_sort_config_selectorIsNS0_10empty_typeEEEZNS1_21merge_sort_block_sortIS3_N6thrust23THRUST_200600_302600_NS6detail15normal_iteratorINS9_10device_ptrIsEEEESE_PS5_SF_9comp_mod3IsEEE10hipError_tT0_T1_T2_T3_mRjT4_P12ihipStream_tbNS1_7vsmem_tEEUlT_E_NS1_11comp_targetILNS1_3genE2ELNS1_11target_archE906ELNS1_3gpuE6ELNS1_3repE0EEENS1_30default_config_static_selectorELNS0_4arch9wavefront6targetE0EEEvSK_
	.p2align	8
	.type	_ZN7rocprim17ROCPRIM_400000_NS6detail17trampoline_kernelINS0_14default_configENS1_37merge_sort_block_sort_config_selectorIsNS0_10empty_typeEEEZNS1_21merge_sort_block_sortIS3_N6thrust23THRUST_200600_302600_NS6detail15normal_iteratorINS9_10device_ptrIsEEEESE_PS5_SF_9comp_mod3IsEEE10hipError_tT0_T1_T2_T3_mRjT4_P12ihipStream_tbNS1_7vsmem_tEEUlT_E_NS1_11comp_targetILNS1_3genE2ELNS1_11target_archE906ELNS1_3gpuE6ELNS1_3repE0EEENS1_30default_config_static_selectorELNS0_4arch9wavefront6targetE0EEEvSK_,@function
_ZN7rocprim17ROCPRIM_400000_NS6detail17trampoline_kernelINS0_14default_configENS1_37merge_sort_block_sort_config_selectorIsNS0_10empty_typeEEEZNS1_21merge_sort_block_sortIS3_N6thrust23THRUST_200600_302600_NS6detail15normal_iteratorINS9_10device_ptrIsEEEESE_PS5_SF_9comp_mod3IsEEE10hipError_tT0_T1_T2_T3_mRjT4_P12ihipStream_tbNS1_7vsmem_tEEUlT_E_NS1_11comp_targetILNS1_3genE2ELNS1_11target_archE906ELNS1_3gpuE6ELNS1_3repE0EEENS1_30default_config_static_selectorELNS0_4arch9wavefront6targetE0EEEvSK_: ; @_ZN7rocprim17ROCPRIM_400000_NS6detail17trampoline_kernelINS0_14default_configENS1_37merge_sort_block_sort_config_selectorIsNS0_10empty_typeEEEZNS1_21merge_sort_block_sortIS3_N6thrust23THRUST_200600_302600_NS6detail15normal_iteratorINS9_10device_ptrIsEEEESE_PS5_SF_9comp_mod3IsEEE10hipError_tT0_T1_T2_T3_mRjT4_P12ihipStream_tbNS1_7vsmem_tEEUlT_E_NS1_11comp_targetILNS1_3genE2ELNS1_11target_archE906ELNS1_3gpuE6ELNS1_3repE0EEENS1_30default_config_static_selectorELNS0_4arch9wavefront6targetE0EEEvSK_
; %bb.0:
	.section	.rodata,"a",@progbits
	.p2align	6, 0x0
	.amdhsa_kernel _ZN7rocprim17ROCPRIM_400000_NS6detail17trampoline_kernelINS0_14default_configENS1_37merge_sort_block_sort_config_selectorIsNS0_10empty_typeEEEZNS1_21merge_sort_block_sortIS3_N6thrust23THRUST_200600_302600_NS6detail15normal_iteratorINS9_10device_ptrIsEEEESE_PS5_SF_9comp_mod3IsEEE10hipError_tT0_T1_T2_T3_mRjT4_P12ihipStream_tbNS1_7vsmem_tEEUlT_E_NS1_11comp_targetILNS1_3genE2ELNS1_11target_archE906ELNS1_3gpuE6ELNS1_3repE0EEENS1_30default_config_static_selectorELNS0_4arch9wavefront6targetE0EEEvSK_
		.amdhsa_group_segment_fixed_size 0
		.amdhsa_private_segment_fixed_size 0
		.amdhsa_kernarg_size 64
		.amdhsa_user_sgpr_count 6
		.amdhsa_user_sgpr_private_segment_buffer 1
		.amdhsa_user_sgpr_dispatch_ptr 0
		.amdhsa_user_sgpr_queue_ptr 0
		.amdhsa_user_sgpr_kernarg_segment_ptr 1
		.amdhsa_user_sgpr_dispatch_id 0
		.amdhsa_user_sgpr_flat_scratch_init 0
		.amdhsa_user_sgpr_private_segment_size 0
		.amdhsa_wavefront_size32 1
		.amdhsa_uses_dynamic_stack 0
		.amdhsa_system_sgpr_private_segment_wavefront_offset 0
		.amdhsa_system_sgpr_workgroup_id_x 1
		.amdhsa_system_sgpr_workgroup_id_y 0
		.amdhsa_system_sgpr_workgroup_id_z 0
		.amdhsa_system_sgpr_workgroup_info 0
		.amdhsa_system_vgpr_workitem_id 0
		.amdhsa_next_free_vgpr 1
		.amdhsa_next_free_sgpr 1
		.amdhsa_reserve_vcc 0
		.amdhsa_reserve_flat_scratch 0
		.amdhsa_float_round_mode_32 0
		.amdhsa_float_round_mode_16_64 0
		.amdhsa_float_denorm_mode_32 3
		.amdhsa_float_denorm_mode_16_64 3
		.amdhsa_dx10_clamp 1
		.amdhsa_ieee_mode 1
		.amdhsa_fp16_overflow 0
		.amdhsa_workgroup_processor_mode 1
		.amdhsa_memory_ordered 1
		.amdhsa_forward_progress 1
		.amdhsa_shared_vgpr_count 0
		.amdhsa_exception_fp_ieee_invalid_op 0
		.amdhsa_exception_fp_denorm_src 0
		.amdhsa_exception_fp_ieee_div_zero 0
		.amdhsa_exception_fp_ieee_overflow 0
		.amdhsa_exception_fp_ieee_underflow 0
		.amdhsa_exception_fp_ieee_inexact 0
		.amdhsa_exception_int_div_zero 0
	.end_amdhsa_kernel
	.section	.text._ZN7rocprim17ROCPRIM_400000_NS6detail17trampoline_kernelINS0_14default_configENS1_37merge_sort_block_sort_config_selectorIsNS0_10empty_typeEEEZNS1_21merge_sort_block_sortIS3_N6thrust23THRUST_200600_302600_NS6detail15normal_iteratorINS9_10device_ptrIsEEEESE_PS5_SF_9comp_mod3IsEEE10hipError_tT0_T1_T2_T3_mRjT4_P12ihipStream_tbNS1_7vsmem_tEEUlT_E_NS1_11comp_targetILNS1_3genE2ELNS1_11target_archE906ELNS1_3gpuE6ELNS1_3repE0EEENS1_30default_config_static_selectorELNS0_4arch9wavefront6targetE0EEEvSK_,"axG",@progbits,_ZN7rocprim17ROCPRIM_400000_NS6detail17trampoline_kernelINS0_14default_configENS1_37merge_sort_block_sort_config_selectorIsNS0_10empty_typeEEEZNS1_21merge_sort_block_sortIS3_N6thrust23THRUST_200600_302600_NS6detail15normal_iteratorINS9_10device_ptrIsEEEESE_PS5_SF_9comp_mod3IsEEE10hipError_tT0_T1_T2_T3_mRjT4_P12ihipStream_tbNS1_7vsmem_tEEUlT_E_NS1_11comp_targetILNS1_3genE2ELNS1_11target_archE906ELNS1_3gpuE6ELNS1_3repE0EEENS1_30default_config_static_selectorELNS0_4arch9wavefront6targetE0EEEvSK_,comdat
.Lfunc_end1040:
	.size	_ZN7rocprim17ROCPRIM_400000_NS6detail17trampoline_kernelINS0_14default_configENS1_37merge_sort_block_sort_config_selectorIsNS0_10empty_typeEEEZNS1_21merge_sort_block_sortIS3_N6thrust23THRUST_200600_302600_NS6detail15normal_iteratorINS9_10device_ptrIsEEEESE_PS5_SF_9comp_mod3IsEEE10hipError_tT0_T1_T2_T3_mRjT4_P12ihipStream_tbNS1_7vsmem_tEEUlT_E_NS1_11comp_targetILNS1_3genE2ELNS1_11target_archE906ELNS1_3gpuE6ELNS1_3repE0EEENS1_30default_config_static_selectorELNS0_4arch9wavefront6targetE0EEEvSK_, .Lfunc_end1040-_ZN7rocprim17ROCPRIM_400000_NS6detail17trampoline_kernelINS0_14default_configENS1_37merge_sort_block_sort_config_selectorIsNS0_10empty_typeEEEZNS1_21merge_sort_block_sortIS3_N6thrust23THRUST_200600_302600_NS6detail15normal_iteratorINS9_10device_ptrIsEEEESE_PS5_SF_9comp_mod3IsEEE10hipError_tT0_T1_T2_T3_mRjT4_P12ihipStream_tbNS1_7vsmem_tEEUlT_E_NS1_11comp_targetILNS1_3genE2ELNS1_11target_archE906ELNS1_3gpuE6ELNS1_3repE0EEENS1_30default_config_static_selectorELNS0_4arch9wavefront6targetE0EEEvSK_
                                        ; -- End function
	.set _ZN7rocprim17ROCPRIM_400000_NS6detail17trampoline_kernelINS0_14default_configENS1_37merge_sort_block_sort_config_selectorIsNS0_10empty_typeEEEZNS1_21merge_sort_block_sortIS3_N6thrust23THRUST_200600_302600_NS6detail15normal_iteratorINS9_10device_ptrIsEEEESE_PS5_SF_9comp_mod3IsEEE10hipError_tT0_T1_T2_T3_mRjT4_P12ihipStream_tbNS1_7vsmem_tEEUlT_E_NS1_11comp_targetILNS1_3genE2ELNS1_11target_archE906ELNS1_3gpuE6ELNS1_3repE0EEENS1_30default_config_static_selectorELNS0_4arch9wavefront6targetE0EEEvSK_.num_vgpr, 0
	.set _ZN7rocprim17ROCPRIM_400000_NS6detail17trampoline_kernelINS0_14default_configENS1_37merge_sort_block_sort_config_selectorIsNS0_10empty_typeEEEZNS1_21merge_sort_block_sortIS3_N6thrust23THRUST_200600_302600_NS6detail15normal_iteratorINS9_10device_ptrIsEEEESE_PS5_SF_9comp_mod3IsEEE10hipError_tT0_T1_T2_T3_mRjT4_P12ihipStream_tbNS1_7vsmem_tEEUlT_E_NS1_11comp_targetILNS1_3genE2ELNS1_11target_archE906ELNS1_3gpuE6ELNS1_3repE0EEENS1_30default_config_static_selectorELNS0_4arch9wavefront6targetE0EEEvSK_.num_agpr, 0
	.set _ZN7rocprim17ROCPRIM_400000_NS6detail17trampoline_kernelINS0_14default_configENS1_37merge_sort_block_sort_config_selectorIsNS0_10empty_typeEEEZNS1_21merge_sort_block_sortIS3_N6thrust23THRUST_200600_302600_NS6detail15normal_iteratorINS9_10device_ptrIsEEEESE_PS5_SF_9comp_mod3IsEEE10hipError_tT0_T1_T2_T3_mRjT4_P12ihipStream_tbNS1_7vsmem_tEEUlT_E_NS1_11comp_targetILNS1_3genE2ELNS1_11target_archE906ELNS1_3gpuE6ELNS1_3repE0EEENS1_30default_config_static_selectorELNS0_4arch9wavefront6targetE0EEEvSK_.numbered_sgpr, 0
	.set _ZN7rocprim17ROCPRIM_400000_NS6detail17trampoline_kernelINS0_14default_configENS1_37merge_sort_block_sort_config_selectorIsNS0_10empty_typeEEEZNS1_21merge_sort_block_sortIS3_N6thrust23THRUST_200600_302600_NS6detail15normal_iteratorINS9_10device_ptrIsEEEESE_PS5_SF_9comp_mod3IsEEE10hipError_tT0_T1_T2_T3_mRjT4_P12ihipStream_tbNS1_7vsmem_tEEUlT_E_NS1_11comp_targetILNS1_3genE2ELNS1_11target_archE906ELNS1_3gpuE6ELNS1_3repE0EEENS1_30default_config_static_selectorELNS0_4arch9wavefront6targetE0EEEvSK_.num_named_barrier, 0
	.set _ZN7rocprim17ROCPRIM_400000_NS6detail17trampoline_kernelINS0_14default_configENS1_37merge_sort_block_sort_config_selectorIsNS0_10empty_typeEEEZNS1_21merge_sort_block_sortIS3_N6thrust23THRUST_200600_302600_NS6detail15normal_iteratorINS9_10device_ptrIsEEEESE_PS5_SF_9comp_mod3IsEEE10hipError_tT0_T1_T2_T3_mRjT4_P12ihipStream_tbNS1_7vsmem_tEEUlT_E_NS1_11comp_targetILNS1_3genE2ELNS1_11target_archE906ELNS1_3gpuE6ELNS1_3repE0EEENS1_30default_config_static_selectorELNS0_4arch9wavefront6targetE0EEEvSK_.private_seg_size, 0
	.set _ZN7rocprim17ROCPRIM_400000_NS6detail17trampoline_kernelINS0_14default_configENS1_37merge_sort_block_sort_config_selectorIsNS0_10empty_typeEEEZNS1_21merge_sort_block_sortIS3_N6thrust23THRUST_200600_302600_NS6detail15normal_iteratorINS9_10device_ptrIsEEEESE_PS5_SF_9comp_mod3IsEEE10hipError_tT0_T1_T2_T3_mRjT4_P12ihipStream_tbNS1_7vsmem_tEEUlT_E_NS1_11comp_targetILNS1_3genE2ELNS1_11target_archE906ELNS1_3gpuE6ELNS1_3repE0EEENS1_30default_config_static_selectorELNS0_4arch9wavefront6targetE0EEEvSK_.uses_vcc, 0
	.set _ZN7rocprim17ROCPRIM_400000_NS6detail17trampoline_kernelINS0_14default_configENS1_37merge_sort_block_sort_config_selectorIsNS0_10empty_typeEEEZNS1_21merge_sort_block_sortIS3_N6thrust23THRUST_200600_302600_NS6detail15normal_iteratorINS9_10device_ptrIsEEEESE_PS5_SF_9comp_mod3IsEEE10hipError_tT0_T1_T2_T3_mRjT4_P12ihipStream_tbNS1_7vsmem_tEEUlT_E_NS1_11comp_targetILNS1_3genE2ELNS1_11target_archE906ELNS1_3gpuE6ELNS1_3repE0EEENS1_30default_config_static_selectorELNS0_4arch9wavefront6targetE0EEEvSK_.uses_flat_scratch, 0
	.set _ZN7rocprim17ROCPRIM_400000_NS6detail17trampoline_kernelINS0_14default_configENS1_37merge_sort_block_sort_config_selectorIsNS0_10empty_typeEEEZNS1_21merge_sort_block_sortIS3_N6thrust23THRUST_200600_302600_NS6detail15normal_iteratorINS9_10device_ptrIsEEEESE_PS5_SF_9comp_mod3IsEEE10hipError_tT0_T1_T2_T3_mRjT4_P12ihipStream_tbNS1_7vsmem_tEEUlT_E_NS1_11comp_targetILNS1_3genE2ELNS1_11target_archE906ELNS1_3gpuE6ELNS1_3repE0EEENS1_30default_config_static_selectorELNS0_4arch9wavefront6targetE0EEEvSK_.has_dyn_sized_stack, 0
	.set _ZN7rocprim17ROCPRIM_400000_NS6detail17trampoline_kernelINS0_14default_configENS1_37merge_sort_block_sort_config_selectorIsNS0_10empty_typeEEEZNS1_21merge_sort_block_sortIS3_N6thrust23THRUST_200600_302600_NS6detail15normal_iteratorINS9_10device_ptrIsEEEESE_PS5_SF_9comp_mod3IsEEE10hipError_tT0_T1_T2_T3_mRjT4_P12ihipStream_tbNS1_7vsmem_tEEUlT_E_NS1_11comp_targetILNS1_3genE2ELNS1_11target_archE906ELNS1_3gpuE6ELNS1_3repE0EEENS1_30default_config_static_selectorELNS0_4arch9wavefront6targetE0EEEvSK_.has_recursion, 0
	.set _ZN7rocprim17ROCPRIM_400000_NS6detail17trampoline_kernelINS0_14default_configENS1_37merge_sort_block_sort_config_selectorIsNS0_10empty_typeEEEZNS1_21merge_sort_block_sortIS3_N6thrust23THRUST_200600_302600_NS6detail15normal_iteratorINS9_10device_ptrIsEEEESE_PS5_SF_9comp_mod3IsEEE10hipError_tT0_T1_T2_T3_mRjT4_P12ihipStream_tbNS1_7vsmem_tEEUlT_E_NS1_11comp_targetILNS1_3genE2ELNS1_11target_archE906ELNS1_3gpuE6ELNS1_3repE0EEENS1_30default_config_static_selectorELNS0_4arch9wavefront6targetE0EEEvSK_.has_indirect_call, 0
	.section	.AMDGPU.csdata,"",@progbits
; Kernel info:
; codeLenInByte = 0
; TotalNumSgprs: 0
; NumVgprs: 0
; ScratchSize: 0
; MemoryBound: 0
; FloatMode: 240
; IeeeMode: 1
; LDSByteSize: 0 bytes/workgroup (compile time only)
; SGPRBlocks: 0
; VGPRBlocks: 0
; NumSGPRsForWavesPerEU: 1
; NumVGPRsForWavesPerEU: 1
; Occupancy: 16
; WaveLimiterHint : 0
; COMPUTE_PGM_RSRC2:SCRATCH_EN: 0
; COMPUTE_PGM_RSRC2:USER_SGPR: 6
; COMPUTE_PGM_RSRC2:TRAP_HANDLER: 0
; COMPUTE_PGM_RSRC2:TGID_X_EN: 1
; COMPUTE_PGM_RSRC2:TGID_Y_EN: 0
; COMPUTE_PGM_RSRC2:TGID_Z_EN: 0
; COMPUTE_PGM_RSRC2:TIDIG_COMP_CNT: 0
	.section	.text._ZN7rocprim17ROCPRIM_400000_NS6detail17trampoline_kernelINS0_14default_configENS1_37merge_sort_block_sort_config_selectorIsNS0_10empty_typeEEEZNS1_21merge_sort_block_sortIS3_N6thrust23THRUST_200600_302600_NS6detail15normal_iteratorINS9_10device_ptrIsEEEESE_PS5_SF_9comp_mod3IsEEE10hipError_tT0_T1_T2_T3_mRjT4_P12ihipStream_tbNS1_7vsmem_tEEUlT_E_NS1_11comp_targetILNS1_3genE10ELNS1_11target_archE1201ELNS1_3gpuE5ELNS1_3repE0EEENS1_30default_config_static_selectorELNS0_4arch9wavefront6targetE0EEEvSK_,"axG",@progbits,_ZN7rocprim17ROCPRIM_400000_NS6detail17trampoline_kernelINS0_14default_configENS1_37merge_sort_block_sort_config_selectorIsNS0_10empty_typeEEEZNS1_21merge_sort_block_sortIS3_N6thrust23THRUST_200600_302600_NS6detail15normal_iteratorINS9_10device_ptrIsEEEESE_PS5_SF_9comp_mod3IsEEE10hipError_tT0_T1_T2_T3_mRjT4_P12ihipStream_tbNS1_7vsmem_tEEUlT_E_NS1_11comp_targetILNS1_3genE10ELNS1_11target_archE1201ELNS1_3gpuE5ELNS1_3repE0EEENS1_30default_config_static_selectorELNS0_4arch9wavefront6targetE0EEEvSK_,comdat
	.protected	_ZN7rocprim17ROCPRIM_400000_NS6detail17trampoline_kernelINS0_14default_configENS1_37merge_sort_block_sort_config_selectorIsNS0_10empty_typeEEEZNS1_21merge_sort_block_sortIS3_N6thrust23THRUST_200600_302600_NS6detail15normal_iteratorINS9_10device_ptrIsEEEESE_PS5_SF_9comp_mod3IsEEE10hipError_tT0_T1_T2_T3_mRjT4_P12ihipStream_tbNS1_7vsmem_tEEUlT_E_NS1_11comp_targetILNS1_3genE10ELNS1_11target_archE1201ELNS1_3gpuE5ELNS1_3repE0EEENS1_30default_config_static_selectorELNS0_4arch9wavefront6targetE0EEEvSK_ ; -- Begin function _ZN7rocprim17ROCPRIM_400000_NS6detail17trampoline_kernelINS0_14default_configENS1_37merge_sort_block_sort_config_selectorIsNS0_10empty_typeEEEZNS1_21merge_sort_block_sortIS3_N6thrust23THRUST_200600_302600_NS6detail15normal_iteratorINS9_10device_ptrIsEEEESE_PS5_SF_9comp_mod3IsEEE10hipError_tT0_T1_T2_T3_mRjT4_P12ihipStream_tbNS1_7vsmem_tEEUlT_E_NS1_11comp_targetILNS1_3genE10ELNS1_11target_archE1201ELNS1_3gpuE5ELNS1_3repE0EEENS1_30default_config_static_selectorELNS0_4arch9wavefront6targetE0EEEvSK_
	.globl	_ZN7rocprim17ROCPRIM_400000_NS6detail17trampoline_kernelINS0_14default_configENS1_37merge_sort_block_sort_config_selectorIsNS0_10empty_typeEEEZNS1_21merge_sort_block_sortIS3_N6thrust23THRUST_200600_302600_NS6detail15normal_iteratorINS9_10device_ptrIsEEEESE_PS5_SF_9comp_mod3IsEEE10hipError_tT0_T1_T2_T3_mRjT4_P12ihipStream_tbNS1_7vsmem_tEEUlT_E_NS1_11comp_targetILNS1_3genE10ELNS1_11target_archE1201ELNS1_3gpuE5ELNS1_3repE0EEENS1_30default_config_static_selectorELNS0_4arch9wavefront6targetE0EEEvSK_
	.p2align	8
	.type	_ZN7rocprim17ROCPRIM_400000_NS6detail17trampoline_kernelINS0_14default_configENS1_37merge_sort_block_sort_config_selectorIsNS0_10empty_typeEEEZNS1_21merge_sort_block_sortIS3_N6thrust23THRUST_200600_302600_NS6detail15normal_iteratorINS9_10device_ptrIsEEEESE_PS5_SF_9comp_mod3IsEEE10hipError_tT0_T1_T2_T3_mRjT4_P12ihipStream_tbNS1_7vsmem_tEEUlT_E_NS1_11comp_targetILNS1_3genE10ELNS1_11target_archE1201ELNS1_3gpuE5ELNS1_3repE0EEENS1_30default_config_static_selectorELNS0_4arch9wavefront6targetE0EEEvSK_,@function
_ZN7rocprim17ROCPRIM_400000_NS6detail17trampoline_kernelINS0_14default_configENS1_37merge_sort_block_sort_config_selectorIsNS0_10empty_typeEEEZNS1_21merge_sort_block_sortIS3_N6thrust23THRUST_200600_302600_NS6detail15normal_iteratorINS9_10device_ptrIsEEEESE_PS5_SF_9comp_mod3IsEEE10hipError_tT0_T1_T2_T3_mRjT4_P12ihipStream_tbNS1_7vsmem_tEEUlT_E_NS1_11comp_targetILNS1_3genE10ELNS1_11target_archE1201ELNS1_3gpuE5ELNS1_3repE0EEENS1_30default_config_static_selectorELNS0_4arch9wavefront6targetE0EEEvSK_: ; @_ZN7rocprim17ROCPRIM_400000_NS6detail17trampoline_kernelINS0_14default_configENS1_37merge_sort_block_sort_config_selectorIsNS0_10empty_typeEEEZNS1_21merge_sort_block_sortIS3_N6thrust23THRUST_200600_302600_NS6detail15normal_iteratorINS9_10device_ptrIsEEEESE_PS5_SF_9comp_mod3IsEEE10hipError_tT0_T1_T2_T3_mRjT4_P12ihipStream_tbNS1_7vsmem_tEEUlT_E_NS1_11comp_targetILNS1_3genE10ELNS1_11target_archE1201ELNS1_3gpuE5ELNS1_3repE0EEENS1_30default_config_static_selectorELNS0_4arch9wavefront6targetE0EEEvSK_
; %bb.0:
	.section	.rodata,"a",@progbits
	.p2align	6, 0x0
	.amdhsa_kernel _ZN7rocprim17ROCPRIM_400000_NS6detail17trampoline_kernelINS0_14default_configENS1_37merge_sort_block_sort_config_selectorIsNS0_10empty_typeEEEZNS1_21merge_sort_block_sortIS3_N6thrust23THRUST_200600_302600_NS6detail15normal_iteratorINS9_10device_ptrIsEEEESE_PS5_SF_9comp_mod3IsEEE10hipError_tT0_T1_T2_T3_mRjT4_P12ihipStream_tbNS1_7vsmem_tEEUlT_E_NS1_11comp_targetILNS1_3genE10ELNS1_11target_archE1201ELNS1_3gpuE5ELNS1_3repE0EEENS1_30default_config_static_selectorELNS0_4arch9wavefront6targetE0EEEvSK_
		.amdhsa_group_segment_fixed_size 0
		.amdhsa_private_segment_fixed_size 0
		.amdhsa_kernarg_size 64
		.amdhsa_user_sgpr_count 6
		.amdhsa_user_sgpr_private_segment_buffer 1
		.amdhsa_user_sgpr_dispatch_ptr 0
		.amdhsa_user_sgpr_queue_ptr 0
		.amdhsa_user_sgpr_kernarg_segment_ptr 1
		.amdhsa_user_sgpr_dispatch_id 0
		.amdhsa_user_sgpr_flat_scratch_init 0
		.amdhsa_user_sgpr_private_segment_size 0
		.amdhsa_wavefront_size32 1
		.amdhsa_uses_dynamic_stack 0
		.amdhsa_system_sgpr_private_segment_wavefront_offset 0
		.amdhsa_system_sgpr_workgroup_id_x 1
		.amdhsa_system_sgpr_workgroup_id_y 0
		.amdhsa_system_sgpr_workgroup_id_z 0
		.amdhsa_system_sgpr_workgroup_info 0
		.amdhsa_system_vgpr_workitem_id 0
		.amdhsa_next_free_vgpr 1
		.amdhsa_next_free_sgpr 1
		.amdhsa_reserve_vcc 0
		.amdhsa_reserve_flat_scratch 0
		.amdhsa_float_round_mode_32 0
		.amdhsa_float_round_mode_16_64 0
		.amdhsa_float_denorm_mode_32 3
		.amdhsa_float_denorm_mode_16_64 3
		.amdhsa_dx10_clamp 1
		.amdhsa_ieee_mode 1
		.amdhsa_fp16_overflow 0
		.amdhsa_workgroup_processor_mode 1
		.amdhsa_memory_ordered 1
		.amdhsa_forward_progress 1
		.amdhsa_shared_vgpr_count 0
		.amdhsa_exception_fp_ieee_invalid_op 0
		.amdhsa_exception_fp_denorm_src 0
		.amdhsa_exception_fp_ieee_div_zero 0
		.amdhsa_exception_fp_ieee_overflow 0
		.amdhsa_exception_fp_ieee_underflow 0
		.amdhsa_exception_fp_ieee_inexact 0
		.amdhsa_exception_int_div_zero 0
	.end_amdhsa_kernel
	.section	.text._ZN7rocprim17ROCPRIM_400000_NS6detail17trampoline_kernelINS0_14default_configENS1_37merge_sort_block_sort_config_selectorIsNS0_10empty_typeEEEZNS1_21merge_sort_block_sortIS3_N6thrust23THRUST_200600_302600_NS6detail15normal_iteratorINS9_10device_ptrIsEEEESE_PS5_SF_9comp_mod3IsEEE10hipError_tT0_T1_T2_T3_mRjT4_P12ihipStream_tbNS1_7vsmem_tEEUlT_E_NS1_11comp_targetILNS1_3genE10ELNS1_11target_archE1201ELNS1_3gpuE5ELNS1_3repE0EEENS1_30default_config_static_selectorELNS0_4arch9wavefront6targetE0EEEvSK_,"axG",@progbits,_ZN7rocprim17ROCPRIM_400000_NS6detail17trampoline_kernelINS0_14default_configENS1_37merge_sort_block_sort_config_selectorIsNS0_10empty_typeEEEZNS1_21merge_sort_block_sortIS3_N6thrust23THRUST_200600_302600_NS6detail15normal_iteratorINS9_10device_ptrIsEEEESE_PS5_SF_9comp_mod3IsEEE10hipError_tT0_T1_T2_T3_mRjT4_P12ihipStream_tbNS1_7vsmem_tEEUlT_E_NS1_11comp_targetILNS1_3genE10ELNS1_11target_archE1201ELNS1_3gpuE5ELNS1_3repE0EEENS1_30default_config_static_selectorELNS0_4arch9wavefront6targetE0EEEvSK_,comdat
.Lfunc_end1041:
	.size	_ZN7rocprim17ROCPRIM_400000_NS6detail17trampoline_kernelINS0_14default_configENS1_37merge_sort_block_sort_config_selectorIsNS0_10empty_typeEEEZNS1_21merge_sort_block_sortIS3_N6thrust23THRUST_200600_302600_NS6detail15normal_iteratorINS9_10device_ptrIsEEEESE_PS5_SF_9comp_mod3IsEEE10hipError_tT0_T1_T2_T3_mRjT4_P12ihipStream_tbNS1_7vsmem_tEEUlT_E_NS1_11comp_targetILNS1_3genE10ELNS1_11target_archE1201ELNS1_3gpuE5ELNS1_3repE0EEENS1_30default_config_static_selectorELNS0_4arch9wavefront6targetE0EEEvSK_, .Lfunc_end1041-_ZN7rocprim17ROCPRIM_400000_NS6detail17trampoline_kernelINS0_14default_configENS1_37merge_sort_block_sort_config_selectorIsNS0_10empty_typeEEEZNS1_21merge_sort_block_sortIS3_N6thrust23THRUST_200600_302600_NS6detail15normal_iteratorINS9_10device_ptrIsEEEESE_PS5_SF_9comp_mod3IsEEE10hipError_tT0_T1_T2_T3_mRjT4_P12ihipStream_tbNS1_7vsmem_tEEUlT_E_NS1_11comp_targetILNS1_3genE10ELNS1_11target_archE1201ELNS1_3gpuE5ELNS1_3repE0EEENS1_30default_config_static_selectorELNS0_4arch9wavefront6targetE0EEEvSK_
                                        ; -- End function
	.set _ZN7rocprim17ROCPRIM_400000_NS6detail17trampoline_kernelINS0_14default_configENS1_37merge_sort_block_sort_config_selectorIsNS0_10empty_typeEEEZNS1_21merge_sort_block_sortIS3_N6thrust23THRUST_200600_302600_NS6detail15normal_iteratorINS9_10device_ptrIsEEEESE_PS5_SF_9comp_mod3IsEEE10hipError_tT0_T1_T2_T3_mRjT4_P12ihipStream_tbNS1_7vsmem_tEEUlT_E_NS1_11comp_targetILNS1_3genE10ELNS1_11target_archE1201ELNS1_3gpuE5ELNS1_3repE0EEENS1_30default_config_static_selectorELNS0_4arch9wavefront6targetE0EEEvSK_.num_vgpr, 0
	.set _ZN7rocprim17ROCPRIM_400000_NS6detail17trampoline_kernelINS0_14default_configENS1_37merge_sort_block_sort_config_selectorIsNS0_10empty_typeEEEZNS1_21merge_sort_block_sortIS3_N6thrust23THRUST_200600_302600_NS6detail15normal_iteratorINS9_10device_ptrIsEEEESE_PS5_SF_9comp_mod3IsEEE10hipError_tT0_T1_T2_T3_mRjT4_P12ihipStream_tbNS1_7vsmem_tEEUlT_E_NS1_11comp_targetILNS1_3genE10ELNS1_11target_archE1201ELNS1_3gpuE5ELNS1_3repE0EEENS1_30default_config_static_selectorELNS0_4arch9wavefront6targetE0EEEvSK_.num_agpr, 0
	.set _ZN7rocprim17ROCPRIM_400000_NS6detail17trampoline_kernelINS0_14default_configENS1_37merge_sort_block_sort_config_selectorIsNS0_10empty_typeEEEZNS1_21merge_sort_block_sortIS3_N6thrust23THRUST_200600_302600_NS6detail15normal_iteratorINS9_10device_ptrIsEEEESE_PS5_SF_9comp_mod3IsEEE10hipError_tT0_T1_T2_T3_mRjT4_P12ihipStream_tbNS1_7vsmem_tEEUlT_E_NS1_11comp_targetILNS1_3genE10ELNS1_11target_archE1201ELNS1_3gpuE5ELNS1_3repE0EEENS1_30default_config_static_selectorELNS0_4arch9wavefront6targetE0EEEvSK_.numbered_sgpr, 0
	.set _ZN7rocprim17ROCPRIM_400000_NS6detail17trampoline_kernelINS0_14default_configENS1_37merge_sort_block_sort_config_selectorIsNS0_10empty_typeEEEZNS1_21merge_sort_block_sortIS3_N6thrust23THRUST_200600_302600_NS6detail15normal_iteratorINS9_10device_ptrIsEEEESE_PS5_SF_9comp_mod3IsEEE10hipError_tT0_T1_T2_T3_mRjT4_P12ihipStream_tbNS1_7vsmem_tEEUlT_E_NS1_11comp_targetILNS1_3genE10ELNS1_11target_archE1201ELNS1_3gpuE5ELNS1_3repE0EEENS1_30default_config_static_selectorELNS0_4arch9wavefront6targetE0EEEvSK_.num_named_barrier, 0
	.set _ZN7rocprim17ROCPRIM_400000_NS6detail17trampoline_kernelINS0_14default_configENS1_37merge_sort_block_sort_config_selectorIsNS0_10empty_typeEEEZNS1_21merge_sort_block_sortIS3_N6thrust23THRUST_200600_302600_NS6detail15normal_iteratorINS9_10device_ptrIsEEEESE_PS5_SF_9comp_mod3IsEEE10hipError_tT0_T1_T2_T3_mRjT4_P12ihipStream_tbNS1_7vsmem_tEEUlT_E_NS1_11comp_targetILNS1_3genE10ELNS1_11target_archE1201ELNS1_3gpuE5ELNS1_3repE0EEENS1_30default_config_static_selectorELNS0_4arch9wavefront6targetE0EEEvSK_.private_seg_size, 0
	.set _ZN7rocprim17ROCPRIM_400000_NS6detail17trampoline_kernelINS0_14default_configENS1_37merge_sort_block_sort_config_selectorIsNS0_10empty_typeEEEZNS1_21merge_sort_block_sortIS3_N6thrust23THRUST_200600_302600_NS6detail15normal_iteratorINS9_10device_ptrIsEEEESE_PS5_SF_9comp_mod3IsEEE10hipError_tT0_T1_T2_T3_mRjT4_P12ihipStream_tbNS1_7vsmem_tEEUlT_E_NS1_11comp_targetILNS1_3genE10ELNS1_11target_archE1201ELNS1_3gpuE5ELNS1_3repE0EEENS1_30default_config_static_selectorELNS0_4arch9wavefront6targetE0EEEvSK_.uses_vcc, 0
	.set _ZN7rocprim17ROCPRIM_400000_NS6detail17trampoline_kernelINS0_14default_configENS1_37merge_sort_block_sort_config_selectorIsNS0_10empty_typeEEEZNS1_21merge_sort_block_sortIS3_N6thrust23THRUST_200600_302600_NS6detail15normal_iteratorINS9_10device_ptrIsEEEESE_PS5_SF_9comp_mod3IsEEE10hipError_tT0_T1_T2_T3_mRjT4_P12ihipStream_tbNS1_7vsmem_tEEUlT_E_NS1_11comp_targetILNS1_3genE10ELNS1_11target_archE1201ELNS1_3gpuE5ELNS1_3repE0EEENS1_30default_config_static_selectorELNS0_4arch9wavefront6targetE0EEEvSK_.uses_flat_scratch, 0
	.set _ZN7rocprim17ROCPRIM_400000_NS6detail17trampoline_kernelINS0_14default_configENS1_37merge_sort_block_sort_config_selectorIsNS0_10empty_typeEEEZNS1_21merge_sort_block_sortIS3_N6thrust23THRUST_200600_302600_NS6detail15normal_iteratorINS9_10device_ptrIsEEEESE_PS5_SF_9comp_mod3IsEEE10hipError_tT0_T1_T2_T3_mRjT4_P12ihipStream_tbNS1_7vsmem_tEEUlT_E_NS1_11comp_targetILNS1_3genE10ELNS1_11target_archE1201ELNS1_3gpuE5ELNS1_3repE0EEENS1_30default_config_static_selectorELNS0_4arch9wavefront6targetE0EEEvSK_.has_dyn_sized_stack, 0
	.set _ZN7rocprim17ROCPRIM_400000_NS6detail17trampoline_kernelINS0_14default_configENS1_37merge_sort_block_sort_config_selectorIsNS0_10empty_typeEEEZNS1_21merge_sort_block_sortIS3_N6thrust23THRUST_200600_302600_NS6detail15normal_iteratorINS9_10device_ptrIsEEEESE_PS5_SF_9comp_mod3IsEEE10hipError_tT0_T1_T2_T3_mRjT4_P12ihipStream_tbNS1_7vsmem_tEEUlT_E_NS1_11comp_targetILNS1_3genE10ELNS1_11target_archE1201ELNS1_3gpuE5ELNS1_3repE0EEENS1_30default_config_static_selectorELNS0_4arch9wavefront6targetE0EEEvSK_.has_recursion, 0
	.set _ZN7rocprim17ROCPRIM_400000_NS6detail17trampoline_kernelINS0_14default_configENS1_37merge_sort_block_sort_config_selectorIsNS0_10empty_typeEEEZNS1_21merge_sort_block_sortIS3_N6thrust23THRUST_200600_302600_NS6detail15normal_iteratorINS9_10device_ptrIsEEEESE_PS5_SF_9comp_mod3IsEEE10hipError_tT0_T1_T2_T3_mRjT4_P12ihipStream_tbNS1_7vsmem_tEEUlT_E_NS1_11comp_targetILNS1_3genE10ELNS1_11target_archE1201ELNS1_3gpuE5ELNS1_3repE0EEENS1_30default_config_static_selectorELNS0_4arch9wavefront6targetE0EEEvSK_.has_indirect_call, 0
	.section	.AMDGPU.csdata,"",@progbits
; Kernel info:
; codeLenInByte = 0
; TotalNumSgprs: 0
; NumVgprs: 0
; ScratchSize: 0
; MemoryBound: 0
; FloatMode: 240
; IeeeMode: 1
; LDSByteSize: 0 bytes/workgroup (compile time only)
; SGPRBlocks: 0
; VGPRBlocks: 0
; NumSGPRsForWavesPerEU: 1
; NumVGPRsForWavesPerEU: 1
; Occupancy: 16
; WaveLimiterHint : 0
; COMPUTE_PGM_RSRC2:SCRATCH_EN: 0
; COMPUTE_PGM_RSRC2:USER_SGPR: 6
; COMPUTE_PGM_RSRC2:TRAP_HANDLER: 0
; COMPUTE_PGM_RSRC2:TGID_X_EN: 1
; COMPUTE_PGM_RSRC2:TGID_Y_EN: 0
; COMPUTE_PGM_RSRC2:TGID_Z_EN: 0
; COMPUTE_PGM_RSRC2:TIDIG_COMP_CNT: 0
	.section	.text._ZN7rocprim17ROCPRIM_400000_NS6detail17trampoline_kernelINS0_14default_configENS1_37merge_sort_block_sort_config_selectorIsNS0_10empty_typeEEEZNS1_21merge_sort_block_sortIS3_N6thrust23THRUST_200600_302600_NS6detail15normal_iteratorINS9_10device_ptrIsEEEESE_PS5_SF_9comp_mod3IsEEE10hipError_tT0_T1_T2_T3_mRjT4_P12ihipStream_tbNS1_7vsmem_tEEUlT_E_NS1_11comp_targetILNS1_3genE10ELNS1_11target_archE1200ELNS1_3gpuE4ELNS1_3repE0EEENS1_30default_config_static_selectorELNS0_4arch9wavefront6targetE0EEEvSK_,"axG",@progbits,_ZN7rocprim17ROCPRIM_400000_NS6detail17trampoline_kernelINS0_14default_configENS1_37merge_sort_block_sort_config_selectorIsNS0_10empty_typeEEEZNS1_21merge_sort_block_sortIS3_N6thrust23THRUST_200600_302600_NS6detail15normal_iteratorINS9_10device_ptrIsEEEESE_PS5_SF_9comp_mod3IsEEE10hipError_tT0_T1_T2_T3_mRjT4_P12ihipStream_tbNS1_7vsmem_tEEUlT_E_NS1_11comp_targetILNS1_3genE10ELNS1_11target_archE1200ELNS1_3gpuE4ELNS1_3repE0EEENS1_30default_config_static_selectorELNS0_4arch9wavefront6targetE0EEEvSK_,comdat
	.protected	_ZN7rocprim17ROCPRIM_400000_NS6detail17trampoline_kernelINS0_14default_configENS1_37merge_sort_block_sort_config_selectorIsNS0_10empty_typeEEEZNS1_21merge_sort_block_sortIS3_N6thrust23THRUST_200600_302600_NS6detail15normal_iteratorINS9_10device_ptrIsEEEESE_PS5_SF_9comp_mod3IsEEE10hipError_tT0_T1_T2_T3_mRjT4_P12ihipStream_tbNS1_7vsmem_tEEUlT_E_NS1_11comp_targetILNS1_3genE10ELNS1_11target_archE1200ELNS1_3gpuE4ELNS1_3repE0EEENS1_30default_config_static_selectorELNS0_4arch9wavefront6targetE0EEEvSK_ ; -- Begin function _ZN7rocprim17ROCPRIM_400000_NS6detail17trampoline_kernelINS0_14default_configENS1_37merge_sort_block_sort_config_selectorIsNS0_10empty_typeEEEZNS1_21merge_sort_block_sortIS3_N6thrust23THRUST_200600_302600_NS6detail15normal_iteratorINS9_10device_ptrIsEEEESE_PS5_SF_9comp_mod3IsEEE10hipError_tT0_T1_T2_T3_mRjT4_P12ihipStream_tbNS1_7vsmem_tEEUlT_E_NS1_11comp_targetILNS1_3genE10ELNS1_11target_archE1200ELNS1_3gpuE4ELNS1_3repE0EEENS1_30default_config_static_selectorELNS0_4arch9wavefront6targetE0EEEvSK_
	.globl	_ZN7rocprim17ROCPRIM_400000_NS6detail17trampoline_kernelINS0_14default_configENS1_37merge_sort_block_sort_config_selectorIsNS0_10empty_typeEEEZNS1_21merge_sort_block_sortIS3_N6thrust23THRUST_200600_302600_NS6detail15normal_iteratorINS9_10device_ptrIsEEEESE_PS5_SF_9comp_mod3IsEEE10hipError_tT0_T1_T2_T3_mRjT4_P12ihipStream_tbNS1_7vsmem_tEEUlT_E_NS1_11comp_targetILNS1_3genE10ELNS1_11target_archE1200ELNS1_3gpuE4ELNS1_3repE0EEENS1_30default_config_static_selectorELNS0_4arch9wavefront6targetE0EEEvSK_
	.p2align	8
	.type	_ZN7rocprim17ROCPRIM_400000_NS6detail17trampoline_kernelINS0_14default_configENS1_37merge_sort_block_sort_config_selectorIsNS0_10empty_typeEEEZNS1_21merge_sort_block_sortIS3_N6thrust23THRUST_200600_302600_NS6detail15normal_iteratorINS9_10device_ptrIsEEEESE_PS5_SF_9comp_mod3IsEEE10hipError_tT0_T1_T2_T3_mRjT4_P12ihipStream_tbNS1_7vsmem_tEEUlT_E_NS1_11comp_targetILNS1_3genE10ELNS1_11target_archE1200ELNS1_3gpuE4ELNS1_3repE0EEENS1_30default_config_static_selectorELNS0_4arch9wavefront6targetE0EEEvSK_,@function
_ZN7rocprim17ROCPRIM_400000_NS6detail17trampoline_kernelINS0_14default_configENS1_37merge_sort_block_sort_config_selectorIsNS0_10empty_typeEEEZNS1_21merge_sort_block_sortIS3_N6thrust23THRUST_200600_302600_NS6detail15normal_iteratorINS9_10device_ptrIsEEEESE_PS5_SF_9comp_mod3IsEEE10hipError_tT0_T1_T2_T3_mRjT4_P12ihipStream_tbNS1_7vsmem_tEEUlT_E_NS1_11comp_targetILNS1_3genE10ELNS1_11target_archE1200ELNS1_3gpuE4ELNS1_3repE0EEENS1_30default_config_static_selectorELNS0_4arch9wavefront6targetE0EEEvSK_: ; @_ZN7rocprim17ROCPRIM_400000_NS6detail17trampoline_kernelINS0_14default_configENS1_37merge_sort_block_sort_config_selectorIsNS0_10empty_typeEEEZNS1_21merge_sort_block_sortIS3_N6thrust23THRUST_200600_302600_NS6detail15normal_iteratorINS9_10device_ptrIsEEEESE_PS5_SF_9comp_mod3IsEEE10hipError_tT0_T1_T2_T3_mRjT4_P12ihipStream_tbNS1_7vsmem_tEEUlT_E_NS1_11comp_targetILNS1_3genE10ELNS1_11target_archE1200ELNS1_3gpuE4ELNS1_3repE0EEENS1_30default_config_static_selectorELNS0_4arch9wavefront6targetE0EEEvSK_
; %bb.0:
	.section	.rodata,"a",@progbits
	.p2align	6, 0x0
	.amdhsa_kernel _ZN7rocprim17ROCPRIM_400000_NS6detail17trampoline_kernelINS0_14default_configENS1_37merge_sort_block_sort_config_selectorIsNS0_10empty_typeEEEZNS1_21merge_sort_block_sortIS3_N6thrust23THRUST_200600_302600_NS6detail15normal_iteratorINS9_10device_ptrIsEEEESE_PS5_SF_9comp_mod3IsEEE10hipError_tT0_T1_T2_T3_mRjT4_P12ihipStream_tbNS1_7vsmem_tEEUlT_E_NS1_11comp_targetILNS1_3genE10ELNS1_11target_archE1200ELNS1_3gpuE4ELNS1_3repE0EEENS1_30default_config_static_selectorELNS0_4arch9wavefront6targetE0EEEvSK_
		.amdhsa_group_segment_fixed_size 0
		.amdhsa_private_segment_fixed_size 0
		.amdhsa_kernarg_size 64
		.amdhsa_user_sgpr_count 6
		.amdhsa_user_sgpr_private_segment_buffer 1
		.amdhsa_user_sgpr_dispatch_ptr 0
		.amdhsa_user_sgpr_queue_ptr 0
		.amdhsa_user_sgpr_kernarg_segment_ptr 1
		.amdhsa_user_sgpr_dispatch_id 0
		.amdhsa_user_sgpr_flat_scratch_init 0
		.amdhsa_user_sgpr_private_segment_size 0
		.amdhsa_wavefront_size32 1
		.amdhsa_uses_dynamic_stack 0
		.amdhsa_system_sgpr_private_segment_wavefront_offset 0
		.amdhsa_system_sgpr_workgroup_id_x 1
		.amdhsa_system_sgpr_workgroup_id_y 0
		.amdhsa_system_sgpr_workgroup_id_z 0
		.amdhsa_system_sgpr_workgroup_info 0
		.amdhsa_system_vgpr_workitem_id 0
		.amdhsa_next_free_vgpr 1
		.amdhsa_next_free_sgpr 1
		.amdhsa_reserve_vcc 0
		.amdhsa_reserve_flat_scratch 0
		.amdhsa_float_round_mode_32 0
		.amdhsa_float_round_mode_16_64 0
		.amdhsa_float_denorm_mode_32 3
		.amdhsa_float_denorm_mode_16_64 3
		.amdhsa_dx10_clamp 1
		.amdhsa_ieee_mode 1
		.amdhsa_fp16_overflow 0
		.amdhsa_workgroup_processor_mode 1
		.amdhsa_memory_ordered 1
		.amdhsa_forward_progress 1
		.amdhsa_shared_vgpr_count 0
		.amdhsa_exception_fp_ieee_invalid_op 0
		.amdhsa_exception_fp_denorm_src 0
		.amdhsa_exception_fp_ieee_div_zero 0
		.amdhsa_exception_fp_ieee_overflow 0
		.amdhsa_exception_fp_ieee_underflow 0
		.amdhsa_exception_fp_ieee_inexact 0
		.amdhsa_exception_int_div_zero 0
	.end_amdhsa_kernel
	.section	.text._ZN7rocprim17ROCPRIM_400000_NS6detail17trampoline_kernelINS0_14default_configENS1_37merge_sort_block_sort_config_selectorIsNS0_10empty_typeEEEZNS1_21merge_sort_block_sortIS3_N6thrust23THRUST_200600_302600_NS6detail15normal_iteratorINS9_10device_ptrIsEEEESE_PS5_SF_9comp_mod3IsEEE10hipError_tT0_T1_T2_T3_mRjT4_P12ihipStream_tbNS1_7vsmem_tEEUlT_E_NS1_11comp_targetILNS1_3genE10ELNS1_11target_archE1200ELNS1_3gpuE4ELNS1_3repE0EEENS1_30default_config_static_selectorELNS0_4arch9wavefront6targetE0EEEvSK_,"axG",@progbits,_ZN7rocprim17ROCPRIM_400000_NS6detail17trampoline_kernelINS0_14default_configENS1_37merge_sort_block_sort_config_selectorIsNS0_10empty_typeEEEZNS1_21merge_sort_block_sortIS3_N6thrust23THRUST_200600_302600_NS6detail15normal_iteratorINS9_10device_ptrIsEEEESE_PS5_SF_9comp_mod3IsEEE10hipError_tT0_T1_T2_T3_mRjT4_P12ihipStream_tbNS1_7vsmem_tEEUlT_E_NS1_11comp_targetILNS1_3genE10ELNS1_11target_archE1200ELNS1_3gpuE4ELNS1_3repE0EEENS1_30default_config_static_selectorELNS0_4arch9wavefront6targetE0EEEvSK_,comdat
.Lfunc_end1042:
	.size	_ZN7rocprim17ROCPRIM_400000_NS6detail17trampoline_kernelINS0_14default_configENS1_37merge_sort_block_sort_config_selectorIsNS0_10empty_typeEEEZNS1_21merge_sort_block_sortIS3_N6thrust23THRUST_200600_302600_NS6detail15normal_iteratorINS9_10device_ptrIsEEEESE_PS5_SF_9comp_mod3IsEEE10hipError_tT0_T1_T2_T3_mRjT4_P12ihipStream_tbNS1_7vsmem_tEEUlT_E_NS1_11comp_targetILNS1_3genE10ELNS1_11target_archE1200ELNS1_3gpuE4ELNS1_3repE0EEENS1_30default_config_static_selectorELNS0_4arch9wavefront6targetE0EEEvSK_, .Lfunc_end1042-_ZN7rocprim17ROCPRIM_400000_NS6detail17trampoline_kernelINS0_14default_configENS1_37merge_sort_block_sort_config_selectorIsNS0_10empty_typeEEEZNS1_21merge_sort_block_sortIS3_N6thrust23THRUST_200600_302600_NS6detail15normal_iteratorINS9_10device_ptrIsEEEESE_PS5_SF_9comp_mod3IsEEE10hipError_tT0_T1_T2_T3_mRjT4_P12ihipStream_tbNS1_7vsmem_tEEUlT_E_NS1_11comp_targetILNS1_3genE10ELNS1_11target_archE1200ELNS1_3gpuE4ELNS1_3repE0EEENS1_30default_config_static_selectorELNS0_4arch9wavefront6targetE0EEEvSK_
                                        ; -- End function
	.set _ZN7rocprim17ROCPRIM_400000_NS6detail17trampoline_kernelINS0_14default_configENS1_37merge_sort_block_sort_config_selectorIsNS0_10empty_typeEEEZNS1_21merge_sort_block_sortIS3_N6thrust23THRUST_200600_302600_NS6detail15normal_iteratorINS9_10device_ptrIsEEEESE_PS5_SF_9comp_mod3IsEEE10hipError_tT0_T1_T2_T3_mRjT4_P12ihipStream_tbNS1_7vsmem_tEEUlT_E_NS1_11comp_targetILNS1_3genE10ELNS1_11target_archE1200ELNS1_3gpuE4ELNS1_3repE0EEENS1_30default_config_static_selectorELNS0_4arch9wavefront6targetE0EEEvSK_.num_vgpr, 0
	.set _ZN7rocprim17ROCPRIM_400000_NS6detail17trampoline_kernelINS0_14default_configENS1_37merge_sort_block_sort_config_selectorIsNS0_10empty_typeEEEZNS1_21merge_sort_block_sortIS3_N6thrust23THRUST_200600_302600_NS6detail15normal_iteratorINS9_10device_ptrIsEEEESE_PS5_SF_9comp_mod3IsEEE10hipError_tT0_T1_T2_T3_mRjT4_P12ihipStream_tbNS1_7vsmem_tEEUlT_E_NS1_11comp_targetILNS1_3genE10ELNS1_11target_archE1200ELNS1_3gpuE4ELNS1_3repE0EEENS1_30default_config_static_selectorELNS0_4arch9wavefront6targetE0EEEvSK_.num_agpr, 0
	.set _ZN7rocprim17ROCPRIM_400000_NS6detail17trampoline_kernelINS0_14default_configENS1_37merge_sort_block_sort_config_selectorIsNS0_10empty_typeEEEZNS1_21merge_sort_block_sortIS3_N6thrust23THRUST_200600_302600_NS6detail15normal_iteratorINS9_10device_ptrIsEEEESE_PS5_SF_9comp_mod3IsEEE10hipError_tT0_T1_T2_T3_mRjT4_P12ihipStream_tbNS1_7vsmem_tEEUlT_E_NS1_11comp_targetILNS1_3genE10ELNS1_11target_archE1200ELNS1_3gpuE4ELNS1_3repE0EEENS1_30default_config_static_selectorELNS0_4arch9wavefront6targetE0EEEvSK_.numbered_sgpr, 0
	.set _ZN7rocprim17ROCPRIM_400000_NS6detail17trampoline_kernelINS0_14default_configENS1_37merge_sort_block_sort_config_selectorIsNS0_10empty_typeEEEZNS1_21merge_sort_block_sortIS3_N6thrust23THRUST_200600_302600_NS6detail15normal_iteratorINS9_10device_ptrIsEEEESE_PS5_SF_9comp_mod3IsEEE10hipError_tT0_T1_T2_T3_mRjT4_P12ihipStream_tbNS1_7vsmem_tEEUlT_E_NS1_11comp_targetILNS1_3genE10ELNS1_11target_archE1200ELNS1_3gpuE4ELNS1_3repE0EEENS1_30default_config_static_selectorELNS0_4arch9wavefront6targetE0EEEvSK_.num_named_barrier, 0
	.set _ZN7rocprim17ROCPRIM_400000_NS6detail17trampoline_kernelINS0_14default_configENS1_37merge_sort_block_sort_config_selectorIsNS0_10empty_typeEEEZNS1_21merge_sort_block_sortIS3_N6thrust23THRUST_200600_302600_NS6detail15normal_iteratorINS9_10device_ptrIsEEEESE_PS5_SF_9comp_mod3IsEEE10hipError_tT0_T1_T2_T3_mRjT4_P12ihipStream_tbNS1_7vsmem_tEEUlT_E_NS1_11comp_targetILNS1_3genE10ELNS1_11target_archE1200ELNS1_3gpuE4ELNS1_3repE0EEENS1_30default_config_static_selectorELNS0_4arch9wavefront6targetE0EEEvSK_.private_seg_size, 0
	.set _ZN7rocprim17ROCPRIM_400000_NS6detail17trampoline_kernelINS0_14default_configENS1_37merge_sort_block_sort_config_selectorIsNS0_10empty_typeEEEZNS1_21merge_sort_block_sortIS3_N6thrust23THRUST_200600_302600_NS6detail15normal_iteratorINS9_10device_ptrIsEEEESE_PS5_SF_9comp_mod3IsEEE10hipError_tT0_T1_T2_T3_mRjT4_P12ihipStream_tbNS1_7vsmem_tEEUlT_E_NS1_11comp_targetILNS1_3genE10ELNS1_11target_archE1200ELNS1_3gpuE4ELNS1_3repE0EEENS1_30default_config_static_selectorELNS0_4arch9wavefront6targetE0EEEvSK_.uses_vcc, 0
	.set _ZN7rocprim17ROCPRIM_400000_NS6detail17trampoline_kernelINS0_14default_configENS1_37merge_sort_block_sort_config_selectorIsNS0_10empty_typeEEEZNS1_21merge_sort_block_sortIS3_N6thrust23THRUST_200600_302600_NS6detail15normal_iteratorINS9_10device_ptrIsEEEESE_PS5_SF_9comp_mod3IsEEE10hipError_tT0_T1_T2_T3_mRjT4_P12ihipStream_tbNS1_7vsmem_tEEUlT_E_NS1_11comp_targetILNS1_3genE10ELNS1_11target_archE1200ELNS1_3gpuE4ELNS1_3repE0EEENS1_30default_config_static_selectorELNS0_4arch9wavefront6targetE0EEEvSK_.uses_flat_scratch, 0
	.set _ZN7rocprim17ROCPRIM_400000_NS6detail17trampoline_kernelINS0_14default_configENS1_37merge_sort_block_sort_config_selectorIsNS0_10empty_typeEEEZNS1_21merge_sort_block_sortIS3_N6thrust23THRUST_200600_302600_NS6detail15normal_iteratorINS9_10device_ptrIsEEEESE_PS5_SF_9comp_mod3IsEEE10hipError_tT0_T1_T2_T3_mRjT4_P12ihipStream_tbNS1_7vsmem_tEEUlT_E_NS1_11comp_targetILNS1_3genE10ELNS1_11target_archE1200ELNS1_3gpuE4ELNS1_3repE0EEENS1_30default_config_static_selectorELNS0_4arch9wavefront6targetE0EEEvSK_.has_dyn_sized_stack, 0
	.set _ZN7rocprim17ROCPRIM_400000_NS6detail17trampoline_kernelINS0_14default_configENS1_37merge_sort_block_sort_config_selectorIsNS0_10empty_typeEEEZNS1_21merge_sort_block_sortIS3_N6thrust23THRUST_200600_302600_NS6detail15normal_iteratorINS9_10device_ptrIsEEEESE_PS5_SF_9comp_mod3IsEEE10hipError_tT0_T1_T2_T3_mRjT4_P12ihipStream_tbNS1_7vsmem_tEEUlT_E_NS1_11comp_targetILNS1_3genE10ELNS1_11target_archE1200ELNS1_3gpuE4ELNS1_3repE0EEENS1_30default_config_static_selectorELNS0_4arch9wavefront6targetE0EEEvSK_.has_recursion, 0
	.set _ZN7rocprim17ROCPRIM_400000_NS6detail17trampoline_kernelINS0_14default_configENS1_37merge_sort_block_sort_config_selectorIsNS0_10empty_typeEEEZNS1_21merge_sort_block_sortIS3_N6thrust23THRUST_200600_302600_NS6detail15normal_iteratorINS9_10device_ptrIsEEEESE_PS5_SF_9comp_mod3IsEEE10hipError_tT0_T1_T2_T3_mRjT4_P12ihipStream_tbNS1_7vsmem_tEEUlT_E_NS1_11comp_targetILNS1_3genE10ELNS1_11target_archE1200ELNS1_3gpuE4ELNS1_3repE0EEENS1_30default_config_static_selectorELNS0_4arch9wavefront6targetE0EEEvSK_.has_indirect_call, 0
	.section	.AMDGPU.csdata,"",@progbits
; Kernel info:
; codeLenInByte = 0
; TotalNumSgprs: 0
; NumVgprs: 0
; ScratchSize: 0
; MemoryBound: 0
; FloatMode: 240
; IeeeMode: 1
; LDSByteSize: 0 bytes/workgroup (compile time only)
; SGPRBlocks: 0
; VGPRBlocks: 0
; NumSGPRsForWavesPerEU: 1
; NumVGPRsForWavesPerEU: 1
; Occupancy: 16
; WaveLimiterHint : 0
; COMPUTE_PGM_RSRC2:SCRATCH_EN: 0
; COMPUTE_PGM_RSRC2:USER_SGPR: 6
; COMPUTE_PGM_RSRC2:TRAP_HANDLER: 0
; COMPUTE_PGM_RSRC2:TGID_X_EN: 1
; COMPUTE_PGM_RSRC2:TGID_Y_EN: 0
; COMPUTE_PGM_RSRC2:TGID_Z_EN: 0
; COMPUTE_PGM_RSRC2:TIDIG_COMP_CNT: 0
	.section	.text._ZN7rocprim17ROCPRIM_400000_NS6detail17trampoline_kernelINS0_14default_configENS1_37merge_sort_block_sort_config_selectorIsNS0_10empty_typeEEEZNS1_21merge_sort_block_sortIS3_N6thrust23THRUST_200600_302600_NS6detail15normal_iteratorINS9_10device_ptrIsEEEESE_PS5_SF_9comp_mod3IsEEE10hipError_tT0_T1_T2_T3_mRjT4_P12ihipStream_tbNS1_7vsmem_tEEUlT_E_NS1_11comp_targetILNS1_3genE9ELNS1_11target_archE1100ELNS1_3gpuE3ELNS1_3repE0EEENS1_30default_config_static_selectorELNS0_4arch9wavefront6targetE0EEEvSK_,"axG",@progbits,_ZN7rocprim17ROCPRIM_400000_NS6detail17trampoline_kernelINS0_14default_configENS1_37merge_sort_block_sort_config_selectorIsNS0_10empty_typeEEEZNS1_21merge_sort_block_sortIS3_N6thrust23THRUST_200600_302600_NS6detail15normal_iteratorINS9_10device_ptrIsEEEESE_PS5_SF_9comp_mod3IsEEE10hipError_tT0_T1_T2_T3_mRjT4_P12ihipStream_tbNS1_7vsmem_tEEUlT_E_NS1_11comp_targetILNS1_3genE9ELNS1_11target_archE1100ELNS1_3gpuE3ELNS1_3repE0EEENS1_30default_config_static_selectorELNS0_4arch9wavefront6targetE0EEEvSK_,comdat
	.protected	_ZN7rocprim17ROCPRIM_400000_NS6detail17trampoline_kernelINS0_14default_configENS1_37merge_sort_block_sort_config_selectorIsNS0_10empty_typeEEEZNS1_21merge_sort_block_sortIS3_N6thrust23THRUST_200600_302600_NS6detail15normal_iteratorINS9_10device_ptrIsEEEESE_PS5_SF_9comp_mod3IsEEE10hipError_tT0_T1_T2_T3_mRjT4_P12ihipStream_tbNS1_7vsmem_tEEUlT_E_NS1_11comp_targetILNS1_3genE9ELNS1_11target_archE1100ELNS1_3gpuE3ELNS1_3repE0EEENS1_30default_config_static_selectorELNS0_4arch9wavefront6targetE0EEEvSK_ ; -- Begin function _ZN7rocprim17ROCPRIM_400000_NS6detail17trampoline_kernelINS0_14default_configENS1_37merge_sort_block_sort_config_selectorIsNS0_10empty_typeEEEZNS1_21merge_sort_block_sortIS3_N6thrust23THRUST_200600_302600_NS6detail15normal_iteratorINS9_10device_ptrIsEEEESE_PS5_SF_9comp_mod3IsEEE10hipError_tT0_T1_T2_T3_mRjT4_P12ihipStream_tbNS1_7vsmem_tEEUlT_E_NS1_11comp_targetILNS1_3genE9ELNS1_11target_archE1100ELNS1_3gpuE3ELNS1_3repE0EEENS1_30default_config_static_selectorELNS0_4arch9wavefront6targetE0EEEvSK_
	.globl	_ZN7rocprim17ROCPRIM_400000_NS6detail17trampoline_kernelINS0_14default_configENS1_37merge_sort_block_sort_config_selectorIsNS0_10empty_typeEEEZNS1_21merge_sort_block_sortIS3_N6thrust23THRUST_200600_302600_NS6detail15normal_iteratorINS9_10device_ptrIsEEEESE_PS5_SF_9comp_mod3IsEEE10hipError_tT0_T1_T2_T3_mRjT4_P12ihipStream_tbNS1_7vsmem_tEEUlT_E_NS1_11comp_targetILNS1_3genE9ELNS1_11target_archE1100ELNS1_3gpuE3ELNS1_3repE0EEENS1_30default_config_static_selectorELNS0_4arch9wavefront6targetE0EEEvSK_
	.p2align	8
	.type	_ZN7rocprim17ROCPRIM_400000_NS6detail17trampoline_kernelINS0_14default_configENS1_37merge_sort_block_sort_config_selectorIsNS0_10empty_typeEEEZNS1_21merge_sort_block_sortIS3_N6thrust23THRUST_200600_302600_NS6detail15normal_iteratorINS9_10device_ptrIsEEEESE_PS5_SF_9comp_mod3IsEEE10hipError_tT0_T1_T2_T3_mRjT4_P12ihipStream_tbNS1_7vsmem_tEEUlT_E_NS1_11comp_targetILNS1_3genE9ELNS1_11target_archE1100ELNS1_3gpuE3ELNS1_3repE0EEENS1_30default_config_static_selectorELNS0_4arch9wavefront6targetE0EEEvSK_,@function
_ZN7rocprim17ROCPRIM_400000_NS6detail17trampoline_kernelINS0_14default_configENS1_37merge_sort_block_sort_config_selectorIsNS0_10empty_typeEEEZNS1_21merge_sort_block_sortIS3_N6thrust23THRUST_200600_302600_NS6detail15normal_iteratorINS9_10device_ptrIsEEEESE_PS5_SF_9comp_mod3IsEEE10hipError_tT0_T1_T2_T3_mRjT4_P12ihipStream_tbNS1_7vsmem_tEEUlT_E_NS1_11comp_targetILNS1_3genE9ELNS1_11target_archE1100ELNS1_3gpuE3ELNS1_3repE0EEENS1_30default_config_static_selectorELNS0_4arch9wavefront6targetE0EEEvSK_: ; @_ZN7rocprim17ROCPRIM_400000_NS6detail17trampoline_kernelINS0_14default_configENS1_37merge_sort_block_sort_config_selectorIsNS0_10empty_typeEEEZNS1_21merge_sort_block_sortIS3_N6thrust23THRUST_200600_302600_NS6detail15normal_iteratorINS9_10device_ptrIsEEEESE_PS5_SF_9comp_mod3IsEEE10hipError_tT0_T1_T2_T3_mRjT4_P12ihipStream_tbNS1_7vsmem_tEEUlT_E_NS1_11comp_targetILNS1_3genE9ELNS1_11target_archE1100ELNS1_3gpuE3ELNS1_3repE0EEENS1_30default_config_static_selectorELNS0_4arch9wavefront6targetE0EEEvSK_
; %bb.0:
	.section	.rodata,"a",@progbits
	.p2align	6, 0x0
	.amdhsa_kernel _ZN7rocprim17ROCPRIM_400000_NS6detail17trampoline_kernelINS0_14default_configENS1_37merge_sort_block_sort_config_selectorIsNS0_10empty_typeEEEZNS1_21merge_sort_block_sortIS3_N6thrust23THRUST_200600_302600_NS6detail15normal_iteratorINS9_10device_ptrIsEEEESE_PS5_SF_9comp_mod3IsEEE10hipError_tT0_T1_T2_T3_mRjT4_P12ihipStream_tbNS1_7vsmem_tEEUlT_E_NS1_11comp_targetILNS1_3genE9ELNS1_11target_archE1100ELNS1_3gpuE3ELNS1_3repE0EEENS1_30default_config_static_selectorELNS0_4arch9wavefront6targetE0EEEvSK_
		.amdhsa_group_segment_fixed_size 0
		.amdhsa_private_segment_fixed_size 0
		.amdhsa_kernarg_size 64
		.amdhsa_user_sgpr_count 6
		.amdhsa_user_sgpr_private_segment_buffer 1
		.amdhsa_user_sgpr_dispatch_ptr 0
		.amdhsa_user_sgpr_queue_ptr 0
		.amdhsa_user_sgpr_kernarg_segment_ptr 1
		.amdhsa_user_sgpr_dispatch_id 0
		.amdhsa_user_sgpr_flat_scratch_init 0
		.amdhsa_user_sgpr_private_segment_size 0
		.amdhsa_wavefront_size32 1
		.amdhsa_uses_dynamic_stack 0
		.amdhsa_system_sgpr_private_segment_wavefront_offset 0
		.amdhsa_system_sgpr_workgroup_id_x 1
		.amdhsa_system_sgpr_workgroup_id_y 0
		.amdhsa_system_sgpr_workgroup_id_z 0
		.amdhsa_system_sgpr_workgroup_info 0
		.amdhsa_system_vgpr_workitem_id 0
		.amdhsa_next_free_vgpr 1
		.amdhsa_next_free_sgpr 1
		.amdhsa_reserve_vcc 0
		.amdhsa_reserve_flat_scratch 0
		.amdhsa_float_round_mode_32 0
		.amdhsa_float_round_mode_16_64 0
		.amdhsa_float_denorm_mode_32 3
		.amdhsa_float_denorm_mode_16_64 3
		.amdhsa_dx10_clamp 1
		.amdhsa_ieee_mode 1
		.amdhsa_fp16_overflow 0
		.amdhsa_workgroup_processor_mode 1
		.amdhsa_memory_ordered 1
		.amdhsa_forward_progress 1
		.amdhsa_shared_vgpr_count 0
		.amdhsa_exception_fp_ieee_invalid_op 0
		.amdhsa_exception_fp_denorm_src 0
		.amdhsa_exception_fp_ieee_div_zero 0
		.amdhsa_exception_fp_ieee_overflow 0
		.amdhsa_exception_fp_ieee_underflow 0
		.amdhsa_exception_fp_ieee_inexact 0
		.amdhsa_exception_int_div_zero 0
	.end_amdhsa_kernel
	.section	.text._ZN7rocprim17ROCPRIM_400000_NS6detail17trampoline_kernelINS0_14default_configENS1_37merge_sort_block_sort_config_selectorIsNS0_10empty_typeEEEZNS1_21merge_sort_block_sortIS3_N6thrust23THRUST_200600_302600_NS6detail15normal_iteratorINS9_10device_ptrIsEEEESE_PS5_SF_9comp_mod3IsEEE10hipError_tT0_T1_T2_T3_mRjT4_P12ihipStream_tbNS1_7vsmem_tEEUlT_E_NS1_11comp_targetILNS1_3genE9ELNS1_11target_archE1100ELNS1_3gpuE3ELNS1_3repE0EEENS1_30default_config_static_selectorELNS0_4arch9wavefront6targetE0EEEvSK_,"axG",@progbits,_ZN7rocprim17ROCPRIM_400000_NS6detail17trampoline_kernelINS0_14default_configENS1_37merge_sort_block_sort_config_selectorIsNS0_10empty_typeEEEZNS1_21merge_sort_block_sortIS3_N6thrust23THRUST_200600_302600_NS6detail15normal_iteratorINS9_10device_ptrIsEEEESE_PS5_SF_9comp_mod3IsEEE10hipError_tT0_T1_T2_T3_mRjT4_P12ihipStream_tbNS1_7vsmem_tEEUlT_E_NS1_11comp_targetILNS1_3genE9ELNS1_11target_archE1100ELNS1_3gpuE3ELNS1_3repE0EEENS1_30default_config_static_selectorELNS0_4arch9wavefront6targetE0EEEvSK_,comdat
.Lfunc_end1043:
	.size	_ZN7rocprim17ROCPRIM_400000_NS6detail17trampoline_kernelINS0_14default_configENS1_37merge_sort_block_sort_config_selectorIsNS0_10empty_typeEEEZNS1_21merge_sort_block_sortIS3_N6thrust23THRUST_200600_302600_NS6detail15normal_iteratorINS9_10device_ptrIsEEEESE_PS5_SF_9comp_mod3IsEEE10hipError_tT0_T1_T2_T3_mRjT4_P12ihipStream_tbNS1_7vsmem_tEEUlT_E_NS1_11comp_targetILNS1_3genE9ELNS1_11target_archE1100ELNS1_3gpuE3ELNS1_3repE0EEENS1_30default_config_static_selectorELNS0_4arch9wavefront6targetE0EEEvSK_, .Lfunc_end1043-_ZN7rocprim17ROCPRIM_400000_NS6detail17trampoline_kernelINS0_14default_configENS1_37merge_sort_block_sort_config_selectorIsNS0_10empty_typeEEEZNS1_21merge_sort_block_sortIS3_N6thrust23THRUST_200600_302600_NS6detail15normal_iteratorINS9_10device_ptrIsEEEESE_PS5_SF_9comp_mod3IsEEE10hipError_tT0_T1_T2_T3_mRjT4_P12ihipStream_tbNS1_7vsmem_tEEUlT_E_NS1_11comp_targetILNS1_3genE9ELNS1_11target_archE1100ELNS1_3gpuE3ELNS1_3repE0EEENS1_30default_config_static_selectorELNS0_4arch9wavefront6targetE0EEEvSK_
                                        ; -- End function
	.set _ZN7rocprim17ROCPRIM_400000_NS6detail17trampoline_kernelINS0_14default_configENS1_37merge_sort_block_sort_config_selectorIsNS0_10empty_typeEEEZNS1_21merge_sort_block_sortIS3_N6thrust23THRUST_200600_302600_NS6detail15normal_iteratorINS9_10device_ptrIsEEEESE_PS5_SF_9comp_mod3IsEEE10hipError_tT0_T1_T2_T3_mRjT4_P12ihipStream_tbNS1_7vsmem_tEEUlT_E_NS1_11comp_targetILNS1_3genE9ELNS1_11target_archE1100ELNS1_3gpuE3ELNS1_3repE0EEENS1_30default_config_static_selectorELNS0_4arch9wavefront6targetE0EEEvSK_.num_vgpr, 0
	.set _ZN7rocprim17ROCPRIM_400000_NS6detail17trampoline_kernelINS0_14default_configENS1_37merge_sort_block_sort_config_selectorIsNS0_10empty_typeEEEZNS1_21merge_sort_block_sortIS3_N6thrust23THRUST_200600_302600_NS6detail15normal_iteratorINS9_10device_ptrIsEEEESE_PS5_SF_9comp_mod3IsEEE10hipError_tT0_T1_T2_T3_mRjT4_P12ihipStream_tbNS1_7vsmem_tEEUlT_E_NS1_11comp_targetILNS1_3genE9ELNS1_11target_archE1100ELNS1_3gpuE3ELNS1_3repE0EEENS1_30default_config_static_selectorELNS0_4arch9wavefront6targetE0EEEvSK_.num_agpr, 0
	.set _ZN7rocprim17ROCPRIM_400000_NS6detail17trampoline_kernelINS0_14default_configENS1_37merge_sort_block_sort_config_selectorIsNS0_10empty_typeEEEZNS1_21merge_sort_block_sortIS3_N6thrust23THRUST_200600_302600_NS6detail15normal_iteratorINS9_10device_ptrIsEEEESE_PS5_SF_9comp_mod3IsEEE10hipError_tT0_T1_T2_T3_mRjT4_P12ihipStream_tbNS1_7vsmem_tEEUlT_E_NS1_11comp_targetILNS1_3genE9ELNS1_11target_archE1100ELNS1_3gpuE3ELNS1_3repE0EEENS1_30default_config_static_selectorELNS0_4arch9wavefront6targetE0EEEvSK_.numbered_sgpr, 0
	.set _ZN7rocprim17ROCPRIM_400000_NS6detail17trampoline_kernelINS0_14default_configENS1_37merge_sort_block_sort_config_selectorIsNS0_10empty_typeEEEZNS1_21merge_sort_block_sortIS3_N6thrust23THRUST_200600_302600_NS6detail15normal_iteratorINS9_10device_ptrIsEEEESE_PS5_SF_9comp_mod3IsEEE10hipError_tT0_T1_T2_T3_mRjT4_P12ihipStream_tbNS1_7vsmem_tEEUlT_E_NS1_11comp_targetILNS1_3genE9ELNS1_11target_archE1100ELNS1_3gpuE3ELNS1_3repE0EEENS1_30default_config_static_selectorELNS0_4arch9wavefront6targetE0EEEvSK_.num_named_barrier, 0
	.set _ZN7rocprim17ROCPRIM_400000_NS6detail17trampoline_kernelINS0_14default_configENS1_37merge_sort_block_sort_config_selectorIsNS0_10empty_typeEEEZNS1_21merge_sort_block_sortIS3_N6thrust23THRUST_200600_302600_NS6detail15normal_iteratorINS9_10device_ptrIsEEEESE_PS5_SF_9comp_mod3IsEEE10hipError_tT0_T1_T2_T3_mRjT4_P12ihipStream_tbNS1_7vsmem_tEEUlT_E_NS1_11comp_targetILNS1_3genE9ELNS1_11target_archE1100ELNS1_3gpuE3ELNS1_3repE0EEENS1_30default_config_static_selectorELNS0_4arch9wavefront6targetE0EEEvSK_.private_seg_size, 0
	.set _ZN7rocprim17ROCPRIM_400000_NS6detail17trampoline_kernelINS0_14default_configENS1_37merge_sort_block_sort_config_selectorIsNS0_10empty_typeEEEZNS1_21merge_sort_block_sortIS3_N6thrust23THRUST_200600_302600_NS6detail15normal_iteratorINS9_10device_ptrIsEEEESE_PS5_SF_9comp_mod3IsEEE10hipError_tT0_T1_T2_T3_mRjT4_P12ihipStream_tbNS1_7vsmem_tEEUlT_E_NS1_11comp_targetILNS1_3genE9ELNS1_11target_archE1100ELNS1_3gpuE3ELNS1_3repE0EEENS1_30default_config_static_selectorELNS0_4arch9wavefront6targetE0EEEvSK_.uses_vcc, 0
	.set _ZN7rocprim17ROCPRIM_400000_NS6detail17trampoline_kernelINS0_14default_configENS1_37merge_sort_block_sort_config_selectorIsNS0_10empty_typeEEEZNS1_21merge_sort_block_sortIS3_N6thrust23THRUST_200600_302600_NS6detail15normal_iteratorINS9_10device_ptrIsEEEESE_PS5_SF_9comp_mod3IsEEE10hipError_tT0_T1_T2_T3_mRjT4_P12ihipStream_tbNS1_7vsmem_tEEUlT_E_NS1_11comp_targetILNS1_3genE9ELNS1_11target_archE1100ELNS1_3gpuE3ELNS1_3repE0EEENS1_30default_config_static_selectorELNS0_4arch9wavefront6targetE0EEEvSK_.uses_flat_scratch, 0
	.set _ZN7rocprim17ROCPRIM_400000_NS6detail17trampoline_kernelINS0_14default_configENS1_37merge_sort_block_sort_config_selectorIsNS0_10empty_typeEEEZNS1_21merge_sort_block_sortIS3_N6thrust23THRUST_200600_302600_NS6detail15normal_iteratorINS9_10device_ptrIsEEEESE_PS5_SF_9comp_mod3IsEEE10hipError_tT0_T1_T2_T3_mRjT4_P12ihipStream_tbNS1_7vsmem_tEEUlT_E_NS1_11comp_targetILNS1_3genE9ELNS1_11target_archE1100ELNS1_3gpuE3ELNS1_3repE0EEENS1_30default_config_static_selectorELNS0_4arch9wavefront6targetE0EEEvSK_.has_dyn_sized_stack, 0
	.set _ZN7rocprim17ROCPRIM_400000_NS6detail17trampoline_kernelINS0_14default_configENS1_37merge_sort_block_sort_config_selectorIsNS0_10empty_typeEEEZNS1_21merge_sort_block_sortIS3_N6thrust23THRUST_200600_302600_NS6detail15normal_iteratorINS9_10device_ptrIsEEEESE_PS5_SF_9comp_mod3IsEEE10hipError_tT0_T1_T2_T3_mRjT4_P12ihipStream_tbNS1_7vsmem_tEEUlT_E_NS1_11comp_targetILNS1_3genE9ELNS1_11target_archE1100ELNS1_3gpuE3ELNS1_3repE0EEENS1_30default_config_static_selectorELNS0_4arch9wavefront6targetE0EEEvSK_.has_recursion, 0
	.set _ZN7rocprim17ROCPRIM_400000_NS6detail17trampoline_kernelINS0_14default_configENS1_37merge_sort_block_sort_config_selectorIsNS0_10empty_typeEEEZNS1_21merge_sort_block_sortIS3_N6thrust23THRUST_200600_302600_NS6detail15normal_iteratorINS9_10device_ptrIsEEEESE_PS5_SF_9comp_mod3IsEEE10hipError_tT0_T1_T2_T3_mRjT4_P12ihipStream_tbNS1_7vsmem_tEEUlT_E_NS1_11comp_targetILNS1_3genE9ELNS1_11target_archE1100ELNS1_3gpuE3ELNS1_3repE0EEENS1_30default_config_static_selectorELNS0_4arch9wavefront6targetE0EEEvSK_.has_indirect_call, 0
	.section	.AMDGPU.csdata,"",@progbits
; Kernel info:
; codeLenInByte = 0
; TotalNumSgprs: 0
; NumVgprs: 0
; ScratchSize: 0
; MemoryBound: 0
; FloatMode: 240
; IeeeMode: 1
; LDSByteSize: 0 bytes/workgroup (compile time only)
; SGPRBlocks: 0
; VGPRBlocks: 0
; NumSGPRsForWavesPerEU: 1
; NumVGPRsForWavesPerEU: 1
; Occupancy: 16
; WaveLimiterHint : 0
; COMPUTE_PGM_RSRC2:SCRATCH_EN: 0
; COMPUTE_PGM_RSRC2:USER_SGPR: 6
; COMPUTE_PGM_RSRC2:TRAP_HANDLER: 0
; COMPUTE_PGM_RSRC2:TGID_X_EN: 1
; COMPUTE_PGM_RSRC2:TGID_Y_EN: 0
; COMPUTE_PGM_RSRC2:TGID_Z_EN: 0
; COMPUTE_PGM_RSRC2:TIDIG_COMP_CNT: 0
	.text
	.p2align	2                               ; -- Begin function _ZN7rocprim17ROCPRIM_400000_NS6detail15block_sort_implIsNS0_10empty_typeELj256ELj32ELNS0_4arch9wavefront6targetE0EvE4sortIN6thrust23THRUST_200600_302600_NS6detail15normal_iteratorINSA_10device_ptrIsEEEESF_PS3_SG_9comp_mod3IsEEEvjbT_T0_T1_T2_T3_RNS7_12storage_typeE
	.type	_ZN7rocprim17ROCPRIM_400000_NS6detail15block_sort_implIsNS0_10empty_typeELj256ELj32ELNS0_4arch9wavefront6targetE0EvE4sortIN6thrust23THRUST_200600_302600_NS6detail15normal_iteratorINSA_10device_ptrIsEEEESF_PS3_SG_9comp_mod3IsEEEvjbT_T0_T1_T2_T3_RNS7_12storage_typeE,@function
_ZN7rocprim17ROCPRIM_400000_NS6detail15block_sort_implIsNS0_10empty_typeELj256ELj32ELNS0_4arch9wavefront6targetE0EvE4sortIN6thrust23THRUST_200600_302600_NS6detail15normal_iteratorINSA_10device_ptrIsEEEESF_PS3_SG_9comp_mod3IsEEEvjbT_T0_T1_T2_T3_RNS7_12storage_typeE: ; @_ZN7rocprim17ROCPRIM_400000_NS6detail15block_sort_implIsNS0_10empty_typeELj256ELj32ELNS0_4arch9wavefront6targetE0EvE4sortIN6thrust23THRUST_200600_302600_NS6detail15normal_iteratorINSA_10device_ptrIsEEEESF_PS3_SG_9comp_mod3IsEEEvjbT_T0_T1_T2_T3_RNS7_12storage_typeE
; %bb.0:
	s_waitcnt vmcnt(0) expcnt(0) lgkmcnt(0)
	s_or_saveexec_b32 s4, -1
	buffer_store_dword v106, off, s[0:3], s32 offset:136 ; 4-byte Folded Spill
	s_mov_b32 exec_lo, s4
	buffer_store_dword v40, off, s[0:3], s32 offset:132 ; 4-byte Folded Spill
	buffer_store_dword v41, off, s[0:3], s32 offset:128 ; 4-byte Folded Spill
	;; [unrolled: 1-line block ×33, first 2 shown]
	buffer_store_dword v105, off, s[0:3], s32 ; 4-byte Folded Spill
	v_writelane_b32 v106, s34, 0
	v_writelane_b32 v106, s35, 1
	;; [unrolled: 1-line block ×12, first 2 shown]
	v_and_b32_e32 v1, 1, v1
	v_and_b32_e32 v8, 0x3ff, v31
	v_bfe_u32 v113, v31, 10, 10
	v_bfe_u32 v114, v31, 20, 10
	s_mov_b32 s36, 0
	v_cmp_ne_u32_e32 vcc_lo, 1, v1
	v_lshlrev_b32_e32 v10, 1, v8
	v_lshrrev_b32_e32 v38, 5, v8
	v_add_nc_u32_e32 v48, 0x100, v8
	v_add_nc_u32_e32 v37, 0x200, v8
	v_add_nc_u32_e32 v1, 0x300, v8
	v_or_b32_e32 v12, 0x400, v8
	v_add_nc_u32_e32 v51, 0x500, v8
	v_add_nc_u32_e32 v13, 0x600, v8
	v_add_nc_u32_e32 v14, 0x700, v8
	v_or_b32_e32 v15, 0x800, v8
	;; [unrolled: 4-line block ×7, first 2 shown]
	v_add_nc_u32_e32 v36, 0x1d00, v8
	v_add_nc_u32_e32 v50, 0x1e00, v8
	;; [unrolled: 1-line block ×3, first 2 shown]
	v_lshlrev_b32_e32 v11, 5, v8
	v_and_b32_e32 v39, 0x3fe, v8
                                        ; implicit-def: $vgpr52
	s_and_saveexec_b32 s4, vcc_lo
	s_xor_b32 s21, exec_lo, s4
	s_cbranch_execz .LBB1044_686
; %bb.1:
	v_add_co_u32 v2, vcc_lo, v2, v10
	v_add_co_ci_u32_e64 v3, null, 0, v3, vcc_lo
	v_lshrrev_b32_e32 v1, 5, v1
	v_add_co_u32 v52, vcc_lo, 0x800, v2
	v_add_co_ci_u32_e64 v53, null, 0, v3, vcc_lo
	s_clause 0x7
	flat_load_ushort v9, v[2:3]
	flat_load_ushort v64, v[2:3] offset:512
	flat_load_ushort v65, v[2:3] offset:1024
	flat_load_ushort v66, v[2:3] offset:1536
	flat_load_ushort v67, v[52:53]
	flat_load_ushort v68, v[52:53] offset:512
	flat_load_ushort v69, v[52:53] offset:1024
	flat_load_ushort v70, v[52:53] offset:1536
	v_add_co_u32 v52, vcc_lo, 0x1000, v2
	v_add_co_ci_u32_e64 v53, null, 0, v3, vcc_lo
	v_add_co_u32 v54, vcc_lo, 0x1800, v2
	v_add_co_ci_u32_e64 v55, null, 0, v3, vcc_lo
	s_clause 0x7
	flat_load_ushort v71, v[52:53]
	flat_load_ushort v80, v[52:53] offset:512
	flat_load_ushort v81, v[52:53] offset:1024
	flat_load_ushort v82, v[52:53] offset:1536
	flat_load_ushort v83, v[54:55]
	flat_load_ushort v84, v[54:55] offset:512
	flat_load_ushort v85, v[54:55] offset:1024
	flat_load_ushort v86, v[54:55] offset:1536
	v_add_co_u32 v52, vcc_lo, 0x2000, v2
	v_add_co_ci_u32_e64 v53, null, 0, v3, vcc_lo
	;; [unrolled: 13-line block ×3, first 2 shown]
	v_add_co_u32 v2, vcc_lo, 0x3800, v2
	v_add_co_ci_u32_e64 v3, null, 0, v3, vcc_lo
	s_clause 0x7
	flat_load_ushort v55, v[52:53]
	flat_load_ushort v102, v[52:53] offset:512
	flat_load_ushort v103, v[52:53] offset:1024
	;; [unrolled: 1-line block ×3, first 2 shown]
	flat_load_ushort v53, v[2:3]
	flat_load_ushort v112, v[2:3] offset:512
	flat_load_ushort v115, v[2:3] offset:1024
	;; [unrolled: 1-line block ×3, first 2 shown]
	v_lshrrev_b32_e32 v2, 5, v48
	v_lshrrev_b32_e32 v3, 5, v37
	v_and_b32_e32 v0, 30, v38
	v_lshrrev_b32_e32 v38, 5, v12
	v_lshrrev_b32_e32 v48, 5, v51
	;; [unrolled: 1-line block ×28, first 2 shown]
	v_and_b32_e32 v2, 62, v2
	v_and_b32_e32 v3, 62, v3
	;; [unrolled: 1-line block ×4, first 2 shown]
	v_add_lshl_u32 v37, v39, v11, 1
	v_add_lshl_u32 v0, v0, v8, 1
	v_and_b32_e32 v176, 0x7e, v48
	v_and_b32_e32 v117, 0x7e, v117
	;; [unrolled: 1-line block ×27, first 2 shown]
	v_add_lshl_u32 v38, v2, v8, 1
	v_add_lshl_u32 v39, v3, v8, 1
	;; [unrolled: 1-line block ×31, first 2 shown]
	s_mov_b32 s22, exec_lo
	s_waitcnt vmcnt(31) lgkmcnt(31)
	ds_write_b16 v0, v9
	s_waitcnt vmcnt(30) lgkmcnt(31)
	ds_write_b16 v38, v64 offset:512
	s_waitcnt vmcnt(29) lgkmcnt(31)
	ds_write_b16 v39, v65 offset:1024
	;; [unrolled: 2-line block ×3, first 2 shown]
	s_waitcnt vmcnt(27) lgkmcnt(31)
	ds_write_b16 v2, v67
	s_waitcnt vmcnt(26) lgkmcnt(31)
	ds_write_b16 v3, v68
	;; [unrolled: 2-line block ×28, first 2 shown]
	s_waitcnt lgkmcnt(0)
	s_waitcnt_vscnt null, 0x0
	s_barrier
	buffer_gl0_inv
	ds_read_u16 v193, v37
	ds_read_u16 v194, v37 offset:2
	ds_read_u16 v240, v37 offset:4
	;; [unrolled: 1-line block ×31, first 2 shown]
	s_waitcnt lgkmcnt(0)
	s_barrier
	buffer_gl0_inv
	s_load_dwordx2 s[4:5], s[8:9], 0x0
	v_mov_b32_e32 v9, 0
	s_waitcnt lgkmcnt(0)
	s_cmp_lt_u32 s13, s5
	s_cselect_b32 s5, 14, 20
	s_add_u32 s6, s8, s5
	s_addc_u32 s7, s9, 0
	s_cmp_lt_u32 s12, s4
	global_load_ushort v49, v9, s[6:7]
	s_cselect_b32 s4, 12, 18
	s_add_u32 s4, s8, s4
	s_addc_u32 s5, s9, 0
	global_load_ushort v50, v9, s[4:5]
	s_waitcnt vmcnt(1)
	v_mad_u32_u24 v49, v114, v49, v113
	s_waitcnt vmcnt(0)
	v_mul_lo_u32 v49, v49, v50
	v_add_lshl_u32 v49, v49, v8, 5
	v_cmpx_gt_u32_e32 0x2000, v49
	s_cbranch_execz .LBB1044_3
; %bb.2:
	v_bfe_i32 v50, v194, 0, 16
	v_bfe_i32 v52, v193, 0, 16
	;; [unrolled: 1-line block ×5, first 2 shown]
	v_ashrrev_i32_e32 v51, 31, v50
	v_ashrrev_i32_e32 v53, 31, v52
	;; [unrolled: 1-line block ×3, first 2 shown]
	v_bfe_i32 v68, v230, 0, 16
	v_ashrrev_i32_e32 v65, 31, v64
	v_lshlrev_b64 v[50:51], 1, v[50:51]
	v_lshlrev_b64 v[52:53], 1, v[52:53]
	v_bfe_i32 v70, v231, 0, 16
	v_ashrrev_i32_e32 v67, 31, v66
	v_lshlrev_b64 v[54:55], 1, v[54:55]
	v_bfe_i32 v80, v228, 0, 16
	v_ashrrev_i32_e32 v69, 31, v68
	v_add_co_u32 v50, vcc_lo, v6, v50
	v_lshlrev_b64 v[64:65], 1, v[64:65]
	v_ashrrev_i32_e32 v71, 31, v70
	v_add_co_ci_u32_e64 v51, null, v7, v51, vcc_lo
	v_add_co_u32 v52, vcc_lo, v6, v52
	v_lshlrev_b64 v[66:67], 1, v[66:67]
	v_ashrrev_i32_e32 v81, 31, v80
	v_add_co_ci_u32_e64 v53, null, v7, v53, vcc_lo
	v_add_co_u32 v54, vcc_lo, v6, v54
	v_lshlrev_b64 v[68:69], 1, v[68:69]
	v_add_co_ci_u32_e64 v55, null, v7, v55, vcc_lo
	v_add_co_u32 v64, vcc_lo, v6, v64
	v_lshlrev_b64 v[70:71], 1, v[70:71]
	;; [unrolled: 3-line block ×3, first 2 shown]
	v_add_co_ci_u32_e64 v67, null, v7, v67, vcc_lo
	v_add_co_u32 v68, vcc_lo, v6, v68
	v_bfe_i32 v82, v229, 0, 16
	v_add_co_ci_u32_e64 v69, null, v7, v69, vcc_lo
	v_add_co_u32 v70, vcc_lo, v6, v70
	v_bfe_i32 v84, v226, 0, 16
	;; [unrolled: 3-line block ×3, first 2 shown]
	v_ashrrev_i32_e32 v83, 31, v82
	v_add_co_ci_u32_e64 v81, null, v7, v81, vcc_lo
	s_clause 0x7
	flat_load_ushort v96, v[50:51]
	flat_load_ushort v97, v[52:53]
	;; [unrolled: 1-line block ×8, first 2 shown]
	v_bfe_i32 v52, v225, 0, 16
	v_ashrrev_i32_e32 v85, 31, v84
	v_bfe_i32 v66, v224, 0, 16
	v_ashrrev_i32_e32 v87, 31, v86
	v_lshlrev_b64 v[82:83], 1, v[82:83]
	v_bfe_i32 v68, v215, 0, 16
	v_ashrrev_i32_e32 v53, 31, v52
	v_lshlrev_b64 v[50:51], 1, v[84:85]
	v_bfe_i32 v70, v214, 0, 16
	v_ashrrev_i32_e32 v67, 31, v66
	v_lshlrev_b64 v[64:65], 1, v[86:87]
	v_bfe_i32 v80, v213, 0, 16
	v_ashrrev_i32_e32 v69, 31, v68
	v_add_co_u32 v54, vcc_lo, v6, v82
	v_lshlrev_b64 v[52:53], 1, v[52:53]
	v_ashrrev_i32_e32 v71, 31, v70
	v_add_co_ci_u32_e64 v55, null, v7, v83, vcc_lo
	v_add_co_u32 v50, vcc_lo, v6, v50
	v_lshlrev_b64 v[66:67], 1, v[66:67]
	v_ashrrev_i32_e32 v81, 31, v80
	v_add_co_ci_u32_e64 v51, null, v7, v51, vcc_lo
	v_add_co_u32 v64, vcc_lo, v6, v64
	v_lshlrev_b64 v[68:69], 1, v[68:69]
	v_add_co_ci_u32_e64 v65, null, v7, v65, vcc_lo
	v_add_co_u32 v52, vcc_lo, v6, v52
	v_lshlrev_b64 v[70:71], 1, v[70:71]
	;; [unrolled: 3-line block ×3, first 2 shown]
	v_add_co_ci_u32_e64 v67, null, v7, v67, vcc_lo
	v_add_co_u32 v68, vcc_lo, v6, v68
	v_bfe_i32 v82, v211, 0, 16
	v_add_co_ci_u32_e64 v69, null, v7, v69, vcc_lo
	v_add_co_u32 v70, vcc_lo, v6, v70
	v_bfe_i32 v84, v210, 0, 16
	;; [unrolled: 3-line block ×3, first 2 shown]
	v_ashrrev_i32_e32 v83, 31, v82
	v_add_co_ci_u32_e64 v81, null, v7, v81, vcc_lo
	s_clause 0x7
	flat_load_ushort v112, v[54:55]
	flat_load_ushort v113, v[50:51]
	;; [unrolled: 1-line block ×8, first 2 shown]
	v_bfe_i32 v52, v199, 0, 16
	v_ashrrev_i32_e32 v85, 31, v84
	v_bfe_i32 v66, v209, 0, 16
	v_ashrrev_i32_e32 v87, 31, v86
	v_lshlrev_b64 v[82:83], 1, v[82:83]
	v_bfe_i32 v68, v208, 0, 16
	v_ashrrev_i32_e32 v53, 31, v52
	v_lshlrev_b64 v[50:51], 1, v[84:85]
	;; [unrolled: 3-line block ×3, first 2 shown]
	v_bfe_i32 v80, v197, 0, 16
	v_ashrrev_i32_e32 v69, 31, v68
	v_add_co_u32 v54, vcc_lo, v6, v82
	v_lshlrev_b64 v[52:53], 1, v[52:53]
	v_bfe_i32 v82, v195, 0, 16
	v_ashrrev_i32_e32 v71, 31, v70
	v_add_co_ci_u32_e64 v55, null, v7, v83, vcc_lo
	v_add_co_u32 v50, vcc_lo, v6, v50
	v_lshlrev_b64 v[66:67], 1, v[66:67]
	v_bfe_i32 v84, v196, 0, 16
	v_ashrrev_i32_e32 v81, 31, v80
	v_add_co_ci_u32_e64 v51, null, v7, v51, vcc_lo
	v_add_co_u32 v64, vcc_lo, v6, v64
	v_lshlrev_b64 v[68:69], 1, v[68:69]
	v_ashrrev_i32_e32 v83, 31, v82
	v_add_co_ci_u32_e64 v65, null, v7, v65, vcc_lo
	v_add_co_u32 v52, vcc_lo, v6, v52
	v_lshlrev_b64 v[70:71], 1, v[70:71]
	;; [unrolled: 4-line block ×3, first 2 shown]
	v_add_co_ci_u32_e64 v67, null, v7, v67, vcc_lo
	v_add_co_u32 v68, vcc_lo, v6, v68
	v_lshlrev_b64 v[82:83], 1, v[82:83]
	v_add_co_ci_u32_e64 v69, null, v7, v69, vcc_lo
	v_add_co_u32 v70, vcc_lo, v6, v70
	v_lshlrev_b64 v[84:85], 1, v[84:85]
	v_add_co_ci_u32_e64 v71, null, v7, v71, vcc_lo
	v_add_co_u32 v80, vcc_lo, v6, v80
	v_add_co_ci_u32_e64 v81, null, v7, v81, vcc_lo
	v_add_co_u32 v82, vcc_lo, v6, v82
	;; [unrolled: 2-line block ×3, first 2 shown]
	v_add_co_ci_u32_e64 v85, null, v7, v85, vcc_lo
	s_clause 0x9
	flat_load_ushort v86, v[54:55]
	flat_load_ushort v87, v[50:51]
	;; [unrolled: 1-line block ×10, first 2 shown]
	v_bfe_i32 v50, v183, 0, 16
	v_bfe_i32 v52, v192, 0, 16
	;; [unrolled: 1-line block ×5, first 2 shown]
	v_ashrrev_i32_e32 v51, 31, v50
	v_ashrrev_i32_e32 v53, 31, v52
	;; [unrolled: 1-line block ×3, first 2 shown]
	v_bfe_i32 v68, v180, 0, 16
	v_ashrrev_i32_e32 v65, 31, v64
	v_lshlrev_b64 v[50:51], 1, v[50:51]
	v_lshlrev_b64 v[52:53], 1, v[52:53]
	v_ashrrev_i32_e32 v67, 31, v66
	v_lshlrev_b64 v[54:55], 1, v[54:55]
	v_ashrrev_i32_e32 v69, 31, v68
	v_lshlrev_b64 v[64:65], 1, v[64:65]
	v_add_co_u32 v50, vcc_lo, v6, v50
	v_lshlrev_b64 v[66:67], 1, v[66:67]
	v_add_co_ci_u32_e64 v51, null, v7, v51, vcc_lo
	v_add_co_u32 v52, vcc_lo, v6, v52
	v_lshlrev_b64 v[68:69], 1, v[68:69]
	v_add_co_ci_u32_e64 v53, null, v7, v53, vcc_lo
	v_add_co_u32 v54, vcc_lo, v6, v54
	v_add_co_ci_u32_e64 v55, null, v7, v55, vcc_lo
	v_add_co_u32 v64, vcc_lo, v6, v64
	;; [unrolled: 2-line block ×4, first 2 shown]
	v_add_co_ci_u32_e64 v69, null, v7, v69, vcc_lo
	s_clause 0x5
	flat_load_ushort v50, v[50:51]
	flat_load_ushort v52, v[52:53]
	;; [unrolled: 1-line block ×6, first 2 shown]
	s_waitcnt vmcnt(30) lgkmcnt(30)
	v_cmp_lt_i16_e64 s4, v96, v97
	s_waitcnt vmcnt(28) lgkmcnt(28)
	v_cmp_lt_i16_e32 vcc_lo, v98, v99
	s_waitcnt vmcnt(26) lgkmcnt(26)
	v_cmp_lt_i16_e64 s5, v100, v101
	v_cndmask_b32_e64 v51, v194, v193, s4
	s_waitcnt vmcnt(24) lgkmcnt(24)
	v_cmp_lt_i16_e64 s6, v102, v103
	v_cndmask_b32_e32 v68, v242, v240, vcc_lo
	v_cndmask_b32_e32 v55, v240, v242, vcc_lo
	v_cndmask_b32_e64 v69, v241, v230, s5
	v_bfe_i32 v64, v51, 0, 16
	v_cndmask_b32_e64 v70, v231, v228, s6
	v_bfe_i32 v66, v68, 0, 16
	;; [unrolled: 2-line block ×3, first 2 shown]
	v_ashrrev_i32_e32 v65, 31, v64
	v_bfe_i32 v98, v70, 0, 16
	v_ashrrev_i32_e32 v67, 31, v66
	v_bfe_i32 v144, v100, 0, 16
	v_ashrrev_i32_e32 v97, 31, v96
	v_lshlrev_b64 v[64:65], 1, v[64:65]
	v_ashrrev_i32_e32 v99, 31, v98
	v_lshlrev_b64 v[66:67], 1, v[66:67]
	;; [unrolled: 2-line block ×3, first 2 shown]
	v_lshlrev_b64 v[98:99], 1, v[98:99]
	v_add_co_u32 v64, vcc_lo, v6, v64
	v_add_co_ci_u32_e64 v65, null, v7, v65, vcc_lo
	v_add_co_u32 v66, vcc_lo, v6, v66
	v_add_co_ci_u32_e64 v67, null, v7, v67, vcc_lo
	v_add_co_u32 v96, vcc_lo, v6, v96
	v_lshlrev_b64 v[144:145], 1, v[144:145]
	v_add_co_ci_u32_e64 v97, null, v7, v97, vcc_lo
	v_add_co_u32 v98, vcc_lo, v6, v98
	v_add_co_ci_u32_e64 v99, null, v7, v99, vcc_lo
	s_waitcnt vmcnt(22) lgkmcnt(22)
	v_cmp_lt_i16_e64 s7, v112, v113
	s_waitcnt vmcnt(20) lgkmcnt(20)
	v_cmp_lt_i16_e64 s10, v114, v115
	;; [unrolled: 2-line block ×3, first 2 shown]
	v_bfe_i32 v116, v55, 0, 16
	v_cndmask_b32_e64 v101, v226, v229, s7
	v_cndmask_b32_e64 v102, v225, v227, s10
	;; [unrolled: 1-line block ×4, first 2 shown]
	v_ashrrev_i32_e32 v117, 31, v116
	v_bfe_i32 v146, v101, 0, 16
	s_waitcnt vmcnt(16) lgkmcnt(16)
	v_cmp_lt_i16_e64 s14, v118, v119
	v_cndmask_b32_e64 v118, v215, v224, s11
	v_bfe_i32 v148, v102, 0, 16
	v_lshlrev_b64 v[116:117], 1, v[116:117]
	v_ashrrev_i32_e32 v147, 31, v146
	v_bfe_i32 v112, v71, 0, 16
	v_bfe_i32 v114, v80, 0, 16
	v_cndmask_b32_e64 v119, v213, v214, s14
	v_bfe_i32 v150, v118, 0, 16
	v_lshlrev_b64 v[146:147], 1, v[146:147]
	v_add_co_u32 v116, vcc_lo, v6, v116
	v_add_co_ci_u32_e64 v117, null, v7, v117, vcc_lo
	v_cndmask_b32_e64 v81, v224, v215, s11
	v_ashrrev_i32_e32 v149, 31, v148
	v_ashrrev_i32_e32 v113, 31, v112
	;; [unrolled: 1-line block ×3, first 2 shown]
	v_cndmask_b32_e64 v82, v214, v213, s14
	v_ashrrev_i32_e32 v151, 31, v150
	v_lshlrev_b64 v[148:149], 1, v[148:149]
	v_lshlrev_b64 v[112:113], 1, v[112:113]
	;; [unrolled: 1-line block ×3, first 2 shown]
	s_waitcnt vmcnt(14) lgkmcnt(14)
	v_cmp_lt_i16_e64 s15, v86, v87
	v_cndmask_b32_e64 v87, v230, v241, s5
	s_waitcnt vmcnt(12) lgkmcnt(12)
	v_cmp_lt_i16_e64 s16, v128, v129
	s_waitcnt vmcnt(10) lgkmcnt(10)
	v_cmp_lt_i16_e64 s17, v130, v131
	v_cndmask_b32_e64 v128, v210, v211, s15
	s_waitcnt vmcnt(8) lgkmcnt(8)
	v_cmp_lt_i16_e64 s18, v132, v133
	v_bfe_i32 v133, v87, 0, 16
	s_waitcnt vmcnt(6) lgkmcnt(6)
	v_cmp_lt_i16_e64 s19, v134, v135
	v_cndmask_b32_e64 v129, v199, v212, s16
	v_cndmask_b32_e64 v83, v211, v210, s15
	;; [unrolled: 1-line block ×3, first 2 shown]
	v_ashrrev_i32_e32 v134, 31, v133
	v_cndmask_b32_e64 v84, v212, v199, s16
	v_cndmask_b32_e64 v131, v197, v198, s18
	;; [unrolled: 1-line block ×4, first 2 shown]
	v_lshlrev_b64 v[133:134], 1, v[133:134]
	v_cndmask_b32_e64 v132, v196, v195, s19
	v_cndmask_b32_e64 v86, v198, v197, s18
	v_add_co_u32 v133, vcc_lo, v6, v133
	v_add_co_ci_u32_e64 v134, null, v7, v134, vcc_lo
	v_add_co_u32 v144, vcc_lo, v6, v144
	v_add_co_ci_u32_e64 v145, null, v7, v145, vcc_lo
	;; [unrolled: 2-line block ×3, first 2 shown]
	s_clause 0x7
	flat_load_ushort v103, v[116:117]
	flat_load_ushort v135, v[64:65]
	flat_load_ushort v163, v[133:134]
	flat_load_ushort v164, v[66:67]
	flat_load_ushort v165, v[144:145]
	flat_load_ushort v166, v[96:97]
	flat_load_ushort v167, v[146:147]
	flat_load_ushort v176, v[98:99]
	v_bfe_i32 v64, v119, 0, 16
	v_bfe_i32 v98, v81, 0, 16
	v_lshlrev_b64 v[96:97], 1, v[114:115]
	v_bfe_i32 v114, v128, 0, 16
	v_bfe_i32 v116, v82, 0, 16
	v_ashrrev_i32_e32 v65, 31, v64
	v_ashrrev_i32_e32 v99, 31, v98
	v_add_co_u32 v148, vcc_lo, v6, v148
	v_ashrrev_i32_e32 v115, 31, v114
	v_add_co_ci_u32_e64 v149, null, v7, v149, vcc_lo
	v_add_co_u32 v66, vcc_lo, v6, v112
	v_lshlrev_b64 v[64:65], 1, v[64:65]
	v_ashrrev_i32_e32 v117, 31, v116
	v_add_co_ci_u32_e64 v67, null, v7, v113, vcc_lo
	v_add_co_u32 v112, vcc_lo, v6, v150
	v_lshlrev_b64 v[98:99], 1, v[98:99]
	v_add_co_ci_u32_e64 v113, null, v7, v151, vcc_lo
	v_add_co_u32 v96, vcc_lo, v6, v96
	v_lshlrev_b64 v[114:115], 1, v[114:115]
	;; [unrolled: 3-line block ×3, first 2 shown]
	v_bfe_i32 v133, v129, 0, 16
	v_add_co_ci_u32_e64 v65, null, v7, v65, vcc_lo
	v_add_co_u32 v98, vcc_lo, v6, v98
	v_add_co_ci_u32_e64 v99, null, v7, v99, vcc_lo
	v_add_co_u32 v114, vcc_lo, v6, v114
	v_bfe_i32 v144, v83, 0, 16
	v_ashrrev_i32_e32 v134, 31, v133
	v_add_co_ci_u32_e64 v115, null, v7, v115, vcc_lo
	v_add_co_u32 v116, vcc_lo, v6, v116
	v_bfe_i32 v146, v130, 0, 16
	v_add_co_ci_u32_e64 v117, null, v7, v117, vcc_lo
	s_clause 0x7
	flat_load_ushort v148, v[148:149]
	flat_load_ushort v149, v[66:67]
	;; [unrolled: 1-line block ×8, first 2 shown]
	v_bfe_i32 v66, v84, 0, 16
	v_ashrrev_i32_e32 v145, 31, v144
	v_lshlrev_b64 v[133:134], 1, v[133:134]
	v_bfe_i32 v112, v131, 0, 16
	v_ashrrev_i32_e32 v147, 31, v146
	v_bfe_i32 v114, v85, 0, 16
	v_ashrrev_i32_e32 v67, 31, v66
	v_lshlrev_b64 v[64:65], 1, v[144:145]
	v_bfe_i32 v116, v132, 0, 16
	v_ashrrev_i32_e32 v113, 31, v112
	v_add_co_u32 v96, vcc_lo, v6, v133
	v_lshlrev_b64 v[98:99], 1, v[146:147]
	v_bfe_i32 v133, v86, 0, 16
	v_ashrrev_i32_e32 v115, 31, v114
	v_lshlrev_b64 v[66:67], 1, v[66:67]
	v_ashrrev_i32_e32 v117, 31, v116
	v_add_co_ci_u32_e64 v97, null, v7, v134, vcc_lo
	v_add_co_u32 v64, vcc_lo, v6, v64
	v_lshlrev_b64 v[112:113], 1, v[112:113]
	v_ashrrev_i32_e32 v134, 31, v133
	v_add_co_ci_u32_e64 v65, null, v7, v65, vcc_lo
	v_add_co_u32 v98, vcc_lo, v6, v98
	v_lshlrev_b64 v[114:115], 1, v[114:115]
	v_add_co_ci_u32_e64 v99, null, v7, v99, vcc_lo
	v_add_co_u32 v66, vcc_lo, v6, v66
	v_lshlrev_b64 v[116:117], 1, v[116:117]
	;; [unrolled: 3-line block ×3, first 2 shown]
	v_add_co_ci_u32_e64 v113, null, v7, v113, vcc_lo
	v_add_co_u32 v114, vcc_lo, v6, v114
	v_add_co_ci_u32_e64 v115, null, v7, v115, vcc_lo
	v_add_co_u32 v116, vcc_lo, v6, v116
	;; [unrolled: 2-line block ×3, first 2 shown]
	v_add_co_ci_u32_e64 v134, null, v7, v134, vcc_lo
	s_clause 0x7
	flat_load_ushort v146, v[96:97]
	flat_load_ushort v147, v[64:65]
	;; [unrolled: 1-line block ×8, first 2 shown]
	s_waitcnt vmcnt(28) lgkmcnt(28)
	v_cmp_lt_i16_e64 s5, v50, v52
	s_waitcnt vmcnt(26) lgkmcnt(26)
	v_cmp_lt_i16_e64 s6, v54, v160
	s_waitcnt vmcnt(24) lgkmcnt(24)
	v_cmp_lt_i16_e32 vcc_lo, v161, v162
	v_bfe_i32 v98, v53, 0, 16
	v_cndmask_b32_e64 v50, v193, v194, s4
	v_cndmask_b32_e64 v64, v192, v183, s5
	;; [unrolled: 1-line block ×3, first 2 shown]
	v_cndmask_b32_e32 v65, v180, v179, vcc_lo
	v_cndmask_b32_e64 v66, v183, v192, s5
	v_cndmask_b32_e64 v67, v181, v182, s6
	v_bfe_i32 v96, v64, 0, 16
	v_bfe_i32 v112, v54, 0, 16
	;; [unrolled: 1-line block ×3, first 2 shown]
	v_ashrrev_i32_e32 v99, 31, v98
	v_bfe_i32 v116, v66, 0, 16
	v_ashrrev_i32_e32 v97, 31, v96
	v_ashrrev_i32_e32 v113, 31, v112
	v_bfe_i32 v133, v67, 0, 16
	v_ashrrev_i32_e32 v115, 31, v114
	v_lshlrev_b64 v[98:99], 1, v[98:99]
	v_lshlrev_b64 v[96:97], 1, v[96:97]
	v_ashrrev_i32_e32 v117, 31, v116
	v_lshlrev_b64 v[112:113], 1, v[112:113]
	v_ashrrev_i32_e32 v134, 31, v133
	v_lshlrev_b64 v[114:115], 1, v[114:115]
	v_bfe_i32 v144, v50, 0, 16
	v_add_co_u32 v96, s4, v6, v96
	v_lshlrev_b64 v[116:117], 1, v[116:117]
	v_add_co_ci_u32_e64 v97, null, v7, v97, s4
	v_add_co_u32 v98, s4, v6, v98
	v_lshlrev_b64 v[133:134], 1, v[133:134]
	v_add_co_ci_u32_e64 v99, null, v7, v99, s4
	v_add_co_u32 v112, s4, v6, v112
	v_add_co_ci_u32_e64 v113, null, v7, v113, s4
	v_add_co_u32 v114, s4, v6, v114
	;; [unrolled: 2-line block ×4, first 2 shown]
	v_add_co_ci_u32_e64 v134, null, v7, v134, s4
	s_clause 0x5
	flat_load_ushort v183, v[96:97]
	flat_load_ushort v211, v[98:99]
	;; [unrolled: 1-line block ×6, first 2 shown]
	v_ashrrev_i32_e32 v145, 31, v144
	v_lshlrev_b64 v[144:145], 1, v[144:145]
	v_add_co_u32 v144, s4, v6, v144
	v_add_co_ci_u32_e64 v145, null, v7, v145, s4
	s_waitcnt vmcnt(28) lgkmcnt(28)
	v_cmp_lt_i16_e64 s4, v103, v135
	s_waitcnt vmcnt(26) lgkmcnt(26)
	v_cmp_lt_i16_e64 s5, v163, v164
	;; [unrolled: 2-line block ×3, first 2 shown]
	v_cndmask_b32_e64 v96, v55, v51, s4
	s_waitcnt vmcnt(22) lgkmcnt(22)
	v_cmp_lt_i16_e64 s7, v167, v176
	v_cndmask_b32_e64 v97, v87, v68, s5
	v_cndmask_b32_e64 v133, v68, v87, s5
	;; [unrolled: 1-line block ×3, first 2 shown]
	v_bfe_i32 v68, v96, 0, 16
	v_cndmask_b32_e64 v99, v101, v70, s7
	v_cndmask_b32_e64 v101, v70, v101, s7
	v_bfe_i32 v70, v97, 0, 16
	v_cndmask_b32_e64 v100, v69, v100, s6
	v_ashrrev_i32_e32 v69, 31, v68
	v_cndmask_b32_e64 v55, v51, v55, s4
	v_bfe_i32 v160, v133, 0, 16
	v_bfe_i32 v164, v101, 0, 16
	;; [unrolled: 1-line block ×3, first 2 shown]
	v_lshlrev_b64 v[68:69], 1, v[68:69]
	v_cndmask_b32_e32 v51, v179, v180, vcc_lo
	v_ashrrev_i32_e32 v161, 31, v160
	v_ashrrev_i32_e32 v165, 31, v164
	;; [unrolled: 1-line block ×3, first 2 shown]
	v_add_co_u32 v68, s4, v6, v68
	v_add_co_ci_u32_e64 v69, null, v7, v69, s4
	v_lshlrev_b64 v[160:161], 1, v[160:161]
	v_lshlrev_b64 v[162:163], 1, v[162:163]
	;; [unrolled: 1-line block ×3, first 2 shown]
	s_waitcnt vmcnt(20) lgkmcnt(20)
	v_cmp_lt_i16_e64 s10, v148, v149
	s_waitcnt vmcnt(18) lgkmcnt(18)
	v_cmp_lt_i16_e64 s11, v150, v151
	v_bfe_i32 v150, v55, 0, 16
	s_waitcnt vmcnt(16) lgkmcnt(16)
	v_cmp_lt_i16_e64 s14, v177, v178
	v_cndmask_b32_e64 v103, v102, v71, s10
	s_waitcnt vmcnt(14) lgkmcnt(14)
	v_cmp_lt_i16_e64 s15, v195, v196
	v_cndmask_b32_e64 v112, v118, v80, s11
	v_cndmask_b32_e64 v118, v80, v118, s11
	v_bfe_i32 v80, v98, 0, 16
	v_cndmask_b32_e64 v113, v119, v81, s14
	v_cndmask_b32_e64 v114, v128, v82, s15
	;; [unrolled: 1-line block ×3, first 2 shown]
	v_bfe_i32 v82, v99, 0, 16
	v_cndmask_b32_e64 v102, v71, v102, s10
	v_ashrrev_i32_e32 v71, 31, v70
	v_cndmask_b32_e64 v119, v81, v119, s14
	v_ashrrev_i32_e32 v81, 31, v80
	v_bfe_i32 v134, v113, 0, 16
	v_ashrrev_i32_e32 v151, 31, v150
	v_lshlrev_b64 v[70:71], 1, v[70:71]
	v_bfe_i32 v166, v102, 0, 16
	v_lshlrev_b64 v[80:81], 1, v[80:81]
	v_ashrrev_i32_e32 v135, 31, v134
	v_bfe_i32 v176, v118, 0, 16
	v_lshlrev_b64 v[150:151], 1, v[150:151]
	v_add_co_u32 v70, s4, v6, v70
	v_add_co_ci_u32_e64 v71, null, v7, v71, s4
	v_add_co_u32 v80, s4, v6, v80
	v_lshlrev_b64 v[134:135], 1, v[134:135]
	v_add_co_ci_u32_e64 v81, null, v7, v81, s4
	v_bfe_i32 v181, v119, 0, 16
	v_ashrrev_i32_e32 v167, 31, v166
	v_bfe_i32 v192, v128, 0, 16
	v_ashrrev_i32_e32 v177, 31, v176
	v_ashrrev_i32_e32 v182, 31, v181
	v_lshlrev_b64 v[166:167], 1, v[166:167]
	v_ashrrev_i32_e32 v193, 31, v192
	v_lshlrev_b64 v[176:177], 1, v[176:177]
	v_lshlrev_b64 v[181:182], 1, v[181:182]
	;; [unrolled: 1-line block ×3, first 2 shown]
	s_waitcnt vmcnt(12) lgkmcnt(12)
	v_cmp_lt_i16_e64 s16, v146, v147
	v_bfe_i32 v146, v114, 0, 16
	s_waitcnt vmcnt(10) lgkmcnt(10)
	v_cmp_lt_i16_e64 s17, v197, v198
	s_waitcnt vmcnt(8) lgkmcnt(8)
	v_cmp_lt_i16_e64 s18, v199, v208
	v_cndmask_b32_e64 v115, v129, v83, s16
	s_waitcnt vmcnt(6) lgkmcnt(6)
	v_cmp_lt_i16_e64 s19, v209, v210
	v_cndmask_b32_e64 v116, v130, v84, s17
	v_cndmask_b32_e64 v130, v84, v130, s17
	v_bfe_i32 v84, v103, 0, 16
	v_cndmask_b32_e64 v129, v83, v129, s16
	v_cndmask_b32_e64 v52, v132, v86, s19
	;; [unrolled: 1-line block ×3, first 2 shown]
	v_bfe_i32 v86, v112, 0, 16
	v_ashrrev_i32_e32 v83, 31, v82
	v_cndmask_b32_e64 v117, v131, v85, s18
	v_cndmask_b32_e64 v131, v85, v131, s18
	v_ashrrev_i32_e32 v85, 31, v84
	v_ashrrev_i32_e32 v87, 31, v86
	v_lshlrev_b64 v[82:83], 1, v[82:83]
	v_ashrrev_i32_e32 v147, 31, v146
	v_bfe_i32 v194, v129, 0, 16
	v_lshlrev_b64 v[84:85], 1, v[84:85]
	v_lshlrev_b64 v[86:87], 1, v[86:87]
	v_bfe_i32 v196, v130, 0, 16
	v_add_co_u32 v82, s4, v6, v82
	v_lshlrev_b64 v[146:147], 1, v[146:147]
	v_add_co_ci_u32_e64 v83, null, v7, v83, s4
	v_add_co_u32 v84, s4, v6, v84
	v_add_co_ci_u32_e64 v85, null, v7, v85, s4
	v_add_co_u32 v86, s4, v6, v86
	;; [unrolled: 2-line block ×7, first 2 shown]
	v_ashrrev_i32_e32 v195, 31, v194
	v_add_co_ci_u32_e64 v163, null, v7, v163, s4
	v_add_co_u32 v164, s4, v6, v164
	v_add_co_ci_u32_e64 v165, null, v7, v165, s4
	v_add_co_u32 v166, s4, v6, v166
	v_lshlrev_b64 v[194:195], 1, v[194:195]
	v_add_co_ci_u32_e64 v167, null, v7, v167, s4
	v_add_co_u32 v176, s4, v6, v176
	v_add_co_ci_u32_e64 v177, null, v7, v177, s4
	v_add_co_u32 v181, s4, v6, v181
	;; [unrolled: 2-line block ×3, first 2 shown]
	v_bfe_i32 v148, v115, 0, 16
	v_add_co_ci_u32_e64 v193, null, v7, v193, s4
	v_add_co_u32 v194, s4, v6, v194
	v_bfe_i32 v198, v131, 0, 16
	v_ashrrev_i32_e32 v197, 31, v196
	v_add_co_ci_u32_e64 v195, null, v7, v195, s4
	s_clause 0x11
	flat_load_ushort v151, v[150:151]
	flat_load_ushort v178, v[144:145]
	flat_load_ushort v160, v[160:161]
	flat_load_ushort v161, v[68:69]
	flat_load_ushort v162, v[162:163]
	flat_load_ushort v163, v[70:71]
	flat_load_ushort v164, v[164:165]
	flat_load_ushort v165, v[80:81]
	flat_load_ushort v166, v[166:167]
	flat_load_ushort v167, v[82:83]
	flat_load_ushort v176, v[176:177]
	flat_load_ushort v177, v[84:85]
	flat_load_ushort v181, v[181:182]
	flat_load_ushort v182, v[86:87]
	flat_load_ushort v192, v[192:193]
	flat_load_ushort v193, v[134:135]
	flat_load_ushort v194, v[194:195]
	flat_load_ushort v195, v[146:147]
	v_bfe_i32 v70, v116, 0, 16
	v_ashrrev_i32_e32 v149, 31, v148
	v_bfe_i32 v84, v132, 0, 16
	v_ashrrev_i32_e32 v199, 31, v198
	v_lshlrev_b64 v[196:197], 1, v[196:197]
	v_bfe_i32 v86, v117, 0, 16
	v_ashrrev_i32_e32 v71, 31, v70
	v_lshlrev_b64 v[68:69], 1, v[148:149]
	v_ashrrev_i32_e32 v85, 31, v84
	v_lshlrev_b64 v[82:83], 1, v[198:199]
	v_ashrrev_i32_e32 v87, 31, v86
	v_add_co_u32 v80, s4, v6, v196
	v_lshlrev_b64 v[70:71], 1, v[70:71]
	v_add_co_ci_u32_e64 v81, null, v7, v197, s4
	v_add_co_u32 v68, s4, v6, v68
	v_lshlrev_b64 v[84:85], 1, v[84:85]
	v_add_co_ci_u32_e64 v69, null, v7, v69, s4
	;; [unrolled: 3-line block ×3, first 2 shown]
	v_add_co_u32 v70, s4, v6, v70
	v_add_co_ci_u32_e64 v71, null, v7, v71, s4
	v_add_co_u32 v84, s4, v6, v84
	v_add_co_ci_u32_e64 v85, null, v7, v85, s4
	;; [unrolled: 2-line block ×3, first 2 shown]
	s_clause 0x5
	flat_load_ushort v196, v[80:81]
	flat_load_ushort v197, v[68:69]
	;; [unrolled: 1-line block ×6, first 2 shown]
	v_bfe_i32 v68, v51, 0, 16
	v_bfe_i32 v70, v52, 0, 16
	s_waitcnt vmcnt(26) lgkmcnt(26)
	v_cmp_lt_i16_e64 s4, v212, v213
	s_waitcnt vmcnt(24) lgkmcnt(24)
	v_cmp_lt_i16_e64 s5, v214, v215
	v_ashrrev_i32_e32 v69, 31, v68
	v_ashrrev_i32_e32 v71, 31, v70
	v_cndmask_b32_e64 v83, v66, v54, s4
	v_cndmask_b32_e64 v84, v67, v65, s5
	;; [unrolled: 1-line block ×3, first 2 shown]
	v_lshlrev_b64 v[68:69], 1, v[68:69]
	v_lshlrev_b64 v[70:71], 1, v[70:71]
	v_bfe_i32 v80, v83, 0, 16
	v_cndmask_b32_e64 v54, v65, v67, s5
	v_bfe_i32 v66, v84, 0, 16
	v_bfe_i32 v144, v86, 0, 16
	v_add_co_u32 v68, vcc_lo, v6, v68
	v_add_co_ci_u32_e64 v69, null, v7, v69, vcc_lo
	v_add_co_u32 v70, vcc_lo, v6, v70
	v_add_co_ci_u32_e64 v71, null, v7, v71, vcc_lo
	v_cmp_lt_i16_e32 vcc_lo, v183, v211
	v_ashrrev_i32_e32 v81, 31, v80
	v_ashrrev_i32_e32 v67, 31, v66
	v_bfe_i32 v146, v54, 0, 16
	v_ashrrev_i32_e32 v145, 31, v144
	v_cndmask_b32_e32 v87, v53, v64, vcc_lo
	v_cndmask_b32_e32 v85, v64, v53, vcc_lo
	v_lshlrev_b64 v[80:81], 1, v[80:81]
	v_lshlrev_b64 v[66:67], 1, v[66:67]
	v_ashrrev_i32_e32 v147, 31, v146
	v_bfe_i32 v64, v87, 0, 16
	v_bfe_i32 v134, v85, 0, 16
	v_lshlrev_b64 v[144:145], 1, v[144:145]
	v_lshlrev_b64 v[146:147], 1, v[146:147]
	v_ashrrev_i32_e32 v65, 31, v64
	v_ashrrev_i32_e32 v135, 31, v134
	v_lshlrev_b64 v[64:65], 1, v[64:65]
	v_lshlrev_b64 v[148:149], 1, v[134:135]
	v_add_co_u32 v64, vcc_lo, v6, v64
	v_add_co_ci_u32_e64 v65, null, v7, v65, vcc_lo
	v_add_co_u32 v80, vcc_lo, v6, v80
	v_add_co_ci_u32_e64 v81, null, v7, v81, vcc_lo
	v_add_co_u32 v66, vcc_lo, v6, v66
	s_clause 0x1
	flat_load_ushort v134, v[64:65]
	flat_load_ushort v135, v[70:71]
	v_add_co_ci_u32_e64 v67, null, v7, v67, vcc_lo
	v_add_co_u32 v64, vcc_lo, v6, v148
	v_add_co_ci_u32_e64 v65, null, v7, v149, vcc_lo
	v_add_co_u32 v70, vcc_lo, v6, v144
	;; [unrolled: 2-line block ×3, first 2 shown]
	v_add_co_ci_u32_e64 v150, null, v7, v147, vcc_lo
	s_clause 0x5
	flat_load_ushort v144, v[80:81]
	flat_load_ushort v147, v[64:65]
	;; [unrolled: 1-line block ×6, first 2 shown]
	s_waitcnt vmcnt(30) lgkmcnt(30)
	v_cmp_lt_i16_e32 vcc_lo, v151, v178
	s_waitcnt vmcnt(28) lgkmcnt(28)
	v_cmp_lt_i16_e64 s4, v160, v161
	s_waitcnt vmcnt(26) lgkmcnt(26)
	v_cmp_lt_i16_e64 s5, v162, v163
	v_cndmask_b32_e32 v64, v55, v50, vcc_lo
	s_waitcnt vmcnt(24) lgkmcnt(24)
	v_cmp_lt_i16_e64 s6, v164, v165
	v_cndmask_b32_e64 v65, v133, v96, s4
	s_waitcnt vmcnt(22) lgkmcnt(22)
	v_cmp_lt_i16_e64 s7, v166, v167
	v_cndmask_b32_e64 v66, v100, v97, s5
	s_waitcnt vmcnt(20) lgkmcnt(20)
	v_cmp_lt_i16_e64 s10, v176, v177
	v_cndmask_b32_e64 v100, v97, v100, s5
	v_bfe_i32 v97, v64, 0, 16
	v_cndmask_b32_e64 v67, v101, v98, s6
	s_waitcnt vmcnt(16) lgkmcnt(16)
	v_cmp_lt_i16_e64 s14, v192, v193
	v_cndmask_b32_e64 v69, v118, v103, s10
	v_cmp_lt_i16_e64 s11, v181, v182
	v_cndmask_b32_e64 v103, v103, v118, s10
	v_bfe_i32 v118, v65, 0, 16
	v_cndmask_b32_e64 v68, v102, v99, s7
	v_cndmask_b32_e64 v71, v128, v113, s14
	s_waitcnt vmcnt(14) lgkmcnt(14)
	v_cmp_lt_i16_e64 s15, v194, v195
	v_cndmask_b32_e64 v113, v113, v128, s14
	v_bfe_i32 v128, v66, 0, 16
	v_cndmask_b32_e64 v101, v98, v101, s6
	v_ashrrev_i32_e32 v98, 31, v97
	v_cndmask_b32_e64 v70, v119, v112, s11
	v_cndmask_b32_e64 v112, v112, v119, s11
	v_ashrrev_i32_e32 v119, 31, v118
	v_cndmask_b32_e64 v80, v129, v114, s15
	v_cndmask_b32_e64 v114, v114, v129, s15
	v_ashrrev_i32_e32 v129, 31, v128
	v_bfe_i32 v150, v69, 0, 16
	v_lshlrev_b64 v[97:98], 1, v[97:98]
	v_bfe_i32 v160, v70, 0, 16
	v_lshlrev_b64 v[118:119], 1, v[118:119]
	v_cndmask_b32_e64 v96, v96, v133, s4
	v_bfe_i32 v162, v71, 0, 16
	v_lshlrev_b64 v[128:129], 1, v[128:129]
	v_ashrrev_i32_e32 v151, 31, v150
	v_bfe_i32 v164, v80, 0, 16
	v_add_co_u32 v97, s4, v6, v97
	v_ashrrev_i32_e32 v161, 31, v160
	v_add_co_ci_u32_e64 v98, null, v7, v98, s4
	v_add_co_u32 v118, s4, v6, v118
	v_ashrrev_i32_e32 v163, 31, v162
	v_lshlrev_b64 v[150:151], 1, v[150:151]
	v_add_co_ci_u32_e64 v119, null, v7, v119, s4
	s_waitcnt vmcnt(12) lgkmcnt(12)
	v_cmp_lt_i16_e64 s16, v196, v197
	s_waitcnt vmcnt(10) lgkmcnt(10)
	v_cmp_lt_i16_e64 s17, v82, v198
	v_add_co_u32 v128, s4, v6, v128
	s_waitcnt vmcnt(8) lgkmcnt(8)
	v_cmp_lt_i16_e64 s18, v199, v208
	v_cndmask_b32_e64 v81, v130, v115, s16
	v_cndmask_b32_e64 v115, v115, v130, s16
	v_bfe_i32 v130, v67, 0, 16
	v_cndmask_b32_e64 v82, v131, v116, s17
	v_cndmask_b32_e64 v53, v132, v117, s18
	;; [unrolled: 1-line block ×3, first 2 shown]
	v_bfe_i32 v132, v68, 0, 16
	v_cndmask_b32_e64 v116, v116, v131, s17
	v_ashrrev_i32_e32 v131, 31, v130
	v_bfe_i32 v166, v81, 0, 16
	v_bfe_i32 v176, v82, 0, 16
	v_ashrrev_i32_e32 v133, 31, v132
	v_ashrrev_i32_e32 v165, 31, v164
	v_lshlrev_b64 v[130:131], 1, v[130:131]
	v_bfe_i32 v178, v96, 0, 16
	v_lshlrev_b64 v[160:161], 1, v[160:161]
	v_lshlrev_b64 v[132:133], 1, v[132:133]
	v_add_co_ci_u32_e64 v129, null, v7, v129, s4
	v_add_co_u32 v130, s4, v6, v130
	v_cndmask_b32_e64 v102, v99, v102, s7
	v_ashrrev_i32_e32 v167, 31, v166
	v_bfe_i32 v180, v100, 0, 16
	v_lshlrev_b64 v[162:163], 1, v[162:163]
	v_add_co_ci_u32_e64 v131, null, v7, v131, s4
	v_add_co_u32 v132, s4, v6, v132
	v_ashrrev_i32_e32 v177, 31, v176
	v_bfe_i32 v182, v101, 0, 16
	v_lshlrev_b64 v[164:165], 1, v[164:165]
	v_add_co_ci_u32_e64 v133, null, v7, v133, s4
	v_add_co_u32 v150, s4, v6, v150
	v_ashrrev_i32_e32 v179, 31, v178
	v_bfe_i32 v192, v102, 0, 16
	v_lshlrev_b64 v[166:167], 1, v[166:167]
	v_add_co_ci_u32_e64 v151, null, v7, v151, s4
	v_add_co_u32 v160, s4, v6, v160
	v_ashrrev_i32_e32 v181, 31, v180
	v_bfe_i32 v194, v103, 0, 16
	v_lshlrev_b64 v[176:177], 1, v[176:177]
	v_add_co_ci_u32_e64 v161, null, v7, v161, s4
	v_add_co_u32 v162, s4, v6, v162
	v_ashrrev_i32_e32 v183, 31, v182
	v_bfe_i32 v196, v112, 0, 16
	v_lshlrev_b64 v[178:179], 1, v[178:179]
	v_add_co_ci_u32_e64 v163, null, v7, v163, s4
	v_add_co_u32 v164, s4, v6, v164
	v_ashrrev_i32_e32 v193, 31, v192
	v_bfe_i32 v198, v113, 0, 16
	v_lshlrev_b64 v[180:181], 1, v[180:181]
	v_add_co_ci_u32_e64 v165, null, v7, v165, s4
	v_add_co_u32 v166, s4, v6, v166
	v_ashrrev_i32_e32 v195, 31, v194
	v_bfe_i32 v208, v114, 0, 16
	v_lshlrev_b64 v[182:183], 1, v[182:183]
	v_add_co_ci_u32_e64 v167, null, v7, v167, s4
	v_add_co_u32 v176, s4, v6, v176
	v_ashrrev_i32_e32 v197, 31, v196
	v_bfe_i32 v210, v115, 0, 16
	v_lshlrev_b64 v[192:193], 1, v[192:193]
	v_add_co_ci_u32_e64 v177, null, v7, v177, s4
	v_add_co_u32 v178, s4, v6, v178
	v_ashrrev_i32_e32 v199, 31, v198
	v_bfe_i32 v212, v116, 0, 16
	v_lshlrev_b64 v[194:195], 1, v[194:195]
	v_add_co_ci_u32_e64 v179, null, v7, v179, s4
	v_add_co_u32 v180, s4, v6, v180
	v_ashrrev_i32_e32 v209, 31, v208
	v_bfe_i32 v214, v117, 0, 16
	v_lshlrev_b64 v[196:197], 1, v[196:197]
	v_add_co_ci_u32_e64 v181, null, v7, v181, s4
	v_add_co_u32 v182, s4, v6, v182
	v_ashrrev_i32_e32 v211, 31, v210
	v_lshlrev_b64 v[198:199], 1, v[198:199]
	v_add_co_ci_u32_e64 v183, null, v7, v183, s4
	v_add_co_u32 v192, s4, v6, v192
	v_ashrrev_i32_e32 v213, 31, v212
	v_lshlrev_b64 v[208:209], 1, v[208:209]
	v_add_co_ci_u32_e64 v193, null, v7, v193, s4
	v_add_co_u32 v194, s4, v6, v194
	v_ashrrev_i32_e32 v215, 31, v214
	v_lshlrev_b64 v[210:211], 1, v[210:211]
	v_add_co_ci_u32_e64 v195, null, v7, v195, s4
	v_add_co_u32 v196, s4, v6, v196
	v_lshlrev_b64 v[212:213], 1, v[212:213]
	v_add_co_ci_u32_e64 v197, null, v7, v197, s4
	v_add_co_u32 v198, s4, v6, v198
	v_lshlrev_b64 v[214:215], 1, v[214:215]
	v_add_co_ci_u32_e64 v199, null, v7, v199, s4
	v_add_co_u32 v208, s4, v6, v208
	v_add_co_ci_u32_e64 v209, null, v7, v209, s4
	v_add_co_u32 v210, s4, v6, v210
	v_add_co_ci_u32_e64 v211, null, v7, v211, s4
	v_add_co_u32 v212, s4, v6, v212
	v_add_co_ci_u32_e64 v213, null, v7, v213, s4
	v_add_co_u32 v214, s4, v6, v214
	v_add_co_ci_u32_e64 v215, null, v7, v215, s4
	s_clause 0x15
	flat_load_ushort v99, v[178:179]
	flat_load_ushort v178, v[97:98]
	;; [unrolled: 1-line block ×22, first 2 shown]
	v_cndmask_b32_e32 v50, v50, v55, vcc_lo
	v_bfe_i32 v97, v53, 0, 16
	s_waitcnt vmcnt(24) lgkmcnt(24)
	v_cmp_lt_i16_e64 s5, v145, v148
	v_bfe_i32 v118, v50, 0, 16
	v_ashrrev_i32_e32 v98, 31, v97
	v_cndmask_b32_e64 v133, v86, v84, s5
	v_ashrrev_i32_e32 v119, 31, v118
	v_lshlrev_b64 v[97:98], 1, v[97:98]
	v_bfe_i32 v130, v133, 0, 16
	v_lshlrev_b64 v[118:119], 1, v[118:119]
	v_add_co_u32 v97, vcc_lo, v6, v97
	v_add_co_ci_u32_e64 v98, null, v7, v98, vcc_lo
	v_cmp_lt_i16_e32 vcc_lo, v134, v135
	v_add_co_u32 v150, s4, v6, v118
	v_add_co_ci_u32_e64 v151, null, v7, v119, s4
	v_cmp_lt_i16_e64 s4, v144, v147
	v_cndmask_b32_e32 v55, v87, v52, vcc_lo
	v_cndmask_b32_e32 v87, v52, v87, vcc_lo
	s_waitcnt vmcnt(22) lgkmcnt(22)
	v_cmp_lt_i16_e32 vcc_lo, v146, v149
	v_cndmask_b32_e64 v135, v84, v86, s5
	v_cndmask_b32_e64 v144, v85, v83, s4
	v_bfe_i32 v118, v55, 0, 16
	v_cndmask_b32_e64 v85, v83, v85, s4
	v_bfe_i32 v83, v87, 0, 16
	v_cndmask_b32_e32 v134, v54, v51, vcc_lo
	v_bfe_i32 v128, v144, 0, 16
	v_ashrrev_i32_e32 v119, 31, v118
	v_bfe_i32 v147, v85, 0, 16
	v_ashrrev_i32_e32 v84, 31, v83
	v_bfe_i32 v145, v134, 0, 16
	v_ashrrev_i32_e32 v129, 31, v128
	v_lshlrev_b64 v[118:119], 1, v[118:119]
	v_ashrrev_i32_e32 v131, 31, v130
	v_bfe_i32 v160, v135, 0, 16
	v_lshlrev_b64 v[83:84], 1, v[83:84]
	v_ashrrev_i32_e32 v146, 31, v145
	v_lshlrev_b64 v[128:129], 1, v[128:129]
	v_ashrrev_i32_e32 v148, 31, v147
	v_lshlrev_b64 v[130:131], 1, v[130:131]
	v_add_co_u32 v118, s4, v6, v118
	v_ashrrev_i32_e32 v161, 31, v160
	v_lshlrev_b64 v[145:146], 1, v[145:146]
	v_add_co_ci_u32_e64 v119, null, v7, v119, s4
	v_add_co_u32 v83, s4, v6, v83
	v_lshlrev_b64 v[147:148], 1, v[147:148]
	v_add_co_ci_u32_e64 v84, null, v7, v84, s4
	v_add_co_u32 v128, s4, v6, v128
	;; [unrolled: 3-line block ×3, first 2 shown]
	v_add_co_ci_u32_e64 v131, null, v7, v131, s4
	v_add_co_u32 v145, s4, v6, v145
	v_add_co_ci_u32_e64 v146, null, v7, v146, s4
	v_add_co_u32 v147, s4, v6, v147
	;; [unrolled: 2-line block ×3, first 2 shown]
	v_add_co_ci_u32_e64 v161, null, v7, v161, s4
	s_clause 0x7
	flat_load_ushort v84, v[83:84]
	flat_load_ushort v86, v[97:98]
	;; [unrolled: 1-line block ×8, first 2 shown]
	v_cndmask_b32_e32 v51, v51, v54, vcc_lo
	s_waitcnt vmcnt(28) lgkmcnt(28)
	v_cmp_lt_i16_e64 s4, v99, v178
	s_waitcnt vmcnt(26) lgkmcnt(26)
	v_cmp_lt_i16_e64 s5, v179, v180
	;; [unrolled: 2-line block ×3, first 2 shown]
	v_cndmask_b32_e64 v97, v96, v64, s4
	s_waitcnt vmcnt(22) lgkmcnt(22)
	v_cmp_lt_i16_e64 s7, v183, v192
	v_cndmask_b32_e64 v98, v100, v65, s5
	s_waitcnt vmcnt(20) lgkmcnt(20)
	v_cmp_lt_i16_e64 s10, v193, v132
	;; [unrolled: 3-line block ×3, first 2 shown]
	v_cndmask_b32_e64 v100, v65, v100, s5
	v_bfe_i32 v65, v97, 0, 16
	v_cndmask_b32_e64 v118, v102, v67, s7
	s_waitcnt vmcnt(16) lgkmcnt(16)
	v_cmp_lt_i16_e64 s14, v196, v197
	v_cndmask_b32_e64 v102, v67, v102, s7
	s_waitcnt vmcnt(12) lgkmcnt(12)
	v_cmp_lt_i16_e64 s16, v163, v164
	v_bfe_i32 v67, v98, 0, 16
	v_cndmask_b32_e64 v119, v103, v68, s10
	v_cndmask_b32_e64 v128, v112, v69, s11
	s_waitcnt vmcnt(8) lgkmcnt(8)
	v_cmp_lt_i16_e64 s18, v167, v176
	v_cmp_lt_i16_e64 s15, v198, v162
	v_cndmask_b32_e64 v112, v69, v112, s11
	v_bfe_i32 v69, v99, 0, 16
	v_cndmask_b32_e64 v101, v66, v101, s6
	v_ashrrev_i32_e32 v66, 31, v65
	v_cndmask_b32_e64 v131, v115, v80, s16
	v_cmp_lt_i16_e64 s17, v165, v166
	v_cndmask_b32_e64 v115, v80, v115, s16
	v_bfe_i32 v80, v118, 0, 16
	v_cndmask_b32_e64 v129, v113, v70, s14
	v_cndmask_b32_e64 v103, v68, v103, s10
	v_ashrrev_i32_e32 v68, 31, v67
	v_cndmask_b32_e64 v52, v117, v82, s18
	v_cndmask_b32_e64 v117, v82, v117, s18
	v_bfe_i32 v82, v119, 0, 16
	v_cndmask_b32_e64 v130, v114, v71, s15
	v_cndmask_b32_e64 v113, v70, v113, s14
	v_ashrrev_i32_e32 v70, 31, v69
	v_bfe_i32 v145, v128, 0, 16
	v_lshlrev_b64 v[65:66], 1, v[65:66]
	v_cndmask_b32_e64 v132, v116, v81, s17
	v_cndmask_b32_e64 v116, v81, v116, s17
	v_ashrrev_i32_e32 v81, 31, v80
	v_bfe_i32 v147, v129, 0, 16
	v_lshlrev_b64 v[67:68], 1, v[67:68]
	v_ashrrev_i32_e32 v83, 31, v82
	v_bfe_i32 v160, v130, 0, 16
	v_lshlrev_b64 v[69:70], 1, v[69:70]
	v_cndmask_b32_e64 v64, v64, v96, s4
	v_ashrrev_i32_e32 v146, 31, v145
	v_bfe_i32 v162, v131, 0, 16
	v_lshlrev_b64 v[80:81], 1, v[80:81]
	v_add_co_u32 v65, s4, v6, v65
	v_ashrrev_i32_e32 v148, 31, v147
	v_bfe_i32 v164, v132, 0, 16
	v_lshlrev_b64 v[82:83], 1, v[82:83]
	v_add_co_ci_u32_e64 v66, null, v7, v66, s4
	v_add_co_u32 v67, s4, v6, v67
	v_ashrrev_i32_e32 v161, 31, v160
	v_bfe_i32 v166, v64, 0, 16
	v_lshlrev_b64 v[145:146], 1, v[145:146]
	v_add_co_ci_u32_e64 v68, null, v7, v68, s4
	;; [unrolled: 5-line block ×6, first 2 shown]
	v_add_co_u32 v147, s4, v6, v147
	v_cndmask_b32_e64 v114, v71, v114, s15
	v_ashrrev_i32_e32 v179, 31, v178
	v_bfe_i32 v192, v112, 0, 16
	v_lshlrev_b64 v[166:167], 1, v[166:167]
	v_add_co_ci_u32_e64 v148, null, v7, v148, s4
	v_add_co_u32 v160, s4, v6, v160
	v_ashrrev_i32_e32 v181, 31, v180
	v_bfe_i32 v194, v113, 0, 16
	v_lshlrev_b64 v[176:177], 1, v[176:177]
	v_add_co_ci_u32_e64 v161, null, v7, v161, s4
	v_add_co_u32 v162, s4, v6, v162
	;; [unrolled: 5-line block ×6, first 2 shown]
	v_ashrrev_i32_e32 v199, 31, v198
	v_lshlrev_b64 v[194:195], 1, v[194:195]
	v_add_co_ci_u32_e64 v179, null, v7, v179, s4
	v_add_co_u32 v180, s4, v6, v180
	v_ashrrev_i32_e32 v209, 31, v208
	v_lshlrev_b64 v[196:197], 1, v[196:197]
	v_add_co_ci_u32_e64 v181, null, v7, v181, s4
	v_add_co_u32 v182, s4, v6, v182
	;; [unrolled: 4-line block ×3, first 2 shown]
	v_lshlrev_b64 v[208:209], 1, v[208:209]
	v_add_co_ci_u32_e64 v193, null, v7, v193, s4
	v_add_co_u32 v194, s4, v6, v194
	v_lshlrev_b64 v[210:211], 1, v[210:211]
	v_add_co_ci_u32_e64 v195, null, v7, v195, s4
	v_add_co_u32 v196, s4, v6, v196
	v_add_co_ci_u32_e64 v197, null, v7, v197, s4
	v_add_co_u32 v198, s4, v6, v198
	;; [unrolled: 2-line block ×4, first 2 shown]
	v_add_co_ci_u32_e64 v211, null, v7, v211, s4
	s_clause 0x15
	flat_load_ushort v71, v[166:167]
	flat_load_ushort v166, v[150:151]
	;; [unrolled: 1-line block ×22, first 2 shown]
	v_bfe_i32 v65, v51, 0, 16
	s_waitcnt vmcnt(26) lgkmcnt(26)
	v_cmp_lt_i16_e64 s4, v149, v212
	v_bfe_i32 v67, v52, 0, 16
	v_ashrrev_i32_e32 v66, 31, v65
	v_ashrrev_i32_e32 v68, 31, v67
	v_lshlrev_b64 v[65:66], 1, v[65:66]
	v_lshlrev_b64 v[67:68], 1, v[67:68]
	v_add_co_u32 v65, vcc_lo, v6, v65
	v_add_co_ci_u32_e64 v66, null, v7, v66, vcc_lo
	v_cmp_lt_i16_e32 vcc_lo, v84, v86
	v_cndmask_b32_e64 v84, v55, v144, s4
	v_cndmask_b32_e64 v86, v144, v55, s4
	s_waitcnt vmcnt(22) lgkmcnt(22)
	v_cmp_lt_i16_e64 s4, v215, v224
	v_add_co_u32 v67, s5, v6, v67
	v_cndmask_b32_e32 v83, v87, v53, vcc_lo
	v_cndmask_b32_e32 v87, v53, v87, vcc_lo
	v_cmp_lt_i16_e32 vcc_lo, v213, v214
	v_bfe_i32 v69, v84, 0, 16
	v_cndmask_b32_e64 v54, v135, v134, s4
	v_bfe_i32 v80, v83, 0, 16
	v_bfe_i32 v146, v86, 0, 16
	v_cndmask_b32_e32 v96, v85, v133, vcc_lo
	v_cndmask_b32_e32 v85, v133, v85, vcc_lo
	v_bfe_i32 v133, v87, 0, 16
	v_ashrrev_i32_e32 v70, 31, v69
	v_ashrrev_i32_e32 v81, 31, v80
	v_bfe_i32 v144, v96, 0, 16
	v_cndmask_b32_e64 v55, v134, v135, s4
	v_ashrrev_i32_e32 v134, 31, v133
	v_bfe_i32 v148, v54, 0, 16
	v_lshlrev_b64 v[69:70], 1, v[69:70]
	v_ashrrev_i32_e32 v145, 31, v144
	v_lshlrev_b64 v[80:81], 1, v[80:81]
	v_bfe_i32 v150, v85, 0, 16
	v_ashrrev_i32_e32 v147, 31, v146
	v_bfe_i32 v160, v55, 0, 16
	v_lshlrev_b64 v[133:134], 1, v[133:134]
	v_ashrrev_i32_e32 v149, 31, v148
	v_lshlrev_b64 v[144:145], 1, v[144:145]
	v_add_co_u32 v69, vcc_lo, v6, v69
	v_ashrrev_i32_e32 v151, 31, v150
	v_lshlrev_b64 v[146:147], 1, v[146:147]
	v_add_co_ci_u32_e64 v70, null, v7, v70, vcc_lo
	v_add_co_u32 v80, vcc_lo, v6, v80
	v_ashrrev_i32_e32 v161, 31, v160
	v_lshlrev_b64 v[148:149], 1, v[148:149]
	v_add_co_ci_u32_e64 v81, null, v7, v81, vcc_lo
	v_add_co_u32 v133, vcc_lo, v6, v133
	v_lshlrev_b64 v[150:151], 1, v[150:151]
	v_add_co_ci_u32_e64 v134, null, v7, v134, vcc_lo
	v_add_co_u32 v162, vcc_lo, v6, v144
	;; [unrolled: 3-line block ×3, first 2 shown]
	v_add_co_ci_u32_e64 v147, null, v7, v147, vcc_lo
	v_add_co_u32 v148, vcc_lo, v6, v148
	v_add_co_ci_u32_e64 v68, null, v7, v68, s5
	v_add_co_ci_u32_e64 v149, null, v7, v149, vcc_lo
	v_add_co_u32 v164, vcc_lo, v6, v150
	v_add_co_ci_u32_e64 v165, null, v7, v151, vcc_lo
	v_add_co_u32 v160, vcc_lo, v6, v160
	v_add_co_ci_u32_e64 v161, null, v7, v161, vcc_lo
	s_clause 0x9
	flat_load_ushort v133, v[133:134]
	flat_load_ushort v144, v[67:68]
	;; [unrolled: 1-line block ×10, first 2 shown]
	s_waitcnt vmcnt(30) lgkmcnt(30)
	v_cmp_lt_i16_e32 vcc_lo, v71, v166
	s_waitcnt vmcnt(28) lgkmcnt(28)
	v_cmp_lt_i16_e64 s4, v167, v176
	s_waitcnt vmcnt(26) lgkmcnt(26)
	v_cmp_lt_i16_e64 s5, v177, v178
	v_cndmask_b32_e32 v65, v64, v50, vcc_lo
	s_waitcnt vmcnt(24) lgkmcnt(24)
	v_cmp_lt_i16_e64 s6, v179, v180
	v_cndmask_b32_e64 v66, v100, v97, s4
	s_waitcnt vmcnt(22) lgkmcnt(22)
	v_cmp_lt_i16_e64 s7, v181, v182
	v_cndmask_b32_e64 v67, v101, v98, s5
	;; [unrolled: 3-line block ×8, first 2 shown]
	v_cndmask_b32_e64 v112, v130, v115, s15
	v_bfe_i32 v115, v65, 0, 16
	v_cndmask_b32_e64 v80, v114, v129, s14
	v_cndmask_b32_e64 v53, v117, v132, s17
	;; [unrolled: 1-line block ×6, first 2 shown]
	v_bfe_i32 v117, v66, 0, 16
	v_cndmask_b32_e64 v71, v113, v128, s11
	v_cndmask_b32_e64 v99, v99, v102, s6
	;; [unrolled: 1-line block ×3, first 2 shown]
	v_bfe_i32 v128, v67, 0, 16
	v_cndmask_b32_e64 v82, v116, v131, s16
	v_cndmask_b32_e64 v113, v131, v116, s16
	v_ashrrev_i32_e32 v116, 31, v115
	v_bfe_i32 v130, v68, 0, 16
	v_ashrrev_i32_e32 v118, 31, v117
	v_bfe_i32 v160, v69, 0, 16
	;; [unrolled: 2-line block ×3, first 2 shown]
	v_lshlrev_b64 v[115:116], 1, v[115:116]
	v_ashrrev_i32_e32 v131, 31, v130
	v_bfe_i32 v164, v71, 0, 16
	v_lshlrev_b64 v[117:118], 1, v[117:118]
	v_ashrrev_i32_e32 v161, 31, v160
	v_bfe_i32 v166, v80, 0, 16
	;; [unrolled: 3-line block ×3, first 2 shown]
	v_lshlrev_b64 v[130:131], 1, v[130:131]
	v_add_co_u32 v115, s4, v6, v115
	v_ashrrev_i32_e32 v165, 31, v164
	v_bfe_i32 v178, v82, 0, 16
	v_lshlrev_b64 v[160:161], 1, v[160:161]
	v_add_co_ci_u32_e64 v116, null, v7, v116, s4
	v_add_co_u32 v117, s4, v6, v117
	v_ashrrev_i32_e32 v167, 31, v166
	v_bfe_i32 v180, v97, 0, 16
	v_lshlrev_b64 v[162:163], 1, v[162:163]
	v_add_co_ci_u32_e64 v118, null, v7, v118, s4
	;; [unrolled: 5-line block ×11, first 2 shown]
	v_add_co_u32 v182, s4, v6, v182
	v_ashrrev_i32_e32 v211, 31, v210
	v_lshlrev_b64 v[198:199], 1, v[198:199]
	v_add_co_ci_u32_e64 v183, null, v7, v183, s4
	v_add_co_u32 v192, s4, v6, v192
	v_ashrrev_i32_e32 v213, 31, v212
	v_lshlrev_b64 v[208:209], 1, v[208:209]
	v_add_co_ci_u32_e64 v193, null, v7, v193, s4
	;; [unrolled: 4-line block ×3, first 2 shown]
	v_add_co_u32 v196, s4, v6, v196
	v_lshlrev_b64 v[212:213], 1, v[212:213]
	v_add_co_ci_u32_e64 v197, null, v7, v197, s4
	v_add_co_u32 v198, s4, v6, v198
	v_lshlrev_b64 v[214:215], 1, v[214:215]
	v_add_co_ci_u32_e64 v199, null, v7, v199, s4
	v_add_co_u32 v208, s4, v6, v208
	v_add_co_ci_u32_e64 v209, null, v7, v209, s4
	v_add_co_u32 v210, s4, v6, v210
	v_add_co_ci_u32_e64 v211, null, v7, v211, s4
	v_add_co_u32 v212, s4, v6, v212
	v_add_co_ci_u32_e64 v213, null, v7, v213, s4
	v_add_co_u32 v214, s4, v6, v214
	v_add_co_ci_u32_e64 v215, null, v7, v215, s4
	s_clause 0x13
	flat_load_ushort v119, v[180:181]
	flat_load_ushort v180, v[115:116]
	;; [unrolled: 1-line block ×20, first 2 shown]
	v_bfe_i32 v115, v53, 0, 16
	v_cndmask_b32_e32 v50, v50, v64, vcc_lo
	s_waitcnt vmcnt(24) lgkmcnt(24)
	v_cmp_lt_i16_e64 s5, v135, v150
	v_cmp_lt_i16_e64 s4, v134, v145
	v_ashrrev_i32_e32 v116, 31, v115
	v_bfe_i32 v117, v50, 0, 16
	v_cndmask_b32_e64 v134, v86, v96, s5
	v_cndmask_b32_e64 v145, v83, v84, s4
	;; [unrolled: 1-line block ×3, first 2 shown]
	v_lshlrev_b64 v[115:116], 1, v[115:116]
	v_ashrrev_i32_e32 v118, 31, v117
	v_bfe_i32 v86, v134, 0, 16
	v_bfe_i32 v130, v145, 0, 16
	v_add_co_u32 v115, vcc_lo, v6, v115
	v_add_co_ci_u32_e64 v116, null, v7, v116, vcc_lo
	v_cmp_lt_i16_e32 vcc_lo, v133, v144
	v_lshlrev_b64 v[117:118], 1, v[117:118]
	v_cndmask_b32_e64 v133, v84, v83, s4
	s_waitcnt vmcnt(22) lgkmcnt(22)
	v_cmp_lt_i16_e64 s4, v146, v147
	v_ashrrev_i32_e32 v131, 31, v130
	v_cndmask_b32_e32 v132, v87, v52, vcc_lo
	v_cndmask_b32_e32 v144, v52, v87, vcc_lo
	v_add_co_u32 v150, s6, v6, v117
	s_waitcnt vmcnt(20) lgkmcnt(20)
	v_cmp_lt_i16_e32 vcc_lo, v148, v149
	v_bfe_i32 v83, v132, 0, 16
	v_bfe_i32 v117, v133, 0, 16
	v_cndmask_b32_e64 v147, v85, v54, s4
	v_bfe_i32 v128, v144, 0, 16
	v_ashrrev_i32_e32 v87, 31, v86
	v_ashrrev_i32_e32 v84, 31, v83
	v_add_co_ci_u32_e64 v151, null, v7, v118, s6
	v_cndmask_b32_e32 v52, v55, v51, vcc_lo
	v_ashrrev_i32_e32 v118, 31, v117
	v_cndmask_b32_e64 v146, v54, v85, s4
	v_bfe_i32 v85, v147, 0, 16
	v_lshlrev_b64 v[83:84], 1, v[83:84]
	v_ashrrev_i32_e32 v129, 31, v128
	v_bfe_i32 v148, v135, 0, 16
	v_lshlrev_b64 v[162:163], 1, v[86:87]
	v_bfe_i32 v160, v52, 0, 16
	v_lshlrev_b64 v[117:118], 1, v[117:118]
	v_ashrrev_i32_e32 v86, 31, v85
	v_bfe_i32 v164, v146, 0, 16
	v_lshlrev_b64 v[128:129], 1, v[128:129]
	v_add_co_u32 v83, s4, v6, v83
	v_ashrrev_i32_e32 v149, 31, v148
	v_lshlrev_b64 v[130:131], 1, v[130:131]
	v_add_co_ci_u32_e64 v84, null, v7, v84, s4
	v_add_co_u32 v162, s4, v6, v162
	v_ashrrev_i32_e32 v161, 31, v160
	v_lshlrev_b64 v[85:86], 1, v[85:86]
	v_add_co_ci_u32_e64 v163, null, v7, v163, s4
	;; [unrolled: 4-line block ×3, first 2 shown]
	v_add_co_u32 v128, s4, v6, v128
	v_lshlrev_b64 v[160:161], 1, v[160:161]
	v_add_co_ci_u32_e64 v129, null, v7, v129, s4
	v_add_co_u32 v130, s4, v6, v130
	v_lshlrev_b64 v[164:165], 1, v[164:165]
	v_add_co_ci_u32_e64 v131, null, v7, v131, s4
	v_add_co_u32 v85, s4, v6, v85
	v_add_co_ci_u32_e64 v86, null, v7, v86, s4
	v_add_co_u32 v148, s4, v6, v148
	;; [unrolled: 2-line block ×4, first 2 shown]
	v_add_co_ci_u32_e64 v165, null, v7, v165, s4
	s_clause 0x9
	flat_load_ushort v210, v[128:129]
	flat_load_ushort v211, v[115:116]
	;; [unrolled: 1-line block ×10, first 2 shown]
	v_cndmask_b32_e32 v51, v51, v55, vcc_lo
	s_waitcnt vmcnt(28) lgkmcnt(28)
	v_cmp_lt_i16_e64 s4, v119, v180
	s_waitcnt vmcnt(26) lgkmcnt(26)
	v_cmp_lt_i16_e64 s5, v181, v182
	;; [unrolled: 2-line block ×3, first 2 shown]
	v_cndmask_b32_e64 v84, v97, v65, s4
	s_waitcnt vmcnt(22) lgkmcnt(22)
	v_cmp_lt_i16_e64 s7, v193, v194
	v_cndmask_b32_e64 v86, v98, v66, s5
	s_waitcnt vmcnt(20) lgkmcnt(20)
	v_cmp_lt_i16_e64 s10, v195, v196
	v_cndmask_b32_e64 v87, v99, v67, s6
	s_waitcnt vmcnt(18) lgkmcnt(18)
	v_cmp_lt_i16_e64 s11, v197, v198
	v_cndmask_b32_e64 v64, v65, v97, s4
	v_bfe_i32 v65, v84, 0, 16
	v_cndmask_b32_e64 v96, v100, v68, s7
	s_waitcnt vmcnt(14) lgkmcnt(14)
	v_cmp_lt_i16_e64 s15, v209, v166
	v_cmp_lt_i16_e64 s14, v199, v208
	v_cndmask_b32_e64 v97, v66, v98, s5
	v_cndmask_b32_e64 v98, v67, v99, s6
	v_bfe_i32 v67, v86, 0, 16
	v_cndmask_b32_e64 v115, v101, v69, s10
	s_waitcnt vmcnt(10) lgkmcnt(10)
	v_cmp_lt_i16_e64 s17, v177, v178
	v_cndmask_b32_e64 v99, v68, v100, s7
	v_cndmask_b32_e64 v100, v69, v101, s10
	v_bfe_i32 v69, v87, 0, 16
	v_cndmask_b32_e64 v116, v102, v70, s11
	v_ashrrev_i32_e32 v66, 31, v65
	v_cndmask_b32_e64 v118, v112, v80, s15
	v_cmp_lt_i16_e64 s16, v167, v176
	v_cndmask_b32_e64 v129, v80, v112, s15
	v_bfe_i32 v80, v96, 0, 16
	v_cndmask_b32_e64 v117, v103, v71, s14
	v_ashrrev_i32_e32 v68, 31, v67
	v_cndmask_b32_e64 v54, v114, v82, s17
	v_cndmask_b32_e64 v131, v82, v114, s17
	v_bfe_i32 v82, v115, 0, 16
	v_cndmask_b32_e64 v101, v70, v102, s11
	v_ashrrev_i32_e32 v70, 31, v69
	v_bfe_i32 v102, v116, 0, 16
	v_lshlrev_b64 v[65:66], 1, v[65:66]
	v_cndmask_b32_e64 v119, v113, v81, s16
	v_cndmask_b32_e64 v130, v81, v113, s16
	v_ashrrev_i32_e32 v81, 31, v80
	v_bfe_i32 v112, v117, 0, 16
	v_lshlrev_b64 v[67:68], 1, v[67:68]
	v_ashrrev_i32_e32 v83, 31, v82
	v_bfe_i32 v148, v118, 0, 16
	v_lshlrev_b64 v[69:70], 1, v[69:70]
	v_cndmask_b32_e64 v128, v71, v103, s14
	v_ashrrev_i32_e32 v103, 31, v102
	v_bfe_i32 v160, v119, 0, 16
	v_lshlrev_b64 v[80:81], 1, v[80:81]
	v_add_co_u32 v65, s4, v6, v65
	v_ashrrev_i32_e32 v113, 31, v112
	v_bfe_i32 v162, v64, 0, 16
	v_lshlrev_b64 v[82:83], 1, v[82:83]
	v_add_co_ci_u32_e64 v66, null, v7, v66, s4
	v_add_co_u32 v67, s4, v6, v67
	v_ashrrev_i32_e32 v149, 31, v148
	v_bfe_i32 v164, v97, 0, 16
	v_lshlrev_b64 v[102:103], 1, v[102:103]
	v_add_co_ci_u32_e64 v68, null, v7, v68, s4
	;; [unrolled: 5-line block ×10, first 2 shown]
	v_add_co_u32 v164, s4, v6, v164
	v_ashrrev_i32_e32 v193, 31, v192
	v_lshlrev_b64 v[180:181], 1, v[180:181]
	v_add_co_ci_u32_e64 v165, null, v7, v165, s4
	v_add_co_u32 v166, s4, v6, v166
	v_ashrrev_i32_e32 v195, 31, v194
	v_lshlrev_b64 v[182:183], 1, v[182:183]
	v_add_co_ci_u32_e64 v167, null, v7, v167, s4
	;; [unrolled: 4-line block ×3, first 2 shown]
	v_add_co_u32 v178, s4, v6, v178
	v_lshlrev_b64 v[194:195], 1, v[194:195]
	v_add_co_ci_u32_e64 v179, null, v7, v179, s4
	v_add_co_u32 v180, s4, v6, v180
	v_lshlrev_b64 v[196:197], 1, v[196:197]
	v_add_co_ci_u32_e64 v181, null, v7, v181, s4
	v_add_co_u32 v182, s4, v6, v182
	v_add_co_ci_u32_e64 v183, null, v7, v183, s4
	v_add_co_u32 v192, s4, v6, v192
	;; [unrolled: 2-line block ×4, first 2 shown]
	v_add_co_ci_u32_e64 v197, null, v7, v197, s4
	s_clause 0x13
	flat_load_ushort v71, v[162:163]
	flat_load_ushort v198, v[150:151]
	;; [unrolled: 1-line block ×20, first 2 shown]
	v_bfe_i32 v65, v51, 0, 16
	v_bfe_i32 v67, v54, 0, 16
	s_waitcnt vmcnt(24) lgkmcnt(24)
	v_cmp_lt_i16_e64 s5, v214, v215
	v_cmp_lt_i16_e64 s4, v212, v213
	s_waitcnt vmcnt(22) lgkmcnt(22)
	v_cmp_lt_i16_e64 s6, v85, v224
	v_ashrrev_i32_e32 v66, 31, v65
	v_ashrrev_i32_e32 v68, 31, v67
	v_cndmask_b32_e64 v83, v133, v134, s5
	v_cndmask_b32_e64 v82, v145, v132, s4
	;; [unrolled: 1-line block ×3, first 2 shown]
	v_lshlrev_b64 v[65:66], 1, v[65:66]
	v_lshlrev_b64 v[67:68], 1, v[67:68]
	v_cndmask_b32_e64 v113, v132, v145, s4
	v_bfe_i32 v132, v83, 0, 16
	v_cndmask_b32_e64 v102, v134, v133, s5
	v_bfe_i32 v134, v82, 0, 16
	v_add_co_u32 v65, vcc_lo, v6, v65
	v_add_co_ci_u32_e64 v66, null, v7, v66, vcc_lo
	v_add_co_u32 v67, vcc_lo, v6, v67
	v_add_co_ci_u32_e64 v68, null, v7, v68, vcc_lo
	v_cmp_lt_i16_e32 vcc_lo, v210, v211
	v_ashrrev_i32_e32 v133, 31, v132
	v_cndmask_b32_e64 v103, v147, v135, s6
	v_ashrrev_i32_e32 v135, 31, v134
	v_bfe_i32 v148, v113, 0, 16
	v_cndmask_b32_e32 v81, v144, v53, vcc_lo
	v_cndmask_b32_e32 v112, v53, v144, vcc_lo
	s_waitcnt vmcnt(20) lgkmcnt(20)
	v_cmp_lt_i16_e32 vcc_lo, v225, v226
	v_bfe_i32 v144, v85, 0, 16
	v_lshlrev_b64 v[132:133], 1, v[132:133]
	v_bfe_i32 v69, v81, 0, 16
	v_lshlrev_b64 v[134:135], 1, v[134:135]
	v_cndmask_b32_e32 v114, v146, v52, vcc_lo
	v_cndmask_b32_e32 v52, v52, v146, vcc_lo
	v_bfe_i32 v146, v112, 0, 16
	v_ashrrev_i32_e32 v70, 31, v69
	v_ashrrev_i32_e32 v145, 31, v144
	v_bfe_i32 v150, v102, 0, 16
	v_bfe_i32 v160, v114, 0, 16
	v_ashrrev_i32_e32 v147, 31, v146
	v_lshlrev_b64 v[69:70], 1, v[69:70]
	v_lshlrev_b64 v[144:145], 1, v[144:145]
	v_ashrrev_i32_e32 v149, 31, v148
	v_bfe_i32 v162, v103, 0, 16
	v_lshlrev_b64 v[146:147], 1, v[146:147]
	v_ashrrev_i32_e32 v151, 31, v150
	v_add_co_u32 v69, vcc_lo, v6, v69
	v_add_co_ci_u32_e64 v70, null, v7, v70, vcc_lo
	v_add_co_u32 v132, vcc_lo, v6, v132
	v_add_co_ci_u32_e64 v133, null, v7, v133, vcc_lo
	v_add_co_u32 v134, vcc_lo, v6, v134
	v_bfe_i32 v164, v52, 0, 16
	v_ashrrev_i32_e32 v161, 31, v160
	v_add_co_ci_u32_e64 v135, null, v7, v135, vcc_lo
	v_add_co_u32 v144, vcc_lo, v6, v144
	v_lshlrev_b64 v[148:149], 1, v[148:149]
	v_ashrrev_i32_e32 v163, 31, v162
	v_add_co_ci_u32_e64 v145, null, v7, v145, vcc_lo
	v_add_co_u32 v146, vcc_lo, v6, v146
	v_lshlrev_b64 v[150:151], 1, v[150:151]
	v_ashrrev_i32_e32 v165, 31, v164
	v_add_co_ci_u32_e64 v147, null, v7, v147, vcc_lo
	v_lshlrev_b64 v[160:161], 1, v[160:161]
	v_lshlrev_b64 v[162:163], 1, v[162:163]
	v_add_co_u32 v148, vcc_lo, v6, v148
	v_lshlrev_b64 v[164:165], 1, v[164:165]
	v_add_co_ci_u32_e64 v149, null, v7, v149, vcc_lo
	v_add_co_u32 v150, vcc_lo, v6, v150
	s_clause 0x1
	flat_load_ushort v197, v[146:147]
	flat_load_ushort v209, v[67:68]
	v_add_co_ci_u32_e64 v151, null, v7, v151, vcc_lo
	v_add_co_u32 v160, vcc_lo, v6, v160
	v_add_co_ci_u32_e64 v161, null, v7, v161, vcc_lo
	v_add_co_u32 v162, vcc_lo, v6, v162
	v_add_co_ci_u32_e64 v163, null, v7, v163, vcc_lo
	v_add_co_u32 v67, vcc_lo, v6, v164
	v_add_co_ci_u32_e64 v68, null, v7, v165, vcc_lo
	s_clause 0x9
	flat_load_ushort v210, v[148:149]
	flat_load_ushort v211, v[69:70]
	;; [unrolled: 1-line block ×10, first 2 shown]
	s_waitcnt vmcnt(30) lgkmcnt(30)
	v_cmp_lt_i16_e32 vcc_lo, v71, v198
	s_waitcnt vmcnt(28) lgkmcnt(28)
	v_cmp_lt_i16_e64 s4, v199, v208
	s_waitcnt vmcnt(26) lgkmcnt(26)
	v_cmp_lt_i16_e64 s5, v166, v167
	v_cndmask_b32_e32 v53, v64, v50, vcc_lo
	s_waitcnt vmcnt(24) lgkmcnt(24)
	v_cmp_lt_i16_e64 s6, v176, v177
	v_cndmask_b32_e64 v65, v97, v84, s4
	s_waitcnt vmcnt(22) lgkmcnt(22)
	v_cmp_lt_i16_e64 s7, v178, v80
	v_cndmask_b32_e64 v66, v98, v86, s5
	;; [unrolled: 3-line block ×5, first 2 shown]
	v_cndmask_b32_e64 v97, v115, v101, s10
	v_bfe_i32 v115, v53, 0, 16
	s_waitcnt vmcnt(14) lgkmcnt(14)
	v_cmp_lt_i16_e64 s15, v193, v194
	v_cndmask_b32_e64 v71, v129, v117, s14
	v_cndmask_b32_e64 v87, v87, v99, s6
	;; [unrolled: 1-line block ×3, first 2 shown]
	v_bfe_i32 v117, v65, 0, 16
	v_cndmask_b32_e64 v68, v100, v96, s7
	v_cndmask_b32_e64 v70, v128, v116, s11
	;; [unrolled: 1-line block ×4, first 2 shown]
	v_bfe_i32 v128, v66, 0, 16
	v_ashrrev_i32_e32 v116, 31, v115
	v_cndmask_b32_e64 v80, v130, v118, s15
	s_waitcnt vmcnt(12) lgkmcnt(12)
	v_cmp_lt_i16_e64 s16, v195, v196
	v_cndmask_b32_e64 v96, v96, v100, s7
	v_cndmask_b32_e64 v100, v118, v130, s15
	v_bfe_i32 v130, v67, 0, 16
	v_ashrrev_i32_e32 v118, 31, v117
	v_bfe_i32 v132, v68, 0, 16
	v_ashrrev_i32_e32 v129, 31, v128
	v_bfe_i32 v134, v69, 0, 16
	v_lshlrev_b64 v[115:116], 1, v[115:116]
	v_cndmask_b32_e64 v55, v131, v119, s16
	v_cndmask_b32_e64 v101, v119, v131, s16
	v_ashrrev_i32_e32 v131, 31, v130
	v_bfe_i32 v144, v70, 0, 16
	v_lshlrev_b64 v[117:118], 1, v[117:118]
	v_ashrrev_i32_e32 v133, 31, v132
	v_bfe_i32 v146, v71, 0, 16
	v_lshlrev_b64 v[128:129], 1, v[128:129]
	;; [unrolled: 3-line block ×3, first 2 shown]
	v_add_co_u32 v115, s4, v6, v115
	v_ashrrev_i32_e32 v145, 31, v144
	v_bfe_i32 v150, v84, 0, 16
	v_lshlrev_b64 v[132:133], 1, v[132:133]
	v_add_co_ci_u32_e64 v116, null, v7, v116, s4
	v_add_co_u32 v117, s4, v6, v117
	v_ashrrev_i32_e32 v147, 31, v146
	v_bfe_i32 v160, v86, 0, 16
	v_lshlrev_b64 v[134:135], 1, v[134:135]
	v_add_co_ci_u32_e64 v118, null, v7, v118, s4
	;; [unrolled: 5-line block ×9, first 2 shown]
	v_add_co_u32 v150, s4, v6, v150
	v_ashrrev_i32_e32 v179, 31, v178
	v_lshlrev_b64 v[166:167], 1, v[166:167]
	v_add_co_ci_u32_e64 v151, null, v7, v151, s4
	v_add_co_u32 v160, s4, v6, v160
	v_ashrrev_i32_e32 v181, 31, v180
	v_lshlrev_b64 v[176:177], 1, v[176:177]
	v_add_co_ci_u32_e64 v161, null, v7, v161, s4
	;; [unrolled: 4-line block ×3, first 2 shown]
	v_add_co_u32 v164, s4, v6, v164
	v_lshlrev_b64 v[180:181], 1, v[180:181]
	v_add_co_ci_u32_e64 v165, null, v7, v165, s4
	v_add_co_u32 v166, s4, v6, v166
	v_lshlrev_b64 v[182:183], 1, v[182:183]
	v_add_co_ci_u32_e64 v167, null, v7, v167, s4
	v_add_co_u32 v176, s4, v6, v176
	v_add_co_ci_u32_e64 v177, null, v7, v177, s4
	v_add_co_u32 v178, s4, v6, v178
	;; [unrolled: 2-line block ×4, first 2 shown]
	v_add_co_ci_u32_e64 v183, null, v7, v183, s4
	s_clause 0x11
	flat_load_ushort v150, v[150:151]
	flat_load_ushort v151, v[115:116]
	;; [unrolled: 1-line block ×18, first 2 shown]
	v_bfe_i32 v115, v55, 0, 16
	v_cndmask_b32_e32 v50, v50, v64, vcc_lo
	s_waitcnt vmcnt(26) lgkmcnt(26)
	v_cmp_lt_i16_e64 s4, v210, v211
	s_waitcnt vmcnt(22) lgkmcnt(22)
	v_cmp_lt_i16_e64 s6, v214, v215
	v_cmp_lt_i16_e64 s5, v212, v213
	v_ashrrev_i32_e32 v116, 31, v115
	s_waitcnt vmcnt(20) lgkmcnt(20)
	v_cmp_lt_i16_e64 s7, v224, v225
	v_cndmask_b32_e64 v192, v113, v81, s4
	v_cndmask_b32_e64 v194, v102, v85, s6
	;; [unrolled: 1-line block ×3, first 2 shown]
	v_lshlrev_b64 v[115:116], 1, v[115:116]
	v_cndmask_b32_e64 v81, v85, v102, s6
	v_cndmask_b32_e64 v193, v83, v82, s5
	;; [unrolled: 1-line block ×3, first 2 shown]
	v_bfe_i32 v118, v194, 0, 16
	v_bfe_i32 v134, v196, 0, 16
	v_add_co_u32 v115, vcc_lo, v6, v115
	v_add_co_ci_u32_e64 v116, null, v7, v116, vcc_lo
	v_cmp_lt_i16_e32 vcc_lo, v197, v209
	v_cndmask_b32_e64 v197, v82, v83, s5
	v_cndmask_b32_e64 v82, v114, v103, s7
	v_bfe_i32 v128, v193, 0, 16
	v_bfe_i32 v130, v64, 0, 16
	v_cndmask_b32_e32 v183, v112, v54, vcc_lo
	v_cndmask_b32_e32 v195, v54, v112, vcc_lo
	v_bfe_i32 v112, v192, 0, 16
	v_ashrrev_i32_e32 v119, 31, v118
	v_ashrrev_i32_e32 v129, 31, v128
	v_bfe_i32 v102, v183, 0, 16
	v_bfe_i32 v132, v195, 0, 16
	v_ashrrev_i32_e32 v113, 31, v112
	v_ashrrev_i32_e32 v131, 31, v130
	v_bfe_i32 v144, v197, 0, 16
	v_ashrrev_i32_e32 v103, 31, v102
	v_lshlrev_b64 v[118:119], 1, v[118:119]
	v_lshlrev_b64 v[112:113], 1, v[112:113]
	v_ashrrev_i32_e32 v133, 31, v132
	v_bfe_i32 v146, v81, 0, 16
	v_lshlrev_b64 v[102:103], 1, v[102:103]
	v_lshlrev_b64 v[128:129], 1, v[128:129]
	v_ashrrev_i32_e32 v135, 31, v134
	v_lshlrev_b64 v[130:131], 1, v[130:131]
	v_ashrrev_i32_e32 v145, 31, v144
	v_lshlrev_b64 v[132:133], 1, v[132:133]
	v_add_co_u32 v102, s4, v6, v102
	v_add_co_ci_u32_e64 v103, null, v7, v103, s4
	v_add_co_u32 v112, s4, v6, v112
	v_add_co_ci_u32_e64 v113, null, v7, v113, s4
	v_add_co_u32 v118, s4, v6, v118
	v_ashrrev_i32_e32 v147, 31, v146
	v_lshlrev_b64 v[134:135], 1, v[134:135]
	v_add_co_ci_u32_e64 v119, null, v7, v119, s4
	v_add_co_u32 v128, s4, v6, v128
	v_lshlrev_b64 v[144:145], 1, v[144:145]
	v_add_co_ci_u32_e64 v129, null, v7, v129, s4
	v_add_co_u32 v130, s4, v6, v130
	;; [unrolled: 3-line block ×3, first 2 shown]
	v_add_co_ci_u32_e64 v133, null, v7, v133, s4
	v_add_co_u32 v134, s4, v6, v134
	v_add_co_ci_u32_e64 v135, null, v7, v135, s4
	v_add_co_u32 v144, s4, v6, v144
	;; [unrolled: 2-line block ×3, first 2 shown]
	v_add_co_ci_u32_e64 v147, null, v7, v147, s4
	s_clause 0x9
	flat_load_ushort v198, v[132:133]
	flat_load_ushort v199, v[115:116]
	;; [unrolled: 1-line block ×10, first 2 shown]
	s_waitcnt vmcnt(28) lgkmcnt(28)
	v_cmp_lt_i16_e32 vcc_lo, v226, v227
	v_bfe_i32 v102, v82, 0, 16
	v_bfe_i32 v117, v50, 0, 16
	v_cndmask_b32_e32 v83, v52, v51, vcc_lo
	v_ashrrev_i32_e32 v103, 31, v102
	v_ashrrev_i32_e32 v118, 31, v117
	v_cndmask_b32_e32 v51, v51, v52, vcc_lo
	v_bfe_i32 v114, v83, 0, 16
	v_lshlrev_b64 v[102:103], 1, v[102:103]
	v_ashrrev_i32_e32 v115, 31, v114
	v_lshlrev_b64 v[112:113], 1, v[114:115]
	v_lshlrev_b64 v[114:115], 1, v[117:118]
	v_add_co_u32 v112, s4, v6, v112
	v_add_co_ci_u32_e64 v113, null, v7, v113, s4
	v_add_co_u32 v102, s4, v6, v102
	v_add_co_ci_u32_e64 v103, null, v7, v103, s4
	s_clause 0x1
	flat_load_ushort v215, v[112:113]
	flat_load_ushort v224, v[102:103]
	v_add_co_u32 v133, s4, v6, v114
	v_add_co_ci_u32_e64 v134, null, v7, v115, s4
	s_waitcnt vmcnt(28) lgkmcnt(28)
	v_cmp_lt_i16_e64 s4, v150, v151
	s_waitcnt vmcnt(26) lgkmcnt(26)
	v_cmp_lt_i16_e64 s5, v160, v161
	s_waitcnt vmcnt(24) lgkmcnt(24)
	v_cmp_lt_i16_e64 s6, v162, v163
	v_cndmask_b32_e64 v102, v84, v53, s4
	s_waitcnt vmcnt(22) lgkmcnt(22)
	v_cmp_lt_i16_e64 s7, v164, v165
	v_cndmask_b32_e64 v103, v86, v65, s5
	s_waitcnt vmcnt(20) lgkmcnt(20)
	v_cmp_lt_i16_e64 s10, v166, v167
	;; [unrolled: 3-line block ×4, first 2 shown]
	v_bfe_i32 v66, v102, 0, 16
	v_cndmask_b32_e64 v113, v96, v67, s7
	v_cndmask_b32_e64 v114, v97, v68, s10
	v_cndmask_b32_e64 v128, v68, v97, s10
	v_bfe_i32 v68, v103, 0, 16
	v_cndmask_b32_e64 v116, v99, v70, s14
	s_waitcnt vmcnt(14) lgkmcnt(14)
	v_cmp_lt_i16_e64 s15, v180, v181
	v_cndmask_b32_e64 v130, v70, v99, s14
	v_bfe_i32 v70, v112, 0, 16
	v_cndmask_b32_e64 v115, v98, v69, s11
	v_cndmask_b32_e64 v119, v67, v96, s7
	v_ashrrev_i32_e32 v67, 31, v66
	v_cndmask_b32_e64 v53, v53, v84, s4
	v_bfe_i32 v84, v113, 0, 16
	v_cndmask_b32_e64 v129, v69, v98, s11
	v_ashrrev_i32_e32 v69, 31, v68
	v_cndmask_b32_e64 v65, v65, v86, s5
	v_bfe_i32 v86, v114, 0, 16
	v_cndmask_b32_e64 v117, v100, v71, s15
	v_cndmask_b32_e64 v131, v71, v100, s15
	v_ashrrev_i32_e32 v71, 31, v70
	v_bfe_i32 v96, v115, 0, 16
	v_lshlrev_b64 v[66:67], 1, v[66:67]
	v_ashrrev_i32_e32 v85, 31, v84
	v_bfe_i32 v98, v116, 0, 16
	v_lshlrev_b64 v[68:69], 1, v[68:69]
	v_ashrrev_i32_e32 v87, 31, v86
	s_waitcnt vmcnt(12) lgkmcnt(12)
	v_cmp_lt_i16_e64 s16, v182, v148
	v_bfe_i32 v100, v117, 0, 16
	v_lshlrev_b64 v[70:71], 1, v[70:71]
	v_ashrrev_i32_e32 v97, 31, v96
	v_bfe_i32 v144, v53, 0, 16
	v_lshlrev_b64 v[84:85], 1, v[84:85]
	v_add_co_u32 v66, s4, v6, v66
	v_ashrrev_i32_e32 v99, 31, v98
	v_bfe_i32 v146, v65, 0, 16
	v_lshlrev_b64 v[86:87], 1, v[86:87]
	v_add_co_ci_u32_e64 v67, null, v7, v67, s4
	v_add_co_u32 v68, s4, v6, v68
	v_cndmask_b32_e64 v54, v101, v80, s16
	v_cndmask_b32_e64 v132, v80, v101, s16
	v_ashrrev_i32_e32 v101, 31, v100
	v_bfe_i32 v148, v118, 0, 16
	v_lshlrev_b64 v[96:97], 1, v[96:97]
	v_add_co_ci_u32_e64 v69, null, v7, v69, s4
	v_add_co_u32 v70, s4, v6, v70
	v_ashrrev_i32_e32 v145, 31, v144
	v_bfe_i32 v150, v119, 0, 16
	v_lshlrev_b64 v[98:99], 1, v[98:99]
	v_add_co_ci_u32_e64 v71, null, v7, v71, s4
	v_add_co_u32 v84, s4, v6, v84
	;; [unrolled: 5-line block ×7, first 2 shown]
	v_ashrrev_i32_e32 v165, 31, v164
	v_lshlrev_b64 v[160:161], 1, v[160:161]
	v_add_co_ci_u32_e64 v145, null, v7, v145, s4
	v_add_co_u32 v146, s4, v6, v146
	v_ashrrev_i32_e32 v167, 31, v166
	v_lshlrev_b64 v[162:163], 1, v[162:163]
	v_add_co_ci_u32_e64 v147, null, v7, v147, s4
	v_add_co_u32 v148, s4, v6, v148
	;; [unrolled: 4-line block ×3, first 2 shown]
	v_lshlrev_b64 v[166:167], 1, v[166:167]
	v_add_co_ci_u32_e64 v151, null, v7, v151, s4
	v_add_co_u32 v160, s4, v6, v160
	v_lshlrev_b64 v[176:177], 1, v[176:177]
	v_add_co_ci_u32_e64 v161, null, v7, v161, s4
	v_add_co_u32 v162, s4, v6, v162
	v_add_co_ci_u32_e64 v163, null, v7, v163, s4
	v_add_co_u32 v164, s4, v6, v164
	;; [unrolled: 2-line block ×4, first 2 shown]
	v_add_co_ci_u32_e64 v177, null, v7, v177, s4
	s_clause 0x11
	flat_load_ushort v178, v[144:145]
	flat_load_ushort v179, v[133:134]
	;; [unrolled: 1-line block ×18, first 2 shown]
	v_bfe_i32 v66, v54, 0, 16
	s_waitcnt vmcnt(26) lgkmcnt(26)
	v_cmp_lt_i16_e64 s5, v135, v208
	s_waitcnt vmcnt(22) lgkmcnt(22)
	v_cmp_lt_i16_e64 s7, v211, v212
	v_cmp_lt_i16_e64 s6, v209, v210
	s_waitcnt vmcnt(20) lgkmcnt(20)
	v_cmp_lt_i16_e64 s10, v213, v214
	v_ashrrev_i32_e32 v67, 31, v66
	v_cndmask_b32_e64 v69, v196, v183, s5
	v_cndmask_b32_e64 v135, v193, v194, s7
	;; [unrolled: 1-line block ×4, first 2 shown]
	v_lshlrev_b64 v[66:67], 1, v[66:67]
	v_bfe_i32 v96, v69, 0, 16
	v_bfe_i32 v98, v135, 0, 16
	;; [unrolled: 1-line block ×3, first 2 shown]
	v_cndmask_b32_e64 v80, v192, v197, s6
	v_bfe_i32 v148, v71, 0, 16
	v_add_co_u32 v84, s4, v6, v66
	v_add_co_ci_u32_e64 v85, null, v7, v67, s4
	v_cmp_lt_i16_e64 s4, v198, v199
	v_cndmask_b32_e64 v66, v81, v64, s10
	v_ashrrev_i32_e32 v97, 31, v96
	v_ashrrev_i32_e32 v99, 31, v98
	v_cndmask_b32_e64 v67, v194, v193, s7
	v_cndmask_b32_e64 v68, v195, v55, s4
	;; [unrolled: 1-line block ×3, first 2 shown]
	v_bfe_i32 v144, v66, 0, 16
	v_ashrrev_i32_e32 v101, 31, v100
	v_lshlrev_b64 v[96:97], 1, v[96:97]
	v_bfe_i32 v86, v68, 0, 16
	v_bfe_i32 v146, v70, 0, 16
	v_ashrrev_i32_e32 v145, 31, v144
	v_bfe_i32 v150, v80, 0, 16
	v_lshlrev_b64 v[98:99], 1, v[98:99]
	v_ashrrev_i32_e32 v87, 31, v86
	v_ashrrev_i32_e32 v147, 31, v146
	v_bfe_i32 v160, v67, 0, 16
	v_lshlrev_b64 v[100:101], 1, v[100:101]
	v_ashrrev_i32_e32 v149, 31, v148
	v_lshlrev_b64 v[86:87], 1, v[86:87]
	v_lshlrev_b64 v[144:145], 1, v[144:145]
	v_ashrrev_i32_e32 v151, 31, v150
	v_lshlrev_b64 v[146:147], 1, v[146:147]
	v_ashrrev_i32_e32 v161, 31, v160
	v_lshlrev_b64 v[148:149], 1, v[148:149]
	v_add_co_u32 v86, s4, v6, v86
	v_add_co_ci_u32_e64 v87, null, v7, v87, s4
	v_add_co_u32 v96, s4, v6, v96
	v_add_co_ci_u32_e64 v97, null, v7, v97, s4
	;; [unrolled: 2-line block ×3, first 2 shown]
	v_add_co_u32 v100, s4, v6, v100
	v_lshlrev_b64 v[150:151], 1, v[150:151]
	v_add_co_ci_u32_e64 v101, null, v7, v101, s4
	v_add_co_u32 v144, s4, v6, v144
	v_lshlrev_b64 v[160:161], 1, v[160:161]
	v_add_co_ci_u32_e64 v145, null, v7, v145, s4
	v_add_co_u32 v146, s4, v6, v146
	v_add_co_ci_u32_e64 v147, null, v7, v147, s4
	v_add_co_u32 v148, s4, v6, v148
	;; [unrolled: 2-line block ×3, first 2 shown]
	s_clause 0x1
	flat_load_ushort v183, v[98:99]
	flat_load_ushort v192, v[100:101]
	v_add_co_ci_u32_e64 v151, null, v7, v151, s4
	v_add_co_u32 v98, s4, v6, v160
	v_add_co_ci_u32_e64 v99, null, v7, v161, s4
	s_clause 0x7
	flat_load_ushort v193, v[146:147]
	flat_load_ushort v194, v[84:85]
	;; [unrolled: 1-line block ×8, first 2 shown]
	s_waitcnt vmcnt(28) lgkmcnt(28)
	v_cmp_lt_i16_e32 vcc_lo, v215, v224
	v_cndmask_b32_e64 v133, v64, v81, s10
	v_bfe_i32 v84, v51, 0, 16
	v_cndmask_b32_e32 v86, v82, v83, vcc_lo
	v_cndmask_b32_e32 v52, v83, v82, vcc_lo
	v_bfe_i32 v81, v133, 0, 16
	v_ashrrev_i32_e32 v85, 31, v84
	v_bfe_i32 v96, v86, 0, 16
	v_bfe_i32 v83, v52, 0, 16
	v_ashrrev_i32_e32 v82, 31, v81
	v_lshlrev_b64 v[98:99], 1, v[84:85]
	v_ashrrev_i32_e32 v97, 31, v96
	v_ashrrev_i32_e32 v84, 31, v83
	v_lshlrev_b64 v[81:82], 1, v[81:82]
	v_add_co_u32 v98, vcc_lo, v6, v98
	v_lshlrev_b64 v[96:97], 1, v[96:97]
	v_lshlrev_b64 v[83:84], 1, v[83:84]
	v_add_co_ci_u32_e64 v99, null, v7, v99, vcc_lo
	v_add_co_u32 v96, vcc_lo, v6, v96
	v_add_co_ci_u32_e64 v97, null, v7, v97, vcc_lo
	v_add_co_u32 v81, vcc_lo, v6, v81
	v_add_co_ci_u32_e64 v82, null, v7, v82, vcc_lo
	v_add_co_u32 v83, vcc_lo, v6, v83
	v_add_co_ci_u32_e64 v84, null, v7, v84, vcc_lo
	s_clause 0x3
	flat_load_ushort v209, v[96:97]
	flat_load_ushort v210, v[81:82]
	;; [unrolled: 1-line block ×4, first 2 shown]
	s_waitcnt vmcnt(30) lgkmcnt(30)
	v_cmp_lt_i16_e64 s4, v178, v179
	s_waitcnt vmcnt(28) lgkmcnt(28)
	v_cmp_lt_i16_e32 vcc_lo, v180, v181
	s_waitcnt vmcnt(26) lgkmcnt(26)
	v_cmp_lt_i16_e64 s5, v182, v225
	v_cndmask_b32_e64 v81, v53, v50, s4
	s_waitcnt vmcnt(24) lgkmcnt(24)
	v_cmp_lt_i16_e64 s6, v226, v227
	v_cndmask_b32_e32 v82, v65, v102, vcc_lo
	s_waitcnt vmcnt(22) lgkmcnt(22)
	v_cmp_lt_i16_e64 s7, v228, v229
	v_cndmask_b32_e64 v83, v118, v103, s5
	s_waitcnt vmcnt(20) lgkmcnt(20)
	v_cmp_lt_i16_e64 s10, v162, v163
	v_bfe_i32 v64, v81, 0, 16
	v_cndmask_b32_e64 v84, v119, v112, s6
	s_waitcnt vmcnt(18) lgkmcnt(18)
	v_cmp_lt_i16_e64 s11, v164, v165
	s_waitcnt vmcnt(16) lgkmcnt(16)
	v_cmp_lt_i16_e64 s14, v166, v167
	v_cndmask_b32_e64 v87, v129, v114, s10
	v_cndmask_b32_e32 v98, v102, v65, vcc_lo
	v_cndmask_b32_e64 v102, v114, v129, s10
	v_bfe_i32 v114, v82, 0, 16
	v_cndmask_b32_e64 v85, v128, v113, s7
	v_cndmask_b32_e64 v97, v131, v116, s14
	s_waitcnt vmcnt(14) lgkmcnt(14)
	v_cmp_lt_i16_e64 s15, v176, v177
	v_cndmask_b32_e64 v100, v112, v119, s6
	v_cndmask_b32_e64 v112, v116, v131, s14
	v_bfe_i32 v116, v83, 0, 16
	v_ashrrev_i32_e32 v65, 31, v64
	v_cndmask_b32_e64 v99, v103, v118, s5
	v_bfe_i32 v118, v84, 0, 16
	v_cndmask_b32_e64 v96, v130, v115, s11
	v_cndmask_b32_e64 v103, v115, v130, s11
	v_ashrrev_i32_e32 v115, 31, v114
	v_cndmask_b32_e64 v101, v113, v128, s7
	v_bfe_i32 v128, v85, 0, 16
	v_cndmask_b32_e64 v55, v132, v117, s15
	v_cndmask_b32_e64 v113, v117, v132, s15
	v_ashrrev_i32_e32 v117, 31, v116
	v_bfe_i32 v130, v87, 0, 16
	v_lshlrev_b64 v[64:65], 1, v[64:65]
	v_ashrrev_i32_e32 v119, 31, v118
	v_bfe_i32 v144, v96, 0, 16
	v_lshlrev_b64 v[114:115], 1, v[114:115]
	;; [unrolled: 3-line block ×4, first 2 shown]
	v_add_co_u32 v64, vcc_lo, v6, v64
	v_ashrrev_i32_e32 v145, 31, v144
	v_bfe_i32 v150, v99, 0, 16
	v_lshlrev_b64 v[128:129], 1, v[128:129]
	v_add_co_ci_u32_e64 v65, null, v7, v65, vcc_lo
	v_add_co_u32 v114, vcc_lo, v6, v114
	v_ashrrev_i32_e32 v147, 31, v146
	v_bfe_i32 v160, v100, 0, 16
	v_lshlrev_b64 v[130:131], 1, v[130:131]
	v_add_co_ci_u32_e64 v115, null, v7, v115, vcc_lo
	;; [unrolled: 5-line block ×7, first 2 shown]
	v_add_co_u32 v146, vcc_lo, v6, v146
	v_ashrrev_i32_e32 v167, 31, v166
	v_lshlrev_b64 v[162:163], 1, v[162:163]
	v_add_co_ci_u32_e64 v147, null, v7, v147, vcc_lo
	v_add_co_u32 v148, vcc_lo, v6, v148
	v_ashrrev_i32_e32 v177, 31, v176
	v_lshlrev_b64 v[164:165], 1, v[164:165]
	v_add_co_ci_u32_e64 v149, null, v7, v149, vcc_lo
	;; [unrolled: 4-line block ×3, first 2 shown]
	v_add_co_u32 v160, vcc_lo, v6, v160
	v_lshlrev_b64 v[176:177], 1, v[176:177]
	v_add_co_ci_u32_e64 v161, null, v7, v161, vcc_lo
	v_add_co_u32 v162, vcc_lo, v6, v162
	v_lshlrev_b64 v[178:179], 1, v[178:179]
	v_add_co_ci_u32_e64 v163, null, v7, v163, vcc_lo
	v_add_co_u32 v164, vcc_lo, v6, v164
	v_add_co_ci_u32_e64 v165, null, v7, v165, vcc_lo
	v_add_co_u32 v166, vcc_lo, v6, v166
	;; [unrolled: 2-line block ×4, first 2 shown]
	v_add_co_ci_u32_e64 v179, null, v7, v179, vcc_lo
	s_clause 0xf
	flat_load_ushort v132, v[148:149]
	flat_load_ushort v180, v[64:65]
	flat_load_ushort v181, v[150:151]
	flat_load_ushort v182, v[114:115]
	flat_load_ushort v160, v[160:161]
	flat_load_ushort v161, v[116:117]
	flat_load_ushort v162, v[162:163]
	flat_load_ushort v163, v[118:119]
	flat_load_ushort v164, v[164:165]
	flat_load_ushort v165, v[128:129]
	flat_load_ushort v166, v[166:167]
	flat_load_ushort v167, v[130:131]
	flat_load_ushort v176, v[176:177]
	flat_load_ushort v177, v[144:145]
	flat_load_ushort v178, v[178:179]
	flat_load_ushort v179, v[146:147]
	v_bfe_i32 v64, v55, 0, 16
	s_waitcnt vmcnt(24) lgkmcnt(24)
	v_cmp_lt_i16_e64 s6, v195, v196
	v_cmp_lt_i16_e32 vcc_lo, v183, v192
	s_waitcnt vmcnt(22) lgkmcnt(22)
	v_cmp_lt_i16_e64 s7, v197, v198
	v_cndmask_b32_e64 v50, v50, v53, s4
	v_ashrrev_i32_e32 v65, 31, v64
	v_cndmask_b32_e64 v129, v71, v68, s6
	v_cndmask_b32_e32 v131, v134, v135, vcc_lo
	v_cndmask_b32_e64 v192, v68, v71, s6
	v_cndmask_b32_e64 v130, v80, v69, s7
	v_lshlrev_b64 v[114:115], 1, v[64:65]
	v_cndmask_b32_e32 v64, v135, v134, vcc_lo
	s_waitcnt vmcnt(20) lgkmcnt(20)
	v_cmp_lt_i16_e32 vcc_lo, v199, v208
	v_bfe_i32 v118, v131, 0, 16
	v_cndmask_b32_e64 v80, v69, v80, s7
	v_bfe_i32 v134, v130, 0, 16
	v_add_co_u32 v114, s5, v6, v114
	v_add_co_ci_u32_e64 v115, null, v7, v115, s5
	v_cmp_lt_i16_e64 s5, v193, v194
	v_cndmask_b32_e32 v65, v67, v66, vcc_lo
	v_ashrrev_i32_e32 v119, 31, v118
	v_ashrrev_i32_e32 v135, 31, v134
	v_bfe_i32 v148, v192, 0, 16
	v_cndmask_b32_e64 v128, v70, v54, s5
	v_cndmask_b32_e64 v183, v54, v70, s5
	v_bfe_i32 v70, v129, 0, 16
	v_bfe_i32 v144, v65, 0, 16
	;; [unrolled: 1-line block ×5, first 2 shown]
	v_ashrrev_i32_e32 v71, 31, v70
	v_ashrrev_i32_e32 v145, 31, v144
	v_lshlrev_b64 v[118:119], 1, v[118:119]
	v_ashrrev_i32_e32 v69, 31, v68
	v_ashrrev_i32_e32 v147, 31, v146
	v_lshlrev_b64 v[70:71], 1, v[70:71]
	v_lshlrev_b64 v[134:135], 1, v[134:135]
	v_ashrrev_i32_e32 v149, 31, v148
	v_lshlrev_b64 v[68:69], 1, v[68:69]
	v_lshlrev_b64 v[144:145], 1, v[144:145]
	v_bfe_i32 v116, v64, 0, 16
	v_ashrrev_i32_e32 v151, 31, v150
	v_lshlrev_b64 v[146:147], 1, v[146:147]
	v_lshlrev_b64 v[148:149], 1, v[148:149]
	v_add_co_u32 v68, s5, v6, v68
	v_add_co_ci_u32_e64 v69, null, v7, v69, s5
	v_add_co_u32 v70, s5, v6, v70
	v_add_co_ci_u32_e64 v71, null, v7, v71, s5
	;; [unrolled: 2-line block ×3, first 2 shown]
	v_add_co_u32 v134, s5, v6, v134
	v_ashrrev_i32_e32 v117, 31, v116
	v_lshlrev_b64 v[150:151], 1, v[150:151]
	v_add_co_ci_u32_e64 v135, null, v7, v135, s5
	v_add_co_u32 v144, s5, v6, v144
	v_add_co_ci_u32_e64 v145, null, v7, v145, s5
	v_add_co_u32 v146, s5, v6, v146
	v_add_co_ci_u32_e64 v147, null, v7, v147, s5
	v_add_co_u32 v148, s5, v6, v148
	v_lshlrev_b64 v[116:117], 1, v[116:117]
	v_add_co_ci_u32_e64 v149, null, v7, v149, s5
	v_add_co_u32 v150, s5, v6, v150
	v_add_co_ci_u32_e64 v151, null, v7, v151, s5
	s_clause 0x7
	flat_load_ushort v193, v[146:147]
	flat_load_ushort v194, v[114:115]
	;; [unrolled: 1-line block ×8, first 2 shown]
	v_add_co_u32 v68, s5, v6, v116
	v_add_co_ci_u32_e64 v69, null, v7, v117, s5
	s_waitcnt vmcnt(26) lgkmcnt(26)
	v_cmp_lt_i16_e64 s5, v209, v210
	s_clause 0x1
	flat_load_ushort v213, v[144:145]
	flat_load_ushort v214, v[68:69]
	v_cndmask_b32_e32 v66, v66, v67, vcc_lo
	v_cndmask_b32_e64 v68, v133, v86, s5
	v_cndmask_b32_e64 v71, v86, v133, s5
	v_bfe_i32 v114, v66, 0, 16
	v_bfe_i32 v69, v68, 0, 16
	v_ashrrev_i32_e32 v115, 31, v114
	v_ashrrev_i32_e32 v70, 31, v69
	v_lshlrev_b64 v[114:115], 1, v[114:115]
	v_lshlrev_b64 v[69:70], 1, v[69:70]
	v_add_co_u32 v69, vcc_lo, v6, v69
	v_add_co_ci_u32_e64 v70, null, v7, v70, vcc_lo
	v_add_co_u32 v114, vcc_lo, v6, v114
	v_add_co_ci_u32_e64 v115, null, v7, v115, vcc_lo
	s_waitcnt vmcnt(26) lgkmcnt(26)
	v_cmp_lt_i16_e32 vcc_lo, v211, v212
	s_clause 0x1
	flat_load_ushort v209, v[69:70]
	flat_load_ushort v210, v[114:115]
	v_bfe_i32 v114, v71, 0, 16
	v_bfe_i32 v69, v50, 0, 16
	v_cndmask_b32_e32 v67, v52, v51, vcc_lo
	v_cndmask_b32_e32 v51, v51, v52, vcc_lo
	v_ashrrev_i32_e32 v115, 31, v114
	v_ashrrev_i32_e32 v70, 31, v69
	v_bfe_i32 v53, v67, 0, 16
	v_lshlrev_b64 v[114:115], 1, v[114:115]
	v_lshlrev_b64 v[69:70], 1, v[69:70]
	v_ashrrev_i32_e32 v54, 31, v53
	v_lshlrev_b64 v[53:54], 1, v[53:54]
	v_add_co_u32 v53, s4, v6, v53
	v_add_co_ci_u32_e64 v54, null, v7, v54, s4
	v_add_co_u32 v114, s4, v6, v114
	v_add_co_ci_u32_e64 v115, null, v7, v115, s4
	s_clause 0x1
	flat_load_ushort v211, v[53:54]
	flat_load_ushort v212, v[114:115]
	v_add_co_u32 v69, s4, v6, v69
	v_add_co_ci_u32_e64 v70, null, v7, v70, s4
	s_waitcnt vmcnt(28) lgkmcnt(28)
	v_cmp_lt_i16_e64 s4, v132, v180
	s_waitcnt vmcnt(26) lgkmcnt(26)
	v_cmp_lt_i16_e64 s5, v181, v182
	;; [unrolled: 2-line block ×3, first 2 shown]
	v_cndmask_b32_e64 v86, v98, v81, s4
	s_waitcnt vmcnt(22) lgkmcnt(22)
	v_cmp_lt_i16_e64 s7, v162, v163
	v_cndmask_b32_e64 v114, v99, v82, s5
	s_waitcnt vmcnt(20) lgkmcnt(20)
	v_cmp_lt_i16_e64 s10, v164, v165
	;; [unrolled: 3-line block ×4, first 2 shown]
	v_cndmask_b32_e64 v81, v82, v99, s5
	v_bfe_i32 v82, v86, 0, 16
	v_cndmask_b32_e64 v116, v101, v84, s7
	v_cndmask_b32_e64 v99, v84, v101, s7
	v_bfe_i32 v101, v114, 0, 16
	v_cndmask_b32_e64 v117, v102, v85, s10
	v_cndmask_b32_e64 v119, v112, v96, s14
	s_waitcnt vmcnt(14) lgkmcnt(14)
	v_cmp_lt_i16_e64 s15, v178, v179
	v_cndmask_b32_e64 v98, v83, v100, s6
	v_cndmask_b32_e64 v100, v96, v112, s14
	v_bfe_i32 v112, v115, 0, 16
	v_cndmask_b32_e64 v118, v103, v87, s11
	v_ashrrev_i32_e32 v83, 31, v82
	v_bfe_i32 v132, v116, 0, 16
	v_cndmask_b32_e64 v85, v85, v102, s10
	v_ashrrev_i32_e32 v102, 31, v101
	v_bfe_i32 v134, v117, 0, 16
	v_cndmask_b32_e64 v54, v113, v97, s15
	v_cndmask_b32_e64 v97, v97, v113, s15
	v_ashrrev_i32_e32 v113, 31, v112
	v_bfe_i32 v144, v118, 0, 16
	v_lshlrev_b64 v[82:83], 1, v[82:83]
	v_ashrrev_i32_e32 v133, 31, v132
	v_bfe_i32 v146, v119, 0, 16
	v_lshlrev_b64 v[101:102], 1, v[101:102]
	;; [unrolled: 3-line block ×4, first 2 shown]
	v_add_co_u32 v82, s4, v6, v82
	v_ashrrev_i32_e32 v147, 31, v146
	v_bfe_i32 v162, v98, 0, 16
	v_lshlrev_b64 v[134:135], 1, v[134:135]
	v_add_co_ci_u32_e64 v83, null, v7, v83, s4
	v_add_co_u32 v101, s4, v6, v101
	v_cndmask_b32_e64 v87, v87, v103, s11
	v_ashrrev_i32_e32 v151, 31, v150
	v_bfe_i32 v164, v99, 0, 16
	v_lshlrev_b64 v[144:145], 1, v[144:145]
	v_add_co_ci_u32_e64 v102, null, v7, v102, s4
	v_add_co_u32 v112, s4, v6, v112
	v_ashrrev_i32_e32 v161, 31, v160
	v_bfe_i32 v166, v85, 0, 16
	v_lshlrev_b64 v[146:147], 1, v[146:147]
	v_add_co_ci_u32_e64 v113, null, v7, v113, s4
	v_add_co_u32 v132, s4, v6, v132
	;; [unrolled: 5-line block ×6, first 2 shown]
	v_ashrrev_i32_e32 v179, 31, v178
	v_lshlrev_b64 v[166:167], 1, v[166:167]
	v_add_co_ci_u32_e64 v151, null, v7, v151, s4
	v_add_co_u32 v160, s4, v6, v160
	v_ashrrev_i32_e32 v181, 31, v180
	v_lshlrev_b64 v[176:177], 1, v[176:177]
	v_add_co_ci_u32_e64 v161, null, v7, v161, s4
	v_add_co_u32 v162, s4, v6, v162
	;; [unrolled: 4-line block ×3, first 2 shown]
	v_lshlrev_b64 v[180:181], 1, v[180:181]
	v_add_co_ci_u32_e64 v165, null, v7, v165, s4
	v_add_co_u32 v166, s4, v6, v166
	v_lshlrev_b64 v[148:149], 1, v[148:149]
	v_add_co_ci_u32_e64 v167, null, v7, v167, s4
	v_add_co_u32 v176, s4, v6, v176
	v_add_co_ci_u32_e64 v177, null, v7, v177, s4
	v_add_co_u32 v178, s4, v6, v178
	;; [unrolled: 2-line block ×3, first 2 shown]
	v_add_co_ci_u32_e64 v181, null, v7, v181, s4
	s_clause 0xf
	flat_load_ushort v84, v[150:151]
	flat_load_ushort v96, v[69:70]
	;; [unrolled: 1-line block ×16, first 2 shown]
	v_add_co_u32 v69, s4, v6, v148
	v_add_co_ci_u32_e64 v70, null, v7, v149, s4
	s_waitcnt vmcnt(28) lgkmcnt(28)
	v_cmp_lt_i16_e64 s4, v193, v194
	s_waitcnt vmcnt(26) lgkmcnt(26)
	v_cmp_lt_i16_e64 s5, v195, v196
	;; [unrolled: 2-line block ×4, first 2 shown]
	v_cndmask_b32_e64 v103, v183, v55, s4
	v_cndmask_b32_e64 v112, v192, v128, s5
	;; [unrolled: 1-line block ×5, first 2 shown]
	v_bfe_i32 v82, v103, 0, 16
	v_bfe_i32 v101, v112, 0, 16
	;; [unrolled: 1-line block ×3, first 2 shown]
	v_cndmask_b32_e64 v128, v128, v192, s5
	s_waitcnt vmcnt(20) lgkmcnt(20)
	v_cmp_lt_i16_e64 s4, v213, v214
	v_ashrrev_i32_e32 v83, 31, v82
	v_bfe_i32 v146, v145, 0, 16
	v_cndmask_b32_e64 v129, v129, v80, s6
	v_ashrrev_i32_e32 v102, 31, v101
	v_bfe_i32 v148, v133, 0, 16
	v_cndmask_b32_e64 v130, v130, v131, s7
	v_ashrrev_i32_e32 v135, 31, v134
	v_bfe_i32 v150, v128, 0, 16
	v_lshlrev_b64 v[82:83], 1, v[82:83]
	v_cndmask_b32_e64 v131, v64, v65, s4
	v_ashrrev_i32_e32 v147, 31, v146
	v_bfe_i32 v160, v129, 0, 16
	v_lshlrev_b64 v[101:102], 1, v[101:102]
	v_ashrrev_i32_e32 v149, 31, v148
	v_bfe_i32 v162, v130, 0, 16
	v_lshlrev_b64 v[134:135], 1, v[134:135]
	v_ashrrev_i32_e32 v151, 31, v150
	v_bfe_i32 v164, v131, 0, 16
	v_lshlrev_b64 v[146:147], 1, v[146:147]
	v_add_co_u32 v82, s5, v6, v82
	v_ashrrev_i32_e32 v161, 31, v160
	v_lshlrev_b64 v[148:149], 1, v[148:149]
	v_add_co_ci_u32_e64 v83, null, v7, v83, s5
	v_add_co_u32 v101, s5, v6, v101
	v_ashrrev_i32_e32 v163, 31, v162
	v_lshlrev_b64 v[150:151], 1, v[150:151]
	v_add_co_ci_u32_e64 v102, null, v7, v102, s5
	;; [unrolled: 4-line block ×3, first 2 shown]
	v_add_co_u32 v146, s5, v6, v146
	v_lshlrev_b64 v[162:163], 1, v[162:163]
	v_add_co_ci_u32_e64 v147, null, v7, v147, s5
	v_add_co_u32 v148, s5, v6, v148
	v_lshlrev_b64 v[164:165], 1, v[164:165]
	v_add_co_ci_u32_e64 v149, null, v7, v149, s5
	v_add_co_u32 v150, s5, v6, v150
	v_add_co_ci_u32_e64 v151, null, v7, v151, s5
	v_add_co_u32 v160, s5, v6, v160
	;; [unrolled: 2-line block ×4, first 2 shown]
	v_add_co_ci_u32_e64 v165, null, v7, v165, s5
	s_waitcnt vmcnt(18) lgkmcnt(18)
	v_cmp_lt_i16_e64 s5, v209, v210
	s_clause 0x9
	flat_load_ushort v198, v[148:149]
	flat_load_ushort v199, v[69:70]
	;; [unrolled: 1-line block ×10, first 2 shown]
	v_cndmask_b32_e64 v80, v65, v64, s4
	v_cndmask_b32_e64 v69, v66, v68, s5
	;; [unrolled: 1-line block ×3, first 2 shown]
	v_bfe_i32 v82, v80, 0, 16
	v_bfe_i32 v64, v69, 0, 16
	v_ashrrev_i32_e32 v83, 31, v82
	v_ashrrev_i32_e32 v65, 31, v64
	v_lshlrev_b64 v[82:83], 1, v[82:83]
	v_lshlrev_b64 v[64:65], 1, v[64:65]
	v_add_co_u32 v64, s4, v6, v64
	v_add_co_ci_u32_e64 v65, null, v7, v65, s4
	v_add_co_u32 v82, s4, v6, v82
	v_add_co_ci_u32_e64 v83, null, v7, v83, s4
	s_waitcnt vmcnt(26) lgkmcnt(26)
	v_cmp_lt_i16_e64 s4, v211, v212
	s_clause 0x1
	flat_load_ushort v209, v[64:65]
	flat_load_ushort v210, v[82:83]
	v_bfe_i32 v82, v68, 0, 16
	v_cndmask_b32_e64 v70, v71, v67, s4
	v_cndmask_b32_e64 v52, v67, v71, s4
	v_ashrrev_i32_e32 v83, 31, v82
	v_bfe_i32 v64, v70, 0, 16
	v_bfe_i32 v66, v52, 0, 16
	v_lshlrev_b64 v[82:83], 1, v[82:83]
	v_ashrrev_i32_e32 v65, 31, v64
	v_ashrrev_i32_e32 v67, 31, v66
	v_lshlrev_b64 v[64:65], 1, v[64:65]
	v_lshlrev_b64 v[66:67], 1, v[66:67]
	v_add_co_u32 v64, s5, v6, v64
	v_add_co_ci_u32_e64 v65, null, v7, v65, s5
	v_add_co_u32 v82, s5, v6, v82
	v_add_co_ci_u32_e64 v83, null, v7, v83, s5
	s_clause 0x1
	flat_load_ushort v211, v[64:65]
	flat_load_ushort v212, v[82:83]
	v_bfe_i32 v64, v51, 0, 16
	v_ashrrev_i32_e32 v65, 31, v64
	v_lshlrev_b64 v[64:65], 1, v[64:65]
	v_add_co_u32 v64, vcc_lo, v6, v64
	v_add_co_ci_u32_e64 v65, null, v7, v65, vcc_lo
	v_add_co_u32 v66, vcc_lo, v6, v66
	v_add_co_ci_u32_e64 v67, null, v7, v67, vcc_lo
	s_clause 0x1
	flat_load_ushort v231, v[64:65]
	flat_load_ushort v240, v[66:67]
	s_waitcnt vmcnt(30) lgkmcnt(30)
	v_cmp_lt_i16_e64 s4, v84, v96
	s_waitcnt vmcnt(28) lgkmcnt(28)
	v_cmp_lt_i16_e32 vcc_lo, v182, v215
	s_waitcnt vmcnt(26) lgkmcnt(26)
	v_cmp_lt_i16_e64 s5, v224, v225
	v_cndmask_b32_e64 v64, v53, v50, s4
	s_waitcnt vmcnt(24) lgkmcnt(24)
	v_cmp_lt_i16_e64 s6, v226, v113
	v_cndmask_b32_e32 v65, v81, v86, vcc_lo
	s_waitcnt vmcnt(22) lgkmcnt(22)
	v_cmp_lt_i16_e64 s7, v166, v167
	v_cndmask_b32_e64 v66, v98, v114, s5
	s_waitcnt vmcnt(20) lgkmcnt(20)
	v_cmp_lt_i16_e64 s10, v176, v177
	v_bfe_i32 v113, v64, 0, 16
	v_cndmask_b32_e64 v67, v99, v115, s6
	s_waitcnt vmcnt(18) lgkmcnt(18)
	v_cmp_lt_i16_e64 s11, v178, v144
	v_cndmask_b32_e64 v96, v115, v99, s6
	v_bfe_i32 v115, v65, 0, 16
	v_cndmask_b32_e64 v71, v85, v116, s7
	v_cndmask_b32_e64 v82, v87, v117, s10
	s_waitcnt vmcnt(16) lgkmcnt(16)
	v_cmp_lt_i16_e64 s14, v179, v180
	v_cndmask_b32_e64 v99, v117, v87, s10
	v_bfe_i32 v117, v66, 0, 16
	v_cndmask_b32_e32 v84, v86, v81, vcc_lo
	v_cndmask_b32_e64 v86, v114, v98, s5
	v_ashrrev_i32_e32 v114, 31, v113
	v_bfe_i32 v134, v67, 0, 16
	v_cndmask_b32_e64 v83, v100, v118, s11
	v_cndmask_b32_e64 v98, v116, v85, s7
	v_ashrrev_i32_e32 v116, 31, v115
	v_bfe_i32 v146, v71, 0, 16
	v_cndmask_b32_e64 v55, v97, v119, s14
	v_cndmask_b32_e64 v100, v118, v100, s11
	v_ashrrev_i32_e32 v118, 31, v117
	v_bfe_i32 v148, v82, 0, 16
	v_lshlrev_b64 v[113:114], 1, v[113:114]
	v_bfe_i32 v162, v84, 0, 16
	v_ashrrev_i32_e32 v135, 31, v134
	v_bfe_i32 v150, v83, 0, 16
	v_lshlrev_b64 v[115:116], 1, v[115:116]
	v_bfe_i32 v164, v86, 0, 16
	;; [unrolled: 4-line block ×3, first 2 shown]
	v_ashrrev_i32_e32 v149, 31, v148
	v_ashrrev_i32_e32 v163, 31, v162
	v_lshlrev_b64 v[134:135], 1, v[134:135]
	v_add_co_u32 v192, vcc_lo, v6, v113
	v_bfe_i32 v176, v98, 0, 16
	v_ashrrev_i32_e32 v151, 31, v150
	v_cndmask_b32_e64 v101, v119, v97, s14
	v_ashrrev_i32_e32 v165, 31, v164
	v_lshlrev_b64 v[146:147], 1, v[146:147]
	v_add_co_ci_u32_e64 v193, null, v7, v114, vcc_lo
	v_add_co_u32 v194, vcc_lo, v6, v115
	v_bfe_i32 v178, v99, 0, 16
	v_ashrrev_i32_e32 v161, 31, v160
	v_ashrrev_i32_e32 v167, 31, v166
	v_lshlrev_b64 v[148:149], 1, v[148:149]
	v_add_co_ci_u32_e64 v195, null, v7, v116, vcc_lo
	v_add_co_u32 v116, vcc_lo, v6, v117
	v_bfe_i32 v180, v100, 0, 16
	v_lshlrev_b64 v[162:163], 1, v[162:163]
	v_ashrrev_i32_e32 v177, 31, v176
	v_lshlrev_b64 v[150:151], 1, v[150:151]
	v_add_co_ci_u32_e64 v117, null, v7, v118, vcc_lo
	v_add_co_u32 v118, vcc_lo, v6, v134
	v_bfe_i32 v182, v101, 0, 16
	v_lshlrev_b64 v[164:165], 1, v[164:165]
	v_ashrrev_i32_e32 v179, 31, v178
	v_lshlrev_b64 v[160:161], 1, v[160:161]
	v_add_co_ci_u32_e64 v119, null, v7, v135, vcc_lo
	v_add_co_u32 v196, vcc_lo, v6, v146
	v_lshlrev_b64 v[166:167], 1, v[166:167]
	v_ashrrev_i32_e32 v181, 31, v180
	v_add_co_ci_u32_e64 v197, null, v7, v147, vcc_lo
	v_add_co_u32 v147, vcc_lo, v6, v148
	v_lshlrev_b64 v[176:177], 1, v[176:177]
	v_add_co_u32 v162, s11, v6, v162
	v_ashrrev_i32_e32 v183, 31, v182
	v_add_co_ci_u32_e64 v148, null, v7, v149, vcc_lo
	v_add_co_u32 v149, vcc_lo, v6, v150
	v_lshlrev_b64 v[178:179], 1, v[178:179]
	v_add_co_ci_u32_e64 v163, null, v7, v163, s11
	v_add_co_u32 v164, s11, v6, v164
	v_add_co_ci_u32_e64 v150, null, v7, v151, vcc_lo
	v_add_co_u32 v160, vcc_lo, v6, v160
	v_lshlrev_b64 v[180:181], 1, v[180:181]
	v_add_co_ci_u32_e64 v165, null, v7, v165, s11
	v_add_co_u32 v166, s11, v6, v166
	v_add_co_ci_u32_e64 v161, null, v7, v161, vcc_lo
	s_waitcnt vmcnt(14) lgkmcnt(14)
	v_cmp_lt_i16_e32 vcc_lo, v198, v199
	v_lshlrev_b64 v[182:183], 1, v[182:183]
	v_add_co_ci_u32_e64 v167, null, v7, v167, s11
	v_add_co_u32 v176, s11, v6, v176
	s_waitcnt vmcnt(12) lgkmcnt(12)
	v_cmp_lt_i16_e64 s5, v208, v213
	v_add_co_ci_u32_e64 v177, null, v7, v177, s11
	v_add_co_u32 v178, s11, v6, v178
	s_waitcnt vmcnt(10) lgkmcnt(10)
	v_cmp_lt_i16_e64 s6, v214, v102
	v_cndmask_b32_e32 v85, v133, v54, vcc_lo
	s_waitcnt vmcnt(8) lgkmcnt(8)
	v_cmp_lt_i16_e64 s7, v227, v228
	v_add_co_ci_u32_e64 v179, null, v7, v179, s11
	v_add_co_u32 v180, s11, v6, v180
	v_cndmask_b32_e64 v87, v128, v103, s5
	v_add_co_ci_u32_e64 v181, null, v7, v181, s11
	v_add_co_u32 v182, s11, v6, v182
	s_waitcnt vmcnt(6) lgkmcnt(6)
	v_cmp_lt_i16_e64 s10, v229, v230
	v_cndmask_b32_e64 v102, v129, v112, s6
	v_add_co_ci_u32_e64 v183, null, v7, v183, s11
	v_cndmask_b32_e64 v113, v130, v132, s7
	v_cndmask_b32_e64 v134, v103, v128, s5
	;; [unrolled: 1-line block ×4, first 2 shown]
	s_clause 0xd
	flat_load_ushort v97, v[162:163]
	flat_load_ushort v103, v[192:193]
	;; [unrolled: 1-line block ×14, first 2 shown]
	v_bfe_i32 v116, v85, 0, 16
	v_bfe_i32 v118, v87, 0, 16
	v_cndmask_b32_e64 v115, v131, v145, s10
	v_bfe_i32 v128, v102, 0, 16
	v_cndmask_b32_e32 v133, v54, v133, vcc_lo
	v_ashrrev_i32_e32 v117, 31, v116
	v_bfe_i32 v130, v113, 0, 16
	v_ashrrev_i32_e32 v119, 31, v118
	v_bfe_i32 v147, v115, 0, 16
	v_ashrrev_i32_e32 v129, 31, v128
	s_waitcnt vmcnt(18) lgkmcnt(18)
	v_cmp_lt_i16_e32 vcc_lo, v209, v210
	v_bfe_i32 v149, v133, 0, 16
	v_lshlrev_b64 v[116:117], 1, v[116:117]
	v_cndmask_b32_e64 v145, v145, v131, s10
	v_ashrrev_i32_e32 v131, 31, v130
	v_bfe_i32 v162, v134, 0, 16
	v_lshlrev_b64 v[118:119], 1, v[118:119]
	v_ashrrev_i32_e32 v148, 31, v147
	v_bfe_i32 v164, v135, 0, 16
	v_lshlrev_b64 v[128:129], 1, v[128:129]
	v_cndmask_b32_e32 v146, v80, v69, vcc_lo
	v_ashrrev_i32_e32 v150, 31, v149
	v_bfe_i32 v166, v144, 0, 16
	v_lshlrev_b64 v[130:131], 1, v[130:131]
	v_add_co_u32 v116, s5, v6, v116
	v_ashrrev_i32_e32 v163, 31, v162
	v_bfe_i32 v176, v145, 0, 16
	v_lshlrev_b64 v[147:148], 1, v[147:148]
	v_add_co_ci_u32_e64 v117, null, v7, v117, s5
	v_add_co_u32 v118, s5, v6, v118
	v_ashrrev_i32_e32 v165, 31, v164
	v_bfe_i32 v178, v146, 0, 16
	v_lshlrev_b64 v[149:150], 1, v[149:150]
	v_add_co_ci_u32_e64 v119, null, v7, v119, s5
	v_add_co_u32 v128, s5, v6, v128
	v_ashrrev_i32_e32 v167, 31, v166
	v_lshlrev_b64 v[162:163], 1, v[162:163]
	v_add_co_ci_u32_e64 v129, null, v7, v129, s5
	v_add_co_u32 v130, s5, v6, v130
	v_ashrrev_i32_e32 v177, 31, v176
	v_lshlrev_b64 v[164:165], 1, v[164:165]
	v_add_co_ci_u32_e64 v131, null, v7, v131, s5
	v_add_co_u32 v147, s5, v6, v147
	v_ashrrev_i32_e32 v179, 31, v178
	v_lshlrev_b64 v[166:167], 1, v[166:167]
	v_add_co_ci_u32_e64 v148, null, v7, v148, s5
	v_add_co_u32 v149, s5, v6, v149
	v_lshlrev_b64 v[176:177], 1, v[176:177]
	v_add_co_ci_u32_e64 v150, null, v7, v150, s5
	v_add_co_u32 v162, s5, v6, v162
	;; [unrolled: 3-line block ×3, first 2 shown]
	v_add_co_ci_u32_e64 v165, null, v7, v165, s5
	v_add_co_u32 v166, s5, v6, v166
	v_add_co_ci_u32_e64 v167, null, v7, v167, s5
	v_add_co_u32 v176, s5, v6, v176
	;; [unrolled: 2-line block ×3, first 2 shown]
	v_add_co_ci_u32_e64 v179, null, v7, v179, s5
	s_waitcnt vmcnt(16) lgkmcnt(16)
	v_cmp_lt_i16_e64 s5, v211, v212
	v_cndmask_b32_e32 v69, v69, v80, vcc_lo
	s_clause 0xb
	flat_load_ushort v196, v[149:150]
	flat_load_ushort v197, v[160:161]
	;; [unrolled: 1-line block ×12, first 2 shown]
	v_cndmask_b32_e64 v50, v50, v53, s4
	v_cndmask_b32_e64 v81, v68, v70, s5
	v_bfe_i32 v118, v69, 0, 16
	v_cndmask_b32_e64 v68, v70, v68, s5
	v_bfe_i32 v53, v50, 0, 16
	v_bfe_i32 v116, v81, 0, 16
	v_ashrrev_i32_e32 v119, 31, v118
	v_ashrrev_i32_e32 v54, 31, v53
	;; [unrolled: 1-line block ×3, first 2 shown]
	v_lshlrev_b64 v[118:119], 1, v[118:119]
	v_lshlrev_b64 v[53:54], 1, v[53:54]
	;; [unrolled: 1-line block ×3, first 2 shown]
	v_add_co_u32 v147, s4, v6, v53
	v_add_co_u32 v116, vcc_lo, v6, v116
	v_add_co_ci_u32_e64 v117, null, v7, v117, vcc_lo
	v_add_co_u32 v118, vcc_lo, v6, v118
	v_add_co_ci_u32_e64 v119, null, v7, v119, vcc_lo
	s_waitcnt vmcnt(26) lgkmcnt(26)
	v_cmp_lt_i16_e32 vcc_lo, v231, v240
	s_clause 0x1
	flat_load_ushort v211, v[116:117]
	flat_load_ushort v212, v[118:119]
	v_bfe_i32 v118, v68, 0, 16
	v_add_co_ci_u32_e64 v148, null, v7, v54, s4
	v_cndmask_b32_e32 v80, v52, v51, vcc_lo
	v_cndmask_b32_e32 v51, v51, v52, vcc_lo
	v_ashrrev_i32_e32 v119, 31, v118
	v_bfe_i32 v116, v80, 0, 16
	v_lshlrev_b64 v[118:119], 1, v[118:119]
	v_ashrrev_i32_e32 v117, 31, v116
	v_lshlrev_b64 v[116:117], 1, v[116:117]
	v_add_co_u32 v116, s5, v6, v116
	v_add_co_ci_u32_e64 v117, null, v7, v117, s5
	v_add_co_u32 v118, s5, v6, v118
	v_add_co_ci_u32_e64 v119, null, v7, v119, s5
	s_clause 0x1
	flat_load_ushort v226, v[116:117]
	flat_load_ushort v227, v[118:119]
	s_waitcnt vmcnt(26) lgkmcnt(26)
	v_cmp_lt_i16_e64 s5, v112, v114
	s_waitcnt vmcnt(24) lgkmcnt(24)
	v_cmp_lt_i16_e64 s6, v132, v151
	;; [unrolled: 2-line block ×3, first 2 shown]
	v_cndmask_b32_e64 v119, v65, v86, s5
	s_waitcnt vmcnt(20) lgkmcnt(20)
	v_cmp_lt_i16_e64 s10, v194, v195
	v_cndmask_b32_e64 v114, v96, v66, s6
	s_waitcnt vmcnt(18) lgkmcnt(18)
	v_cmp_lt_i16_e64 s11, v180, v181
	v_cmp_lt_i16_e64 s4, v97, v103
	v_cndmask_b32_e64 v103, v86, v65, s5
	v_cndmask_b32_e64 v116, v98, v67, s7
	s_waitcnt vmcnt(16) lgkmcnt(16)
	v_cmp_lt_i16_e64 s14, v182, v183
	v_cndmask_b32_e64 v128, v66, v96, s6
	v_cndmask_b32_e64 v97, v84, v64, s4
	;; [unrolled: 1-line block ×3, first 2 shown]
	v_bfe_i32 v66, v103, 0, 16
	v_cndmask_b32_e64 v117, v99, v71, s10
	v_bfe_i32 v70, v114, 0, 16
	v_bfe_i32 v64, v97, 0, 16
	v_cndmask_b32_e64 v118, v100, v82, s11
	v_cndmask_b32_e64 v131, v82, v100, s11
	v_bfe_i32 v82, v116, 0, 16
	v_cndmask_b32_e64 v54, v101, v83, s14
	v_ashrrev_i32_e32 v65, 31, v64
	v_cndmask_b32_e64 v129, v67, v98, s7
	v_ashrrev_i32_e32 v67, 31, v66
	v_bfe_i32 v98, v117, 0, 16
	v_cndmask_b32_e64 v130, v71, v99, s10
	v_ashrrev_i32_e32 v71, 31, v70
	v_bfe_i32 v100, v118, 0, 16
	v_lshlrev_b64 v[64:65], 1, v[64:65]
	v_cndmask_b32_e64 v132, v83, v101, s14
	v_ashrrev_i32_e32 v83, 31, v82
	v_bfe_i32 v149, v54, 0, 16
	v_bfe_i32 v160, v53, 0, 16
	v_lshlrev_b64 v[66:67], 1, v[66:67]
	v_ashrrev_i32_e32 v99, 31, v98
	v_bfe_i32 v162, v119, 0, 16
	v_lshlrev_b64 v[70:71], 1, v[70:71]
	v_ashrrev_i32_e32 v101, 31, v100
	v_bfe_i32 v164, v128, 0, 16
	v_lshlrev_b64 v[82:83], 1, v[82:83]
	v_add_co_u32 v64, s4, v6, v64
	v_ashrrev_i32_e32 v150, 31, v149
	v_ashrrev_i32_e32 v161, 31, v160
	v_bfe_i32 v166, v129, 0, 16
	v_lshlrev_b64 v[98:99], 1, v[98:99]
	v_add_co_ci_u32_e64 v65, null, v7, v65, s4
	v_add_co_u32 v66, s4, v6, v66
	v_ashrrev_i32_e32 v163, 31, v162
	v_bfe_i32 v176, v130, 0, 16
	v_lshlrev_b64 v[100:101], 1, v[100:101]
	v_add_co_ci_u32_e64 v67, null, v7, v67, s4
	v_add_co_u32 v70, s4, v6, v70
	v_ashrrev_i32_e32 v165, 31, v164
	v_bfe_i32 v178, v131, 0, 16
	v_lshlrev_b64 v[149:150], 1, v[149:150]
	v_lshlrev_b64 v[160:161], 1, v[160:161]
	v_add_co_ci_u32_e64 v71, null, v7, v71, s4
	v_add_co_u32 v182, s4, v6, v82
	v_ashrrev_i32_e32 v167, 31, v166
	v_bfe_i32 v180, v132, 0, 16
	v_lshlrev_b64 v[162:163], 1, v[162:163]
	v_add_co_ci_u32_e64 v183, null, v7, v83, s4
	v_add_co_u32 v98, s4, v6, v98
	v_ashrrev_i32_e32 v177, 31, v176
	v_lshlrev_b64 v[164:165], 1, v[164:165]
	v_add_co_ci_u32_e64 v99, null, v7, v99, s4
	v_add_co_u32 v100, s4, v6, v100
	v_ashrrev_i32_e32 v179, 31, v178
	v_lshlrev_b64 v[166:167], 1, v[166:167]
	v_add_co_ci_u32_e64 v101, null, v7, v101, s4
	v_add_co_u32 v149, s4, v6, v149
	v_add_co_u32 v160, s14, v6, v160
	v_ashrrev_i32_e32 v181, 31, v180
	v_lshlrev_b64 v[176:177], 1, v[176:177]
	v_add_co_ci_u32_e64 v150, null, v7, v150, s4
	s_waitcnt vmcnt(14) lgkmcnt(14)
	v_cmp_lt_i16_e64 s4, v196, v197
	v_add_co_ci_u32_e64 v161, null, v7, v161, s14
	v_add_co_u32 v162, s14, v6, v162
	v_lshlrev_b64 v[178:179], 1, v[178:179]
	s_waitcnt vmcnt(12) lgkmcnt(12)
	v_cmp_lt_i16_e64 s5, v198, v199
	v_add_co_ci_u32_e64 v163, null, v7, v163, s14
	v_add_co_u32 v164, s14, v6, v164
	v_lshlrev_b64 v[180:181], 1, v[180:181]
	s_waitcnt vmcnt(10) lgkmcnt(10)
	v_cmp_lt_i16_e64 s6, v208, v209
	v_add_co_ci_u32_e64 v165, null, v7, v165, s14
	v_add_co_u32 v166, s14, v6, v166
	v_cndmask_b32_e64 v82, v133, v55, s4
	s_waitcnt vmcnt(8) lgkmcnt(8)
	v_cmp_lt_i16_e64 s7, v210, v213
	v_add_co_ci_u32_e64 v167, null, v7, v167, s14
	v_add_co_u32 v176, s14, v6, v176
	v_cndmask_b32_e64 v83, v134, v85, s5
	;; [unrolled: 5-line block ×3, first 2 shown]
	v_cndmask_b32_e64 v86, v144, v102, s7
	v_cmp_lt_i16_e64 s10, v214, v215
	v_add_co_ci_u32_e64 v179, null, v7, v179, s14
	v_add_co_u32 v180, s14, v6, v180
	v_cndmask_b32_e64 v133, v55, v133, s4
	v_cndmask_b32_e64 v134, v85, v134, s5
	;; [unrolled: 1-line block ×4, first 2 shown]
	s_clause 0x3
	flat_load_ushort v55, v[160:161]
	flat_load_ushort v85, v[147:148]
	;; [unrolled: 1-line block ×4, first 2 shown]
	v_bfe_i32 v64, v82, 0, 16
	v_add_co_ci_u32_e64 v181, null, v7, v181, s14
	s_clause 0x9
	flat_load_ushort v148, v[164:165]
	flat_load_ushort v151, v[66:67]
	;; [unrolled: 1-line block ×10, first 2 shown]
	v_bfe_i32 v66, v83, 0, 16
	v_cndmask_b32_e64 v112, v115, v146, s11
	v_bfe_i32 v70, v84, 0, 16
	v_cndmask_b32_e64 v96, v145, v113, s10
	v_ashrrev_i32_e32 v65, 31, v64
	v_bfe_i32 v98, v86, 0, 16
	v_ashrrev_i32_e32 v67, 31, v66
	v_bfe_i32 v100, v112, 0, 16
	v_ashrrev_i32_e32 v71, 31, v70
	v_cndmask_b32_e64 v145, v113, v145, s10
	v_cndmask_b32_e64 v113, v146, v115, s11
	v_bfe_i32 v146, v96, 0, 16
	v_lshlrev_b64 v[64:65], 1, v[64:65]
	v_ashrrev_i32_e32 v99, 31, v98
	s_waitcnt vmcnt(16) lgkmcnt(16)
	v_cmp_lt_i16_e64 s4, v211, v212
	v_bfe_i32 v160, v133, 0, 16
	v_lshlrev_b64 v[66:67], 1, v[66:67]
	v_ashrrev_i32_e32 v101, 31, v100
	v_bfe_i32 v162, v134, 0, 16
	v_lshlrev_b64 v[70:71], 1, v[70:71]
	v_ashrrev_i32_e32 v147, 31, v146
	v_bfe_i32 v164, v135, 0, 16
	v_lshlrev_b64 v[98:99], 1, v[98:99]
	v_add_co_u32 v64, s5, v6, v64
	v_cndmask_b32_e64 v115, v69, v81, s4
	v_ashrrev_i32_e32 v161, 31, v160
	v_bfe_i32 v166, v144, 0, 16
	v_lshlrev_b64 v[100:101], 1, v[100:101]
	v_add_co_ci_u32_e64 v65, null, v7, v65, s5
	v_add_co_u32 v66, s5, v6, v66
	v_ashrrev_i32_e32 v163, 31, v162
	v_bfe_i32 v176, v145, 0, 16
	v_lshlrev_b64 v[146:147], 1, v[146:147]
	v_add_co_ci_u32_e64 v67, null, v7, v67, s5
	v_add_co_u32 v70, s5, v6, v70
	v_ashrrev_i32_e32 v165, 31, v164
	v_bfe_i32 v178, v115, 0, 16
	v_lshlrev_b64 v[160:161], 1, v[160:161]
	v_add_co_ci_u32_e64 v71, null, v7, v71, s5
	v_add_co_u32 v98, s5, v6, v98
	v_ashrrev_i32_e32 v167, 31, v166
	v_bfe_i32 v180, v113, 0, 16
	v_lshlrev_b64 v[162:163], 1, v[162:163]
	v_add_co_ci_u32_e64 v99, null, v7, v99, s5
	v_add_co_u32 v100, s5, v6, v100
	v_ashrrev_i32_e32 v177, 31, v176
	v_lshlrev_b64 v[164:165], 1, v[164:165]
	v_add_co_ci_u32_e64 v101, null, v7, v101, s5
	v_add_co_u32 v146, s5, v6, v146
	v_ashrrev_i32_e32 v179, 31, v178
	v_lshlrev_b64 v[166:167], 1, v[166:167]
	v_add_co_ci_u32_e64 v147, null, v7, v147, s5
	v_add_co_u32 v160, s5, v6, v160
	;; [unrolled: 4-line block ×3, first 2 shown]
	v_lshlrev_b64 v[178:179], 1, v[178:179]
	v_add_co_ci_u32_e64 v163, null, v7, v163, s5
	v_add_co_u32 v164, s5, v6, v164
	v_lshlrev_b64 v[180:181], 1, v[180:181]
	v_add_co_ci_u32_e64 v165, null, v7, v165, s5
	v_add_co_u32 v166, s5, v6, v166
	v_add_co_ci_u32_e64 v167, null, v7, v167, s5
	v_add_co_u32 v176, s5, v6, v176
	;; [unrolled: 2-line block ×4, first 2 shown]
	v_add_co_ci_u32_e64 v181, null, v7, v181, s5
	s_waitcnt vmcnt(14) lgkmcnt(14)
	v_cmp_lt_i16_e64 s5, v226, v227
	s_clause 0xd
	flat_load_ushort v198, v[160:161]
	flat_load_ushort v199, v[149:150]
	;; [unrolled: 1-line block ×14, first 2 shown]
	v_cndmask_b32_e64 v67, v81, v69, s4
	v_cndmask_b32_e64 v65, v68, v80, s5
	;; [unrolled: 1-line block ×3, first 2 shown]
	v_bfe_i32 v98, v67, 0, 16
	v_bfe_i32 v68, v51, 0, 16
	;; [unrolled: 1-line block ×3, first 2 shown]
	v_ashrrev_i32_e32 v99, 31, v98
	v_ashrrev_i32_e32 v70, 31, v69
	v_lshlrev_b64 v[98:99], 1, v[98:99]
	v_lshlrev_b64 v[69:70], 1, v[69:70]
	v_add_co_u32 v69, s4, v6, v69
	v_add_co_ci_u32_e64 v70, null, v7, v70, s4
	v_add_co_u32 v98, s4, v6, v98
	v_add_co_ci_u32_e64 v99, null, v7, v99, s4
	s_clause 0x1
	flat_load_ushort v226, v[69:70]
	flat_load_ushort v227, v[98:99]
	v_bfe_i32 v70, v52, 0, 16
	v_ashrrev_i32_e32 v69, 31, v68
	v_ashrrev_i32_e32 v71, 31, v70
	v_lshlrev_b64 v[68:69], 1, v[68:69]
	v_lshlrev_b64 v[70:71], 1, v[70:71]
	v_add_co_u32 v68, vcc_lo, v6, v68
	v_add_co_ci_u32_e64 v69, null, v7, v69, vcc_lo
	v_add_co_u32 v70, vcc_lo, v6, v70
	v_add_co_ci_u32_e64 v71, null, v7, v71, vcc_lo
	s_clause 0x1
	flat_load_ushort v146, v[68:69]
	flat_load_ushort v230, v[70:71]
	s_waitcnt vmcnt(26) lgkmcnt(26)
	v_cmp_lt_i16_e64 s5, v148, v151
	v_cmp_lt_i16_e64 s4, v55, v85
	s_waitcnt vmcnt(24) lgkmcnt(24)
	v_cmp_lt_i16_e64 s6, v192, v193
	v_cmp_lt_i16_e32 vcc_lo, v87, v102
	s_waitcnt vmcnt(22) lgkmcnt(22)
	v_cmp_lt_i16_e64 s7, v194, v182
	v_cndmask_b32_e64 v68, v128, v103, s5
	v_cndmask_b32_e64 v64, v53, v50, s4
	s_waitcnt vmcnt(18) lgkmcnt(18)
	v_cmp_lt_i16_e64 s11, v196, v197
	v_cndmask_b32_e32 v66, v119, v97, vcc_lo
	v_cmp_lt_i16_e64 s10, v183, v195
	v_cndmask_b32_e64 v69, v129, v114, s6
	v_bfe_i32 v80, v64, 0, 16
	v_cndmask_b32_e64 v70, v130, v116, s7
	v_cndmask_b32_e64 v101, v116, v130, s7
	v_bfe_i32 v116, v66, 0, 16
	v_cndmask_b32_e64 v55, v132, v118, s11
	v_cndmask_b32_e64 v99, v103, v128, s5
	;; [unrolled: 1-line block ×3, first 2 shown]
	v_bfe_i32 v118, v68, 0, 16
	v_cndmask_b32_e64 v71, v131, v117, s10
	v_ashrrev_i32_e32 v81, 31, v80
	v_bfe_i32 v128, v69, 0, 16
	v_cndmask_b32_e64 v102, v117, v131, s10
	v_ashrrev_i32_e32 v117, 31, v116
	v_bfe_i32 v130, v70, 0, 16
	v_cndmask_b32_e32 v98, v97, v119, vcc_lo
	v_ashrrev_i32_e32 v119, 31, v118
	v_bfe_i32 v147, v71, 0, 16
	v_lshlrev_b64 v[80:81], 1, v[80:81]
	v_cndmask_b32_e64 v100, v114, v129, s6
	v_ashrrev_i32_e32 v129, 31, v128
	v_bfe_i32 v149, v55, 0, 16
	v_lshlrev_b64 v[116:117], 1, v[116:117]
	v_ashrrev_i32_e32 v131, 31, v130
	v_lshlrev_b64 v[118:119], 1, v[118:119]
	v_ashrrev_i32_e32 v148, 31, v147
	v_lshlrev_b64 v[128:129], 1, v[128:129]
	v_add_co_u32 v180, vcc_lo, v6, v80
	v_ashrrev_i32_e32 v150, 31, v149
	v_lshlrev_b64 v[130:131], 1, v[130:131]
	v_add_co_ci_u32_e64 v181, null, v7, v81, vcc_lo
	v_add_co_u32 v182, vcc_lo, v6, v116
	v_lshlrev_b64 v[147:148], 1, v[147:148]
	v_add_co_ci_u32_e64 v183, null, v7, v117, vcc_lo
	v_add_co_u32 v192, vcc_lo, v6, v118
	v_bfe_i32 v160, v98, 0, 16
	v_lshlrev_b64 v[149:150], 1, v[149:150]
	v_add_co_ci_u32_e64 v193, null, v7, v119, vcc_lo
	v_add_co_u32 v194, vcc_lo, v6, v128
	v_bfe_i32 v162, v99, 0, 16
	v_add_co_ci_u32_e64 v195, null, v7, v129, vcc_lo
	v_add_co_u32 v196, vcc_lo, v6, v130
	v_bfe_i32 v164, v100, 0, 16
	v_add_co_ci_u32_e64 v197, null, v7, v131, vcc_lo
	v_add_co_u32 v147, vcc_lo, v6, v147
	v_ashrrev_i32_e32 v161, 31, v160
	v_bfe_i32 v166, v101, 0, 16
	v_add_co_ci_u32_e64 v148, null, v7, v148, vcc_lo
	v_add_co_u32 v149, vcc_lo, v6, v149
	v_ashrrev_i32_e32 v163, 31, v162
	v_bfe_i32 v176, v102, 0, 16
	v_add_co_ci_u32_e64 v150, null, v7, v150, vcc_lo
	v_ashrrev_i32_e32 v165, 31, v164
	v_bfe_i32 v178, v103, 0, 16
	v_lshlrev_b64 v[160:161], 1, v[160:161]
	v_ashrrev_i32_e32 v167, 31, v166
	v_lshlrev_b64 v[162:163], 1, v[162:163]
	v_ashrrev_i32_e32 v177, 31, v176
	;; [unrolled: 2-line block ×3, first 2 shown]
	v_lshlrev_b64 v[166:167], 1, v[166:167]
	v_add_co_u32 v160, s15, v6, v160
	v_lshlrev_b64 v[176:177], 1, v[176:177]
	v_add_co_ci_u32_e64 v161, null, v7, v161, s15
	v_add_co_u32 v162, s15, v6, v162
	v_lshlrev_b64 v[178:179], 1, v[178:179]
	s_waitcnt vmcnt(16) lgkmcnt(16)
	v_cmp_lt_i16_e32 vcc_lo, v198, v199
	v_add_co_ci_u32_e64 v163, null, v7, v163, s15
	s_waitcnt vmcnt(14) lgkmcnt(14)
	v_cmp_lt_i16_e64 s5, v208, v209
	s_waitcnt vmcnt(12) lgkmcnt(12)
	v_cmp_lt_i16_e64 s6, v210, v211
	v_cndmask_b32_e32 v80, v133, v54, vcc_lo
	s_waitcnt vmcnt(10) lgkmcnt(10)
	v_cmp_lt_i16_e64 s7, v212, v213
	v_add_co_u32 v164, s15, v6, v164
	v_cndmask_b32_e64 v81, v134, v82, s5
	s_waitcnt vmcnt(6) lgkmcnt(6)
	v_cmp_lt_i16_e64 s11, v224, v225
	v_cmp_lt_i16_e64 s10, v214, v215
	v_cndmask_b32_e64 v85, v135, v83, s6
	s_waitcnt vmcnt(4) lgkmcnt(4)
	v_cmp_lt_i16_e64 s14, v228, v229
	v_cndmask_b32_e64 v129, v82, v134, s5
	v_bfe_i32 v82, v80, 0, 16
	v_cndmask_b32_e64 v87, v144, v84, s7
	v_cndmask_b32_e64 v118, v112, v96, s11
	v_cndmask_b32_e64 v134, v96, v112, s11
	v_bfe_i32 v96, v81, 0, 16
	v_cndmask_b32_e64 v117, v145, v86, s10
	v_add_co_ci_u32_e64 v165, null, v7, v165, s15
	v_add_co_u32 v166, s15, v6, v166
	v_bfe_i32 v112, v85, 0, 16
	v_cndmask_b32_e64 v119, v113, v115, s14
	v_cndmask_b32_e64 v130, v83, v135, s6
	v_ashrrev_i32_e32 v83, 31, v82
	v_add_co_ci_u32_e64 v167, null, v7, v167, s15
	v_add_co_u32 v176, s15, v6, v176
	v_bfe_i32 v114, v87, 0, 16
	v_ashrrev_i32_e32 v97, 31, v96
	v_add_co_ci_u32_e64 v177, null, v7, v177, s15
	v_add_co_u32 v178, s15, v6, v178
	v_cndmask_b32_e64 v132, v84, v144, s7
	v_bfe_i32 v144, v117, 0, 16
	v_cndmask_b32_e32 v128, v54, v133, vcc_lo
	v_cndmask_b32_e64 v131, v115, v113, s14
	v_ashrrev_i32_e32 v113, 31, v112
	v_add_co_ci_u32_e64 v179, null, v7, v179, s15
	v_cndmask_b32_e64 v133, v86, v145, s10
	s_clause 0xb
	flat_load_ushort v84, v[160:161]
	flat_load_ushort v86, v[180:181]
	;; [unrolled: 1-line block ×12, first 2 shown]
	v_bfe_i32 v147, v119, 0, 16
	v_lshlrev_b64 v[82:83], 1, v[82:83]
	v_ashrrev_i32_e32 v115, 31, v114
	v_bfe_i32 v160, v118, 0, 16
	v_lshlrev_b64 v[96:97], 1, v[96:97]
	v_ashrrev_i32_e32 v145, 31, v144
	;; [unrolled: 3-line block ×3, first 2 shown]
	s_waitcnt vmcnt(14) lgkmcnt(14)
	v_cmp_lt_i16_e64 s5, v226, v227
	v_bfe_i32 v164, v129, 0, 16
	v_lshlrev_b64 v[114:115], 1, v[114:115]
	v_add_co_u32 v82, vcc_lo, v6, v82
	v_ashrrev_i32_e32 v161, 31, v160
	v_bfe_i32 v166, v130, 0, 16
	v_lshlrev_b64 v[144:145], 1, v[144:145]
	v_add_co_ci_u32_e64 v83, null, v7, v83, vcc_lo
	v_add_co_u32 v96, vcc_lo, v6, v96
	v_ashrrev_i32_e32 v163, 31, v162
	v_bfe_i32 v176, v132, 0, 16
	v_lshlrev_b64 v[147:148], 1, v[147:148]
	v_add_co_ci_u32_e64 v97, null, v7, v97, vcc_lo
	v_add_co_u32 v112, vcc_lo, v6, v112
	v_cndmask_b32_e64 v135, v67, v65, s5
	v_ashrrev_i32_e32 v165, 31, v164
	v_bfe_i32 v178, v133, 0, 16
	v_lshlrev_b64 v[160:161], 1, v[160:161]
	v_add_co_ci_u32_e64 v113, null, v7, v113, vcc_lo
	v_add_co_u32 v114, vcc_lo, v6, v114
	v_ashrrev_i32_e32 v167, 31, v166
	v_bfe_i32 v180, v134, 0, 16
	v_lshlrev_b64 v[162:163], 1, v[162:163]
	v_add_co_ci_u32_e64 v115, null, v7, v115, vcc_lo
	v_add_co_u32 v144, vcc_lo, v6, v144
	;; [unrolled: 5-line block ×4, first 2 shown]
	v_ashrrev_i32_e32 v181, 31, v180
	v_lshlrev_b64 v[176:177], 1, v[176:177]
	v_add_co_ci_u32_e64 v161, null, v7, v161, vcc_lo
	v_add_co_u32 v162, vcc_lo, v6, v162
	v_ashrrev_i32_e32 v183, 31, v182
	v_lshlrev_b64 v[178:179], 1, v[178:179]
	v_add_co_ci_u32_e64 v163, null, v7, v163, vcc_lo
	v_add_co_u32 v164, vcc_lo, v6, v164
	;; [unrolled: 4-line block ×3, first 2 shown]
	v_lshlrev_b64 v[182:183], 1, v[182:183]
	v_add_co_ci_u32_e64 v167, null, v7, v167, vcc_lo
	v_add_co_u32 v176, vcc_lo, v6, v176
	v_lshlrev_b64 v[192:193], 1, v[192:193]
	v_add_co_ci_u32_e64 v177, null, v7, v177, vcc_lo
	v_add_co_u32 v178, vcc_lo, v6, v178
	v_add_co_ci_u32_e64 v179, null, v7, v179, vcc_lo
	v_add_co_u32 v180, vcc_lo, v6, v180
	;; [unrolled: 2-line block ×4, first 2 shown]
	v_add_co_ci_u32_e64 v193, null, v7, v193, vcc_lo
	s_waitcnt vmcnt(12) lgkmcnt(12)
	v_cmp_lt_i16_e32 vcc_lo, v146, v230
	v_cndmask_b32_e64 v65, v65, v67, s5
	s_clause 0xf
	flat_load_ushort v210, v[162:163]
	flat_load_ushort v211, v[149:150]
	flat_load_ushort v212, v[164:165]
	flat_load_ushort v213, v[82:83]
	flat_load_ushort v214, v[166:167]
	flat_load_ushort v215, v[96:97]
	flat_load_ushort v224, v[176:177]
	flat_load_ushort v225, v[112:113]
	flat_load_ushort v226, v[178:179]
	flat_load_ushort v227, v[114:115]
	flat_load_ushort v228, v[180:181]
	flat_load_ushort v229, v[144:145]
	flat_load_ushort v231, v[147:148]
	flat_load_ushort v240, v[160:161]
	flat_load_ushort v241, v[182:183]
	flat_load_ushort v242, v[192:193]
	v_cndmask_b32_e64 v50, v50, v53, s4
	v_cndmask_b32_e32 v54, v52, v51, vcc_lo
	v_bfe_i32 v96, v65, 0, 16
	v_cndmask_b32_e32 v51, v51, v52, vcc_lo
	v_bfe_i32 v82, v54, 0, 16
	v_ashrrev_i32_e32 v97, 31, v96
	v_ashrrev_i32_e32 v83, 31, v82
	v_lshlrev_b64 v[96:97], 1, v[96:97]
	v_lshlrev_b64 v[82:83], 1, v[82:83]
	v_add_co_u32 v82, s5, v6, v82
	v_add_co_ci_u32_e64 v83, null, v7, v83, s5
	v_add_co_u32 v96, s5, v6, v96
	v_add_co_ci_u32_e64 v97, null, v7, v97, s5
	s_clause 0x1
	flat_load_ushort v230, v[82:83]
	flat_load_ushort v243, v[96:97]
	v_bfe_i32 v82, v50, 0, 16
	v_ashrrev_i32_e32 v83, 31, v82
	v_lshlrev_b64 v[82:83], 1, v[82:83]
	v_add_co_u32 v144, s4, v6, v82
	v_add_co_ci_u32_e64 v145, null, v7, v83, s4
	s_waitcnt vmcnt(24) lgkmcnt(24)
	v_cmp_lt_i16_e64 s6, v198, v199
	s_waitcnt vmcnt(22) lgkmcnt(22)
	v_cmp_lt_i16_e64 s7, v208, v194
	v_cmp_lt_i16_e64 s4, v84, v86
	s_waitcnt vmcnt(20) lgkmcnt(20)
	v_cmp_lt_i16_e64 s10, v195, v196
	v_cmp_lt_i16_e64 s5, v116, v151
	v_cndmask_b32_e64 v83, v100, v68, s6
	s_waitcnt vmcnt(18) lgkmcnt(18)
	v_cmp_lt_i16_e64 s11, v197, v209
	v_cndmask_b32_e64 v67, v98, v64, s4
	v_cndmask_b32_e64 v53, v64, v98, s4
	;; [unrolled: 1-line block ×5, first 2 shown]
	v_bfe_i32 v98, v67, 0, 16
	v_cndmask_b32_e64 v86, v102, v70, s10
	v_bfe_i32 v100, v82, 0, 16
	v_cndmask_b32_e64 v70, v70, v102, s10
	;; [unrolled: 2-line block ×3, first 2 shown]
	v_cndmask_b32_e64 v96, v66, v99, s5
	v_ashrrev_i32_e32 v99, 31, v98
	v_bfe_i32 v112, v84, 0, 16
	v_cndmask_b32_e64 v69, v69, v101, s7
	v_ashrrev_i32_e32 v101, 31, v100
	v_bfe_i32 v114, v86, 0, 16
	v_cndmask_b32_e64 v71, v71, v103, s11
	v_ashrrev_i32_e32 v103, 31, v102
	v_bfe_i32 v146, v97, 0, 16
	v_lshlrev_b64 v[98:99], 1, v[98:99]
	v_ashrrev_i32_e32 v113, 31, v112
	v_lshlrev_b64 v[100:101], 1, v[100:101]
	v_ashrrev_i32_e32 v115, 31, v114
	;; [unrolled: 2-line block ×3, first 2 shown]
	v_lshlrev_b64 v[112:113], 1, v[112:113]
	v_add_co_u32 v176, s4, v6, v98
	v_lshlrev_b64 v[114:115], 1, v[114:115]
	v_add_co_ci_u32_e64 v177, null, v7, v99, s4
	v_add_co_u32 v178, s4, v6, v100
	v_lshlrev_b64 v[146:147], 1, v[146:147]
	v_add_co_ci_u32_e64 v179, null, v7, v101, s4
	v_add_co_u32 v180, s4, v6, v102
	v_bfe_i32 v148, v53, 0, 16
	v_add_co_ci_u32_e64 v181, null, v7, v103, s4
	v_add_co_u32 v182, s4, v6, v112
	v_bfe_i32 v150, v96, 0, 16
	;; [unrolled: 3-line block ×3, first 2 shown]
	v_ashrrev_i32_e32 v149, 31, v148
	v_add_co_ci_u32_e64 v193, null, v7, v115, s4
	v_add_co_u32 v146, s4, v6, v146
	v_ashrrev_i32_e32 v151, 31, v150
	v_add_co_ci_u32_e64 v147, null, v7, v147, s4
	v_bfe_i32 v162, v69, 0, 16
	v_ashrrev_i32_e32 v161, 31, v160
	v_bfe_i32 v164, v70, 0, 16
	v_lshlrev_b64 v[148:149], 1, v[148:149]
	v_bfe_i32 v166, v71, 0, 16
	v_lshlrev_b64 v[150:151], 1, v[150:151]
	v_ashrrev_i32_e32 v163, 31, v162
	v_lshlrev_b64 v[160:161], 1, v[160:161]
	v_ashrrev_i32_e32 v165, 31, v164
	v_add_co_u32 v148, s16, v6, v148
	v_ashrrev_i32_e32 v167, 31, v166
	v_lshlrev_b64 v[162:163], 1, v[162:163]
	v_add_co_ci_u32_e64 v149, null, v7, v149, s16
	v_add_co_u32 v150, s16, v6, v150
	v_lshlrev_b64 v[164:165], 1, v[164:165]
	v_add_co_ci_u32_e64 v151, null, v7, v151, s16
	v_add_co_u32 v160, s16, v6, v160
	;; [unrolled: 3-line block ×3, first 2 shown]
	v_add_co_ci_u32_e64 v163, null, v7, v163, s16
	s_waitcnt vmcnt(16) lgkmcnt(16)
	v_cmp_lt_i16_e64 s4, v210, v211
	s_waitcnt vmcnt(14) lgkmcnt(14)
	v_cmp_lt_i16_e64 s5, v212, v213
	v_add_co_u32 v164, s16, v6, v164
	s_waitcnt vmcnt(12) lgkmcnt(12)
	v_cmp_lt_i16_e64 s6, v214, v215
	v_cndmask_b32_e64 v98, v128, v55, s4
	s_waitcnt vmcnt(10) lgkmcnt(10)
	v_cmp_lt_i16_e64 s7, v224, v225
	v_cndmask_b32_e64 v99, v129, v80, s5
	s_waitcnt vmcnt(8) lgkmcnt(8)
	v_cmp_lt_i16_e64 s10, v226, v227
	s_waitcnt vmcnt(6) lgkmcnt(6)
	v_cmp_lt_i16_e64 s11, v228, v229
	v_cndmask_b32_e64 v103, v130, v81, s6
	s_waitcnt vmcnt(4) lgkmcnt(4)
	v_cmp_lt_i16_e64 s14, v231, v240
	v_cndmask_b32_e64 v101, v80, v129, s5
	s_waitcnt vmcnt(2) lgkmcnt(2)
	v_cmp_lt_i16_e64 s15, v241, v242
	v_bfe_i32 v80, v98, 0, 16
	v_cndmask_b32_e64 v112, v132, v85, s7
	v_cndmask_b32_e64 v114, v134, v117, s11
	;; [unrolled: 1-line block ×8, first 2 shown]
	v_bfe_i32 v131, v99, 0, 16
	v_cndmask_b32_e64 v113, v133, v87, s10
	v_cndmask_b32_e64 v129, v87, v133, s10
	v_bfe_i32 v133, v103, 0, 16
	v_ashrrev_i32_e32 v81, 31, v80
	v_cndmask_b32_e64 v100, v55, v128, s4
	v_cndmask_b32_e64 v128, v85, v132, s7
	s_clause 0x5
	flat_load_ushort v66, v[148:149]
	flat_load_ushort v85, v[144:145]
	;; [unrolled: 1-line block ×6, first 2 shown]
	v_bfe_i32 v144, v112, 0, 16
	v_ashrrev_i32_e32 v132, 31, v131
	v_bfe_i32 v148, v113, 0, 16
	v_ashrrev_i32_e32 v134, 31, v133
	v_bfe_i32 v150, v115, 0, 16
	v_lshlrev_b64 v[80:81], 1, v[80:81]
	v_add_co_ci_u32_e64 v165, null, v7, v165, s16
	v_add_co_u32 v166, s16, v6, v166
	v_ashrrev_i32_e32 v145, 31, v144
	v_bfe_i32 v160, v114, 0, 16
	v_lshlrev_b64 v[131:132], 1, v[131:132]
	v_add_co_ci_u32_e64 v167, null, v7, v167, s16
	v_ashrrev_i32_e32 v149, 31, v148
	s_clause 0x5
	flat_load_ushort v208, v[162:163]
	flat_load_ushort v209, v[180:181]
	;; [unrolled: 1-line block ×6, first 2 shown]
	v_bfe_i32 v162, v116, 0, 16
	v_lshlrev_b64 v[133:134], 1, v[133:134]
	v_ashrrev_i32_e32 v151, 31, v150
	v_bfe_i32 v164, v100, 0, 16
	v_lshlrev_b64 v[144:145], 1, v[144:145]
	v_add_co_u32 v80, s5, v6, v80
	v_ashrrev_i32_e32 v161, 31, v160
	v_bfe_i32 v166, v101, 0, 16
	v_lshlrev_b64 v[148:149], 1, v[148:149]
	v_add_co_ci_u32_e64 v81, null, v7, v81, s5
	v_add_co_u32 v131, s5, v6, v131
	v_ashrrev_i32_e32 v163, 31, v162
	s_waitcnt vmcnt(12) lgkmcnt(12)
	v_cmp_lt_i16_e64 s4, v230, v243
	v_bfe_i32 v176, v102, 0, 16
	v_lshlrev_b64 v[150:151], 1, v[150:151]
	v_add_co_ci_u32_e64 v132, null, v7, v132, s5
	v_add_co_u32 v133, s5, v6, v133
	v_ashrrev_i32_e32 v165, 31, v164
	v_bfe_i32 v178, v128, 0, 16
	v_lshlrev_b64 v[160:161], 1, v[160:161]
	v_add_co_ci_u32_e64 v134, null, v7, v134, s5
	v_add_co_u32 v144, s5, v6, v144
	v_ashrrev_i32_e32 v167, 31, v166
	v_bfe_i32 v180, v129, 0, 16
	v_lshlrev_b64 v[162:163], 1, v[162:163]
	v_add_co_ci_u32_e64 v145, null, v7, v145, s5
	v_add_co_u32 v148, s5, v6, v148
	v_cndmask_b32_e64 v119, v65, v54, s4
	v_ashrrev_i32_e32 v177, 31, v176
	v_bfe_i32 v182, v130, 0, 16
	v_lshlrev_b64 v[164:165], 1, v[164:165]
	v_add_co_ci_u32_e64 v149, null, v7, v149, s5
	v_add_co_u32 v150, s5, v6, v150
	v_ashrrev_i32_e32 v179, 31, v178
	v_bfe_i32 v192, v117, 0, 16
	v_lshlrev_b64 v[166:167], 1, v[166:167]
	v_add_co_ci_u32_e64 v151, null, v7, v151, s5
	v_add_co_u32 v160, s5, v6, v160
	;; [unrolled: 5-line block ×4, first 2 shown]
	v_ashrrev_i32_e32 v193, 31, v192
	v_lshlrev_b64 v[180:181], 1, v[180:181]
	v_add_co_ci_u32_e64 v165, null, v7, v165, s5
	v_add_co_u32 v166, s5, v6, v166
	v_ashrrev_i32_e32 v195, 31, v194
	v_lshlrev_b64 v[182:183], 1, v[182:183]
	v_add_co_ci_u32_e64 v167, null, v7, v167, s5
	v_add_co_u32 v176, s5, v6, v176
	;; [unrolled: 4-line block ×3, first 2 shown]
	v_lshlrev_b64 v[194:195], 1, v[194:195]
	v_add_co_ci_u32_e64 v179, null, v7, v179, s5
	v_add_co_u32 v180, s5, v6, v180
	v_lshlrev_b64 v[196:197], 1, v[196:197]
	v_add_co_ci_u32_e64 v181, null, v7, v181, s5
	v_add_co_u32 v182, s5, v6, v182
	v_add_co_ci_u32_e64 v183, null, v7, v183, s5
	v_add_co_u32 v192, s5, v6, v192
	;; [unrolled: 2-line block ×4, first 2 shown]
	v_add_co_ci_u32_e64 v197, null, v7, v197, s5
	s_clause 0x11
	flat_load_ushort v214, v[164:165]
	flat_load_ushort v215, v[146:147]
	;; [unrolled: 1-line block ×18, first 2 shown]
	v_cndmask_b32_e64 v133, v54, v65, s4
	v_bfe_i32 v54, v51, 0, 16
	v_bfe_i32 v64, v133, 0, 16
	v_ashrrev_i32_e32 v55, 31, v54
	v_ashrrev_i32_e32 v65, 31, v64
	v_lshlrev_b64 v[54:55], 1, v[54:55]
	v_lshlrev_b64 v[64:65], 1, v[64:65]
	v_add_co_u32 v54, vcc_lo, v6, v54
	v_add_co_ci_u32_e64 v55, null, v7, v55, vcc_lo
	v_add_co_u32 v64, vcc_lo, v6, v64
	v_add_co_ci_u32_e64 v65, null, v7, v65, vcc_lo
	s_clause 0x1
	flat_load_ushort v195, v[54:55]
	flat_load_ushort v196, v[64:65]
	s_waitcnt vmcnt(30) lgkmcnt(30)
	v_cmp_lt_i16_e32 vcc_lo, v66, v85
	s_waitcnt vmcnt(28) lgkmcnt(28)
	v_cmp_lt_i16_e64 s4, v87, v135
	s_waitcnt vmcnt(26) lgkmcnt(26)
	v_cmp_lt_i16_e64 s5, v198, v199
	v_cndmask_b32_e32 v54, v53, v50, vcc_lo
	v_cndmask_b32_e32 v50, v50, v53, vcc_lo
	v_cndmask_b32_e64 v55, v96, v67, s4
	v_cndmask_b32_e64 v67, v67, v96, s4
	;; [unrolled: 1-line block ×3, first 2 shown]
	v_bfe_i32 v80, v54, 0, 16
	v_cndmask_b32_e64 v68, v82, v68, s5
	v_bfe_i32 v82, v55, 0, 16
	v_bfe_i32 v144, v67, 0, 16
	v_ashrrev_i32_e32 v81, 31, v80
	v_bfe_i32 v146, v68, 0, 16
	s_waitcnt vmcnt(24) lgkmcnt(24)
	v_cmp_lt_i16_e64 s6, v208, v209
	v_ashrrev_i32_e32 v145, 31, v144
	s_waitcnt vmcnt(22) lgkmcnt(22)
	v_cmp_lt_i16_e64 s7, v210, v211
	v_lshlrev_b64 v[80:81], 1, v[80:81]
	s_waitcnt vmcnt(20) lgkmcnt(20)
	v_cmp_lt_i16_e64 s10, v212, v213
	v_cndmask_b32_e64 v65, v69, v83, s6
	v_cndmask_b32_e64 v69, v83, v69, s6
	;; [unrolled: 1-line block ×4, first 2 shown]
	v_bfe_i32 v84, v64, 0, 16
	v_cndmask_b32_e64 v52, v71, v86, s10
	v_cndmask_b32_e64 v71, v86, v71, s10
	v_bfe_i32 v86, v65, 0, 16
	v_ashrrev_i32_e32 v83, 31, v82
	v_bfe_i32 v131, v66, 0, 16
	v_ashrrev_i32_e32 v85, 31, v84
	;; [unrolled: 2-line block ×3, first 2 shown]
	v_lshlrev_b64 v[82:83], 1, v[82:83]
	v_ashrrev_i32_e32 v132, 31, v131
	v_lshlrev_b64 v[84:85], 1, v[84:85]
	v_ashrrev_i32_e32 v135, 31, v134
	v_lshlrev_b64 v[86:87], 1, v[86:87]
	v_add_co_u32 v162, s4, v6, v80
	v_bfe_i32 v148, v69, 0, 16
	v_lshlrev_b64 v[131:132], 1, v[131:132]
	v_add_co_ci_u32_e64 v163, null, v7, v81, s4
	v_add_co_u32 v164, s4, v6, v82
	v_bfe_i32 v150, v70, 0, 16
	v_ashrrev_i32_e32 v147, 31, v146
	v_lshlrev_b64 v[134:135], 1, v[134:135]
	v_add_co_ci_u32_e64 v165, null, v7, v83, s4
	v_add_co_u32 v166, s4, v6, v84
	v_bfe_i32 v160, v71, 0, 16
	v_ashrrev_i32_e32 v149, 31, v148
	v_add_co_ci_u32_e64 v167, null, v7, v85, s4
	v_add_co_u32 v176, s4, v6, v86
	v_lshlrev_b64 v[144:145], 1, v[144:145]
	v_ashrrev_i32_e32 v151, 31, v150
	v_add_co_ci_u32_e64 v177, null, v7, v87, s4
	v_add_co_u32 v178, s4, v6, v131
	v_lshlrev_b64 v[146:147], 1, v[146:147]
	;; [unrolled: 4-line block ×3, first 2 shown]
	v_add_co_ci_u32_e64 v135, null, v7, v135, s4
	v_lshlrev_b64 v[150:151], 1, v[150:151]
	v_add_co_u32 v131, s17, v6, v144
	v_lshlrev_b64 v[160:161], 1, v[160:161]
	v_add_co_ci_u32_e64 v132, null, v7, v145, s17
	v_add_co_u32 v144, s17, v6, v146
	v_add_co_ci_u32_e64 v145, null, v7, v147, s17
	v_add_co_u32 v146, s17, v6, v148
	;; [unrolled: 2-line block ×4, first 2 shown]
	v_add_co_ci_u32_e64 v151, null, v7, v161, s17
	s_waitcnt vmcnt(18) lgkmcnt(18)
	v_cmp_lt_i16_e64 s4, v214, v215
	s_waitcnt vmcnt(16) lgkmcnt(16)
	v_cmp_lt_i16_e64 s5, v224, v225
	;; [unrolled: 2-line block ×3, first 2 shown]
	v_cndmask_b32_e64 v80, v100, v97, s4
	s_waitcnt vmcnt(12) lgkmcnt(12)
	v_cmp_lt_i16_e64 s7, v228, v229
	v_cndmask_b32_e64 v81, v101, v98, s5
	s_waitcnt vmcnt(10) lgkmcnt(10)
	v_cmp_lt_i16_e64 s10, v180, v181
	;; [unrolled: 3-line block ×3, first 2 shown]
	v_cndmask_b32_e64 v83, v128, v103, s7
	v_cndmask_b32_e64 v100, v97, v100, s4
	v_cndmask_b32_e64 v101, v98, v101, s5
	s_waitcnt vmcnt(4) lgkmcnt(4)
	v_cmp_lt_i16_e64 s15, v240, v192
	v_cndmask_b32_e64 v102, v99, v102, s6
	s_waitcnt vmcnt(2) lgkmcnt(2)
	v_cmp_lt_i16_e64 s16, v193, v194
	v_cndmask_b32_e64 v103, v103, v128, s7
	v_cndmask_b32_e64 v84, v129, v112, s10
	v_cndmask_b32_e64 v87, v117, v116, s15
	v_cndmask_b32_e64 v97, v116, v117, s15
	v_cndmask_b32_e64 v96, v118, v119, s16
	v_cndmask_b32_e64 v98, v119, v118, s16
	s_clause 0x5
	flat_load_ushort v99, v[131:132]
	flat_load_ushort v118, v[162:163]
	;; [unrolled: 1-line block ×6, first 2 shown]
	v_bfe_i32 v144, v80, 0, 16
	v_bfe_i32 v146, v81, 0, 16
	v_cndmask_b32_e64 v85, v130, v113, s11
	v_cmp_lt_i16_e64 s14, v230, v231
	v_cndmask_b32_e64 v112, v112, v129, s10
	v_cndmask_b32_e64 v113, v113, v130, s11
	s_clause 0x3
	flat_load_ushort v129, v[148:149]
	flat_load_ushort v131, v[176:177]
	;; [unrolled: 1-line block ×4, first 2 shown]
	v_bfe_i32 v148, v82, 0, 16
	v_ashrrev_i32_e32 v145, 31, v144
	v_bfe_i32 v150, v83, 0, 16
	v_ashrrev_i32_e32 v147, 31, v146
	v_bfe_i32 v160, v84, 0, 16
	v_cndmask_b32_e64 v86, v115, v114, s14
	v_ashrrev_i32_e32 v149, 31, v148
	v_bfe_i32 v162, v85, 0, 16
	v_lshlrev_b64 v[144:145], 1, v[144:145]
	v_ashrrev_i32_e32 v151, 31, v150
	v_bfe_i32 v164, v87, 0, 16
	v_lshlrev_b64 v[146:147], 1, v[146:147]
	;; [unrolled: 3-line block ×4, first 2 shown]
	v_add_co_u32 v144, s5, v6, v144
	v_ashrrev_i32_e32 v165, 31, v164
	v_bfe_i32 v178, v100, 0, 16
	v_lshlrev_b64 v[160:161], 1, v[160:161]
	v_add_co_ci_u32_e64 v145, null, v7, v145, s5
	v_add_co_u32 v146, s5, v6, v146
	v_ashrrev_i32_e32 v167, 31, v166
	v_bfe_i32 v180, v101, 0, 16
	v_lshlrev_b64 v[162:163], 1, v[162:163]
	v_add_co_ci_u32_e64 v147, null, v7, v147, s5
	;; [unrolled: 5-line block ×3, first 2 shown]
	v_add_co_u32 v150, s5, v6, v150
	v_ashrrev_i32_e32 v179, 31, v178
	s_waitcnt vmcnt(10) lgkmcnt(10)
	v_cmp_lt_i16_e64 s4, v195, v196
	v_bfe_i32 v192, v103, 0, 16
	v_lshlrev_b64 v[166:167], 1, v[166:167]
	v_add_co_ci_u32_e64 v151, null, v7, v151, s5
	v_add_co_u32 v160, s5, v6, v160
	v_cndmask_b32_e64 v114, v114, v115, s14
	v_ashrrev_i32_e32 v181, 31, v180
	v_bfe_i32 v194, v112, 0, 16
	v_lshlrev_b64 v[176:177], 1, v[176:177]
	v_add_co_ci_u32_e64 v161, null, v7, v161, s5
	v_add_co_u32 v162, s5, v6, v162
	v_ashrrev_i32_e32 v183, 31, v182
	v_bfe_i32 v196, v113, 0, 16
	v_lshlrev_b64 v[178:179], 1, v[178:179]
	v_add_co_ci_u32_e64 v163, null, v7, v163, s5
	v_add_co_u32 v164, s5, v6, v164
	v_cndmask_b32_e64 v115, v133, v51, s4
	v_ashrrev_i32_e32 v193, 31, v192
	v_bfe_i32 v198, v114, 0, 16
	v_lshlrev_b64 v[180:181], 1, v[180:181]
	v_add_co_ci_u32_e64 v165, null, v7, v165, s5
	v_add_co_u32 v166, s5, v6, v166
	v_ashrrev_i32_e32 v195, 31, v194
	v_bfe_i32 v208, v97, 0, 16
	v_lshlrev_b64 v[182:183], 1, v[182:183]
	v_add_co_ci_u32_e64 v167, null, v7, v167, s5
	v_add_co_u32 v176, s5, v6, v176
	;; [unrolled: 5-line block ×4, first 2 shown]
	v_ashrrev_i32_e32 v209, 31, v208
	v_lshlrev_b64 v[196:197], 1, v[196:197]
	v_add_co_ci_u32_e64 v181, null, v7, v181, s5
	v_add_co_u32 v182, s5, v6, v182
	v_ashrrev_i32_e32 v211, 31, v210
	v_lshlrev_b64 v[198:199], 1, v[198:199]
	v_add_co_ci_u32_e64 v183, null, v7, v183, s5
	v_add_co_u32 v192, s5, v6, v192
	;; [unrolled: 4-line block ×3, first 2 shown]
	v_lshlrev_b64 v[210:211], 1, v[210:211]
	v_add_co_ci_u32_e64 v195, null, v7, v195, s5
	v_add_co_u32 v196, s5, v6, v196
	v_lshlrev_b64 v[212:213], 1, v[212:213]
	v_add_co_ci_u32_e64 v197, null, v7, v197, s5
	v_add_co_u32 v198, s5, v6, v198
	v_add_co_ci_u32_e64 v199, null, v7, v199, s5
	v_add_co_u32 v208, s5, v6, v208
	;; [unrolled: 2-line block ×4, first 2 shown]
	v_add_co_ci_u32_e64 v213, null, v7, v213, s5
	s_clause 0x13
	flat_load_ushort v178, v[178:179]
	flat_load_ushort v179, v[134:135]
	flat_load_ushort v180, v[180:181]
	flat_load_ushort v181, v[144:145]
	flat_load_ushort v182, v[182:183]
	flat_load_ushort v146, v[146:147]
	flat_load_ushort v183, v[192:193]
	flat_load_ushort v192, v[148:149]
	flat_load_ushort v193, v[194:195]
	flat_load_ushort v151, v[150:151]
	flat_load_ushort v194, v[196:197]
	flat_load_ushort v195, v[160:161]
	flat_load_ushort v196, v[198:199]
	flat_load_ushort v197, v[162:163]
	flat_load_ushort v198, v[164:165]
	flat_load_ushort v166, v[166:167]
	flat_load_ushort v167, v[176:177]
	flat_load_ushort v176, v[208:209]
	flat_load_ushort v177, v[210:211]
	flat_load_ushort v199, v[212:213]
	v_cndmask_b32_e64 v51, v51, v133, s4
	v_bfe_i32 v133, v50, 0, 16
	v_bfe_i32 v144, v51, 0, 16
	v_ashrrev_i32_e32 v134, 31, v133
	v_ashrrev_i32_e32 v145, 31, v144
	v_lshlrev_b64 v[133:134], 1, v[133:134]
	v_lshlrev_b64 v[144:145], 1, v[144:145]
	v_add_co_u32 v147, vcc_lo, v6, v133
	v_add_co_ci_u32_e64 v148, null, v7, v134, vcc_lo
	v_add_co_u32 v149, vcc_lo, v6, v144
	v_add_co_ci_u32_e64 v150, null, v7, v145, vcc_lo
	s_waitcnt vmcnt(28) lgkmcnt(28)
	v_cmp_lt_i16_e32 vcc_lo, v99, v118
	s_waitcnt vmcnt(26) lgkmcnt(26)
	v_cmp_lt_i16_e64 s4, v116, v119
	s_waitcnt vmcnt(24) lgkmcnt(24)
	v_cmp_lt_i16_e64 s5, v117, v128
	v_cndmask_b32_e32 v208, v67, v54, vcc_lo
	v_cndmask_b32_e32 v99, v54, v67, vcc_lo
	v_cndmask_b32_e64 v209, v68, v55, s4
	v_cndmask_b32_e64 v212, v55, v68, s4
	s_waitcnt vmcnt(22) lgkmcnt(22)
	v_cmp_lt_i16_e64 s6, v129, v131
	v_cndmask_b32_e64 v210, v69, v64, s5
	s_waitcnt vmcnt(20) lgkmcnt(20)
	v_cmp_lt_i16_e64 s7, v130, v132
	v_bfe_i32 v53, v208, 0, 16
	v_cndmask_b32_e64 v213, v64, v69, s5
	v_cndmask_b32_e64 v211, v70, v65, s6
	v_bfe_i32 v64, v209, 0, 16
	v_cndmask_b32_e64 v116, v71, v66, s7
	v_cndmask_b32_e64 v215, v66, v71, s7
	v_bfe_i32 v66, v210, 0, 16
	v_ashrrev_i32_e32 v54, 31, v53
	v_bfe_i32 v68, v211, 0, 16
	v_cndmask_b32_e64 v214, v65, v70, s6
	v_ashrrev_i32_e32 v65, 31, v64
	v_bfe_i32 v70, v116, 0, 16
	v_ashrrev_i32_e32 v67, 31, v66
	v_bfe_i32 v117, v99, 0, 16
	v_lshlrev_b64 v[53:54], 1, v[53:54]
	v_ashrrev_i32_e32 v69, 31, v68
	v_bfe_i32 v128, v212, 0, 16
	v_lshlrev_b64 v[64:65], 1, v[64:65]
	;; [unrolled: 3-line block ×4, first 2 shown]
	v_add_co_u32 v53, vcc_lo, v6, v53
	v_ashrrev_i32_e32 v129, 31, v128
	v_bfe_i32 v134, v215, 0, 16
	v_lshlrev_b64 v[70:71], 1, v[70:71]
	v_add_co_ci_u32_e64 v54, null, v7, v54, vcc_lo
	v_add_co_u32 v64, vcc_lo, v6, v64
	v_ashrrev_i32_e32 v131, 31, v130
	v_lshlrev_b64 v[144:145], 1, v[117:118]
	v_add_co_ci_u32_e64 v65, null, v7, v65, vcc_lo
	v_add_co_u32 v66, vcc_lo, v6, v66
	v_ashrrev_i32_e32 v133, 31, v132
	;; [unrolled: 4-line block ×3, first 2 shown]
	v_lshlrev_b64 v[162:163], 1, v[130:131]
	v_add_co_ci_u32_e64 v69, null, v7, v69, vcc_lo
	v_add_co_u32 v70, vcc_lo, v6, v70
	v_lshlrev_b64 v[164:165], 1, v[132:133]
	v_add_co_ci_u32_e64 v71, null, v7, v71, vcc_lo
	v_lshlrev_b64 v[133:134], 1, v[134:135]
	s_waitcnt vmcnt(18) lgkmcnt(18)
	v_cmp_lt_i16_e32 vcc_lo, v178, v179
	s_waitcnt vmcnt(16) lgkmcnt(16)
	v_cmp_lt_i16_e64 s4, v180, v181
	s_waitcnt vmcnt(14) lgkmcnt(14)
	v_cmp_lt_i16_e64 s5, v182, v146
	v_cndmask_b32_e32 v117, v100, v52, vcc_lo
	s_waitcnt vmcnt(12) lgkmcnt(12)
	v_cmp_lt_i16_e64 s6, v183, v192
	v_cndmask_b32_e64 v118, v101, v80, s4
	s_waitcnt vmcnt(10) lgkmcnt(10)
	v_cmp_lt_i16_e64 s7, v193, v151
	v_cndmask_b32_e64 v119, v102, v81, s5
	;; [unrolled: 3-line block ×4, first 2 shown]
	s_waitcnt vmcnt(4) lgkmcnt(4)
	v_cmp_lt_i16_e64 s14, v198, v166
	v_add_co_u32 v166, s17, v6, v144
	s_waitcnt vmcnt(2) lgkmcnt(2)
	v_cmp_lt_i16_e64 s15, v167, v176
	v_add_co_ci_u32_e64 v167, null, v7, v145, s17
	v_add_co_u32 v160, s17, v6, v160
	v_add_co_ci_u32_e64 v161, null, v7, v161, s17
	v_add_co_u32 v162, s17, v6, v162
	;; [unrolled: 2-line block ×4, first 2 shown]
	s_waitcnt vmcnt(0) lgkmcnt(0)
	v_cmp_lt_i16_e64 s16, v177, v199
	v_add_co_ci_u32_e64 v177, null, v7, v134, s17
	s_clause 0x9
	flat_load_ushort v55, v[166:167]
	flat_load_ushort v183, v[147:148]
	;; [unrolled: 1-line block ×10, first 2 shown]
	v_bfe_i32 v53, v117, 0, 16
	v_bfe_i32 v64, v118, 0, 16
	;; [unrolled: 1-line block ×3, first 2 shown]
	v_cndmask_b32_e64 v130, v113, v84, s10
	v_bfe_i32 v68, v128, 0, 16
	v_ashrrev_i32_e32 v54, 31, v53
	v_cndmask_b32_e64 v182, v86, v87, s14
	v_ashrrev_i32_e32 v65, 31, v64
	v_cndmask_b32_e32 v52, v52, v100, vcc_lo
	v_cndmask_b32_e64 v100, v80, v101, s4
	v_bfe_i32 v80, v129, 0, 16
	v_cndmask_b32_e64 v151, v114, v85, s11
	v_ashrrev_i32_e32 v67, 31, v66
	v_cndmask_b32_e64 v133, v82, v103, s6
	v_bfe_i32 v82, v130, 0, 16
	v_lshlrev_b64 v[53:54], 1, v[53:54]
	v_cndmask_b32_e64 v131, v97, v96, s15
	v_ashrrev_i32_e32 v69, 31, v68
	v_cndmask_b32_e64 v135, v84, v113, s10
	v_bfe_i32 v84, v182, 0, 16
	v_lshlrev_b64 v[64:65], 1, v[64:65]
	v_cndmask_b32_e64 v132, v98, v115, s16
	v_cndmask_b32_e64 v101, v81, v102, s5
	v_ashrrev_i32_e32 v81, 31, v80
	v_cndmask_b32_e64 v145, v87, v86, s14
	v_bfe_i32 v86, v151, 0, 16
	v_lshlrev_b64 v[66:67], 1, v[66:67]
	v_cndmask_b32_e64 v134, v83, v112, s7
	v_ashrrev_i32_e32 v83, 31, v82
	v_cndmask_b32_e64 v146, v96, v97, s15
	v_bfe_i32 v96, v131, 0, 16
	v_lshlrev_b64 v[68:69], 1, v[68:69]
	v_add_co_u32 v53, vcc_lo, v6, v53
	v_cndmask_b32_e64 v144, v85, v114, s11
	v_ashrrev_i32_e32 v85, 31, v84
	v_bfe_i32 v102, v132, 0, 16
	v_lshlrev_b64 v[80:81], 1, v[80:81]
	v_add_co_ci_u32_e64 v54, null, v7, v54, vcc_lo
	v_add_co_u32 v64, vcc_lo, v6, v64
	v_ashrrev_i32_e32 v87, 31, v86
	v_bfe_i32 v112, v52, 0, 16
	v_lshlrev_b64 v[82:83], 1, v[82:83]
	v_add_co_ci_u32_e64 v65, null, v7, v65, vcc_lo
	v_add_co_u32 v66, vcc_lo, v6, v66
	v_ashrrev_i32_e32 v97, 31, v96
	v_bfe_i32 v114, v100, 0, 16
	v_lshlrev_b64 v[84:85], 1, v[84:85]
	v_add_co_ci_u32_e64 v67, null, v7, v67, vcc_lo
	v_add_co_u32 v68, vcc_lo, v6, v68
	v_ashrrev_i32_e32 v103, 31, v102
	v_bfe_i32 v147, v101, 0, 16
	v_lshlrev_b64 v[86:87], 1, v[86:87]
	v_add_co_ci_u32_e64 v69, null, v7, v69, vcc_lo
	v_add_co_u32 v80, vcc_lo, v6, v80
	v_ashrrev_i32_e32 v113, 31, v112
	v_bfe_i32 v160, v133, 0, 16
	v_lshlrev_b64 v[96:97], 1, v[96:97]
	v_add_co_ci_u32_e64 v81, null, v7, v81, vcc_lo
	v_add_co_u32 v82, vcc_lo, v6, v82
	v_cndmask_b32_e64 v98, v115, v98, s16
	v_ashrrev_i32_e32 v115, 31, v114
	v_bfe_i32 v162, v134, 0, 16
	v_lshlrev_b64 v[102:103], 1, v[102:103]
	v_add_co_ci_u32_e64 v83, null, v7, v83, vcc_lo
	v_add_co_u32 v84, vcc_lo, v6, v84
	v_ashrrev_i32_e32 v148, 31, v147
	v_bfe_i32 v164, v135, 0, 16
	v_lshlrev_b64 v[112:113], 1, v[112:113]
	v_add_co_ci_u32_e64 v85, null, v7, v85, vcc_lo
	v_add_co_u32 v86, vcc_lo, v6, v86
	;; [unrolled: 5-line block ×5, first 2 shown]
	v_ashrrev_i32_e32 v167, 31, v166
	v_lshlrev_b64 v[162:163], 1, v[162:163]
	v_add_co_ci_u32_e64 v113, null, v7, v113, vcc_lo
	v_add_co_u32 v114, vcc_lo, v6, v114
	v_ashrrev_i32_e32 v177, 31, v176
	v_bfe_i32 v180, v98, 0, 16
	v_lshlrev_b64 v[164:165], 1, v[164:165]
	v_add_co_ci_u32_e64 v115, null, v7, v115, vcc_lo
	v_add_co_u32 v147, vcc_lo, v6, v147
	v_ashrrev_i32_e32 v179, 31, v178
	v_lshlrev_b64 v[166:167], 1, v[166:167]
	v_add_co_ci_u32_e64 v148, null, v7, v148, vcc_lo
	v_add_co_u32 v160, vcc_lo, v6, v160
	v_lshlrev_b64 v[176:177], 1, v[176:177]
	v_add_co_ci_u32_e64 v161, null, v7, v161, vcc_lo
	s_clause 0x1
	flat_load_ushort v224, v[84:85]
	flat_load_ushort v225, v[86:87]
	v_add_co_u32 v84, vcc_lo, v6, v162
	v_ashrrev_i32_e32 v181, 31, v180
	v_lshlrev_b64 v[178:179], 1, v[178:179]
	v_add_co_ci_u32_e64 v85, null, v7, v163, vcc_lo
	v_add_co_u32 v86, vcc_lo, v6, v164
	v_add_co_ci_u32_e64 v87, null, v7, v165, vcc_lo
	v_add_co_u32 v162, vcc_lo, v6, v166
	v_lshlrev_b64 v[180:181], 1, v[180:181]
	v_add_co_ci_u32_e64 v163, null, v7, v167, vcc_lo
	v_add_co_u32 v164, vcc_lo, v6, v176
	v_add_co_ci_u32_e64 v165, null, v7, v177, vcc_lo
	v_add_co_u32 v166, vcc_lo, v6, v178
	v_add_co_ci_u32_e64 v167, null, v7, v179, vcc_lo
	s_clause 0xd
	flat_load_ushort v176, v[112:113]
	flat_load_ushort v177, v[70:71]
	;; [unrolled: 1-line block ×14, first 2 shown]
	v_add_co_u32 v53, vcc_lo, v6, v180
	v_add_co_ci_u32_e64 v54, null, v7, v181, vcc_lo
	s_clause 0x5
	flat_load_ushort v180, v[96:97]
	flat_load_ushort v181, v[164:165]
	;; [unrolled: 1-line block ×6, first 2 shown]
	s_waitcnt vmcnt(30) lgkmcnt(30)
	v_cmp_lt_i16_e32 vcc_lo, v55, v183
	s_waitcnt vmcnt(28) lgkmcnt(28)
	v_cmp_lt_i16_e64 s4, v192, v193
	s_waitcnt vmcnt(26) lgkmcnt(26)
	v_cmp_lt_i16_e64 s5, v194, v195
	v_cndmask_b32_e32 v54, v99, v50, vcc_lo
	s_waitcnt vmcnt(24) lgkmcnt(24)
	v_cmp_lt_i16_e64 s6, v196, v197
	v_cndmask_b32_e64 v55, v212, v208, s4
	s_waitcnt vmcnt(22) lgkmcnt(22)
	v_cmp_lt_i16_e64 s7, v198, v199
	v_cndmask_b32_e64 v64, v213, v209, s5
	v_bfe_i32 v70, v54, 0, 16
	v_cndmask_b32_e64 v65, v214, v210, s6
	v_bfe_i32 v80, v55, 0, 16
	;; [unrolled: 2-line block ×3, first 2 shown]
	v_ashrrev_i32_e32 v71, 31, v70
	v_bfe_i32 v84, v65, 0, 16
	v_ashrrev_i32_e32 v81, 31, v80
	v_bfe_i32 v86, v53, 0, 16
	v_cndmask_b32_e64 v66, v208, v212, s4
	v_ashrrev_i32_e32 v83, 31, v82
	v_lshlrev_b64 v[147:148], 1, v[70:71]
	v_cndmask_b32_e64 v67, v209, v213, s5
	v_ashrrev_i32_e32 v85, 31, v84
	v_lshlrev_b64 v[80:81], 1, v[80:81]
	v_cndmask_b32_e64 v68, v210, v214, s6
	v_ashrrev_i32_e32 v87, 31, v86
	v_bfe_i32 v96, v66, 0, 16
	v_lshlrev_b64 v[82:83], 1, v[82:83]
	v_bfe_i32 v102, v67, 0, 16
	v_lshlrev_b64 v[84:85], 1, v[84:85]
	v_add_co_u32 v147, s5, v6, v147
	v_bfe_i32 v112, v68, 0, 16
	v_lshlrev_b64 v[86:87], 1, v[86:87]
	v_add_co_ci_u32_e64 v148, null, v7, v148, s5
	v_add_co_u32 v160, s5, v6, v80
	v_cndmask_b32_e64 v69, v211, v215, s7
	v_ashrrev_i32_e32 v97, 31, v96
	v_add_co_ci_u32_e64 v161, null, v7, v81, s5
	v_add_co_u32 v162, s5, v6, v82
	v_ashrrev_i32_e32 v103, 31, v102
	v_add_co_ci_u32_e64 v163, null, v7, v83, s5
	v_add_co_u32 v164, s5, v6, v84
	v_ashrrev_i32_e32 v113, 31, v112
	v_bfe_i32 v114, v69, 0, 16
	v_lshlrev_b64 v[149:150], 1, v[96:97]
	v_add_co_ci_u32_e64 v165, null, v7, v85, s5
	v_add_co_u32 v166, s5, v6, v86
	v_lshlrev_b64 v[102:103], 1, v[102:103]
	v_add_co_ci_u32_e64 v167, null, v7, v87, s5
	v_lshlrev_b64 v[112:113], 1, v[112:113]
	v_ashrrev_i32_e32 v115, 31, v114
	v_add_co_u32 v149, s18, v6, v149
	v_add_co_ci_u32_e64 v150, null, v7, v150, s18
	v_lshlrev_b64 v[114:115], 1, v[114:115]
	s_waitcnt vmcnt(20) lgkmcnt(20)
	v_cmp_lt_i16_e64 s4, v224, v225
	v_cndmask_b32_e64 v97, v151, v182, s4
	v_cndmask_b32_e64 v70, v182, v151, s4
	v_bfe_i32 v182, v70, 0, 16
	s_waitcnt vmcnt(18) lgkmcnt(18)
	v_cmp_lt_i16_e64 s5, v176, v177
	v_add_co_u32 v176, s18, v6, v102
	s_waitcnt vmcnt(16) lgkmcnt(16)
	v_cmp_lt_i16_e64 s6, v178, v179
	s_waitcnt vmcnt(14) lgkmcnt(14)
	v_cmp_lt_i16_e64 s7, v226, v227
	v_cndmask_b32_e64 v82, v52, v116, s5
	s_waitcnt vmcnt(12) lgkmcnt(12)
	v_cmp_lt_i16_e64 s10, v228, v229
	v_add_co_ci_u32_e64 v177, null, v7, v103, s18
	v_cndmask_b32_e64 v83, v100, v117, s6
	s_waitcnt vmcnt(10) lgkmcnt(10)
	v_cmp_lt_i16_e64 s11, v230, v231
	v_add_co_u32 v178, s18, v6, v112
	s_waitcnt vmcnt(6) lgkmcnt(6)
	v_cmp_lt_i16_e64 s15, v242, v243
	v_cndmask_b32_e64 v84, v101, v118, s7
	s_waitcnt vmcnt(2) lgkmcnt(2)
	v_cmp_lt_i16_e64 s17, v244, v245
	v_cndmask_b32_e64 v85, v133, v119, s10
	v_cmp_lt_i16_e64 s14, v240, v241
	v_add_co_ci_u32_e64 v179, null, v7, v113, s18
	v_cndmask_b32_e64 v113, v119, v133, s10
	v_bfe_i32 v133, v82, 0, 16
	v_cmp_lt_i16_e64 s16, v180, v181
	v_cndmask_b32_e64 v96, v144, v130, s15
	v_cndmask_b32_e64 v102, v116, v52, s5
	;; [unrolled: 1-line block ×3, first 2 shown]
	v_bfe_i32 v144, v83, 0, 16
	v_cndmask_b32_e64 v86, v134, v128, s11
	v_cndmask_b32_e64 v80, v146, v132, s17
	v_add_co_u32 v180, s18, v6, v114
	v_cndmask_b32_e64 v112, v118, v101, s7
	v_cndmask_b32_e64 v101, v132, v146, s17
	v_bfe_i32 v146, v84, 0, 16
	v_cndmask_b32_e64 v87, v135, v129, s14
	v_cndmask_b32_e64 v114, v128, v134, s11
	v_ashrrev_i32_e32 v134, 31, v133
	v_cndmask_b32_e64 v71, v145, v131, s16
	v_add_co_ci_u32_e64 v181, null, v7, v115, s18
	v_cndmask_b32_e64 v103, v117, v100, s6
	v_cndmask_b32_e64 v115, v129, v135, s14
	;; [unrolled: 1-line block ×3, first 2 shown]
	s_clause 0x7
	flat_load_ushort v117, v[149:150]
	flat_load_ushort v129, v[147:148]
	;; [unrolled: 1-line block ×8, first 2 shown]
	v_bfe_i32 v148, v85, 0, 16
	v_ashrrev_i32_e32 v145, 31, v144
	v_bfe_i32 v150, v86, 0, 16
	v_ashrrev_i32_e32 v147, 31, v146
	v_bfe_i32 v160, v87, 0, 16
	v_lshlrev_b64 v[133:134], 1, v[133:134]
	v_ashrrev_i32_e32 v149, 31, v148
	v_bfe_i32 v162, v97, 0, 16
	v_lshlrev_b64 v[144:145], 1, v[144:145]
	;; [unrolled: 3-line block ×4, first 2 shown]
	v_add_co_u32 v133, s5, v6, v133
	v_ashrrev_i32_e32 v163, 31, v162
	v_bfe_i32 v194, v103, 0, 16
	v_lshlrev_b64 v[150:151], 1, v[150:151]
	v_add_co_ci_u32_e64 v134, null, v7, v134, s5
	v_add_co_u32 v144, s5, v6, v144
	v_ashrrev_i32_e32 v165, 31, v164
	v_bfe_i32 v196, v112, 0, 16
	v_lshlrev_b64 v[160:161], 1, v[160:161]
	v_add_co_ci_u32_e64 v145, null, v7, v145, s5
	;; [unrolled: 5-line block ×6, first 2 shown]
	v_add_co_u32 v162, s5, v6, v162
	v_ashrrev_i32_e32 v209, 31, v208
	v_lshlrev_b64 v[196:197], 1, v[196:197]
	v_add_co_ci_u32_e64 v163, null, v7, v163, s5
	v_add_co_u32 v164, s5, v6, v164
	v_ashrrev_i32_e32 v211, 31, v210
	s_waitcnt vmcnt(8) lgkmcnt(8)
	v_cmp_lt_i16_e64 s4, v246, v247
	v_lshlrev_b64 v[198:199], 1, v[198:199]
	v_add_co_ci_u32_e64 v165, null, v7, v165, s5
	v_add_co_u32 v192, s5, v6, v192
	v_ashrrev_i32_e32 v213, 31, v212
	v_lshlrev_b64 v[208:209], 1, v[208:209]
	v_add_co_ci_u32_e64 v193, null, v7, v193, s5
	v_add_co_u32 v194, s5, v6, v194
	v_lshlrev_b64 v[210:211], 1, v[210:211]
	v_add_co_ci_u32_e64 v195, null, v7, v195, s5
	v_add_co_u32 v196, s5, v6, v196
	v_cndmask_b32_e64 v81, v98, v51, s4
	v_bfe_i32 v176, v71, 0, 16
	v_lshlrev_b64 v[212:213], 1, v[212:213]
	v_add_co_ci_u32_e64 v197, null, v7, v197, s5
	v_add_co_u32 v198, s5, v6, v198
	v_bfe_i32 v178, v80, 0, 16
	v_add_co_ci_u32_e64 v199, null, v7, v199, s5
	v_add_co_u32 v208, s5, v6, v208
	v_ashrrev_i32_e32 v183, 31, v182
	v_bfe_i32 v180, v81, 0, 16
	v_add_co_ci_u32_e64 v209, null, v7, v209, s5
	v_add_co_u32 v210, s5, v6, v210
	v_ashrrev_i32_e32 v177, 31, v176
	;; [unrolled: 4-line block ×3, first 2 shown]
	v_lshlrev_b64 v[182:183], 1, v[182:183]
	v_bfe_i32 v224, v101, 0, 16
	v_add_co_ci_u32_e64 v213, null, v7, v213, s5
	s_clause 0xf
	flat_load_ushort v135, v[192:193]
	flat_load_ushort v166, v[166:167]
	;; [unrolled: 1-line block ×16, first 2 shown]
	v_ashrrev_i32_e32 v181, 31, v180
	v_lshlrev_b64 v[176:177], 1, v[176:177]
	v_ashrrev_i32_e32 v215, 31, v214
	v_lshlrev_b64 v[178:179], 1, v[178:179]
	;; [unrolled: 2-line block ×3, first 2 shown]
	v_add_co_u32 v133, s5, v6, v182
	v_add_co_ci_u32_e64 v134, null, v7, v183, s5
	v_lshlrev_b64 v[144:145], 1, v[214:215]
	v_add_co_u32 v148, s5, v6, v176
	v_lshlrev_b64 v[146:147], 1, v[224:225]
	v_add_co_ci_u32_e64 v149, null, v7, v177, s5
	v_add_co_u32 v150, s5, v6, v178
	v_add_co_ci_u32_e64 v151, null, v7, v179, s5
	v_add_co_u32 v160, s5, v6, v180
	;; [unrolled: 2-line block ×4, first 2 shown]
	v_add_co_ci_u32_e64 v147, null, v7, v147, s5
	s_clause 0x5
	flat_load_ushort v164, v[148:149]
	flat_load_ushort v165, v[133:134]
	flat_load_ushort v150, v[150:151]
	flat_load_ushort v151, v[144:145]
	flat_load_ushort v160, v[160:161]
	flat_load_ushort v161, v[146:147]
	v_cndmask_b32_e32 v52, v50, v99, vcc_lo
	v_cndmask_b32_e64 v50, v51, v98, s4
	v_bfe_i32 v98, v52, 0, 16
	v_bfe_i32 v133, v50, 0, 16
	v_ashrrev_i32_e32 v99, 31, v98
	v_ashrrev_i32_e32 v134, 31, v133
	v_lshlrev_b64 v[98:99], 1, v[98:99]
	v_lshlrev_b64 v[133:134], 1, v[133:134]
	v_add_co_u32 v98, vcc_lo, v6, v98
	v_add_co_ci_u32_e64 v99, null, v7, v99, vcc_lo
	v_add_co_u32 v133, vcc_lo, v6, v133
	v_add_co_ci_u32_e64 v134, null, v7, v134, vcc_lo
	s_waitcnt vmcnt(28) lgkmcnt(28)
	v_cmp_lt_i16_e32 vcc_lo, v117, v129
	s_waitcnt vmcnt(26) lgkmcnt(26)
	v_cmp_lt_i16_e64 s4, v118, v130
	s_waitcnt vmcnt(24) lgkmcnt(24)
	v_cmp_lt_i16_e64 s5, v119, v131
	v_cndmask_b32_e32 v176, v66, v54, vcc_lo
	s_waitcnt vmcnt(22) lgkmcnt(22)
	v_cmp_lt_i16_e64 s6, v128, v132
	v_cndmask_b32_e64 v177, v67, v55, s4
	v_cndmask_b32_e32 v54, v54, v66, vcc_lo
	v_cndmask_b32_e64 v119, v68, v64, s5
	v_cndmask_b32_e64 v179, v64, v68, s5
	v_bfe_i32 v64, v176, 0, 16
	v_cndmask_b32_e64 v132, v69, v65, s6
	v_bfe_i32 v66, v177, 0, 16
	v_bfe_i32 v68, v119, 0, 16
	v_cndmask_b32_e64 v180, v65, v69, s6
	v_ashrrev_i32_e32 v65, 31, v64
	v_cndmask_b32_e64 v178, v55, v67, s4
	v_bfe_i32 v117, v132, 0, 16
	v_ashrrev_i32_e32 v67, 31, v66
	v_bfe_i32 v128, v54, 0, 16
	v_ashrrev_i32_e32 v69, 31, v68
	v_lshlrev_b64 v[64:65], 1, v[64:65]
	v_bfe_i32 v130, v178, 0, 16
	v_ashrrev_i32_e32 v118, 31, v117
	v_lshlrev_b64 v[66:67], 1, v[66:67]
	;; [unrolled: 3-line block ×4, first 2 shown]
	v_add_co_u32 v64, vcc_lo, v6, v64
	v_ashrrev_i32_e32 v145, 31, v144
	v_add_co_ci_u32_e64 v65, null, v7, v65, vcc_lo
	v_add_co_u32 v148, vcc_lo, v6, v66
	v_lshlrev_b64 v[128:129], 1, v[128:129]
	v_ashrrev_i32_e32 v147, 31, v146
	v_add_co_ci_u32_e64 v149, null, v7, v67, vcc_lo
	v_add_co_u32 v68, vcc_lo, v6, v68
	v_lshlrev_b64 v[130:131], 1, v[130:131]
	v_add_co_ci_u32_e64 v69, null, v7, v69, vcc_lo
	v_add_co_u32 v117, vcc_lo, v6, v117
	v_lshlrev_b64 v[144:145], 1, v[144:145]
	v_add_co_ci_u32_e64 v118, null, v7, v118, vcc_lo
	v_lshlrev_b64 v[146:147], 1, v[146:147]
	v_add_co_u32 v66, s15, v6, v128
	v_add_co_ci_u32_e64 v67, null, v7, v129, s15
	v_add_co_u32 v128, s15, v6, v130
	v_add_co_ci_u32_e64 v129, null, v7, v131, s15
	;; [unrolled: 2-line block ×4, first 2 shown]
	s_clause 0x1
	flat_load_ushort v55, v[66:67]
	flat_load_ushort v66, v[98:99]
	s_waitcnt vmcnt(22) lgkmcnt(22)
	v_cmp_lt_i16_e32 vcc_lo, v135, v166
	s_waitcnt vmcnt(20) lgkmcnt(20)
	v_cmp_lt_i16_e64 s4, v167, v192
	s_waitcnt vmcnt(18) lgkmcnt(18)
	v_cmp_lt_i16_e64 s5, v193, v194
	v_cndmask_b32_e32 v166, v102, v53, vcc_lo
	s_waitcnt vmcnt(16) lgkmcnt(16)
	v_cmp_lt_i16_e64 s6, v195, v196
	v_cndmask_b32_e64 v167, v103, v82, s4
	s_waitcnt vmcnt(14) lgkmcnt(14)
	v_cmp_lt_i16_e64 s7, v197, v198
	v_cndmask_b32_e64 v181, v112, v83, s5
	;; [unrolled: 3-line block ×5, first 2 shown]
	v_bfe_i32 v82, v181, 0, 16
	v_cndmask_b32_e64 v193, v116, v87, s11
	v_cndmask_b32_e64 v209, v87, v116, s11
	s_clause 0x5
	flat_load_ushort v116, v[128:129]
	flat_load_ushort v135, v[64:65]
	;; [unrolled: 1-line block ×6, first 2 shown]
	v_bfe_i32 v64, v166, 0, 16
	v_bfe_i32 v68, v167, 0, 16
	v_cndmask_b32_e64 v192, v115, v86, s10
	v_cndmask_b32_e64 v198, v84, v113, s6
	v_bfe_i32 v84, v182, 0, 16
	v_ashrrev_i32_e32 v65, 31, v64
	v_ashrrev_i32_e32 v69, 31, v68
	v_cndmask_b32_e64 v208, v86, v115, s10
	v_bfe_i32 v86, v183, 0, 16
	v_cndmask_b32_e64 v194, v97, v96, s14
	v_cndmask_b32_e64 v197, v83, v112, s5
	v_ashrrev_i32_e32 v83, 31, v82
	v_cndmask_b32_e64 v210, v96, v97, s14
	v_bfe_i32 v96, v192, 0, 16
	v_lshlrev_b64 v[64:65], 1, v[64:65]
	v_cndmask_b32_e32 v195, v53, v102, vcc_lo
	v_cndmask_b32_e64 v199, v85, v114, s7
	v_ashrrev_i32_e32 v85, 31, v84
	v_bfe_i32 v98, v193, 0, 16
	v_lshlrev_b64 v[68:69], 1, v[68:69]
	v_ashrrev_i32_e32 v87, 31, v86
	v_bfe_i32 v102, v194, 0, 16
	v_lshlrev_b64 v[82:83], 1, v[82:83]
	s_waitcnt vmcnt(12) lgkmcnt(12)
	v_cmp_lt_i16_e32 vcc_lo, v164, v165
	v_ashrrev_i32_e32 v97, 31, v96
	s_waitcnt vmcnt(10) lgkmcnt(10)
	v_cmp_lt_i16_e64 s4, v150, v151
	v_lshlrev_b64 v[84:85], 1, v[84:85]
	v_ashrrev_i32_e32 v99, 31, v98
	v_cndmask_b32_e32 v211, v70, v71, vcc_lo
	v_cndmask_b32_e32 v224, v71, v70, vcc_lo
	v_bfe_i32 v70, v195, 0, 16
	v_add_co_u32 v64, vcc_lo, v6, v64
	v_cndmask_b32_e64 v53, v100, v80, s4
	s_waitcnt vmcnt(8) lgkmcnt(8)
	v_cmp_lt_i16_e64 s5, v160, v161
	v_cndmask_b32_e64 v225, v80, v100, s4
	v_bfe_i32 v80, v196, 0, 16
	v_lshlrev_b64 v[86:87], 1, v[86:87]
	v_add_co_ci_u32_e64 v65, null, v7, v65, vcc_lo
	v_add_co_u32 v68, vcc_lo, v6, v68
	v_ashrrev_i32_e32 v103, 31, v102
	v_bfe_i32 v100, v197, 0, 16
	v_lshlrev_b64 v[96:97], 1, v[96:97]
	v_add_co_ci_u32_e64 v69, null, v7, v69, vcc_lo
	v_add_co_u32 v82, vcc_lo, v6, v82
	v_ashrrev_i32_e32 v71, 31, v70
	v_bfe_i32 v112, v198, 0, 16
	v_lshlrev_b64 v[98:99], 1, v[98:99]
	v_add_co_ci_u32_e64 v83, null, v7, v83, vcc_lo
	v_add_co_u32 v84, vcc_lo, v6, v84
	v_cndmask_b32_e64 v67, v101, v81, s5
	v_cndmask_b32_e64 v51, v81, v101, s5
	v_ashrrev_i32_e32 v81, 31, v80
	v_bfe_i32 v114, v199, 0, 16
	v_lshlrev_b64 v[102:103], 1, v[102:103]
	v_add_co_ci_u32_e64 v85, null, v7, v85, vcc_lo
	v_add_co_u32 v86, vcc_lo, v6, v86
	v_ashrrev_i32_e32 v101, 31, v100
	v_bfe_i32 v128, v208, 0, 16
	v_lshlrev_b64 v[70:71], 1, v[70:71]
	v_add_co_ci_u32_e64 v87, null, v7, v87, vcc_lo
	v_add_co_u32 v96, vcc_lo, v6, v96
	;; [unrolled: 5-line block ×5, first 2 shown]
	v_ashrrev_i32_e32 v131, 31, v130
	v_lshlrev_b64 v[114:115], 1, v[114:115]
	v_add_co_ci_u32_e64 v71, null, v7, v71, vcc_lo
	v_add_co_u32 v80, vcc_lo, v6, v80
	v_ashrrev_i32_e32 v145, 31, v144
	v_bfe_i32 v148, v53, 0, 16
	v_lshlrev_b64 v[128:129], 1, v[128:129]
	v_add_co_ci_u32_e64 v81, null, v7, v81, vcc_lo
	v_add_co_u32 v100, vcc_lo, v6, v100
	v_ashrrev_i32_e32 v147, 31, v146
	v_bfe_i32 v150, v67, 0, 16
	v_lshlrev_b64 v[130:131], 1, v[130:131]
	v_add_co_ci_u32_e64 v101, null, v7, v101, vcc_lo
	v_add_co_u32 v112, vcc_lo, v6, v112
	v_bfe_i32 v160, v224, 0, 16
	v_lshlrev_b64 v[144:145], 1, v[144:145]
	v_add_co_ci_u32_e64 v113, null, v7, v113, vcc_lo
	v_add_co_u32 v114, vcc_lo, v6, v114
	v_ashrrev_i32_e32 v149, 31, v148
	v_bfe_i32 v162, v225, 0, 16
	v_lshlrev_b64 v[146:147], 1, v[146:147]
	v_add_co_ci_u32_e64 v115, null, v7, v115, vcc_lo
	v_add_co_u32 v128, vcc_lo, v6, v128
	v_ashrrev_i32_e32 v151, 31, v150
	v_bfe_i32 v164, v51, 0, 16
	v_add_co_ci_u32_e64 v129, null, v7, v129, vcc_lo
	v_add_co_u32 v130, vcc_lo, v6, v130
	v_ashrrev_i32_e32 v161, 31, v160
	v_lshlrev_b64 v[148:149], 1, v[148:149]
	v_add_co_ci_u32_e64 v131, null, v7, v131, vcc_lo
	v_add_co_u32 v144, vcc_lo, v6, v144
	v_ashrrev_i32_e32 v163, 31, v162
	v_lshlrev_b64 v[150:151], 1, v[150:151]
	v_add_co_ci_u32_e64 v145, null, v7, v145, vcc_lo
	v_add_co_u32 v146, vcc_lo, v6, v146
	v_ashrrev_i32_e32 v165, 31, v164
	v_add_co_ci_u32_e64 v147, null, v7, v147, vcc_lo
	s_clause 0x11
	flat_load_ushort v226, v[70:71]
	flat_load_ushort v118, v[117:118]
	;; [unrolled: 1-line block ×18, first 2 shown]
	v_lshlrev_b64 v[64:65], 1, v[160:161]
	v_lshlrev_b64 v[68:69], 1, v[162:163]
	v_add_co_u32 v80, vcc_lo, v6, v148
	v_lshlrev_b64 v[70:71], 1, v[164:165]
	v_add_co_ci_u32_e64 v81, null, v7, v149, vcc_lo
	v_add_co_u32 v82, vcc_lo, v6, v150
	v_add_co_ci_u32_e64 v83, null, v7, v151, vcc_lo
	v_add_co_u32 v64, vcc_lo, v6, v64
	;; [unrolled: 2-line block ×4, first 2 shown]
	v_add_co_ci_u32_e64 v71, null, v7, v71, vcc_lo
	s_clause 0x5
	flat_load_ushort v151, v[80:81]
	flat_load_ushort v160, v[64:65]
	;; [unrolled: 1-line block ×6, first 2 shown]
	s_waitcnt vmcnt(30) lgkmcnt(30)
	v_cmp_lt_i16_e64 s4, v55, v66
	v_cndmask_b32_e64 v66, v54, v52, s4
	v_bfe_i32 v64, v66, 0, 16
	v_ashrrev_i32_e32 v65, 31, v64
	v_lshlrev_b64 v[64:65], 1, v[64:65]
	s_waitcnt vmcnt(28) lgkmcnt(28)
	v_cmp_lt_i16_e32 vcc_lo, v116, v135
	s_waitcnt vmcnt(26) lgkmcnt(26)
	v_cmp_lt_i16_e64 s5, v212, v213
	s_waitcnt vmcnt(24) lgkmcnt(24)
	v_cmp_lt_i16_e64 s6, v214, v215
	v_cndmask_b32_e32 v69, v178, v176, vcc_lo
	v_cndmask_b32_e32 v81, v176, v178, vcc_lo
	v_cndmask_b32_e64 v70, v179, v177, s5
	v_cndmask_b32_e64 v82, v177, v179, s5
	;; [unrolled: 1-line block ×3, first 2 shown]
	v_bfe_i32 v84, v69, 0, 16
	v_cndmask_b32_e64 v83, v119, v180, s6
	v_bfe_i32 v86, v70, 0, 16
	v_bfe_i32 v98, v81, 0, 16
	;; [unrolled: 1-line block ×3, first 2 shown]
	v_ashrrev_i32_e32 v85, 31, v84
	v_bfe_i32 v100, v82, 0, 16
	v_ashrrev_i32_e32 v87, 31, v86
	v_bfe_i32 v102, v83, 0, 16
	v_ashrrev_i32_e32 v97, 31, v96
	v_lshlrev_b64 v[84:85], 1, v[84:85]
	v_ashrrev_i32_e32 v99, 31, v98
	v_lshlrev_b64 v[86:87], 1, v[86:87]
	v_add_co_u32 v64, vcc_lo, v6, v64
	v_lshlrev_b64 v[96:97], 1, v[96:97]
	v_ashrrev_i32_e32 v101, 31, v100
	v_add_co_ci_u32_e64 v65, null, v7, v65, vcc_lo
	v_add_co_u32 v134, vcc_lo, v6, v84
	v_ashrrev_i32_e32 v103, 31, v102
	v_add_co_ci_u32_e64 v135, null, v7, v85, vcc_lo
	v_add_co_u32 v145, vcc_lo, v6, v86
	v_lshlrev_b64 v[112:113], 1, v[98:99]
	v_add_co_ci_u32_e64 v146, null, v7, v87, vcc_lo
	v_add_co_u32 v147, vcc_lo, v6, v96
	v_lshlrev_b64 v[114:115], 1, v[100:101]
	v_add_co_ci_u32_e64 v148, null, v7, v97, vcc_lo
	v_lshlrev_b64 v[116:117], 1, v[102:103]
	v_add_co_u32 v112, s17, v6, v112
	v_add_co_ci_u32_e64 v113, null, v7, v113, s17
	v_add_co_u32 v114, s17, v6, v114
	v_add_co_ci_u32_e64 v115, null, v7, v115, s17
	v_add_co_u32 v149, s17, v6, v116
	v_add_co_ci_u32_e64 v150, null, v7, v117, s17
	s_clause 0x1
	flat_load_ushort v87, v[112:113]
	flat_load_ushort v97, v[64:65]
	s_waitcnt vmcnt(24) lgkmcnt(24)
	v_cmp_lt_i16_e32 vcc_lo, v226, v118
	s_waitcnt vmcnt(22) lgkmcnt(22)
	v_cmp_lt_i16_e64 s5, v227, v228
	s_waitcnt vmcnt(20) lgkmcnt(20)
	v_cmp_lt_i16_e64 s6, v229, v230
	v_cndmask_b32_e32 v71, v195, v132, vcc_lo
	s_waitcnt vmcnt(18) lgkmcnt(18)
	v_cmp_lt_i16_e64 s7, v231, v240
	v_cndmask_b32_e64 v80, v196, v166, s5
	s_waitcnt vmcnt(16) lgkmcnt(16)
	v_cmp_lt_i16_e64 s10, v241, v242
	v_cndmask_b32_e64 v84, v197, v167, s6
	s_waitcnt vmcnt(14) lgkmcnt(14)
	v_cmp_lt_i16_e64 s11, v128, v129
	v_bfe_i32 v112, v71, 0, 16
	v_cndmask_b32_e64 v85, v198, v181, s7
	s_waitcnt vmcnt(12) lgkmcnt(12)
	v_cmp_lt_i16_e64 s14, v130, v131
	v_cndmask_b32_e64 v119, v167, v197, s6
	v_cndmask_b32_e64 v86, v199, v182, s10
	s_waitcnt vmcnt(10) lgkmcnt(10)
	v_cmp_lt_i16_e64 s15, v144, v243
	v_cndmask_b32_e64 v96, v208, v183, s11
	v_ashrrev_i32_e32 v113, 31, v112
	s_waitcnt vmcnt(8) lgkmcnt(8)
	v_cmp_lt_i16_e64 s16, v244, v245
	v_cndmask_b32_e64 v98, v209, v192, s14
	v_cndmask_b32_e64 v118, v166, v196, s5
	;; [unrolled: 1-line block ×3, first 2 shown]
	v_cndmask_b32_e32 v117, v132, v195, vcc_lo
	v_lshlrev_b64 v[112:113], 1, v[112:113]
	v_cndmask_b32_e64 v102, v211, v194, s16
	v_bfe_i32 v164, v98, 0, 16
	v_bfe_i32 v166, v100, 0, 16
	;; [unrolled: 1-line block ×3, first 2 shown]
	v_cndmask_b32_e64 v128, v181, v198, s7
	v_bfe_i32 v176, v102, 0, 16
	v_ashrrev_i32_e32 v165, 31, v164
	v_ashrrev_i32_e32 v167, 31, v166
	v_bfe_i32 v180, v118, 0, 16
	v_cndmask_b32_e64 v129, v182, v199, s10
	v_ashrrev_i32_e32 v177, 31, v176
	s_waitcnt vmcnt(6) lgkmcnt(6)
	v_cmp_lt_i16_e64 s5, v151, v160
	v_bfe_i32 v160, v86, 0, 16
	s_waitcnt vmcnt(4) lgkmcnt(4)
	v_cmp_lt_i16_e64 s6, v161, v68
	s_clause 0x3
	flat_load_ushort v68, v[114:115]
	flat_load_ushort v99, v[134:135]
	;; [unrolled: 1-line block ×4, first 2 shown]
	v_bfe_i32 v114, v80, 0, 16
	v_bfe_i32 v145, v84, 0, 16
	;; [unrolled: 1-line block ×3, first 2 shown]
	s_waitcnt vmcnt(6) lgkmcnt(6)
	v_cmp_lt_i16_e32 vcc_lo, v162, v163
	v_bfe_i32 v162, v96, 0, 16
	v_ashrrev_i32_e32 v115, 31, v114
	v_ashrrev_i32_e32 v146, 31, v145
	;; [unrolled: 1-line block ×5, first 2 shown]
	v_lshlrev_b64 v[114:115], 1, v[114:115]
	v_lshlrev_b64 v[145:146], 1, v[145:146]
	v_cndmask_b32_e64 v144, v224, v53, s5
	v_cndmask_b32_e64 v135, v53, v224, s5
	v_lshlrev_b64 v[149:150], 1, v[149:150]
	v_add_co_u32 v112, s5, v6, v112
	v_lshlrev_b64 v[160:161], 1, v[160:161]
	v_add_co_ci_u32_e64 v113, null, v7, v113, s5
	v_add_co_u32 v114, s5, v6, v114
	v_lshlrev_b64 v[162:163], 1, v[162:163]
	v_add_co_ci_u32_e64 v115, null, v7, v115, s5
	v_add_co_u32 v145, s5, v6, v145
	v_bfe_i32 v182, v119, 0, 16
	v_lshlrev_b64 v[164:165], 1, v[164:165]
	v_add_co_ci_u32_e64 v146, null, v7, v146, s5
	v_add_co_u32 v149, s5, v6, v149
	v_cndmask_b32_e64 v130, v183, v208, s11
	v_ashrrev_i32_e32 v179, 31, v178
	v_cndmask_b32_e64 v131, v192, v209, s14
	v_bfe_i32 v192, v128, 0, 16
	v_lshlrev_b64 v[166:167], 1, v[166:167]
	v_add_co_ci_u32_e64 v150, null, v7, v150, s5
	v_add_co_u32 v160, s5, v6, v160
	v_ashrrev_i32_e32 v181, 31, v180
	v_cndmask_b32_e64 v133, v194, v211, s16
	v_bfe_i32 v194, v129, 0, 16
	v_lshlrev_b64 v[176:177], 1, v[176:177]
	v_add_co_ci_u32_e64 v161, null, v7, v161, s5
	v_add_co_u32 v162, s5, v6, v162
	v_cndmask_b32_e64 v132, v193, v210, s15
	v_ashrrev_i32_e32 v183, 31, v182
	v_bfe_i32 v196, v130, 0, 16
	v_lshlrev_b64 v[178:179], 1, v[178:179]
	v_add_co_ci_u32_e64 v163, null, v7, v163, s5
	v_add_co_u32 v164, s5, v6, v164
	v_ashrrev_i32_e32 v193, 31, v192
	v_bfe_i32 v198, v131, 0, 16
	v_lshlrev_b64 v[180:181], 1, v[180:181]
	v_add_co_ci_u32_e64 v165, null, v7, v165, s5
	v_add_co_u32 v166, s5, v6, v166
	;; [unrolled: 5-line block ×5, first 2 shown]
	v_ashrrev_i32_e32 v209, 31, v208
	v_lshlrev_b64 v[196:197], 1, v[196:197]
	v_add_co_ci_u32_e64 v181, null, v7, v181, s5
	v_add_co_u32 v182, s5, v6, v182
	v_cndmask_b32_e64 v65, v225, v67, s6
	v_ashrrev_i32_e32 v211, 31, v210
	v_lshlrev_b64 v[198:199], 1, v[198:199]
	v_add_co_ci_u32_e64 v183, null, v7, v183, s5
	v_add_co_u32 v192, s5, v6, v192
	v_cndmask_b32_e32 v64, v51, v50, vcc_lo
	v_ashrrev_i32_e32 v213, 31, v212
	v_lshlrev_b64 v[208:209], 1, v[208:209]
	v_add_co_ci_u32_e64 v193, null, v7, v193, s5
	v_add_co_u32 v194, s5, v6, v194
	v_bfe_i32 v214, v65, 0, 16
	v_lshlrev_b64 v[210:211], 1, v[210:211]
	v_add_co_ci_u32_e64 v195, null, v7, v195, s5
	v_add_co_u32 v196, s5, v6, v196
	v_cndmask_b32_e64 v67, v67, v225, s6
	v_bfe_i32 v224, v64, 0, 16
	v_lshlrev_b64 v[212:213], 1, v[212:213]
	v_add_co_ci_u32_e64 v197, null, v7, v197, s5
	v_add_co_u32 v198, s5, v6, v198
	v_bfe_i32 v226, v135, 0, 16
	v_add_co_ci_u32_e64 v199, null, v7, v199, s5
	v_add_co_u32 v208, s5, v6, v208
	v_ashrrev_i32_e32 v215, 31, v214
	v_bfe_i32 v228, v67, 0, 16
	v_add_co_ci_u32_e64 v209, null, v7, v209, s5
	v_add_co_u32 v210, s5, v6, v210
	v_ashrrev_i32_e32 v225, 31, v224
	v_add_co_ci_u32_e64 v211, null, v7, v211, s5
	v_add_co_u32 v212, s5, v6, v212
	v_ashrrev_i32_e32 v227, 31, v226
	v_add_co_ci_u32_e64 v213, null, v7, v213, s5
	s_clause 0x13
	flat_load_ushort v116, v[178:179]
	flat_load_ushort v151, v[147:148]
	;; [unrolled: 1-line block ×20, first 2 shown]
	v_lshlrev_b64 v[112:113], 1, v[214:215]
	v_ashrrev_i32_e32 v229, 31, v228
	v_lshlrev_b64 v[114:115], 1, v[224:225]
	v_lshlrev_b64 v[145:146], 1, v[226:227]
	v_cndmask_b32_e64 v53, v52, v54, s4
	v_cndmask_b32_e32 v51, v50, v51, vcc_lo
	v_lshlrev_b64 v[147:148], 1, v[228:229]
	v_add_co_u32 v112, s5, v6, v112
	v_add_co_ci_u32_e64 v113, null, v7, v113, s5
	v_add_co_u32 v114, s5, v6, v114
	v_add_co_ci_u32_e64 v115, null, v7, v115, s5
	;; [unrolled: 2-line block ×4, first 2 shown]
	s_clause 0x3
	flat_load_ushort v212, v[112:113]
	flat_load_ushort v213, v[145:146]
	;; [unrolled: 1-line block ×4, first 2 shown]
	v_bfe_i32 v112, v53, 0, 16
	v_ashrrev_i32_e32 v113, 31, v112
	v_lshlrev_b64 v[112:113], 1, v[112:113]
	v_add_co_u32 v162, s4, v6, v112
	v_add_co_ci_u32_e64 v163, null, v7, v113, s4
	s_waitcnt vmcnt(28) lgkmcnt(28)
	v_cmp_lt_i16_e64 s4, v87, v97
	v_cndmask_b32_e64 v112, v81, v66, s4
	v_cndmask_b32_e64 v54, v66, v81, s4
	v_bfe_i32 v81, v112, 0, 16
	v_bfe_i32 v147, v54, 0, 16
	v_ashrrev_i32_e32 v148, 31, v147
	v_lshlrev_b64 v[147:148], 1, v[147:148]
	s_waitcnt vmcnt(26) lgkmcnt(26)
	v_cmp_lt_i16_e64 s5, v68, v99
	s_waitcnt vmcnt(24) lgkmcnt(24)
	v_cmp_lt_i16_e64 s6, v101, v103
	v_cndmask_b32_e64 v115, v82, v69, s5
	v_cndmask_b32_e64 v134, v69, v82, s5
	;; [unrolled: 1-line block ×3, first 2 shown]
	v_ashrrev_i32_e32 v82, 31, v81
	v_cndmask_b32_e64 v70, v70, v83, s6
	v_bfe_i32 v113, v115, 0, 16
	v_bfe_i32 v149, v134, 0, 16
	;; [unrolled: 1-line block ×3, first 2 shown]
	v_lshlrev_b64 v[81:82], 1, v[81:82]
	v_bfe_i32 v160, v70, 0, 16
	v_ashrrev_i32_e32 v114, 31, v113
	v_ashrrev_i32_e32 v150, 31, v149
	;; [unrolled: 1-line block ×3, first 2 shown]
	v_add_co_u32 v164, s4, v6, v81
	v_lshlrev_b64 v[113:114], 1, v[113:114]
	v_lshlrev_b64 v[145:146], 1, v[145:146]
	v_add_co_ci_u32_e64 v165, null, v7, v82, s4
	v_ashrrev_i32_e32 v161, 31, v160
	v_lshlrev_b64 v[149:150], 1, v[149:150]
	v_add_co_u32 v166, s4, v6, v113
	v_add_co_ci_u32_e64 v167, null, v7, v114, s4
	v_add_co_u32 v176, s4, v6, v145
	v_add_co_ci_u32_e64 v177, null, v7, v146, s4
	v_lshlrev_b64 v[160:161], 1, v[160:161]
	s_waitcnt vmcnt(22) lgkmcnt(22)
	v_cmp_lt_i16_e64 s4, v116, v151
	s_waitcnt vmcnt(20) lgkmcnt(20)
	v_cmp_lt_i16_e64 s5, v178, v179
	v_add_co_u32 v178, s18, v6, v147
	s_waitcnt vmcnt(18) lgkmcnt(18)
	v_cmp_lt_i16_e64 s6, v180, v181
	v_cndmask_b32_e64 v81, v117, v55, s4
	s_waitcnt vmcnt(16) lgkmcnt(16)
	v_cmp_lt_i16_e64 s7, v182, v183
	v_cndmask_b32_e64 v83, v118, v71, s5
	;; [unrolled: 3-line block ×4, first 2 shown]
	v_add_co_ci_u32_e64 v179, null, v7, v148, s18
	v_cndmask_b32_e64 v148, v84, v128, s7
	v_bfe_i32 v84, v81, 0, 16
	s_waitcnt vmcnt(8) lgkmcnt(8)
	v_cmp_lt_i16_e64 s15, v198, v199
	v_cmp_lt_i16_e64 s14, v196, v197
	v_add_co_u32 v180, s18, v6, v149
	v_bfe_i32 v128, v83, 0, 16
	v_cndmask_b32_e64 v99, v129, v85, s10
	v_cndmask_b32_e64 v101, v130, v86, s11
	v_add_co_ci_u32_e64 v181, null, v7, v150, s18
	v_cndmask_b32_e64 v150, v86, v130, s11
	v_bfe_i32 v130, v87, 0, 16
	v_add_co_u32 v182, s18, v6, v160
	v_cndmask_b32_e64 v149, v85, v129, s10
	v_ashrrev_i32_e32 v85, 31, v84
	v_cndmask_b32_e64 v113, v132, v98, s15
	s_waitcnt vmcnt(6) lgkmcnt(6)
	v_cmp_lt_i16_e64 s16, v208, v209
	s_waitcnt vmcnt(4) lgkmcnt(4)
	v_cmp_lt_i16_e64 s17, v210, v211
	v_cndmask_b32_e64 v160, v98, v132, s15
	v_bfe_i32 v132, v97, 0, 16
	v_cndmask_b32_e64 v103, v131, v96, s14
	v_add_co_ci_u32_e64 v183, null, v7, v161, s18
	v_ashrrev_i32_e32 v129, 31, v128
	v_cndmask_b32_e64 v146, v71, v118, s5
	v_cndmask_b32_e64 v147, v80, v119, s6
	s_clause 0x3
	flat_load_ushort v69, v[178:179]
	flat_load_ushort v71, v[162:163]
	;; [unrolled: 1-line block ×4, first 2 shown]
	v_bfe_i32 v162, v99, 0, 16
	v_cndmask_b32_e64 v151, v96, v131, s14
	v_ashrrev_i32_e32 v131, 31, v130
	v_bfe_i32 v164, v101, 0, 16
	v_lshlrev_b64 v[84:85], 1, v[84:85]
	v_cndmask_b32_e64 v114, v133, v100, s16
	v_cndmask_b32_e64 v116, v102, v144, s17
	;; [unrolled: 1-line block ×3, first 2 shown]
	s_waitcnt vmcnt(6) lgkmcnt(6)
	v_cmp_lt_i16_e64 s5, v212, v213
	v_ashrrev_i32_e32 v133, 31, v132
	s_clause 0x1
	flat_load_ushort v86, v[182:183]
	flat_load_ushort v96, v[166:167]
	v_bfe_i32 v166, v103, 0, 16
	v_lshlrev_b64 v[128:129], 1, v[128:129]
	v_ashrrev_i32_e32 v163, 31, v162
	v_bfe_i32 v178, v113, 0, 16
	v_lshlrev_b64 v[130:131], 1, v[130:131]
	v_cndmask_b32_e64 v145, v55, v117, s4
	v_ashrrev_i32_e32 v165, 31, v164
	v_cndmask_b32_e64 v118, v144, v102, s17
	v_cndmask_b32_e64 v144, v135, v65, s5
	v_bfe_i32 v180, v116, 0, 16
	v_cndmask_b32_e64 v66, v65, v135, s5
	v_lshlrev_b64 v[132:133], 1, v[132:133]
	v_add_co_u32 v84, s5, v6, v84
	v_ashrrev_i32_e32 v167, 31, v166
	v_bfe_i32 v182, v114, 0, 16
	v_lshlrev_b64 v[162:163], 1, v[162:163]
	v_add_co_ci_u32_e64 v85, null, v7, v85, s5
	v_add_co_u32 v128, s5, v6, v128
	v_ashrrev_i32_e32 v179, 31, v178
	v_bfe_i32 v192, v145, 0, 16
	v_lshlrev_b64 v[164:165], 1, v[164:165]
	v_add_co_ci_u32_e64 v129, null, v7, v129, s5
	v_add_co_u32 v130, s5, v6, v130
	v_ashrrev_i32_e32 v181, 31, v180
	v_bfe_i32 v194, v146, 0, 16
	v_lshlrev_b64 v[166:167], 1, v[166:167]
	v_add_co_ci_u32_e64 v131, null, v7, v131, s5
	v_add_co_u32 v132, s5, v6, v132
	v_ashrrev_i32_e32 v183, 31, v182
	v_bfe_i32 v196, v147, 0, 16
	v_lshlrev_b64 v[178:179], 1, v[178:179]
	v_add_co_ci_u32_e64 v133, null, v7, v133, s5
	v_add_co_u32 v162, s5, v6, v162
	v_ashrrev_i32_e32 v193, 31, v192
	v_bfe_i32 v198, v148, 0, 16
	v_lshlrev_b64 v[180:181], 1, v[180:181]
	v_add_co_ci_u32_e64 v163, null, v7, v163, s5
	v_add_co_u32 v164, s5, v6, v164
	v_ashrrev_i32_e32 v195, 31, v194
	v_bfe_i32 v208, v149, 0, 16
	v_lshlrev_b64 v[182:183], 1, v[182:183]
	v_add_co_ci_u32_e64 v165, null, v7, v165, s5
	v_add_co_u32 v166, s5, v6, v166
	v_ashrrev_i32_e32 v197, 31, v196
	v_bfe_i32 v210, v150, 0, 16
	v_lshlrev_b64 v[192:193], 1, v[192:193]
	v_add_co_ci_u32_e64 v167, null, v7, v167, s5
	v_add_co_u32 v178, s5, v6, v178
	v_ashrrev_i32_e32 v199, 31, v198
	v_bfe_i32 v212, v151, 0, 16
	v_lshlrev_b64 v[194:195], 1, v[194:195]
	v_add_co_ci_u32_e64 v179, null, v7, v179, s5
	v_add_co_u32 v180, s5, v6, v180
	v_ashrrev_i32_e32 v209, 31, v208
	s_waitcnt vmcnt(6) lgkmcnt(6)
	v_cmp_lt_i16_e64 s4, v214, v215
	v_bfe_i32 v214, v160, 0, 16
	v_lshlrev_b64 v[196:197], 1, v[196:197]
	v_add_co_ci_u32_e64 v181, null, v7, v181, s5
	v_add_co_u32 v182, s5, v6, v182
	v_ashrrev_i32_e32 v211, 31, v210
	v_bfe_i32 v224, v161, 0, 16
	v_lshlrev_b64 v[198:199], 1, v[198:199]
	v_add_co_ci_u32_e64 v183, null, v7, v183, s5
	v_add_co_u32 v192, s5, v6, v192
	v_ashrrev_i32_e32 v213, 31, v212
	;; [unrolled: 5-line block ×4, first 2 shown]
	v_lshlrev_b64 v[212:213], 1, v[212:213]
	v_add_co_ci_u32_e64 v197, null, v7, v197, s5
	v_add_co_u32 v198, s5, v6, v198
	v_ashrrev_i32_e32 v227, 31, v226
	v_lshlrev_b64 v[214:215], 1, v[214:215]
	v_add_co_ci_u32_e64 v199, null, v7, v199, s5
	v_add_co_u32 v208, s5, v6, v208
	v_ashrrev_i32_e32 v229, 31, v228
	v_lshlrev_b64 v[224:225], 1, v[224:225]
	v_add_co_ci_u32_e64 v209, null, v7, v209, s5
	v_add_co_u32 v210, s5, v6, v210
	v_lshlrev_b64 v[226:227], 1, v[226:227]
	v_add_co_ci_u32_e64 v211, null, v7, v211, s5
	v_add_co_u32 v212, s5, v6, v212
	;; [unrolled: 3-line block ×3, first 2 shown]
	v_add_co_ci_u32_e64 v215, null, v7, v215, s5
	v_add_co_u32 v224, s5, v6, v224
	v_add_co_ci_u32_e64 v225, null, v7, v225, s5
	v_add_co_u32 v226, s5, v6, v226
	;; [unrolled: 2-line block ×3, first 2 shown]
	v_add_co_ci_u32_e64 v229, null, v7, v229, s5
	s_clause 0x15
	flat_load_ushort v100, v[192:193]
	flat_load_ushort v102, v[176:177]
	;; [unrolled: 1-line block ×22, first 2 shown]
	v_cndmask_b32_e64 v55, v67, v64, s4
	v_bfe_i32 v84, v66, 0, 16
	v_cndmask_b32_e64 v52, v64, v67, s4
	v_bfe_i32 v64, v51, 0, 16
	v_bfe_i32 v230, v55, 0, 16
	v_ashrrev_i32_e32 v85, 31, v84
	v_ashrrev_i32_e32 v65, 31, v64
	;; [unrolled: 1-line block ×3, first 2 shown]
	v_lshlrev_b64 v[84:85], 1, v[84:85]
	v_lshlrev_b64 v[64:65], 1, v[64:65]
	;; [unrolled: 1-line block ×3, first 2 shown]
	v_add_co_u32 v162, vcc_lo, v6, v64
	v_add_co_u32 v128, s5, v6, v128
	v_add_co_ci_u32_e64 v129, null, v7, v129, s5
	v_add_co_u32 v84, s5, v6, v84
	v_add_co_ci_u32_e64 v85, null, v7, v85, s5
	s_clause 0x1
	flat_load_ushort v214, v[128:129]
	flat_load_ushort v215, v[84:85]
	v_bfe_i32 v84, v52, 0, 16
	v_add_co_ci_u32_e64 v163, null, v7, v65, vcc_lo
	v_ashrrev_i32_e32 v85, 31, v84
	v_lshlrev_b64 v[84:85], 1, v[84:85]
	v_add_co_u32 v164, vcc_lo, v6, v84
	v_add_co_ci_u32_e64 v165, null, v7, v85, vcc_lo
	s_waitcnt vmcnt(28) lgkmcnt(28)
	v_cmp_lt_i16_e32 vcc_lo, v69, v71
	s_waitcnt vmcnt(26) lgkmcnt(26)
	v_cmp_lt_i16_e64 s4, v80, v82
	v_cndmask_b32_e32 v64, v54, v53, vcc_lo
	v_cndmask_b32_e32 v50, v53, v54, vcc_lo
	v_cndmask_b32_e64 v82, v134, v112, s4
	v_cndmask_b32_e64 v85, v112, v134, s4
	v_bfe_i32 v53, v50, 0, 16
	v_bfe_i32 v128, v82, 0, 16
	s_waitcnt vmcnt(24) lgkmcnt(24)
	v_cmp_lt_i16_e64 s5, v86, v96
	v_bfe_i32 v132, v85, 0, 16
	v_ashrrev_i32_e32 v54, 31, v53
	v_ashrrev_i32_e32 v129, 31, v128
	v_cndmask_b32_e64 v69, v70, v115, s5
	v_cndmask_b32_e64 v98, v115, v70, s5
	v_bfe_i32 v70, v64, 0, 16
	v_ashrrev_i32_e32 v133, 31, v132
	v_lshlrev_b64 v[128:129], 1, v[128:129]
	v_bfe_i32 v130, v69, 0, 16
	v_bfe_i32 v134, v98, 0, 16
	v_ashrrev_i32_e32 v71, 31, v70
	v_lshlrev_b64 v[132:133], 1, v[132:133]
	v_lshlrev_b64 v[53:54], 1, v[53:54]
	v_ashrrev_i32_e32 v131, 31, v130
	v_ashrrev_i32_e32 v135, 31, v134
	v_lshlrev_b64 v[70:71], 1, v[70:71]
	v_lshlrev_b64 v[130:131], 1, v[130:131]
	;; [unrolled: 1-line block ×3, first 2 shown]
	v_add_co_u32 v166, s4, v6, v70
	v_add_co_ci_u32_e64 v167, null, v7, v71, s4
	v_add_co_u32 v176, s4, v6, v128
	v_add_co_ci_u32_e64 v177, null, v7, v129, s4
	;; [unrolled: 2-line block ×3, first 2 shown]
	s_waitcnt vmcnt(22) lgkmcnt(22)
	v_cmp_lt_i16_e64 s4, v100, v102
	s_waitcnt vmcnt(20) lgkmcnt(20)
	v_cmp_lt_i16_e64 s5, v117, v119
	;; [unrolled: 2-line block ×3, first 2 shown]
	v_cndmask_b32_e64 v70, v145, v68, s4
	s_waitcnt vmcnt(16) lgkmcnt(16)
	v_cmp_lt_i16_e64 s7, v194, v195
	v_cndmask_b32_e64 v71, v146, v81, s5
	s_waitcnt vmcnt(14) lgkmcnt(14)
	v_cmp_lt_i16_e64 s10, v196, v197
	;; [unrolled: 3-line block ×6, first 2 shown]
	v_bfe_i32 v146, v80, 0, 16
	s_waitcnt vmcnt(4) lgkmcnt(4)
	v_cmp_lt_i16_e64 s17, v180, v181
	v_add_co_u32 v180, s19, v6, v132
	s_waitcnt vmcnt(2) lgkmcnt(2)
	v_cmp_lt_i16_e64 s18, v182, v183
	v_cndmask_b32_e64 v112, v161, v113, s16
	v_add_co_ci_u32_e64 v181, null, v7, v133, s19
	v_add_co_u32 v182, s19, v6, v134
	v_cndmask_b32_e64 v134, v113, v161, s16
	v_bfe_i32 v113, v70, 0, 16
	v_cndmask_b32_e64 v117, v118, v144, s18
	v_cndmask_b32_e64 v65, v144, v118, s18
	v_bfe_i32 v144, v71, 0, 16
	v_cndmask_b32_e64 v96, v150, v99, s11
	v_cndmask_b32_e64 v115, v116, v114, s17
	v_add_co_ci_u32_e64 v183, null, v7, v135, s19
	v_cndmask_b32_e64 v135, v114, v116, s17
	v_ashrrev_i32_e32 v114, 31, v113
	v_cndmask_b32_e64 v129, v87, v148, s7
	v_bfe_i32 v148, v84, 0, 16
	v_cndmask_b32_e64 v100, v151, v101, s14
	v_cndmask_b32_e64 v119, v68, v145, s4
	v_ashrrev_i32_e32 v145, 31, v144
	v_cndmask_b32_e64 v131, v99, v150, s11
	v_bfe_i32 v150, v86, 0, 16
	v_cndmask_b32_e64 v102, v160, v103, s15
	v_cndmask_b32_e64 v128, v83, v147, s6
	v_ashrrev_i32_e32 v147, 31, v146
	v_cndmask_b32_e64 v133, v103, v160, s15
	v_bfe_i32 v160, v96, 0, 16
	v_lshlrev_b64 v[113:114], 1, v[113:114]
	v_cndmask_b32_e64 v130, v97, v149, s10
	v_ashrrev_i32_e32 v149, 31, v148
	v_cndmask_b32_e64 v132, v101, v151, s14
	s_clause 0x5
	flat_load_ushort v68, v[162:163]
	flat_load_ushort v83, v[164:165]
	;; [unrolled: 1-line block ×6, first 2 shown]
	v_bfe_i32 v162, v100, 0, 16
	v_lshlrev_b64 v[144:145], 1, v[144:145]
	v_ashrrev_i32_e32 v151, 31, v150
	v_bfe_i32 v164, v102, 0, 16
	v_lshlrev_b64 v[146:147], 1, v[146:147]
	v_ashrrev_i32_e32 v161, 31, v160
	v_bfe_i32 v166, v112, 0, 16
	v_lshlrev_b64 v[148:149], 1, v[148:149]
	v_add_co_u32 v113, s5, v6, v113
	v_ashrrev_i32_e32 v163, 31, v162
	v_bfe_i32 v176, v117, 0, 16
	v_lshlrev_b64 v[150:151], 1, v[150:151]
	v_add_co_ci_u32_e64 v114, null, v7, v114, s5
	v_add_co_u32 v144, s5, v6, v144
	v_ashrrev_i32_e32 v165, 31, v164
	v_bfe_i32 v180, v115, 0, 16
	v_lshlrev_b64 v[160:161], 1, v[160:161]
	v_add_co_ci_u32_e64 v145, null, v7, v145, s5
	;; [unrolled: 5-line block ×7, first 2 shown]
	v_add_co_u32 v164, s5, v6, v164
	v_ashrrev_i32_e32 v195, 31, v194
	s_waitcnt vmcnt(6) lgkmcnt(6)
	v_cmp_lt_i16_e64 s4, v214, v215
	v_bfe_i32 v208, v131, 0, 16
	v_lshlrev_b64 v[182:183], 1, v[182:183]
	v_add_co_ci_u32_e64 v165, null, v7, v165, s5
	v_add_co_u32 v166, s5, v6, v166
	v_ashrrev_i32_e32 v197, 31, v196
	v_bfe_i32 v210, v132, 0, 16
	v_lshlrev_b64 v[192:193], 1, v[192:193]
	v_add_co_ci_u32_e64 v167, null, v7, v167, s5
	v_add_co_u32 v176, s5, v6, v176
	v_ashrrev_i32_e32 v199, 31, v198
	v_bfe_i32 v212, v133, 0, 16
	v_lshlrev_b64 v[194:195], 1, v[194:195]
	v_add_co_ci_u32_e64 v177, null, v7, v177, s5
	v_add_co_u32 v180, s5, v6, v180
	v_cndmask_b32_e64 v67, v66, v55, s4
	v_ashrrev_i32_e32 v209, 31, v208
	v_bfe_i32 v214, v134, 0, 16
	v_lshlrev_b64 v[196:197], 1, v[196:197]
	v_add_co_ci_u32_e64 v181, null, v7, v181, s5
	v_add_co_u32 v182, s5, v6, v182
	v_ashrrev_i32_e32 v211, 31, v210
	v_bfe_i32 v224, v135, 0, 16
	v_lshlrev_b64 v[198:199], 1, v[198:199]
	v_add_co_ci_u32_e64 v183, null, v7, v183, s5
	v_add_co_u32 v192, s5, v6, v192
	;; [unrolled: 5-line block ×4, first 2 shown]
	v_ashrrev_i32_e32 v225, 31, v224
	v_lshlrev_b64 v[212:213], 1, v[212:213]
	v_add_co_ci_u32_e64 v197, null, v7, v197, s5
	v_add_co_u32 v198, s5, v6, v198
	v_ashrrev_i32_e32 v227, 31, v226
	v_lshlrev_b64 v[214:215], 1, v[214:215]
	v_add_co_ci_u32_e64 v199, null, v7, v199, s5
	v_add_co_u32 v208, s5, v6, v208
	;; [unrolled: 4-line block ×3, first 2 shown]
	v_lshlrev_b64 v[226:227], 1, v[226:227]
	v_add_co_ci_u32_e64 v211, null, v7, v211, s5
	v_add_co_u32 v212, s5, v6, v212
	v_lshlrev_b64 v[228:229], 1, v[228:229]
	v_add_co_ci_u32_e64 v213, null, v7, v213, s5
	v_add_co_u32 v214, s5, v6, v214
	v_add_co_ci_u32_e64 v215, null, v7, v215, s5
	v_add_co_u32 v224, s5, v6, v224
	;; [unrolled: 2-line block ×4, first 2 shown]
	v_add_co_ci_u32_e64 v229, null, v7, v229, s5
	s_clause 0x17
	flat_load_ushort v103, v[182:183]
	flat_load_ushort v116, v[178:179]
	;; [unrolled: 1-line block ×24, first 2 shown]
	v_cndmask_b32_e64 v146, v55, v66, s4
	v_add_co_u32 v147, s4, v6, v53
	v_add_co_ci_u32_e64 v148, null, v7, v54, s4
	v_bfe_i32 v149, v146, 0, 16
	v_ashrrev_i32_e32 v150, 31, v149
	s_waitcnt vmcnt(28) lgkmcnt(28)
	v_cmp_lt_i16_e32 vcc_lo, v68, v83
	s_waitcnt vmcnt(26) lgkmcnt(26)
	v_cmp_lt_i16_e64 s4, v87, v97
	s_waitcnt vmcnt(24) lgkmcnt(24)
	v_cmp_lt_i16_e64 s5, v99, v101
	v_cndmask_b32_e32 v144, v52, v51, vcc_lo
	v_cndmask_b32_e32 v51, v51, v52, vcc_lo
	v_cndmask_b32_e64 v54, v85, v64, s4
	v_cndmask_b32_e64 v53, v64, v85, s4
	;; [unrolled: 1-line block ×3, first 2 shown]
	v_bfe_i32 v113, v144, 0, 16
	v_cndmask_b32_e64 v55, v82, v98, s5
	v_bfe_i32 v82, v54, 0, 16
	v_lshlrev_b64 v[97:98], 1, v[149:150]
	v_bfe_i32 v149, v68, 0, 16
	v_ashrrev_i32_e32 v114, 31, v113
	v_bfe_i32 v160, v53, 0, 16
	v_ashrrev_i32_e32 v83, 31, v82
	;; [unrolled: 2-line block ×3, first 2 shown]
	v_lshlrev_b64 v[113:114], 1, v[113:114]
	v_ashrrev_i32_e32 v161, 31, v160
	v_lshlrev_b64 v[82:83], 1, v[82:83]
	v_ashrrev_i32_e32 v163, 31, v162
	v_add_co_u32 v164, s4, v6, v113
	v_add_co_ci_u32_e64 v165, null, v7, v114, s4
	v_add_co_u32 v166, s4, v6, v97
	v_add_co_ci_u32_e64 v167, null, v7, v98, s4
	v_lshlrev_b64 v[97:98], 1, v[149:150]
	v_lshlrev_b64 v[149:150], 1, v[160:161]
	;; [unrolled: 1-line block ×3, first 2 shown]
	v_add_co_u32 v162, s4, v6, v82
	v_add_co_ci_u32_e64 v163, null, v7, v83, s4
	v_add_co_u32 v149, s20, v6, v149
	v_add_co_u32 v176, s4, v6, v97
	v_add_co_ci_u32_e64 v150, null, v7, v150, s20
	v_add_co_u32 v160, s20, v6, v160
	v_add_co_ci_u32_e64 v161, null, v7, v161, s20
	v_add_co_ci_u32_e64 v177, null, v7, v98, s4
	s_waitcnt vmcnt(22) lgkmcnt(22)
	v_cmp_lt_i16_e64 s5, v103, v116
	s_waitcnt vmcnt(20) lgkmcnt(20)
	v_cmp_lt_i16_e64 s6, v118, v178
	;; [unrolled: 2-line block ×3, first 2 shown]
	v_cndmask_b32_e64 v83, v119, v69, s5
	s_waitcnt vmcnt(16) lgkmcnt(16)
	v_cmp_lt_i16_e64 s10, v182, v183
	v_cndmask_b32_e64 v85, v81, v70, s6
	s_waitcnt vmcnt(14) lgkmcnt(14)
	v_cmp_lt_i16_e64 s11, v192, v193
	;; [unrolled: 3-line block ×4, first 2 shown]
	v_bfe_i32 v69, v83, 0, 16
	v_cndmask_b32_e64 v97, v129, v80, s10
	v_cndmask_b32_e64 v129, v80, v129, s10
	v_bfe_i32 v80, v85, 0, 16
	v_cndmask_b32_e64 v99, v130, v84, s11
	v_cndmask_b32_e64 v101, v131, v86, s14
	;; [unrolled: 1-line block ×3, first 2 shown]
	s_waitcnt vmcnt(8) lgkmcnt(8)
	v_cmp_lt_i16_e64 s16, v197, v198
	v_cndmask_b32_e64 v128, v71, v128, s7
	v_cndmask_b32_e64 v130, v84, v130, s11
	;; [unrolled: 1-line block ×4, first 2 shown]
	s_clause 0x5
	flat_load_ushort v71, v[164:165]
	flat_load_ushort v82, v[166:167]
	;; [unrolled: 1-line block ×6, first 2 shown]
	v_bfe_i32 v147, v87, 0, 16
	v_cndmask_b32_e64 v145, v70, v81, s6
	v_ashrrev_i32_e32 v70, 31, v69
	s_waitcnt vmcnt(12) lgkmcnt(12)
	v_cmp_lt_i16_e64 s17, v199, v208
	v_bfe_i32 v149, v97, 0, 16
	v_ashrrev_i32_e32 v81, 31, v80
	s_waitcnt vmcnt(8) lgkmcnt(8)
	v_cmp_lt_i16_e64 s19, v211, v180
	v_bfe_i32 v160, v99, 0, 16
	v_cndmask_b32_e64 v113, v133, v100, s16
	v_ashrrev_i32_e32 v148, 31, v147
	v_cmp_lt_i16_e64 s18, v209, v210
	v_bfe_i32 v162, v101, 0, 16
	v_lshlrev_b64 v[69:70], 1, v[69:70]
	v_cndmask_b32_e64 v114, v134, v102, s17
	v_ashrrev_i32_e32 v150, 31, v149
	s_waitcnt vmcnt(6) lgkmcnt(6)
	v_cmp_lt_i16_e64 s4, v181, v212
	v_bfe_i32 v164, v103, 0, 16
	v_lshlrev_b64 v[80:81], 1, v[80:81]
	v_cndmask_b32_e64 v118, v115, v117, s19
	v_ashrrev_i32_e32 v161, 31, v160
	v_bfe_i32 v166, v113, 0, 16
	v_lshlrev_b64 v[147:148], 1, v[147:148]
	v_cndmask_b32_e64 v116, v135, v112, s18
	v_ashrrev_i32_e32 v163, 31, v162
	v_bfe_i32 v178, v114, 0, 16
	v_lshlrev_b64 v[149:150], 1, v[149:150]
	v_add_co_u32 v69, s5, v6, v69
	v_cndmask_b32_e64 v64, v65, v67, s4
	v_ashrrev_i32_e32 v165, 31, v164
	v_bfe_i32 v180, v118, 0, 16
	v_lshlrev_b64 v[160:161], 1, v[160:161]
	v_add_co_ci_u32_e64 v70, null, v7, v70, s5
	v_add_co_u32 v80, s5, v6, v80
	v_ashrrev_i32_e32 v167, 31, v166
	v_bfe_i32 v182, v116, 0, 16
	v_lshlrev_b64 v[162:163], 1, v[162:163]
	v_add_co_ci_u32_e64 v81, null, v7, v81, s5
	v_add_co_u32 v147, s5, v6, v147
	;; [unrolled: 5-line block ×8, first 2 shown]
	v_cndmask_b32_e64 v133, v100, v133, s16
	v_ashrrev_i32_e32 v199, 31, v198
	v_bfe_i32 v212, v131, 0, 16
	v_lshlrev_b64 v[194:195], 1, v[194:195]
	v_add_co_ci_u32_e64 v179, null, v7, v179, s5
	v_add_co_u32 v180, s5, v6, v180
	v_cndmask_b32_e64 v134, v102, v134, s17
	v_ashrrev_i32_e32 v209, 31, v208
	v_bfe_i32 v214, v132, 0, 16
	v_lshlrev_b64 v[196:197], 1, v[196:197]
	v_add_co_ci_u32_e64 v181, null, v7, v181, s5
	v_add_co_u32 v182, s5, v6, v182
	;; [unrolled: 6-line block ×4, first 2 shown]
	v_ashrrev_i32_e32 v215, 31, v214
	v_bfe_i32 v228, v135, 0, 16
	v_lshlrev_b64 v[210:211], 1, v[210:211]
	v_add_co_ci_u32_e64 v195, null, v7, v195, s5
	v_add_co_u32 v196, s5, v6, v196
	v_ashrrev_i32_e32 v225, 31, v224
	v_bfe_i32 v230, v66, 0, 16
	v_lshlrev_b64 v[212:213], 1, v[212:213]
	v_add_co_ci_u32_e64 v197, null, v7, v197, s5
	v_add_co_u32 v198, s5, v6, v198
	v_ashrrev_i32_e32 v227, 31, v226
	v_lshlrev_b64 v[214:215], 1, v[214:215]
	v_add_co_ci_u32_e64 v199, null, v7, v199, s5
	v_add_co_u32 v208, s5, v6, v208
	v_ashrrev_i32_e32 v229, 31, v228
	;; [unrolled: 4-line block ×3, first 2 shown]
	v_lshlrev_b64 v[226:227], 1, v[226:227]
	v_add_co_ci_u32_e64 v211, null, v7, v211, s5
	v_add_co_u32 v212, s5, v6, v212
	v_lshlrev_b64 v[228:229], 1, v[228:229]
	v_add_co_ci_u32_e64 v213, null, v7, v213, s5
	v_add_co_u32 v214, s5, v6, v214
	;; [unrolled: 3-line block ×3, first 2 shown]
	v_add_co_ci_u32_e64 v225, null, v7, v225, s5
	v_add_co_u32 v226, s5, v6, v226
	v_add_co_ci_u32_e64 v227, null, v7, v227, s5
	v_add_co_u32 v228, s5, v6, v228
	;; [unrolled: 2-line block ×3, first 2 shown]
	v_add_co_ci_u32_e64 v231, null, v7, v231, s5
	s_clause 0x17
	flat_load_ushort v100, v[194:195]
	flat_load_ushort v102, v[176:177]
	;; [unrolled: 1-line block ×24, first 2 shown]
	v_cndmask_b32_e64 v67, v67, v65, s4
	v_bfe_i32 v69, v51, 0, 16
	v_bfe_i32 v80, v67, 0, 16
	v_ashrrev_i32_e32 v70, 31, v69
	v_ashrrev_i32_e32 v81, 31, v80
	v_lshlrev_b64 v[69:70], 1, v[69:70]
	v_lshlrev_b64 v[80:81], 1, v[80:81]
	v_add_co_u32 v147, s4, v6, v69
	v_add_co_ci_u32_e64 v148, null, v7, v70, s4
	s_waitcnt vmcnt(28) lgkmcnt(28)
	v_cmp_lt_i16_e32 vcc_lo, v71, v82
	s_waitcnt vmcnt(24) lgkmcnt(24)
	v_cmp_lt_i16_e64 s4, v96, v98
	v_cndmask_b32_e32 v71, v146, v144, vcc_lo
	v_cndmask_b32_e32 v52, v144, v146, vcc_lo
	v_add_co_u32 v80, vcc_lo, v6, v80
	v_add_co_ci_u32_e64 v81, null, v7, v81, vcc_lo
	v_bfe_i32 v149, v71, 0, 16
	v_cmp_lt_i16_e32 vcc_lo, v84, v86
	v_bfe_i32 v160, v52, 0, 16
	v_cndmask_b32_e64 v70, v54, v55, s4
	v_cndmask_b32_e64 v65, v55, v54, s4
	v_ashrrev_i32_e32 v150, 31, v149
	v_cndmask_b32_e32 v69, v53, v50, vcc_lo
	v_ashrrev_i32_e32 v161, 31, v160
	v_bfe_i32 v164, v70, 0, 16
	v_bfe_i32 v162, v65, 0, 16
	v_lshlrev_b64 v[149:150], 1, v[149:150]
	v_bfe_i32 v54, v69, 0, 16
	v_lshlrev_b64 v[160:161], 1, v[160:161]
	v_ashrrev_i32_e32 v165, 31, v164
	v_ashrrev_i32_e32 v163, 31, v162
	v_cndmask_b32_e32 v50, v50, v53, vcc_lo
	v_add_co_u32 v149, s4, v6, v149
	v_add_co_ci_u32_e64 v150, null, v7, v150, s4
	v_ashrrev_i32_e32 v55, 31, v54
	s_clause 0x1
	flat_load_ushort v230, v[149:150]
	flat_load_ushort v231, v[80:81]
	v_add_co_u32 v149, s4, v6, v160
	v_add_co_ci_u32_e64 v150, null, v7, v161, s4
	v_lshlrev_b64 v[160:161], 1, v[164:165]
	v_lshlrev_b64 v[54:55], 1, v[54:55]
	;; [unrolled: 1-line block ×3, first 2 shown]
	v_add_co_u32 v160, s20, v6, v160
	v_add_co_u32 v162, s4, v6, v54
	v_add_co_ci_u32_e64 v161, null, v7, v161, s20
	v_add_co_ci_u32_e64 v163, null, v7, v55, s4
	v_add_co_u32 v164, s4, v6, v80
	v_add_co_ci_u32_e64 v165, null, v7, v81, s4
	s_waitcnt vmcnt(24) lgkmcnt(24)
	v_cmp_lt_i16_e64 s5, v100, v102
	s_waitcnt vmcnt(22) lgkmcnt(22)
	v_cmp_lt_i16_e64 s6, v112, v115
	;; [unrolled: 2-line block ×3, first 2 shown]
	v_cndmask_b32_e64 v80, v119, v68, s5
	s_waitcnt vmcnt(18) lgkmcnt(18)
	v_cmp_lt_i16_e64 s10, v176, v177
	v_cndmask_b32_e64 v81, v145, v83, s6
	s_waitcnt vmcnt(16) lgkmcnt(16)
	v_cmp_lt_i16_e64 s11, v194, v195
	;; [unrolled: 3-line block ×6, first 2 shown]
	v_cndmask_b32_e64 v115, v83, v145, s6
	v_cndmask_b32_e64 v117, v85, v128, s7
	;; [unrolled: 1-line block ×4, first 2 shown]
	s_clause 0x3
	flat_load_ushort v83, v[147:148]
	flat_load_ushort v85, v[149:150]
	;; [unrolled: 1-line block ×4, first 2 shown]
	v_cndmask_b32_e64 v96, v131, v99, s14
	v_cndmask_b32_e64 v98, v132, v101, s15
	;; [unrolled: 1-line block ×4, first 2 shown]
	s_waitcnt vmcnt(10) lgkmcnt(10)
	v_cmp_lt_i16_e64 s18, v167, v178
	v_cndmask_b32_e64 v130, v99, v131, s14
	v_cndmask_b32_e64 v131, v101, v132, s15
	;; [unrolled: 1-line block ×4, first 2 shown]
	v_bfe_i32 v113, v80, 0, 16
	v_bfe_i32 v144, v81, 0, 16
	;; [unrolled: 1-line block ×3, first 2 shown]
	v_cndmask_b32_e64 v112, v135, v114, s18
	v_cndmask_b32_e64 v134, v114, v135, s18
	v_ashrrev_i32_e32 v114, 31, v113
	v_bfe_i32 v148, v84, 0, 16
	v_ashrrev_i32_e32 v145, 31, v144
	v_bfe_i32 v150, v86, 0, 16
	v_ashrrev_i32_e32 v147, 31, v146
	s_waitcnt vmcnt(6) lgkmcnt(6)
	v_cmp_lt_i16_e64 s4, v181, v182
	v_bfe_i32 v160, v96, 0, 16
	v_lshlrev_b64 v[113:114], 1, v[113:114]
	v_ashrrev_i32_e32 v149, 31, v148
	v_cmp_lt_i16_e64 s19, v179, v180
	v_bfe_i32 v162, v98, 0, 16
	v_lshlrev_b64 v[144:145], 1, v[144:145]
	v_ashrrev_i32_e32 v151, 31, v150
	v_bfe_i32 v166, v100, 0, 16
	v_lshlrev_b64 v[146:147], 1, v[146:147]
	v_cndmask_b32_e64 v55, v66, v64, s4
	v_ashrrev_i32_e32 v161, 31, v160
	v_bfe_i32 v176, v102, 0, 16
	v_lshlrev_b64 v[148:149], 1, v[148:149]
	v_add_co_u32 v113, s5, v6, v113
	v_cndmask_b32_e64 v54, v118, v116, s19
	v_ashrrev_i32_e32 v163, 31, v162
	v_bfe_i32 v178, v112, 0, 16
	v_lshlrev_b64 v[150:151], 1, v[150:151]
	v_add_co_ci_u32_e64 v114, null, v7, v114, s5
	v_add_co_u32 v144, s5, v6, v144
	v_ashrrev_i32_e32 v167, 31, v166
	v_bfe_i32 v180, v55, 0, 16
	v_lshlrev_b64 v[160:161], 1, v[160:161]
	v_add_co_ci_u32_e64 v145, null, v7, v145, s5
	v_add_co_u32 v146, s5, v6, v146
	;; [unrolled: 5-line block ×11, first 2 shown]
	v_cndmask_b32_e64 v116, v116, v118, s19
	v_ashrrev_i32_e32 v211, 31, v210
	v_bfe_i32 v224, v133, 0, 16
	v_lshlrev_b64 v[198:199], 1, v[198:199]
	v_add_co_ci_u32_e64 v183, null, v7, v183, s5
	v_add_co_u32 v192, s5, v6, v192
	v_ashrrev_i32_e32 v213, 31, v212
	v_bfe_i32 v226, v134, 0, 16
	v_lshlrev_b64 v[208:209], 1, v[208:209]
	v_add_co_ci_u32_e64 v193, null, v7, v193, s5
	v_add_co_u32 v194, s5, v6, v194
	;; [unrolled: 5-line block ×3, first 2 shown]
	v_ashrrev_i32_e32 v225, 31, v224
	v_lshlrev_b64 v[212:213], 1, v[212:213]
	v_add_co_ci_u32_e64 v197, null, v7, v197, s5
	v_add_co_u32 v198, s5, v6, v198
	v_ashrrev_i32_e32 v227, 31, v226
	v_lshlrev_b64 v[214:215], 1, v[214:215]
	v_add_co_ci_u32_e64 v199, null, v7, v199, s5
	v_add_co_u32 v208, s5, v6, v208
	;; [unrolled: 4-line block ×3, first 2 shown]
	v_lshlrev_b64 v[226:227], 1, v[226:227]
	v_add_co_ci_u32_e64 v211, null, v7, v211, s5
	v_add_co_u32 v212, s5, v6, v212
	v_lshlrev_b64 v[228:229], 1, v[228:229]
	v_add_co_ci_u32_e64 v213, null, v7, v213, s5
	v_add_co_u32 v214, s5, v6, v214
	v_add_co_ci_u32_e64 v215, null, v7, v215, s5
	v_add_co_u32 v224, s5, v6, v224
	;; [unrolled: 2-line block ×4, first 2 shown]
	v_add_co_ci_u32_e64 v229, null, v7, v229, s5
	s_clause 0x17
	flat_load_ushort v99, v[192:193]
	flat_load_ushort v101, v[164:165]
	;; [unrolled: 1-line block ×24, first 2 shown]
	v_cndmask_b32_e64 v66, v64, v66, s4
	v_bfe_i32 v113, v50, 0, 16
	s_waitcnt vmcnt(28) lgkmcnt(28)
	v_cmp_lt_i16_e64 s4, v230, v231
	v_bfe_i32 v144, v66, 0, 16
	v_ashrrev_i32_e32 v114, 31, v113
	v_cndmask_b32_e64 v149, v67, v71, s4
	v_cndmask_b32_e64 v71, v71, v67, s4
	v_ashrrev_i32_e32 v145, 31, v144
	v_lshlrev_b64 v[113:114], 1, v[113:114]
	v_bfe_i32 v146, v149, 0, 16
	v_bfe_i32 v160, v71, 0, 16
	v_lshlrev_b64 v[144:145], 1, v[144:145]
	v_ashrrev_i32_e32 v147, 31, v146
	v_add_co_u32 v162, s4, v6, v113
	v_add_co_ci_u32_e64 v163, null, v7, v114, s4
	v_ashrrev_i32_e32 v161, 31, v160
	v_add_co_u32 v113, s4, v6, v144
	v_add_co_ci_u32_e64 v114, null, v7, v145, s4
	v_lshlrev_b64 v[144:145], 1, v[146:147]
	v_add_co_u32 v144, s5, v6, v144
	v_add_co_ci_u32_e64 v145, null, v7, v145, s5
	s_waitcnt vmcnt(26) lgkmcnt(26)
	v_cmp_lt_i16_e32 vcc_lo, v83, v85
	s_waitcnt vmcnt(24) lgkmcnt(24)
	v_cmp_lt_i16_e64 s4, v87, v97
	v_cndmask_b32_e32 v118, v52, v51, vcc_lo
	v_cndmask_b32_e32 v51, v51, v52, vcc_lo
	v_cndmask_b32_e64 v64, v70, v69, s4
	v_cndmask_b32_e64 v53, v69, v70, s4
	v_bfe_i32 v150, v118, 0, 16
	v_bfe_i32 v69, v64, 0, 16
	v_ashrrev_i32_e32 v151, 31, v150
	v_ashrrev_i32_e32 v70, 31, v69
	v_lshlrev_b64 v[146:147], 1, v[150:151]
	v_lshlrev_b64 v[150:151], 1, v[160:161]
	v_bfe_i32 v160, v53, 0, 16
	v_lshlrev_b64 v[69:70], 1, v[69:70]
	v_add_co_u32 v146, s4, v6, v146
	v_add_co_ci_u32_e64 v147, null, v7, v147, s4
	v_add_co_u32 v150, s4, v6, v150
	v_add_co_ci_u32_e64 v151, null, v7, v151, s4
	s_clause 0x3
	flat_load_ushort v226, v[144:145]
	flat_load_ushort v227, v[113:114]
	;; [unrolled: 1-line block ×4, first 2 shown]
	v_ashrrev_i32_e32 v161, 31, v160
	v_add_co_u32 v150, s4, v6, v69
	v_add_co_ci_u32_e64 v151, null, v7, v70, s4
	v_lshlrev_b64 v[144:145], 1, v[160:161]
	v_add_co_u32 v160, s20, v6, v144
	v_add_co_ci_u32_e64 v161, null, v7, v145, s20
	s_waitcnt vmcnt(26) lgkmcnt(26)
	v_cmp_lt_i16_e64 s5, v99, v101
	s_waitcnt vmcnt(24) lgkmcnt(24)
	v_cmp_lt_i16_e64 s6, v103, v128
	;; [unrolled: 2-line block ×3, first 2 shown]
	v_cndmask_b32_e64 v70, v68, v65, s5
	s_waitcnt vmcnt(20) lgkmcnt(20)
	v_cmp_lt_i16_e64 s10, v165, v192
	v_cndmask_b32_e64 v83, v115, v80, s6
	s_waitcnt vmcnt(18) lgkmcnt(18)
	v_cmp_lt_i16_e64 s11, v193, v148
	;; [unrolled: 3-line block ×3, first 2 shown]
	v_cndmask_b32_e64 v87, v119, v82, s10
	v_cndmask_b32_e64 v147, v82, v119, s10
	;; [unrolled: 1-line block ×4, first 2 shown]
	s_clause 0x1
	flat_load_ushort v82, v[160:161]
	flat_load_ushort v84, v[162:163]
	v_bfe_i32 v67, v70, 0, 16
	s_waitcnt vmcnt(16) lgkmcnt(16)
	v_cmp_lt_i16_e64 s15, v196, v197
	v_cndmask_b32_e64 v145, v80, v115, s6
	v_bfe_i32 v80, v83, 0, 16
	s_waitcnt vmcnt(14) lgkmcnt(14)
	v_cmp_lt_i16_e64 s16, v198, v199
	s_waitcnt vmcnt(8) lgkmcnt(8)
	v_cmp_lt_i16_e64 s19, v177, v178
	v_bfe_i32 v115, v85, 0, 16
	v_cndmask_b32_e64 v99, v130, v86, s14
	v_cmp_lt_i16_e64 s17, v208, v166
	v_cndmask_b32_e64 v144, v65, v68, s5
	v_ashrrev_i32_e32 v68, 31, v67
	v_bfe_i32 v129, v87, 0, 16
	v_cndmask_b32_e64 v101, v131, v96, s15
	v_cndmask_b32_e64 v146, v81, v117, s7
	v_ashrrev_i32_e32 v81, 31, v80
	v_cmp_lt_i16_e64 s18, v167, v176
	v_cndmask_b32_e64 v96, v96, v131, s15
	v_bfe_i32 v131, v97, 0, 16
	v_cndmask_b32_e64 v103, v132, v98, s16
	v_cndmask_b32_e64 v128, v116, v112, s19
	;; [unrolled: 1-line block ×3, first 2 shown]
	v_ashrrev_i32_e32 v116, 31, v115
	v_cndmask_b32_e64 v113, v133, v100, s17
	s_waitcnt vmcnt(6) lgkmcnt(6)
	v_cmp_lt_i16_e64 s4, v179, v180
	v_cndmask_b32_e64 v100, v100, v133, s17
	v_bfe_i32 v133, v99, 0, 16
	v_lshlrev_b64 v[67:68], 1, v[67:68]
	v_cndmask_b32_e64 v86, v86, v130, s14
	v_ashrrev_i32_e32 v130, 31, v129
	v_bfe_i32 v160, v101, 0, 16
	v_lshlrev_b64 v[80:81], 1, v[80:81]
	v_cndmask_b32_e64 v114, v134, v102, s18
	v_cndmask_b32_e64 v98, v98, v132, s16
	v_ashrrev_i32_e32 v132, 31, v131
	v_bfe_i32 v162, v103, 0, 16
	v_lshlrev_b64 v[115:116], 1, v[115:116]
	v_cndmask_b32_e64 v135, v54, v55, s4
	v_cndmask_b32_e64 v102, v102, v134, s18
	v_ashrrev_i32_e32 v134, 31, v133
	v_bfe_i32 v164, v113, 0, 16
	v_lshlrev_b64 v[129:130], 1, v[129:130]
	v_add_co_u32 v67, s5, v6, v67
	v_ashrrev_i32_e32 v161, 31, v160
	v_bfe_i32 v166, v114, 0, 16
	v_lshlrev_b64 v[131:132], 1, v[131:132]
	v_add_co_ci_u32_e64 v68, null, v7, v68, s5
	v_add_co_u32 v80, s5, v6, v80
	v_ashrrev_i32_e32 v163, 31, v162
	v_bfe_i32 v176, v135, 0, 16
	v_lshlrev_b64 v[133:134], 1, v[133:134]
	v_add_co_ci_u32_e64 v81, null, v7, v81, s5
	;; [unrolled: 5-line block ×14, first 2 shown]
	v_add_co_u32 v192, s5, v6, v192
	v_ashrrev_i32_e32 v213, 31, v212
	v_lshlrev_b64 v[208:209], 1, v[208:209]
	v_add_co_ci_u32_e64 v193, null, v7, v193, s5
	v_add_co_u32 v194, s5, v6, v194
	v_ashrrev_i32_e32 v215, 31, v214
	v_lshlrev_b64 v[210:211], 1, v[210:211]
	v_add_co_ci_u32_e64 v195, null, v7, v195, s5
	;; [unrolled: 4-line block ×3, first 2 shown]
	v_add_co_u32 v198, s5, v6, v198
	v_lshlrev_b64 v[214:215], 1, v[214:215]
	v_add_co_ci_u32_e64 v199, null, v7, v199, s5
	v_add_co_u32 v208, s5, v6, v208
	v_lshlrev_b64 v[224:225], 1, v[224:225]
	v_add_co_ci_u32_e64 v209, null, v7, v209, s5
	v_add_co_u32 v210, s5, v6, v210
	v_add_co_ci_u32_e64 v211, null, v7, v211, s5
	v_add_co_u32 v212, s5, v6, v212
	s_clause 0x1
	flat_load_ushort v119, v[176:177]
	flat_load_ushort v178, v[178:179]
	v_add_co_ci_u32_e64 v213, null, v7, v213, s5
	v_add_co_u32 v214, s5, v6, v214
	v_add_co_ci_u32_e64 v215, null, v7, v215, s5
	v_add_co_u32 v176, s5, v6, v224
	v_add_co_ci_u32_e64 v177, null, v7, v225, s5
	s_clause 0x15
	flat_load_ushort v179, v[180:181]
	flat_load_ushort v151, v[150:151]
	;; [unrolled: 1-line block ×22, first 2 shown]
	v_bfe_i32 v68, v51, 0, 16
	s_waitcnt vmcnt(28) lgkmcnt(28)
	v_cmp_lt_i16_e32 vcc_lo, v226, v227
	v_cndmask_b32_e64 v67, v55, v54, s4
	v_ashrrev_i32_e32 v69, 31, v68
	v_cndmask_b32_e32 v65, v149, v66, vcc_lo
	v_bfe_i32 v80, v67, 0, 16
	v_lshlrev_b64 v[54:55], 1, v[68:69]
	v_cndmask_b32_e32 v68, v66, v149, vcc_lo
	v_ashrrev_i32_e32 v81, 31, v80
	s_waitcnt vmcnt(26) lgkmcnt(26)
	v_cmp_lt_i16_e32 vcc_lo, v228, v229
	v_bfe_i32 v131, v65, 0, 16
	v_bfe_i32 v115, v68, 0, 16
	v_lshlrev_b64 v[80:81], 1, v[80:81]
	v_cndmask_b32_e32 v66, v71, v118, vcc_lo
	v_add_co_u32 v129, s4, v6, v54
	v_ashrrev_i32_e32 v116, 31, v115
	v_cndmask_b32_e32 v54, v118, v71, vcc_lo
	v_add_co_u32 v80, vcc_lo, v6, v80
	v_bfe_i32 v117, v66, 0, 16
	v_lshlrev_b64 v[115:116], 1, v[115:116]
	v_add_co_ci_u32_e64 v81, null, v7, v81, vcc_lo
	v_bfe_i32 v133, v54, 0, 16
	v_ashrrev_i32_e32 v118, 31, v117
	v_add_co_ci_u32_e64 v130, null, v7, v55, s4
	v_add_co_u32 v115, vcc_lo, v6, v115
	v_add_co_ci_u32_e64 v116, null, v7, v116, vcc_lo
	v_ashrrev_i32_e32 v132, 31, v131
	v_ashrrev_i32_e32 v134, 31, v133
	v_lshlrev_b64 v[117:118], 1, v[117:118]
	v_lshlrev_b64 v[131:132], 1, v[131:132]
	;; [unrolled: 1-line block ×3, first 2 shown]
	v_add_co_u32 v117, s4, v6, v117
	v_add_co_ci_u32_e64 v118, null, v7, v118, s4
	v_add_co_u32 v160, s4, v6, v131
	v_add_co_ci_u32_e64 v161, null, v7, v132, s4
	;; [unrolled: 2-line block ×3, first 2 shown]
	s_waitcnt vmcnt(24) lgkmcnt(24)
	v_cmp_lt_i16_e32 vcc_lo, v82, v84
	v_cndmask_b32_e32 v55, v53, v50, vcc_lo
	v_cndmask_b32_e32 v50, v50, v53, vcc_lo
	v_bfe_i32 v149, v55, 0, 16
	v_ashrrev_i32_e32 v150, 31, v149
	v_lshlrev_b64 v[164:165], 1, v[149:150]
	s_clause 0x5
	flat_load_ushort v149, v[115:116]
	flat_load_ushort v150, v[80:81]
	;; [unrolled: 1-line block ×6, first 2 shown]
	v_add_co_u32 v160, s5, v6, v164
	v_add_co_ci_u32_e64 v161, null, v7, v165, s5
	s_waitcnt vmcnt(26) lgkmcnt(26)
	v_cmp_lt_i16_e64 s5, v179, v151
	s_waitcnt vmcnt(24) lgkmcnt(24)
	v_cmp_lt_i16_e64 s6, v180, v181
	;; [unrolled: 2-line block ×3, first 2 shown]
	v_cndmask_b32_e64 v69, v144, v64, s5
	s_waitcnt vmcnt(20) lgkmcnt(20)
	v_cmp_lt_i16_e64 s10, v192, v193
	v_cndmask_b32_e64 v71, v145, v70, s6
	s_waitcnt vmcnt(18) lgkmcnt(18)
	v_cmp_lt_i16_e64 s11, v194, v195
	v_cmp_lt_i16_e64 s4, v119, v178
	v_cndmask_b32_e64 v80, v146, v83, s7
	s_waitcnt vmcnt(16) lgkmcnt(16)
	v_cmp_lt_i16_e64 s14, v196, v197
	s_waitcnt vmcnt(14) lgkmcnt(14)
	v_cmp_lt_i16_e64 s15, v198, v199
	v_cndmask_b32_e64 v81, v147, v85, s10
	s_waitcnt vmcnt(12) lgkmcnt(12)
	v_cmp_lt_i16_e64 s16, v208, v209
	v_cndmask_b32_e64 v52, v135, v128, s4
	;; [unrolled: 3-line block ×4, first 2 shown]
	v_cndmask_b32_e64 v135, v101, v98, s16
	v_bfe_i32 v98, v69, 0, 16
	s_waitcnt vmcnt(6) lgkmcnt(6)
	v_cmp_lt_i16_e64 s19, v176, v166
	v_cndmask_b32_e64 v117, v100, v103, s17
	v_cndmask_b32_e64 v129, v64, v144, s5
	;; [unrolled: 1-line block ×3, first 2 shown]
	v_bfe_i32 v100, v71, 0, 16
	v_cndmask_b32_e64 v82, v148, v87, s11
	v_cndmask_b32_e64 v118, v102, v113, s18
	;; [unrolled: 1-line block ×4, first 2 shown]
	v_bfe_i32 v102, v80, 0, 16
	v_cndmask_b32_e64 v84, v86, v97, s14
	v_cndmask_b32_e64 v115, v96, v99, s15
	;; [unrolled: 1-line block ×3, first 2 shown]
	v_ashrrev_i32_e32 v99, 31, v98
	v_cndmask_b32_e64 v119, v112, v114, s19
	v_cndmask_b32_e64 v83, v83, v146, s7
	;; [unrolled: 1-line block ×3, first 2 shown]
	v_bfe_i32 v112, v81, 0, 16
	v_ashrrev_i32_e32 v101, 31, v100
	v_cndmask_b32_e64 v85, v85, v147, s10
	v_bfe_i32 v147, v82, 0, 16
	v_ashrrev_i32_e32 v103, 31, v102
	v_bfe_i32 v162, v84, 0, 16
	v_lshlrev_b64 v[98:99], 1, v[98:99]
	v_ashrrev_i32_e32 v113, 31, v112
	v_bfe_i32 v164, v115, 0, 16
	v_lshlrev_b64 v[100:101], 1, v[100:101]
	v_cndmask_b32_e64 v87, v87, v148, s11
	v_ashrrev_i32_e32 v148, 31, v147
	v_bfe_i32 v166, v116, 0, 16
	v_lshlrev_b64 v[102:103], 1, v[102:103]
	v_ashrrev_i32_e32 v163, 31, v162
	v_bfe_i32 v176, v117, 0, 16
	v_lshlrev_b64 v[112:113], 1, v[112:113]
	v_add_co_u32 v98, s4, v6, v98
	v_ashrrev_i32_e32 v165, 31, v164
	v_bfe_i32 v178, v118, 0, 16
	v_lshlrev_b64 v[147:148], 1, v[147:148]
	v_add_co_ci_u32_e64 v99, null, v7, v99, s4
	v_add_co_u32 v100, s4, v6, v100
	v_ashrrev_i32_e32 v167, 31, v166
	v_bfe_i32 v180, v128, 0, 16
	v_lshlrev_b64 v[162:163], 1, v[162:163]
	v_add_co_ci_u32_e64 v101, null, v7, v101, s4
	;; [unrolled: 5-line block ×6, first 2 shown]
	v_add_co_u32 v164, s4, v6, v164
	v_cndmask_b32_e64 v97, v97, v86, s14
	v_ashrrev_i32_e32 v193, 31, v192
	v_bfe_i32 v198, v85, 0, 16
	v_lshlrev_b64 v[180:181], 1, v[180:181]
	v_add_co_ci_u32_e64 v165, null, v7, v165, s4
	v_add_co_u32 v166, s4, v6, v166
	v_ashrrev_i32_e32 v195, 31, v194
	v_bfe_i32 v208, v87, 0, 16
	v_lshlrev_b64 v[182:183], 1, v[182:183]
	v_add_co_ci_u32_e64 v167, null, v7, v167, s4
	v_add_co_u32 v176, s4, v6, v176
	;; [unrolled: 5-line block ×8, first 2 shown]
	v_ashrrev_i32_e32 v225, 31, v224
	v_lshlrev_b64 v[212:213], 1, v[212:213]
	v_add_co_ci_u32_e64 v197, null, v7, v197, s4
	v_add_co_u32 v198, s4, v6, v198
	v_ashrrev_i32_e32 v227, 31, v226
	v_lshlrev_b64 v[214:215], 1, v[214:215]
	v_add_co_ci_u32_e64 v199, null, v7, v199, s4
	v_add_co_u32 v208, s4, v6, v208
	;; [unrolled: 4-line block ×3, first 2 shown]
	v_lshlrev_b64 v[226:227], 1, v[226:227]
	v_add_co_ci_u32_e64 v211, null, v7, v211, s4
	v_add_co_u32 v212, s4, v6, v212
	v_lshlrev_b64 v[228:229], 1, v[228:229]
	v_add_co_ci_u32_e64 v213, null, v7, v213, s4
	v_add_co_u32 v214, s4, v6, v214
	v_add_co_ci_u32_e64 v215, null, v7, v215, s4
	v_add_co_u32 v224, s4, v6, v224
	;; [unrolled: 2-line block ×4, first 2 shown]
	v_add_co_ci_u32_e64 v229, null, v7, v229, s4
	s_clause 0x17
	flat_load_ushort v86, v[192:193]
	flat_load_ushort v96, v[160:161]
	;; [unrolled: 1-line block ×24, first 2 shown]
	v_bfe_i32 v98, v50, 0, 16
	v_bfe_i32 v100, v52, 0, 16
	s_waitcnt vmcnt(28) lgkmcnt(28)
	v_cmp_lt_i16_e32 vcc_lo, v149, v150
	v_ashrrev_i32_e32 v99, 31, v98
	v_ashrrev_i32_e32 v101, 31, v100
	v_cndmask_b32_e32 v147, v67, v68, vcc_lo
	v_cndmask_b32_e32 v64, v68, v67, vcc_lo
	v_lshlrev_b64 v[98:99], 1, v[98:99]
	v_bfe_i32 v112, v64, 0, 16
	v_add_co_u32 v148, s4, v6, v98
	v_add_co_ci_u32_e64 v149, null, v7, v99, s4
	v_lshlrev_b64 v[98:99], 1, v[100:101]
	s_waitcnt vmcnt(26) lgkmcnt(26)
	v_cmp_lt_i16_e64 s4, v132, v133
	v_bfe_i32 v100, v147, 0, 16
	v_ashrrev_i32_e32 v113, 31, v112
	v_add_co_u32 v98, vcc_lo, v6, v98
	v_add_co_ci_u32_e64 v99, null, v7, v99, vcc_lo
	s_waitcnt vmcnt(24) lgkmcnt(24)
	v_cmp_lt_i16_e32 vcc_lo, v130, v131
	v_cndmask_b32_e64 v67, v65, v66, s4
	v_cndmask_b32_e64 v65, v66, v65, s4
	v_ashrrev_i32_e32 v101, 31, v100
	v_lshlrev_b64 v[112:113], 1, v[112:113]
	v_cndmask_b32_e32 v68, v54, v51, vcc_lo
	v_bfe_i32 v102, v67, 0, 16
	v_bfe_i32 v132, v65, 0, 16
	v_lshlrev_b64 v[100:101], 1, v[100:101]
	v_cndmask_b32_e32 v51, v51, v54, vcc_lo
	v_bfe_i32 v130, v68, 0, 16
	v_ashrrev_i32_e32 v103, 31, v102
	v_ashrrev_i32_e32 v133, 31, v132
	v_add_co_u32 v100, s4, v6, v100
	v_ashrrev_i32_e32 v131, 31, v130
	v_lshlrev_b64 v[102:103], 1, v[102:103]
	v_add_co_ci_u32_e64 v101, null, v7, v101, s4
	v_lshlrev_b64 v[132:133], 1, v[132:133]
	v_lshlrev_b64 v[130:131], 1, v[130:131]
	v_add_co_u32 v102, s4, v6, v102
	v_add_co_ci_u32_e64 v103, null, v7, v103, s4
	v_add_co_u32 v112, s4, v6, v112
	v_add_co_ci_u32_e64 v113, null, v7, v113, s4
	;; [unrolled: 2-line block ×4, first 2 shown]
	s_clause 0x5
	flat_load_ushort v66, v[100:101]
	flat_load_ushort v226, v[98:99]
	;; [unrolled: 1-line block ×6, first 2 shown]
	s_waitcnt vmcnt(28) lgkmcnt(28)
	v_cmp_lt_i16_e64 s4, v86, v96
	s_waitcnt vmcnt(26) lgkmcnt(26)
	v_cmp_lt_i16_e64 s5, v114, v151
	s_waitcnt vmcnt(24) lgkmcnt(24)
	v_cmp_lt_i16_e64 s6, v160, v161
	v_cndmask_b32_e64 v86, v129, v55, s4
	s_waitcnt vmcnt(22) lgkmcnt(22)
	v_cmp_lt_i16_e64 s7, v192, v193
	v_cndmask_b32_e64 v96, v70, v69, s5
	s_waitcnt vmcnt(20) lgkmcnt(20)
	v_cmp_lt_i16_e64 s10, v194, v195
	;; [unrolled: 3-line block ×3, first 2 shown]
	v_cndmask_b32_e64 v55, v55, v129, s4
	v_cndmask_b32_e64 v129, v69, v70, s5
	v_bfe_i32 v69, v86, 0, 16
	v_cndmask_b32_e64 v99, v85, v80, s7
	s_waitcnt vmcnt(16) lgkmcnt(16)
	v_cmp_lt_i16_e64 s14, v198, v162
	v_cndmask_b32_e64 v131, v80, v85, s7
	v_bfe_i32 v80, v96, 0, 16
	v_cndmask_b32_e64 v100, v87, v81, s10
	s_waitcnt vmcnt(12) lgkmcnt(12)
	v_cmp_lt_i16_e64 s16, v165, v166
	v_cndmask_b32_e64 v101, v97, v82, s11
	v_cmp_lt_i16_e64 s15, v163, v164
	v_cndmask_b32_e64 v133, v82, v97, s11
	v_bfe_i32 v82, v98, 0, 16
	v_ashrrev_i32_e32 v70, 31, v69
	v_cndmask_b32_e64 v102, v134, v84, s14
	v_cndmask_b32_e64 v134, v84, v134, s14
	v_bfe_i32 v84, v99, 0, 16
	v_cndmask_b32_e64 v132, v81, v87, s10
	v_ashrrev_i32_e32 v81, 31, v80
	v_cndmask_b32_e64 v112, v144, v116, s16
	s_waitcnt vmcnt(10) lgkmcnt(10)
	v_cmp_lt_i16_e64 s17, v167, v176
	v_cndmask_b32_e64 v116, v116, v144, s16
	v_bfe_i32 v144, v100, 0, 16
	v_cndmask_b32_e64 v103, v135, v115, s15
	v_cndmask_b32_e64 v130, v71, v83, s6
	v_ashrrev_i32_e32 v83, 31, v82
	s_waitcnt vmcnt(8) lgkmcnt(8)
	v_cmp_lt_i16_e64 s18, v177, v178
	v_bfe_i32 v150, v101, 0, 16
	v_lshlrev_b64 v[69:70], 1, v[69:70]
	v_ashrrev_i32_e32 v85, 31, v84
	v_bfe_i32 v160, v102, 0, 16
	v_lshlrev_b64 v[80:81], 1, v[80:81]
	v_cndmask_b32_e64 v113, v145, v117, s17
	v_cndmask_b32_e64 v117, v117, v145, s17
	v_ashrrev_i32_e32 v145, 31, v144
	v_bfe_i32 v162, v103, 0, 16
	v_lshlrev_b64 v[82:83], 1, v[82:83]
	v_cndmask_b32_e64 v114, v146, v118, s18
	v_ashrrev_i32_e32 v151, 31, v150
	v_bfe_i32 v164, v112, 0, 16
	v_lshlrev_b64 v[84:85], 1, v[84:85]
	v_add_co_u32 v69, s4, v6, v69
	v_ashrrev_i32_e32 v161, 31, v160
	v_bfe_i32 v166, v113, 0, 16
	v_lshlrev_b64 v[144:145], 1, v[144:145]
	v_add_co_ci_u32_e64 v70, null, v7, v70, s4
	v_add_co_u32 v80, s4, v6, v80
	v_ashrrev_i32_e32 v163, 31, v162
	v_bfe_i32 v176, v114, 0, 16
	v_lshlrev_b64 v[150:151], 1, v[150:151]
	v_add_co_ci_u32_e64 v81, null, v7, v81, s4
	;; [unrolled: 5-line block ×3, first 2 shown]
	v_add_co_u32 v84, s4, v6, v84
	v_ashrrev_i32_e32 v167, 31, v166
	s_waitcnt vmcnt(6) lgkmcnt(6)
	v_cmp_lt_i16_e64 s19, v179, v180
	v_bfe_i32 v180, v129, 0, 16
	v_lshlrev_b64 v[162:163], 1, v[162:163]
	v_add_co_ci_u32_e64 v85, null, v7, v85, s4
	v_add_co_u32 v144, s4, v6, v144
	v_ashrrev_i32_e32 v177, 31, v176
	v_bfe_i32 v182, v130, 0, 16
	v_lshlrev_b64 v[164:165], 1, v[164:165]
	v_add_co_ci_u32_e64 v145, null, v7, v145, s4
	v_add_co_u32 v150, s4, v6, v150
	v_ashrrev_i32_e32 v179, 31, v178
	;; [unrolled: 5-line block ×3, first 2 shown]
	v_bfe_i32 v194, v132, 0, 16
	v_lshlrev_b64 v[176:177], 1, v[176:177]
	v_add_co_ci_u32_e64 v161, null, v7, v161, s4
	v_add_co_u32 v162, s4, v6, v162
	v_cndmask_b32_e64 v115, v115, v135, s15
	v_ashrrev_i32_e32 v183, 31, v182
	v_bfe_i32 v196, v133, 0, 16
	v_lshlrev_b64 v[178:179], 1, v[178:179]
	v_add_co_ci_u32_e64 v163, null, v7, v163, s4
	v_add_co_u32 v164, s4, v6, v164
	v_ashrrev_i32_e32 v193, 31, v192
	v_bfe_i32 v198, v134, 0, 16
	v_lshlrev_b64 v[180:181], 1, v[180:181]
	v_add_co_ci_u32_e64 v165, null, v7, v165, s4
	v_add_co_u32 v166, s4, v6, v166
	;; [unrolled: 5-line block ×3, first 2 shown]
	v_cndmask_b32_e64 v118, v118, v146, s18
	v_ashrrev_i32_e32 v197, 31, v196
	v_bfe_i32 v210, v116, 0, 16
	v_lshlrev_b64 v[192:193], 1, v[192:193]
	v_add_co_ci_u32_e64 v177, null, v7, v177, s4
	v_add_co_u32 v178, s4, v6, v178
	v_cndmask_b32_e64 v53, v128, v119, s19
	v_cndmask_b32_e64 v119, v119, v128, s19
	v_ashrrev_i32_e32 v199, 31, v198
	v_bfe_i32 v212, v117, 0, 16
	v_lshlrev_b64 v[194:195], 1, v[194:195]
	v_add_co_ci_u32_e64 v179, null, v7, v179, s4
	v_add_co_u32 v180, s4, v6, v180
	v_ashrrev_i32_e32 v209, 31, v208
	v_bfe_i32 v214, v118, 0, 16
	v_lshlrev_b64 v[196:197], 1, v[196:197]
	v_add_co_ci_u32_e64 v181, null, v7, v181, s4
	v_add_co_u32 v182, s4, v6, v182
	;; [unrolled: 5-line block ×3, first 2 shown]
	v_ashrrev_i32_e32 v213, 31, v212
	v_lshlrev_b64 v[208:209], 1, v[208:209]
	v_add_co_ci_u32_e64 v193, null, v7, v193, s4
	v_add_co_u32 v194, s4, v6, v194
	v_ashrrev_i32_e32 v215, 31, v214
	v_lshlrev_b64 v[210:211], 1, v[210:211]
	v_add_co_ci_u32_e64 v195, null, v7, v195, s4
	v_add_co_u32 v196, s4, v6, v196
	;; [unrolled: 4-line block ×3, first 2 shown]
	v_lshlrev_b64 v[214:215], 1, v[214:215]
	v_add_co_ci_u32_e64 v199, null, v7, v199, s4
	v_add_co_u32 v208, s4, v6, v208
	v_lshlrev_b64 v[224:225], 1, v[224:225]
	v_add_co_ci_u32_e64 v209, null, v7, v209, s4
	v_add_co_u32 v210, s4, v6, v210
	v_add_co_ci_u32_e64 v211, null, v7, v211, s4
	v_add_co_u32 v212, s4, v6, v212
	;; [unrolled: 2-line block ×4, first 2 shown]
	v_add_co_ci_u32_e64 v225, null, v7, v225, s4
	s_clause 0x17
	flat_load_ushort v71, v[178:179]
	flat_load_ushort v178, v[148:149]
	;; [unrolled: 1-line block ×24, first 2 shown]
	v_bfe_i32 v69, v51, 0, 16
	v_bfe_i32 v80, v53, 0, 16
	s_waitcnt vmcnt(26) lgkmcnt(26)
	v_cmp_lt_i16_e64 s4, v227, v228
	s_waitcnt vmcnt(24) lgkmcnt(24)
	v_cmp_lt_i16_e64 s5, v229, v230
	v_ashrrev_i32_e32 v70, 31, v69
	v_ashrrev_i32_e32 v81, 31, v80
	v_cndmask_b32_e64 v83, v64, v67, s4
	v_cndmask_b32_e64 v84, v65, v68, s5
	;; [unrolled: 1-line block ×3, first 2 shown]
	v_lshlrev_b64 v[69:70], 1, v[69:70]
	v_lshlrev_b64 v[80:81], 1, v[80:81]
	v_bfe_i32 v144, v83, 0, 16
	v_bfe_i32 v64, v84, 0, 16
	v_cndmask_b32_e64 v54, v68, v65, s5
	v_bfe_i32 v148, v87, 0, 16
	v_add_co_u32 v69, vcc_lo, v6, v69
	v_add_co_ci_u32_e64 v70, null, v7, v70, vcc_lo
	v_add_co_u32 v80, vcc_lo, v6, v80
	v_add_co_ci_u32_e64 v81, null, v7, v81, vcc_lo
	v_cmp_lt_i16_e32 vcc_lo, v66, v226
	v_ashrrev_i32_e32 v145, 31, v144
	v_ashrrev_i32_e32 v65, 31, v64
	v_bfe_i32 v150, v54, 0, 16
	v_ashrrev_i32_e32 v149, 31, v148
	v_cndmask_b32_e32 v97, v52, v147, vcc_lo
	v_cndmask_b32_e32 v85, v147, v52, vcc_lo
	v_lshlrev_b64 v[144:145], 1, v[144:145]
	v_lshlrev_b64 v[64:65], 1, v[64:65]
	v_ashrrev_i32_e32 v151, 31, v150
	v_bfe_i32 v66, v97, 0, 16
	v_bfe_i32 v146, v85, 0, 16
	v_lshlrev_b64 v[148:149], 1, v[148:149]
	v_lshlrev_b64 v[150:151], 1, v[150:151]
	v_ashrrev_i32_e32 v67, 31, v66
	v_ashrrev_i32_e32 v147, 31, v146
	v_lshlrev_b64 v[66:67], 1, v[66:67]
	v_lshlrev_b64 v[146:147], 1, v[146:147]
	v_add_co_u32 v66, vcc_lo, v6, v66
	v_add_co_ci_u32_e64 v67, null, v7, v67, vcc_lo
	v_add_co_u32 v144, vcc_lo, v6, v144
	v_add_co_ci_u32_e64 v145, null, v7, v145, vcc_lo
	v_add_co_u32 v64, vcc_lo, v6, v64
	s_clause 0x1
	flat_load_ushort v128, v[66:67]
	flat_load_ushort v135, v[80:81]
	v_add_co_ci_u32_e64 v65, null, v7, v65, vcc_lo
	v_add_co_u32 v66, vcc_lo, v6, v146
	v_add_co_ci_u32_e64 v67, null, v7, v147, vcc_lo
	v_add_co_u32 v80, vcc_lo, v6, v148
	;; [unrolled: 2-line block ×3, first 2 shown]
	v_add_co_ci_u32_e64 v150, null, v7, v151, vcc_lo
	s_clause 0x5
	flat_load_ushort v144, v[144:145]
	flat_load_ushort v147, v[66:67]
	;; [unrolled: 1-line block ×6, first 2 shown]
	s_waitcnt vmcnt(30) lgkmcnt(30)
	v_cmp_lt_i16_e32 vcc_lo, v71, v178
	s_waitcnt vmcnt(28) lgkmcnt(28)
	v_cmp_lt_i16_e64 s4, v179, v180
	s_waitcnt vmcnt(26) lgkmcnt(26)
	v_cmp_lt_i16_e64 s5, v181, v182
	v_cndmask_b32_e32 v64, v55, v50, vcc_lo
	s_waitcnt vmcnt(24) lgkmcnt(24)
	v_cmp_lt_i16_e64 s6, v183, v82
	v_cndmask_b32_e64 v65, v129, v86, s4
	s_waitcnt vmcnt(22) lgkmcnt(22)
	v_cmp_lt_i16_e64 s7, v192, v193
	v_cndmask_b32_e64 v66, v130, v96, s5
	;; [unrolled: 3-line block ×5, first 2 shown]
	s_waitcnt vmcnt(14) lgkmcnt(14)
	v_cmp_lt_i16_e64 s15, v161, v162
	v_bfe_i32 v129, v66, 0, 16
	s_waitcnt vmcnt(12) lgkmcnt(12)
	v_cmp_lt_i16_e64 s16, v163, v164
	v_cndmask_b32_e64 v71, v115, v102, s14
	v_cndmask_b32_e64 v102, v102, v115, s14
	v_bfe_i32 v115, v64, 0, 16
	s_waitcnt vmcnt(10) lgkmcnt(10)
	v_cmp_lt_i16_e64 s17, v165, v166
	v_cndmask_b32_e64 v81, v117, v112, s16
	v_cndmask_b32_e64 v112, v112, v117, s16
	v_bfe_i32 v117, v65, 0, 16
	v_cndmask_b32_e64 v69, v133, v100, s10
	v_cndmask_b32_e64 v80, v116, v103, s15
	;; [unrolled: 1-line block ×3, first 2 shown]
	v_ashrrev_i32_e32 v116, 31, v115
	v_cndmask_b32_e64 v98, v98, v131, s6
	v_bfe_i32 v131, v67, 0, 16
	v_cndmask_b32_e64 v70, v134, v101, s11
	v_cndmask_b32_e64 v82, v118, v113, s17
	;; [unrolled: 1-line block ×3, first 2 shown]
	v_ashrrev_i32_e32 v118, 31, v117
	v_cndmask_b32_e64 v100, v100, v133, s10
	v_bfe_i32 v133, v68, 0, 16
	v_cndmask_b32_e64 v96, v96, v130, s5
	v_ashrrev_i32_e32 v130, 31, v129
	v_bfe_i32 v150, v69, 0, 16
	v_lshlrev_b64 v[115:116], 1, v[115:116]
	v_cndmask_b32_e64 v99, v99, v132, s7
	v_ashrrev_i32_e32 v132, 31, v131
	v_bfe_i32 v160, v70, 0, 16
	v_lshlrev_b64 v[117:118], 1, v[117:118]
	;; [unrolled: 4-line block ×3, first 2 shown]
	v_ashrrev_i32_e32 v151, 31, v150
	v_bfe_i32 v164, v80, 0, 16
	v_lshlrev_b64 v[131:132], 1, v[131:132]
	v_add_co_u32 v115, s4, v6, v115
	v_ashrrev_i32_e32 v161, 31, v160
	v_bfe_i32 v166, v81, 0, 16
	v_lshlrev_b64 v[133:134], 1, v[133:134]
	v_add_co_ci_u32_e64 v116, null, v7, v116, s4
	v_add_co_u32 v117, s4, v6, v117
	v_ashrrev_i32_e32 v163, 31, v162
	s_waitcnt vmcnt(8) lgkmcnt(8)
	v_cmp_lt_i16_e64 s18, v167, v176
	v_bfe_i32 v176, v82, 0, 16
	v_lshlrev_b64 v[150:151], 1, v[150:151]
	v_add_co_ci_u32_e64 v118, null, v7, v118, s4
	v_add_co_u32 v129, s4, v6, v129
	v_ashrrev_i32_e32 v165, 31, v164
	v_bfe_i32 v178, v86, 0, 16
	v_lshlrev_b64 v[160:161], 1, v[160:161]
	v_add_co_ci_u32_e64 v130, null, v7, v130, s4
	v_add_co_u32 v131, s4, v6, v131
	v_ashrrev_i32_e32 v167, 31, v166
	;; [unrolled: 5-line block ×8, first 2 shown]
	v_bfe_i32 v208, v103, 0, 16
	v_lshlrev_b64 v[182:183], 1, v[182:183]
	v_add_co_ci_u32_e64 v167, null, v7, v167, s4
	v_add_co_u32 v176, s4, v6, v176
	v_cndmask_b32_e64 v52, v119, v114, s18
	v_cndmask_b32_e64 v114, v114, v119, s18
	v_ashrrev_i32_e32 v197, 31, v196
	v_bfe_i32 v210, v112, 0, 16
	v_lshlrev_b64 v[192:193], 1, v[192:193]
	v_add_co_ci_u32_e64 v177, null, v7, v177, s4
	v_add_co_u32 v178, s4, v6, v178
	v_ashrrev_i32_e32 v199, 31, v198
	v_bfe_i32 v212, v113, 0, 16
	v_lshlrev_b64 v[194:195], 1, v[194:195]
	v_add_co_ci_u32_e64 v179, null, v7, v179, s4
	v_add_co_u32 v180, s4, v6, v180
	;; [unrolled: 5-line block ×3, first 2 shown]
	v_ashrrev_i32_e32 v211, 31, v210
	v_lshlrev_b64 v[198:199], 1, v[198:199]
	v_add_co_ci_u32_e64 v183, null, v7, v183, s4
	v_add_co_u32 v192, s4, v6, v192
	v_ashrrev_i32_e32 v213, 31, v212
	v_lshlrev_b64 v[208:209], 1, v[208:209]
	v_add_co_ci_u32_e64 v193, null, v7, v193, s4
	v_add_co_u32 v194, s4, v6, v194
	;; [unrolled: 4-line block ×3, first 2 shown]
	v_lshlrev_b64 v[212:213], 1, v[212:213]
	v_add_co_ci_u32_e64 v197, null, v7, v197, s4
	v_add_co_u32 v198, s4, v6, v198
	v_lshlrev_b64 v[214:215], 1, v[214:215]
	v_add_co_ci_u32_e64 v199, null, v7, v199, s4
	v_add_co_u32 v208, s4, v6, v208
	v_add_co_ci_u32_e64 v209, null, v7, v209, s4
	v_add_co_u32 v210, s4, v6, v210
	;; [unrolled: 2-line block ×4, first 2 shown]
	v_add_co_ci_u32_e64 v215, null, v7, v215, s4
	s_clause 0x15
	flat_load_ushort v119, v[178:179]
	flat_load_ushort v178, v[115:116]
	;; [unrolled: 1-line block ×22, first 2 shown]
	v_cndmask_b32_e32 v50, v50, v55, vcc_lo
	v_bfe_i32 v115, v52, 0, 16
	s_waitcnt vmcnt(24) lgkmcnt(24)
	v_cmp_lt_i16_e64 s5, v145, v148
	v_bfe_i32 v117, v50, 0, 16
	v_ashrrev_i32_e32 v116, 31, v115
	v_cndmask_b32_e64 v131, v87, v84, s5
	v_ashrrev_i32_e32 v118, 31, v117
	v_lshlrev_b64 v[115:116], 1, v[115:116]
	v_bfe_i32 v145, v131, 0, 16
	v_lshlrev_b64 v[117:118], 1, v[117:118]
	v_add_co_u32 v115, vcc_lo, v6, v115
	v_add_co_ci_u32_e64 v116, null, v7, v116, vcc_lo
	v_cmp_lt_i16_e32 vcc_lo, v128, v135
	v_add_co_u32 v150, s4, v6, v117
	v_add_co_ci_u32_e64 v151, null, v7, v118, s4
	v_cmp_lt_i16_e64 s4, v144, v147
	v_cndmask_b32_e32 v130, v97, v53, vcc_lo
	v_cndmask_b32_e32 v133, v53, v97, vcc_lo
	s_waitcnt vmcnt(22) lgkmcnt(22)
	v_cmp_lt_i16_e32 vcc_lo, v146, v149
	v_cndmask_b32_e64 v135, v84, v87, s5
	v_cndmask_b32_e64 v144, v85, v83, s4
	v_bfe_i32 v117, v130, 0, 16
	v_cndmask_b32_e64 v134, v83, v85, s4
	v_bfe_i32 v83, v133, 0, 16
	v_cndmask_b32_e32 v132, v54, v51, vcc_lo
	v_bfe_i32 v128, v144, 0, 16
	v_ashrrev_i32_e32 v118, 31, v117
	v_bfe_i32 v160, v134, 0, 16
	v_ashrrev_i32_e32 v84, 31, v83
	;; [unrolled: 2-line block ×3, first 2 shown]
	v_lshlrev_b64 v[117:118], 1, v[117:118]
	v_ashrrev_i32_e32 v146, 31, v145
	v_bfe_i32 v162, v135, 0, 16
	v_lshlrev_b64 v[83:84], 1, v[83:84]
	v_ashrrev_i32_e32 v148, 31, v147
	v_lshlrev_b64 v[128:129], 1, v[128:129]
	v_ashrrev_i32_e32 v161, 31, v160
	v_lshlrev_b64 v[145:146], 1, v[145:146]
	v_add_co_u32 v117, s4, v6, v117
	v_ashrrev_i32_e32 v163, 31, v162
	v_lshlrev_b64 v[147:148], 1, v[147:148]
	v_add_co_ci_u32_e64 v118, null, v7, v118, s4
	v_add_co_u32 v83, s4, v6, v83
	v_lshlrev_b64 v[160:161], 1, v[160:161]
	v_add_co_ci_u32_e64 v84, null, v7, v84, s4
	v_add_co_u32 v128, s4, v6, v128
	;; [unrolled: 3-line block ×3, first 2 shown]
	v_add_co_ci_u32_e64 v146, null, v7, v146, s4
	v_add_co_u32 v147, s4, v6, v147
	v_add_co_ci_u32_e64 v148, null, v7, v148, s4
	v_add_co_u32 v160, s4, v6, v160
	;; [unrolled: 2-line block ×3, first 2 shown]
	v_add_co_ci_u32_e64 v163, null, v7, v163, s4
	s_clause 0x7
	flat_load_ushort v149, v[83:84]
	flat_load_ushort v210, v[115:116]
	;; [unrolled: 1-line block ×8, first 2 shown]
	v_cndmask_b32_e32 v51, v51, v54, vcc_lo
	s_waitcnt vmcnt(28) lgkmcnt(28)
	v_cmp_lt_i16_e64 s4, v119, v178
	s_waitcnt vmcnt(26) lgkmcnt(26)
	v_cmp_lt_i16_e64 s5, v179, v180
	;; [unrolled: 2-line block ×3, first 2 shown]
	v_cndmask_b32_e64 v83, v86, v64, s4
	s_waitcnt vmcnt(22) lgkmcnt(22)
	v_cmp_lt_i16_e64 s7, v183, v192
	v_cndmask_b32_e64 v84, v96, v65, s5
	s_waitcnt vmcnt(20) lgkmcnt(20)
	v_cmp_lt_i16_e64 s10, v193, v194
	;; [unrolled: 3-line block ×4, first 2 shown]
	v_cndmask_b32_e64 v64, v65, v96, s5
	v_cndmask_b32_e64 v65, v66, v98, s6
	v_bfe_i32 v66, v83, 0, 16
	v_cndmask_b32_e64 v87, v99, v67, s7
	s_waitcnt vmcnt(12) lgkmcnt(12)
	v_cmp_lt_i16_e64 s16, v209, v164
	v_cndmask_b32_e64 v97, v100, v68, s10
	v_cndmask_b32_e64 v128, v68, v100, s10
	v_bfe_i32 v68, v84, 0, 16
	v_cndmask_b32_e64 v116, v102, v70, s14
	v_cmp_lt_i16_e64 s15, v199, v208
	v_cndmask_b32_e64 v102, v70, v102, s14
	v_bfe_i32 v70, v85, 0, 16
	v_cndmask_b32_e64 v115, v101, v69, s11
	v_cndmask_b32_e64 v96, v67, v99, s7
	v_ashrrev_i32_e32 v67, 31, v66
	v_cndmask_b32_e64 v118, v112, v80, s16
	s_waitcnt vmcnt(10) lgkmcnt(10)
	v_cmp_lt_i16_e64 s17, v165, v166
	v_cndmask_b32_e64 v112, v80, v112, s16
	v_bfe_i32 v80, v87, 0, 16
	v_cndmask_b32_e64 v129, v69, v101, s11
	v_ashrrev_i32_e32 v69, 31, v68
	v_bfe_i32 v98, v97, 0, 16
	v_cndmask_b32_e64 v117, v103, v71, s15
	v_cndmask_b32_e64 v103, v71, v103, s15
	v_ashrrev_i32_e32 v71, 31, v70
	v_bfe_i32 v100, v115, 0, 16
	v_lshlrev_b64 v[66:67], 1, v[66:67]
	v_cndmask_b32_e64 v119, v113, v81, s17
	v_cndmask_b32_e64 v113, v81, v113, s17
	v_ashrrev_i32_e32 v81, 31, v80
	v_bfe_i32 v145, v116, 0, 16
	v_lshlrev_b64 v[68:69], 1, v[68:69]
	v_ashrrev_i32_e32 v99, 31, v98
	v_bfe_i32 v147, v117, 0, 16
	v_lshlrev_b64 v[70:71], 1, v[70:71]
	;; [unrolled: 3-line block ×3, first 2 shown]
	v_add_co_u32 v66, s4, v6, v66
	v_ashrrev_i32_e32 v146, 31, v145
	v_bfe_i32 v162, v119, 0, 16
	v_lshlrev_b64 v[98:99], 1, v[98:99]
	v_add_co_ci_u32_e64 v67, null, v7, v67, s4
	v_add_co_u32 v68, s4, v6, v68
	v_ashrrev_i32_e32 v148, 31, v147
	v_bfe_i32 v164, v53, 0, 16
	v_lshlrev_b64 v[100:101], 1, v[100:101]
	v_add_co_ci_u32_e64 v69, null, v7, v69, s4
	;; [unrolled: 5-line block ×3, first 2 shown]
	v_add_co_u32 v80, s4, v6, v80
	v_ashrrev_i32_e32 v163, 31, v162
	s_waitcnt vmcnt(8) lgkmcnt(8)
	v_cmp_lt_i16_e64 s18, v167, v176
	v_bfe_i32 v176, v65, 0, 16
	v_lshlrev_b64 v[147:148], 1, v[147:148]
	v_add_co_ci_u32_e64 v81, null, v7, v81, s4
	v_add_co_u32 v98, s4, v6, v98
	v_ashrrev_i32_e32 v165, 31, v164
	v_bfe_i32 v178, v96, 0, 16
	v_lshlrev_b64 v[160:161], 1, v[160:161]
	v_add_co_ci_u32_e64 v99, null, v7, v99, s4
	v_add_co_u32 v100, s4, v6, v100
	v_ashrrev_i32_e32 v167, 31, v166
	;; [unrolled: 5-line block ×5, first 2 shown]
	v_bfe_i32 v194, v103, 0, 16
	v_lshlrev_b64 v[176:177], 1, v[176:177]
	v_add_co_ci_u32_e64 v161, null, v7, v161, s4
	v_add_co_u32 v162, s4, v6, v162
	v_cndmask_b32_e64 v55, v114, v82, s18
	v_cndmask_b32_e64 v114, v82, v114, s18
	v_ashrrev_i32_e32 v183, 31, v182
	v_bfe_i32 v196, v112, 0, 16
	v_lshlrev_b64 v[178:179], 1, v[178:179]
	v_add_co_ci_u32_e64 v163, null, v7, v163, s4
	v_add_co_u32 v164, s4, v6, v164
	v_ashrrev_i32_e32 v193, 31, v192
	v_bfe_i32 v198, v113, 0, 16
	v_lshlrev_b64 v[180:181], 1, v[180:181]
	v_add_co_ci_u32_e64 v165, null, v7, v165, s4
	v_add_co_u32 v166, s4, v6, v166
	;; [unrolled: 5-line block ×3, first 2 shown]
	v_ashrrev_i32_e32 v197, 31, v196
	v_lshlrev_b64 v[192:193], 1, v[192:193]
	v_add_co_ci_u32_e64 v177, null, v7, v177, s4
	v_add_co_u32 v178, s4, v6, v178
	v_ashrrev_i32_e32 v199, 31, v198
	v_lshlrev_b64 v[194:195], 1, v[194:195]
	v_add_co_ci_u32_e64 v179, null, v7, v179, s4
	v_add_co_u32 v180, s4, v6, v180
	;; [unrolled: 4-line block ×3, first 2 shown]
	v_lshlrev_b64 v[198:199], 1, v[198:199]
	v_add_co_ci_u32_e64 v183, null, v7, v183, s4
	v_add_co_u32 v192, s4, v6, v192
	v_lshlrev_b64 v[208:209], 1, v[208:209]
	v_add_co_ci_u32_e64 v193, null, v7, v193, s4
	v_add_co_u32 v194, s4, v6, v194
	v_add_co_ci_u32_e64 v195, null, v7, v195, s4
	v_add_co_u32 v196, s4, v6, v196
	;; [unrolled: 2-line block ×4, first 2 shown]
	v_add_co_ci_u32_e64 v209, null, v7, v209, s4
	s_clause 0x15
	flat_load_ushort v82, v[164:165]
	flat_load_ushort v86, v[150:151]
	;; [unrolled: 1-line block ×22, first 2 shown]
	v_bfe_i32 v66, v51, 0, 16
	s_waitcnt vmcnt(26) lgkmcnt(26)
	v_cmp_lt_i16_e64 s4, v211, v212
	v_bfe_i32 v68, v55, 0, 16
	v_ashrrev_i32_e32 v67, 31, v66
	v_cndmask_b32_e64 v193, v130, v144, s4
	v_cndmask_b32_e64 v195, v144, v130, s4
	s_waitcnt vmcnt(22) lgkmcnt(22)
	v_cmp_lt_i16_e64 s4, v215, v224
	v_ashrrev_i32_e32 v69, 31, v68
	v_lshlrev_b64 v[66:67], 1, v[66:67]
	v_bfe_i32 v70, v193, 0, 16
	v_bfe_i32 v130, v195, 0, 16
	v_cndmask_b32_e64 v197, v135, v132, s4
	v_lshlrev_b64 v[68:69], 1, v[68:69]
	v_add_co_u32 v66, vcc_lo, v6, v66
	v_add_co_ci_u32_e64 v67, null, v7, v67, vcc_lo
	v_cmp_lt_i16_e32 vcc_lo, v149, v210
	v_ashrrev_i32_e32 v71, 31, v70
	v_add_co_u32 v68, s5, v6, v68
	v_add_co_ci_u32_e64 v69, null, v7, v69, s5
	v_cndmask_b32_e32 v192, v133, v52, vcc_lo
	v_cndmask_b32_e32 v194, v52, v133, vcc_lo
	v_cmp_lt_i16_e32 vcc_lo, v213, v214
	v_lshlrev_b64 v[70:71], 1, v[70:71]
	v_cndmask_b32_e64 v52, v132, v135, s4
	v_bfe_i32 v80, v192, 0, 16
	v_bfe_i32 v98, v194, 0, 16
	v_cndmask_b32_e32 v196, v134, v131, vcc_lo
	v_cndmask_b32_e32 v198, v131, v134, vcc_lo
	v_bfe_i32 v132, v197, 0, 16
	v_ashrrev_i32_e32 v81, 31, v80
	v_ashrrev_i32_e32 v99, 31, v98
	v_bfe_i32 v100, v196, 0, 16
	v_ashrrev_i32_e32 v131, 31, v130
	v_bfe_i32 v134, v198, 0, 16
	v_lshlrev_b64 v[80:81], 1, v[80:81]
	v_lshlrev_b64 v[98:99], 1, v[98:99]
	v_ashrrev_i32_e32 v101, 31, v100
	v_add_co_u32 v70, vcc_lo, v6, v70
	v_bfe_i32 v144, v52, 0, 16
	v_ashrrev_i32_e32 v133, 31, v132
	v_lshlrev_b64 v[100:101], 1, v[100:101]
	v_add_co_ci_u32_e64 v71, null, v7, v71, vcc_lo
	v_add_co_u32 v80, vcc_lo, v6, v80
	v_lshlrev_b64 v[130:131], 1, v[130:131]
	v_ashrrev_i32_e32 v135, 31, v134
	v_add_co_ci_u32_e64 v81, null, v7, v81, vcc_lo
	v_add_co_u32 v98, vcc_lo, v6, v98
	v_ashrrev_i32_e32 v145, 31, v144
	v_add_co_ci_u32_e64 v99, null, v7, v99, vcc_lo
	v_lshlrev_b64 v[132:133], 1, v[132:133]
	v_add_co_u32 v100, vcc_lo, v6, v100
	v_lshlrev_b64 v[134:135], 1, v[134:135]
	v_add_co_ci_u32_e64 v101, null, v7, v101, vcc_lo
	v_add_co_u32 v130, vcc_lo, v6, v130
	v_lshlrev_b64 v[144:145], 1, v[144:145]
	v_add_co_ci_u32_e64 v131, null, v7, v131, vcc_lo
	s_clause 0x5
	flat_load_ushort v199, v[98:99]
	flat_load_ushort v208, v[68:69]
	;; [unrolled: 1-line block ×6, first 2 shown]
	v_add_co_u32 v132, vcc_lo, v6, v132
	v_add_co_ci_u32_e64 v133, null, v7, v133, vcc_lo
	v_add_co_u32 v68, vcc_lo, v6, v134
	v_add_co_ci_u32_e64 v69, null, v7, v135, vcc_lo
	v_add_co_u32 v70, vcc_lo, v6, v144
	v_add_co_ci_u32_e64 v71, null, v7, v145, vcc_lo
	s_clause 0x3
	flat_load_ushort v213, v[132:133]
	flat_load_ushort v214, v[68:69]
	;; [unrolled: 1-line block ×4, first 2 shown]
	s_waitcnt vmcnt(30) lgkmcnt(30)
	v_cmp_lt_i16_e64 s4, v82, v86
	s_waitcnt vmcnt(28) lgkmcnt(28)
	v_cmp_lt_i16_e32 vcc_lo, v150, v151
	s_waitcnt vmcnt(26) lgkmcnt(26)
	v_cmp_lt_i16_e64 s5, v164, v165
	v_cndmask_b32_e64 v66, v53, v50, s4
	s_waitcnt vmcnt(24) lgkmcnt(24)
	v_cmp_lt_i16_e64 s6, v166, v167
	v_cndmask_b32_e32 v67, v64, v83, vcc_lo
	s_waitcnt vmcnt(22) lgkmcnt(22)
	v_cmp_lt_i16_e64 s7, v176, v177
	v_cndmask_b32_e64 v68, v65, v84, s5
	s_waitcnt vmcnt(20) lgkmcnt(20)
	v_cmp_lt_i16_e64 s10, v178, v179
	v_cndmask_b32_e32 v98, v83, v64, vcc_lo
	s_waitcnt vmcnt(18) lgkmcnt(18)
	v_cmp_lt_i16_e64 s11, v180, v181
	v_bfe_i32 v64, v66, 0, 16
	v_cndmask_b32_e64 v69, v96, v85, s6
	v_bfe_i32 v83, v67, 0, 16
	s_waitcnt vmcnt(14) lgkmcnt(14)
	v_cmp_lt_i16_e64 s15, v183, v147
	v_cndmask_b32_e64 v70, v128, v87, s7
	v_cndmask_b32_e64 v80, v102, v115, s11
	v_cmp_lt_i16_e64 s14, v182, v146
	v_cndmask_b32_e64 v102, v115, v102, s11
	v_bfe_i32 v115, v68, 0, 16
	v_cndmask_b32_e64 v71, v129, v97, s10
	v_cndmask_b32_e64 v99, v84, v65, s5
	v_ashrrev_i32_e32 v65, 31, v64
	v_cndmask_b32_e64 v82, v112, v117, s15
	s_waitcnt vmcnt(12) lgkmcnt(12)
	v_cmp_lt_i16_e64 s16, v148, v160
	v_cndmask_b32_e64 v112, v117, v112, s15
	v_bfe_i32 v117, v69, 0, 16
	v_ashrrev_i32_e32 v84, 31, v83
	v_cndmask_b32_e64 v101, v87, v128, s7
	v_bfe_i32 v128, v70, 0, 16
	v_cndmask_b32_e64 v81, v103, v116, s14
	v_cndmask_b32_e64 v103, v116, v103, s14
	v_ashrrev_i32_e32 v116, 31, v115
	v_bfe_i32 v130, v71, 0, 16
	v_lshlrev_b64 v[64:65], 1, v[64:65]
	v_cndmask_b32_e64 v86, v113, v118, s16
	v_cndmask_b32_e64 v113, v118, v113, s16
	v_ashrrev_i32_e32 v118, 31, v117
	v_bfe_i32 v132, v80, 0, 16
	v_lshlrev_b64 v[83:84], 1, v[83:84]
	v_cndmask_b32_e64 v97, v97, v129, s10
	v_ashrrev_i32_e32 v129, 31, v128
	v_bfe_i32 v134, v81, 0, 16
	v_lshlrev_b64 v[115:116], 1, v[115:116]
	v_ashrrev_i32_e32 v131, 31, v130
	v_bfe_i32 v144, v82, 0, 16
	v_lshlrev_b64 v[117:118], 1, v[117:118]
	v_add_co_u32 v64, vcc_lo, v6, v64
	v_ashrrev_i32_e32 v133, 31, v132
	v_bfe_i32 v146, v86, 0, 16
	v_lshlrev_b64 v[128:129], 1, v[128:129]
	v_add_co_ci_u32_e64 v65, null, v7, v65, vcc_lo
	v_add_co_u32 v83, vcc_lo, v6, v83
	v_cndmask_b32_e64 v100, v85, v96, s6
	v_ashrrev_i32_e32 v135, 31, v134
	v_bfe_i32 v148, v98, 0, 16
	v_lshlrev_b64 v[130:131], 1, v[130:131]
	v_add_co_ci_u32_e64 v84, null, v7, v84, vcc_lo
	v_add_co_u32 v115, vcc_lo, v6, v115
	v_ashrrev_i32_e32 v145, 31, v144
	v_bfe_i32 v150, v99, 0, 16
	v_lshlrev_b64 v[132:133], 1, v[132:133]
	v_add_co_ci_u32_e64 v116, null, v7, v116, vcc_lo
	v_add_co_u32 v117, vcc_lo, v6, v117
	;; [unrolled: 5-line block ×3, first 2 shown]
	v_ashrrev_i32_e32 v149, 31, v148
	s_waitcnt vmcnt(10) lgkmcnt(10)
	v_cmp_lt_i16_e64 s17, v161, v162
	v_bfe_i32 v162, v101, 0, 16
	v_lshlrev_b64 v[144:145], 1, v[144:145]
	v_add_co_ci_u32_e64 v129, null, v7, v129, vcc_lo
	v_add_co_u32 v130, vcc_lo, v6, v130
	v_ashrrev_i32_e32 v151, 31, v150
	v_bfe_i32 v164, v97, 0, 16
	v_lshlrev_b64 v[146:147], 1, v[146:147]
	v_add_co_ci_u32_e64 v131, null, v7, v131, vcc_lo
	v_add_co_u32 v132, vcc_lo, v6, v132
	v_ashrrev_i32_e32 v161, 31, v160
	;; [unrolled: 5-line block ×3, first 2 shown]
	v_bfe_i32 v176, v103, 0, 16
	v_lshlrev_b64 v[150:151], 1, v[150:151]
	v_add_co_ci_u32_e64 v135, null, v7, v135, vcc_lo
	v_add_co_u32 v144, vcc_lo, v6, v144
	v_cndmask_b32_e64 v54, v114, v119, s17
	v_cndmask_b32_e64 v114, v119, v114, s17
	v_ashrrev_i32_e32 v165, 31, v164
	v_bfe_i32 v178, v112, 0, 16
	v_lshlrev_b64 v[160:161], 1, v[160:161]
	v_add_co_ci_u32_e64 v145, null, v7, v145, vcc_lo
	v_add_co_u32 v146, vcc_lo, v6, v146
	v_ashrrev_i32_e32 v167, 31, v166
	v_bfe_i32 v180, v113, 0, 16
	v_lshlrev_b64 v[162:163], 1, v[162:163]
	v_add_co_ci_u32_e64 v147, null, v7, v147, vcc_lo
	v_add_co_u32 v148, vcc_lo, v6, v148
	v_ashrrev_i32_e32 v177, 31, v176
	v_bfe_i32 v182, v114, 0, 16
	v_lshlrev_b64 v[164:165], 1, v[164:165]
	v_add_co_ci_u32_e64 v149, null, v7, v149, vcc_lo
	v_add_co_u32 v150, vcc_lo, v6, v150
	v_ashrrev_i32_e32 v179, 31, v178
	v_lshlrev_b64 v[166:167], 1, v[166:167]
	v_add_co_ci_u32_e64 v151, null, v7, v151, vcc_lo
	v_add_co_u32 v160, vcc_lo, v6, v160
	v_ashrrev_i32_e32 v181, 31, v180
	v_lshlrev_b64 v[176:177], 1, v[176:177]
	v_add_co_ci_u32_e64 v161, null, v7, v161, vcc_lo
	v_add_co_u32 v162, vcc_lo, v6, v162
	;; [unrolled: 4-line block ×3, first 2 shown]
	v_lshlrev_b64 v[180:181], 1, v[180:181]
	v_add_co_ci_u32_e64 v165, null, v7, v165, vcc_lo
	v_add_co_u32 v166, vcc_lo, v6, v166
	v_lshlrev_b64 v[182:183], 1, v[182:183]
	v_add_co_ci_u32_e64 v167, null, v7, v167, vcc_lo
	v_add_co_u32 v176, vcc_lo, v6, v176
	v_add_co_ci_u32_e64 v177, null, v7, v177, vcc_lo
	v_add_co_u32 v178, vcc_lo, v6, v178
	;; [unrolled: 2-line block ×4, first 2 shown]
	v_add_co_ci_u32_e64 v183, null, v7, v183, vcc_lo
	s_clause 0x13
	flat_load_ushort v85, v[148:149]
	flat_load_ushort v87, v[64:65]
	;; [unrolled: 1-line block ×20, first 2 shown]
	v_bfe_i32 v64, v54, 0, 16
	s_waitcnt vmcnt(24) lgkmcnt(24)
	v_cmp_lt_i16_e64 s6, v211, v212
	v_cmp_lt_i16_e64 s5, v209, v210
	v_cndmask_b32_e64 v50, v50, v53, s4
	v_ashrrev_i32_e32 v65, 31, v64
	v_cndmask_b32_e64 v129, v195, v196, s6
	v_cndmask_b32_e64 v128, v193, v192, s5
	;; [unrolled: 1-line block ×3, first 2 shown]
	s_waitcnt vmcnt(22) lgkmcnt(22)
	v_cmp_lt_i16_e64 s5, v213, v214
	v_lshlrev_b64 v[64:65], 1, v[64:65]
	v_bfe_i32 v117, v129, 0, 16
	v_bfe_i32 v134, v128, 0, 16
	v_cndmask_b32_e64 v130, v196, v195, s6
	v_cndmask_b32_e64 v133, v198, v197, s5
	v_bfe_i32 v146, v132, 0, 16
	v_add_co_u32 v83, vcc_lo, v6, v64
	v_add_co_ci_u32_e64 v84, null, v7, v65, vcc_lo
	v_cmp_lt_i16_e32 vcc_lo, v199, v208
	v_ashrrev_i32_e32 v118, 31, v117
	v_ashrrev_i32_e32 v135, 31, v134
	v_bfe_i32 v148, v133, 0, 16
	v_bfe_i32 v150, v130, 0, 16
	v_cndmask_b32_e32 v119, v194, v55, vcc_lo
	v_cndmask_b32_e32 v131, v55, v194, vcc_lo
	s_waitcnt vmcnt(20) lgkmcnt(20)
	v_cmp_lt_i16_e32 vcc_lo, v215, v224
	v_lshlrev_b64 v[117:118], 1, v[117:118]
	v_cndmask_b32_e64 v65, v197, v198, s5
	v_bfe_i32 v115, v119, 0, 16
	v_bfe_i32 v144, v131, 0, 16
	v_cndmask_b32_e32 v64, v52, v51, vcc_lo
	v_ashrrev_i32_e32 v147, 31, v146
	v_lshlrev_b64 v[134:135], 1, v[134:135]
	v_ashrrev_i32_e32 v116, 31, v115
	v_ashrrev_i32_e32 v145, 31, v144
	;; [unrolled: 1-line block ×3, first 2 shown]
	v_bfe_i32 v160, v64, 0, 16
	v_ashrrev_i32_e32 v151, 31, v150
	v_lshlrev_b64 v[115:116], 1, v[115:116]
	v_lshlrev_b64 v[144:145], 1, v[144:145]
	v_bfe_i32 v162, v65, 0, 16
	v_lshlrev_b64 v[146:147], 1, v[146:147]
	v_lshlrev_b64 v[148:149], 1, v[148:149]
	v_ashrrev_i32_e32 v161, 31, v160
	v_add_co_u32 v115, s5, v6, v115
	v_add_co_ci_u32_e64 v116, null, v7, v116, s5
	v_add_co_u32 v117, s5, v6, v117
	v_add_co_ci_u32_e64 v118, null, v7, v118, s5
	v_add_co_u32 v134, s5, v6, v134
	v_lshlrev_b64 v[150:151], 1, v[150:151]
	v_add_co_ci_u32_e64 v135, null, v7, v135, s5
	v_add_co_u32 v144, s5, v6, v144
	v_ashrrev_i32_e32 v163, 31, v162
	v_add_co_ci_u32_e64 v145, null, v7, v145, s5
	v_add_co_u32 v146, s5, v6, v146
	v_lshlrev_b64 v[160:161], 1, v[160:161]
	v_add_co_ci_u32_e64 v147, null, v7, v147, s5
	v_add_co_u32 v148, s5, v6, v148
	v_lshlrev_b64 v[162:163], 1, v[162:163]
	v_add_co_ci_u32_e64 v149, null, v7, v149, s5
	v_add_co_u32 v150, s5, v6, v150
	v_add_co_ci_u32_e64 v151, null, v7, v151, s5
	s_clause 0x7
	flat_load_ushort v198, v[144:145]
	flat_load_ushort v199, v[83:84]
	;; [unrolled: 1-line block ×8, first 2 shown]
	v_add_co_u32 v160, s5, v6, v160
	v_add_co_ci_u32_e64 v161, null, v7, v161, s5
	v_add_co_u32 v83, s5, v6, v162
	v_add_co_ci_u32_e64 v84, null, v7, v163, s5
	s_clause 0x1
	flat_load_ushort v214, v[160:161]
	flat_load_ushort v215, v[83:84]
	v_bfe_i32 v83, v50, 0, 16
	v_cndmask_b32_e32 v51, v51, v52, vcc_lo
	v_ashrrev_i32_e32 v84, 31, v83
	v_lshlrev_b64 v[83:84], 1, v[83:84]
	v_add_co_u32 v134, s4, v6, v83
	v_add_co_ci_u32_e64 v135, null, v7, v84, s4
	s_waitcnt vmcnt(28) lgkmcnt(28)
	v_cmp_lt_i16_e64 s4, v85, v87
	s_waitcnt vmcnt(26) lgkmcnt(26)
	v_cmp_lt_i16_e64 s5, v96, v225
	;; [unrolled: 2-line block ×3, first 2 shown]
	v_cndmask_b32_e64 v83, v98, v66, s4
	s_waitcnt vmcnt(22) lgkmcnt(22)
	v_cmp_lt_i16_e64 s7, v228, v229
	v_cndmask_b32_e64 v84, v99, v67, s5
	s_waitcnt vmcnt(20) lgkmcnt(20)
	v_cmp_lt_i16_e64 s10, v164, v165
	;; [unrolled: 3-line block ×3, first 2 shown]
	v_cndmask_b32_e64 v53, v66, v98, s4
	v_bfe_i32 v66, v83, 0, 16
	v_cndmask_b32_e64 v87, v101, v69, s7
	s_waitcnt vmcnt(16) lgkmcnt(16)
	v_cmp_lt_i16_e64 s14, v176, v177
	v_cndmask_b32_e64 v98, v67, v99, s5
	v_cndmask_b32_e64 v99, v68, v100, s6
	v_bfe_i32 v68, v84, 0, 16
	v_cndmask_b32_e64 v96, v97, v70, s10
	s_waitcnt vmcnt(14) lgkmcnt(14)
	v_cmp_lt_i16_e64 s15, v178, v179
	v_cndmask_b32_e64 v97, v70, v97, s10
	v_bfe_i32 v70, v85, 0, 16
	v_cndmask_b32_e64 v115, v102, v71, s11
	v_ashrrev_i32_e32 v67, 31, v66
	v_cndmask_b32_e64 v116, v103, v80, s14
	s_waitcnt vmcnt(12) lgkmcnt(12)
	v_cmp_lt_i16_e64 s16, v180, v181
	v_cndmask_b32_e64 v100, v69, v101, s7
	v_cndmask_b32_e64 v101, v71, v102, s11
	;; [unrolled: 1-line block ×3, first 2 shown]
	v_bfe_i32 v80, v87, 0, 16
	v_ashrrev_i32_e32 v69, 31, v68
	v_bfe_i32 v144, v96, 0, 16
	v_cndmask_b32_e64 v117, v112, v81, s15
	v_ashrrev_i32_e32 v71, 31, v70
	v_bfe_i32 v146, v115, 0, 16
	v_lshlrev_b64 v[66:67], 1, v[66:67]
	v_cndmask_b32_e64 v118, v113, v82, s16
	v_cndmask_b32_e64 v103, v81, v112, s15
	v_ashrrev_i32_e32 v81, 31, v80
	v_bfe_i32 v148, v116, 0, 16
	v_lshlrev_b64 v[68:69], 1, v[68:69]
	v_ashrrev_i32_e32 v145, 31, v144
	v_bfe_i32 v150, v117, 0, 16
	v_lshlrev_b64 v[70:71], 1, v[70:71]
	;; [unrolled: 3-line block ×3, first 2 shown]
	v_add_co_u32 v66, s4, v6, v66
	v_ashrrev_i32_e32 v149, 31, v148
	v_bfe_i32 v162, v53, 0, 16
	v_lshlrev_b64 v[144:145], 1, v[144:145]
	v_add_co_ci_u32_e64 v67, null, v7, v67, s4
	v_add_co_u32 v68, s4, v6, v68
	v_ashrrev_i32_e32 v151, 31, v150
	v_bfe_i32 v164, v98, 0, 16
	v_lshlrev_b64 v[146:147], 1, v[146:147]
	v_add_co_ci_u32_e64 v69, null, v7, v69, s4
	v_add_co_u32 v70, s4, v6, v70
	v_ashrrev_i32_e32 v161, 31, v160
	v_bfe_i32 v166, v99, 0, 16
	v_lshlrev_b64 v[148:149], 1, v[148:149]
	v_add_co_ci_u32_e64 v71, null, v7, v71, s4
	v_add_co_u32 v80, s4, v6, v80
	v_ashrrev_i32_e32 v163, 31, v162
	v_bfe_i32 v176, v100, 0, 16
	v_lshlrev_b64 v[150:151], 1, v[150:151]
	v_add_co_ci_u32_e64 v81, null, v7, v81, s4
	v_add_co_u32 v144, s4, v6, v144
	v_ashrrev_i32_e32 v165, 31, v164
	s_waitcnt vmcnt(10) lgkmcnt(10)
	v_cmp_lt_i16_e64 s17, v182, v183
	v_bfe_i32 v178, v97, 0, 16
	v_lshlrev_b64 v[160:161], 1, v[160:161]
	v_add_co_ci_u32_e64 v145, null, v7, v145, s4
	v_add_co_u32 v146, s4, v6, v146
	v_ashrrev_i32_e32 v167, 31, v166
	v_bfe_i32 v180, v101, 0, 16
	v_lshlrev_b64 v[162:163], 1, v[162:163]
	v_add_co_ci_u32_e64 v147, null, v7, v147, s4
	v_add_co_u32 v148, s4, v6, v148
	v_cndmask_b32_e64 v112, v82, v113, s16
	v_ashrrev_i32_e32 v177, 31, v176
	v_bfe_i32 v182, v102, 0, 16
	v_lshlrev_b64 v[164:165], 1, v[164:165]
	v_add_co_ci_u32_e64 v149, null, v7, v149, s4
	v_add_co_u32 v150, s4, v6, v150
	v_cndmask_b32_e64 v113, v86, v114, s17
	v_ashrrev_i32_e32 v179, 31, v178
	v_bfe_i32 v192, v103, 0, 16
	v_lshlrev_b64 v[166:167], 1, v[166:167]
	v_add_co_ci_u32_e64 v151, null, v7, v151, s4
	v_add_co_u32 v160, s4, v6, v160
	v_ashrrev_i32_e32 v181, 31, v180
	v_bfe_i32 v194, v112, 0, 16
	v_lshlrev_b64 v[176:177], 1, v[176:177]
	v_add_co_ci_u32_e64 v161, null, v7, v161, s4
	v_add_co_u32 v162, s4, v6, v162
	;; [unrolled: 5-line block ×3, first 2 shown]
	v_ashrrev_i32_e32 v193, 31, v192
	v_lshlrev_b64 v[180:181], 1, v[180:181]
	v_add_co_ci_u32_e64 v165, null, v7, v165, s4
	v_add_co_u32 v166, s4, v6, v166
	v_ashrrev_i32_e32 v195, 31, v194
	v_lshlrev_b64 v[182:183], 1, v[182:183]
	v_add_co_ci_u32_e64 v167, null, v7, v167, s4
	v_add_co_u32 v176, s4, v6, v176
	;; [unrolled: 4-line block ×3, first 2 shown]
	v_lshlrev_b64 v[194:195], 1, v[194:195]
	v_add_co_ci_u32_e64 v179, null, v7, v179, s4
	v_add_co_u32 v180, s4, v6, v180
	v_lshlrev_b64 v[196:197], 1, v[196:197]
	v_add_co_ci_u32_e64 v181, null, v7, v181, s4
	v_add_co_u32 v182, s4, v6, v182
	v_add_co_ci_u32_e64 v183, null, v7, v183, s4
	v_add_co_u32 v192, s4, v6, v192
	v_cndmask_b32_e64 v55, v114, v86, s17
	v_add_co_ci_u32_e64 v193, null, v7, v193, s4
	v_add_co_u32 v194, s4, v6, v194
	v_add_co_ci_u32_e64 v195, null, v7, v195, s4
	v_add_co_u32 v196, s4, v6, v196
	v_add_co_ci_u32_e64 v197, null, v7, v197, s4
	s_clause 0x13
	flat_load_ushort v82, v[162:163]
	flat_load_ushort v86, v[134:135]
	;; [unrolled: 1-line block ×20, first 2 shown]
	v_bfe_i32 v66, v55, 0, 16
	s_waitcnt vmcnt(24) lgkmcnt(24)
	v_cmp_lt_i16_e64 s6, v210, v211
	v_cmp_lt_i16_e64 s5, v208, v209
	s_waitcnt vmcnt(22) lgkmcnt(22)
	v_cmp_lt_i16_e64 s7, v212, v213
	v_ashrrev_i32_e32 v67, 31, v66
	v_cndmask_b32_e64 v135, v128, v129, s6
	v_cndmask_b32_e64 v134, v132, v119, s5
	;; [unrolled: 1-line block ×4, first 2 shown]
	v_lshlrev_b64 v[66:67], 1, v[66:67]
	v_bfe_i32 v70, v135, 0, 16
	v_bfe_i32 v80, v134, 0, 16
	v_bfe_i32 v145, v144, 0, 16
	v_cndmask_b32_e64 v119, v129, v128, s6
	v_bfe_i32 v149, v132, 0, 16
	v_add_co_u32 v66, s4, v6, v66
	v_add_co_ci_u32_e64 v67, null, v7, v67, s4
	v_cmp_lt_i16_e64 s4, v198, v199
	v_ashrrev_i32_e32 v71, 31, v70
	v_ashrrev_i32_e32 v81, 31, v80
	v_cndmask_b32_e64 v128, v133, v130, s7
	v_ashrrev_i32_e32 v146, 31, v145
	v_cndmask_b32_e64 v114, v131, v54, s4
	v_cndmask_b32_e64 v131, v54, v131, s4
	s_waitcnt vmcnt(20) lgkmcnt(20)
	v_cmp_lt_i16_e64 s4, v214, v215
	v_bfe_i32 v160, v119, 0, 16
	v_lshlrev_b64 v[70:71], 1, v[70:71]
	v_bfe_i32 v68, v114, 0, 16
	v_bfe_i32 v147, v131, 0, 16
	v_cndmask_b32_e64 v129, v65, v64, s4
	v_lshlrev_b64 v[80:81], 1, v[80:81]
	v_ashrrev_i32_e32 v150, 31, v149
	v_ashrrev_i32_e32 v69, 31, v68
	;; [unrolled: 1-line block ×3, first 2 shown]
	v_bfe_i32 v162, v129, 0, 16
	v_bfe_i32 v164, v128, 0, 16
	v_lshlrev_b64 v[145:146], 1, v[145:146]
	v_lshlrev_b64 v[68:69], 1, v[68:69]
	v_ashrrev_i32_e32 v161, 31, v160
	v_lshlrev_b64 v[147:148], 1, v[147:148]
	v_ashrrev_i32_e32 v163, 31, v162
	;; [unrolled: 2-line block ×3, first 2 shown]
	v_add_co_u32 v68, s5, v6, v68
	v_add_co_ci_u32_e64 v69, null, v7, v69, s5
	v_add_co_u32 v70, s5, v6, v70
	v_add_co_ci_u32_e64 v71, null, v7, v71, s5
	v_add_co_u32 v80, s5, v6, v80
	v_lshlrev_b64 v[160:161], 1, v[160:161]
	v_add_co_ci_u32_e64 v81, null, v7, v81, s5
	v_add_co_u32 v145, s5, v6, v145
	v_lshlrev_b64 v[162:163], 1, v[162:163]
	;; [unrolled: 3-line block ×3, first 2 shown]
	v_add_co_ci_u32_e64 v148, null, v7, v148, s5
	v_add_co_u32 v149, s5, v6, v149
	v_add_co_ci_u32_e64 v150, null, v7, v150, s5
	v_add_co_u32 v160, s5, v6, v160
	v_cndmask_b32_e64 v52, v64, v65, s4
	v_add_co_ci_u32_e64 v161, null, v7, v161, s5
	v_add_co_u32 v162, s5, v6, v162
	v_add_co_ci_u32_e64 v163, null, v7, v163, s5
	v_add_co_u32 v164, s5, v6, v164
	v_bfe_i32 v64, v51, 0, 16
	v_add_co_ci_u32_e64 v165, null, v7, v165, s5
	s_clause 0x9
	flat_load_ushort v130, v[147:148]
	flat_load_ushort v133, v[66:67]
	;; [unrolled: 1-line block ×10, first 2 shown]
	v_bfe_i32 v66, v52, 0, 16
	v_ashrrev_i32_e32 v65, 31, v64
	v_ashrrev_i32_e32 v67, 31, v66
	v_lshlrev_b64 v[64:65], 1, v[64:65]
	v_lshlrev_b64 v[66:67], 1, v[66:67]
	v_add_co_u32 v64, vcc_lo, v6, v64
	v_add_co_ci_u32_e64 v65, null, v7, v65, vcc_lo
	v_add_co_u32 v66, vcc_lo, v6, v66
	v_add_co_ci_u32_e64 v67, null, v7, v67, vcc_lo
	s_clause 0x1
	flat_load_ushort v213, v[64:65]
	flat_load_ushort v214, v[66:67]
	s_waitcnt vmcnt(30) lgkmcnt(30)
	v_cmp_lt_i16_e32 vcc_lo, v82, v86
	s_waitcnt vmcnt(28) lgkmcnt(28)
	v_cmp_lt_i16_e64 s4, v224, v225
	s_waitcnt vmcnt(26) lgkmcnt(26)
	v_cmp_lt_i16_e64 s5, v166, v167
	v_cndmask_b32_e32 v64, v53, v50, vcc_lo
	s_waitcnt vmcnt(24) lgkmcnt(24)
	v_cmp_lt_i16_e64 s6, v176, v177
	v_cndmask_b32_e64 v65, v98, v83, s4
	s_waitcnt vmcnt(22) lgkmcnt(22)
	v_cmp_lt_i16_e64 s7, v178, v179
	v_cndmask_b32_e64 v66, v99, v84, s5
	;; [unrolled: 3-line block ×3, first 2 shown]
	s_waitcnt vmcnt(18) lgkmcnt(18)
	v_cmp_lt_i16_e64 s11, v182, v183
	v_bfe_i32 v98, v64, 0, 16
	v_cndmask_b32_e64 v67, v100, v85, s6
	v_cndmask_b32_e64 v83, v85, v100, s6
	s_waitcnt vmcnt(14) lgkmcnt(14)
	v_cmp_lt_i16_e64 s15, v194, v151
	v_bfe_i32 v100, v65, 0, 16
	v_cndmask_b32_e64 v68, v97, v87, s7
	v_cndmask_b32_e64 v70, v102, v115, s11
	v_cmp_lt_i16_e64 s14, v192, v193
	v_cndmask_b32_e64 v86, v115, v102, s11
	v_bfe_i32 v102, v66, 0, 16
	v_cndmask_b32_e64 v69, v101, v96, s10
	v_cndmask_b32_e64 v82, v84, v99, s5
	v_ashrrev_i32_e32 v99, 31, v98
	v_cndmask_b32_e64 v80, v112, v117, s15
	s_waitcnt vmcnt(12) lgkmcnt(12)
	v_cmp_lt_i16_e64 s16, v195, v196
	v_cndmask_b32_e64 v85, v96, v101, s10
	v_cndmask_b32_e64 v96, v117, v112, s15
	v_bfe_i32 v112, v67, 0, 16
	v_ashrrev_i32_e32 v101, 31, v100
	v_bfe_i32 v115, v68, 0, 16
	v_cndmask_b32_e64 v71, v103, v116, s14
	v_cndmask_b32_e64 v84, v87, v97, s7
	;; [unrolled: 1-line block ×3, first 2 shown]
	v_ashrrev_i32_e32 v103, 31, v102
	v_bfe_i32 v117, v69, 0, 16
	v_lshlrev_b64 v[98:99], 1, v[98:99]
	v_cndmask_b32_e64 v54, v113, v118, s16
	v_cndmask_b32_e64 v97, v118, v113, s16
	v_ashrrev_i32_e32 v113, 31, v112
	v_bfe_i32 v145, v70, 0, 16
	v_lshlrev_b64 v[100:101], 1, v[100:101]
	v_ashrrev_i32_e32 v116, 31, v115
	v_bfe_i32 v147, v71, 0, 16
	v_lshlrev_b64 v[102:103], 1, v[102:103]
	;; [unrolled: 3-line block ×3, first 2 shown]
	v_add_co_u32 v98, s4, v6, v98
	v_ashrrev_i32_e32 v146, 31, v145
	v_bfe_i32 v160, v54, 0, 16
	v_bfe_i32 v162, v81, 0, 16
	v_lshlrev_b64 v[115:116], 1, v[115:116]
	v_add_co_ci_u32_e64 v99, null, v7, v99, s4
	v_add_co_u32 v100, s4, v6, v100
	v_ashrrev_i32_e32 v148, 31, v147
	v_bfe_i32 v164, v82, 0, 16
	v_lshlrev_b64 v[117:118], 1, v[117:118]
	v_add_co_ci_u32_e64 v101, null, v7, v101, s4
	v_add_co_u32 v102, s4, v6, v102
	v_ashrrev_i32_e32 v150, 31, v149
	v_bfe_i32 v166, v83, 0, 16
	v_lshlrev_b64 v[145:146], 1, v[145:146]
	v_add_co_ci_u32_e64 v103, null, v7, v103, s4
	v_add_co_u32 v112, s4, v6, v112
	v_ashrrev_i32_e32 v161, 31, v160
	v_ashrrev_i32_e32 v163, 31, v162
	v_bfe_i32 v176, v84, 0, 16
	v_lshlrev_b64 v[147:148], 1, v[147:148]
	v_add_co_ci_u32_e64 v113, null, v7, v113, s4
	v_add_co_u32 v115, s4, v6, v115
	v_ashrrev_i32_e32 v165, 31, v164
	v_bfe_i32 v178, v85, 0, 16
	v_lshlrev_b64 v[149:150], 1, v[149:150]
	v_add_co_ci_u32_e64 v116, null, v7, v116, s4
	v_add_co_u32 v117, s4, v6, v117
	v_ashrrev_i32_e32 v167, 31, v166
	v_bfe_i32 v180, v86, 0, 16
	v_lshlrev_b64 v[160:161], 1, v[160:161]
	v_lshlrev_b64 v[162:163], 1, v[162:163]
	v_add_co_ci_u32_e64 v118, null, v7, v118, s4
	v_add_co_u32 v145, s4, v6, v145
	v_ashrrev_i32_e32 v177, 31, v176
	v_bfe_i32 v182, v87, 0, 16
	v_lshlrev_b64 v[164:165], 1, v[164:165]
	v_add_co_ci_u32_e64 v146, null, v7, v146, s4
	v_add_co_u32 v147, s4, v6, v147
	v_ashrrev_i32_e32 v179, 31, v178
	v_bfe_i32 v192, v96, 0, 16
	;; [unrolled: 5-line block ×3, first 2 shown]
	v_lshlrev_b64 v[176:177], 1, v[176:177]
	v_add_co_ci_u32_e64 v150, null, v7, v150, s4
	v_add_co_u32 v160, s4, v6, v160
	v_add_co_u32 v162, s11, v6, v162
	v_ashrrev_i32_e32 v183, 31, v182
	v_lshlrev_b64 v[178:179], 1, v[178:179]
	v_add_co_ci_u32_e64 v161, null, v7, v161, s4
	s_waitcnt vmcnt(10) lgkmcnt(10)
	v_cmp_lt_i16_e64 s4, v130, v133
	v_add_co_ci_u32_e64 v163, null, v7, v163, s11
	v_add_co_u32 v164, s11, v6, v164
	v_ashrrev_i32_e32 v193, 31, v192
	v_lshlrev_b64 v[180:181], 1, v[180:181]
	s_waitcnt vmcnt(8) lgkmcnt(8)
	v_cmp_lt_i16_e64 s5, v197, v198
	v_add_co_ci_u32_e64 v165, null, v7, v165, s11
	v_add_co_u32 v166, s11, v6, v166
	v_ashrrev_i32_e32 v195, 31, v194
	v_lshlrev_b64 v[182:183], 1, v[182:183]
	s_waitcnt vmcnt(4) lgkmcnt(4)
	v_cmp_lt_i16_e64 s7, v209, v210
	v_add_co_ci_u32_e64 v167, null, v7, v167, s11
	v_add_co_u32 v176, s11, v6, v176
	v_cndmask_b32_e64 v151, v131, v55, s4
	v_lshlrev_b64 v[192:193], 1, v[192:193]
	v_cmp_lt_i16_e64 s6, v199, v208
	v_add_co_ci_u32_e64 v177, null, v7, v177, s11
	v_add_co_u32 v178, s11, v6, v178
	v_cndmask_b32_e64 v198, v132, v114, s5
	v_lshlrev_b64 v[194:195], 1, v[194:195]
	s_waitcnt vmcnt(2) lgkmcnt(2)
	v_cmp_lt_i16_e64 s10, v211, v212
	v_add_co_ci_u32_e64 v179, null, v7, v179, s11
	v_add_co_u32 v180, s11, v6, v180
	v_cndmask_b32_e64 v244, v119, v144, s7
	v_add_co_ci_u32_e64 v181, null, v7, v181, s11
	v_add_co_u32 v182, s11, v6, v182
	s_clause 0x5
	flat_load_ushort v162, v[162:163]
	flat_load_ushort v163, v[98:99]
	;; [unrolled: 1-line block ×6, first 2 shown]
	v_bfe_i32 v98, v151, 0, 16
	v_cndmask_b32_e64 v243, v135, v134, s6
	v_add_co_ci_u32_e64 v183, null, v7, v183, s11
	v_add_co_u32 v192, s11, v6, v192
	v_bfe_i32 v100, v198, 0, 16
	v_cndmask_b32_e64 v245, v128, v129, s10
	v_add_co_ci_u32_e64 v193, null, v7, v193, s11
	v_add_co_u32 v194, s11, v6, v194
	v_bfe_i32 v102, v244, 0, 16
	v_cndmask_b32_e64 v55, v55, v131, s4
	v_ashrrev_i32_e32 v99, 31, v98
	v_add_co_ci_u32_e64 v195, null, v7, v195, s11
	s_clause 0xb
	flat_load_ushort v176, v[176:177]
	flat_load_ushort v177, v[112:113]
	;; [unrolled: 1-line block ×12, first 2 shown]
	v_bfe_i32 v112, v243, 0, 16
	v_cndmask_b32_e64 v209, v114, v132, s5
	v_ashrrev_i32_e32 v101, 31, v100
	s_waitcnt vmcnt(18) lgkmcnt(18)
	v_cmp_lt_i16_e64 s4, v213, v214
	v_bfe_i32 v114, v245, 0, 16
	v_cndmask_b32_e64 v246, v134, v135, s6
	v_ashrrev_i32_e32 v103, 31, v102
	v_bfe_i32 v116, v55, 0, 16
	v_lshlrev_b64 v[98:99], 1, v[98:99]
	v_cndmask_b32_e64 v144, v144, v119, s7
	v_ashrrev_i32_e32 v113, 31, v112
	v_bfe_i32 v118, v209, 0, 16
	v_lshlrev_b64 v[100:101], 1, v[100:101]
	v_cndmask_b32_e64 v40, v52, v51, s4
	v_ashrrev_i32_e32 v115, 31, v114
	v_cndmask_b32_e64 v247, v129, v128, s10
	v_bfe_i32 v128, v246, 0, 16
	v_lshlrev_b64 v[102:103], 1, v[102:103]
	v_ashrrev_i32_e32 v117, 31, v116
	v_bfe_i32 v130, v144, 0, 16
	v_lshlrev_b64 v[112:113], 1, v[112:113]
	v_add_co_u32 v98, s5, v6, v98
	v_ashrrev_i32_e32 v119, 31, v118
	v_bfe_i32 v132, v40, 0, 16
	v_lshlrev_b64 v[114:115], 1, v[114:115]
	v_add_co_ci_u32_e64 v99, null, v7, v99, s5
	v_add_co_u32 v100, s5, v6, v100
	v_ashrrev_i32_e32 v129, 31, v128
	v_bfe_i32 v134, v247, 0, 16
	v_lshlrev_b64 v[116:117], 1, v[116:117]
	v_add_co_ci_u32_e64 v101, null, v7, v101, s5
	v_add_co_u32 v102, s5, v6, v102
	v_ashrrev_i32_e32 v131, 31, v130
	v_lshlrev_b64 v[118:119], 1, v[118:119]
	v_add_co_ci_u32_e64 v103, null, v7, v103, s5
	v_add_co_u32 v112, s5, v6, v112
	v_ashrrev_i32_e32 v133, 31, v132
	;; [unrolled: 4-line block ×3, first 2 shown]
	v_lshlrev_b64 v[130:131], 1, v[130:131]
	v_add_co_ci_u32_e64 v115, null, v7, v115, s5
	v_add_co_u32 v116, s5, v6, v116
	v_lshlrev_b64 v[132:133], 1, v[132:133]
	v_add_co_ci_u32_e64 v117, null, v7, v117, s5
	v_add_co_u32 v118, s5, v6, v118
	;; [unrolled: 3-line block ×3, first 2 shown]
	v_add_co_ci_u32_e64 v129, null, v7, v129, s5
	v_add_co_u32 v130, s5, v6, v130
	v_add_co_ci_u32_e64 v131, null, v7, v131, s5
	v_add_co_u32 v132, s5, v6, v132
	;; [unrolled: 2-line block ×3, first 2 shown]
	v_add_co_ci_u32_e64 v135, null, v7, v135, s5
	s_clause 0xb
	flat_load_ushort v116, v[116:117]
	flat_load_ushort v117, v[160:161]
	flat_load_ushort v118, v[118:119]
	flat_load_ushort v98, v[98:99]
	flat_load_ushort v99, v[128:129]
	flat_load_ushort v100, v[100:101]
	flat_load_ushort v101, v[102:103]
	flat_load_ushort v102, v[112:113]
	flat_load_ushort v103, v[114:115]
	flat_load_ushort v112, v[130:131]
	flat_load_ushort v113, v[132:133]
	flat_load_ushort v114, v[134:135]
	v_cndmask_b32_e32 v193, v50, v53, vcc_lo
	v_cndmask_b32_e64 v179, v51, v52, s4
	s_waitcnt vmcnt(28) lgkmcnt(28)
	v_cmp_lt_i16_e32 vcc_lo, v162, v163
	s_waitcnt vmcnt(26) lgkmcnt(26)
	v_cmp_lt_i16_e64 s4, v164, v165
	s_waitcnt vmcnt(24) lgkmcnt(24)
	v_cmp_lt_i16_e64 s5, v166, v167
	v_cndmask_b32_e32 v240, v81, v64, vcc_lo
	v_cndmask_b32_e32 v194, v64, v81, vcc_lo
	v_cndmask_b32_e64 v230, v82, v65, s4
	v_cndmask_b32_e64 v242, v65, v82, s4
	;; [unrolled: 1-line block ×4, first 2 shown]
	s_waitcnt vmcnt(22) lgkmcnt(22)
	v_cmp_lt_i16_e64 s6, v176, v177
	s_waitcnt vmcnt(20) lgkmcnt(20)
	v_cmp_lt_i16_e64 s7, v178, v196
	;; [unrolled: 2-line block ×3, first 2 shown]
	v_cndmask_b32_e64 v226, v84, v67, s6
	s_waitcnt vmcnt(16) lgkmcnt(16)
	v_cmp_lt_i16_e64 s11, v182, v145
	v_cndmask_b32_e64 v225, v85, v68, s7
	s_waitcnt vmcnt(14) lgkmcnt(14)
	v_cmp_lt_i16_e64 s14, v146, v147
	;; [unrolled: 3-line block ×3, first 2 shown]
	v_cndmask_b32_e64 v231, v67, v84, s6
	v_cndmask_b32_e64 v229, v68, v85, s7
	;; [unrolled: 1-line block ×9, first 2 shown]
	s_waitcnt vmcnt(10) lgkmcnt(10)
	v_cmp_lt_i16_e32 vcc_lo, v116, v117
	s_waitcnt vmcnt(8) lgkmcnt(8)
	v_cmp_lt_i16_e64 s4, v118, v98
	s_waitcnt vmcnt(6) lgkmcnt(6)
	v_cmp_lt_i16_e64 s5, v99, v100
	v_cndmask_b32_e32 v208, v55, v54, vcc_lo
	s_waitcnt vmcnt(4) lgkmcnt(4)
	v_cmp_lt_i16_e64 s6, v101, v102
	v_cndmask_b32_e64 v197, v209, v151, s4
	s_waitcnt vmcnt(2) lgkmcnt(2)
	v_cmp_lt_i16_e64 s7, v103, v112
	v_cndmask_b32_e64 v196, v246, v198, s5
	;; [unrolled: 3-line block ×3, first 2 shown]
	v_cndmask_b32_e32 v212, v54, v55, vcc_lo
	v_cndmask_b32_e64 v183, v144, v245, s7
	v_cndmask_b32_e64 v209, v151, v209, s4
	;; [unrolled: 1-line block ×7, first 2 shown]
.LBB1044_3:
	s_or_b32 exec_lo, exec_lo, s22
	v_and_b32_e32 v49, 0xfffffc00, v49
	v_mov_b32_e32 v50, v9
	s_mov_b32 s4, exec_lo
	v_sub_nc_u32_e64 v113, 0x2000, v49 clamp
	v_lshlrev_b64 v[50:51], 1, v[49:50]
	v_mbcnt_lo_u32_b32 v51, -1, 0
	v_lshlrev_b32_e32 v114, 5, v51
	v_add_co_u32 v112, null, 0, v50
	v_or_b32_e32 v49, 32, v114
	v_and_b32_e32 v50, 32, v114
	v_and_b32_e32 v245, 0x3c0, v114
	v_lshl_add_u32 v115, v51, 6, v112
	ds_write_b16 v115, v193
	ds_write_b16 v115, v194 offset:2
	ds_write_b16 v115, v240 offset:4
	ds_write_b16 v115, v242 offset:6
	ds_write_b16 v115, v230 offset:8
	ds_write_b16 v115, v241 offset:10
	ds_write_b16 v115, v228 offset:12
	ds_write_b16 v115, v231 offset:14
	ds_write_b16 v115, v226 offset:16
	ds_write_b16 v115, v229 offset:18
	ds_write_b16 v115, v225 offset:20
	ds_write_b16 v115, v227 offset:22
	ds_write_b16 v115, v215 offset:24
	ds_write_b16 v115, v224 offset:26
	v_min_u32_e32 v243, v113, v49
	v_min_u32_e32 v246, v113, v50
	ds_write_b16 v115, v213 offset:28
	ds_write_b16 v115, v214 offset:30
	;; [unrolled: 1-line block ×9, first 2 shown]
	v_add_nc_u32_e32 v49, 32, v243
	v_sub_nc_u32_e32 v50, v243, v245
	ds_write_b16 v115, v198 offset:46
	ds_write_b16 v115, v196 offset:48
	;; [unrolled: 1-line block ×9, first 2 shown]
	v_min_u32_e32 v244, v113, v49
	; wave barrier
	v_sub_nc_u32_e32 v49, v244, v243
	v_sub_nc_u32_e64 v247, v246, v49 clamp
	v_min_u32_e32 v49, v246, v50
	v_cmpx_lt_u32_e64 v247, v49
	s_cbranch_execz .LBB1044_7
; %bb.4:
	v_lshlrev_b32_e32 v50, 1, v245
	v_lshlrev_b32_e32 v51, 1, v243
	s_mov_b32 s5, 0
	v_add_co_u32 v50, null, v112, v50
	v_add_co_u32 v51, null, v112, v51
	s_inst_prefetch 0x1
	.p2align	6
.LBB1044_5:                             ; =>This Inner Loop Header: Depth=1
	v_add_nc_u32_e32 v52, v49, v247
	v_lshrrev_b32_e32 v64, 1, v52
	v_and_b32_e32 v52, -2, v52
	v_xad_u32 v53, v64, -1, v246
	v_add_nc_u32_e32 v52, v50, v52
	v_lshl_add_u32 v53, v53, 1, v51
	ds_read_u16 v52, v52
	ds_read_u16 v53, v53
	s_waitcnt lgkmcnt(1)
	v_bfe_i32 v52, v52, 0, 16
	s_waitcnt lgkmcnt(0)
	v_bfe_i32 v54, v53, 0, 16
	v_ashrrev_i32_e32 v53, 31, v52
	v_ashrrev_i32_e32 v55, 31, v54
	v_lshlrev_b64 v[52:53], 1, v[52:53]
	v_lshlrev_b64 v[54:55], 1, v[54:55]
	v_add_co_u32 v52, vcc_lo, v6, v52
	v_add_co_ci_u32_e64 v53, null, v7, v53, vcc_lo
	v_add_co_u32 v54, vcc_lo, v6, v54
	v_add_co_ci_u32_e64 v55, null, v7, v55, vcc_lo
	s_clause 0x1
	flat_load_ushort v54, v[54:55]
	flat_load_ushort v52, v[52:53]
	v_add_nc_u32_e32 v53, 1, v64
	s_waitcnt vmcnt(0) lgkmcnt(0)
	v_cmp_lt_i16_e32 vcc_lo, v54, v52
	v_cndmask_b32_e32 v49, v49, v64, vcc_lo
	v_cndmask_b32_e32 v247, v53, v247, vcc_lo
	v_cmp_ge_u32_e32 vcc_lo, v247, v49
	s_or_b32 s5, vcc_lo, s5
	s_andn2_b32 exec_lo, exec_lo, s5
	s_cbranch_execnz .LBB1044_5
; %bb.6:
	s_inst_prefetch 0x2
	s_or_b32 exec_lo, exec_lo, s5
.LBB1044_7:
	s_or_b32 exec_lo, exec_lo, s4
	v_add_nc_u32_e32 v246, v243, v246
	v_add_nc_u32_e32 v245, v247, v245
	;; [unrolled: 1-line block ×5, first 2 shown]
	v_sub_nc_u32_e32 v246, v246, v247
	v_cmp_le_u32_e32 vcc_lo, v245, v243
	v_or_b32_e32 v49, 2, v37
	v_add_nc_u32_e32 v50, 4, v37
	v_add_nc_u32_e32 v51, 6, v37
	v_cmp_le_u32_e64 s4, v246, v244
	v_add_nc_u32_e32 v52, 8, v37
	v_add_nc_u32_e32 v53, 10, v37
	;; [unrolled: 1-line block ×59, first 2 shown]
	s_or_b32 s4, vcc_lo, s4
	s_and_saveexec_b32 s5, s4
	s_cbranch_execz .LBB1044_139
; %bb.8:
	s_mov_b32 s6, exec_lo
	v_cmp_ge_u32_e32 vcc_lo, v245, v243
                                        ; implicit-def: $vgpr180
	v_cmpx_lt_u32_e64 v245, v243
; %bb.9:
	v_lshl_add_u32 v179, v245, 1, v112
	ds_read_u16 v180, v179
; %bb.10:
	s_or_b32 exec_lo, exec_lo, s6
	v_cmp_ge_u32_e64 s6, v246, v244
	s_mov_b32 s7, exec_lo
                                        ; implicit-def: $vgpr193
	v_cmpx_lt_u32_e64 v246, v244
; %bb.11:
	v_lshl_add_u32 v179, v246, 1, v112
	ds_read_u16 v193, v179
; %bb.12:
	s_or_b32 exec_lo, exec_lo, s7
	s_nor_b32 s7, vcc_lo, s6
	s_and_saveexec_b32 s4, s7
	s_cbranch_execz .LBB1044_14
; %bb.13:
	s_waitcnt lgkmcnt(0)
	v_bfe_i32 v181, v193, 0, 16
	v_bfe_i32 v194, v180, 0, 16
	s_andn2_b32 s6, s6, exec_lo
	v_ashrrev_i32_e32 v182, 31, v181
	v_ashrrev_i32_e32 v195, 31, v194
	v_lshlrev_b64 v[181:182], 1, v[181:182]
	v_lshlrev_b64 v[194:195], 1, v[194:195]
	v_add_co_u32 v181, vcc_lo, v6, v181
	v_add_co_ci_u32_e64 v182, null, v7, v182, vcc_lo
	v_add_co_u32 v194, vcc_lo, v6, v194
	v_add_co_ci_u32_e64 v195, null, v7, v195, vcc_lo
	s_clause 0x1
	flat_load_ushort v179, v[181:182]
	flat_load_ushort v181, v[194:195]
	s_waitcnt vmcnt(0) lgkmcnt(0)
	v_cmp_ge_i16_e32 vcc_lo, v179, v181
	s_and_b32 s7, vcc_lo, exec_lo
	s_or_b32 s6, s6, s7
.LBB1044_14:
	s_or_b32 exec_lo, exec_lo, s4
	v_cndmask_b32_e64 v179, v246, v245, s6
	v_cndmask_b32_e64 v181, v244, v243, s6
	s_mov_b32 s7, -1
	s_mov_b32 s4, -1
	s_mov_b32 s10, exec_lo
	v_add_nc_u32_e32 v182, 1, v179
	v_add_nc_u32_e32 v179, -1, v181
	v_cndmask_b32_e64 v181, v245, v182, s6
	v_min_u32_e32 v179, v182, v179
	v_lshl_add_u32 v179, v179, 1, v112
	ds_read_u16 v183, v179
	v_cndmask_b32_e64 v179, v182, v246, s6
	s_waitcnt lgkmcnt(0)
	v_cndmask_b32_e64 v194, v183, v193, s6
	v_cndmask_b32_e64 v245, v180, v183, s6
	v_cmpx_lt_u32_e64 v179, v244
	s_cbranch_execz .LBB1044_18
; %bb.15:
	s_mov_b32 s11, 0
	s_mov_b32 s4, exec_lo
	v_cmpx_lt_u32_e64 v181, v243
	s_cbranch_execz .LBB1044_17
; %bb.16:
	v_bfe_i32 v182, v194, 0, 16
	v_bfe_i32 v195, v245, 0, 16
	v_ashrrev_i32_e32 v183, 31, v182
	v_ashrrev_i32_e32 v196, 31, v195
	v_lshlrev_b64 v[182:183], 1, v[182:183]
	v_lshlrev_b64 v[195:196], 1, v[195:196]
	v_add_co_u32 v182, vcc_lo, v6, v182
	v_add_co_ci_u32_e64 v183, null, v7, v183, vcc_lo
	v_add_co_u32 v195, vcc_lo, v6, v195
	v_add_co_ci_u32_e64 v196, null, v7, v196, vcc_lo
	s_clause 0x1
	flat_load_ushort v182, v[182:183]
	flat_load_ushort v183, v[195:196]
	s_waitcnt vmcnt(0) lgkmcnt(0)
	v_cmp_ge_i16_e32 vcc_lo, v182, v183
	s_and_b32 s11, vcc_lo, exec_lo
.LBB1044_17:
	s_or_b32 exec_lo, exec_lo, s4
	s_orn2_b32 s4, s11, exec_lo
.LBB1044_18:
	s_or_b32 exec_lo, exec_lo, s10
	v_cndmask_b32_e64 v182, v179, v181, s4
	v_cndmask_b32_e64 v183, v244, v243, s4
	s_mov_b32 s10, exec_lo
	v_add_nc_u32_e32 v182, 1, v182
	v_add_nc_u32_e32 v183, -1, v183
	v_cndmask_b32_e64 v179, v182, v179, s4
	v_min_u32_e32 v183, v182, v183
	v_cndmask_b32_e64 v181, v181, v182, s4
	v_lshl_add_u32 v183, v183, 1, v112
	ds_read_u16 v183, v183
	s_waitcnt lgkmcnt(0)
	v_cndmask_b32_e64 v240, v183, v194, s4
	v_cndmask_b32_e64 v246, v245, v183, s4
	v_cmpx_lt_u32_e64 v179, v244
	s_cbranch_execz .LBB1044_22
; %bb.19:
	s_mov_b32 s11, 0
	s_mov_b32 s7, exec_lo
	v_cmpx_lt_u32_e64 v181, v243
	s_cbranch_execz .LBB1044_21
; %bb.20:
	v_bfe_i32 v182, v240, 0, 16
	v_bfe_i32 v195, v246, 0, 16
	v_ashrrev_i32_e32 v183, 31, v182
	v_ashrrev_i32_e32 v196, 31, v195
	v_lshlrev_b64 v[182:183], 1, v[182:183]
	v_lshlrev_b64 v[195:196], 1, v[195:196]
	v_add_co_u32 v182, vcc_lo, v6, v182
	v_add_co_ci_u32_e64 v183, null, v7, v183, vcc_lo
	v_add_co_u32 v195, vcc_lo, v6, v195
	v_add_co_ci_u32_e64 v196, null, v7, v196, vcc_lo
	s_clause 0x1
	flat_load_ushort v182, v[182:183]
	flat_load_ushort v183, v[195:196]
	s_waitcnt vmcnt(0) lgkmcnt(0)
	v_cmp_ge_i16_e32 vcc_lo, v182, v183
	s_and_b32 s11, vcc_lo, exec_lo
.LBB1044_21:
	s_or_b32 exec_lo, exec_lo, s7
	s_orn2_b32 s7, s11, exec_lo
.LBB1044_22:
	s_or_b32 exec_lo, exec_lo, s10
	v_cndmask_b32_e64 v182, v179, v181, s7
	v_cndmask_b32_e64 v183, v244, v243, s7
	s_mov_b32 s11, -1
	s_mov_b32 s10, -1
	s_mov_b32 s14, exec_lo
	v_add_nc_u32_e32 v182, 1, v182
	v_add_nc_u32_e32 v183, -1, v183
	v_cndmask_b32_e64 v179, v182, v179, s7
	v_min_u32_e32 v183, v182, v183
	v_cndmask_b32_e64 v181, v181, v182, s7
	v_lshl_add_u32 v183, v183, 1, v112
	ds_read_u16 v183, v183
	s_waitcnt lgkmcnt(0)
	v_cndmask_b32_e64 v242, v183, v240, s7
	v_cndmask_b32_e64 v247, v246, v183, s7
	v_cmpx_lt_u32_e64 v179, v244
	s_cbranch_execz .LBB1044_26
; %bb.23:
	s_mov_b32 s15, 0
	s_mov_b32 s10, exec_lo
	v_cmpx_lt_u32_e64 v181, v243
	s_cbranch_execz .LBB1044_25
; %bb.24:
	v_bfe_i32 v182, v242, 0, 16
	v_bfe_i32 v195, v247, 0, 16
	v_ashrrev_i32_e32 v183, 31, v182
	v_ashrrev_i32_e32 v196, 31, v195
	v_lshlrev_b64 v[182:183], 1, v[182:183]
	v_lshlrev_b64 v[195:196], 1, v[195:196]
	v_add_co_u32 v182, vcc_lo, v6, v182
	v_add_co_ci_u32_e64 v183, null, v7, v183, vcc_lo
	v_add_co_u32 v195, vcc_lo, v6, v195
	v_add_co_ci_u32_e64 v196, null, v7, v196, vcc_lo
	s_clause 0x1
	flat_load_ushort v182, v[182:183]
	flat_load_ushort v183, v[195:196]
	s_waitcnt vmcnt(0) lgkmcnt(0)
	v_cmp_ge_i16_e32 vcc_lo, v182, v183
	s_and_b32 s15, vcc_lo, exec_lo
.LBB1044_25:
	s_or_b32 exec_lo, exec_lo, s10
	s_orn2_b32 s10, s15, exec_lo
.LBB1044_26:
	s_or_b32 exec_lo, exec_lo, s14
	v_cndmask_b32_e64 v182, v179, v181, s10
	v_cndmask_b32_e64 v183, v244, v243, s10
	s_mov_b32 s14, exec_lo
	v_add_nc_u32_e32 v182, 1, v182
	v_add_nc_u32_e32 v183, -1, v183
	v_cndmask_b32_e64 v179, v182, v179, s10
	v_min_u32_e32 v183, v182, v183
	v_cndmask_b32_e64 v181, v181, v182, s10
	v_lshl_add_u32 v183, v183, 1, v112
	ds_read_u16 v183, v183
	s_waitcnt lgkmcnt(0)
	v_cndmask_b32_e64 v230, v183, v242, s10
	v_cndmask_b32_e64 v40, v247, v183, s10
	v_cmpx_lt_u32_e64 v179, v244
	s_cbranch_execz .LBB1044_30
; %bb.27:
	s_mov_b32 s15, 0
	s_mov_b32 s11, exec_lo
	v_cmpx_lt_u32_e64 v181, v243
	s_cbranch_execz .LBB1044_29
; %bb.28:
	v_bfe_i32 v182, v230, 0, 16
	v_bfe_i32 v195, v40, 0, 16
	v_ashrrev_i32_e32 v183, 31, v182
	v_ashrrev_i32_e32 v196, 31, v195
	v_lshlrev_b64 v[182:183], 1, v[182:183]
	v_lshlrev_b64 v[195:196], 1, v[195:196]
	v_add_co_u32 v182, vcc_lo, v6, v182
	v_add_co_ci_u32_e64 v183, null, v7, v183, vcc_lo
	v_add_co_u32 v195, vcc_lo, v6, v195
	v_add_co_ci_u32_e64 v196, null, v7, v196, vcc_lo
	s_clause 0x1
	flat_load_ushort v182, v[182:183]
	flat_load_ushort v183, v[195:196]
	s_waitcnt vmcnt(0) lgkmcnt(0)
	v_cmp_ge_i16_e32 vcc_lo, v182, v183
	s_and_b32 s15, vcc_lo, exec_lo
.LBB1044_29:
	s_or_b32 exec_lo, exec_lo, s11
	s_orn2_b32 s11, s15, exec_lo
.LBB1044_30:
	s_or_b32 exec_lo, exec_lo, s14
	v_cndmask_b32_e64 v182, v179, v181, s11
	v_cndmask_b32_e64 v183, v244, v243, s11
	s_mov_b32 s15, -1
	s_mov_b32 s14, -1
	s_mov_b32 s16, exec_lo
	v_add_nc_u32_e32 v182, 1, v182
	v_add_nc_u32_e32 v183, -1, v183
	v_cndmask_b32_e64 v179, v182, v179, s11
	v_min_u32_e32 v183, v182, v183
	v_cndmask_b32_e64 v181, v181, v182, s11
	v_lshl_add_u32 v183, v183, 1, v112
	ds_read_u16 v183, v183
	s_waitcnt lgkmcnt(0)
	v_cndmask_b32_e64 v241, v183, v230, s11
	v_cndmask_b32_e64 v41, v40, v183, s11
	v_cmpx_lt_u32_e64 v179, v244
	s_cbranch_execz .LBB1044_34
; %bb.31:
	s_mov_b32 s17, 0
	s_mov_b32 s14, exec_lo
	v_cmpx_lt_u32_e64 v181, v243
	s_cbranch_execz .LBB1044_33
; %bb.32:
	v_bfe_i32 v182, v241, 0, 16
	v_bfe_i32 v195, v41, 0, 16
	v_ashrrev_i32_e32 v183, 31, v182
	v_ashrrev_i32_e32 v196, 31, v195
	v_lshlrev_b64 v[182:183], 1, v[182:183]
	v_lshlrev_b64 v[195:196], 1, v[195:196]
	v_add_co_u32 v182, vcc_lo, v6, v182
	v_add_co_ci_u32_e64 v183, null, v7, v183, vcc_lo
	v_add_co_u32 v195, vcc_lo, v6, v195
	v_add_co_ci_u32_e64 v196, null, v7, v196, vcc_lo
	s_clause 0x1
	flat_load_ushort v182, v[182:183]
	flat_load_ushort v183, v[195:196]
	s_waitcnt vmcnt(0) lgkmcnt(0)
	v_cmp_ge_i16_e32 vcc_lo, v182, v183
	s_and_b32 s17, vcc_lo, exec_lo
.LBB1044_33:
	s_or_b32 exec_lo, exec_lo, s14
	s_orn2_b32 s14, s17, exec_lo
.LBB1044_34:
	s_or_b32 exec_lo, exec_lo, s16
	v_cndmask_b32_e64 v182, v179, v181, s14
	v_cndmask_b32_e64 v183, v244, v243, s14
	s_mov_b32 s16, exec_lo
	v_add_nc_u32_e32 v182, 1, v182
	v_add_nc_u32_e32 v183, -1, v183
	v_cndmask_b32_e64 v179, v182, v179, s14
	v_min_u32_e32 v183, v182, v183
	v_cndmask_b32_e64 v181, v181, v182, s14
	v_lshl_add_u32 v183, v183, 1, v112
	ds_read_u16 v183, v183
	s_waitcnt lgkmcnt(0)
	v_cndmask_b32_e64 v228, v183, v241, s14
	v_cndmask_b32_e64 v42, v41, v183, s14
	v_cmpx_lt_u32_e64 v179, v244
	s_cbranch_execz .LBB1044_38
; %bb.35:
	s_mov_b32 s17, 0
	s_mov_b32 s15, exec_lo
	v_cmpx_lt_u32_e64 v181, v243
	s_cbranch_execz .LBB1044_37
; %bb.36:
	v_bfe_i32 v182, v228, 0, 16
	v_bfe_i32 v195, v42, 0, 16
	v_ashrrev_i32_e32 v183, 31, v182
	v_ashrrev_i32_e32 v196, 31, v195
	v_lshlrev_b64 v[182:183], 1, v[182:183]
	v_lshlrev_b64 v[195:196], 1, v[195:196]
	v_add_co_u32 v182, vcc_lo, v6, v182
	v_add_co_ci_u32_e64 v183, null, v7, v183, vcc_lo
	v_add_co_u32 v195, vcc_lo, v6, v195
	v_add_co_ci_u32_e64 v196, null, v7, v196, vcc_lo
	s_clause 0x1
	flat_load_ushort v182, v[182:183]
	flat_load_ushort v183, v[195:196]
	s_waitcnt vmcnt(0) lgkmcnt(0)
	v_cmp_ge_i16_e32 vcc_lo, v182, v183
	s_and_b32 s17, vcc_lo, exec_lo
.LBB1044_37:
	s_or_b32 exec_lo, exec_lo, s15
	s_orn2_b32 s15, s17, exec_lo
.LBB1044_38:
	s_or_b32 exec_lo, exec_lo, s16
	v_cndmask_b32_e64 v182, v179, v181, s15
	v_cndmask_b32_e64 v183, v244, v243, s15
	s_mov_b32 s17, -1
	s_mov_b32 s16, -1
	s_mov_b32 s18, exec_lo
	v_add_nc_u32_e32 v182, 1, v182
	v_add_nc_u32_e32 v183, -1, v183
	v_cndmask_b32_e64 v179, v182, v179, s15
	v_min_u32_e32 v183, v182, v183
	v_cndmask_b32_e64 v181, v181, v182, s15
	v_lshl_add_u32 v183, v183, 1, v112
	ds_read_u16 v183, v183
	s_waitcnt lgkmcnt(0)
	v_cndmask_b32_e64 v231, v183, v228, s15
	v_cndmask_b32_e64 v43, v42, v183, s15
	v_cmpx_lt_u32_e64 v179, v244
	s_cbranch_execz .LBB1044_42
; %bb.39:
	s_mov_b32 s19, 0
	s_mov_b32 s16, exec_lo
	v_cmpx_lt_u32_e64 v181, v243
	s_cbranch_execz .LBB1044_41
; %bb.40:
	v_bfe_i32 v182, v231, 0, 16
	v_bfe_i32 v195, v43, 0, 16
	v_ashrrev_i32_e32 v183, 31, v182
	v_ashrrev_i32_e32 v196, 31, v195
	v_lshlrev_b64 v[182:183], 1, v[182:183]
	v_lshlrev_b64 v[195:196], 1, v[195:196]
	v_add_co_u32 v182, vcc_lo, v6, v182
	v_add_co_ci_u32_e64 v183, null, v7, v183, vcc_lo
	v_add_co_u32 v195, vcc_lo, v6, v195
	v_add_co_ci_u32_e64 v196, null, v7, v196, vcc_lo
	s_clause 0x1
	flat_load_ushort v182, v[182:183]
	flat_load_ushort v183, v[195:196]
	s_waitcnt vmcnt(0) lgkmcnt(0)
	v_cmp_ge_i16_e32 vcc_lo, v182, v183
	s_and_b32 s19, vcc_lo, exec_lo
.LBB1044_41:
	s_or_b32 exec_lo, exec_lo, s16
	s_orn2_b32 s16, s19, exec_lo
.LBB1044_42:
	s_or_b32 exec_lo, exec_lo, s18
	v_cndmask_b32_e64 v182, v179, v181, s16
	v_cndmask_b32_e64 v183, v244, v243, s16
	s_mov_b32 s18, exec_lo
	v_add_nc_u32_e32 v182, 1, v182
	v_add_nc_u32_e32 v183, -1, v183
	v_cndmask_b32_e64 v179, v182, v179, s16
	v_min_u32_e32 v183, v182, v183
	v_cndmask_b32_e64 v181, v181, v182, s16
	v_lshl_add_u32 v183, v183, 1, v112
	ds_read_u16 v183, v183
	s_waitcnt lgkmcnt(0)
	v_cndmask_b32_e64 v226, v183, v231, s16
	v_cndmask_b32_e64 v44, v43, v183, s16
	v_cmpx_lt_u32_e64 v179, v244
	s_cbranch_execz .LBB1044_46
; %bb.43:
	s_mov_b32 s19, 0
	s_mov_b32 s17, exec_lo
	v_cmpx_lt_u32_e64 v181, v243
	s_cbranch_execz .LBB1044_45
; %bb.44:
	v_bfe_i32 v182, v226, 0, 16
	v_bfe_i32 v195, v44, 0, 16
	v_ashrrev_i32_e32 v183, 31, v182
	v_ashrrev_i32_e32 v196, 31, v195
	v_lshlrev_b64 v[182:183], 1, v[182:183]
	v_lshlrev_b64 v[195:196], 1, v[195:196]
	v_add_co_u32 v182, vcc_lo, v6, v182
	v_add_co_ci_u32_e64 v183, null, v7, v183, vcc_lo
	v_add_co_u32 v195, vcc_lo, v6, v195
	v_add_co_ci_u32_e64 v196, null, v7, v196, vcc_lo
	s_clause 0x1
	flat_load_ushort v182, v[182:183]
	flat_load_ushort v183, v[195:196]
	s_waitcnt vmcnt(0) lgkmcnt(0)
	v_cmp_ge_i16_e32 vcc_lo, v182, v183
	s_and_b32 s19, vcc_lo, exec_lo
.LBB1044_45:
	s_or_b32 exec_lo, exec_lo, s17
	s_orn2_b32 s17, s19, exec_lo
.LBB1044_46:
	s_or_b32 exec_lo, exec_lo, s18
	v_cndmask_b32_e64 v182, v179, v181, s17
	v_cndmask_b32_e64 v183, v244, v243, s17
	s_mov_b32 s19, -1
	s_mov_b32 s18, -1
	s_mov_b32 s20, exec_lo
	v_add_nc_u32_e32 v182, 1, v182
	v_add_nc_u32_e32 v183, -1, v183
	v_cndmask_b32_e64 v179, v182, v179, s17
	v_min_u32_e32 v183, v182, v183
	v_cndmask_b32_e64 v181, v181, v182, s17
	v_lshl_add_u32 v183, v183, 1, v112
	ds_read_u16 v183, v183
	s_waitcnt lgkmcnt(0)
	v_cndmask_b32_e64 v229, v183, v226, s17
	v_cndmask_b32_e64 v45, v44, v183, s17
	v_cmpx_lt_u32_e64 v179, v244
	s_cbranch_execz .LBB1044_50
; %bb.47:
	s_mov_b32 s22, 0
	s_mov_b32 s18, exec_lo
	v_cmpx_lt_u32_e64 v181, v243
	s_cbranch_execz .LBB1044_49
; %bb.48:
	v_bfe_i32 v182, v229, 0, 16
	v_bfe_i32 v195, v45, 0, 16
	v_ashrrev_i32_e32 v183, 31, v182
	v_ashrrev_i32_e32 v196, 31, v195
	v_lshlrev_b64 v[182:183], 1, v[182:183]
	v_lshlrev_b64 v[195:196], 1, v[195:196]
	v_add_co_u32 v182, vcc_lo, v6, v182
	v_add_co_ci_u32_e64 v183, null, v7, v183, vcc_lo
	v_add_co_u32 v195, vcc_lo, v6, v195
	v_add_co_ci_u32_e64 v196, null, v7, v196, vcc_lo
	s_clause 0x1
	flat_load_ushort v182, v[182:183]
	flat_load_ushort v183, v[195:196]
	s_waitcnt vmcnt(0) lgkmcnt(0)
	v_cmp_ge_i16_e32 vcc_lo, v182, v183
	s_and_b32 s22, vcc_lo, exec_lo
.LBB1044_49:
	s_or_b32 exec_lo, exec_lo, s18
	s_orn2_b32 s18, s22, exec_lo
.LBB1044_50:
	s_or_b32 exec_lo, exec_lo, s20
	v_cndmask_b32_e64 v182, v179, v181, s18
	v_cndmask_b32_e64 v183, v244, v243, s18
	s_mov_b32 s20, exec_lo
	v_add_nc_u32_e32 v182, 1, v182
	v_add_nc_u32_e32 v183, -1, v183
	v_cndmask_b32_e64 v179, v182, v179, s18
	v_min_u32_e32 v183, v182, v183
	v_cndmask_b32_e64 v181, v181, v182, s18
	v_lshl_add_u32 v183, v183, 1, v112
	ds_read_u16 v183, v183
	s_waitcnt lgkmcnt(0)
	v_cndmask_b32_e64 v225, v183, v229, s18
	v_cndmask_b32_e64 v46, v45, v183, s18
	v_cmpx_lt_u32_e64 v179, v244
	s_cbranch_execz .LBB1044_54
; %bb.51:
	s_mov_b32 s22, 0
	s_mov_b32 s19, exec_lo
	v_cmpx_lt_u32_e64 v181, v243
	s_cbranch_execz .LBB1044_53
; %bb.52:
	v_bfe_i32 v182, v225, 0, 16
	v_bfe_i32 v195, v46, 0, 16
	v_ashrrev_i32_e32 v183, 31, v182
	v_ashrrev_i32_e32 v196, 31, v195
	v_lshlrev_b64 v[182:183], 1, v[182:183]
	v_lshlrev_b64 v[195:196], 1, v[195:196]
	v_add_co_u32 v182, vcc_lo, v6, v182
	v_add_co_ci_u32_e64 v183, null, v7, v183, vcc_lo
	v_add_co_u32 v195, vcc_lo, v6, v195
	v_add_co_ci_u32_e64 v196, null, v7, v196, vcc_lo
	s_clause 0x1
	flat_load_ushort v182, v[182:183]
	flat_load_ushort v183, v[195:196]
	s_waitcnt vmcnt(0) lgkmcnt(0)
	v_cmp_ge_i16_e32 vcc_lo, v182, v183
	s_and_b32 s22, vcc_lo, exec_lo
.LBB1044_53:
	s_or_b32 exec_lo, exec_lo, s19
	s_orn2_b32 s19, s22, exec_lo
.LBB1044_54:
	s_or_b32 exec_lo, exec_lo, s20
	v_cndmask_b32_e64 v182, v179, v181, s19
	v_cndmask_b32_e64 v183, v244, v243, s19
	s_mov_b32 s22, -1
	s_mov_b32 s20, -1
	s_mov_b32 s23, exec_lo
	v_add_nc_u32_e32 v182, 1, v182
	v_add_nc_u32_e32 v183, -1, v183
	v_cndmask_b32_e64 v179, v182, v179, s19
	v_min_u32_e32 v183, v182, v183
	v_cndmask_b32_e64 v181, v181, v182, s19
	v_lshl_add_u32 v183, v183, 1, v112
	ds_read_u16 v183, v183
	s_waitcnt lgkmcnt(0)
	v_cndmask_b32_e64 v227, v183, v225, s19
	v_cndmask_b32_e64 v47, v46, v183, s19
	v_cmpx_lt_u32_e64 v179, v244
	s_cbranch_execz .LBB1044_58
; %bb.55:
	s_mov_b32 s24, 0
	s_mov_b32 s20, exec_lo
	v_cmpx_lt_u32_e64 v181, v243
	s_cbranch_execz .LBB1044_57
; %bb.56:
	v_bfe_i32 v182, v227, 0, 16
	v_bfe_i32 v195, v47, 0, 16
	v_ashrrev_i32_e32 v183, 31, v182
	v_ashrrev_i32_e32 v196, 31, v195
	v_lshlrev_b64 v[182:183], 1, v[182:183]
	v_lshlrev_b64 v[195:196], 1, v[195:196]
	v_add_co_u32 v182, vcc_lo, v6, v182
	v_add_co_ci_u32_e64 v183, null, v7, v183, vcc_lo
	v_add_co_u32 v195, vcc_lo, v6, v195
	v_add_co_ci_u32_e64 v196, null, v7, v196, vcc_lo
	s_clause 0x1
	flat_load_ushort v182, v[182:183]
	flat_load_ushort v183, v[195:196]
	s_waitcnt vmcnt(0) lgkmcnt(0)
	v_cmp_ge_i16_e32 vcc_lo, v182, v183
	s_and_b32 s24, vcc_lo, exec_lo
.LBB1044_57:
	s_or_b32 exec_lo, exec_lo, s20
	s_orn2_b32 s20, s24, exec_lo
.LBB1044_58:
	s_or_b32 exec_lo, exec_lo, s23
	v_cndmask_b32_e64 v182, v179, v181, s20
	v_cndmask_b32_e64 v183, v244, v243, s20
	s_mov_b32 s23, exec_lo
	v_add_nc_u32_e32 v182, 1, v182
	v_add_nc_u32_e32 v183, -1, v183
	v_cndmask_b32_e64 v179, v182, v179, s20
	v_min_u32_e32 v183, v182, v183
	v_cndmask_b32_e64 v181, v181, v182, s20
	v_lshl_add_u32 v183, v183, 1, v112
	ds_read_u16 v183, v183
	s_waitcnt lgkmcnt(0)
	v_cndmask_b32_e64 v215, v183, v227, s20
	v_cndmask_b32_e64 v56, v47, v183, s20
	v_cmpx_lt_u32_e64 v179, v244
	s_cbranch_execz .LBB1044_62
; %bb.59:
	s_mov_b32 s24, 0
	s_mov_b32 s22, exec_lo
	v_cmpx_lt_u32_e64 v181, v243
	s_cbranch_execz .LBB1044_61
; %bb.60:
	v_bfe_i32 v182, v215, 0, 16
	v_bfe_i32 v195, v56, 0, 16
	v_ashrrev_i32_e32 v183, 31, v182
	v_ashrrev_i32_e32 v196, 31, v195
	v_lshlrev_b64 v[182:183], 1, v[182:183]
	v_lshlrev_b64 v[195:196], 1, v[195:196]
	v_add_co_u32 v182, vcc_lo, v6, v182
	v_add_co_ci_u32_e64 v183, null, v7, v183, vcc_lo
	v_add_co_u32 v195, vcc_lo, v6, v195
	v_add_co_ci_u32_e64 v196, null, v7, v196, vcc_lo
	s_clause 0x1
	flat_load_ushort v182, v[182:183]
	flat_load_ushort v183, v[195:196]
	s_waitcnt vmcnt(0) lgkmcnt(0)
	v_cmp_ge_i16_e32 vcc_lo, v182, v183
	s_and_b32 s24, vcc_lo, exec_lo
.LBB1044_61:
	s_or_b32 exec_lo, exec_lo, s22
	s_orn2_b32 s22, s24, exec_lo
.LBB1044_62:
	s_or_b32 exec_lo, exec_lo, s23
	v_cndmask_b32_e64 v182, v179, v181, s22
	v_cndmask_b32_e64 v183, v244, v243, s22
	s_mov_b32 s24, -1
	s_mov_b32 s23, -1
	s_mov_b32 s25, exec_lo
	v_add_nc_u32_e32 v182, 1, v182
	v_add_nc_u32_e32 v183, -1, v183
	v_cndmask_b32_e64 v179, v182, v179, s22
	v_min_u32_e32 v183, v182, v183
	v_cndmask_b32_e64 v181, v181, v182, s22
	v_lshl_add_u32 v183, v183, 1, v112
	ds_read_u16 v183, v183
	s_waitcnt lgkmcnt(0)
	v_cndmask_b32_e64 v224, v183, v215, s22
	v_cndmask_b32_e64 v57, v56, v183, s22
	v_cmpx_lt_u32_e64 v179, v244
	s_cbranch_execz .LBB1044_66
; %bb.63:
	s_mov_b32 s26, 0
	s_mov_b32 s23, exec_lo
	v_cmpx_lt_u32_e64 v181, v243
	s_cbranch_execz .LBB1044_65
; %bb.64:
	v_bfe_i32 v182, v224, 0, 16
	v_bfe_i32 v195, v57, 0, 16
	v_ashrrev_i32_e32 v183, 31, v182
	v_ashrrev_i32_e32 v196, 31, v195
	v_lshlrev_b64 v[182:183], 1, v[182:183]
	v_lshlrev_b64 v[195:196], 1, v[195:196]
	v_add_co_u32 v182, vcc_lo, v6, v182
	v_add_co_ci_u32_e64 v183, null, v7, v183, vcc_lo
	v_add_co_u32 v195, vcc_lo, v6, v195
	v_add_co_ci_u32_e64 v196, null, v7, v196, vcc_lo
	s_clause 0x1
	flat_load_ushort v182, v[182:183]
	flat_load_ushort v183, v[195:196]
	s_waitcnt vmcnt(0) lgkmcnt(0)
	v_cmp_ge_i16_e32 vcc_lo, v182, v183
	s_and_b32 s26, vcc_lo, exec_lo
.LBB1044_65:
	s_or_b32 exec_lo, exec_lo, s23
	s_orn2_b32 s23, s26, exec_lo
.LBB1044_66:
	s_or_b32 exec_lo, exec_lo, s25
	v_cndmask_b32_e64 v182, v179, v181, s23
	v_cndmask_b32_e64 v183, v244, v243, s23
	s_mov_b32 s25, exec_lo
	v_add_nc_u32_e32 v182, 1, v182
	v_add_nc_u32_e32 v183, -1, v183
	v_cndmask_b32_e64 v179, v182, v179, s23
	v_min_u32_e32 v183, v182, v183
	v_cndmask_b32_e64 v181, v181, v182, s23
	v_lshl_add_u32 v183, v183, 1, v112
	ds_read_u16 v183, v183
	s_waitcnt lgkmcnt(0)
	v_cndmask_b32_e64 v213, v183, v224, s23
	v_cndmask_b32_e64 v58, v57, v183, s23
	v_cmpx_lt_u32_e64 v179, v244
	s_cbranch_execz .LBB1044_70
; %bb.67:
	s_mov_b32 s26, 0
	s_mov_b32 s24, exec_lo
	v_cmpx_lt_u32_e64 v181, v243
	s_cbranch_execz .LBB1044_69
; %bb.68:
	v_bfe_i32 v182, v213, 0, 16
	v_bfe_i32 v195, v58, 0, 16
	v_ashrrev_i32_e32 v183, 31, v182
	v_ashrrev_i32_e32 v196, 31, v195
	v_lshlrev_b64 v[182:183], 1, v[182:183]
	v_lshlrev_b64 v[195:196], 1, v[195:196]
	v_add_co_u32 v182, vcc_lo, v6, v182
	v_add_co_ci_u32_e64 v183, null, v7, v183, vcc_lo
	v_add_co_u32 v195, vcc_lo, v6, v195
	v_add_co_ci_u32_e64 v196, null, v7, v196, vcc_lo
	s_clause 0x1
	flat_load_ushort v182, v[182:183]
	flat_load_ushort v183, v[195:196]
	s_waitcnt vmcnt(0) lgkmcnt(0)
	v_cmp_ge_i16_e32 vcc_lo, v182, v183
	s_and_b32 s26, vcc_lo, exec_lo
.LBB1044_69:
	s_or_b32 exec_lo, exec_lo, s24
	s_orn2_b32 s24, s26, exec_lo
.LBB1044_70:
	s_or_b32 exec_lo, exec_lo, s25
	v_cndmask_b32_e64 v182, v179, v181, s24
	v_cndmask_b32_e64 v183, v244, v243, s24
	s_mov_b32 s26, -1
	s_mov_b32 s25, -1
	s_mov_b32 s27, exec_lo
	v_add_nc_u32_e32 v182, 1, v182
	v_add_nc_u32_e32 v183, -1, v183
	v_cndmask_b32_e64 v179, v182, v179, s24
	v_min_u32_e32 v183, v182, v183
	v_cndmask_b32_e64 v181, v181, v182, s24
	v_lshl_add_u32 v183, v183, 1, v112
	ds_read_u16 v183, v183
	s_waitcnt lgkmcnt(0)
	v_cndmask_b32_e64 v214, v183, v213, s24
	v_cndmask_b32_e64 v59, v58, v183, s24
	v_cmpx_lt_u32_e64 v179, v244
	s_cbranch_execz .LBB1044_74
; %bb.71:
	s_mov_b32 s28, 0
	s_mov_b32 s25, exec_lo
	v_cmpx_lt_u32_e64 v181, v243
	s_cbranch_execz .LBB1044_73
; %bb.72:
	v_bfe_i32 v182, v214, 0, 16
	v_bfe_i32 v195, v59, 0, 16
	v_ashrrev_i32_e32 v183, 31, v182
	v_ashrrev_i32_e32 v196, 31, v195
	v_lshlrev_b64 v[182:183], 1, v[182:183]
	v_lshlrev_b64 v[195:196], 1, v[195:196]
	v_add_co_u32 v182, vcc_lo, v6, v182
	v_add_co_ci_u32_e64 v183, null, v7, v183, vcc_lo
	v_add_co_u32 v195, vcc_lo, v6, v195
	v_add_co_ci_u32_e64 v196, null, v7, v196, vcc_lo
	s_clause 0x1
	flat_load_ushort v182, v[182:183]
	flat_load_ushort v183, v[195:196]
	s_waitcnt vmcnt(0) lgkmcnt(0)
	v_cmp_ge_i16_e32 vcc_lo, v182, v183
	s_and_b32 s28, vcc_lo, exec_lo
.LBB1044_73:
	s_or_b32 exec_lo, exec_lo, s25
	s_orn2_b32 s25, s28, exec_lo
.LBB1044_74:
	s_or_b32 exec_lo, exec_lo, s27
	v_cndmask_b32_e64 v182, v179, v181, s25
	v_cndmask_b32_e64 v183, v244, v243, s25
	s_mov_b32 s27, exec_lo
	v_add_nc_u32_e32 v182, 1, v182
	v_add_nc_u32_e32 v183, -1, v183
	v_cndmask_b32_e64 v179, v182, v179, s25
	v_min_u32_e32 v183, v182, v183
	v_cndmask_b32_e64 v181, v181, v182, s25
	v_lshl_add_u32 v183, v183, 1, v112
	ds_read_u16 v183, v183
	s_waitcnt lgkmcnt(0)
	v_cndmask_b32_e64 v210, v183, v214, s25
	v_cndmask_b32_e64 v60, v59, v183, s25
	v_cmpx_lt_u32_e64 v179, v244
	s_cbranch_execz .LBB1044_78
; %bb.75:
	s_mov_b32 s28, 0
	s_mov_b32 s26, exec_lo
	v_cmpx_lt_u32_e64 v181, v243
	s_cbranch_execz .LBB1044_77
; %bb.76:
	v_bfe_i32 v182, v210, 0, 16
	v_bfe_i32 v195, v60, 0, 16
	v_ashrrev_i32_e32 v183, 31, v182
	v_ashrrev_i32_e32 v196, 31, v195
	v_lshlrev_b64 v[182:183], 1, v[182:183]
	v_lshlrev_b64 v[195:196], 1, v[195:196]
	v_add_co_u32 v182, vcc_lo, v6, v182
	v_add_co_ci_u32_e64 v183, null, v7, v183, vcc_lo
	v_add_co_u32 v195, vcc_lo, v6, v195
	v_add_co_ci_u32_e64 v196, null, v7, v196, vcc_lo
	s_clause 0x1
	flat_load_ushort v182, v[182:183]
	flat_load_ushort v183, v[195:196]
	s_waitcnt vmcnt(0) lgkmcnt(0)
	v_cmp_ge_i16_e32 vcc_lo, v182, v183
	s_and_b32 s28, vcc_lo, exec_lo
.LBB1044_77:
	s_or_b32 exec_lo, exec_lo, s26
	s_orn2_b32 s26, s28, exec_lo
.LBB1044_78:
	s_or_b32 exec_lo, exec_lo, s27
	v_cndmask_b32_e64 v182, v179, v181, s26
	v_cndmask_b32_e64 v183, v244, v243, s26
	s_mov_b32 s28, -1
	s_mov_b32 s27, -1
	s_mov_b32 s29, exec_lo
	v_add_nc_u32_e32 v182, 1, v182
	v_add_nc_u32_e32 v183, -1, v183
	v_cndmask_b32_e64 v179, v182, v179, s26
	v_min_u32_e32 v183, v182, v183
	v_cndmask_b32_e64 v181, v181, v182, s26
	v_lshl_add_u32 v183, v183, 1, v112
	ds_read_u16 v183, v183
	s_waitcnt lgkmcnt(0)
	v_cndmask_b32_e64 v211, v183, v210, s26
	v_cndmask_b32_e64 v61, v60, v183, s26
	v_cmpx_lt_u32_e64 v179, v244
	s_cbranch_execz .LBB1044_82
; %bb.79:
	s_mov_b32 s40, 0
	s_mov_b32 s27, exec_lo
	v_cmpx_lt_u32_e64 v181, v243
	s_cbranch_execz .LBB1044_81
; %bb.80:
	v_bfe_i32 v182, v211, 0, 16
	v_bfe_i32 v195, v61, 0, 16
	v_ashrrev_i32_e32 v183, 31, v182
	v_ashrrev_i32_e32 v196, 31, v195
	v_lshlrev_b64 v[182:183], 1, v[182:183]
	v_lshlrev_b64 v[195:196], 1, v[195:196]
	v_add_co_u32 v182, vcc_lo, v6, v182
	v_add_co_ci_u32_e64 v183, null, v7, v183, vcc_lo
	v_add_co_u32 v195, vcc_lo, v6, v195
	v_add_co_ci_u32_e64 v196, null, v7, v196, vcc_lo
	s_clause 0x1
	flat_load_ushort v182, v[182:183]
	flat_load_ushort v183, v[195:196]
	s_waitcnt vmcnt(0) lgkmcnt(0)
	v_cmp_ge_i16_e32 vcc_lo, v182, v183
	s_and_b32 s40, vcc_lo, exec_lo
.LBB1044_81:
	s_or_b32 exec_lo, exec_lo, s27
	s_orn2_b32 s27, s40, exec_lo
.LBB1044_82:
	s_or_b32 exec_lo, exec_lo, s29
	v_cndmask_b32_e64 v182, v179, v181, s27
	v_cndmask_b32_e64 v183, v244, v243, s27
	s_mov_b32 s29, exec_lo
	v_add_nc_u32_e32 v182, 1, v182
	v_add_nc_u32_e32 v183, -1, v183
	v_cndmask_b32_e64 v179, v182, v179, s27
	v_min_u32_e32 v183, v182, v183
	v_cndmask_b32_e64 v181, v181, v182, s27
	v_lshl_add_u32 v183, v183, 1, v112
	ds_read_u16 v183, v183
	s_waitcnt lgkmcnt(0)
	v_cndmask_b32_e64 v199, v183, v211, s27
	v_cndmask_b32_e64 v62, v61, v183, s27
	v_cmpx_lt_u32_e64 v179, v244
	s_cbranch_execz .LBB1044_86
; %bb.83:
	s_mov_b32 s40, 0
	s_mov_b32 s28, exec_lo
	v_cmpx_lt_u32_e64 v181, v243
	s_cbranch_execz .LBB1044_85
; %bb.84:
	v_bfe_i32 v182, v199, 0, 16
	v_bfe_i32 v195, v62, 0, 16
	v_ashrrev_i32_e32 v183, 31, v182
	v_ashrrev_i32_e32 v196, 31, v195
	v_lshlrev_b64 v[182:183], 1, v[182:183]
	v_lshlrev_b64 v[195:196], 1, v[195:196]
	v_add_co_u32 v182, vcc_lo, v6, v182
	v_add_co_ci_u32_e64 v183, null, v7, v183, vcc_lo
	v_add_co_u32 v195, vcc_lo, v6, v195
	v_add_co_ci_u32_e64 v196, null, v7, v196, vcc_lo
	s_clause 0x1
	flat_load_ushort v182, v[182:183]
	flat_load_ushort v183, v[195:196]
	s_waitcnt vmcnt(0) lgkmcnt(0)
	v_cmp_ge_i16_e32 vcc_lo, v182, v183
	s_and_b32 s40, vcc_lo, exec_lo
.LBB1044_85:
	s_or_b32 exec_lo, exec_lo, s28
	s_orn2_b32 s28, s40, exec_lo
.LBB1044_86:
	s_or_b32 exec_lo, exec_lo, s29
	v_cndmask_b32_e64 v182, v179, v181, s28
	v_cndmask_b32_e64 v183, v244, v243, s28
	s_mov_b32 s40, -1
	s_mov_b32 s29, -1
	s_mov_b32 s41, exec_lo
	v_add_nc_u32_e32 v182, 1, v182
	v_add_nc_u32_e32 v183, -1, v183
	v_cndmask_b32_e64 v179, v182, v179, s28
	v_min_u32_e32 v183, v182, v183
	v_cndmask_b32_e64 v181, v181, v182, s28
	v_lshl_add_u32 v183, v183, 1, v112
	ds_read_u16 v183, v183
	s_waitcnt lgkmcnt(0)
	v_cndmask_b32_e64 v212, v183, v199, s28
	v_cndmask_b32_e64 v63, v62, v183, s28
	v_cmpx_lt_u32_e64 v179, v244
	s_cbranch_execz .LBB1044_90
; %bb.87:
	s_mov_b32 s42, 0
	s_mov_b32 s29, exec_lo
	v_cmpx_lt_u32_e64 v181, v243
	s_cbranch_execz .LBB1044_89
; %bb.88:
	v_bfe_i32 v182, v212, 0, 16
	v_bfe_i32 v195, v63, 0, 16
	v_ashrrev_i32_e32 v183, 31, v182
	v_ashrrev_i32_e32 v196, 31, v195
	v_lshlrev_b64 v[182:183], 1, v[182:183]
	v_lshlrev_b64 v[195:196], 1, v[195:196]
	v_add_co_u32 v182, vcc_lo, v6, v182
	v_add_co_ci_u32_e64 v183, null, v7, v183, vcc_lo
	v_add_co_u32 v195, vcc_lo, v6, v195
	v_add_co_ci_u32_e64 v196, null, v7, v196, vcc_lo
	s_clause 0x1
	flat_load_ushort v182, v[182:183]
	flat_load_ushort v183, v[195:196]
	s_waitcnt vmcnt(0) lgkmcnt(0)
	v_cmp_ge_i16_e32 vcc_lo, v182, v183
	s_and_b32 s42, vcc_lo, exec_lo
.LBB1044_89:
	s_or_b32 exec_lo, exec_lo, s29
	s_orn2_b32 s29, s42, exec_lo
.LBB1044_90:
	s_or_b32 exec_lo, exec_lo, s41
	v_cndmask_b32_e64 v182, v179, v181, s29
	v_cndmask_b32_e64 v183, v244, v243, s29
	s_mov_b32 s41, exec_lo
	v_add_nc_u32_e32 v182, 1, v182
	v_add_nc_u32_e32 v183, -1, v183
	v_cndmask_b32_e64 v179, v182, v179, s29
	v_min_u32_e32 v183, v182, v183
	v_cndmask_b32_e64 v181, v181, v182, s29
	v_lshl_add_u32 v183, v183, 1, v112
	ds_read_u16 v183, v183
	s_waitcnt lgkmcnt(0)
	v_cndmask_b32_e64 v208, v183, v212, s29
	v_cndmask_b32_e64 v72, v63, v183, s29
	v_cmpx_lt_u32_e64 v179, v244
	s_cbranch_execz .LBB1044_94
; %bb.91:
	s_mov_b32 s42, 0
	s_mov_b32 s40, exec_lo
	v_cmpx_lt_u32_e64 v181, v243
	s_cbranch_execz .LBB1044_93
; %bb.92:
	v_bfe_i32 v182, v208, 0, 16
	v_bfe_i32 v195, v72, 0, 16
	v_ashrrev_i32_e32 v183, 31, v182
	v_ashrrev_i32_e32 v196, 31, v195
	v_lshlrev_b64 v[182:183], 1, v[182:183]
	v_lshlrev_b64 v[195:196], 1, v[195:196]
	v_add_co_u32 v182, vcc_lo, v6, v182
	v_add_co_ci_u32_e64 v183, null, v7, v183, vcc_lo
	v_add_co_u32 v195, vcc_lo, v6, v195
	v_add_co_ci_u32_e64 v196, null, v7, v196, vcc_lo
	s_clause 0x1
	flat_load_ushort v182, v[182:183]
	flat_load_ushort v183, v[195:196]
	s_waitcnt vmcnt(0) lgkmcnt(0)
	v_cmp_ge_i16_e32 vcc_lo, v182, v183
	s_and_b32 s42, vcc_lo, exec_lo
.LBB1044_93:
	s_or_b32 exec_lo, exec_lo, s40
	s_orn2_b32 s40, s42, exec_lo
.LBB1044_94:
	s_or_b32 exec_lo, exec_lo, s41
	v_cndmask_b32_e64 v182, v179, v181, s40
	v_cndmask_b32_e64 v183, v244, v243, s40
	s_mov_b32 s42, -1
	s_mov_b32 s41, -1
	s_mov_b32 s43, exec_lo
	v_add_nc_u32_e32 v182, 1, v182
	v_add_nc_u32_e32 v183, -1, v183
	v_cndmask_b32_e64 v179, v182, v179, s40
	v_min_u32_e32 v183, v182, v183
	v_cndmask_b32_e64 v181, v181, v182, s40
	v_lshl_add_u32 v183, v183, 1, v112
	ds_read_u16 v183, v183
	s_waitcnt lgkmcnt(0)
	v_cndmask_b32_e64 v209, v183, v208, s40
	v_cndmask_b32_e64 v73, v72, v183, s40
	v_cmpx_lt_u32_e64 v179, v244
	s_cbranch_execz .LBB1044_98
; %bb.95:
	s_mov_b32 s44, 0
	s_mov_b32 s41, exec_lo
	v_cmpx_lt_u32_e64 v181, v243
	s_cbranch_execz .LBB1044_97
; %bb.96:
	v_bfe_i32 v182, v209, 0, 16
	v_bfe_i32 v195, v73, 0, 16
	v_ashrrev_i32_e32 v183, 31, v182
	v_ashrrev_i32_e32 v196, 31, v195
	v_lshlrev_b64 v[182:183], 1, v[182:183]
	v_lshlrev_b64 v[195:196], 1, v[195:196]
	v_add_co_u32 v182, vcc_lo, v6, v182
	v_add_co_ci_u32_e64 v183, null, v7, v183, vcc_lo
	v_add_co_u32 v195, vcc_lo, v6, v195
	v_add_co_ci_u32_e64 v196, null, v7, v196, vcc_lo
	s_clause 0x1
	flat_load_ushort v182, v[182:183]
	flat_load_ushort v183, v[195:196]
	s_waitcnt vmcnt(0) lgkmcnt(0)
	v_cmp_ge_i16_e32 vcc_lo, v182, v183
	s_and_b32 s44, vcc_lo, exec_lo
.LBB1044_97:
	s_or_b32 exec_lo, exec_lo, s41
	s_orn2_b32 s41, s44, exec_lo
.LBB1044_98:
	s_or_b32 exec_lo, exec_lo, s43
	v_cndmask_b32_e64 v182, v179, v181, s41
	v_cndmask_b32_e64 v183, v244, v243, s41
	s_mov_b32 s43, exec_lo
	v_add_nc_u32_e32 v182, 1, v182
	v_add_nc_u32_e32 v183, -1, v183
	v_cndmask_b32_e64 v179, v182, v179, s41
	v_min_u32_e32 v183, v182, v183
	v_cndmask_b32_e64 v181, v181, v182, s41
	v_lshl_add_u32 v183, v183, 1, v112
	ds_read_u16 v183, v183
	s_waitcnt lgkmcnt(0)
	v_cndmask_b32_e64 v197, v183, v209, s41
	v_cndmask_b32_e64 v74, v73, v183, s41
	v_cmpx_lt_u32_e64 v179, v244
	s_cbranch_execz .LBB1044_102
; %bb.99:
	s_mov_b32 s44, 0
	s_mov_b32 s42, exec_lo
	v_cmpx_lt_u32_e64 v181, v243
	s_cbranch_execz .LBB1044_101
; %bb.100:
	v_bfe_i32 v182, v197, 0, 16
	v_bfe_i32 v195, v74, 0, 16
	v_ashrrev_i32_e32 v183, 31, v182
	v_ashrrev_i32_e32 v196, 31, v195
	v_lshlrev_b64 v[182:183], 1, v[182:183]
	v_lshlrev_b64 v[195:196], 1, v[195:196]
	v_add_co_u32 v182, vcc_lo, v6, v182
	v_add_co_ci_u32_e64 v183, null, v7, v183, vcc_lo
	v_add_co_u32 v195, vcc_lo, v6, v195
	v_add_co_ci_u32_e64 v196, null, v7, v196, vcc_lo
	s_clause 0x1
	flat_load_ushort v182, v[182:183]
	flat_load_ushort v183, v[195:196]
	s_waitcnt vmcnt(0) lgkmcnt(0)
	v_cmp_ge_i16_e32 vcc_lo, v182, v183
	s_and_b32 s44, vcc_lo, exec_lo
.LBB1044_101:
	s_or_b32 exec_lo, exec_lo, s42
	s_orn2_b32 s42, s44, exec_lo
.LBB1044_102:
	s_or_b32 exec_lo, exec_lo, s43
	v_cndmask_b32_e64 v182, v179, v181, s42
	v_cndmask_b32_e64 v183, v244, v243, s42
	s_mov_b32 s44, -1
	s_mov_b32 s43, -1
	s_mov_b32 s45, exec_lo
	v_add_nc_u32_e32 v182, 1, v182
	v_add_nc_u32_e32 v183, -1, v183
	v_cndmask_b32_e64 v179, v182, v179, s42
	v_min_u32_e32 v183, v182, v183
	v_cndmask_b32_e64 v181, v181, v182, s42
	v_lshl_add_u32 v183, v183, 1, v112
	ds_read_u16 v183, v183
	s_waitcnt lgkmcnt(0)
	v_cndmask_b32_e64 v198, v183, v197, s42
	v_cndmask_b32_e64 v75, v74, v183, s42
	v_cmpx_lt_u32_e64 v179, v244
	s_cbranch_execz .LBB1044_106
; %bb.103:
	s_mov_b32 s46, 0
	s_mov_b32 s43, exec_lo
	v_cmpx_lt_u32_e64 v181, v243
	s_cbranch_execz .LBB1044_105
; %bb.104:
	v_bfe_i32 v182, v198, 0, 16
	v_bfe_i32 v195, v75, 0, 16
	v_ashrrev_i32_e32 v183, 31, v182
	v_ashrrev_i32_e32 v196, 31, v195
	v_lshlrev_b64 v[182:183], 1, v[182:183]
	v_lshlrev_b64 v[195:196], 1, v[195:196]
	v_add_co_u32 v182, vcc_lo, v6, v182
	v_add_co_ci_u32_e64 v183, null, v7, v183, vcc_lo
	v_add_co_u32 v195, vcc_lo, v6, v195
	v_add_co_ci_u32_e64 v196, null, v7, v196, vcc_lo
	s_clause 0x1
	flat_load_ushort v182, v[182:183]
	flat_load_ushort v183, v[195:196]
	s_waitcnt vmcnt(0) lgkmcnt(0)
	v_cmp_ge_i16_e32 vcc_lo, v182, v183
	s_and_b32 s46, vcc_lo, exec_lo
.LBB1044_105:
	s_or_b32 exec_lo, exec_lo, s43
	s_orn2_b32 s43, s46, exec_lo
.LBB1044_106:
	s_or_b32 exec_lo, exec_lo, s45
	v_cndmask_b32_e64 v182, v179, v181, s43
	v_cndmask_b32_e64 v183, v244, v243, s43
	s_mov_b32 s45, exec_lo
	v_add_nc_u32_e32 v182, 1, v182
	v_add_nc_u32_e32 v183, -1, v183
	v_cndmask_b32_e64 v179, v182, v179, s43
	v_min_u32_e32 v183, v182, v183
	v_cndmask_b32_e64 v181, v181, v182, s43
	v_lshl_add_u32 v183, v183, 1, v112
	ds_read_u16 v183, v183
	s_waitcnt lgkmcnt(0)
	v_cndmask_b32_e64 v196, v183, v198, s43
	v_cndmask_b32_e64 v76, v75, v183, s43
	v_cmpx_lt_u32_e64 v179, v244
	s_cbranch_execz .LBB1044_110
; %bb.107:
	s_mov_b32 s46, 0
	s_mov_b32 s44, exec_lo
	v_cmpx_lt_u32_e64 v181, v243
	s_cbranch_execz .LBB1044_109
; %bb.108:
	v_bfe_i32 v182, v196, 0, 16
	v_bfe_i32 v77, v76, 0, 16
	v_ashrrev_i32_e32 v183, 31, v182
	v_ashrrev_i32_e32 v78, 31, v77
	v_lshlrev_b64 v[182:183], 1, v[182:183]
	v_lshlrev_b64 v[77:78], 1, v[77:78]
	v_add_co_u32 v182, vcc_lo, v6, v182
	v_add_co_ci_u32_e64 v183, null, v7, v183, vcc_lo
	v_add_co_u32 v77, vcc_lo, v6, v77
	v_add_co_ci_u32_e64 v78, null, v7, v78, vcc_lo
	s_clause 0x1
	flat_load_ushort v182, v[182:183]
	flat_load_ushort v183, v[77:78]
	s_waitcnt vmcnt(0) lgkmcnt(0)
	v_cmp_ge_i16_e32 vcc_lo, v182, v183
	s_and_b32 s46, vcc_lo, exec_lo
.LBB1044_109:
	s_or_b32 exec_lo, exec_lo, s44
	s_orn2_b32 s44, s46, exec_lo
.LBB1044_110:
	s_or_b32 exec_lo, exec_lo, s45
	v_cndmask_b32_e64 v182, v179, v181, s44
	v_cndmask_b32_e64 v183, v244, v243, s44
	s_mov_b32 s46, -1
	s_mov_b32 s45, -1
	s_mov_b32 s47, exec_lo
	v_add_nc_u32_e32 v182, 1, v182
	v_add_nc_u32_e32 v183, -1, v183
	v_cndmask_b32_e64 v179, v182, v179, s44
	v_min_u32_e32 v183, v182, v183
	v_cndmask_b32_e64 v181, v181, v182, s44
	v_lshl_add_u32 v183, v183, 1, v112
	ds_read_u16 v183, v183
	s_waitcnt lgkmcnt(0)
	v_cndmask_b32_e64 v195, v183, v196, s44
	v_cndmask_b32_e64 v77, v76, v183, s44
	v_cmpx_lt_u32_e64 v179, v244
	s_cbranch_execz .LBB1044_114
; %bb.111:
	s_mov_b32 s56, 0
	s_mov_b32 s45, exec_lo
	v_cmpx_lt_u32_e64 v181, v243
	s_cbranch_execz .LBB1044_113
; %bb.112:
	v_bfe_i32 v182, v195, 0, 16
	v_bfe_i32 v78, v77, 0, 16
	v_ashrrev_i32_e32 v183, 31, v182
	v_ashrrev_i32_e32 v79, 31, v78
	v_lshlrev_b64 v[182:183], 1, v[182:183]
	v_lshlrev_b64 v[78:79], 1, v[78:79]
	v_add_co_u32 v182, vcc_lo, v6, v182
	v_add_co_ci_u32_e64 v183, null, v7, v183, vcc_lo
	v_add_co_u32 v78, vcc_lo, v6, v78
	v_add_co_ci_u32_e64 v79, null, v7, v79, vcc_lo
	s_clause 0x1
	flat_load_ushort v182, v[182:183]
	flat_load_ushort v183, v[78:79]
	s_waitcnt vmcnt(0) lgkmcnt(0)
	v_cmp_ge_i16_e32 vcc_lo, v182, v183
	s_and_b32 s56, vcc_lo, exec_lo
.LBB1044_113:
	s_or_b32 exec_lo, exec_lo, s45
	s_orn2_b32 s45, s56, exec_lo
.LBB1044_114:
	s_or_b32 exec_lo, exec_lo, s47
	v_cndmask_b32_e64 v182, v179, v181, s45
	v_cndmask_b32_e64 v183, v244, v243, s45
	s_mov_b32 s47, exec_lo
	v_add_nc_u32_e32 v182, 1, v182
	v_add_nc_u32_e32 v183, -1, v183
	v_cndmask_b32_e64 v179, v182, v179, s45
	v_min_u32_e32 v183, v182, v183
	v_cndmask_b32_e64 v181, v181, v182, s45
	v_lshl_add_u32 v183, v183, 1, v112
	ds_read_u16 v183, v183
	s_waitcnt lgkmcnt(0)
	v_cndmask_b32_e64 v192, v183, v195, s45
	v_cndmask_b32_e64 v78, v77, v183, s45
	v_cmpx_lt_u32_e64 v179, v244
	s_cbranch_execz .LBB1044_118
; %bb.115:
	s_mov_b32 s56, 0
	s_mov_b32 s46, exec_lo
	v_cmpx_lt_u32_e64 v181, v243
	s_cbranch_execz .LBB1044_117
; %bb.116:
	v_bfe_i32 v182, v192, 0, 16
	v_bfe_i32 v88, v78, 0, 16
	v_ashrrev_i32_e32 v183, 31, v182
	v_ashrrev_i32_e32 v89, 31, v88
	v_lshlrev_b64 v[182:183], 1, v[182:183]
	v_lshlrev_b64 v[88:89], 1, v[88:89]
	v_add_co_u32 v182, vcc_lo, v6, v182
	v_add_co_ci_u32_e64 v183, null, v7, v183, vcc_lo
	v_add_co_u32 v88, vcc_lo, v6, v88
	v_add_co_ci_u32_e64 v89, null, v7, v89, vcc_lo
	s_clause 0x1
	flat_load_ushort v182, v[182:183]
	flat_load_ushort v183, v[88:89]
	s_waitcnt vmcnt(0) lgkmcnt(0)
	v_cmp_ge_i16_e32 vcc_lo, v182, v183
	s_and_b32 s56, vcc_lo, exec_lo
.LBB1044_117:
	s_or_b32 exec_lo, exec_lo, s46
	s_orn2_b32 s46, s56, exec_lo
.LBB1044_118:
	s_or_b32 exec_lo, exec_lo, s47
	v_cndmask_b32_e64 v182, v179, v181, s46
	v_cndmask_b32_e64 v183, v244, v243, s46
	s_mov_b32 s56, -1
	s_mov_b32 s47, -1
	s_mov_b32 s57, exec_lo
	v_add_nc_u32_e32 v182, 1, v182
	v_add_nc_u32_e32 v183, -1, v183
	v_cndmask_b32_e64 v179, v182, v179, s46
	v_min_u32_e32 v183, v182, v183
	v_cndmask_b32_e64 v181, v181, v182, s46
	v_lshl_add_u32 v183, v183, 1, v112
	ds_read_u16 v79, v183
	s_waitcnt lgkmcnt(0)
	v_cndmask_b32_e64 v183, v79, v192, s46
	v_cndmask_b32_e64 v79, v78, v79, s46
	v_cmpx_lt_u32_e64 v179, v244
	s_cbranch_execz .LBB1044_122
; %bb.119:
	s_mov_b32 s58, 0
	s_mov_b32 s47, exec_lo
	v_cmpx_lt_u32_e64 v181, v243
	s_cbranch_execz .LBB1044_121
; %bb.120:
	v_bfe_i32 v88, v183, 0, 16
	v_bfe_i32 v90, v79, 0, 16
	v_ashrrev_i32_e32 v89, 31, v88
	v_ashrrev_i32_e32 v91, 31, v90
	v_lshlrev_b64 v[88:89], 1, v[88:89]
	v_lshlrev_b64 v[90:91], 1, v[90:91]
	v_add_co_u32 v88, vcc_lo, v6, v88
	v_add_co_ci_u32_e64 v89, null, v7, v89, vcc_lo
	v_add_co_u32 v90, vcc_lo, v6, v90
	v_add_co_ci_u32_e64 v91, null, v7, v91, vcc_lo
	s_clause 0x1
	flat_load_ushort v182, v[88:89]
	flat_load_ushort v88, v[90:91]
	s_waitcnt vmcnt(0) lgkmcnt(0)
	v_cmp_ge_i16_e32 vcc_lo, v182, v88
	s_and_b32 s58, vcc_lo, exec_lo
.LBB1044_121:
	s_or_b32 exec_lo, exec_lo, s47
	s_orn2_b32 s47, s58, exec_lo
.LBB1044_122:
	s_or_b32 exec_lo, exec_lo, s57
	v_cndmask_b32_e64 v182, v179, v181, s47
	v_cndmask_b32_e64 v88, v244, v243, s47
	s_mov_b32 s57, exec_lo
	v_add_nc_u32_e32 v182, 1, v182
	v_add_nc_u32_e32 v88, -1, v88
	v_cndmask_b32_e64 v179, v182, v179, s47
	v_min_u32_e32 v88, v182, v88
	v_cndmask_b32_e64 v181, v181, v182, s47
	v_lshl_add_u32 v88, v88, 1, v112
	ds_read_u16 v88, v88
	s_waitcnt lgkmcnt(0)
	v_cndmask_b32_e64 v182, v88, v183, s47
	v_cndmask_b32_e64 v88, v79, v88, s47
	v_cmpx_lt_u32_e64 v179, v244
	s_cbranch_execz .LBB1044_126
; %bb.123:
	s_mov_b32 s58, 0
	s_mov_b32 s56, exec_lo
	v_cmpx_lt_u32_e64 v181, v243
	s_cbranch_execz .LBB1044_125
; %bb.124:
	v_bfe_i32 v89, v182, 0, 16
	v_bfe_i32 v91, v88, 0, 16
	v_ashrrev_i32_e32 v90, 31, v89
	v_ashrrev_i32_e32 v92, 31, v91
	v_lshlrev_b64 v[89:90], 1, v[89:90]
	v_lshlrev_b64 v[91:92], 1, v[91:92]
	v_add_co_u32 v89, vcc_lo, v6, v89
	v_add_co_ci_u32_e64 v90, null, v7, v90, vcc_lo
	v_add_co_u32 v91, vcc_lo, v6, v91
	v_add_co_ci_u32_e64 v92, null, v7, v92, vcc_lo
	s_clause 0x1
	flat_load_ushort v89, v[89:90]
	flat_load_ushort v90, v[91:92]
	s_waitcnt vmcnt(0) lgkmcnt(0)
	v_cmp_ge_i16_e32 vcc_lo, v89, v90
	s_and_b32 s58, vcc_lo, exec_lo
.LBB1044_125:
	s_or_b32 exec_lo, exec_lo, s56
	s_orn2_b32 s56, s58, exec_lo
.LBB1044_126:
	s_or_b32 exec_lo, exec_lo, s57
	v_cndmask_b32_e64 v89, v179, v181, s56
	v_cndmask_b32_e64 v90, v244, v243, s56
	s_mov_b32 s57, -1
	s_mov_b32 s58, -1
	s_mov_b32 s59, exec_lo
	v_add_nc_u32_e32 v89, 1, v89
	v_add_nc_u32_e32 v90, -1, v90
	v_cndmask_b32_e64 v179, v89, v179, s56
	v_min_u32_e32 v90, v89, v90
	v_lshl_add_u32 v90, v90, 1, v112
	ds_read_u16 v91, v90
	v_cndmask_b32_e64 v90, v181, v89, s56
	s_waitcnt lgkmcnt(0)
	v_cndmask_b32_e64 v181, v91, v182, s56
	v_cndmask_b32_e64 v89, v88, v91, s56
	v_cmpx_lt_u32_e64 v179, v244
	s_cbranch_execz .LBB1044_130
; %bb.127:
	s_mov_b32 s60, 0
	s_mov_b32 s58, exec_lo
	v_cmpx_lt_u32_e64 v90, v243
	s_cbranch_execz .LBB1044_129
; %bb.128:
	v_bfe_i32 v91, v181, 0, 16
	v_bfe_i32 v93, v89, 0, 16
	v_ashrrev_i32_e32 v92, 31, v91
	v_ashrrev_i32_e32 v94, 31, v93
	v_lshlrev_b64 v[91:92], 1, v[91:92]
	v_lshlrev_b64 v[93:94], 1, v[93:94]
	v_add_co_u32 v91, vcc_lo, v6, v91
	v_add_co_ci_u32_e64 v92, null, v7, v92, vcc_lo
	v_add_co_u32 v93, vcc_lo, v6, v93
	v_add_co_ci_u32_e64 v94, null, v7, v94, vcc_lo
	s_clause 0x1
	flat_load_ushort v91, v[91:92]
	flat_load_ushort v92, v[93:94]
	s_waitcnt vmcnt(0) lgkmcnt(0)
	v_cmp_ge_i16_e32 vcc_lo, v91, v92
	s_and_b32 s60, vcc_lo, exec_lo
.LBB1044_129:
	s_or_b32 exec_lo, exec_lo, s58
	s_orn2_b32 s58, s60, exec_lo
.LBB1044_130:
	s_or_b32 exec_lo, exec_lo, s59
	v_cndmask_b32_e64 v91, v179, v90, s58
	v_cndmask_b32_e64 v92, v244, v243, s58
	s_mov_b32 s59, exec_lo
	v_add_nc_u32_e32 v91, 1, v91
	v_add_nc_u32_e32 v92, -1, v92
	v_cndmask_b32_e64 v179, v91, v179, s58
	v_min_u32_e32 v92, v91, v92
	v_lshl_add_u32 v92, v92, 1, v112
	ds_read_u16 v93, v92
	v_cndmask_b32_e64 v92, v90, v91, s58
	s_waitcnt lgkmcnt(0)
	v_cndmask_b32_e64 v90, v93, v181, s58
	v_cndmask_b32_e64 v91, v89, v93, s58
	v_cmpx_lt_u32_e64 v179, v244
	s_cbranch_execz .LBB1044_134
; %bb.131:
	s_mov_b32 s60, 0
	s_mov_b32 s57, exec_lo
	v_cmpx_lt_u32_e64 v92, v243
	s_cbranch_execz .LBB1044_133
; %bb.132:
	v_bfe_i32 v93, v90, 0, 16
	v_bfe_i32 v104, v91, 0, 16
	v_ashrrev_i32_e32 v94, 31, v93
	v_ashrrev_i32_e32 v105, 31, v104
	v_lshlrev_b64 v[93:94], 1, v[93:94]
	v_lshlrev_b64 v[104:105], 1, v[104:105]
	v_add_co_u32 v93, vcc_lo, v6, v93
	v_add_co_ci_u32_e64 v94, null, v7, v94, vcc_lo
	v_add_co_u32 v104, vcc_lo, v6, v104
	v_add_co_ci_u32_e64 v105, null, v7, v105, vcc_lo
	s_clause 0x1
	flat_load_ushort v93, v[93:94]
	flat_load_ushort v94, v[104:105]
	s_waitcnt vmcnt(0) lgkmcnt(0)
	v_cmp_ge_i16_e32 vcc_lo, v93, v94
	s_and_b32 s60, vcc_lo, exec_lo
.LBB1044_133:
	s_or_b32 exec_lo, exec_lo, s57
	s_orn2_b32 s57, s60, exec_lo
.LBB1044_134:
	s_or_b32 exec_lo, exec_lo, s59
	v_cndmask_b32_e64 v93, v179, v92, s57
	v_cndmask_b32_e64 v94, v244, v243, s57
	s_mov_b32 s59, exec_lo
	v_add_nc_u32_e32 v93, 1, v93
	v_add_nc_u32_e32 v94, -1, v94
	v_cndmask_b32_e64 v95, v93, v179, s57
	v_min_u32_e32 v94, v93, v94
	v_lshl_add_u32 v94, v94, 1, v112
	ds_read_u16 v94, v94
	s_waitcnt lgkmcnt(0)
	v_cndmask_b32_e64 v179, v91, v94, s57
	v_cmpx_lt_u32_e64 v95, v244
	s_cbranch_execz .LBB1044_138
; %bb.135:
	v_cndmask_b32_e64 v92, v92, v93, s57
	v_cndmask_b32_e64 v244, v94, v90, s57
	s_mov_b32 s60, exec_lo
	v_cmpx_lt_u32_e64 v92, v243
	s_cbranch_execz .LBB1044_137
; %bb.136:
	v_bfe_i32 v92, v244, 0, 16
	v_bfe_i32 v94, v179, 0, 16
	v_ashrrev_i32_e32 v93, 31, v92
	v_ashrrev_i32_e32 v95, 31, v94
	v_lshlrev_b64 v[92:93], 1, v[92:93]
	v_lshlrev_b64 v[94:95], 1, v[94:95]
	v_add_co_u32 v92, vcc_lo, v6, v92
	v_add_co_ci_u32_e64 v93, null, v7, v93, vcc_lo
	v_add_co_u32 v94, vcc_lo, v6, v94
	v_add_co_ci_u32_e64 v95, null, v7, v95, vcc_lo
	s_clause 0x1
	flat_load_ushort v243, v[92:93]
	flat_load_ushort v92, v[94:95]
	s_waitcnt vmcnt(0) lgkmcnt(0)
	v_cmp_lt_i16_e32 vcc_lo, v243, v92
	v_cndmask_b32_e32 v244, v179, v244, vcc_lo
.LBB1044_137:
	s_or_b32 exec_lo, exec_lo, s60
	v_mov_b32_e32 v179, v244
.LBB1044_138:
	s_or_b32 exec_lo, exec_lo, s59
	v_cndmask_b32_e64 v181, v181, v89, s58
	v_cndmask_b32_e64 v182, v182, v88, s56
	v_cndmask_b32_e64 v183, v183, v79, s47
	v_cndmask_b32_e64 v192, v192, v78, s46
	v_cndmask_b32_e64 v195, v195, v77, s45
	v_cndmask_b32_e64 v196, v196, v76, s44
	v_cndmask_b32_e64 v198, v198, v75, s43
	v_cndmask_b32_e64 v197, v197, v74, s42
	v_cndmask_b32_e64 v209, v209, v73, s41
	v_cndmask_b32_e64 v208, v208, v72, s40
	v_cndmask_b32_e64 v212, v212, v63, s29
	v_cndmask_b32_e64 v199, v199, v62, s28
	v_cndmask_b32_e64 v211, v211, v61, s27
	v_cndmask_b32_e64 v210, v210, v60, s26
	v_cndmask_b32_e64 v214, v214, v59, s25
	v_cndmask_b32_e64 v213, v213, v58, s24
	v_cndmask_b32_e64 v224, v224, v57, s23
	v_cndmask_b32_e64 v215, v215, v56, s22
	v_cndmask_b32_e64 v227, v227, v47, s20
	v_cndmask_b32_e64 v225, v225, v46, s19
	v_cndmask_b32_e64 v229, v229, v45, s18
	v_cndmask_b32_e64 v226, v226, v44, s17
	v_cndmask_b32_e64 v231, v231, v43, s16
	v_cndmask_b32_e64 v228, v228, v42, s15
	v_cndmask_b32_e64 v241, v241, v41, s14
	v_cndmask_b32_e64 v230, v230, v40, s11
	v_cndmask_b32_e64 v242, v242, v247, s10
	v_cndmask_b32_e64 v240, v240, v246, s7
	v_cndmask_b32_e64 v194, v194, v245, s4
	v_cndmask_b32_e64 v193, v193, v180, s6
	v_cndmask_b32_e64 v180, v90, v91, s57
.LBB1044_139:
	s_or_b32 exec_lo, exec_lo, s5
	v_and_b32_e32 v245, 0x380, v114
	v_and_b32_e32 v246, 0x60, v114
	s_mov_b32 s4, exec_lo
	; wave barrier
	v_or_b32_e32 v243, 64, v245
	v_min_u32_e32 v246, v113, v246
	ds_write_b16 v115, v193
	ds_write_b16 v167, v194
	;; [unrolled: 1-line block ×13, first 2 shown]
	v_min_u32_e32 v243, v113, v243
	ds_write_b16 v147, v224
	ds_write_b16 v148, v213
	;; [unrolled: 1-line block ×13, first 2 shown]
	v_add_nc_u32_e32 v244, 64, v243
	v_sub_nc_u32_e32 v40, v243, v245
	ds_write_b16 v118, v192
	ds_write_b16 v119, v183
	;; [unrolled: 1-line block ×6, first 2 shown]
	; wave barrier
	v_min_u32_e32 v244, v113, v244
	v_min_u32_e32 v40, v246, v40
	v_sub_nc_u32_e32 v247, v244, v243
	v_sub_nc_u32_e64 v247, v246, v247 clamp
	v_cmpx_lt_u32_e64 v247, v40
	s_cbranch_execz .LBB1044_143
; %bb.140:
	v_lshlrev_b32_e32 v41, 1, v245
	v_lshlrev_b32_e32 v42, 1, v243
	s_mov_b32 s5, 0
	v_add_co_u32 v41, null, v112, v41
	v_add_co_u32 v42, null, v112, v42
	s_inst_prefetch 0x1
	.p2align	6
.LBB1044_141:                           ; =>This Inner Loop Header: Depth=1
	v_add_nc_u32_e32 v43, v40, v247
	v_lshrrev_b32_e32 v47, 1, v43
	v_and_b32_e32 v43, -2, v43
	v_xad_u32 v44, v47, -1, v246
	v_add_nc_u32_e32 v43, v41, v43
	v_lshl_add_u32 v44, v44, 1, v42
	ds_read_u16 v43, v43
	ds_read_u16 v44, v44
	s_waitcnt lgkmcnt(1)
	v_bfe_i32 v43, v43, 0, 16
	s_waitcnt lgkmcnt(0)
	v_bfe_i32 v45, v44, 0, 16
	v_ashrrev_i32_e32 v44, 31, v43
	v_ashrrev_i32_e32 v46, 31, v45
	v_lshlrev_b64 v[43:44], 1, v[43:44]
	v_lshlrev_b64 v[45:46], 1, v[45:46]
	v_add_co_u32 v43, vcc_lo, v6, v43
	v_add_co_ci_u32_e64 v44, null, v7, v44, vcc_lo
	v_add_co_u32 v45, vcc_lo, v6, v45
	v_add_co_ci_u32_e64 v46, null, v7, v46, vcc_lo
	s_clause 0x1
	flat_load_ushort v45, v[45:46]
	flat_load_ushort v43, v[43:44]
	v_add_nc_u32_e32 v44, 1, v47
	s_waitcnt vmcnt(0) lgkmcnt(0)
	v_cmp_lt_i16_e32 vcc_lo, v45, v43
	v_cndmask_b32_e32 v40, v40, v47, vcc_lo
	v_cndmask_b32_e32 v247, v44, v247, vcc_lo
	v_cmp_ge_u32_e32 vcc_lo, v247, v40
	s_or_b32 s5, vcc_lo, s5
	s_andn2_b32 exec_lo, exec_lo, s5
	s_cbranch_execnz .LBB1044_141
; %bb.142:
	s_inst_prefetch 0x2
	s_or_b32 exec_lo, exec_lo, s5
.LBB1044_143:
	s_or_b32 exec_lo, exec_lo, s4
	v_add_nc_u32_e32 v246, v243, v246
	v_add_nc_u32_e32 v245, v247, v245
	v_sub_nc_u32_e32 v246, v246, v247
	v_cmp_le_u32_e32 vcc_lo, v245, v243
	v_cmp_le_u32_e64 s4, v246, v244
	s_or_b32 s4, vcc_lo, s4
	s_and_saveexec_b32 s5, s4
	s_cbranch_execz .LBB1044_275
; %bb.144:
	s_mov_b32 s6, exec_lo
	v_cmp_ge_u32_e32 vcc_lo, v245, v243
                                        ; implicit-def: $vgpr180
	v_cmpx_lt_u32_e64 v245, v243
; %bb.145:
	v_lshl_add_u32 v179, v245, 1, v112
	ds_read_u16 v180, v179
; %bb.146:
	s_or_b32 exec_lo, exec_lo, s6
	v_cmp_ge_u32_e64 s6, v246, v244
	s_mov_b32 s7, exec_lo
                                        ; implicit-def: $vgpr193
	v_cmpx_lt_u32_e64 v246, v244
; %bb.147:
	v_lshl_add_u32 v179, v246, 1, v112
	ds_read_u16 v193, v179
; %bb.148:
	s_or_b32 exec_lo, exec_lo, s7
	s_nor_b32 s7, vcc_lo, s6
	s_and_saveexec_b32 s4, s7
	s_cbranch_execz .LBB1044_150
; %bb.149:
	s_waitcnt lgkmcnt(0)
	v_bfe_i32 v181, v193, 0, 16
	v_bfe_i32 v194, v180, 0, 16
	s_andn2_b32 s6, s6, exec_lo
	v_ashrrev_i32_e32 v182, 31, v181
	v_ashrrev_i32_e32 v195, 31, v194
	v_lshlrev_b64 v[181:182], 1, v[181:182]
	v_lshlrev_b64 v[194:195], 1, v[194:195]
	v_add_co_u32 v181, vcc_lo, v6, v181
	v_add_co_ci_u32_e64 v182, null, v7, v182, vcc_lo
	v_add_co_u32 v194, vcc_lo, v6, v194
	v_add_co_ci_u32_e64 v195, null, v7, v195, vcc_lo
	s_clause 0x1
	flat_load_ushort v179, v[181:182]
	flat_load_ushort v181, v[194:195]
	s_waitcnt vmcnt(0) lgkmcnt(0)
	v_cmp_ge_i16_e32 vcc_lo, v179, v181
	s_and_b32 s7, vcc_lo, exec_lo
	s_or_b32 s6, s6, s7
.LBB1044_150:
	s_or_b32 exec_lo, exec_lo, s4
	v_cndmask_b32_e64 v179, v246, v245, s6
	v_cndmask_b32_e64 v181, v244, v243, s6
	s_mov_b32 s7, -1
	s_mov_b32 s4, -1
	s_mov_b32 s10, exec_lo
	v_add_nc_u32_e32 v182, 1, v179
	v_add_nc_u32_e32 v179, -1, v181
	v_cndmask_b32_e64 v181, v245, v182, s6
	v_min_u32_e32 v179, v182, v179
	v_lshl_add_u32 v179, v179, 1, v112
	ds_read_u16 v183, v179
	v_cndmask_b32_e64 v179, v182, v246, s6
	s_waitcnt lgkmcnt(0)
	v_cndmask_b32_e64 v194, v183, v193, s6
	v_cndmask_b32_e64 v245, v180, v183, s6
	v_cmpx_lt_u32_e64 v179, v244
	s_cbranch_execz .LBB1044_154
; %bb.151:
	s_mov_b32 s11, 0
	s_mov_b32 s4, exec_lo
	v_cmpx_lt_u32_e64 v181, v243
	s_cbranch_execz .LBB1044_153
; %bb.152:
	v_bfe_i32 v182, v194, 0, 16
	v_bfe_i32 v195, v245, 0, 16
	v_ashrrev_i32_e32 v183, 31, v182
	v_ashrrev_i32_e32 v196, 31, v195
	v_lshlrev_b64 v[182:183], 1, v[182:183]
	v_lshlrev_b64 v[195:196], 1, v[195:196]
	v_add_co_u32 v182, vcc_lo, v6, v182
	v_add_co_ci_u32_e64 v183, null, v7, v183, vcc_lo
	v_add_co_u32 v195, vcc_lo, v6, v195
	v_add_co_ci_u32_e64 v196, null, v7, v196, vcc_lo
	s_clause 0x1
	flat_load_ushort v182, v[182:183]
	flat_load_ushort v183, v[195:196]
	s_waitcnt vmcnt(0) lgkmcnt(0)
	v_cmp_ge_i16_e32 vcc_lo, v182, v183
	s_and_b32 s11, vcc_lo, exec_lo
.LBB1044_153:
	s_or_b32 exec_lo, exec_lo, s4
	s_orn2_b32 s4, s11, exec_lo
.LBB1044_154:
	s_or_b32 exec_lo, exec_lo, s10
	v_cndmask_b32_e64 v182, v179, v181, s4
	v_cndmask_b32_e64 v183, v244, v243, s4
	s_mov_b32 s10, exec_lo
	v_add_nc_u32_e32 v182, 1, v182
	v_add_nc_u32_e32 v183, -1, v183
	v_cndmask_b32_e64 v179, v182, v179, s4
	v_min_u32_e32 v183, v182, v183
	v_cndmask_b32_e64 v181, v181, v182, s4
	v_lshl_add_u32 v183, v183, 1, v112
	ds_read_u16 v183, v183
	s_waitcnt lgkmcnt(0)
	v_cndmask_b32_e64 v240, v183, v194, s4
	v_cndmask_b32_e64 v246, v245, v183, s4
	v_cmpx_lt_u32_e64 v179, v244
	s_cbranch_execz .LBB1044_158
; %bb.155:
	s_mov_b32 s11, 0
	s_mov_b32 s7, exec_lo
	v_cmpx_lt_u32_e64 v181, v243
	s_cbranch_execz .LBB1044_157
; %bb.156:
	v_bfe_i32 v182, v240, 0, 16
	v_bfe_i32 v195, v246, 0, 16
	v_ashrrev_i32_e32 v183, 31, v182
	v_ashrrev_i32_e32 v196, 31, v195
	v_lshlrev_b64 v[182:183], 1, v[182:183]
	v_lshlrev_b64 v[195:196], 1, v[195:196]
	v_add_co_u32 v182, vcc_lo, v6, v182
	v_add_co_ci_u32_e64 v183, null, v7, v183, vcc_lo
	v_add_co_u32 v195, vcc_lo, v6, v195
	v_add_co_ci_u32_e64 v196, null, v7, v196, vcc_lo
	s_clause 0x1
	flat_load_ushort v182, v[182:183]
	flat_load_ushort v183, v[195:196]
	s_waitcnt vmcnt(0) lgkmcnt(0)
	v_cmp_ge_i16_e32 vcc_lo, v182, v183
	s_and_b32 s11, vcc_lo, exec_lo
.LBB1044_157:
	s_or_b32 exec_lo, exec_lo, s7
	s_orn2_b32 s7, s11, exec_lo
.LBB1044_158:
	s_or_b32 exec_lo, exec_lo, s10
	v_cndmask_b32_e64 v182, v179, v181, s7
	v_cndmask_b32_e64 v183, v244, v243, s7
	s_mov_b32 s11, -1
	s_mov_b32 s10, -1
	s_mov_b32 s14, exec_lo
	v_add_nc_u32_e32 v182, 1, v182
	v_add_nc_u32_e32 v183, -1, v183
	v_cndmask_b32_e64 v179, v182, v179, s7
	v_min_u32_e32 v183, v182, v183
	v_cndmask_b32_e64 v181, v181, v182, s7
	v_lshl_add_u32 v183, v183, 1, v112
	ds_read_u16 v183, v183
	s_waitcnt lgkmcnt(0)
	v_cndmask_b32_e64 v242, v183, v240, s7
	v_cndmask_b32_e64 v247, v246, v183, s7
	v_cmpx_lt_u32_e64 v179, v244
	s_cbranch_execz .LBB1044_162
; %bb.159:
	s_mov_b32 s15, 0
	s_mov_b32 s10, exec_lo
	v_cmpx_lt_u32_e64 v181, v243
	s_cbranch_execz .LBB1044_161
; %bb.160:
	v_bfe_i32 v182, v242, 0, 16
	v_bfe_i32 v195, v247, 0, 16
	v_ashrrev_i32_e32 v183, 31, v182
	v_ashrrev_i32_e32 v196, 31, v195
	v_lshlrev_b64 v[182:183], 1, v[182:183]
	v_lshlrev_b64 v[195:196], 1, v[195:196]
	v_add_co_u32 v182, vcc_lo, v6, v182
	v_add_co_ci_u32_e64 v183, null, v7, v183, vcc_lo
	v_add_co_u32 v195, vcc_lo, v6, v195
	v_add_co_ci_u32_e64 v196, null, v7, v196, vcc_lo
	s_clause 0x1
	flat_load_ushort v182, v[182:183]
	flat_load_ushort v183, v[195:196]
	s_waitcnt vmcnt(0) lgkmcnt(0)
	v_cmp_ge_i16_e32 vcc_lo, v182, v183
	s_and_b32 s15, vcc_lo, exec_lo
.LBB1044_161:
	s_or_b32 exec_lo, exec_lo, s10
	s_orn2_b32 s10, s15, exec_lo
.LBB1044_162:
	s_or_b32 exec_lo, exec_lo, s14
	v_cndmask_b32_e64 v182, v179, v181, s10
	v_cndmask_b32_e64 v183, v244, v243, s10
	s_mov_b32 s14, exec_lo
	v_add_nc_u32_e32 v182, 1, v182
	v_add_nc_u32_e32 v183, -1, v183
	v_cndmask_b32_e64 v179, v182, v179, s10
	v_min_u32_e32 v183, v182, v183
	v_cndmask_b32_e64 v181, v181, v182, s10
	v_lshl_add_u32 v183, v183, 1, v112
	ds_read_u16 v183, v183
	s_waitcnt lgkmcnt(0)
	v_cndmask_b32_e64 v230, v183, v242, s10
	v_cndmask_b32_e64 v40, v247, v183, s10
	v_cmpx_lt_u32_e64 v179, v244
	s_cbranch_execz .LBB1044_166
; %bb.163:
	s_mov_b32 s15, 0
	s_mov_b32 s11, exec_lo
	v_cmpx_lt_u32_e64 v181, v243
	s_cbranch_execz .LBB1044_165
; %bb.164:
	v_bfe_i32 v182, v230, 0, 16
	v_bfe_i32 v195, v40, 0, 16
	v_ashrrev_i32_e32 v183, 31, v182
	v_ashrrev_i32_e32 v196, 31, v195
	v_lshlrev_b64 v[182:183], 1, v[182:183]
	v_lshlrev_b64 v[195:196], 1, v[195:196]
	v_add_co_u32 v182, vcc_lo, v6, v182
	v_add_co_ci_u32_e64 v183, null, v7, v183, vcc_lo
	v_add_co_u32 v195, vcc_lo, v6, v195
	v_add_co_ci_u32_e64 v196, null, v7, v196, vcc_lo
	s_clause 0x1
	flat_load_ushort v182, v[182:183]
	flat_load_ushort v183, v[195:196]
	s_waitcnt vmcnt(0) lgkmcnt(0)
	v_cmp_ge_i16_e32 vcc_lo, v182, v183
	s_and_b32 s15, vcc_lo, exec_lo
.LBB1044_165:
	s_or_b32 exec_lo, exec_lo, s11
	s_orn2_b32 s11, s15, exec_lo
.LBB1044_166:
	s_or_b32 exec_lo, exec_lo, s14
	v_cndmask_b32_e64 v182, v179, v181, s11
	v_cndmask_b32_e64 v183, v244, v243, s11
	s_mov_b32 s15, -1
	s_mov_b32 s14, -1
	s_mov_b32 s16, exec_lo
	v_add_nc_u32_e32 v182, 1, v182
	v_add_nc_u32_e32 v183, -1, v183
	v_cndmask_b32_e64 v179, v182, v179, s11
	v_min_u32_e32 v183, v182, v183
	v_cndmask_b32_e64 v181, v181, v182, s11
	v_lshl_add_u32 v183, v183, 1, v112
	ds_read_u16 v183, v183
	s_waitcnt lgkmcnt(0)
	v_cndmask_b32_e64 v241, v183, v230, s11
	v_cndmask_b32_e64 v41, v40, v183, s11
	v_cmpx_lt_u32_e64 v179, v244
	s_cbranch_execz .LBB1044_170
; %bb.167:
	s_mov_b32 s17, 0
	s_mov_b32 s14, exec_lo
	v_cmpx_lt_u32_e64 v181, v243
	s_cbranch_execz .LBB1044_169
; %bb.168:
	v_bfe_i32 v182, v241, 0, 16
	v_bfe_i32 v195, v41, 0, 16
	v_ashrrev_i32_e32 v183, 31, v182
	v_ashrrev_i32_e32 v196, 31, v195
	v_lshlrev_b64 v[182:183], 1, v[182:183]
	v_lshlrev_b64 v[195:196], 1, v[195:196]
	v_add_co_u32 v182, vcc_lo, v6, v182
	v_add_co_ci_u32_e64 v183, null, v7, v183, vcc_lo
	v_add_co_u32 v195, vcc_lo, v6, v195
	v_add_co_ci_u32_e64 v196, null, v7, v196, vcc_lo
	s_clause 0x1
	flat_load_ushort v182, v[182:183]
	flat_load_ushort v183, v[195:196]
	s_waitcnt vmcnt(0) lgkmcnt(0)
	v_cmp_ge_i16_e32 vcc_lo, v182, v183
	s_and_b32 s17, vcc_lo, exec_lo
.LBB1044_169:
	s_or_b32 exec_lo, exec_lo, s14
	s_orn2_b32 s14, s17, exec_lo
.LBB1044_170:
	s_or_b32 exec_lo, exec_lo, s16
	v_cndmask_b32_e64 v182, v179, v181, s14
	v_cndmask_b32_e64 v183, v244, v243, s14
	s_mov_b32 s16, exec_lo
	v_add_nc_u32_e32 v182, 1, v182
	v_add_nc_u32_e32 v183, -1, v183
	v_cndmask_b32_e64 v179, v182, v179, s14
	v_min_u32_e32 v183, v182, v183
	v_cndmask_b32_e64 v181, v181, v182, s14
	v_lshl_add_u32 v183, v183, 1, v112
	ds_read_u16 v183, v183
	s_waitcnt lgkmcnt(0)
	v_cndmask_b32_e64 v228, v183, v241, s14
	v_cndmask_b32_e64 v42, v41, v183, s14
	v_cmpx_lt_u32_e64 v179, v244
	s_cbranch_execz .LBB1044_174
; %bb.171:
	s_mov_b32 s17, 0
	s_mov_b32 s15, exec_lo
	v_cmpx_lt_u32_e64 v181, v243
	s_cbranch_execz .LBB1044_173
; %bb.172:
	v_bfe_i32 v182, v228, 0, 16
	v_bfe_i32 v195, v42, 0, 16
	v_ashrrev_i32_e32 v183, 31, v182
	v_ashrrev_i32_e32 v196, 31, v195
	v_lshlrev_b64 v[182:183], 1, v[182:183]
	v_lshlrev_b64 v[195:196], 1, v[195:196]
	v_add_co_u32 v182, vcc_lo, v6, v182
	v_add_co_ci_u32_e64 v183, null, v7, v183, vcc_lo
	v_add_co_u32 v195, vcc_lo, v6, v195
	v_add_co_ci_u32_e64 v196, null, v7, v196, vcc_lo
	s_clause 0x1
	flat_load_ushort v182, v[182:183]
	flat_load_ushort v183, v[195:196]
	s_waitcnt vmcnt(0) lgkmcnt(0)
	v_cmp_ge_i16_e32 vcc_lo, v182, v183
	s_and_b32 s17, vcc_lo, exec_lo
.LBB1044_173:
	s_or_b32 exec_lo, exec_lo, s15
	s_orn2_b32 s15, s17, exec_lo
.LBB1044_174:
	s_or_b32 exec_lo, exec_lo, s16
	v_cndmask_b32_e64 v182, v179, v181, s15
	v_cndmask_b32_e64 v183, v244, v243, s15
	s_mov_b32 s17, -1
	s_mov_b32 s16, -1
	s_mov_b32 s18, exec_lo
	v_add_nc_u32_e32 v182, 1, v182
	v_add_nc_u32_e32 v183, -1, v183
	v_cndmask_b32_e64 v179, v182, v179, s15
	v_min_u32_e32 v183, v182, v183
	v_cndmask_b32_e64 v181, v181, v182, s15
	v_lshl_add_u32 v183, v183, 1, v112
	ds_read_u16 v183, v183
	s_waitcnt lgkmcnt(0)
	v_cndmask_b32_e64 v231, v183, v228, s15
	v_cndmask_b32_e64 v43, v42, v183, s15
	v_cmpx_lt_u32_e64 v179, v244
	s_cbranch_execz .LBB1044_178
; %bb.175:
	s_mov_b32 s19, 0
	s_mov_b32 s16, exec_lo
	v_cmpx_lt_u32_e64 v181, v243
	s_cbranch_execz .LBB1044_177
; %bb.176:
	v_bfe_i32 v182, v231, 0, 16
	v_bfe_i32 v195, v43, 0, 16
	v_ashrrev_i32_e32 v183, 31, v182
	v_ashrrev_i32_e32 v196, 31, v195
	v_lshlrev_b64 v[182:183], 1, v[182:183]
	v_lshlrev_b64 v[195:196], 1, v[195:196]
	v_add_co_u32 v182, vcc_lo, v6, v182
	v_add_co_ci_u32_e64 v183, null, v7, v183, vcc_lo
	v_add_co_u32 v195, vcc_lo, v6, v195
	v_add_co_ci_u32_e64 v196, null, v7, v196, vcc_lo
	s_clause 0x1
	flat_load_ushort v182, v[182:183]
	flat_load_ushort v183, v[195:196]
	s_waitcnt vmcnt(0) lgkmcnt(0)
	v_cmp_ge_i16_e32 vcc_lo, v182, v183
	s_and_b32 s19, vcc_lo, exec_lo
.LBB1044_177:
	s_or_b32 exec_lo, exec_lo, s16
	s_orn2_b32 s16, s19, exec_lo
.LBB1044_178:
	s_or_b32 exec_lo, exec_lo, s18
	v_cndmask_b32_e64 v182, v179, v181, s16
	v_cndmask_b32_e64 v183, v244, v243, s16
	s_mov_b32 s18, exec_lo
	v_add_nc_u32_e32 v182, 1, v182
	v_add_nc_u32_e32 v183, -1, v183
	v_cndmask_b32_e64 v179, v182, v179, s16
	v_min_u32_e32 v183, v182, v183
	v_cndmask_b32_e64 v181, v181, v182, s16
	v_lshl_add_u32 v183, v183, 1, v112
	ds_read_u16 v183, v183
	s_waitcnt lgkmcnt(0)
	v_cndmask_b32_e64 v226, v183, v231, s16
	v_cndmask_b32_e64 v44, v43, v183, s16
	v_cmpx_lt_u32_e64 v179, v244
	s_cbranch_execz .LBB1044_182
; %bb.179:
	s_mov_b32 s19, 0
	s_mov_b32 s17, exec_lo
	v_cmpx_lt_u32_e64 v181, v243
	s_cbranch_execz .LBB1044_181
; %bb.180:
	v_bfe_i32 v182, v226, 0, 16
	v_bfe_i32 v195, v44, 0, 16
	v_ashrrev_i32_e32 v183, 31, v182
	v_ashrrev_i32_e32 v196, 31, v195
	v_lshlrev_b64 v[182:183], 1, v[182:183]
	v_lshlrev_b64 v[195:196], 1, v[195:196]
	v_add_co_u32 v182, vcc_lo, v6, v182
	v_add_co_ci_u32_e64 v183, null, v7, v183, vcc_lo
	v_add_co_u32 v195, vcc_lo, v6, v195
	v_add_co_ci_u32_e64 v196, null, v7, v196, vcc_lo
	s_clause 0x1
	flat_load_ushort v182, v[182:183]
	flat_load_ushort v183, v[195:196]
	s_waitcnt vmcnt(0) lgkmcnt(0)
	v_cmp_ge_i16_e32 vcc_lo, v182, v183
	s_and_b32 s19, vcc_lo, exec_lo
.LBB1044_181:
	s_or_b32 exec_lo, exec_lo, s17
	s_orn2_b32 s17, s19, exec_lo
.LBB1044_182:
	s_or_b32 exec_lo, exec_lo, s18
	v_cndmask_b32_e64 v182, v179, v181, s17
	v_cndmask_b32_e64 v183, v244, v243, s17
	s_mov_b32 s19, -1
	s_mov_b32 s18, -1
	s_mov_b32 s20, exec_lo
	v_add_nc_u32_e32 v182, 1, v182
	v_add_nc_u32_e32 v183, -1, v183
	v_cndmask_b32_e64 v179, v182, v179, s17
	v_min_u32_e32 v183, v182, v183
	v_cndmask_b32_e64 v181, v181, v182, s17
	v_lshl_add_u32 v183, v183, 1, v112
	ds_read_u16 v183, v183
	s_waitcnt lgkmcnt(0)
	v_cndmask_b32_e64 v229, v183, v226, s17
	v_cndmask_b32_e64 v45, v44, v183, s17
	v_cmpx_lt_u32_e64 v179, v244
	s_cbranch_execz .LBB1044_186
; %bb.183:
	s_mov_b32 s22, 0
	s_mov_b32 s18, exec_lo
	v_cmpx_lt_u32_e64 v181, v243
	s_cbranch_execz .LBB1044_185
; %bb.184:
	v_bfe_i32 v182, v229, 0, 16
	v_bfe_i32 v195, v45, 0, 16
	v_ashrrev_i32_e32 v183, 31, v182
	v_ashrrev_i32_e32 v196, 31, v195
	v_lshlrev_b64 v[182:183], 1, v[182:183]
	v_lshlrev_b64 v[195:196], 1, v[195:196]
	v_add_co_u32 v182, vcc_lo, v6, v182
	v_add_co_ci_u32_e64 v183, null, v7, v183, vcc_lo
	v_add_co_u32 v195, vcc_lo, v6, v195
	v_add_co_ci_u32_e64 v196, null, v7, v196, vcc_lo
	s_clause 0x1
	flat_load_ushort v182, v[182:183]
	flat_load_ushort v183, v[195:196]
	s_waitcnt vmcnt(0) lgkmcnt(0)
	v_cmp_ge_i16_e32 vcc_lo, v182, v183
	s_and_b32 s22, vcc_lo, exec_lo
.LBB1044_185:
	s_or_b32 exec_lo, exec_lo, s18
	s_orn2_b32 s18, s22, exec_lo
.LBB1044_186:
	s_or_b32 exec_lo, exec_lo, s20
	v_cndmask_b32_e64 v182, v179, v181, s18
	v_cndmask_b32_e64 v183, v244, v243, s18
	s_mov_b32 s20, exec_lo
	v_add_nc_u32_e32 v182, 1, v182
	v_add_nc_u32_e32 v183, -1, v183
	v_cndmask_b32_e64 v179, v182, v179, s18
	v_min_u32_e32 v183, v182, v183
	v_cndmask_b32_e64 v181, v181, v182, s18
	v_lshl_add_u32 v183, v183, 1, v112
	ds_read_u16 v183, v183
	s_waitcnt lgkmcnt(0)
	v_cndmask_b32_e64 v225, v183, v229, s18
	v_cndmask_b32_e64 v46, v45, v183, s18
	v_cmpx_lt_u32_e64 v179, v244
	s_cbranch_execz .LBB1044_190
; %bb.187:
	s_mov_b32 s22, 0
	s_mov_b32 s19, exec_lo
	v_cmpx_lt_u32_e64 v181, v243
	s_cbranch_execz .LBB1044_189
; %bb.188:
	v_bfe_i32 v182, v225, 0, 16
	v_bfe_i32 v195, v46, 0, 16
	v_ashrrev_i32_e32 v183, 31, v182
	v_ashrrev_i32_e32 v196, 31, v195
	v_lshlrev_b64 v[182:183], 1, v[182:183]
	v_lshlrev_b64 v[195:196], 1, v[195:196]
	v_add_co_u32 v182, vcc_lo, v6, v182
	v_add_co_ci_u32_e64 v183, null, v7, v183, vcc_lo
	v_add_co_u32 v195, vcc_lo, v6, v195
	v_add_co_ci_u32_e64 v196, null, v7, v196, vcc_lo
	s_clause 0x1
	flat_load_ushort v182, v[182:183]
	flat_load_ushort v183, v[195:196]
	s_waitcnt vmcnt(0) lgkmcnt(0)
	v_cmp_ge_i16_e32 vcc_lo, v182, v183
	s_and_b32 s22, vcc_lo, exec_lo
.LBB1044_189:
	s_or_b32 exec_lo, exec_lo, s19
	s_orn2_b32 s19, s22, exec_lo
.LBB1044_190:
	s_or_b32 exec_lo, exec_lo, s20
	v_cndmask_b32_e64 v182, v179, v181, s19
	v_cndmask_b32_e64 v183, v244, v243, s19
	s_mov_b32 s22, -1
	s_mov_b32 s20, -1
	s_mov_b32 s23, exec_lo
	v_add_nc_u32_e32 v182, 1, v182
	v_add_nc_u32_e32 v183, -1, v183
	v_cndmask_b32_e64 v179, v182, v179, s19
	v_min_u32_e32 v183, v182, v183
	v_cndmask_b32_e64 v181, v181, v182, s19
	v_lshl_add_u32 v183, v183, 1, v112
	ds_read_u16 v183, v183
	s_waitcnt lgkmcnt(0)
	v_cndmask_b32_e64 v227, v183, v225, s19
	v_cndmask_b32_e64 v47, v46, v183, s19
	v_cmpx_lt_u32_e64 v179, v244
	s_cbranch_execz .LBB1044_194
; %bb.191:
	s_mov_b32 s24, 0
	s_mov_b32 s20, exec_lo
	v_cmpx_lt_u32_e64 v181, v243
	s_cbranch_execz .LBB1044_193
; %bb.192:
	v_bfe_i32 v182, v227, 0, 16
	v_bfe_i32 v195, v47, 0, 16
	v_ashrrev_i32_e32 v183, 31, v182
	v_ashrrev_i32_e32 v196, 31, v195
	v_lshlrev_b64 v[182:183], 1, v[182:183]
	v_lshlrev_b64 v[195:196], 1, v[195:196]
	v_add_co_u32 v182, vcc_lo, v6, v182
	v_add_co_ci_u32_e64 v183, null, v7, v183, vcc_lo
	v_add_co_u32 v195, vcc_lo, v6, v195
	v_add_co_ci_u32_e64 v196, null, v7, v196, vcc_lo
	s_clause 0x1
	flat_load_ushort v182, v[182:183]
	flat_load_ushort v183, v[195:196]
	s_waitcnt vmcnt(0) lgkmcnt(0)
	v_cmp_ge_i16_e32 vcc_lo, v182, v183
	s_and_b32 s24, vcc_lo, exec_lo
.LBB1044_193:
	s_or_b32 exec_lo, exec_lo, s20
	s_orn2_b32 s20, s24, exec_lo
.LBB1044_194:
	s_or_b32 exec_lo, exec_lo, s23
	v_cndmask_b32_e64 v182, v179, v181, s20
	v_cndmask_b32_e64 v183, v244, v243, s20
	s_mov_b32 s23, exec_lo
	v_add_nc_u32_e32 v182, 1, v182
	v_add_nc_u32_e32 v183, -1, v183
	v_cndmask_b32_e64 v179, v182, v179, s20
	v_min_u32_e32 v183, v182, v183
	v_cndmask_b32_e64 v181, v181, v182, s20
	v_lshl_add_u32 v183, v183, 1, v112
	ds_read_u16 v183, v183
	s_waitcnt lgkmcnt(0)
	v_cndmask_b32_e64 v215, v183, v227, s20
	v_cndmask_b32_e64 v56, v47, v183, s20
	v_cmpx_lt_u32_e64 v179, v244
	s_cbranch_execz .LBB1044_198
; %bb.195:
	s_mov_b32 s24, 0
	s_mov_b32 s22, exec_lo
	v_cmpx_lt_u32_e64 v181, v243
	s_cbranch_execz .LBB1044_197
; %bb.196:
	v_bfe_i32 v182, v215, 0, 16
	v_bfe_i32 v195, v56, 0, 16
	v_ashrrev_i32_e32 v183, 31, v182
	v_ashrrev_i32_e32 v196, 31, v195
	v_lshlrev_b64 v[182:183], 1, v[182:183]
	v_lshlrev_b64 v[195:196], 1, v[195:196]
	v_add_co_u32 v182, vcc_lo, v6, v182
	v_add_co_ci_u32_e64 v183, null, v7, v183, vcc_lo
	v_add_co_u32 v195, vcc_lo, v6, v195
	v_add_co_ci_u32_e64 v196, null, v7, v196, vcc_lo
	s_clause 0x1
	flat_load_ushort v182, v[182:183]
	flat_load_ushort v183, v[195:196]
	s_waitcnt vmcnt(0) lgkmcnt(0)
	v_cmp_ge_i16_e32 vcc_lo, v182, v183
	s_and_b32 s24, vcc_lo, exec_lo
.LBB1044_197:
	s_or_b32 exec_lo, exec_lo, s22
	s_orn2_b32 s22, s24, exec_lo
.LBB1044_198:
	s_or_b32 exec_lo, exec_lo, s23
	v_cndmask_b32_e64 v182, v179, v181, s22
	v_cndmask_b32_e64 v183, v244, v243, s22
	s_mov_b32 s24, -1
	s_mov_b32 s23, -1
	s_mov_b32 s25, exec_lo
	v_add_nc_u32_e32 v182, 1, v182
	v_add_nc_u32_e32 v183, -1, v183
	v_cndmask_b32_e64 v179, v182, v179, s22
	v_min_u32_e32 v183, v182, v183
	v_cndmask_b32_e64 v181, v181, v182, s22
	v_lshl_add_u32 v183, v183, 1, v112
	ds_read_u16 v183, v183
	s_waitcnt lgkmcnt(0)
	v_cndmask_b32_e64 v224, v183, v215, s22
	v_cndmask_b32_e64 v57, v56, v183, s22
	v_cmpx_lt_u32_e64 v179, v244
	s_cbranch_execz .LBB1044_202
; %bb.199:
	s_mov_b32 s26, 0
	s_mov_b32 s23, exec_lo
	v_cmpx_lt_u32_e64 v181, v243
	s_cbranch_execz .LBB1044_201
; %bb.200:
	v_bfe_i32 v182, v224, 0, 16
	v_bfe_i32 v195, v57, 0, 16
	v_ashrrev_i32_e32 v183, 31, v182
	v_ashrrev_i32_e32 v196, 31, v195
	v_lshlrev_b64 v[182:183], 1, v[182:183]
	v_lshlrev_b64 v[195:196], 1, v[195:196]
	v_add_co_u32 v182, vcc_lo, v6, v182
	v_add_co_ci_u32_e64 v183, null, v7, v183, vcc_lo
	v_add_co_u32 v195, vcc_lo, v6, v195
	v_add_co_ci_u32_e64 v196, null, v7, v196, vcc_lo
	s_clause 0x1
	flat_load_ushort v182, v[182:183]
	flat_load_ushort v183, v[195:196]
	s_waitcnt vmcnt(0) lgkmcnt(0)
	v_cmp_ge_i16_e32 vcc_lo, v182, v183
	s_and_b32 s26, vcc_lo, exec_lo
.LBB1044_201:
	s_or_b32 exec_lo, exec_lo, s23
	s_orn2_b32 s23, s26, exec_lo
.LBB1044_202:
	s_or_b32 exec_lo, exec_lo, s25
	v_cndmask_b32_e64 v182, v179, v181, s23
	v_cndmask_b32_e64 v183, v244, v243, s23
	s_mov_b32 s25, exec_lo
	v_add_nc_u32_e32 v182, 1, v182
	v_add_nc_u32_e32 v183, -1, v183
	v_cndmask_b32_e64 v179, v182, v179, s23
	v_min_u32_e32 v183, v182, v183
	v_cndmask_b32_e64 v181, v181, v182, s23
	v_lshl_add_u32 v183, v183, 1, v112
	ds_read_u16 v183, v183
	s_waitcnt lgkmcnt(0)
	v_cndmask_b32_e64 v213, v183, v224, s23
	v_cndmask_b32_e64 v58, v57, v183, s23
	v_cmpx_lt_u32_e64 v179, v244
	s_cbranch_execz .LBB1044_206
; %bb.203:
	s_mov_b32 s26, 0
	s_mov_b32 s24, exec_lo
	v_cmpx_lt_u32_e64 v181, v243
	s_cbranch_execz .LBB1044_205
; %bb.204:
	v_bfe_i32 v182, v213, 0, 16
	v_bfe_i32 v195, v58, 0, 16
	v_ashrrev_i32_e32 v183, 31, v182
	v_ashrrev_i32_e32 v196, 31, v195
	v_lshlrev_b64 v[182:183], 1, v[182:183]
	v_lshlrev_b64 v[195:196], 1, v[195:196]
	v_add_co_u32 v182, vcc_lo, v6, v182
	v_add_co_ci_u32_e64 v183, null, v7, v183, vcc_lo
	v_add_co_u32 v195, vcc_lo, v6, v195
	v_add_co_ci_u32_e64 v196, null, v7, v196, vcc_lo
	s_clause 0x1
	flat_load_ushort v182, v[182:183]
	flat_load_ushort v183, v[195:196]
	s_waitcnt vmcnt(0) lgkmcnt(0)
	v_cmp_ge_i16_e32 vcc_lo, v182, v183
	s_and_b32 s26, vcc_lo, exec_lo
.LBB1044_205:
	s_or_b32 exec_lo, exec_lo, s24
	s_orn2_b32 s24, s26, exec_lo
.LBB1044_206:
	s_or_b32 exec_lo, exec_lo, s25
	v_cndmask_b32_e64 v182, v179, v181, s24
	v_cndmask_b32_e64 v183, v244, v243, s24
	s_mov_b32 s26, -1
	s_mov_b32 s25, -1
	s_mov_b32 s27, exec_lo
	v_add_nc_u32_e32 v182, 1, v182
	v_add_nc_u32_e32 v183, -1, v183
	v_cndmask_b32_e64 v179, v182, v179, s24
	v_min_u32_e32 v183, v182, v183
	v_cndmask_b32_e64 v181, v181, v182, s24
	v_lshl_add_u32 v183, v183, 1, v112
	ds_read_u16 v183, v183
	s_waitcnt lgkmcnt(0)
	v_cndmask_b32_e64 v214, v183, v213, s24
	v_cndmask_b32_e64 v59, v58, v183, s24
	v_cmpx_lt_u32_e64 v179, v244
	s_cbranch_execz .LBB1044_210
; %bb.207:
	s_mov_b32 s28, 0
	s_mov_b32 s25, exec_lo
	v_cmpx_lt_u32_e64 v181, v243
	s_cbranch_execz .LBB1044_209
; %bb.208:
	v_bfe_i32 v182, v214, 0, 16
	v_bfe_i32 v195, v59, 0, 16
	v_ashrrev_i32_e32 v183, 31, v182
	v_ashrrev_i32_e32 v196, 31, v195
	v_lshlrev_b64 v[182:183], 1, v[182:183]
	v_lshlrev_b64 v[195:196], 1, v[195:196]
	v_add_co_u32 v182, vcc_lo, v6, v182
	v_add_co_ci_u32_e64 v183, null, v7, v183, vcc_lo
	v_add_co_u32 v195, vcc_lo, v6, v195
	v_add_co_ci_u32_e64 v196, null, v7, v196, vcc_lo
	s_clause 0x1
	flat_load_ushort v182, v[182:183]
	flat_load_ushort v183, v[195:196]
	s_waitcnt vmcnt(0) lgkmcnt(0)
	v_cmp_ge_i16_e32 vcc_lo, v182, v183
	s_and_b32 s28, vcc_lo, exec_lo
.LBB1044_209:
	s_or_b32 exec_lo, exec_lo, s25
	s_orn2_b32 s25, s28, exec_lo
.LBB1044_210:
	s_or_b32 exec_lo, exec_lo, s27
	v_cndmask_b32_e64 v182, v179, v181, s25
	v_cndmask_b32_e64 v183, v244, v243, s25
	s_mov_b32 s27, exec_lo
	v_add_nc_u32_e32 v182, 1, v182
	v_add_nc_u32_e32 v183, -1, v183
	v_cndmask_b32_e64 v179, v182, v179, s25
	v_min_u32_e32 v183, v182, v183
	v_cndmask_b32_e64 v181, v181, v182, s25
	v_lshl_add_u32 v183, v183, 1, v112
	ds_read_u16 v183, v183
	s_waitcnt lgkmcnt(0)
	v_cndmask_b32_e64 v210, v183, v214, s25
	v_cndmask_b32_e64 v60, v59, v183, s25
	v_cmpx_lt_u32_e64 v179, v244
	s_cbranch_execz .LBB1044_214
; %bb.211:
	s_mov_b32 s28, 0
	s_mov_b32 s26, exec_lo
	v_cmpx_lt_u32_e64 v181, v243
	s_cbranch_execz .LBB1044_213
; %bb.212:
	v_bfe_i32 v182, v210, 0, 16
	v_bfe_i32 v195, v60, 0, 16
	v_ashrrev_i32_e32 v183, 31, v182
	v_ashrrev_i32_e32 v196, 31, v195
	v_lshlrev_b64 v[182:183], 1, v[182:183]
	v_lshlrev_b64 v[195:196], 1, v[195:196]
	v_add_co_u32 v182, vcc_lo, v6, v182
	v_add_co_ci_u32_e64 v183, null, v7, v183, vcc_lo
	v_add_co_u32 v195, vcc_lo, v6, v195
	v_add_co_ci_u32_e64 v196, null, v7, v196, vcc_lo
	s_clause 0x1
	flat_load_ushort v182, v[182:183]
	flat_load_ushort v183, v[195:196]
	s_waitcnt vmcnt(0) lgkmcnt(0)
	v_cmp_ge_i16_e32 vcc_lo, v182, v183
	s_and_b32 s28, vcc_lo, exec_lo
.LBB1044_213:
	s_or_b32 exec_lo, exec_lo, s26
	s_orn2_b32 s26, s28, exec_lo
.LBB1044_214:
	s_or_b32 exec_lo, exec_lo, s27
	v_cndmask_b32_e64 v182, v179, v181, s26
	v_cndmask_b32_e64 v183, v244, v243, s26
	s_mov_b32 s28, -1
	s_mov_b32 s27, -1
	s_mov_b32 s29, exec_lo
	v_add_nc_u32_e32 v182, 1, v182
	v_add_nc_u32_e32 v183, -1, v183
	v_cndmask_b32_e64 v179, v182, v179, s26
	v_min_u32_e32 v183, v182, v183
	v_cndmask_b32_e64 v181, v181, v182, s26
	v_lshl_add_u32 v183, v183, 1, v112
	ds_read_u16 v183, v183
	s_waitcnt lgkmcnt(0)
	v_cndmask_b32_e64 v211, v183, v210, s26
	v_cndmask_b32_e64 v61, v60, v183, s26
	v_cmpx_lt_u32_e64 v179, v244
	s_cbranch_execz .LBB1044_218
; %bb.215:
	s_mov_b32 s40, 0
	s_mov_b32 s27, exec_lo
	v_cmpx_lt_u32_e64 v181, v243
	s_cbranch_execz .LBB1044_217
; %bb.216:
	v_bfe_i32 v182, v211, 0, 16
	v_bfe_i32 v195, v61, 0, 16
	v_ashrrev_i32_e32 v183, 31, v182
	v_ashrrev_i32_e32 v196, 31, v195
	v_lshlrev_b64 v[182:183], 1, v[182:183]
	v_lshlrev_b64 v[195:196], 1, v[195:196]
	v_add_co_u32 v182, vcc_lo, v6, v182
	v_add_co_ci_u32_e64 v183, null, v7, v183, vcc_lo
	v_add_co_u32 v195, vcc_lo, v6, v195
	v_add_co_ci_u32_e64 v196, null, v7, v196, vcc_lo
	s_clause 0x1
	flat_load_ushort v182, v[182:183]
	flat_load_ushort v183, v[195:196]
	s_waitcnt vmcnt(0) lgkmcnt(0)
	v_cmp_ge_i16_e32 vcc_lo, v182, v183
	s_and_b32 s40, vcc_lo, exec_lo
.LBB1044_217:
	s_or_b32 exec_lo, exec_lo, s27
	s_orn2_b32 s27, s40, exec_lo
.LBB1044_218:
	s_or_b32 exec_lo, exec_lo, s29
	v_cndmask_b32_e64 v182, v179, v181, s27
	v_cndmask_b32_e64 v183, v244, v243, s27
	s_mov_b32 s29, exec_lo
	v_add_nc_u32_e32 v182, 1, v182
	v_add_nc_u32_e32 v183, -1, v183
	v_cndmask_b32_e64 v179, v182, v179, s27
	v_min_u32_e32 v183, v182, v183
	v_cndmask_b32_e64 v181, v181, v182, s27
	v_lshl_add_u32 v183, v183, 1, v112
	ds_read_u16 v183, v183
	s_waitcnt lgkmcnt(0)
	v_cndmask_b32_e64 v199, v183, v211, s27
	v_cndmask_b32_e64 v62, v61, v183, s27
	v_cmpx_lt_u32_e64 v179, v244
	s_cbranch_execz .LBB1044_222
; %bb.219:
	s_mov_b32 s40, 0
	s_mov_b32 s28, exec_lo
	v_cmpx_lt_u32_e64 v181, v243
	s_cbranch_execz .LBB1044_221
; %bb.220:
	v_bfe_i32 v182, v199, 0, 16
	v_bfe_i32 v195, v62, 0, 16
	v_ashrrev_i32_e32 v183, 31, v182
	v_ashrrev_i32_e32 v196, 31, v195
	v_lshlrev_b64 v[182:183], 1, v[182:183]
	v_lshlrev_b64 v[195:196], 1, v[195:196]
	v_add_co_u32 v182, vcc_lo, v6, v182
	v_add_co_ci_u32_e64 v183, null, v7, v183, vcc_lo
	v_add_co_u32 v195, vcc_lo, v6, v195
	v_add_co_ci_u32_e64 v196, null, v7, v196, vcc_lo
	s_clause 0x1
	flat_load_ushort v182, v[182:183]
	flat_load_ushort v183, v[195:196]
	s_waitcnt vmcnt(0) lgkmcnt(0)
	v_cmp_ge_i16_e32 vcc_lo, v182, v183
	s_and_b32 s40, vcc_lo, exec_lo
.LBB1044_221:
	s_or_b32 exec_lo, exec_lo, s28
	s_orn2_b32 s28, s40, exec_lo
.LBB1044_222:
	s_or_b32 exec_lo, exec_lo, s29
	v_cndmask_b32_e64 v182, v179, v181, s28
	v_cndmask_b32_e64 v183, v244, v243, s28
	s_mov_b32 s40, -1
	s_mov_b32 s29, -1
	s_mov_b32 s41, exec_lo
	v_add_nc_u32_e32 v182, 1, v182
	v_add_nc_u32_e32 v183, -1, v183
	v_cndmask_b32_e64 v179, v182, v179, s28
	v_min_u32_e32 v183, v182, v183
	v_cndmask_b32_e64 v181, v181, v182, s28
	v_lshl_add_u32 v183, v183, 1, v112
	ds_read_u16 v183, v183
	s_waitcnt lgkmcnt(0)
	v_cndmask_b32_e64 v212, v183, v199, s28
	v_cndmask_b32_e64 v63, v62, v183, s28
	v_cmpx_lt_u32_e64 v179, v244
	s_cbranch_execz .LBB1044_226
; %bb.223:
	s_mov_b32 s42, 0
	s_mov_b32 s29, exec_lo
	v_cmpx_lt_u32_e64 v181, v243
	s_cbranch_execz .LBB1044_225
; %bb.224:
	v_bfe_i32 v182, v212, 0, 16
	v_bfe_i32 v195, v63, 0, 16
	v_ashrrev_i32_e32 v183, 31, v182
	v_ashrrev_i32_e32 v196, 31, v195
	v_lshlrev_b64 v[182:183], 1, v[182:183]
	v_lshlrev_b64 v[195:196], 1, v[195:196]
	v_add_co_u32 v182, vcc_lo, v6, v182
	v_add_co_ci_u32_e64 v183, null, v7, v183, vcc_lo
	v_add_co_u32 v195, vcc_lo, v6, v195
	v_add_co_ci_u32_e64 v196, null, v7, v196, vcc_lo
	s_clause 0x1
	flat_load_ushort v182, v[182:183]
	flat_load_ushort v183, v[195:196]
	s_waitcnt vmcnt(0) lgkmcnt(0)
	v_cmp_ge_i16_e32 vcc_lo, v182, v183
	s_and_b32 s42, vcc_lo, exec_lo
.LBB1044_225:
	s_or_b32 exec_lo, exec_lo, s29
	s_orn2_b32 s29, s42, exec_lo
.LBB1044_226:
	s_or_b32 exec_lo, exec_lo, s41
	v_cndmask_b32_e64 v182, v179, v181, s29
	v_cndmask_b32_e64 v183, v244, v243, s29
	s_mov_b32 s41, exec_lo
	v_add_nc_u32_e32 v182, 1, v182
	v_add_nc_u32_e32 v183, -1, v183
	v_cndmask_b32_e64 v179, v182, v179, s29
	v_min_u32_e32 v183, v182, v183
	v_cndmask_b32_e64 v181, v181, v182, s29
	v_lshl_add_u32 v183, v183, 1, v112
	ds_read_u16 v183, v183
	s_waitcnt lgkmcnt(0)
	v_cndmask_b32_e64 v208, v183, v212, s29
	v_cndmask_b32_e64 v72, v63, v183, s29
	v_cmpx_lt_u32_e64 v179, v244
	s_cbranch_execz .LBB1044_230
; %bb.227:
	s_mov_b32 s42, 0
	s_mov_b32 s40, exec_lo
	v_cmpx_lt_u32_e64 v181, v243
	s_cbranch_execz .LBB1044_229
; %bb.228:
	v_bfe_i32 v182, v208, 0, 16
	v_bfe_i32 v195, v72, 0, 16
	v_ashrrev_i32_e32 v183, 31, v182
	v_ashrrev_i32_e32 v196, 31, v195
	v_lshlrev_b64 v[182:183], 1, v[182:183]
	v_lshlrev_b64 v[195:196], 1, v[195:196]
	v_add_co_u32 v182, vcc_lo, v6, v182
	v_add_co_ci_u32_e64 v183, null, v7, v183, vcc_lo
	v_add_co_u32 v195, vcc_lo, v6, v195
	v_add_co_ci_u32_e64 v196, null, v7, v196, vcc_lo
	s_clause 0x1
	flat_load_ushort v182, v[182:183]
	flat_load_ushort v183, v[195:196]
	s_waitcnt vmcnt(0) lgkmcnt(0)
	v_cmp_ge_i16_e32 vcc_lo, v182, v183
	s_and_b32 s42, vcc_lo, exec_lo
.LBB1044_229:
	s_or_b32 exec_lo, exec_lo, s40
	s_orn2_b32 s40, s42, exec_lo
.LBB1044_230:
	s_or_b32 exec_lo, exec_lo, s41
	v_cndmask_b32_e64 v182, v179, v181, s40
	v_cndmask_b32_e64 v183, v244, v243, s40
	s_mov_b32 s42, -1
	s_mov_b32 s41, -1
	s_mov_b32 s43, exec_lo
	v_add_nc_u32_e32 v182, 1, v182
	v_add_nc_u32_e32 v183, -1, v183
	v_cndmask_b32_e64 v179, v182, v179, s40
	v_min_u32_e32 v183, v182, v183
	v_cndmask_b32_e64 v181, v181, v182, s40
	v_lshl_add_u32 v183, v183, 1, v112
	ds_read_u16 v183, v183
	s_waitcnt lgkmcnt(0)
	v_cndmask_b32_e64 v209, v183, v208, s40
	v_cndmask_b32_e64 v73, v72, v183, s40
	v_cmpx_lt_u32_e64 v179, v244
	s_cbranch_execz .LBB1044_234
; %bb.231:
	s_mov_b32 s44, 0
	s_mov_b32 s41, exec_lo
	v_cmpx_lt_u32_e64 v181, v243
	s_cbranch_execz .LBB1044_233
; %bb.232:
	v_bfe_i32 v182, v209, 0, 16
	v_bfe_i32 v195, v73, 0, 16
	v_ashrrev_i32_e32 v183, 31, v182
	v_ashrrev_i32_e32 v196, 31, v195
	v_lshlrev_b64 v[182:183], 1, v[182:183]
	v_lshlrev_b64 v[195:196], 1, v[195:196]
	v_add_co_u32 v182, vcc_lo, v6, v182
	v_add_co_ci_u32_e64 v183, null, v7, v183, vcc_lo
	v_add_co_u32 v195, vcc_lo, v6, v195
	v_add_co_ci_u32_e64 v196, null, v7, v196, vcc_lo
	s_clause 0x1
	flat_load_ushort v182, v[182:183]
	flat_load_ushort v183, v[195:196]
	s_waitcnt vmcnt(0) lgkmcnt(0)
	v_cmp_ge_i16_e32 vcc_lo, v182, v183
	s_and_b32 s44, vcc_lo, exec_lo
.LBB1044_233:
	s_or_b32 exec_lo, exec_lo, s41
	s_orn2_b32 s41, s44, exec_lo
.LBB1044_234:
	s_or_b32 exec_lo, exec_lo, s43
	v_cndmask_b32_e64 v182, v179, v181, s41
	v_cndmask_b32_e64 v183, v244, v243, s41
	s_mov_b32 s43, exec_lo
	v_add_nc_u32_e32 v182, 1, v182
	v_add_nc_u32_e32 v183, -1, v183
	v_cndmask_b32_e64 v179, v182, v179, s41
	v_min_u32_e32 v183, v182, v183
	v_cndmask_b32_e64 v181, v181, v182, s41
	v_lshl_add_u32 v183, v183, 1, v112
	ds_read_u16 v183, v183
	s_waitcnt lgkmcnt(0)
	v_cndmask_b32_e64 v197, v183, v209, s41
	v_cndmask_b32_e64 v74, v73, v183, s41
	v_cmpx_lt_u32_e64 v179, v244
	s_cbranch_execz .LBB1044_238
; %bb.235:
	s_mov_b32 s44, 0
	s_mov_b32 s42, exec_lo
	v_cmpx_lt_u32_e64 v181, v243
	s_cbranch_execz .LBB1044_237
; %bb.236:
	v_bfe_i32 v182, v197, 0, 16
	v_bfe_i32 v195, v74, 0, 16
	v_ashrrev_i32_e32 v183, 31, v182
	v_ashrrev_i32_e32 v196, 31, v195
	v_lshlrev_b64 v[182:183], 1, v[182:183]
	v_lshlrev_b64 v[195:196], 1, v[195:196]
	v_add_co_u32 v182, vcc_lo, v6, v182
	v_add_co_ci_u32_e64 v183, null, v7, v183, vcc_lo
	v_add_co_u32 v195, vcc_lo, v6, v195
	v_add_co_ci_u32_e64 v196, null, v7, v196, vcc_lo
	s_clause 0x1
	flat_load_ushort v182, v[182:183]
	flat_load_ushort v183, v[195:196]
	s_waitcnt vmcnt(0) lgkmcnt(0)
	v_cmp_ge_i16_e32 vcc_lo, v182, v183
	s_and_b32 s44, vcc_lo, exec_lo
.LBB1044_237:
	s_or_b32 exec_lo, exec_lo, s42
	s_orn2_b32 s42, s44, exec_lo
.LBB1044_238:
	s_or_b32 exec_lo, exec_lo, s43
	v_cndmask_b32_e64 v182, v179, v181, s42
	v_cndmask_b32_e64 v183, v244, v243, s42
	s_mov_b32 s44, -1
	s_mov_b32 s43, -1
	s_mov_b32 s45, exec_lo
	v_add_nc_u32_e32 v182, 1, v182
	v_add_nc_u32_e32 v183, -1, v183
	v_cndmask_b32_e64 v179, v182, v179, s42
	v_min_u32_e32 v183, v182, v183
	v_cndmask_b32_e64 v181, v181, v182, s42
	v_lshl_add_u32 v183, v183, 1, v112
	ds_read_u16 v183, v183
	s_waitcnt lgkmcnt(0)
	v_cndmask_b32_e64 v198, v183, v197, s42
	v_cndmask_b32_e64 v75, v74, v183, s42
	v_cmpx_lt_u32_e64 v179, v244
	s_cbranch_execz .LBB1044_242
; %bb.239:
	s_mov_b32 s46, 0
	s_mov_b32 s43, exec_lo
	v_cmpx_lt_u32_e64 v181, v243
	s_cbranch_execz .LBB1044_241
; %bb.240:
	v_bfe_i32 v182, v198, 0, 16
	v_bfe_i32 v195, v75, 0, 16
	v_ashrrev_i32_e32 v183, 31, v182
	v_ashrrev_i32_e32 v196, 31, v195
	v_lshlrev_b64 v[182:183], 1, v[182:183]
	v_lshlrev_b64 v[195:196], 1, v[195:196]
	v_add_co_u32 v182, vcc_lo, v6, v182
	v_add_co_ci_u32_e64 v183, null, v7, v183, vcc_lo
	v_add_co_u32 v195, vcc_lo, v6, v195
	v_add_co_ci_u32_e64 v196, null, v7, v196, vcc_lo
	s_clause 0x1
	flat_load_ushort v182, v[182:183]
	flat_load_ushort v183, v[195:196]
	s_waitcnt vmcnt(0) lgkmcnt(0)
	v_cmp_ge_i16_e32 vcc_lo, v182, v183
	s_and_b32 s46, vcc_lo, exec_lo
.LBB1044_241:
	s_or_b32 exec_lo, exec_lo, s43
	s_orn2_b32 s43, s46, exec_lo
.LBB1044_242:
	s_or_b32 exec_lo, exec_lo, s45
	v_cndmask_b32_e64 v182, v179, v181, s43
	v_cndmask_b32_e64 v183, v244, v243, s43
	s_mov_b32 s45, exec_lo
	v_add_nc_u32_e32 v182, 1, v182
	v_add_nc_u32_e32 v183, -1, v183
	v_cndmask_b32_e64 v179, v182, v179, s43
	v_min_u32_e32 v183, v182, v183
	v_cndmask_b32_e64 v181, v181, v182, s43
	v_lshl_add_u32 v183, v183, 1, v112
	ds_read_u16 v183, v183
	s_waitcnt lgkmcnt(0)
	v_cndmask_b32_e64 v196, v183, v198, s43
	v_cndmask_b32_e64 v76, v75, v183, s43
	v_cmpx_lt_u32_e64 v179, v244
	s_cbranch_execz .LBB1044_246
; %bb.243:
	s_mov_b32 s46, 0
	s_mov_b32 s44, exec_lo
	v_cmpx_lt_u32_e64 v181, v243
	s_cbranch_execz .LBB1044_245
; %bb.244:
	v_bfe_i32 v182, v196, 0, 16
	v_bfe_i32 v77, v76, 0, 16
	v_ashrrev_i32_e32 v183, 31, v182
	v_ashrrev_i32_e32 v78, 31, v77
	v_lshlrev_b64 v[182:183], 1, v[182:183]
	v_lshlrev_b64 v[77:78], 1, v[77:78]
	v_add_co_u32 v182, vcc_lo, v6, v182
	v_add_co_ci_u32_e64 v183, null, v7, v183, vcc_lo
	v_add_co_u32 v77, vcc_lo, v6, v77
	v_add_co_ci_u32_e64 v78, null, v7, v78, vcc_lo
	s_clause 0x1
	flat_load_ushort v182, v[182:183]
	flat_load_ushort v183, v[77:78]
	s_waitcnt vmcnt(0) lgkmcnt(0)
	v_cmp_ge_i16_e32 vcc_lo, v182, v183
	s_and_b32 s46, vcc_lo, exec_lo
.LBB1044_245:
	s_or_b32 exec_lo, exec_lo, s44
	s_orn2_b32 s44, s46, exec_lo
.LBB1044_246:
	s_or_b32 exec_lo, exec_lo, s45
	v_cndmask_b32_e64 v182, v179, v181, s44
	v_cndmask_b32_e64 v183, v244, v243, s44
	s_mov_b32 s46, -1
	s_mov_b32 s45, -1
	s_mov_b32 s47, exec_lo
	v_add_nc_u32_e32 v182, 1, v182
	v_add_nc_u32_e32 v183, -1, v183
	v_cndmask_b32_e64 v179, v182, v179, s44
	v_min_u32_e32 v183, v182, v183
	v_cndmask_b32_e64 v181, v181, v182, s44
	v_lshl_add_u32 v183, v183, 1, v112
	ds_read_u16 v183, v183
	s_waitcnt lgkmcnt(0)
	v_cndmask_b32_e64 v195, v183, v196, s44
	v_cndmask_b32_e64 v77, v76, v183, s44
	v_cmpx_lt_u32_e64 v179, v244
	s_cbranch_execz .LBB1044_250
; %bb.247:
	s_mov_b32 s56, 0
	s_mov_b32 s45, exec_lo
	v_cmpx_lt_u32_e64 v181, v243
	s_cbranch_execz .LBB1044_249
; %bb.248:
	v_bfe_i32 v182, v195, 0, 16
	v_bfe_i32 v78, v77, 0, 16
	v_ashrrev_i32_e32 v183, 31, v182
	v_ashrrev_i32_e32 v79, 31, v78
	v_lshlrev_b64 v[182:183], 1, v[182:183]
	v_lshlrev_b64 v[78:79], 1, v[78:79]
	v_add_co_u32 v182, vcc_lo, v6, v182
	v_add_co_ci_u32_e64 v183, null, v7, v183, vcc_lo
	v_add_co_u32 v78, vcc_lo, v6, v78
	v_add_co_ci_u32_e64 v79, null, v7, v79, vcc_lo
	s_clause 0x1
	flat_load_ushort v182, v[182:183]
	flat_load_ushort v183, v[78:79]
	s_waitcnt vmcnt(0) lgkmcnt(0)
	v_cmp_ge_i16_e32 vcc_lo, v182, v183
	s_and_b32 s56, vcc_lo, exec_lo
.LBB1044_249:
	s_or_b32 exec_lo, exec_lo, s45
	s_orn2_b32 s45, s56, exec_lo
.LBB1044_250:
	s_or_b32 exec_lo, exec_lo, s47
	v_cndmask_b32_e64 v182, v179, v181, s45
	v_cndmask_b32_e64 v183, v244, v243, s45
	s_mov_b32 s47, exec_lo
	v_add_nc_u32_e32 v182, 1, v182
	v_add_nc_u32_e32 v183, -1, v183
	v_cndmask_b32_e64 v179, v182, v179, s45
	v_min_u32_e32 v183, v182, v183
	v_cndmask_b32_e64 v181, v181, v182, s45
	v_lshl_add_u32 v183, v183, 1, v112
	ds_read_u16 v183, v183
	s_waitcnt lgkmcnt(0)
	v_cndmask_b32_e64 v192, v183, v195, s45
	v_cndmask_b32_e64 v78, v77, v183, s45
	v_cmpx_lt_u32_e64 v179, v244
	s_cbranch_execz .LBB1044_254
; %bb.251:
	s_mov_b32 s56, 0
	s_mov_b32 s46, exec_lo
	v_cmpx_lt_u32_e64 v181, v243
	s_cbranch_execz .LBB1044_253
; %bb.252:
	v_bfe_i32 v182, v192, 0, 16
	v_bfe_i32 v88, v78, 0, 16
	v_ashrrev_i32_e32 v183, 31, v182
	v_ashrrev_i32_e32 v89, 31, v88
	v_lshlrev_b64 v[182:183], 1, v[182:183]
	v_lshlrev_b64 v[88:89], 1, v[88:89]
	v_add_co_u32 v182, vcc_lo, v6, v182
	v_add_co_ci_u32_e64 v183, null, v7, v183, vcc_lo
	v_add_co_u32 v88, vcc_lo, v6, v88
	v_add_co_ci_u32_e64 v89, null, v7, v89, vcc_lo
	s_clause 0x1
	flat_load_ushort v182, v[182:183]
	flat_load_ushort v183, v[88:89]
	s_waitcnt vmcnt(0) lgkmcnt(0)
	v_cmp_ge_i16_e32 vcc_lo, v182, v183
	s_and_b32 s56, vcc_lo, exec_lo
.LBB1044_253:
	s_or_b32 exec_lo, exec_lo, s46
	s_orn2_b32 s46, s56, exec_lo
.LBB1044_254:
	s_or_b32 exec_lo, exec_lo, s47
	v_cndmask_b32_e64 v182, v179, v181, s46
	v_cndmask_b32_e64 v183, v244, v243, s46
	s_mov_b32 s56, -1
	s_mov_b32 s47, -1
	s_mov_b32 s57, exec_lo
	v_add_nc_u32_e32 v182, 1, v182
	v_add_nc_u32_e32 v183, -1, v183
	v_cndmask_b32_e64 v179, v182, v179, s46
	v_min_u32_e32 v183, v182, v183
	v_cndmask_b32_e64 v181, v181, v182, s46
	v_lshl_add_u32 v183, v183, 1, v112
	ds_read_u16 v79, v183
	s_waitcnt lgkmcnt(0)
	v_cndmask_b32_e64 v183, v79, v192, s46
	v_cndmask_b32_e64 v79, v78, v79, s46
	v_cmpx_lt_u32_e64 v179, v244
	s_cbranch_execz .LBB1044_258
; %bb.255:
	s_mov_b32 s58, 0
	s_mov_b32 s47, exec_lo
	v_cmpx_lt_u32_e64 v181, v243
	s_cbranch_execz .LBB1044_257
; %bb.256:
	v_bfe_i32 v88, v183, 0, 16
	v_bfe_i32 v90, v79, 0, 16
	v_ashrrev_i32_e32 v89, 31, v88
	v_ashrrev_i32_e32 v91, 31, v90
	v_lshlrev_b64 v[88:89], 1, v[88:89]
	v_lshlrev_b64 v[90:91], 1, v[90:91]
	v_add_co_u32 v88, vcc_lo, v6, v88
	v_add_co_ci_u32_e64 v89, null, v7, v89, vcc_lo
	v_add_co_u32 v90, vcc_lo, v6, v90
	v_add_co_ci_u32_e64 v91, null, v7, v91, vcc_lo
	s_clause 0x1
	flat_load_ushort v182, v[88:89]
	flat_load_ushort v88, v[90:91]
	s_waitcnt vmcnt(0) lgkmcnt(0)
	v_cmp_ge_i16_e32 vcc_lo, v182, v88
	s_and_b32 s58, vcc_lo, exec_lo
.LBB1044_257:
	s_or_b32 exec_lo, exec_lo, s47
	s_orn2_b32 s47, s58, exec_lo
.LBB1044_258:
	s_or_b32 exec_lo, exec_lo, s57
	v_cndmask_b32_e64 v182, v179, v181, s47
	v_cndmask_b32_e64 v88, v244, v243, s47
	s_mov_b32 s57, exec_lo
	v_add_nc_u32_e32 v182, 1, v182
	v_add_nc_u32_e32 v88, -1, v88
	v_cndmask_b32_e64 v179, v182, v179, s47
	v_min_u32_e32 v88, v182, v88
	v_cndmask_b32_e64 v181, v181, v182, s47
	v_lshl_add_u32 v88, v88, 1, v112
	ds_read_u16 v88, v88
	s_waitcnt lgkmcnt(0)
	v_cndmask_b32_e64 v182, v88, v183, s47
	v_cndmask_b32_e64 v88, v79, v88, s47
	v_cmpx_lt_u32_e64 v179, v244
	s_cbranch_execz .LBB1044_262
; %bb.259:
	s_mov_b32 s58, 0
	s_mov_b32 s56, exec_lo
	v_cmpx_lt_u32_e64 v181, v243
	s_cbranch_execz .LBB1044_261
; %bb.260:
	v_bfe_i32 v89, v182, 0, 16
	v_bfe_i32 v91, v88, 0, 16
	v_ashrrev_i32_e32 v90, 31, v89
	v_ashrrev_i32_e32 v92, 31, v91
	v_lshlrev_b64 v[89:90], 1, v[89:90]
	v_lshlrev_b64 v[91:92], 1, v[91:92]
	v_add_co_u32 v89, vcc_lo, v6, v89
	v_add_co_ci_u32_e64 v90, null, v7, v90, vcc_lo
	v_add_co_u32 v91, vcc_lo, v6, v91
	v_add_co_ci_u32_e64 v92, null, v7, v92, vcc_lo
	s_clause 0x1
	flat_load_ushort v89, v[89:90]
	flat_load_ushort v90, v[91:92]
	s_waitcnt vmcnt(0) lgkmcnt(0)
	v_cmp_ge_i16_e32 vcc_lo, v89, v90
	s_and_b32 s58, vcc_lo, exec_lo
.LBB1044_261:
	s_or_b32 exec_lo, exec_lo, s56
	s_orn2_b32 s56, s58, exec_lo
.LBB1044_262:
	s_or_b32 exec_lo, exec_lo, s57
	v_cndmask_b32_e64 v89, v179, v181, s56
	v_cndmask_b32_e64 v90, v244, v243, s56
	s_mov_b32 s57, -1
	s_mov_b32 s58, -1
	s_mov_b32 s59, exec_lo
	v_add_nc_u32_e32 v89, 1, v89
	v_add_nc_u32_e32 v90, -1, v90
	v_cndmask_b32_e64 v179, v89, v179, s56
	v_min_u32_e32 v90, v89, v90
	v_lshl_add_u32 v90, v90, 1, v112
	ds_read_u16 v91, v90
	v_cndmask_b32_e64 v90, v181, v89, s56
	s_waitcnt lgkmcnt(0)
	v_cndmask_b32_e64 v181, v91, v182, s56
	v_cndmask_b32_e64 v89, v88, v91, s56
	v_cmpx_lt_u32_e64 v179, v244
	s_cbranch_execz .LBB1044_266
; %bb.263:
	s_mov_b32 s60, 0
	s_mov_b32 s58, exec_lo
	v_cmpx_lt_u32_e64 v90, v243
	s_cbranch_execz .LBB1044_265
; %bb.264:
	v_bfe_i32 v91, v181, 0, 16
	v_bfe_i32 v93, v89, 0, 16
	v_ashrrev_i32_e32 v92, 31, v91
	v_ashrrev_i32_e32 v94, 31, v93
	v_lshlrev_b64 v[91:92], 1, v[91:92]
	v_lshlrev_b64 v[93:94], 1, v[93:94]
	v_add_co_u32 v91, vcc_lo, v6, v91
	v_add_co_ci_u32_e64 v92, null, v7, v92, vcc_lo
	v_add_co_u32 v93, vcc_lo, v6, v93
	v_add_co_ci_u32_e64 v94, null, v7, v94, vcc_lo
	s_clause 0x1
	flat_load_ushort v91, v[91:92]
	flat_load_ushort v92, v[93:94]
	s_waitcnt vmcnt(0) lgkmcnt(0)
	v_cmp_ge_i16_e32 vcc_lo, v91, v92
	s_and_b32 s60, vcc_lo, exec_lo
.LBB1044_265:
	s_or_b32 exec_lo, exec_lo, s58
	s_orn2_b32 s58, s60, exec_lo
.LBB1044_266:
	s_or_b32 exec_lo, exec_lo, s59
	v_cndmask_b32_e64 v91, v179, v90, s58
	v_cndmask_b32_e64 v92, v244, v243, s58
	s_mov_b32 s59, exec_lo
	v_add_nc_u32_e32 v91, 1, v91
	v_add_nc_u32_e32 v92, -1, v92
	v_cndmask_b32_e64 v179, v91, v179, s58
	v_min_u32_e32 v92, v91, v92
	v_lshl_add_u32 v92, v92, 1, v112
	ds_read_u16 v93, v92
	v_cndmask_b32_e64 v92, v90, v91, s58
	s_waitcnt lgkmcnt(0)
	v_cndmask_b32_e64 v90, v93, v181, s58
	v_cndmask_b32_e64 v91, v89, v93, s58
	v_cmpx_lt_u32_e64 v179, v244
	s_cbranch_execz .LBB1044_270
; %bb.267:
	s_mov_b32 s60, 0
	s_mov_b32 s57, exec_lo
	v_cmpx_lt_u32_e64 v92, v243
	s_cbranch_execz .LBB1044_269
; %bb.268:
	v_bfe_i32 v93, v90, 0, 16
	v_bfe_i32 v104, v91, 0, 16
	v_ashrrev_i32_e32 v94, 31, v93
	v_ashrrev_i32_e32 v105, 31, v104
	v_lshlrev_b64 v[93:94], 1, v[93:94]
	v_lshlrev_b64 v[104:105], 1, v[104:105]
	v_add_co_u32 v93, vcc_lo, v6, v93
	v_add_co_ci_u32_e64 v94, null, v7, v94, vcc_lo
	v_add_co_u32 v104, vcc_lo, v6, v104
	v_add_co_ci_u32_e64 v105, null, v7, v105, vcc_lo
	s_clause 0x1
	flat_load_ushort v93, v[93:94]
	flat_load_ushort v94, v[104:105]
	s_waitcnt vmcnt(0) lgkmcnt(0)
	v_cmp_ge_i16_e32 vcc_lo, v93, v94
	s_and_b32 s60, vcc_lo, exec_lo
.LBB1044_269:
	s_or_b32 exec_lo, exec_lo, s57
	s_orn2_b32 s57, s60, exec_lo
.LBB1044_270:
	s_or_b32 exec_lo, exec_lo, s59
	v_cndmask_b32_e64 v93, v179, v92, s57
	v_cndmask_b32_e64 v94, v244, v243, s57
	s_mov_b32 s59, exec_lo
	v_add_nc_u32_e32 v93, 1, v93
	v_add_nc_u32_e32 v94, -1, v94
	v_cndmask_b32_e64 v95, v93, v179, s57
	v_min_u32_e32 v94, v93, v94
	v_lshl_add_u32 v94, v94, 1, v112
	ds_read_u16 v94, v94
	s_waitcnt lgkmcnt(0)
	v_cndmask_b32_e64 v179, v91, v94, s57
	v_cmpx_lt_u32_e64 v95, v244
	s_cbranch_execz .LBB1044_274
; %bb.271:
	v_cndmask_b32_e64 v92, v92, v93, s57
	v_cndmask_b32_e64 v244, v94, v90, s57
	s_mov_b32 s60, exec_lo
	v_cmpx_lt_u32_e64 v92, v243
	s_cbranch_execz .LBB1044_273
; %bb.272:
	v_bfe_i32 v92, v244, 0, 16
	v_bfe_i32 v94, v179, 0, 16
	v_ashrrev_i32_e32 v93, 31, v92
	v_ashrrev_i32_e32 v95, 31, v94
	v_lshlrev_b64 v[92:93], 1, v[92:93]
	v_lshlrev_b64 v[94:95], 1, v[94:95]
	v_add_co_u32 v92, vcc_lo, v6, v92
	v_add_co_ci_u32_e64 v93, null, v7, v93, vcc_lo
	v_add_co_u32 v94, vcc_lo, v6, v94
	v_add_co_ci_u32_e64 v95, null, v7, v95, vcc_lo
	s_clause 0x1
	flat_load_ushort v243, v[92:93]
	flat_load_ushort v92, v[94:95]
	s_waitcnt vmcnt(0) lgkmcnt(0)
	v_cmp_lt_i16_e32 vcc_lo, v243, v92
	v_cndmask_b32_e32 v244, v179, v244, vcc_lo
.LBB1044_273:
	s_or_b32 exec_lo, exec_lo, s60
	v_mov_b32_e32 v179, v244
.LBB1044_274:
	s_or_b32 exec_lo, exec_lo, s59
	v_cndmask_b32_e64 v181, v181, v89, s58
	v_cndmask_b32_e64 v182, v182, v88, s56
	;; [unrolled: 1-line block ×31, first 2 shown]
.LBB1044_275:
	s_or_b32 exec_lo, exec_lo, s5
	v_and_b32_e32 v245, 0x300, v114
	v_and_b32_e32 v246, 0xe0, v114
	s_mov_b32 s4, exec_lo
	; wave barrier
	v_or_b32_e32 v243, 0x80, v245
	v_min_u32_e32 v246, v113, v246
	ds_write_b16 v115, v193
	ds_write_b16 v167, v194
	;; [unrolled: 1-line block ×13, first 2 shown]
	v_min_u32_e32 v243, v113, v243
	ds_write_b16 v147, v224
	ds_write_b16 v148, v213
	;; [unrolled: 1-line block ×13, first 2 shown]
	v_add_nc_u32_e32 v244, 0x80, v243
	v_sub_nc_u32_e32 v40, v243, v245
	ds_write_b16 v118, v192
	ds_write_b16 v119, v183
	;; [unrolled: 1-line block ×6, first 2 shown]
	; wave barrier
	v_min_u32_e32 v244, v113, v244
	v_min_u32_e32 v40, v246, v40
	v_sub_nc_u32_e32 v247, v244, v243
	v_sub_nc_u32_e64 v247, v246, v247 clamp
	v_cmpx_lt_u32_e64 v247, v40
	s_cbranch_execz .LBB1044_279
; %bb.276:
	v_lshlrev_b32_e32 v41, 1, v245
	v_lshlrev_b32_e32 v42, 1, v243
	s_mov_b32 s5, 0
	v_add_co_u32 v41, null, v112, v41
	v_add_co_u32 v42, null, v112, v42
	s_inst_prefetch 0x1
	.p2align	6
.LBB1044_277:                           ; =>This Inner Loop Header: Depth=1
	v_add_nc_u32_e32 v43, v40, v247
	v_lshrrev_b32_e32 v47, 1, v43
	v_and_b32_e32 v43, -2, v43
	v_xad_u32 v44, v47, -1, v246
	v_add_nc_u32_e32 v43, v41, v43
	v_lshl_add_u32 v44, v44, 1, v42
	ds_read_u16 v43, v43
	ds_read_u16 v44, v44
	s_waitcnt lgkmcnt(1)
	v_bfe_i32 v43, v43, 0, 16
	s_waitcnt lgkmcnt(0)
	v_bfe_i32 v45, v44, 0, 16
	v_ashrrev_i32_e32 v44, 31, v43
	v_ashrrev_i32_e32 v46, 31, v45
	v_lshlrev_b64 v[43:44], 1, v[43:44]
	v_lshlrev_b64 v[45:46], 1, v[45:46]
	v_add_co_u32 v43, vcc_lo, v6, v43
	v_add_co_ci_u32_e64 v44, null, v7, v44, vcc_lo
	v_add_co_u32 v45, vcc_lo, v6, v45
	v_add_co_ci_u32_e64 v46, null, v7, v46, vcc_lo
	s_clause 0x1
	flat_load_ushort v45, v[45:46]
	flat_load_ushort v43, v[43:44]
	v_add_nc_u32_e32 v44, 1, v47
	s_waitcnt vmcnt(0) lgkmcnt(0)
	v_cmp_lt_i16_e32 vcc_lo, v45, v43
	v_cndmask_b32_e32 v40, v40, v47, vcc_lo
	v_cndmask_b32_e32 v247, v44, v247, vcc_lo
	v_cmp_ge_u32_e32 vcc_lo, v247, v40
	s_or_b32 s5, vcc_lo, s5
	s_andn2_b32 exec_lo, exec_lo, s5
	s_cbranch_execnz .LBB1044_277
; %bb.278:
	s_inst_prefetch 0x2
	s_or_b32 exec_lo, exec_lo, s5
.LBB1044_279:
	s_or_b32 exec_lo, exec_lo, s4
	v_add_nc_u32_e32 v246, v243, v246
	v_add_nc_u32_e32 v245, v247, v245
	v_sub_nc_u32_e32 v246, v246, v247
	v_cmp_le_u32_e32 vcc_lo, v245, v243
	v_cmp_le_u32_e64 s4, v246, v244
	s_or_b32 s4, vcc_lo, s4
	s_and_saveexec_b32 s5, s4
	s_cbranch_execz .LBB1044_411
; %bb.280:
	s_mov_b32 s6, exec_lo
	v_cmp_ge_u32_e32 vcc_lo, v245, v243
                                        ; implicit-def: $vgpr180
	v_cmpx_lt_u32_e64 v245, v243
; %bb.281:
	v_lshl_add_u32 v179, v245, 1, v112
	ds_read_u16 v180, v179
; %bb.282:
	s_or_b32 exec_lo, exec_lo, s6
	v_cmp_ge_u32_e64 s6, v246, v244
	s_mov_b32 s7, exec_lo
                                        ; implicit-def: $vgpr193
	v_cmpx_lt_u32_e64 v246, v244
; %bb.283:
	v_lshl_add_u32 v179, v246, 1, v112
	ds_read_u16 v193, v179
; %bb.284:
	s_or_b32 exec_lo, exec_lo, s7
	s_nor_b32 s7, vcc_lo, s6
	s_and_saveexec_b32 s4, s7
	s_cbranch_execz .LBB1044_286
; %bb.285:
	s_waitcnt lgkmcnt(0)
	v_bfe_i32 v181, v193, 0, 16
	v_bfe_i32 v194, v180, 0, 16
	s_andn2_b32 s6, s6, exec_lo
	v_ashrrev_i32_e32 v182, 31, v181
	v_ashrrev_i32_e32 v195, 31, v194
	v_lshlrev_b64 v[181:182], 1, v[181:182]
	v_lshlrev_b64 v[194:195], 1, v[194:195]
	v_add_co_u32 v181, vcc_lo, v6, v181
	v_add_co_ci_u32_e64 v182, null, v7, v182, vcc_lo
	v_add_co_u32 v194, vcc_lo, v6, v194
	v_add_co_ci_u32_e64 v195, null, v7, v195, vcc_lo
	s_clause 0x1
	flat_load_ushort v179, v[181:182]
	flat_load_ushort v181, v[194:195]
	s_waitcnt vmcnt(0) lgkmcnt(0)
	v_cmp_ge_i16_e32 vcc_lo, v179, v181
	s_and_b32 s7, vcc_lo, exec_lo
	s_or_b32 s6, s6, s7
.LBB1044_286:
	s_or_b32 exec_lo, exec_lo, s4
	v_cndmask_b32_e64 v179, v246, v245, s6
	v_cndmask_b32_e64 v181, v244, v243, s6
	s_mov_b32 s7, -1
	s_mov_b32 s4, -1
	s_mov_b32 s10, exec_lo
	v_add_nc_u32_e32 v182, 1, v179
	v_add_nc_u32_e32 v179, -1, v181
	v_cndmask_b32_e64 v181, v245, v182, s6
	v_min_u32_e32 v179, v182, v179
	v_lshl_add_u32 v179, v179, 1, v112
	ds_read_u16 v183, v179
	v_cndmask_b32_e64 v179, v182, v246, s6
	s_waitcnt lgkmcnt(0)
	v_cndmask_b32_e64 v194, v183, v193, s6
	v_cndmask_b32_e64 v245, v180, v183, s6
	v_cmpx_lt_u32_e64 v179, v244
	s_cbranch_execz .LBB1044_290
; %bb.287:
	s_mov_b32 s11, 0
	s_mov_b32 s4, exec_lo
	v_cmpx_lt_u32_e64 v181, v243
	s_cbranch_execz .LBB1044_289
; %bb.288:
	v_bfe_i32 v182, v194, 0, 16
	v_bfe_i32 v195, v245, 0, 16
	v_ashrrev_i32_e32 v183, 31, v182
	v_ashrrev_i32_e32 v196, 31, v195
	v_lshlrev_b64 v[182:183], 1, v[182:183]
	v_lshlrev_b64 v[195:196], 1, v[195:196]
	v_add_co_u32 v182, vcc_lo, v6, v182
	v_add_co_ci_u32_e64 v183, null, v7, v183, vcc_lo
	v_add_co_u32 v195, vcc_lo, v6, v195
	v_add_co_ci_u32_e64 v196, null, v7, v196, vcc_lo
	s_clause 0x1
	flat_load_ushort v182, v[182:183]
	flat_load_ushort v183, v[195:196]
	s_waitcnt vmcnt(0) lgkmcnt(0)
	v_cmp_ge_i16_e32 vcc_lo, v182, v183
	s_and_b32 s11, vcc_lo, exec_lo
.LBB1044_289:
	s_or_b32 exec_lo, exec_lo, s4
	s_orn2_b32 s4, s11, exec_lo
.LBB1044_290:
	s_or_b32 exec_lo, exec_lo, s10
	v_cndmask_b32_e64 v182, v179, v181, s4
	v_cndmask_b32_e64 v183, v244, v243, s4
	s_mov_b32 s10, exec_lo
	v_add_nc_u32_e32 v182, 1, v182
	v_add_nc_u32_e32 v183, -1, v183
	v_cndmask_b32_e64 v179, v182, v179, s4
	v_min_u32_e32 v183, v182, v183
	v_cndmask_b32_e64 v181, v181, v182, s4
	v_lshl_add_u32 v183, v183, 1, v112
	ds_read_u16 v183, v183
	s_waitcnt lgkmcnt(0)
	v_cndmask_b32_e64 v240, v183, v194, s4
	v_cndmask_b32_e64 v246, v245, v183, s4
	v_cmpx_lt_u32_e64 v179, v244
	s_cbranch_execz .LBB1044_294
; %bb.291:
	s_mov_b32 s11, 0
	s_mov_b32 s7, exec_lo
	v_cmpx_lt_u32_e64 v181, v243
	s_cbranch_execz .LBB1044_293
; %bb.292:
	v_bfe_i32 v182, v240, 0, 16
	v_bfe_i32 v195, v246, 0, 16
	v_ashrrev_i32_e32 v183, 31, v182
	v_ashrrev_i32_e32 v196, 31, v195
	v_lshlrev_b64 v[182:183], 1, v[182:183]
	v_lshlrev_b64 v[195:196], 1, v[195:196]
	v_add_co_u32 v182, vcc_lo, v6, v182
	v_add_co_ci_u32_e64 v183, null, v7, v183, vcc_lo
	v_add_co_u32 v195, vcc_lo, v6, v195
	v_add_co_ci_u32_e64 v196, null, v7, v196, vcc_lo
	s_clause 0x1
	flat_load_ushort v182, v[182:183]
	flat_load_ushort v183, v[195:196]
	s_waitcnt vmcnt(0) lgkmcnt(0)
	v_cmp_ge_i16_e32 vcc_lo, v182, v183
	s_and_b32 s11, vcc_lo, exec_lo
.LBB1044_293:
	s_or_b32 exec_lo, exec_lo, s7
	s_orn2_b32 s7, s11, exec_lo
.LBB1044_294:
	s_or_b32 exec_lo, exec_lo, s10
	v_cndmask_b32_e64 v182, v179, v181, s7
	v_cndmask_b32_e64 v183, v244, v243, s7
	s_mov_b32 s11, -1
	s_mov_b32 s10, -1
	s_mov_b32 s14, exec_lo
	v_add_nc_u32_e32 v182, 1, v182
	v_add_nc_u32_e32 v183, -1, v183
	v_cndmask_b32_e64 v179, v182, v179, s7
	v_min_u32_e32 v183, v182, v183
	v_cndmask_b32_e64 v181, v181, v182, s7
	v_lshl_add_u32 v183, v183, 1, v112
	ds_read_u16 v183, v183
	s_waitcnt lgkmcnt(0)
	v_cndmask_b32_e64 v242, v183, v240, s7
	v_cndmask_b32_e64 v247, v246, v183, s7
	v_cmpx_lt_u32_e64 v179, v244
	s_cbranch_execz .LBB1044_298
; %bb.295:
	s_mov_b32 s15, 0
	s_mov_b32 s10, exec_lo
	v_cmpx_lt_u32_e64 v181, v243
	s_cbranch_execz .LBB1044_297
; %bb.296:
	v_bfe_i32 v182, v242, 0, 16
	v_bfe_i32 v195, v247, 0, 16
	v_ashrrev_i32_e32 v183, 31, v182
	v_ashrrev_i32_e32 v196, 31, v195
	v_lshlrev_b64 v[182:183], 1, v[182:183]
	v_lshlrev_b64 v[195:196], 1, v[195:196]
	v_add_co_u32 v182, vcc_lo, v6, v182
	v_add_co_ci_u32_e64 v183, null, v7, v183, vcc_lo
	v_add_co_u32 v195, vcc_lo, v6, v195
	v_add_co_ci_u32_e64 v196, null, v7, v196, vcc_lo
	s_clause 0x1
	flat_load_ushort v182, v[182:183]
	flat_load_ushort v183, v[195:196]
	s_waitcnt vmcnt(0) lgkmcnt(0)
	v_cmp_ge_i16_e32 vcc_lo, v182, v183
	s_and_b32 s15, vcc_lo, exec_lo
.LBB1044_297:
	s_or_b32 exec_lo, exec_lo, s10
	s_orn2_b32 s10, s15, exec_lo
.LBB1044_298:
	s_or_b32 exec_lo, exec_lo, s14
	v_cndmask_b32_e64 v182, v179, v181, s10
	v_cndmask_b32_e64 v183, v244, v243, s10
	s_mov_b32 s14, exec_lo
	v_add_nc_u32_e32 v182, 1, v182
	v_add_nc_u32_e32 v183, -1, v183
	v_cndmask_b32_e64 v179, v182, v179, s10
	v_min_u32_e32 v183, v182, v183
	v_cndmask_b32_e64 v181, v181, v182, s10
	v_lshl_add_u32 v183, v183, 1, v112
	ds_read_u16 v183, v183
	s_waitcnt lgkmcnt(0)
	v_cndmask_b32_e64 v230, v183, v242, s10
	v_cndmask_b32_e64 v40, v247, v183, s10
	v_cmpx_lt_u32_e64 v179, v244
	s_cbranch_execz .LBB1044_302
; %bb.299:
	s_mov_b32 s15, 0
	s_mov_b32 s11, exec_lo
	v_cmpx_lt_u32_e64 v181, v243
	s_cbranch_execz .LBB1044_301
; %bb.300:
	v_bfe_i32 v182, v230, 0, 16
	v_bfe_i32 v195, v40, 0, 16
	v_ashrrev_i32_e32 v183, 31, v182
	v_ashrrev_i32_e32 v196, 31, v195
	v_lshlrev_b64 v[182:183], 1, v[182:183]
	v_lshlrev_b64 v[195:196], 1, v[195:196]
	v_add_co_u32 v182, vcc_lo, v6, v182
	v_add_co_ci_u32_e64 v183, null, v7, v183, vcc_lo
	v_add_co_u32 v195, vcc_lo, v6, v195
	v_add_co_ci_u32_e64 v196, null, v7, v196, vcc_lo
	s_clause 0x1
	flat_load_ushort v182, v[182:183]
	flat_load_ushort v183, v[195:196]
	s_waitcnt vmcnt(0) lgkmcnt(0)
	v_cmp_ge_i16_e32 vcc_lo, v182, v183
	s_and_b32 s15, vcc_lo, exec_lo
.LBB1044_301:
	s_or_b32 exec_lo, exec_lo, s11
	s_orn2_b32 s11, s15, exec_lo
.LBB1044_302:
	s_or_b32 exec_lo, exec_lo, s14
	v_cndmask_b32_e64 v182, v179, v181, s11
	v_cndmask_b32_e64 v183, v244, v243, s11
	s_mov_b32 s15, -1
	s_mov_b32 s14, -1
	s_mov_b32 s16, exec_lo
	v_add_nc_u32_e32 v182, 1, v182
	v_add_nc_u32_e32 v183, -1, v183
	v_cndmask_b32_e64 v179, v182, v179, s11
	v_min_u32_e32 v183, v182, v183
	v_cndmask_b32_e64 v181, v181, v182, s11
	v_lshl_add_u32 v183, v183, 1, v112
	ds_read_u16 v183, v183
	s_waitcnt lgkmcnt(0)
	v_cndmask_b32_e64 v241, v183, v230, s11
	v_cndmask_b32_e64 v41, v40, v183, s11
	v_cmpx_lt_u32_e64 v179, v244
	s_cbranch_execz .LBB1044_306
; %bb.303:
	s_mov_b32 s17, 0
	s_mov_b32 s14, exec_lo
	v_cmpx_lt_u32_e64 v181, v243
	s_cbranch_execz .LBB1044_305
; %bb.304:
	v_bfe_i32 v182, v241, 0, 16
	v_bfe_i32 v195, v41, 0, 16
	v_ashrrev_i32_e32 v183, 31, v182
	v_ashrrev_i32_e32 v196, 31, v195
	v_lshlrev_b64 v[182:183], 1, v[182:183]
	v_lshlrev_b64 v[195:196], 1, v[195:196]
	v_add_co_u32 v182, vcc_lo, v6, v182
	v_add_co_ci_u32_e64 v183, null, v7, v183, vcc_lo
	v_add_co_u32 v195, vcc_lo, v6, v195
	v_add_co_ci_u32_e64 v196, null, v7, v196, vcc_lo
	s_clause 0x1
	flat_load_ushort v182, v[182:183]
	flat_load_ushort v183, v[195:196]
	s_waitcnt vmcnt(0) lgkmcnt(0)
	v_cmp_ge_i16_e32 vcc_lo, v182, v183
	s_and_b32 s17, vcc_lo, exec_lo
.LBB1044_305:
	s_or_b32 exec_lo, exec_lo, s14
	s_orn2_b32 s14, s17, exec_lo
.LBB1044_306:
	s_or_b32 exec_lo, exec_lo, s16
	v_cndmask_b32_e64 v182, v179, v181, s14
	v_cndmask_b32_e64 v183, v244, v243, s14
	s_mov_b32 s16, exec_lo
	v_add_nc_u32_e32 v182, 1, v182
	v_add_nc_u32_e32 v183, -1, v183
	v_cndmask_b32_e64 v179, v182, v179, s14
	v_min_u32_e32 v183, v182, v183
	v_cndmask_b32_e64 v181, v181, v182, s14
	v_lshl_add_u32 v183, v183, 1, v112
	ds_read_u16 v183, v183
	s_waitcnt lgkmcnt(0)
	v_cndmask_b32_e64 v228, v183, v241, s14
	v_cndmask_b32_e64 v42, v41, v183, s14
	v_cmpx_lt_u32_e64 v179, v244
	s_cbranch_execz .LBB1044_310
; %bb.307:
	s_mov_b32 s17, 0
	s_mov_b32 s15, exec_lo
	v_cmpx_lt_u32_e64 v181, v243
	s_cbranch_execz .LBB1044_309
; %bb.308:
	v_bfe_i32 v182, v228, 0, 16
	v_bfe_i32 v195, v42, 0, 16
	v_ashrrev_i32_e32 v183, 31, v182
	v_ashrrev_i32_e32 v196, 31, v195
	v_lshlrev_b64 v[182:183], 1, v[182:183]
	v_lshlrev_b64 v[195:196], 1, v[195:196]
	v_add_co_u32 v182, vcc_lo, v6, v182
	v_add_co_ci_u32_e64 v183, null, v7, v183, vcc_lo
	v_add_co_u32 v195, vcc_lo, v6, v195
	v_add_co_ci_u32_e64 v196, null, v7, v196, vcc_lo
	s_clause 0x1
	flat_load_ushort v182, v[182:183]
	flat_load_ushort v183, v[195:196]
	s_waitcnt vmcnt(0) lgkmcnt(0)
	v_cmp_ge_i16_e32 vcc_lo, v182, v183
	s_and_b32 s17, vcc_lo, exec_lo
.LBB1044_309:
	s_or_b32 exec_lo, exec_lo, s15
	s_orn2_b32 s15, s17, exec_lo
.LBB1044_310:
	s_or_b32 exec_lo, exec_lo, s16
	v_cndmask_b32_e64 v182, v179, v181, s15
	v_cndmask_b32_e64 v183, v244, v243, s15
	s_mov_b32 s17, -1
	s_mov_b32 s16, -1
	s_mov_b32 s18, exec_lo
	v_add_nc_u32_e32 v182, 1, v182
	v_add_nc_u32_e32 v183, -1, v183
	v_cndmask_b32_e64 v179, v182, v179, s15
	v_min_u32_e32 v183, v182, v183
	v_cndmask_b32_e64 v181, v181, v182, s15
	v_lshl_add_u32 v183, v183, 1, v112
	ds_read_u16 v183, v183
	s_waitcnt lgkmcnt(0)
	v_cndmask_b32_e64 v231, v183, v228, s15
	v_cndmask_b32_e64 v43, v42, v183, s15
	v_cmpx_lt_u32_e64 v179, v244
	s_cbranch_execz .LBB1044_314
; %bb.311:
	s_mov_b32 s19, 0
	s_mov_b32 s16, exec_lo
	v_cmpx_lt_u32_e64 v181, v243
	s_cbranch_execz .LBB1044_313
; %bb.312:
	v_bfe_i32 v182, v231, 0, 16
	v_bfe_i32 v195, v43, 0, 16
	v_ashrrev_i32_e32 v183, 31, v182
	v_ashrrev_i32_e32 v196, 31, v195
	v_lshlrev_b64 v[182:183], 1, v[182:183]
	v_lshlrev_b64 v[195:196], 1, v[195:196]
	v_add_co_u32 v182, vcc_lo, v6, v182
	v_add_co_ci_u32_e64 v183, null, v7, v183, vcc_lo
	v_add_co_u32 v195, vcc_lo, v6, v195
	v_add_co_ci_u32_e64 v196, null, v7, v196, vcc_lo
	s_clause 0x1
	flat_load_ushort v182, v[182:183]
	flat_load_ushort v183, v[195:196]
	s_waitcnt vmcnt(0) lgkmcnt(0)
	v_cmp_ge_i16_e32 vcc_lo, v182, v183
	s_and_b32 s19, vcc_lo, exec_lo
.LBB1044_313:
	s_or_b32 exec_lo, exec_lo, s16
	s_orn2_b32 s16, s19, exec_lo
.LBB1044_314:
	s_or_b32 exec_lo, exec_lo, s18
	v_cndmask_b32_e64 v182, v179, v181, s16
	v_cndmask_b32_e64 v183, v244, v243, s16
	s_mov_b32 s18, exec_lo
	v_add_nc_u32_e32 v182, 1, v182
	v_add_nc_u32_e32 v183, -1, v183
	v_cndmask_b32_e64 v179, v182, v179, s16
	v_min_u32_e32 v183, v182, v183
	v_cndmask_b32_e64 v181, v181, v182, s16
	v_lshl_add_u32 v183, v183, 1, v112
	ds_read_u16 v183, v183
	s_waitcnt lgkmcnt(0)
	v_cndmask_b32_e64 v226, v183, v231, s16
	v_cndmask_b32_e64 v44, v43, v183, s16
	v_cmpx_lt_u32_e64 v179, v244
	s_cbranch_execz .LBB1044_318
; %bb.315:
	s_mov_b32 s19, 0
	s_mov_b32 s17, exec_lo
	v_cmpx_lt_u32_e64 v181, v243
	s_cbranch_execz .LBB1044_317
; %bb.316:
	v_bfe_i32 v182, v226, 0, 16
	v_bfe_i32 v195, v44, 0, 16
	v_ashrrev_i32_e32 v183, 31, v182
	v_ashrrev_i32_e32 v196, 31, v195
	v_lshlrev_b64 v[182:183], 1, v[182:183]
	v_lshlrev_b64 v[195:196], 1, v[195:196]
	v_add_co_u32 v182, vcc_lo, v6, v182
	v_add_co_ci_u32_e64 v183, null, v7, v183, vcc_lo
	v_add_co_u32 v195, vcc_lo, v6, v195
	v_add_co_ci_u32_e64 v196, null, v7, v196, vcc_lo
	s_clause 0x1
	flat_load_ushort v182, v[182:183]
	flat_load_ushort v183, v[195:196]
	s_waitcnt vmcnt(0) lgkmcnt(0)
	v_cmp_ge_i16_e32 vcc_lo, v182, v183
	s_and_b32 s19, vcc_lo, exec_lo
.LBB1044_317:
	s_or_b32 exec_lo, exec_lo, s17
	s_orn2_b32 s17, s19, exec_lo
.LBB1044_318:
	s_or_b32 exec_lo, exec_lo, s18
	v_cndmask_b32_e64 v182, v179, v181, s17
	v_cndmask_b32_e64 v183, v244, v243, s17
	s_mov_b32 s19, -1
	s_mov_b32 s18, -1
	s_mov_b32 s20, exec_lo
	v_add_nc_u32_e32 v182, 1, v182
	v_add_nc_u32_e32 v183, -1, v183
	v_cndmask_b32_e64 v179, v182, v179, s17
	v_min_u32_e32 v183, v182, v183
	v_cndmask_b32_e64 v181, v181, v182, s17
	v_lshl_add_u32 v183, v183, 1, v112
	ds_read_u16 v183, v183
	s_waitcnt lgkmcnt(0)
	v_cndmask_b32_e64 v229, v183, v226, s17
	v_cndmask_b32_e64 v45, v44, v183, s17
	v_cmpx_lt_u32_e64 v179, v244
	s_cbranch_execz .LBB1044_322
; %bb.319:
	s_mov_b32 s22, 0
	s_mov_b32 s18, exec_lo
	v_cmpx_lt_u32_e64 v181, v243
	s_cbranch_execz .LBB1044_321
; %bb.320:
	v_bfe_i32 v182, v229, 0, 16
	v_bfe_i32 v195, v45, 0, 16
	v_ashrrev_i32_e32 v183, 31, v182
	v_ashrrev_i32_e32 v196, 31, v195
	v_lshlrev_b64 v[182:183], 1, v[182:183]
	v_lshlrev_b64 v[195:196], 1, v[195:196]
	v_add_co_u32 v182, vcc_lo, v6, v182
	v_add_co_ci_u32_e64 v183, null, v7, v183, vcc_lo
	v_add_co_u32 v195, vcc_lo, v6, v195
	v_add_co_ci_u32_e64 v196, null, v7, v196, vcc_lo
	s_clause 0x1
	flat_load_ushort v182, v[182:183]
	flat_load_ushort v183, v[195:196]
	s_waitcnt vmcnt(0) lgkmcnt(0)
	v_cmp_ge_i16_e32 vcc_lo, v182, v183
	s_and_b32 s22, vcc_lo, exec_lo
.LBB1044_321:
	s_or_b32 exec_lo, exec_lo, s18
	s_orn2_b32 s18, s22, exec_lo
.LBB1044_322:
	s_or_b32 exec_lo, exec_lo, s20
	v_cndmask_b32_e64 v182, v179, v181, s18
	v_cndmask_b32_e64 v183, v244, v243, s18
	s_mov_b32 s20, exec_lo
	v_add_nc_u32_e32 v182, 1, v182
	v_add_nc_u32_e32 v183, -1, v183
	v_cndmask_b32_e64 v179, v182, v179, s18
	v_min_u32_e32 v183, v182, v183
	v_cndmask_b32_e64 v181, v181, v182, s18
	v_lshl_add_u32 v183, v183, 1, v112
	ds_read_u16 v183, v183
	s_waitcnt lgkmcnt(0)
	v_cndmask_b32_e64 v225, v183, v229, s18
	v_cndmask_b32_e64 v46, v45, v183, s18
	v_cmpx_lt_u32_e64 v179, v244
	s_cbranch_execz .LBB1044_326
; %bb.323:
	s_mov_b32 s22, 0
	s_mov_b32 s19, exec_lo
	v_cmpx_lt_u32_e64 v181, v243
	s_cbranch_execz .LBB1044_325
; %bb.324:
	v_bfe_i32 v182, v225, 0, 16
	v_bfe_i32 v195, v46, 0, 16
	v_ashrrev_i32_e32 v183, 31, v182
	v_ashrrev_i32_e32 v196, 31, v195
	v_lshlrev_b64 v[182:183], 1, v[182:183]
	v_lshlrev_b64 v[195:196], 1, v[195:196]
	v_add_co_u32 v182, vcc_lo, v6, v182
	v_add_co_ci_u32_e64 v183, null, v7, v183, vcc_lo
	v_add_co_u32 v195, vcc_lo, v6, v195
	v_add_co_ci_u32_e64 v196, null, v7, v196, vcc_lo
	s_clause 0x1
	flat_load_ushort v182, v[182:183]
	flat_load_ushort v183, v[195:196]
	s_waitcnt vmcnt(0) lgkmcnt(0)
	v_cmp_ge_i16_e32 vcc_lo, v182, v183
	s_and_b32 s22, vcc_lo, exec_lo
.LBB1044_325:
	s_or_b32 exec_lo, exec_lo, s19
	s_orn2_b32 s19, s22, exec_lo
.LBB1044_326:
	s_or_b32 exec_lo, exec_lo, s20
	v_cndmask_b32_e64 v182, v179, v181, s19
	v_cndmask_b32_e64 v183, v244, v243, s19
	s_mov_b32 s22, -1
	s_mov_b32 s20, -1
	s_mov_b32 s23, exec_lo
	v_add_nc_u32_e32 v182, 1, v182
	v_add_nc_u32_e32 v183, -1, v183
	v_cndmask_b32_e64 v179, v182, v179, s19
	v_min_u32_e32 v183, v182, v183
	v_cndmask_b32_e64 v181, v181, v182, s19
	v_lshl_add_u32 v183, v183, 1, v112
	ds_read_u16 v183, v183
	s_waitcnt lgkmcnt(0)
	v_cndmask_b32_e64 v227, v183, v225, s19
	v_cndmask_b32_e64 v47, v46, v183, s19
	v_cmpx_lt_u32_e64 v179, v244
	s_cbranch_execz .LBB1044_330
; %bb.327:
	s_mov_b32 s24, 0
	s_mov_b32 s20, exec_lo
	v_cmpx_lt_u32_e64 v181, v243
	s_cbranch_execz .LBB1044_329
; %bb.328:
	v_bfe_i32 v182, v227, 0, 16
	v_bfe_i32 v195, v47, 0, 16
	v_ashrrev_i32_e32 v183, 31, v182
	v_ashrrev_i32_e32 v196, 31, v195
	v_lshlrev_b64 v[182:183], 1, v[182:183]
	v_lshlrev_b64 v[195:196], 1, v[195:196]
	v_add_co_u32 v182, vcc_lo, v6, v182
	v_add_co_ci_u32_e64 v183, null, v7, v183, vcc_lo
	v_add_co_u32 v195, vcc_lo, v6, v195
	v_add_co_ci_u32_e64 v196, null, v7, v196, vcc_lo
	s_clause 0x1
	flat_load_ushort v182, v[182:183]
	flat_load_ushort v183, v[195:196]
	s_waitcnt vmcnt(0) lgkmcnt(0)
	v_cmp_ge_i16_e32 vcc_lo, v182, v183
	s_and_b32 s24, vcc_lo, exec_lo
.LBB1044_329:
	s_or_b32 exec_lo, exec_lo, s20
	s_orn2_b32 s20, s24, exec_lo
.LBB1044_330:
	s_or_b32 exec_lo, exec_lo, s23
	v_cndmask_b32_e64 v182, v179, v181, s20
	v_cndmask_b32_e64 v183, v244, v243, s20
	s_mov_b32 s23, exec_lo
	v_add_nc_u32_e32 v182, 1, v182
	v_add_nc_u32_e32 v183, -1, v183
	v_cndmask_b32_e64 v179, v182, v179, s20
	v_min_u32_e32 v183, v182, v183
	v_cndmask_b32_e64 v181, v181, v182, s20
	v_lshl_add_u32 v183, v183, 1, v112
	ds_read_u16 v183, v183
	s_waitcnt lgkmcnt(0)
	v_cndmask_b32_e64 v215, v183, v227, s20
	v_cndmask_b32_e64 v56, v47, v183, s20
	v_cmpx_lt_u32_e64 v179, v244
	s_cbranch_execz .LBB1044_334
; %bb.331:
	s_mov_b32 s24, 0
	s_mov_b32 s22, exec_lo
	v_cmpx_lt_u32_e64 v181, v243
	s_cbranch_execz .LBB1044_333
; %bb.332:
	v_bfe_i32 v182, v215, 0, 16
	v_bfe_i32 v195, v56, 0, 16
	v_ashrrev_i32_e32 v183, 31, v182
	v_ashrrev_i32_e32 v196, 31, v195
	v_lshlrev_b64 v[182:183], 1, v[182:183]
	v_lshlrev_b64 v[195:196], 1, v[195:196]
	v_add_co_u32 v182, vcc_lo, v6, v182
	v_add_co_ci_u32_e64 v183, null, v7, v183, vcc_lo
	v_add_co_u32 v195, vcc_lo, v6, v195
	v_add_co_ci_u32_e64 v196, null, v7, v196, vcc_lo
	s_clause 0x1
	flat_load_ushort v182, v[182:183]
	flat_load_ushort v183, v[195:196]
	s_waitcnt vmcnt(0) lgkmcnt(0)
	v_cmp_ge_i16_e32 vcc_lo, v182, v183
	s_and_b32 s24, vcc_lo, exec_lo
.LBB1044_333:
	s_or_b32 exec_lo, exec_lo, s22
	s_orn2_b32 s22, s24, exec_lo
.LBB1044_334:
	s_or_b32 exec_lo, exec_lo, s23
	v_cndmask_b32_e64 v182, v179, v181, s22
	v_cndmask_b32_e64 v183, v244, v243, s22
	s_mov_b32 s24, -1
	s_mov_b32 s23, -1
	s_mov_b32 s25, exec_lo
	v_add_nc_u32_e32 v182, 1, v182
	v_add_nc_u32_e32 v183, -1, v183
	v_cndmask_b32_e64 v179, v182, v179, s22
	v_min_u32_e32 v183, v182, v183
	v_cndmask_b32_e64 v181, v181, v182, s22
	v_lshl_add_u32 v183, v183, 1, v112
	ds_read_u16 v183, v183
	s_waitcnt lgkmcnt(0)
	v_cndmask_b32_e64 v224, v183, v215, s22
	v_cndmask_b32_e64 v57, v56, v183, s22
	v_cmpx_lt_u32_e64 v179, v244
	s_cbranch_execz .LBB1044_338
; %bb.335:
	s_mov_b32 s26, 0
	s_mov_b32 s23, exec_lo
	v_cmpx_lt_u32_e64 v181, v243
	s_cbranch_execz .LBB1044_337
; %bb.336:
	v_bfe_i32 v182, v224, 0, 16
	v_bfe_i32 v195, v57, 0, 16
	v_ashrrev_i32_e32 v183, 31, v182
	v_ashrrev_i32_e32 v196, 31, v195
	v_lshlrev_b64 v[182:183], 1, v[182:183]
	v_lshlrev_b64 v[195:196], 1, v[195:196]
	v_add_co_u32 v182, vcc_lo, v6, v182
	v_add_co_ci_u32_e64 v183, null, v7, v183, vcc_lo
	v_add_co_u32 v195, vcc_lo, v6, v195
	v_add_co_ci_u32_e64 v196, null, v7, v196, vcc_lo
	s_clause 0x1
	flat_load_ushort v182, v[182:183]
	flat_load_ushort v183, v[195:196]
	s_waitcnt vmcnt(0) lgkmcnt(0)
	v_cmp_ge_i16_e32 vcc_lo, v182, v183
	s_and_b32 s26, vcc_lo, exec_lo
.LBB1044_337:
	s_or_b32 exec_lo, exec_lo, s23
	s_orn2_b32 s23, s26, exec_lo
.LBB1044_338:
	s_or_b32 exec_lo, exec_lo, s25
	v_cndmask_b32_e64 v182, v179, v181, s23
	v_cndmask_b32_e64 v183, v244, v243, s23
	s_mov_b32 s25, exec_lo
	v_add_nc_u32_e32 v182, 1, v182
	v_add_nc_u32_e32 v183, -1, v183
	v_cndmask_b32_e64 v179, v182, v179, s23
	v_min_u32_e32 v183, v182, v183
	v_cndmask_b32_e64 v181, v181, v182, s23
	v_lshl_add_u32 v183, v183, 1, v112
	ds_read_u16 v183, v183
	s_waitcnt lgkmcnt(0)
	v_cndmask_b32_e64 v213, v183, v224, s23
	v_cndmask_b32_e64 v58, v57, v183, s23
	v_cmpx_lt_u32_e64 v179, v244
	s_cbranch_execz .LBB1044_342
; %bb.339:
	s_mov_b32 s26, 0
	s_mov_b32 s24, exec_lo
	v_cmpx_lt_u32_e64 v181, v243
	s_cbranch_execz .LBB1044_341
; %bb.340:
	v_bfe_i32 v182, v213, 0, 16
	v_bfe_i32 v195, v58, 0, 16
	v_ashrrev_i32_e32 v183, 31, v182
	v_ashrrev_i32_e32 v196, 31, v195
	v_lshlrev_b64 v[182:183], 1, v[182:183]
	v_lshlrev_b64 v[195:196], 1, v[195:196]
	v_add_co_u32 v182, vcc_lo, v6, v182
	v_add_co_ci_u32_e64 v183, null, v7, v183, vcc_lo
	v_add_co_u32 v195, vcc_lo, v6, v195
	v_add_co_ci_u32_e64 v196, null, v7, v196, vcc_lo
	s_clause 0x1
	flat_load_ushort v182, v[182:183]
	flat_load_ushort v183, v[195:196]
	s_waitcnt vmcnt(0) lgkmcnt(0)
	v_cmp_ge_i16_e32 vcc_lo, v182, v183
	s_and_b32 s26, vcc_lo, exec_lo
.LBB1044_341:
	s_or_b32 exec_lo, exec_lo, s24
	s_orn2_b32 s24, s26, exec_lo
.LBB1044_342:
	s_or_b32 exec_lo, exec_lo, s25
	v_cndmask_b32_e64 v182, v179, v181, s24
	v_cndmask_b32_e64 v183, v244, v243, s24
	s_mov_b32 s26, -1
	s_mov_b32 s25, -1
	s_mov_b32 s27, exec_lo
	v_add_nc_u32_e32 v182, 1, v182
	v_add_nc_u32_e32 v183, -1, v183
	v_cndmask_b32_e64 v179, v182, v179, s24
	v_min_u32_e32 v183, v182, v183
	v_cndmask_b32_e64 v181, v181, v182, s24
	v_lshl_add_u32 v183, v183, 1, v112
	ds_read_u16 v183, v183
	s_waitcnt lgkmcnt(0)
	v_cndmask_b32_e64 v214, v183, v213, s24
	v_cndmask_b32_e64 v59, v58, v183, s24
	v_cmpx_lt_u32_e64 v179, v244
	s_cbranch_execz .LBB1044_346
; %bb.343:
	s_mov_b32 s28, 0
	s_mov_b32 s25, exec_lo
	v_cmpx_lt_u32_e64 v181, v243
	s_cbranch_execz .LBB1044_345
; %bb.344:
	v_bfe_i32 v182, v214, 0, 16
	v_bfe_i32 v195, v59, 0, 16
	v_ashrrev_i32_e32 v183, 31, v182
	v_ashrrev_i32_e32 v196, 31, v195
	v_lshlrev_b64 v[182:183], 1, v[182:183]
	v_lshlrev_b64 v[195:196], 1, v[195:196]
	v_add_co_u32 v182, vcc_lo, v6, v182
	v_add_co_ci_u32_e64 v183, null, v7, v183, vcc_lo
	v_add_co_u32 v195, vcc_lo, v6, v195
	v_add_co_ci_u32_e64 v196, null, v7, v196, vcc_lo
	s_clause 0x1
	flat_load_ushort v182, v[182:183]
	flat_load_ushort v183, v[195:196]
	s_waitcnt vmcnt(0) lgkmcnt(0)
	v_cmp_ge_i16_e32 vcc_lo, v182, v183
	s_and_b32 s28, vcc_lo, exec_lo
.LBB1044_345:
	s_or_b32 exec_lo, exec_lo, s25
	s_orn2_b32 s25, s28, exec_lo
.LBB1044_346:
	s_or_b32 exec_lo, exec_lo, s27
	v_cndmask_b32_e64 v182, v179, v181, s25
	v_cndmask_b32_e64 v183, v244, v243, s25
	s_mov_b32 s27, exec_lo
	v_add_nc_u32_e32 v182, 1, v182
	v_add_nc_u32_e32 v183, -1, v183
	v_cndmask_b32_e64 v179, v182, v179, s25
	v_min_u32_e32 v183, v182, v183
	v_cndmask_b32_e64 v181, v181, v182, s25
	v_lshl_add_u32 v183, v183, 1, v112
	ds_read_u16 v183, v183
	s_waitcnt lgkmcnt(0)
	v_cndmask_b32_e64 v210, v183, v214, s25
	v_cndmask_b32_e64 v60, v59, v183, s25
	v_cmpx_lt_u32_e64 v179, v244
	s_cbranch_execz .LBB1044_350
; %bb.347:
	s_mov_b32 s28, 0
	s_mov_b32 s26, exec_lo
	v_cmpx_lt_u32_e64 v181, v243
	s_cbranch_execz .LBB1044_349
; %bb.348:
	v_bfe_i32 v182, v210, 0, 16
	v_bfe_i32 v195, v60, 0, 16
	v_ashrrev_i32_e32 v183, 31, v182
	v_ashrrev_i32_e32 v196, 31, v195
	v_lshlrev_b64 v[182:183], 1, v[182:183]
	v_lshlrev_b64 v[195:196], 1, v[195:196]
	v_add_co_u32 v182, vcc_lo, v6, v182
	v_add_co_ci_u32_e64 v183, null, v7, v183, vcc_lo
	v_add_co_u32 v195, vcc_lo, v6, v195
	v_add_co_ci_u32_e64 v196, null, v7, v196, vcc_lo
	s_clause 0x1
	flat_load_ushort v182, v[182:183]
	flat_load_ushort v183, v[195:196]
	s_waitcnt vmcnt(0) lgkmcnt(0)
	v_cmp_ge_i16_e32 vcc_lo, v182, v183
	s_and_b32 s28, vcc_lo, exec_lo
.LBB1044_349:
	s_or_b32 exec_lo, exec_lo, s26
	s_orn2_b32 s26, s28, exec_lo
.LBB1044_350:
	s_or_b32 exec_lo, exec_lo, s27
	v_cndmask_b32_e64 v182, v179, v181, s26
	v_cndmask_b32_e64 v183, v244, v243, s26
	s_mov_b32 s28, -1
	s_mov_b32 s27, -1
	s_mov_b32 s29, exec_lo
	v_add_nc_u32_e32 v182, 1, v182
	v_add_nc_u32_e32 v183, -1, v183
	v_cndmask_b32_e64 v179, v182, v179, s26
	v_min_u32_e32 v183, v182, v183
	v_cndmask_b32_e64 v181, v181, v182, s26
	v_lshl_add_u32 v183, v183, 1, v112
	ds_read_u16 v183, v183
	s_waitcnt lgkmcnt(0)
	v_cndmask_b32_e64 v211, v183, v210, s26
	v_cndmask_b32_e64 v61, v60, v183, s26
	v_cmpx_lt_u32_e64 v179, v244
	s_cbranch_execz .LBB1044_354
; %bb.351:
	s_mov_b32 s40, 0
	s_mov_b32 s27, exec_lo
	v_cmpx_lt_u32_e64 v181, v243
	s_cbranch_execz .LBB1044_353
; %bb.352:
	v_bfe_i32 v182, v211, 0, 16
	v_bfe_i32 v195, v61, 0, 16
	v_ashrrev_i32_e32 v183, 31, v182
	v_ashrrev_i32_e32 v196, 31, v195
	v_lshlrev_b64 v[182:183], 1, v[182:183]
	v_lshlrev_b64 v[195:196], 1, v[195:196]
	v_add_co_u32 v182, vcc_lo, v6, v182
	v_add_co_ci_u32_e64 v183, null, v7, v183, vcc_lo
	v_add_co_u32 v195, vcc_lo, v6, v195
	v_add_co_ci_u32_e64 v196, null, v7, v196, vcc_lo
	s_clause 0x1
	flat_load_ushort v182, v[182:183]
	flat_load_ushort v183, v[195:196]
	s_waitcnt vmcnt(0) lgkmcnt(0)
	v_cmp_ge_i16_e32 vcc_lo, v182, v183
	s_and_b32 s40, vcc_lo, exec_lo
.LBB1044_353:
	s_or_b32 exec_lo, exec_lo, s27
	s_orn2_b32 s27, s40, exec_lo
.LBB1044_354:
	s_or_b32 exec_lo, exec_lo, s29
	v_cndmask_b32_e64 v182, v179, v181, s27
	v_cndmask_b32_e64 v183, v244, v243, s27
	s_mov_b32 s29, exec_lo
	v_add_nc_u32_e32 v182, 1, v182
	v_add_nc_u32_e32 v183, -1, v183
	v_cndmask_b32_e64 v179, v182, v179, s27
	v_min_u32_e32 v183, v182, v183
	v_cndmask_b32_e64 v181, v181, v182, s27
	v_lshl_add_u32 v183, v183, 1, v112
	ds_read_u16 v183, v183
	s_waitcnt lgkmcnt(0)
	v_cndmask_b32_e64 v199, v183, v211, s27
	v_cndmask_b32_e64 v62, v61, v183, s27
	v_cmpx_lt_u32_e64 v179, v244
	s_cbranch_execz .LBB1044_358
; %bb.355:
	s_mov_b32 s40, 0
	s_mov_b32 s28, exec_lo
	v_cmpx_lt_u32_e64 v181, v243
	s_cbranch_execz .LBB1044_357
; %bb.356:
	v_bfe_i32 v182, v199, 0, 16
	v_bfe_i32 v195, v62, 0, 16
	v_ashrrev_i32_e32 v183, 31, v182
	v_ashrrev_i32_e32 v196, 31, v195
	v_lshlrev_b64 v[182:183], 1, v[182:183]
	v_lshlrev_b64 v[195:196], 1, v[195:196]
	v_add_co_u32 v182, vcc_lo, v6, v182
	v_add_co_ci_u32_e64 v183, null, v7, v183, vcc_lo
	v_add_co_u32 v195, vcc_lo, v6, v195
	v_add_co_ci_u32_e64 v196, null, v7, v196, vcc_lo
	s_clause 0x1
	flat_load_ushort v182, v[182:183]
	flat_load_ushort v183, v[195:196]
	s_waitcnt vmcnt(0) lgkmcnt(0)
	v_cmp_ge_i16_e32 vcc_lo, v182, v183
	s_and_b32 s40, vcc_lo, exec_lo
.LBB1044_357:
	s_or_b32 exec_lo, exec_lo, s28
	s_orn2_b32 s28, s40, exec_lo
.LBB1044_358:
	s_or_b32 exec_lo, exec_lo, s29
	v_cndmask_b32_e64 v182, v179, v181, s28
	v_cndmask_b32_e64 v183, v244, v243, s28
	s_mov_b32 s40, -1
	s_mov_b32 s29, -1
	s_mov_b32 s41, exec_lo
	v_add_nc_u32_e32 v182, 1, v182
	v_add_nc_u32_e32 v183, -1, v183
	v_cndmask_b32_e64 v179, v182, v179, s28
	v_min_u32_e32 v183, v182, v183
	v_cndmask_b32_e64 v181, v181, v182, s28
	v_lshl_add_u32 v183, v183, 1, v112
	ds_read_u16 v183, v183
	s_waitcnt lgkmcnt(0)
	v_cndmask_b32_e64 v212, v183, v199, s28
	v_cndmask_b32_e64 v63, v62, v183, s28
	v_cmpx_lt_u32_e64 v179, v244
	s_cbranch_execz .LBB1044_362
; %bb.359:
	s_mov_b32 s42, 0
	s_mov_b32 s29, exec_lo
	v_cmpx_lt_u32_e64 v181, v243
	s_cbranch_execz .LBB1044_361
; %bb.360:
	v_bfe_i32 v182, v212, 0, 16
	v_bfe_i32 v195, v63, 0, 16
	v_ashrrev_i32_e32 v183, 31, v182
	v_ashrrev_i32_e32 v196, 31, v195
	v_lshlrev_b64 v[182:183], 1, v[182:183]
	v_lshlrev_b64 v[195:196], 1, v[195:196]
	v_add_co_u32 v182, vcc_lo, v6, v182
	v_add_co_ci_u32_e64 v183, null, v7, v183, vcc_lo
	v_add_co_u32 v195, vcc_lo, v6, v195
	v_add_co_ci_u32_e64 v196, null, v7, v196, vcc_lo
	s_clause 0x1
	flat_load_ushort v182, v[182:183]
	flat_load_ushort v183, v[195:196]
	s_waitcnt vmcnt(0) lgkmcnt(0)
	v_cmp_ge_i16_e32 vcc_lo, v182, v183
	s_and_b32 s42, vcc_lo, exec_lo
.LBB1044_361:
	s_or_b32 exec_lo, exec_lo, s29
	s_orn2_b32 s29, s42, exec_lo
.LBB1044_362:
	s_or_b32 exec_lo, exec_lo, s41
	v_cndmask_b32_e64 v182, v179, v181, s29
	v_cndmask_b32_e64 v183, v244, v243, s29
	s_mov_b32 s41, exec_lo
	v_add_nc_u32_e32 v182, 1, v182
	v_add_nc_u32_e32 v183, -1, v183
	v_cndmask_b32_e64 v179, v182, v179, s29
	v_min_u32_e32 v183, v182, v183
	v_cndmask_b32_e64 v181, v181, v182, s29
	v_lshl_add_u32 v183, v183, 1, v112
	ds_read_u16 v183, v183
	s_waitcnt lgkmcnt(0)
	v_cndmask_b32_e64 v208, v183, v212, s29
	v_cndmask_b32_e64 v72, v63, v183, s29
	v_cmpx_lt_u32_e64 v179, v244
	s_cbranch_execz .LBB1044_366
; %bb.363:
	s_mov_b32 s42, 0
	s_mov_b32 s40, exec_lo
	v_cmpx_lt_u32_e64 v181, v243
	s_cbranch_execz .LBB1044_365
; %bb.364:
	v_bfe_i32 v182, v208, 0, 16
	v_bfe_i32 v195, v72, 0, 16
	v_ashrrev_i32_e32 v183, 31, v182
	v_ashrrev_i32_e32 v196, 31, v195
	v_lshlrev_b64 v[182:183], 1, v[182:183]
	v_lshlrev_b64 v[195:196], 1, v[195:196]
	v_add_co_u32 v182, vcc_lo, v6, v182
	v_add_co_ci_u32_e64 v183, null, v7, v183, vcc_lo
	v_add_co_u32 v195, vcc_lo, v6, v195
	v_add_co_ci_u32_e64 v196, null, v7, v196, vcc_lo
	s_clause 0x1
	flat_load_ushort v182, v[182:183]
	flat_load_ushort v183, v[195:196]
	s_waitcnt vmcnt(0) lgkmcnt(0)
	v_cmp_ge_i16_e32 vcc_lo, v182, v183
	s_and_b32 s42, vcc_lo, exec_lo
.LBB1044_365:
	s_or_b32 exec_lo, exec_lo, s40
	s_orn2_b32 s40, s42, exec_lo
.LBB1044_366:
	s_or_b32 exec_lo, exec_lo, s41
	v_cndmask_b32_e64 v182, v179, v181, s40
	v_cndmask_b32_e64 v183, v244, v243, s40
	s_mov_b32 s42, -1
	s_mov_b32 s41, -1
	s_mov_b32 s43, exec_lo
	v_add_nc_u32_e32 v182, 1, v182
	v_add_nc_u32_e32 v183, -1, v183
	v_cndmask_b32_e64 v179, v182, v179, s40
	v_min_u32_e32 v183, v182, v183
	v_cndmask_b32_e64 v181, v181, v182, s40
	v_lshl_add_u32 v183, v183, 1, v112
	ds_read_u16 v183, v183
	s_waitcnt lgkmcnt(0)
	v_cndmask_b32_e64 v209, v183, v208, s40
	v_cndmask_b32_e64 v73, v72, v183, s40
	v_cmpx_lt_u32_e64 v179, v244
	s_cbranch_execz .LBB1044_370
; %bb.367:
	s_mov_b32 s44, 0
	s_mov_b32 s41, exec_lo
	v_cmpx_lt_u32_e64 v181, v243
	s_cbranch_execz .LBB1044_369
; %bb.368:
	v_bfe_i32 v182, v209, 0, 16
	v_bfe_i32 v195, v73, 0, 16
	v_ashrrev_i32_e32 v183, 31, v182
	v_ashrrev_i32_e32 v196, 31, v195
	v_lshlrev_b64 v[182:183], 1, v[182:183]
	v_lshlrev_b64 v[195:196], 1, v[195:196]
	v_add_co_u32 v182, vcc_lo, v6, v182
	v_add_co_ci_u32_e64 v183, null, v7, v183, vcc_lo
	v_add_co_u32 v195, vcc_lo, v6, v195
	v_add_co_ci_u32_e64 v196, null, v7, v196, vcc_lo
	s_clause 0x1
	flat_load_ushort v182, v[182:183]
	flat_load_ushort v183, v[195:196]
	s_waitcnt vmcnt(0) lgkmcnt(0)
	v_cmp_ge_i16_e32 vcc_lo, v182, v183
	s_and_b32 s44, vcc_lo, exec_lo
.LBB1044_369:
	s_or_b32 exec_lo, exec_lo, s41
	s_orn2_b32 s41, s44, exec_lo
.LBB1044_370:
	s_or_b32 exec_lo, exec_lo, s43
	v_cndmask_b32_e64 v182, v179, v181, s41
	v_cndmask_b32_e64 v183, v244, v243, s41
	s_mov_b32 s43, exec_lo
	v_add_nc_u32_e32 v182, 1, v182
	v_add_nc_u32_e32 v183, -1, v183
	v_cndmask_b32_e64 v179, v182, v179, s41
	v_min_u32_e32 v183, v182, v183
	v_cndmask_b32_e64 v181, v181, v182, s41
	v_lshl_add_u32 v183, v183, 1, v112
	ds_read_u16 v183, v183
	s_waitcnt lgkmcnt(0)
	v_cndmask_b32_e64 v197, v183, v209, s41
	v_cndmask_b32_e64 v74, v73, v183, s41
	v_cmpx_lt_u32_e64 v179, v244
	s_cbranch_execz .LBB1044_374
; %bb.371:
	s_mov_b32 s44, 0
	s_mov_b32 s42, exec_lo
	v_cmpx_lt_u32_e64 v181, v243
	s_cbranch_execz .LBB1044_373
; %bb.372:
	v_bfe_i32 v182, v197, 0, 16
	v_bfe_i32 v195, v74, 0, 16
	v_ashrrev_i32_e32 v183, 31, v182
	v_ashrrev_i32_e32 v196, 31, v195
	v_lshlrev_b64 v[182:183], 1, v[182:183]
	v_lshlrev_b64 v[195:196], 1, v[195:196]
	v_add_co_u32 v182, vcc_lo, v6, v182
	v_add_co_ci_u32_e64 v183, null, v7, v183, vcc_lo
	v_add_co_u32 v195, vcc_lo, v6, v195
	v_add_co_ci_u32_e64 v196, null, v7, v196, vcc_lo
	s_clause 0x1
	flat_load_ushort v182, v[182:183]
	flat_load_ushort v183, v[195:196]
	s_waitcnt vmcnt(0) lgkmcnt(0)
	v_cmp_ge_i16_e32 vcc_lo, v182, v183
	s_and_b32 s44, vcc_lo, exec_lo
.LBB1044_373:
	s_or_b32 exec_lo, exec_lo, s42
	s_orn2_b32 s42, s44, exec_lo
.LBB1044_374:
	s_or_b32 exec_lo, exec_lo, s43
	v_cndmask_b32_e64 v182, v179, v181, s42
	v_cndmask_b32_e64 v183, v244, v243, s42
	s_mov_b32 s44, -1
	s_mov_b32 s43, -1
	s_mov_b32 s45, exec_lo
	v_add_nc_u32_e32 v182, 1, v182
	v_add_nc_u32_e32 v183, -1, v183
	v_cndmask_b32_e64 v179, v182, v179, s42
	v_min_u32_e32 v183, v182, v183
	v_cndmask_b32_e64 v181, v181, v182, s42
	v_lshl_add_u32 v183, v183, 1, v112
	ds_read_u16 v183, v183
	s_waitcnt lgkmcnt(0)
	v_cndmask_b32_e64 v198, v183, v197, s42
	v_cndmask_b32_e64 v75, v74, v183, s42
	v_cmpx_lt_u32_e64 v179, v244
	s_cbranch_execz .LBB1044_378
; %bb.375:
	s_mov_b32 s46, 0
	s_mov_b32 s43, exec_lo
	v_cmpx_lt_u32_e64 v181, v243
	s_cbranch_execz .LBB1044_377
; %bb.376:
	v_bfe_i32 v182, v198, 0, 16
	v_bfe_i32 v195, v75, 0, 16
	v_ashrrev_i32_e32 v183, 31, v182
	v_ashrrev_i32_e32 v196, 31, v195
	v_lshlrev_b64 v[182:183], 1, v[182:183]
	v_lshlrev_b64 v[195:196], 1, v[195:196]
	v_add_co_u32 v182, vcc_lo, v6, v182
	v_add_co_ci_u32_e64 v183, null, v7, v183, vcc_lo
	v_add_co_u32 v195, vcc_lo, v6, v195
	v_add_co_ci_u32_e64 v196, null, v7, v196, vcc_lo
	s_clause 0x1
	flat_load_ushort v182, v[182:183]
	flat_load_ushort v183, v[195:196]
	s_waitcnt vmcnt(0) lgkmcnt(0)
	v_cmp_ge_i16_e32 vcc_lo, v182, v183
	s_and_b32 s46, vcc_lo, exec_lo
.LBB1044_377:
	s_or_b32 exec_lo, exec_lo, s43
	s_orn2_b32 s43, s46, exec_lo
.LBB1044_378:
	s_or_b32 exec_lo, exec_lo, s45
	v_cndmask_b32_e64 v182, v179, v181, s43
	v_cndmask_b32_e64 v183, v244, v243, s43
	s_mov_b32 s45, exec_lo
	v_add_nc_u32_e32 v182, 1, v182
	v_add_nc_u32_e32 v183, -1, v183
	v_cndmask_b32_e64 v179, v182, v179, s43
	v_min_u32_e32 v183, v182, v183
	v_cndmask_b32_e64 v181, v181, v182, s43
	v_lshl_add_u32 v183, v183, 1, v112
	ds_read_u16 v183, v183
	s_waitcnt lgkmcnt(0)
	v_cndmask_b32_e64 v196, v183, v198, s43
	v_cndmask_b32_e64 v76, v75, v183, s43
	v_cmpx_lt_u32_e64 v179, v244
	s_cbranch_execz .LBB1044_382
; %bb.379:
	s_mov_b32 s46, 0
	s_mov_b32 s44, exec_lo
	v_cmpx_lt_u32_e64 v181, v243
	s_cbranch_execz .LBB1044_381
; %bb.380:
	v_bfe_i32 v182, v196, 0, 16
	v_bfe_i32 v77, v76, 0, 16
	v_ashrrev_i32_e32 v183, 31, v182
	v_ashrrev_i32_e32 v78, 31, v77
	v_lshlrev_b64 v[182:183], 1, v[182:183]
	v_lshlrev_b64 v[77:78], 1, v[77:78]
	v_add_co_u32 v182, vcc_lo, v6, v182
	v_add_co_ci_u32_e64 v183, null, v7, v183, vcc_lo
	v_add_co_u32 v77, vcc_lo, v6, v77
	v_add_co_ci_u32_e64 v78, null, v7, v78, vcc_lo
	s_clause 0x1
	flat_load_ushort v182, v[182:183]
	flat_load_ushort v183, v[77:78]
	s_waitcnt vmcnt(0) lgkmcnt(0)
	v_cmp_ge_i16_e32 vcc_lo, v182, v183
	s_and_b32 s46, vcc_lo, exec_lo
.LBB1044_381:
	s_or_b32 exec_lo, exec_lo, s44
	s_orn2_b32 s44, s46, exec_lo
.LBB1044_382:
	s_or_b32 exec_lo, exec_lo, s45
	v_cndmask_b32_e64 v182, v179, v181, s44
	v_cndmask_b32_e64 v183, v244, v243, s44
	s_mov_b32 s46, -1
	s_mov_b32 s45, -1
	s_mov_b32 s47, exec_lo
	v_add_nc_u32_e32 v182, 1, v182
	v_add_nc_u32_e32 v183, -1, v183
	v_cndmask_b32_e64 v179, v182, v179, s44
	v_min_u32_e32 v183, v182, v183
	v_cndmask_b32_e64 v181, v181, v182, s44
	v_lshl_add_u32 v183, v183, 1, v112
	ds_read_u16 v183, v183
	s_waitcnt lgkmcnt(0)
	v_cndmask_b32_e64 v195, v183, v196, s44
	v_cndmask_b32_e64 v77, v76, v183, s44
	v_cmpx_lt_u32_e64 v179, v244
	s_cbranch_execz .LBB1044_386
; %bb.383:
	s_mov_b32 s56, 0
	s_mov_b32 s45, exec_lo
	v_cmpx_lt_u32_e64 v181, v243
	s_cbranch_execz .LBB1044_385
; %bb.384:
	v_bfe_i32 v182, v195, 0, 16
	v_bfe_i32 v78, v77, 0, 16
	v_ashrrev_i32_e32 v183, 31, v182
	v_ashrrev_i32_e32 v79, 31, v78
	v_lshlrev_b64 v[182:183], 1, v[182:183]
	v_lshlrev_b64 v[78:79], 1, v[78:79]
	v_add_co_u32 v182, vcc_lo, v6, v182
	v_add_co_ci_u32_e64 v183, null, v7, v183, vcc_lo
	v_add_co_u32 v78, vcc_lo, v6, v78
	v_add_co_ci_u32_e64 v79, null, v7, v79, vcc_lo
	s_clause 0x1
	flat_load_ushort v182, v[182:183]
	flat_load_ushort v183, v[78:79]
	s_waitcnt vmcnt(0) lgkmcnt(0)
	v_cmp_ge_i16_e32 vcc_lo, v182, v183
	s_and_b32 s56, vcc_lo, exec_lo
.LBB1044_385:
	s_or_b32 exec_lo, exec_lo, s45
	s_orn2_b32 s45, s56, exec_lo
.LBB1044_386:
	s_or_b32 exec_lo, exec_lo, s47
	v_cndmask_b32_e64 v182, v179, v181, s45
	v_cndmask_b32_e64 v183, v244, v243, s45
	s_mov_b32 s47, exec_lo
	v_add_nc_u32_e32 v182, 1, v182
	v_add_nc_u32_e32 v183, -1, v183
	v_cndmask_b32_e64 v179, v182, v179, s45
	v_min_u32_e32 v183, v182, v183
	v_cndmask_b32_e64 v181, v181, v182, s45
	v_lshl_add_u32 v183, v183, 1, v112
	ds_read_u16 v183, v183
	s_waitcnt lgkmcnt(0)
	v_cndmask_b32_e64 v192, v183, v195, s45
	v_cndmask_b32_e64 v78, v77, v183, s45
	v_cmpx_lt_u32_e64 v179, v244
	s_cbranch_execz .LBB1044_390
; %bb.387:
	s_mov_b32 s56, 0
	s_mov_b32 s46, exec_lo
	v_cmpx_lt_u32_e64 v181, v243
	s_cbranch_execz .LBB1044_389
; %bb.388:
	v_bfe_i32 v182, v192, 0, 16
	v_bfe_i32 v88, v78, 0, 16
	v_ashrrev_i32_e32 v183, 31, v182
	v_ashrrev_i32_e32 v89, 31, v88
	v_lshlrev_b64 v[182:183], 1, v[182:183]
	v_lshlrev_b64 v[88:89], 1, v[88:89]
	v_add_co_u32 v182, vcc_lo, v6, v182
	v_add_co_ci_u32_e64 v183, null, v7, v183, vcc_lo
	v_add_co_u32 v88, vcc_lo, v6, v88
	v_add_co_ci_u32_e64 v89, null, v7, v89, vcc_lo
	s_clause 0x1
	flat_load_ushort v182, v[182:183]
	flat_load_ushort v183, v[88:89]
	s_waitcnt vmcnt(0) lgkmcnt(0)
	v_cmp_ge_i16_e32 vcc_lo, v182, v183
	s_and_b32 s56, vcc_lo, exec_lo
.LBB1044_389:
	s_or_b32 exec_lo, exec_lo, s46
	s_orn2_b32 s46, s56, exec_lo
.LBB1044_390:
	s_or_b32 exec_lo, exec_lo, s47
	v_cndmask_b32_e64 v182, v179, v181, s46
	v_cndmask_b32_e64 v183, v244, v243, s46
	s_mov_b32 s56, -1
	s_mov_b32 s47, -1
	s_mov_b32 s57, exec_lo
	v_add_nc_u32_e32 v182, 1, v182
	v_add_nc_u32_e32 v183, -1, v183
	v_cndmask_b32_e64 v179, v182, v179, s46
	v_min_u32_e32 v183, v182, v183
	v_cndmask_b32_e64 v181, v181, v182, s46
	v_lshl_add_u32 v183, v183, 1, v112
	ds_read_u16 v79, v183
	s_waitcnt lgkmcnt(0)
	v_cndmask_b32_e64 v183, v79, v192, s46
	v_cndmask_b32_e64 v79, v78, v79, s46
	v_cmpx_lt_u32_e64 v179, v244
	s_cbranch_execz .LBB1044_394
; %bb.391:
	s_mov_b32 s58, 0
	s_mov_b32 s47, exec_lo
	v_cmpx_lt_u32_e64 v181, v243
	s_cbranch_execz .LBB1044_393
; %bb.392:
	v_bfe_i32 v88, v183, 0, 16
	v_bfe_i32 v90, v79, 0, 16
	v_ashrrev_i32_e32 v89, 31, v88
	v_ashrrev_i32_e32 v91, 31, v90
	v_lshlrev_b64 v[88:89], 1, v[88:89]
	v_lshlrev_b64 v[90:91], 1, v[90:91]
	v_add_co_u32 v88, vcc_lo, v6, v88
	v_add_co_ci_u32_e64 v89, null, v7, v89, vcc_lo
	v_add_co_u32 v90, vcc_lo, v6, v90
	v_add_co_ci_u32_e64 v91, null, v7, v91, vcc_lo
	s_clause 0x1
	flat_load_ushort v182, v[88:89]
	flat_load_ushort v88, v[90:91]
	s_waitcnt vmcnt(0) lgkmcnt(0)
	v_cmp_ge_i16_e32 vcc_lo, v182, v88
	s_and_b32 s58, vcc_lo, exec_lo
.LBB1044_393:
	s_or_b32 exec_lo, exec_lo, s47
	s_orn2_b32 s47, s58, exec_lo
.LBB1044_394:
	s_or_b32 exec_lo, exec_lo, s57
	v_cndmask_b32_e64 v182, v179, v181, s47
	v_cndmask_b32_e64 v88, v244, v243, s47
	s_mov_b32 s57, exec_lo
	v_add_nc_u32_e32 v182, 1, v182
	v_add_nc_u32_e32 v88, -1, v88
	v_cndmask_b32_e64 v179, v182, v179, s47
	v_min_u32_e32 v88, v182, v88
	v_cndmask_b32_e64 v181, v181, v182, s47
	v_lshl_add_u32 v88, v88, 1, v112
	ds_read_u16 v88, v88
	s_waitcnt lgkmcnt(0)
	v_cndmask_b32_e64 v182, v88, v183, s47
	v_cndmask_b32_e64 v88, v79, v88, s47
	v_cmpx_lt_u32_e64 v179, v244
	s_cbranch_execz .LBB1044_398
; %bb.395:
	s_mov_b32 s58, 0
	s_mov_b32 s56, exec_lo
	v_cmpx_lt_u32_e64 v181, v243
	s_cbranch_execz .LBB1044_397
; %bb.396:
	v_bfe_i32 v89, v182, 0, 16
	v_bfe_i32 v91, v88, 0, 16
	v_ashrrev_i32_e32 v90, 31, v89
	v_ashrrev_i32_e32 v92, 31, v91
	v_lshlrev_b64 v[89:90], 1, v[89:90]
	v_lshlrev_b64 v[91:92], 1, v[91:92]
	v_add_co_u32 v89, vcc_lo, v6, v89
	v_add_co_ci_u32_e64 v90, null, v7, v90, vcc_lo
	v_add_co_u32 v91, vcc_lo, v6, v91
	v_add_co_ci_u32_e64 v92, null, v7, v92, vcc_lo
	s_clause 0x1
	flat_load_ushort v89, v[89:90]
	flat_load_ushort v90, v[91:92]
	s_waitcnt vmcnt(0) lgkmcnt(0)
	v_cmp_ge_i16_e32 vcc_lo, v89, v90
	s_and_b32 s58, vcc_lo, exec_lo
.LBB1044_397:
	s_or_b32 exec_lo, exec_lo, s56
	s_orn2_b32 s56, s58, exec_lo
.LBB1044_398:
	s_or_b32 exec_lo, exec_lo, s57
	v_cndmask_b32_e64 v89, v179, v181, s56
	v_cndmask_b32_e64 v90, v244, v243, s56
	s_mov_b32 s57, -1
	s_mov_b32 s58, -1
	s_mov_b32 s59, exec_lo
	v_add_nc_u32_e32 v89, 1, v89
	v_add_nc_u32_e32 v90, -1, v90
	v_cndmask_b32_e64 v179, v89, v179, s56
	v_min_u32_e32 v90, v89, v90
	v_lshl_add_u32 v90, v90, 1, v112
	ds_read_u16 v91, v90
	v_cndmask_b32_e64 v90, v181, v89, s56
	s_waitcnt lgkmcnt(0)
	v_cndmask_b32_e64 v181, v91, v182, s56
	v_cndmask_b32_e64 v89, v88, v91, s56
	v_cmpx_lt_u32_e64 v179, v244
	s_cbranch_execz .LBB1044_402
; %bb.399:
	s_mov_b32 s60, 0
	s_mov_b32 s58, exec_lo
	v_cmpx_lt_u32_e64 v90, v243
	s_cbranch_execz .LBB1044_401
; %bb.400:
	v_bfe_i32 v91, v181, 0, 16
	v_bfe_i32 v93, v89, 0, 16
	v_ashrrev_i32_e32 v92, 31, v91
	v_ashrrev_i32_e32 v94, 31, v93
	v_lshlrev_b64 v[91:92], 1, v[91:92]
	v_lshlrev_b64 v[93:94], 1, v[93:94]
	v_add_co_u32 v91, vcc_lo, v6, v91
	v_add_co_ci_u32_e64 v92, null, v7, v92, vcc_lo
	v_add_co_u32 v93, vcc_lo, v6, v93
	v_add_co_ci_u32_e64 v94, null, v7, v94, vcc_lo
	s_clause 0x1
	flat_load_ushort v91, v[91:92]
	flat_load_ushort v92, v[93:94]
	s_waitcnt vmcnt(0) lgkmcnt(0)
	v_cmp_ge_i16_e32 vcc_lo, v91, v92
	s_and_b32 s60, vcc_lo, exec_lo
.LBB1044_401:
	s_or_b32 exec_lo, exec_lo, s58
	s_orn2_b32 s58, s60, exec_lo
.LBB1044_402:
	s_or_b32 exec_lo, exec_lo, s59
	v_cndmask_b32_e64 v91, v179, v90, s58
	v_cndmask_b32_e64 v92, v244, v243, s58
	s_mov_b32 s59, exec_lo
	v_add_nc_u32_e32 v91, 1, v91
	v_add_nc_u32_e32 v92, -1, v92
	v_cndmask_b32_e64 v179, v91, v179, s58
	v_min_u32_e32 v92, v91, v92
	v_lshl_add_u32 v92, v92, 1, v112
	ds_read_u16 v93, v92
	v_cndmask_b32_e64 v92, v90, v91, s58
	s_waitcnt lgkmcnt(0)
	v_cndmask_b32_e64 v90, v93, v181, s58
	v_cndmask_b32_e64 v91, v89, v93, s58
	v_cmpx_lt_u32_e64 v179, v244
	s_cbranch_execz .LBB1044_406
; %bb.403:
	s_mov_b32 s60, 0
	s_mov_b32 s57, exec_lo
	v_cmpx_lt_u32_e64 v92, v243
	s_cbranch_execz .LBB1044_405
; %bb.404:
	v_bfe_i32 v93, v90, 0, 16
	v_bfe_i32 v104, v91, 0, 16
	v_ashrrev_i32_e32 v94, 31, v93
	v_ashrrev_i32_e32 v105, 31, v104
	v_lshlrev_b64 v[93:94], 1, v[93:94]
	v_lshlrev_b64 v[104:105], 1, v[104:105]
	v_add_co_u32 v93, vcc_lo, v6, v93
	v_add_co_ci_u32_e64 v94, null, v7, v94, vcc_lo
	v_add_co_u32 v104, vcc_lo, v6, v104
	v_add_co_ci_u32_e64 v105, null, v7, v105, vcc_lo
	s_clause 0x1
	flat_load_ushort v93, v[93:94]
	flat_load_ushort v94, v[104:105]
	s_waitcnt vmcnt(0) lgkmcnt(0)
	v_cmp_ge_i16_e32 vcc_lo, v93, v94
	s_and_b32 s60, vcc_lo, exec_lo
.LBB1044_405:
	s_or_b32 exec_lo, exec_lo, s57
	s_orn2_b32 s57, s60, exec_lo
.LBB1044_406:
	s_or_b32 exec_lo, exec_lo, s59
	v_cndmask_b32_e64 v93, v179, v92, s57
	v_cndmask_b32_e64 v94, v244, v243, s57
	s_mov_b32 s59, exec_lo
	v_add_nc_u32_e32 v93, 1, v93
	v_add_nc_u32_e32 v94, -1, v94
	v_cndmask_b32_e64 v95, v93, v179, s57
	v_min_u32_e32 v94, v93, v94
	v_lshl_add_u32 v94, v94, 1, v112
	ds_read_u16 v94, v94
	s_waitcnt lgkmcnt(0)
	v_cndmask_b32_e64 v179, v91, v94, s57
	v_cmpx_lt_u32_e64 v95, v244
	s_cbranch_execz .LBB1044_410
; %bb.407:
	v_cndmask_b32_e64 v92, v92, v93, s57
	v_cndmask_b32_e64 v244, v94, v90, s57
	s_mov_b32 s60, exec_lo
	v_cmpx_lt_u32_e64 v92, v243
	s_cbranch_execz .LBB1044_409
; %bb.408:
	v_bfe_i32 v92, v244, 0, 16
	v_bfe_i32 v94, v179, 0, 16
	v_ashrrev_i32_e32 v93, 31, v92
	v_ashrrev_i32_e32 v95, 31, v94
	v_lshlrev_b64 v[92:93], 1, v[92:93]
	v_lshlrev_b64 v[94:95], 1, v[94:95]
	v_add_co_u32 v92, vcc_lo, v6, v92
	v_add_co_ci_u32_e64 v93, null, v7, v93, vcc_lo
	v_add_co_u32 v94, vcc_lo, v6, v94
	v_add_co_ci_u32_e64 v95, null, v7, v95, vcc_lo
	s_clause 0x1
	flat_load_ushort v243, v[92:93]
	flat_load_ushort v92, v[94:95]
	s_waitcnt vmcnt(0) lgkmcnt(0)
	v_cmp_lt_i16_e32 vcc_lo, v243, v92
	v_cndmask_b32_e32 v244, v179, v244, vcc_lo
.LBB1044_409:
	s_or_b32 exec_lo, exec_lo, s60
	v_mov_b32_e32 v179, v244
.LBB1044_410:
	s_or_b32 exec_lo, exec_lo, s59
	v_cndmask_b32_e64 v181, v181, v89, s58
	v_cndmask_b32_e64 v182, v182, v88, s56
	;; [unrolled: 1-line block ×31, first 2 shown]
.LBB1044_411:
	s_or_b32 exec_lo, exec_lo, s5
	; wave barrier
	ds_write_b16 v115, v193
	ds_write_b16 v167, v194
	;; [unrolled: 1-line block ×5, first 2 shown]
	v_and_b32_e32 v167, 0x200, v114
	ds_write_b16 v163, v241
	ds_write_b16 v164, v228
	;; [unrolled: 1-line block ×15, first 2 shown]
	v_or_b32_e32 v115, 0x100, v167
	v_and_b32_e32 v144, 0x1e0, v114
	ds_write_b16 v133, v208
	ds_write_b16 v134, v209
	;; [unrolled: 1-line block ×6, first 2 shown]
	s_mov_b32 s4, exec_lo
	v_min_u32_e32 v115, v113, v115
	ds_write_b16 v118, v192
	ds_write_b16 v119, v183
	;; [unrolled: 1-line block ×6, first 2 shown]
	; wave barrier
	v_add_nc_u32_e32 v147, 0x100, v115
	v_sub_nc_u32_e32 v134, v115, v167
	v_min_u32_e32 v114, v113, v147
	v_min_u32_e32 v113, v113, v144
	v_sub_nc_u32_e32 v133, v114, v115
	v_min_u32_e32 v131, v113, v134
	v_sub_nc_u32_e64 v130, v113, v133 clamp
	v_cmpx_lt_u32_e64 v130, v131
	s_cbranch_execz .LBB1044_415
; %bb.412:
	v_lshlrev_b32_e32 v116, 1, v167
	v_lshlrev_b32_e32 v117, 1, v115
	s_mov_b32 s5, 0
	v_add_co_u32 v116, null, v112, v116
	v_add_co_u32 v117, null, v112, v117
	s_inst_prefetch 0x1
	.p2align	6
.LBB1044_413:                           ; =>This Inner Loop Header: Depth=1
	v_add_nc_u32_e32 v118, v131, v130
	v_lshrrev_b32_e32 v132, 1, v118
	v_and_b32_e32 v118, -2, v118
	v_xad_u32 v119, v132, -1, v113
	v_add_nc_u32_e32 v118, v116, v118
	v_lshl_add_u32 v119, v119, 1, v117
	ds_read_u16 v118, v118
	ds_read_u16 v119, v119
	s_waitcnt lgkmcnt(1)
	v_bfe_i32 v118, v118, 0, 16
	s_waitcnt lgkmcnt(0)
	v_bfe_i32 v128, v119, 0, 16
	v_ashrrev_i32_e32 v119, 31, v118
	v_ashrrev_i32_e32 v129, 31, v128
	v_lshlrev_b64 v[118:119], 1, v[118:119]
	v_lshlrev_b64 v[128:129], 1, v[128:129]
	v_add_co_u32 v118, vcc_lo, v6, v118
	v_add_co_ci_u32_e64 v119, null, v7, v119, vcc_lo
	v_add_co_u32 v128, vcc_lo, v6, v128
	v_add_co_ci_u32_e64 v129, null, v7, v129, vcc_lo
	s_clause 0x1
	flat_load_ushort v128, v[128:129]
	flat_load_ushort v118, v[118:119]
	v_add_nc_u32_e32 v119, 1, v132
	s_waitcnt vmcnt(0) lgkmcnt(0)
	v_cmp_lt_i16_e32 vcc_lo, v128, v118
	v_cndmask_b32_e32 v131, v131, v132, vcc_lo
	v_cndmask_b32_e32 v130, v119, v130, vcc_lo
	v_cmp_ge_u32_e32 vcc_lo, v130, v131
	s_or_b32 s5, vcc_lo, s5
	s_andn2_b32 exec_lo, exec_lo, s5
	s_cbranch_execnz .LBB1044_413
; %bb.414:
	s_inst_prefetch 0x2
	s_or_b32 exec_lo, exec_lo, s5
.LBB1044_415:
	s_or_b32 exec_lo, exec_lo, s4
	v_add_nc_u32_e32 v113, v115, v113
	v_add_nc_u32_e32 v117, v130, v167
	v_sub_nc_u32_e32 v118, v113, v130
	v_cmp_le_u32_e32 vcc_lo, v117, v115
	v_cmp_le_u32_e64 s4, v118, v114
	s_or_b32 s4, vcc_lo, s4
	s_and_saveexec_b32 s5, s4
	s_cbranch_execz .LBB1044_547
; %bb.416:
	s_mov_b32 s6, exec_lo
	v_cmp_ge_u32_e32 vcc_lo, v117, v115
                                        ; implicit-def: $vgpr113
	v_cmpx_lt_u32_e64 v117, v115
; %bb.417:
	v_lshl_add_u32 v113, v117, 1, v112
	ds_read_u16 v113, v113
; %bb.418:
	s_or_b32 exec_lo, exec_lo, s6
	v_cmp_ge_u32_e64 s6, v118, v114
	s_mov_b32 s7, exec_lo
                                        ; implicit-def: $vgpr116
	v_cmpx_lt_u32_e64 v118, v114
; %bb.419:
	v_lshl_add_u32 v116, v118, 1, v112
	ds_read_u16 v116, v116
; %bb.420:
	s_or_b32 exec_lo, exec_lo, s7
	s_nor_b32 s7, vcc_lo, s6
	s_and_saveexec_b32 s4, s7
	s_cbranch_execz .LBB1044_422
; %bb.421:
	s_waitcnt lgkmcnt(0)
	v_bfe_i32 v128, v116, 0, 16
	v_bfe_i32 v130, v113, 0, 16
	s_andn2_b32 s6, s6, exec_lo
	v_ashrrev_i32_e32 v129, 31, v128
	v_ashrrev_i32_e32 v131, 31, v130
	v_lshlrev_b64 v[128:129], 1, v[128:129]
	v_lshlrev_b64 v[130:131], 1, v[130:131]
	v_add_co_u32 v128, vcc_lo, v6, v128
	v_add_co_ci_u32_e64 v129, null, v7, v129, vcc_lo
	v_add_co_u32 v130, vcc_lo, v6, v130
	v_add_co_ci_u32_e64 v131, null, v7, v131, vcc_lo
	s_clause 0x1
	flat_load_ushort v119, v[128:129]
	flat_load_ushort v128, v[130:131]
	s_waitcnt vmcnt(0) lgkmcnt(0)
	v_cmp_ge_i16_e32 vcc_lo, v119, v128
	s_and_b32 s7, vcc_lo, exec_lo
	s_or_b32 s6, s6, s7
.LBB1044_422:
	s_or_b32 exec_lo, exec_lo, s4
	v_cndmask_b32_e64 v119, v118, v117, s6
	v_cndmask_b32_e64 v128, v114, v115, s6
	s_mov_b32 s7, -1
	s_mov_b32 s4, -1
	s_mov_b32 s10, exec_lo
	v_add_nc_u32_e32 v129, 1, v119
	v_add_nc_u32_e32 v119, -1, v128
	v_cndmask_b32_e64 v128, v117, v129, s6
	v_min_u32_e32 v119, v129, v119
	v_lshl_add_u32 v119, v119, 1, v112
	ds_read_u16 v130, v119
	v_cndmask_b32_e64 v119, v129, v118, s6
	s_waitcnt lgkmcnt(0)
	v_cndmask_b32_e64 v117, v130, v116, s6
	v_cndmask_b32_e64 v118, v113, v130, s6
	v_cmpx_lt_u32_e64 v119, v114
	s_cbranch_execz .LBB1044_426
; %bb.423:
	s_mov_b32 s11, 0
	s_mov_b32 s4, exec_lo
	v_cmpx_lt_u32_e64 v128, v115
	s_cbranch_execz .LBB1044_425
; %bb.424:
	v_bfe_i32 v129, v117, 0, 16
	v_bfe_i32 v131, v118, 0, 16
	v_ashrrev_i32_e32 v130, 31, v129
	v_ashrrev_i32_e32 v132, 31, v131
	v_lshlrev_b64 v[129:130], 1, v[129:130]
	v_lshlrev_b64 v[131:132], 1, v[131:132]
	v_add_co_u32 v129, vcc_lo, v6, v129
	v_add_co_ci_u32_e64 v130, null, v7, v130, vcc_lo
	v_add_co_u32 v131, vcc_lo, v6, v131
	v_add_co_ci_u32_e64 v132, null, v7, v132, vcc_lo
	s_clause 0x1
	flat_load_ushort v129, v[129:130]
	flat_load_ushort v130, v[131:132]
	s_waitcnt vmcnt(0) lgkmcnt(0)
	v_cmp_ge_i16_e32 vcc_lo, v129, v130
	s_and_b32 s11, vcc_lo, exec_lo
.LBB1044_425:
	s_or_b32 exec_lo, exec_lo, s4
	s_orn2_b32 s4, s11, exec_lo
.LBB1044_426:
	s_or_b32 exec_lo, exec_lo, s10
	v_cndmask_b32_e64 v129, v119, v128, s4
	v_cndmask_b32_e64 v130, v114, v115, s4
	s_mov_b32 s10, exec_lo
	v_add_nc_u32_e32 v131, 1, v129
	v_add_nc_u32_e32 v129, -1, v130
	v_cndmask_b32_e64 v130, v128, v131, s4
	v_min_u32_e32 v129, v131, v129
	v_lshl_add_u32 v129, v129, 1, v112
	ds_read_u16 v132, v129
	v_cndmask_b32_e64 v129, v131, v119, s4
	s_waitcnt lgkmcnt(0)
	v_cndmask_b32_e64 v119, v132, v117, s4
	v_cndmask_b32_e64 v128, v118, v132, s4
	v_cmpx_lt_u32_e64 v129, v114
	s_cbranch_execz .LBB1044_430
; %bb.427:
	s_mov_b32 s11, 0
	s_mov_b32 s7, exec_lo
	v_cmpx_lt_u32_e64 v130, v115
	s_cbranch_execz .LBB1044_429
; %bb.428:
	v_bfe_i32 v131, v119, 0, 16
	v_bfe_i32 v133, v128, 0, 16
	v_ashrrev_i32_e32 v132, 31, v131
	v_ashrrev_i32_e32 v134, 31, v133
	v_lshlrev_b64 v[131:132], 1, v[131:132]
	v_lshlrev_b64 v[133:134], 1, v[133:134]
	v_add_co_u32 v131, vcc_lo, v6, v131
	v_add_co_ci_u32_e64 v132, null, v7, v132, vcc_lo
	v_add_co_u32 v133, vcc_lo, v6, v133
	v_add_co_ci_u32_e64 v134, null, v7, v134, vcc_lo
	s_clause 0x1
	flat_load_ushort v131, v[131:132]
	flat_load_ushort v132, v[133:134]
	s_waitcnt vmcnt(0) lgkmcnt(0)
	v_cmp_ge_i16_e32 vcc_lo, v131, v132
	s_and_b32 s11, vcc_lo, exec_lo
.LBB1044_429:
	s_or_b32 exec_lo, exec_lo, s7
	s_orn2_b32 s7, s11, exec_lo
.LBB1044_430:
	s_or_b32 exec_lo, exec_lo, s10
	v_cndmask_b32_e64 v131, v129, v130, s7
	v_cndmask_b32_e64 v132, v114, v115, s7
	s_mov_b32 s11, -1
	s_mov_b32 s10, -1
	s_mov_b32 s14, exec_lo
	v_add_nc_u32_e32 v133, 1, v131
	v_add_nc_u32_e32 v131, -1, v132
	v_cndmask_b32_e64 v132, v130, v133, s7
	v_min_u32_e32 v131, v133, v131
	v_lshl_add_u32 v131, v131, 1, v112
	ds_read_u16 v134, v131
	v_cndmask_b32_e64 v131, v133, v129, s7
	s_waitcnt lgkmcnt(0)
	v_cndmask_b32_e64 v129, v134, v119, s7
	v_cndmask_b32_e64 v130, v128, v134, s7
	v_cmpx_lt_u32_e64 v131, v114
	s_cbranch_execz .LBB1044_434
; %bb.431:
	s_mov_b32 s15, 0
	s_mov_b32 s10, exec_lo
	v_cmpx_lt_u32_e64 v132, v115
	s_cbranch_execz .LBB1044_433
; %bb.432:
	v_bfe_i32 v133, v129, 0, 16
	v_bfe_i32 v144, v130, 0, 16
	v_ashrrev_i32_e32 v134, 31, v133
	v_ashrrev_i32_e32 v145, 31, v144
	v_lshlrev_b64 v[133:134], 1, v[133:134]
	v_lshlrev_b64 v[144:145], 1, v[144:145]
	v_add_co_u32 v133, vcc_lo, v6, v133
	v_add_co_ci_u32_e64 v134, null, v7, v134, vcc_lo
	v_add_co_u32 v144, vcc_lo, v6, v144
	v_add_co_ci_u32_e64 v145, null, v7, v145, vcc_lo
	s_clause 0x1
	flat_load_ushort v133, v[133:134]
	flat_load_ushort v134, v[144:145]
	s_waitcnt vmcnt(0) lgkmcnt(0)
	v_cmp_ge_i16_e32 vcc_lo, v133, v134
	s_and_b32 s15, vcc_lo, exec_lo
.LBB1044_433:
	s_or_b32 exec_lo, exec_lo, s10
	s_orn2_b32 s10, s15, exec_lo
.LBB1044_434:
	s_or_b32 exec_lo, exec_lo, s14
	v_cndmask_b32_e64 v133, v131, v132, s10
	v_cndmask_b32_e64 v134, v114, v115, s10
	s_mov_b32 s14, exec_lo
	v_add_nc_u32_e32 v135, 1, v133
	v_add_nc_u32_e32 v133, -1, v134
	v_cndmask_b32_e64 v134, v132, v135, s10
	v_min_u32_e32 v133, v135, v133
	v_lshl_add_u32 v133, v133, 1, v112
	ds_read_u16 v144, v133
	v_cndmask_b32_e64 v133, v135, v131, s10
	s_waitcnt lgkmcnt(0)
	v_cndmask_b32_e64 v131, v144, v129, s10
	v_cndmask_b32_e64 v132, v130, v144, s10
	v_cmpx_lt_u32_e64 v133, v114
	s_cbranch_execz .LBB1044_438
; %bb.435:
	s_mov_b32 s15, 0
	s_mov_b32 s11, exec_lo
	v_cmpx_lt_u32_e64 v134, v115
	s_cbranch_execz .LBB1044_437
; %bb.436:
	v_bfe_i32 v144, v131, 0, 16
	v_bfe_i32 v146, v132, 0, 16
	v_ashrrev_i32_e32 v145, 31, v144
	v_ashrrev_i32_e32 v147, 31, v146
	v_lshlrev_b64 v[144:145], 1, v[144:145]
	v_lshlrev_b64 v[146:147], 1, v[146:147]
	v_add_co_u32 v144, vcc_lo, v6, v144
	v_add_co_ci_u32_e64 v145, null, v7, v145, vcc_lo
	v_add_co_u32 v146, vcc_lo, v6, v146
	v_add_co_ci_u32_e64 v147, null, v7, v147, vcc_lo
	s_clause 0x1
	flat_load_ushort v135, v[144:145]
	flat_load_ushort v144, v[146:147]
	s_waitcnt vmcnt(0) lgkmcnt(0)
	v_cmp_ge_i16_e32 vcc_lo, v135, v144
	s_and_b32 s15, vcc_lo, exec_lo
.LBB1044_437:
	s_or_b32 exec_lo, exec_lo, s11
	s_orn2_b32 s11, s15, exec_lo
.LBB1044_438:
	s_or_b32 exec_lo, exec_lo, s14
	v_cndmask_b32_e64 v135, v133, v134, s11
	v_cndmask_b32_e64 v144, v114, v115, s11
	s_mov_b32 s15, -1
	s_mov_b32 s14, -1
	s_mov_b32 s16, exec_lo
	v_add_nc_u32_e32 v145, 1, v135
	v_add_nc_u32_e32 v135, -1, v144
	v_cndmask_b32_e64 v144, v134, v145, s11
	v_min_u32_e32 v135, v145, v135
	v_lshl_add_u32 v135, v135, 1, v112
	ds_read_u16 v146, v135
	v_cndmask_b32_e64 v135, v145, v133, s11
	s_waitcnt lgkmcnt(0)
	v_cndmask_b32_e64 v133, v146, v131, s11
	v_cndmask_b32_e64 v134, v132, v146, s11
	v_cmpx_lt_u32_e64 v135, v114
	s_cbranch_execz .LBB1044_442
; %bb.439:
	s_mov_b32 s17, 0
	s_mov_b32 s14, exec_lo
	v_cmpx_lt_u32_e64 v144, v115
	s_cbranch_execz .LBB1044_441
; %bb.440:
	v_bfe_i32 v145, v133, 0, 16
	v_bfe_i32 v147, v134, 0, 16
	v_ashrrev_i32_e32 v146, 31, v145
	v_ashrrev_i32_e32 v148, 31, v147
	v_lshlrev_b64 v[145:146], 1, v[145:146]
	v_lshlrev_b64 v[147:148], 1, v[147:148]
	v_add_co_u32 v145, vcc_lo, v6, v145
	v_add_co_ci_u32_e64 v146, null, v7, v146, vcc_lo
	v_add_co_u32 v147, vcc_lo, v6, v147
	v_add_co_ci_u32_e64 v148, null, v7, v148, vcc_lo
	s_clause 0x1
	flat_load_ushort v145, v[145:146]
	flat_load_ushort v146, v[147:148]
	s_waitcnt vmcnt(0) lgkmcnt(0)
	v_cmp_ge_i16_e32 vcc_lo, v145, v146
	s_and_b32 s17, vcc_lo, exec_lo
.LBB1044_441:
	s_or_b32 exec_lo, exec_lo, s14
	s_orn2_b32 s14, s17, exec_lo
.LBB1044_442:
	s_or_b32 exec_lo, exec_lo, s16
	v_cndmask_b32_e64 v145, v135, v144, s14
	v_cndmask_b32_e64 v146, v114, v115, s14
	s_mov_b32 s16, exec_lo
	v_add_nc_u32_e32 v147, 1, v145
	v_add_nc_u32_e32 v145, -1, v146
	v_cndmask_b32_e64 v146, v144, v147, s14
	v_min_u32_e32 v145, v147, v145
	v_lshl_add_u32 v145, v145, 1, v112
	ds_read_u16 v148, v145
	v_cndmask_b32_e64 v145, v147, v135, s14
	s_waitcnt lgkmcnt(0)
	v_cndmask_b32_e64 v135, v148, v133, s14
	v_cndmask_b32_e64 v144, v134, v148, s14
	v_cmpx_lt_u32_e64 v145, v114
	s_cbranch_execz .LBB1044_446
; %bb.443:
	s_mov_b32 s17, 0
	s_mov_b32 s15, exec_lo
	v_cmpx_lt_u32_e64 v146, v115
	s_cbranch_execz .LBB1044_445
; %bb.444:
	v_bfe_i32 v147, v135, 0, 16
	v_bfe_i32 v149, v144, 0, 16
	v_ashrrev_i32_e32 v148, 31, v147
	v_ashrrev_i32_e32 v150, 31, v149
	v_lshlrev_b64 v[147:148], 1, v[147:148]
	v_lshlrev_b64 v[149:150], 1, v[149:150]
	v_add_co_u32 v147, vcc_lo, v6, v147
	v_add_co_ci_u32_e64 v148, null, v7, v148, vcc_lo
	v_add_co_u32 v149, vcc_lo, v6, v149
	v_add_co_ci_u32_e64 v150, null, v7, v150, vcc_lo
	s_clause 0x1
	flat_load_ushort v147, v[147:148]
	flat_load_ushort v148, v[149:150]
	s_waitcnt vmcnt(0) lgkmcnt(0)
	v_cmp_ge_i16_e32 vcc_lo, v147, v148
	s_and_b32 s17, vcc_lo, exec_lo
.LBB1044_445:
	s_or_b32 exec_lo, exec_lo, s15
	s_orn2_b32 s15, s17, exec_lo
.LBB1044_446:
	s_or_b32 exec_lo, exec_lo, s16
	v_cndmask_b32_e64 v147, v145, v146, s15
	v_cndmask_b32_e64 v148, v114, v115, s15
	s_mov_b32 s17, -1
	s_mov_b32 s16, -1
	s_mov_b32 s18, exec_lo
	v_add_nc_u32_e32 v149, 1, v147
	v_add_nc_u32_e32 v147, -1, v148
	v_cndmask_b32_e64 v148, v146, v149, s15
	v_min_u32_e32 v147, v149, v147
	v_lshl_add_u32 v147, v147, 1, v112
	ds_read_u16 v150, v147
	v_cndmask_b32_e64 v147, v149, v145, s15
	s_waitcnt lgkmcnt(0)
	v_cndmask_b32_e64 v145, v150, v135, s15
	v_cndmask_b32_e64 v146, v144, v150, s15
	v_cmpx_lt_u32_e64 v147, v114
	s_cbranch_execz .LBB1044_450
; %bb.447:
	s_mov_b32 s19, 0
	s_mov_b32 s16, exec_lo
	v_cmpx_lt_u32_e64 v148, v115
	s_cbranch_execz .LBB1044_449
; %bb.448:
	v_bfe_i32 v149, v145, 0, 16
	v_bfe_i32 v160, v146, 0, 16
	v_ashrrev_i32_e32 v150, 31, v149
	v_ashrrev_i32_e32 v161, 31, v160
	v_lshlrev_b64 v[149:150], 1, v[149:150]
	v_lshlrev_b64 v[160:161], 1, v[160:161]
	v_add_co_u32 v149, vcc_lo, v6, v149
	v_add_co_ci_u32_e64 v150, null, v7, v150, vcc_lo
	v_add_co_u32 v160, vcc_lo, v6, v160
	v_add_co_ci_u32_e64 v161, null, v7, v161, vcc_lo
	s_clause 0x1
	flat_load_ushort v149, v[149:150]
	flat_load_ushort v150, v[160:161]
	s_waitcnt vmcnt(0) lgkmcnt(0)
	v_cmp_ge_i16_e32 vcc_lo, v149, v150
	s_and_b32 s19, vcc_lo, exec_lo
.LBB1044_449:
	s_or_b32 exec_lo, exec_lo, s16
	s_orn2_b32 s16, s19, exec_lo
.LBB1044_450:
	s_or_b32 exec_lo, exec_lo, s18
	v_cndmask_b32_e64 v149, v147, v148, s16
	v_cndmask_b32_e64 v150, v114, v115, s16
	s_mov_b32 s18, exec_lo
	v_add_nc_u32_e32 v151, 1, v149
	v_add_nc_u32_e32 v149, -1, v150
	v_cndmask_b32_e64 v150, v148, v151, s16
	v_min_u32_e32 v149, v151, v149
	v_lshl_add_u32 v149, v149, 1, v112
	ds_read_u16 v160, v149
	v_cndmask_b32_e64 v149, v151, v147, s16
	s_waitcnt lgkmcnt(0)
	v_cndmask_b32_e64 v147, v160, v145, s16
	v_cndmask_b32_e64 v148, v146, v160, s16
	v_cmpx_lt_u32_e64 v149, v114
	s_cbranch_execz .LBB1044_454
; %bb.451:
	s_mov_b32 s19, 0
	s_mov_b32 s17, exec_lo
	v_cmpx_lt_u32_e64 v150, v115
	s_cbranch_execz .LBB1044_453
; %bb.452:
	v_bfe_i32 v160, v147, 0, 16
	v_bfe_i32 v162, v148, 0, 16
	v_ashrrev_i32_e32 v161, 31, v160
	v_ashrrev_i32_e32 v163, 31, v162
	v_lshlrev_b64 v[160:161], 1, v[160:161]
	v_lshlrev_b64 v[162:163], 1, v[162:163]
	v_add_co_u32 v160, vcc_lo, v6, v160
	v_add_co_ci_u32_e64 v161, null, v7, v161, vcc_lo
	v_add_co_u32 v162, vcc_lo, v6, v162
	v_add_co_ci_u32_e64 v163, null, v7, v163, vcc_lo
	s_clause 0x1
	flat_load_ushort v151, v[160:161]
	flat_load_ushort v160, v[162:163]
	s_waitcnt vmcnt(0) lgkmcnt(0)
	v_cmp_ge_i16_e32 vcc_lo, v151, v160
	s_and_b32 s19, vcc_lo, exec_lo
.LBB1044_453:
	s_or_b32 exec_lo, exec_lo, s17
	s_orn2_b32 s17, s19, exec_lo
.LBB1044_454:
	s_or_b32 exec_lo, exec_lo, s18
	v_cndmask_b32_e64 v151, v149, v150, s17
	v_cndmask_b32_e64 v160, v114, v115, s17
	s_mov_b32 s19, -1
	s_mov_b32 s18, -1
	s_mov_b32 s20, exec_lo
	v_add_nc_u32_e32 v161, 1, v151
	v_add_nc_u32_e32 v151, -1, v160
	v_cndmask_b32_e64 v160, v150, v161, s17
	v_min_u32_e32 v151, v161, v151
	v_lshl_add_u32 v151, v151, 1, v112
	ds_read_u16 v162, v151
	v_cndmask_b32_e64 v151, v161, v149, s17
	s_waitcnt lgkmcnt(0)
	v_cndmask_b32_e64 v149, v162, v147, s17
	v_cndmask_b32_e64 v150, v148, v162, s17
	v_cmpx_lt_u32_e64 v151, v114
	s_cbranch_execz .LBB1044_458
; %bb.455:
	s_mov_b32 s22, 0
	s_mov_b32 s18, exec_lo
	v_cmpx_lt_u32_e64 v160, v115
	s_cbranch_execz .LBB1044_457
; %bb.456:
	v_bfe_i32 v161, v149, 0, 16
	v_bfe_i32 v163, v150, 0, 16
	v_ashrrev_i32_e32 v162, 31, v161
	v_ashrrev_i32_e32 v164, 31, v163
	v_lshlrev_b64 v[161:162], 1, v[161:162]
	v_lshlrev_b64 v[163:164], 1, v[163:164]
	v_add_co_u32 v161, vcc_lo, v6, v161
	v_add_co_ci_u32_e64 v162, null, v7, v162, vcc_lo
	v_add_co_u32 v163, vcc_lo, v6, v163
	v_add_co_ci_u32_e64 v164, null, v7, v164, vcc_lo
	s_clause 0x1
	flat_load_ushort v161, v[161:162]
	flat_load_ushort v162, v[163:164]
	s_waitcnt vmcnt(0) lgkmcnt(0)
	v_cmp_ge_i16_e32 vcc_lo, v161, v162
	s_and_b32 s22, vcc_lo, exec_lo
.LBB1044_457:
	s_or_b32 exec_lo, exec_lo, s18
	s_orn2_b32 s18, s22, exec_lo
.LBB1044_458:
	s_or_b32 exec_lo, exec_lo, s20
	v_cndmask_b32_e64 v161, v151, v160, s18
	v_cndmask_b32_e64 v162, v114, v115, s18
	s_mov_b32 s20, exec_lo
	v_add_nc_u32_e32 v163, 1, v161
	v_add_nc_u32_e32 v161, -1, v162
	v_cndmask_b32_e64 v162, v160, v163, s18
	v_min_u32_e32 v161, v163, v161
	v_lshl_add_u32 v161, v161, 1, v112
	ds_read_u16 v164, v161
	v_cndmask_b32_e64 v161, v163, v151, s18
	s_waitcnt lgkmcnt(0)
	v_cndmask_b32_e64 v151, v164, v149, s18
	v_cndmask_b32_e64 v160, v150, v164, s18
	v_cmpx_lt_u32_e64 v161, v114
	s_cbranch_execz .LBB1044_462
; %bb.459:
	s_mov_b32 s22, 0
	s_mov_b32 s19, exec_lo
	v_cmpx_lt_u32_e64 v162, v115
	s_cbranch_execz .LBB1044_461
; %bb.460:
	v_bfe_i32 v163, v151, 0, 16
	v_bfe_i32 v165, v160, 0, 16
	v_ashrrev_i32_e32 v164, 31, v163
	v_ashrrev_i32_e32 v166, 31, v165
	v_lshlrev_b64 v[163:164], 1, v[163:164]
	v_lshlrev_b64 v[165:166], 1, v[165:166]
	v_add_co_u32 v163, vcc_lo, v6, v163
	v_add_co_ci_u32_e64 v164, null, v7, v164, vcc_lo
	v_add_co_u32 v165, vcc_lo, v6, v165
	v_add_co_ci_u32_e64 v166, null, v7, v166, vcc_lo
	s_clause 0x1
	flat_load_ushort v163, v[163:164]
	flat_load_ushort v164, v[165:166]
	s_waitcnt vmcnt(0) lgkmcnt(0)
	v_cmp_ge_i16_e32 vcc_lo, v163, v164
	s_and_b32 s22, vcc_lo, exec_lo
.LBB1044_461:
	s_or_b32 exec_lo, exec_lo, s19
	s_orn2_b32 s19, s22, exec_lo
.LBB1044_462:
	s_or_b32 exec_lo, exec_lo, s20
	v_cndmask_b32_e64 v163, v161, v162, s19
	v_cndmask_b32_e64 v164, v114, v115, s19
	s_mov_b32 s22, -1
	s_mov_b32 s20, -1
	s_mov_b32 s23, exec_lo
	v_add_nc_u32_e32 v165, 1, v163
	v_add_nc_u32_e32 v163, -1, v164
	v_cndmask_b32_e64 v164, v162, v165, s19
	v_min_u32_e32 v163, v165, v163
	v_lshl_add_u32 v163, v163, 1, v112
	ds_read_u16 v166, v163
	v_cndmask_b32_e64 v163, v165, v161, s19
	s_waitcnt lgkmcnt(0)
	v_cndmask_b32_e64 v161, v166, v151, s19
	v_cndmask_b32_e64 v162, v160, v166, s19
	v_cmpx_lt_u32_e64 v163, v114
	s_cbranch_execz .LBB1044_466
; %bb.463:
	s_mov_b32 s24, 0
	s_mov_b32 s20, exec_lo
	v_cmpx_lt_u32_e64 v164, v115
	s_cbranch_execz .LBB1044_465
; %bb.464:
	v_bfe_i32 v165, v161, 0, 16
	v_bfe_i32 v176, v162, 0, 16
	v_ashrrev_i32_e32 v166, 31, v165
	v_ashrrev_i32_e32 v177, 31, v176
	v_lshlrev_b64 v[165:166], 1, v[165:166]
	v_lshlrev_b64 v[176:177], 1, v[176:177]
	v_add_co_u32 v165, vcc_lo, v6, v165
	v_add_co_ci_u32_e64 v166, null, v7, v166, vcc_lo
	v_add_co_u32 v176, vcc_lo, v6, v176
	v_add_co_ci_u32_e64 v177, null, v7, v177, vcc_lo
	s_clause 0x1
	flat_load_ushort v165, v[165:166]
	flat_load_ushort v166, v[176:177]
	s_waitcnt vmcnt(0) lgkmcnt(0)
	v_cmp_ge_i16_e32 vcc_lo, v165, v166
	s_and_b32 s24, vcc_lo, exec_lo
.LBB1044_465:
	s_or_b32 exec_lo, exec_lo, s20
	s_orn2_b32 s20, s24, exec_lo
.LBB1044_466:
	s_or_b32 exec_lo, exec_lo, s23
	v_cndmask_b32_e64 v165, v163, v164, s20
	v_cndmask_b32_e64 v166, v114, v115, s20
	s_mov_b32 s23, exec_lo
	v_add_nc_u32_e32 v167, 1, v165
	v_add_nc_u32_e32 v165, -1, v166
	v_cndmask_b32_e64 v166, v164, v167, s20
	v_min_u32_e32 v165, v167, v165
	v_lshl_add_u32 v165, v165, 1, v112
	ds_read_u16 v176, v165
	v_cndmask_b32_e64 v165, v167, v163, s20
	s_waitcnt lgkmcnt(0)
	v_cndmask_b32_e64 v163, v176, v161, s20
	v_cndmask_b32_e64 v164, v162, v176, s20
	v_cmpx_lt_u32_e64 v165, v114
	s_cbranch_execz .LBB1044_470
; %bb.467:
	s_mov_b32 s24, 0
	s_mov_b32 s22, exec_lo
	v_cmpx_lt_u32_e64 v166, v115
	s_cbranch_execz .LBB1044_469
; %bb.468:
	v_bfe_i32 v176, v163, 0, 16
	v_bfe_i32 v178, v164, 0, 16
	v_ashrrev_i32_e32 v177, 31, v176
	v_ashrrev_i32_e32 v179, 31, v178
	v_lshlrev_b64 v[176:177], 1, v[176:177]
	v_lshlrev_b64 v[178:179], 1, v[178:179]
	v_add_co_u32 v176, vcc_lo, v6, v176
	v_add_co_ci_u32_e64 v177, null, v7, v177, vcc_lo
	v_add_co_u32 v178, vcc_lo, v6, v178
	v_add_co_ci_u32_e64 v179, null, v7, v179, vcc_lo
	s_clause 0x1
	flat_load_ushort v167, v[176:177]
	flat_load_ushort v176, v[178:179]
	s_waitcnt vmcnt(0) lgkmcnt(0)
	v_cmp_ge_i16_e32 vcc_lo, v167, v176
	s_and_b32 s24, vcc_lo, exec_lo
.LBB1044_469:
	s_or_b32 exec_lo, exec_lo, s22
	s_orn2_b32 s22, s24, exec_lo
.LBB1044_470:
	s_or_b32 exec_lo, exec_lo, s23
	v_cndmask_b32_e64 v167, v165, v166, s22
	v_cndmask_b32_e64 v176, v114, v115, s22
	s_mov_b32 s24, -1
	s_mov_b32 s23, -1
	s_mov_b32 s25, exec_lo
	v_add_nc_u32_e32 v177, 1, v167
	v_add_nc_u32_e32 v167, -1, v176
	v_cndmask_b32_e64 v176, v166, v177, s22
	v_min_u32_e32 v167, v177, v167
	v_lshl_add_u32 v167, v167, 1, v112
	ds_read_u16 v178, v167
	v_cndmask_b32_e64 v167, v177, v165, s22
	s_waitcnt lgkmcnt(0)
	v_cndmask_b32_e64 v165, v178, v163, s22
	v_cndmask_b32_e64 v166, v164, v178, s22
	v_cmpx_lt_u32_e64 v167, v114
	s_cbranch_execz .LBB1044_474
; %bb.471:
	s_mov_b32 s26, 0
	s_mov_b32 s23, exec_lo
	v_cmpx_lt_u32_e64 v176, v115
	s_cbranch_execz .LBB1044_473
; %bb.472:
	v_bfe_i32 v177, v165, 0, 16
	v_bfe_i32 v179, v166, 0, 16
	v_ashrrev_i32_e32 v178, 31, v177
	v_ashrrev_i32_e32 v180, 31, v179
	v_lshlrev_b64 v[177:178], 1, v[177:178]
	v_lshlrev_b64 v[179:180], 1, v[179:180]
	v_add_co_u32 v177, vcc_lo, v6, v177
	v_add_co_ci_u32_e64 v178, null, v7, v178, vcc_lo
	v_add_co_u32 v179, vcc_lo, v6, v179
	v_add_co_ci_u32_e64 v180, null, v7, v180, vcc_lo
	s_clause 0x1
	flat_load_ushort v177, v[177:178]
	flat_load_ushort v178, v[179:180]
	s_waitcnt vmcnt(0) lgkmcnt(0)
	v_cmp_ge_i16_e32 vcc_lo, v177, v178
	s_and_b32 s26, vcc_lo, exec_lo
.LBB1044_473:
	s_or_b32 exec_lo, exec_lo, s23
	s_orn2_b32 s23, s26, exec_lo
.LBB1044_474:
	s_or_b32 exec_lo, exec_lo, s25
	v_cndmask_b32_e64 v177, v167, v176, s23
	v_cndmask_b32_e64 v178, v114, v115, s23
	s_mov_b32 s25, exec_lo
	v_add_nc_u32_e32 v179, 1, v177
	v_add_nc_u32_e32 v177, -1, v178
	v_cndmask_b32_e64 v178, v176, v179, s23
	v_min_u32_e32 v177, v179, v177
	v_lshl_add_u32 v177, v177, 1, v112
	ds_read_u16 v180, v177
	v_cndmask_b32_e64 v177, v179, v167, s23
	s_waitcnt lgkmcnt(0)
	v_cndmask_b32_e64 v167, v180, v165, s23
	v_cndmask_b32_e64 v176, v166, v180, s23
	v_cmpx_lt_u32_e64 v177, v114
	s_cbranch_execz .LBB1044_478
; %bb.475:
	s_mov_b32 s26, 0
	s_mov_b32 s24, exec_lo
	v_cmpx_lt_u32_e64 v178, v115
	s_cbranch_execz .LBB1044_477
; %bb.476:
	v_bfe_i32 v179, v167, 0, 16
	v_bfe_i32 v181, v176, 0, 16
	v_ashrrev_i32_e32 v180, 31, v179
	v_ashrrev_i32_e32 v182, 31, v181
	v_lshlrev_b64 v[179:180], 1, v[179:180]
	v_lshlrev_b64 v[181:182], 1, v[181:182]
	v_add_co_u32 v179, vcc_lo, v6, v179
	v_add_co_ci_u32_e64 v180, null, v7, v180, vcc_lo
	v_add_co_u32 v181, vcc_lo, v6, v181
	v_add_co_ci_u32_e64 v182, null, v7, v182, vcc_lo
	s_clause 0x1
	flat_load_ushort v179, v[179:180]
	flat_load_ushort v180, v[181:182]
	s_waitcnt vmcnt(0) lgkmcnt(0)
	v_cmp_ge_i16_e32 vcc_lo, v179, v180
	s_and_b32 s26, vcc_lo, exec_lo
.LBB1044_477:
	s_or_b32 exec_lo, exec_lo, s24
	s_orn2_b32 s24, s26, exec_lo
.LBB1044_478:
	s_or_b32 exec_lo, exec_lo, s25
	v_cndmask_b32_e64 v179, v177, v178, s24
	v_cndmask_b32_e64 v180, v114, v115, s24
	s_mov_b32 s26, -1
	s_mov_b32 s25, -1
	s_mov_b32 s27, exec_lo
	v_add_nc_u32_e32 v181, 1, v179
	v_add_nc_u32_e32 v179, -1, v180
	v_cndmask_b32_e64 v180, v178, v181, s24
	v_min_u32_e32 v179, v181, v179
	v_lshl_add_u32 v179, v179, 1, v112
	ds_read_u16 v182, v179
	v_cndmask_b32_e64 v179, v181, v177, s24
	s_waitcnt lgkmcnt(0)
	v_cndmask_b32_e64 v177, v182, v167, s24
	v_cndmask_b32_e64 v178, v176, v182, s24
	v_cmpx_lt_u32_e64 v179, v114
	s_cbranch_execz .LBB1044_482
; %bb.479:
	s_mov_b32 s28, 0
	s_mov_b32 s25, exec_lo
	v_cmpx_lt_u32_e64 v180, v115
	s_cbranch_execz .LBB1044_481
; %bb.480:
	v_bfe_i32 v181, v177, 0, 16
	v_bfe_i32 v192, v178, 0, 16
	v_ashrrev_i32_e32 v182, 31, v181
	v_ashrrev_i32_e32 v193, 31, v192
	v_lshlrev_b64 v[181:182], 1, v[181:182]
	v_lshlrev_b64 v[192:193], 1, v[192:193]
	v_add_co_u32 v181, vcc_lo, v6, v181
	v_add_co_ci_u32_e64 v182, null, v7, v182, vcc_lo
	v_add_co_u32 v192, vcc_lo, v6, v192
	v_add_co_ci_u32_e64 v193, null, v7, v193, vcc_lo
	s_clause 0x1
	flat_load_ushort v181, v[181:182]
	flat_load_ushort v182, v[192:193]
	s_waitcnt vmcnt(0) lgkmcnt(0)
	v_cmp_ge_i16_e32 vcc_lo, v181, v182
	s_and_b32 s28, vcc_lo, exec_lo
.LBB1044_481:
	s_or_b32 exec_lo, exec_lo, s25
	s_orn2_b32 s25, s28, exec_lo
.LBB1044_482:
	s_or_b32 exec_lo, exec_lo, s27
	v_cndmask_b32_e64 v181, v179, v180, s25
	v_cndmask_b32_e64 v182, v114, v115, s25
	s_mov_b32 s27, exec_lo
	v_add_nc_u32_e32 v181, 1, v181
	v_add_nc_u32_e32 v182, -1, v182
	v_cndmask_b32_e64 v179, v181, v179, s25
	v_min_u32_e32 v182, v181, v182
	v_cndmask_b32_e64 v181, v180, v181, s25
	v_lshl_add_u32 v182, v182, 1, v112
	ds_read_u16 v182, v182
	s_waitcnt lgkmcnt(0)
	v_cndmask_b32_e64 v180, v182, v177, s25
	v_cndmask_b32_e64 v193, v178, v182, s25
	v_cmpx_lt_u32_e64 v179, v114
	s_cbranch_execz .LBB1044_486
; %bb.483:
	s_mov_b32 s28, 0
	s_mov_b32 s26, exec_lo
	v_cmpx_lt_u32_e64 v181, v115
	s_cbranch_execz .LBB1044_485
; %bb.484:
	v_bfe_i32 v182, v180, 0, 16
	v_bfe_i32 v194, v193, 0, 16
	v_ashrrev_i32_e32 v183, 31, v182
	v_ashrrev_i32_e32 v195, 31, v194
	v_lshlrev_b64 v[182:183], 1, v[182:183]
	v_lshlrev_b64 v[194:195], 1, v[194:195]
	v_add_co_u32 v182, vcc_lo, v6, v182
	v_add_co_ci_u32_e64 v183, null, v7, v183, vcc_lo
	v_add_co_u32 v194, vcc_lo, v6, v194
	v_add_co_ci_u32_e64 v195, null, v7, v195, vcc_lo
	s_clause 0x1
	flat_load_ushort v182, v[182:183]
	flat_load_ushort v183, v[194:195]
	s_waitcnt vmcnt(0) lgkmcnt(0)
	v_cmp_ge_i16_e32 vcc_lo, v182, v183
	s_and_b32 s28, vcc_lo, exec_lo
.LBB1044_485:
	s_or_b32 exec_lo, exec_lo, s26
	s_orn2_b32 s26, s28, exec_lo
.LBB1044_486:
	s_or_b32 exec_lo, exec_lo, s27
	v_cndmask_b32_e64 v182, v179, v181, s26
	v_cndmask_b32_e64 v183, v114, v115, s26
	s_mov_b32 s28, -1
	s_mov_b32 s27, -1
	s_mov_b32 s29, exec_lo
	v_add_nc_u32_e32 v182, 1, v182
	v_add_nc_u32_e32 v183, -1, v183
	v_cndmask_b32_e64 v179, v182, v179, s26
	v_min_u32_e32 v183, v182, v183
	v_cndmask_b32_e64 v181, v181, v182, s26
	v_lshl_add_u32 v183, v183, 1, v112
	ds_read_u16 v183, v183
	s_waitcnt lgkmcnt(0)
	v_cndmask_b32_e64 v194, v183, v180, s26
	v_cndmask_b32_e64 v210, v193, v183, s26
	v_cmpx_lt_u32_e64 v179, v114
	s_cbranch_execz .LBB1044_490
; %bb.487:
	s_mov_b32 s40, 0
	s_mov_b32 s27, exec_lo
	v_cmpx_lt_u32_e64 v181, v115
	s_cbranch_execz .LBB1044_489
; %bb.488:
	v_bfe_i32 v182, v194, 0, 16
	v_bfe_i32 v195, v210, 0, 16
	v_ashrrev_i32_e32 v183, 31, v182
	v_ashrrev_i32_e32 v196, 31, v195
	v_lshlrev_b64 v[182:183], 1, v[182:183]
	v_lshlrev_b64 v[195:196], 1, v[195:196]
	v_add_co_u32 v182, vcc_lo, v6, v182
	v_add_co_ci_u32_e64 v183, null, v7, v183, vcc_lo
	v_add_co_u32 v195, vcc_lo, v6, v195
	v_add_co_ci_u32_e64 v196, null, v7, v196, vcc_lo
	s_clause 0x1
	flat_load_ushort v182, v[182:183]
	flat_load_ushort v183, v[195:196]
	s_waitcnt vmcnt(0) lgkmcnt(0)
	v_cmp_ge_i16_e32 vcc_lo, v182, v183
	s_and_b32 s40, vcc_lo, exec_lo
.LBB1044_489:
	s_or_b32 exec_lo, exec_lo, s27
	s_orn2_b32 s27, s40, exec_lo
.LBB1044_490:
	s_or_b32 exec_lo, exec_lo, s29
	v_cndmask_b32_e64 v182, v179, v181, s27
	v_cndmask_b32_e64 v183, v114, v115, s27
	s_mov_b32 s29, exec_lo
	v_add_nc_u32_e32 v182, 1, v182
	v_add_nc_u32_e32 v183, -1, v183
	v_cndmask_b32_e64 v179, v182, v179, s27
	v_min_u32_e32 v183, v182, v183
	v_cndmask_b32_e64 v181, v181, v182, s27
	v_lshl_add_u32 v183, v183, 1, v112
	ds_read_u16 v183, v183
	s_waitcnt lgkmcnt(0)
	v_cndmask_b32_e64 v199, v183, v194, s27
	v_cndmask_b32_e64 v211, v210, v183, s27
	v_cmpx_lt_u32_e64 v179, v114
	s_cbranch_execz .LBB1044_494
; %bb.491:
	s_mov_b32 s40, 0
	s_mov_b32 s28, exec_lo
	v_cmpx_lt_u32_e64 v181, v115
	s_cbranch_execz .LBB1044_493
; %bb.492:
	v_bfe_i32 v182, v199, 0, 16
	v_bfe_i32 v195, v211, 0, 16
	v_ashrrev_i32_e32 v183, 31, v182
	v_ashrrev_i32_e32 v196, 31, v195
	v_lshlrev_b64 v[182:183], 1, v[182:183]
	v_lshlrev_b64 v[195:196], 1, v[195:196]
	v_add_co_u32 v182, vcc_lo, v6, v182
	v_add_co_ci_u32_e64 v183, null, v7, v183, vcc_lo
	v_add_co_u32 v195, vcc_lo, v6, v195
	v_add_co_ci_u32_e64 v196, null, v7, v196, vcc_lo
	s_clause 0x1
	flat_load_ushort v182, v[182:183]
	flat_load_ushort v183, v[195:196]
	s_waitcnt vmcnt(0) lgkmcnt(0)
	v_cmp_ge_i16_e32 vcc_lo, v182, v183
	s_and_b32 s40, vcc_lo, exec_lo
.LBB1044_493:
	s_or_b32 exec_lo, exec_lo, s28
	s_orn2_b32 s28, s40, exec_lo
.LBB1044_494:
	s_or_b32 exec_lo, exec_lo, s29
	v_cndmask_b32_e64 v182, v179, v181, s28
	v_cndmask_b32_e64 v183, v114, v115, s28
	s_mov_b32 s40, -1
	s_mov_b32 s29, -1
	s_mov_b32 s41, exec_lo
	v_add_nc_u32_e32 v182, 1, v182
	v_add_nc_u32_e32 v183, -1, v183
	v_cndmask_b32_e64 v179, v182, v179, s28
	v_min_u32_e32 v183, v182, v183
	v_cndmask_b32_e64 v181, v181, v182, s28
	v_lshl_add_u32 v183, v183, 1, v112
	ds_read_u16 v183, v183
	s_waitcnt lgkmcnt(0)
	v_cndmask_b32_e64 v212, v183, v199, s28
	v_cndmask_b32_e64 v213, v211, v183, s28
	v_cmpx_lt_u32_e64 v179, v114
	s_cbranch_execz .LBB1044_498
; %bb.495:
	s_mov_b32 s42, 0
	s_mov_b32 s29, exec_lo
	v_cmpx_lt_u32_e64 v181, v115
	s_cbranch_execz .LBB1044_497
; %bb.496:
	v_bfe_i32 v182, v212, 0, 16
	v_bfe_i32 v195, v213, 0, 16
	v_ashrrev_i32_e32 v183, 31, v182
	v_ashrrev_i32_e32 v196, 31, v195
	v_lshlrev_b64 v[182:183], 1, v[182:183]
	v_lshlrev_b64 v[195:196], 1, v[195:196]
	v_add_co_u32 v182, vcc_lo, v6, v182
	v_add_co_ci_u32_e64 v183, null, v7, v183, vcc_lo
	v_add_co_u32 v195, vcc_lo, v6, v195
	v_add_co_ci_u32_e64 v196, null, v7, v196, vcc_lo
	s_clause 0x1
	flat_load_ushort v182, v[182:183]
	flat_load_ushort v183, v[195:196]
	s_waitcnt vmcnt(0) lgkmcnt(0)
	v_cmp_ge_i16_e32 vcc_lo, v182, v183
	s_and_b32 s42, vcc_lo, exec_lo
.LBB1044_497:
	s_or_b32 exec_lo, exec_lo, s29
	s_orn2_b32 s29, s42, exec_lo
.LBB1044_498:
	s_or_b32 exec_lo, exec_lo, s41
	v_cndmask_b32_e64 v182, v179, v181, s29
	v_cndmask_b32_e64 v183, v114, v115, s29
	s_mov_b32 s41, exec_lo
	v_add_nc_u32_e32 v182, 1, v182
	v_add_nc_u32_e32 v183, -1, v183
	v_cndmask_b32_e64 v179, v182, v179, s29
	v_min_u32_e32 v183, v182, v183
	v_cndmask_b32_e64 v181, v181, v182, s29
	v_lshl_add_u32 v183, v183, 1, v112
	ds_read_u16 v183, v183
	s_waitcnt lgkmcnt(0)
	v_cndmask_b32_e64 v208, v183, v212, s29
	v_cndmask_b32_e64 v214, v213, v183, s29
	v_cmpx_lt_u32_e64 v179, v114
	s_cbranch_execz .LBB1044_502
; %bb.499:
	s_mov_b32 s42, 0
	s_mov_b32 s40, exec_lo
	v_cmpx_lt_u32_e64 v181, v115
	s_cbranch_execz .LBB1044_501
; %bb.500:
	v_bfe_i32 v182, v208, 0, 16
	v_bfe_i32 v195, v214, 0, 16
	v_ashrrev_i32_e32 v183, 31, v182
	v_ashrrev_i32_e32 v196, 31, v195
	v_lshlrev_b64 v[182:183], 1, v[182:183]
	v_lshlrev_b64 v[195:196], 1, v[195:196]
	v_add_co_u32 v182, vcc_lo, v6, v182
	v_add_co_ci_u32_e64 v183, null, v7, v183, vcc_lo
	v_add_co_u32 v195, vcc_lo, v6, v195
	v_add_co_ci_u32_e64 v196, null, v7, v196, vcc_lo
	s_clause 0x1
	flat_load_ushort v182, v[182:183]
	flat_load_ushort v183, v[195:196]
	s_waitcnt vmcnt(0) lgkmcnt(0)
	v_cmp_ge_i16_e32 vcc_lo, v182, v183
	s_and_b32 s42, vcc_lo, exec_lo
.LBB1044_501:
	s_or_b32 exec_lo, exec_lo, s40
	s_orn2_b32 s40, s42, exec_lo
.LBB1044_502:
	s_or_b32 exec_lo, exec_lo, s41
	v_cndmask_b32_e64 v182, v179, v181, s40
	v_cndmask_b32_e64 v183, v114, v115, s40
	s_mov_b32 s42, -1
	s_mov_b32 s41, -1
	s_mov_b32 s43, exec_lo
	v_add_nc_u32_e32 v182, 1, v182
	v_add_nc_u32_e32 v183, -1, v183
	v_cndmask_b32_e64 v179, v182, v179, s40
	v_min_u32_e32 v183, v182, v183
	v_cndmask_b32_e64 v181, v181, v182, s40
	v_lshl_add_u32 v183, v183, 1, v112
	ds_read_u16 v183, v183
	s_waitcnt lgkmcnt(0)
	v_cndmask_b32_e64 v209, v183, v208, s40
	v_cndmask_b32_e64 v215, v214, v183, s40
	v_cmpx_lt_u32_e64 v179, v114
	s_cbranch_execz .LBB1044_506
; %bb.503:
	s_mov_b32 s44, 0
	s_mov_b32 s41, exec_lo
	v_cmpx_lt_u32_e64 v181, v115
	s_cbranch_execz .LBB1044_505
; %bb.504:
	v_bfe_i32 v182, v209, 0, 16
	v_bfe_i32 v195, v215, 0, 16
	v_ashrrev_i32_e32 v183, 31, v182
	v_ashrrev_i32_e32 v196, 31, v195
	v_lshlrev_b64 v[182:183], 1, v[182:183]
	v_lshlrev_b64 v[195:196], 1, v[195:196]
	v_add_co_u32 v182, vcc_lo, v6, v182
	v_add_co_ci_u32_e64 v183, null, v7, v183, vcc_lo
	v_add_co_u32 v195, vcc_lo, v6, v195
	v_add_co_ci_u32_e64 v196, null, v7, v196, vcc_lo
	s_clause 0x1
	flat_load_ushort v182, v[182:183]
	flat_load_ushort v183, v[195:196]
	s_waitcnt vmcnt(0) lgkmcnt(0)
	v_cmp_ge_i16_e32 vcc_lo, v182, v183
	s_and_b32 s44, vcc_lo, exec_lo
.LBB1044_505:
	s_or_b32 exec_lo, exec_lo, s41
	s_orn2_b32 s41, s44, exec_lo
.LBB1044_506:
	s_or_b32 exec_lo, exec_lo, s43
	v_cndmask_b32_e64 v182, v179, v181, s41
	v_cndmask_b32_e64 v183, v114, v115, s41
	s_mov_b32 s43, exec_lo
	v_add_nc_u32_e32 v182, 1, v182
	v_add_nc_u32_e32 v183, -1, v183
	v_cndmask_b32_e64 v179, v182, v179, s41
	v_min_u32_e32 v183, v182, v183
	v_cndmask_b32_e64 v181, v181, v182, s41
	v_lshl_add_u32 v183, v183, 1, v112
	ds_read_u16 v183, v183
	s_waitcnt lgkmcnt(0)
	v_cndmask_b32_e64 v197, v183, v209, s41
	v_cndmask_b32_e64 v224, v215, v183, s41
	v_cmpx_lt_u32_e64 v179, v114
	s_cbranch_execz .LBB1044_510
; %bb.507:
	s_mov_b32 s44, 0
	s_mov_b32 s42, exec_lo
	v_cmpx_lt_u32_e64 v181, v115
	s_cbranch_execz .LBB1044_509
; %bb.508:
	v_bfe_i32 v182, v197, 0, 16
	v_bfe_i32 v195, v224, 0, 16
	v_ashrrev_i32_e32 v183, 31, v182
	v_ashrrev_i32_e32 v196, 31, v195
	v_lshlrev_b64 v[182:183], 1, v[182:183]
	v_lshlrev_b64 v[195:196], 1, v[195:196]
	v_add_co_u32 v182, vcc_lo, v6, v182
	v_add_co_ci_u32_e64 v183, null, v7, v183, vcc_lo
	v_add_co_u32 v195, vcc_lo, v6, v195
	v_add_co_ci_u32_e64 v196, null, v7, v196, vcc_lo
	s_clause 0x1
	flat_load_ushort v182, v[182:183]
	flat_load_ushort v183, v[195:196]
	s_waitcnt vmcnt(0) lgkmcnt(0)
	v_cmp_ge_i16_e32 vcc_lo, v182, v183
	s_and_b32 s44, vcc_lo, exec_lo
.LBB1044_509:
	s_or_b32 exec_lo, exec_lo, s42
	s_orn2_b32 s42, s44, exec_lo
.LBB1044_510:
	s_or_b32 exec_lo, exec_lo, s43
	v_cndmask_b32_e64 v182, v179, v181, s42
	v_cndmask_b32_e64 v183, v114, v115, s42
	s_mov_b32 s44, -1
	s_mov_b32 s43, -1
	s_mov_b32 s45, exec_lo
	v_add_nc_u32_e32 v182, 1, v182
	v_add_nc_u32_e32 v183, -1, v183
	v_cndmask_b32_e64 v179, v182, v179, s42
	v_min_u32_e32 v183, v182, v183
	v_cndmask_b32_e64 v181, v181, v182, s42
	v_lshl_add_u32 v183, v183, 1, v112
	ds_read_u16 v183, v183
	s_waitcnt lgkmcnt(0)
	v_cndmask_b32_e64 v198, v183, v197, s42
	v_cndmask_b32_e64 v225, v224, v183, s42
	v_cmpx_lt_u32_e64 v179, v114
	s_cbranch_execz .LBB1044_514
; %bb.511:
	s_mov_b32 s46, 0
	s_mov_b32 s43, exec_lo
	v_cmpx_lt_u32_e64 v181, v115
	s_cbranch_execz .LBB1044_513
; %bb.512:
	v_bfe_i32 v182, v198, 0, 16
	v_bfe_i32 v195, v225, 0, 16
	v_ashrrev_i32_e32 v183, 31, v182
	v_ashrrev_i32_e32 v196, 31, v195
	v_lshlrev_b64 v[182:183], 1, v[182:183]
	v_lshlrev_b64 v[195:196], 1, v[195:196]
	v_add_co_u32 v182, vcc_lo, v6, v182
	v_add_co_ci_u32_e64 v183, null, v7, v183, vcc_lo
	v_add_co_u32 v195, vcc_lo, v6, v195
	v_add_co_ci_u32_e64 v196, null, v7, v196, vcc_lo
	s_clause 0x1
	flat_load_ushort v182, v[182:183]
	flat_load_ushort v183, v[195:196]
	s_waitcnt vmcnt(0) lgkmcnt(0)
	v_cmp_ge_i16_e32 vcc_lo, v182, v183
	s_and_b32 s46, vcc_lo, exec_lo
.LBB1044_513:
	s_or_b32 exec_lo, exec_lo, s43
	s_orn2_b32 s43, s46, exec_lo
.LBB1044_514:
	s_or_b32 exec_lo, exec_lo, s45
	v_cndmask_b32_e64 v182, v179, v181, s43
	v_cndmask_b32_e64 v183, v114, v115, s43
	s_mov_b32 s45, exec_lo
	v_add_nc_u32_e32 v182, 1, v182
	v_add_nc_u32_e32 v183, -1, v183
	v_cndmask_b32_e64 v179, v182, v179, s43
	v_min_u32_e32 v183, v182, v183
	v_cndmask_b32_e64 v181, v181, v182, s43
	v_lshl_add_u32 v183, v183, 1, v112
	ds_read_u16 v183, v183
	s_waitcnt lgkmcnt(0)
	v_cndmask_b32_e64 v196, v183, v198, s43
	v_cndmask_b32_e64 v226, v225, v183, s43
	v_cmpx_lt_u32_e64 v179, v114
	s_cbranch_execz .LBB1044_518
; %bb.515:
	s_mov_b32 s46, 0
	s_mov_b32 s44, exec_lo
	v_cmpx_lt_u32_e64 v181, v115
	s_cbranch_execz .LBB1044_517
; %bb.516:
	v_bfe_i32 v182, v196, 0, 16
	v_bfe_i32 v227, v226, 0, 16
	v_ashrrev_i32_e32 v183, 31, v182
	v_ashrrev_i32_e32 v228, 31, v227
	v_lshlrev_b64 v[182:183], 1, v[182:183]
	v_lshlrev_b64 v[227:228], 1, v[227:228]
	v_add_co_u32 v182, vcc_lo, v6, v182
	v_add_co_ci_u32_e64 v183, null, v7, v183, vcc_lo
	v_add_co_u32 v227, vcc_lo, v6, v227
	v_add_co_ci_u32_e64 v228, null, v7, v228, vcc_lo
	s_clause 0x1
	flat_load_ushort v182, v[182:183]
	flat_load_ushort v183, v[227:228]
	s_waitcnt vmcnt(0) lgkmcnt(0)
	v_cmp_ge_i16_e32 vcc_lo, v182, v183
	s_and_b32 s46, vcc_lo, exec_lo
.LBB1044_517:
	s_or_b32 exec_lo, exec_lo, s44
	s_orn2_b32 s44, s46, exec_lo
.LBB1044_518:
	s_or_b32 exec_lo, exec_lo, s45
	v_cndmask_b32_e64 v182, v179, v181, s44
	v_cndmask_b32_e64 v183, v114, v115, s44
	s_mov_b32 s46, -1
	s_mov_b32 s45, -1
	s_mov_b32 s47, exec_lo
	v_add_nc_u32_e32 v182, 1, v182
	v_add_nc_u32_e32 v183, -1, v183
	v_cndmask_b32_e64 v179, v182, v179, s44
	v_min_u32_e32 v183, v182, v183
	v_cndmask_b32_e64 v181, v181, v182, s44
	v_lshl_add_u32 v183, v183, 1, v112
	ds_read_u16 v183, v183
	s_waitcnt lgkmcnt(0)
	v_cndmask_b32_e64 v195, v183, v196, s44
	v_cndmask_b32_e64 v227, v226, v183, s44
	v_cmpx_lt_u32_e64 v179, v114
	s_cbranch_execz .LBB1044_522
; %bb.519:
	s_mov_b32 s56, 0
	s_mov_b32 s45, exec_lo
	v_cmpx_lt_u32_e64 v181, v115
	s_cbranch_execz .LBB1044_521
; %bb.520:
	v_bfe_i32 v182, v195, 0, 16
	v_bfe_i32 v228, v227, 0, 16
	v_ashrrev_i32_e32 v183, 31, v182
	v_ashrrev_i32_e32 v229, 31, v228
	v_lshlrev_b64 v[182:183], 1, v[182:183]
	v_lshlrev_b64 v[228:229], 1, v[228:229]
	v_add_co_u32 v182, vcc_lo, v6, v182
	v_add_co_ci_u32_e64 v183, null, v7, v183, vcc_lo
	v_add_co_u32 v228, vcc_lo, v6, v228
	v_add_co_ci_u32_e64 v229, null, v7, v229, vcc_lo
	s_clause 0x1
	flat_load_ushort v182, v[182:183]
	flat_load_ushort v183, v[228:229]
	s_waitcnt vmcnt(0) lgkmcnt(0)
	v_cmp_ge_i16_e32 vcc_lo, v182, v183
	s_and_b32 s56, vcc_lo, exec_lo
.LBB1044_521:
	s_or_b32 exec_lo, exec_lo, s45
	s_orn2_b32 s45, s56, exec_lo
.LBB1044_522:
	s_or_b32 exec_lo, exec_lo, s47
	v_cndmask_b32_e64 v182, v179, v181, s45
	v_cndmask_b32_e64 v183, v114, v115, s45
	s_mov_b32 s47, exec_lo
	v_add_nc_u32_e32 v182, 1, v182
	v_add_nc_u32_e32 v183, -1, v183
	v_cndmask_b32_e64 v179, v182, v179, s45
	v_min_u32_e32 v183, v182, v183
	v_cndmask_b32_e64 v181, v181, v182, s45
	v_lshl_add_u32 v183, v183, 1, v112
	ds_read_u16 v183, v183
	s_waitcnt lgkmcnt(0)
	v_cndmask_b32_e64 v192, v183, v195, s45
	v_cndmask_b32_e64 v228, v227, v183, s45
	v_cmpx_lt_u32_e64 v179, v114
	s_cbranch_execz .LBB1044_526
; %bb.523:
	s_mov_b32 s56, 0
	s_mov_b32 s46, exec_lo
	v_cmpx_lt_u32_e64 v181, v115
	s_cbranch_execz .LBB1044_525
; %bb.524:
	v_bfe_i32 v182, v192, 0, 16
	v_bfe_i32 v229, v228, 0, 16
	v_ashrrev_i32_e32 v183, 31, v182
	v_ashrrev_i32_e32 v230, 31, v229
	v_lshlrev_b64 v[182:183], 1, v[182:183]
	v_lshlrev_b64 v[229:230], 1, v[229:230]
	v_add_co_u32 v182, vcc_lo, v6, v182
	v_add_co_ci_u32_e64 v183, null, v7, v183, vcc_lo
	v_add_co_u32 v229, vcc_lo, v6, v229
	v_add_co_ci_u32_e64 v230, null, v7, v230, vcc_lo
	s_clause 0x1
	flat_load_ushort v182, v[182:183]
	flat_load_ushort v183, v[229:230]
	s_waitcnt vmcnt(0) lgkmcnt(0)
	v_cmp_ge_i16_e32 vcc_lo, v182, v183
	s_and_b32 s56, vcc_lo, exec_lo
.LBB1044_525:
	s_or_b32 exec_lo, exec_lo, s46
	s_orn2_b32 s46, s56, exec_lo
.LBB1044_526:
	s_or_b32 exec_lo, exec_lo, s47
	v_cndmask_b32_e64 v182, v179, v181, s46
	v_cndmask_b32_e64 v183, v114, v115, s46
	s_mov_b32 s56, -1
	s_mov_b32 s47, -1
	s_mov_b32 s57, exec_lo
	v_add_nc_u32_e32 v182, 1, v182
	v_add_nc_u32_e32 v183, -1, v183
	v_cndmask_b32_e64 v179, v182, v179, s46
	v_min_u32_e32 v183, v182, v183
	v_cndmask_b32_e64 v181, v181, v182, s46
	v_lshl_add_u32 v183, v183, 1, v112
	ds_read_u16 v229, v183
	s_waitcnt lgkmcnt(0)
	v_cndmask_b32_e64 v183, v229, v192, s46
	v_cndmask_b32_e64 v229, v228, v229, s46
	v_cmpx_lt_u32_e64 v179, v114
	s_cbranch_execz .LBB1044_530
; %bb.527:
	s_mov_b32 s58, 0
	s_mov_b32 s47, exec_lo
	v_cmpx_lt_u32_e64 v181, v115
	s_cbranch_execz .LBB1044_529
; %bb.528:
	v_bfe_i32 v230, v183, 0, 16
	v_bfe_i32 v240, v229, 0, 16
	v_ashrrev_i32_e32 v231, 31, v230
	v_ashrrev_i32_e32 v241, 31, v240
	v_lshlrev_b64 v[230:231], 1, v[230:231]
	v_lshlrev_b64 v[240:241], 1, v[240:241]
	v_add_co_u32 v230, vcc_lo, v6, v230
	v_add_co_ci_u32_e64 v231, null, v7, v231, vcc_lo
	v_add_co_u32 v240, vcc_lo, v6, v240
	v_add_co_ci_u32_e64 v241, null, v7, v241, vcc_lo
	s_clause 0x1
	flat_load_ushort v182, v[230:231]
	flat_load_ushort v230, v[240:241]
	s_waitcnt vmcnt(0) lgkmcnt(0)
	v_cmp_ge_i16_e32 vcc_lo, v182, v230
	s_and_b32 s58, vcc_lo, exec_lo
.LBB1044_529:
	s_or_b32 exec_lo, exec_lo, s47
	s_orn2_b32 s47, s58, exec_lo
.LBB1044_530:
	s_or_b32 exec_lo, exec_lo, s57
	v_cndmask_b32_e64 v182, v179, v181, s47
	v_cndmask_b32_e64 v230, v114, v115, s47
	s_mov_b32 s57, exec_lo
	v_add_nc_u32_e32 v182, 1, v182
	v_add_nc_u32_e32 v230, -1, v230
	v_cndmask_b32_e64 v179, v182, v179, s47
	v_min_u32_e32 v230, v182, v230
	v_cndmask_b32_e64 v181, v181, v182, s47
	v_lshl_add_u32 v230, v230, 1, v112
	ds_read_u16 v230, v230
	s_waitcnt lgkmcnt(0)
	v_cndmask_b32_e64 v182, v230, v183, s47
	v_cndmask_b32_e64 v230, v229, v230, s47
	v_cmpx_lt_u32_e64 v179, v114
	s_cbranch_execz .LBB1044_534
; %bb.531:
	s_mov_b32 s58, 0
	s_mov_b32 s56, exec_lo
	v_cmpx_lt_u32_e64 v181, v115
	s_cbranch_execz .LBB1044_533
; %bb.532:
	v_bfe_i32 v240, v182, 0, 16
	v_bfe_i32 v242, v230, 0, 16
	v_ashrrev_i32_e32 v241, 31, v240
	v_ashrrev_i32_e32 v243, 31, v242
	v_lshlrev_b64 v[240:241], 1, v[240:241]
	v_lshlrev_b64 v[242:243], 1, v[242:243]
	v_add_co_u32 v240, vcc_lo, v6, v240
	v_add_co_ci_u32_e64 v241, null, v7, v241, vcc_lo
	v_add_co_u32 v242, vcc_lo, v6, v242
	v_add_co_ci_u32_e64 v243, null, v7, v243, vcc_lo
	s_clause 0x1
	flat_load_ushort v231, v[240:241]
	flat_load_ushort v240, v[242:243]
	s_waitcnt vmcnt(0) lgkmcnt(0)
	v_cmp_ge_i16_e32 vcc_lo, v231, v240
	s_and_b32 s58, vcc_lo, exec_lo
.LBB1044_533:
	s_or_b32 exec_lo, exec_lo, s56
	s_orn2_b32 s56, s58, exec_lo
.LBB1044_534:
	s_or_b32 exec_lo, exec_lo, s57
	v_cndmask_b32_e64 v231, v179, v181, s56
	v_cndmask_b32_e64 v240, v114, v115, s56
	s_mov_b32 s57, -1
	s_mov_b32 s58, -1
	s_mov_b32 s59, exec_lo
	v_add_nc_u32_e32 v231, 1, v231
	v_add_nc_u32_e32 v240, -1, v240
	v_cndmask_b32_e64 v179, v231, v179, s56
	v_min_u32_e32 v240, v231, v240
	v_lshl_add_u32 v240, v240, 1, v112
	ds_read_u16 v241, v240
	v_cndmask_b32_e64 v240, v181, v231, s56
	s_waitcnt lgkmcnt(0)
	v_cndmask_b32_e64 v181, v241, v182, s56
	v_cndmask_b32_e64 v231, v230, v241, s56
	v_cmpx_lt_u32_e64 v179, v114
	s_cbranch_execz .LBB1044_538
; %bb.535:
	s_mov_b32 s60, 0
	s_mov_b32 s58, exec_lo
	v_cmpx_lt_u32_e64 v240, v115
	s_cbranch_execz .LBB1044_537
; %bb.536:
	v_bfe_i32 v241, v181, 0, 16
	v_bfe_i32 v243, v231, 0, 16
	v_ashrrev_i32_e32 v242, 31, v241
	v_ashrrev_i32_e32 v244, 31, v243
	v_lshlrev_b64 v[241:242], 1, v[241:242]
	v_lshlrev_b64 v[243:244], 1, v[243:244]
	v_add_co_u32 v241, vcc_lo, v6, v241
	v_add_co_ci_u32_e64 v242, null, v7, v242, vcc_lo
	v_add_co_u32 v243, vcc_lo, v6, v243
	v_add_co_ci_u32_e64 v244, null, v7, v244, vcc_lo
	s_clause 0x1
	flat_load_ushort v241, v[241:242]
	flat_load_ushort v242, v[243:244]
	s_waitcnt vmcnt(0) lgkmcnt(0)
	v_cmp_ge_i16_e32 vcc_lo, v241, v242
	s_and_b32 s60, vcc_lo, exec_lo
.LBB1044_537:
	s_or_b32 exec_lo, exec_lo, s58
	s_orn2_b32 s58, s60, exec_lo
.LBB1044_538:
	s_or_b32 exec_lo, exec_lo, s59
	v_cndmask_b32_e64 v241, v179, v240, s58
	v_cndmask_b32_e64 v242, v114, v115, s58
	s_mov_b32 s59, exec_lo
	v_add_nc_u32_e32 v241, 1, v241
	v_add_nc_u32_e32 v242, -1, v242
	v_cndmask_b32_e64 v179, v241, v179, s58
	v_min_u32_e32 v242, v241, v242
	v_cndmask_b32_e64 v240, v240, v241, s58
	v_lshl_add_u32 v242, v242, 1, v112
	ds_read_u16 v242, v242
	s_waitcnt lgkmcnt(0)
	v_cndmask_b32_e64 v243, v242, v181, s58
	v_cndmask_b32_e64 v244, v231, v242, s58
	v_cmpx_lt_u32_e64 v179, v114
	s_cbranch_execz .LBB1044_542
; %bb.539:
	s_mov_b32 s60, 0
	s_mov_b32 s57, exec_lo
	v_cmpx_lt_u32_e64 v240, v115
	s_cbranch_execz .LBB1044_541
; %bb.540:
	v_bfe_i32 v241, v243, 0, 16
	v_bfe_i32 v245, v244, 0, 16
	v_ashrrev_i32_e32 v242, 31, v241
	v_ashrrev_i32_e32 v246, 31, v245
	v_lshlrev_b64 v[241:242], 1, v[241:242]
	v_lshlrev_b64 v[245:246], 1, v[245:246]
	v_add_co_u32 v241, vcc_lo, v6, v241
	v_add_co_ci_u32_e64 v242, null, v7, v242, vcc_lo
	v_add_co_u32 v245, vcc_lo, v6, v245
	v_add_co_ci_u32_e64 v246, null, v7, v246, vcc_lo
	s_clause 0x1
	flat_load_ushort v241, v[241:242]
	flat_load_ushort v242, v[245:246]
	s_waitcnt vmcnt(0) lgkmcnt(0)
	v_cmp_ge_i16_e32 vcc_lo, v241, v242
	s_and_b32 s60, vcc_lo, exec_lo
.LBB1044_541:
	s_or_b32 exec_lo, exec_lo, s57
	s_orn2_b32 s57, s60, exec_lo
.LBB1044_542:
	s_or_b32 exec_lo, exec_lo, s59
	v_cndmask_b32_e64 v241, v179, v240, s57
	v_cndmask_b32_e64 v242, v114, v115, s57
	s_mov_b32 s59, exec_lo
	v_add_nc_u32_e32 v241, 1, v241
	v_add_nc_u32_e32 v242, -1, v242
	v_min_u32_e32 v242, v241, v242
	v_lshl_add_u32 v112, v242, 1, v112
	v_cndmask_b32_e64 v242, v241, v179, s57
	ds_read_u16 v112, v112
	s_waitcnt lgkmcnt(0)
	v_cndmask_b32_e64 v179, v244, v112, s57
	v_cmpx_lt_u32_e64 v242, v114
	s_cbranch_execz .LBB1044_546
; %bb.543:
	v_cndmask_b32_e64 v114, v240, v241, s57
	v_cndmask_b32_e64 v112, v112, v243, s57
	s_mov_b32 s60, exec_lo
	v_cmpx_lt_u32_e64 v114, v115
	s_cbranch_execz .LBB1044_545
; %bb.544:
	v_bfe_i32 v114, v112, 0, 16
	v_bfe_i32 v240, v179, 0, 16
	v_ashrrev_i32_e32 v115, 31, v114
	v_ashrrev_i32_e32 v241, 31, v240
	v_lshlrev_b64 v[114:115], 1, v[114:115]
	v_lshlrev_b64 v[240:241], 1, v[240:241]
	v_add_co_u32 v114, vcc_lo, v6, v114
	v_add_co_ci_u32_e64 v115, null, v7, v115, vcc_lo
	v_add_co_u32 v240, vcc_lo, v6, v240
	v_add_co_ci_u32_e64 v241, null, v7, v241, vcc_lo
	s_clause 0x1
	flat_load_ushort v114, v[114:115]
	flat_load_ushort v115, v[240:241]
	s_waitcnt vmcnt(0) lgkmcnt(0)
	v_cmp_lt_i16_e32 vcc_lo, v114, v115
	v_cndmask_b32_e32 v112, v179, v112, vcc_lo
.LBB1044_545:
	s_or_b32 exec_lo, exec_lo, s60
	v_mov_b32_e32 v179, v112
.LBB1044_546:
	s_or_b32 exec_lo, exec_lo, s59
	v_cndmask_b32_e64 v181, v181, v231, s58
	v_cndmask_b32_e64 v182, v182, v230, s56
	;; [unrolled: 1-line block ×31, first 2 shown]
.LBB1044_547:
	s_or_b32 exec_lo, exec_lo, s5
	v_lshlrev_b32_e32 v112, 1, v11
	s_movk_i32 s5, 0x200
	; wave barrier
	s_waitcnt lgkmcnt(0)
	v_add_nc_u32_e32 v113, 2, v112
	v_add_nc_u32_e32 v114, 4, v112
	v_add_nc_u32_e32 v115, 6, v112
	v_add_nc_u32_e32 v116, 8, v112
	v_add_nc_u32_e32 v117, 10, v112
	v_add_nc_u32_e32 v118, 12, v112
	v_add_nc_u32_e32 v119, 14, v112
	v_add_nc_u32_e32 v128, 16, v112
	v_add_nc_u32_e32 v129, 18, v112
	v_add_nc_u32_e32 v130, 20, v112
	v_add_nc_u32_e32 v131, 22, v112
	v_add_nc_u32_e32 v132, 24, v112
	v_add_nc_u32_e32 v133, 26, v112
	v_add_nc_u32_e32 v134, 28, v112
	v_add_nc_u32_e32 v135, 30, v112
	v_add_nc_u32_e32 v144, 32, v112
	v_add_nc_u32_e32 v145, 34, v112
	v_add_nc_u32_e32 v146, 36, v112
	v_add_nc_u32_e32 v147, 38, v112
	v_add_nc_u32_e32 v148, 40, v112
	v_add_nc_u32_e32 v149, 42, v112
	v_add_nc_u32_e32 v150, 44, v112
	v_add_nc_u32_e32 v151, 46, v112
	v_add_nc_u32_e32 v160, 48, v112
	v_add_nc_u32_e32 v161, 50, v112
	v_add_nc_u32_e32 v162, 52, v112
	v_add_nc_u32_e32 v163, 54, v112
	v_add_nc_u32_e32 v164, 56, v112
	v_add_nc_u32_e32 v165, 58, v112
	v_add_nc_u32_e32 v166, 60, v112
	v_add_nc_u32_e32 v167, 62, v112
	s_barrier
	buffer_gl0_inv
.LBB1044_548:                           ; =>This Loop Header: Depth=1
                                        ;     Child Loop BB1044_550 Depth 2
	s_lshl_b32 s6, s5, 1
	ds_write_b16 v112, v193
	ds_write_b16 v113, v194
	;; [unrolled: 1-line block ×5, first 2 shown]
	s_sub_i32 s4, 0, s6
	ds_write_b16 v117, v241
	v_and_b32_e32 v178, s4, v11
	s_add_i32 s4, s6, -1
	ds_write_b16 v118, v228
	v_and_b32_e32 v243, s4, v11
	s_mov_b32 s4, exec_lo
	v_add_nc_u32_e32 v176, s5, v178
	ds_write_b16 v119, v231
	ds_write_b16 v128, v226
	;; [unrolled: 1-line block ×8, first 2 shown]
	v_min_u32_e32 v243, 0x2000, v243
	ds_write_b16 v135, v214
	ds_write_b16 v144, v210
	;; [unrolled: 1-line block ×4, first 2 shown]
	v_min_u32_e32 v176, 0x2000, v176
	ds_write_b16 v147, v212
	ds_write_b16 v148, v208
	ds_write_b16 v149, v209
	ds_write_b16 v150, v197
	ds_write_b16 v151, v198
	ds_write_b16 v160, v196
	ds_write_b16 v161, v195
	ds_write_b16 v162, v192
	v_add_nc_u32_e32 v177, s5, v176
	v_sub_nc_u32_e32 v245, v176, v178
	ds_write_b16 v163, v183
	ds_write_b16 v164, v182
	ds_write_b16 v165, v181
	ds_write_b16 v166, v180
	ds_write_b16 v167, v179
	s_waitcnt lgkmcnt(0)
	s_barrier
	v_min_u32_e32 v177, 0x2000, v177
	v_min_u32_e32 v245, v243, v245
	buffer_gl0_inv
	v_sub_nc_u32_e32 v244, v177, v176
	v_sub_nc_u32_e64 v244, v243, v244 clamp
	v_cmpx_lt_u32_e64 v244, v245
	s_cbranch_execz .LBB1044_552
; %bb.549:                              ;   in Loop: Header=BB1044_548 Depth=1
	v_lshlrev_b32_e32 v246, 1, v178
	v_lshlrev_b32_e32 v247, 1, v176
	s_mov_b32 s7, 0
	s_inst_prefetch 0x1
	.p2align	6
.LBB1044_550:                           ;   Parent Loop BB1044_548 Depth=1
                                        ; =>  This Inner Loop Header: Depth=2
	v_add_nc_u32_e32 v40, v245, v244
	v_lshrrev_b32_e32 v44, 1, v40
	v_and_b32_e32 v40, -2, v40
	v_xad_u32 v41, v44, -1, v243
	v_add_nc_u32_e32 v40, v246, v40
	v_lshl_add_u32 v41, v41, 1, v247
	ds_read_u16 v40, v40
	ds_read_u16 v41, v41
	s_waitcnt lgkmcnt(1)
	v_bfe_i32 v40, v40, 0, 16
	s_waitcnt lgkmcnt(0)
	v_bfe_i32 v42, v41, 0, 16
	v_ashrrev_i32_e32 v41, 31, v40
	v_ashrrev_i32_e32 v43, 31, v42
	v_lshlrev_b64 v[40:41], 1, v[40:41]
	v_lshlrev_b64 v[42:43], 1, v[42:43]
	v_add_co_u32 v40, vcc_lo, v6, v40
	v_add_co_ci_u32_e64 v41, null, v7, v41, vcc_lo
	v_add_co_u32 v42, vcc_lo, v6, v42
	v_add_co_ci_u32_e64 v43, null, v7, v43, vcc_lo
	s_clause 0x1
	flat_load_ushort v42, v[42:43]
	flat_load_ushort v40, v[40:41]
	v_add_nc_u32_e32 v41, 1, v44
	s_waitcnt vmcnt(0) lgkmcnt(0)
	v_cmp_lt_i16_e32 vcc_lo, v42, v40
	v_cndmask_b32_e32 v245, v245, v44, vcc_lo
	v_cndmask_b32_e32 v244, v41, v244, vcc_lo
	v_cmp_ge_u32_e32 vcc_lo, v244, v245
	s_or_b32 s7, vcc_lo, s7
	s_andn2_b32 exec_lo, exec_lo, s7
	s_cbranch_execnz .LBB1044_550
; %bb.551:                              ;   in Loop: Header=BB1044_548 Depth=1
	s_inst_prefetch 0x2
	s_or_b32 exec_lo, exec_lo, s7
.LBB1044_552:                           ;   in Loop: Header=BB1044_548 Depth=1
	s_or_b32 exec_lo, exec_lo, s4
	v_sub_nc_u32_e32 v245, v243, v244
	v_add_nc_u32_e32 v243, v244, v178
	v_add_nc_u32_e32 v244, v245, v176
	v_cmp_le_u32_e32 vcc_lo, v243, v176
	v_cmp_le_u32_e64 s4, v244, v177
	s_or_b32 s4, vcc_lo, s4
	s_and_saveexec_b32 s7, s4
	s_cbranch_execz .LBB1044_684
; %bb.553:                              ;   in Loop: Header=BB1044_548 Depth=1
	s_mov_b32 s10, exec_lo
	v_cmp_ge_u32_e32 vcc_lo, v243, v176
                                        ; implicit-def: $vgpr178
	v_cmpx_lt_u32_e64 v243, v176
; %bb.554:                              ;   in Loop: Header=BB1044_548 Depth=1
	v_lshlrev_b32_e32 v178, 1, v243
	ds_read_u16 v178, v178
; %bb.555:                              ;   in Loop: Header=BB1044_548 Depth=1
	s_or_b32 exec_lo, exec_lo, s10
	v_cmp_ge_u32_e64 s10, v244, v177
	s_mov_b32 s11, exec_lo
                                        ; implicit-def: $vgpr180
	v_cmpx_lt_u32_e64 v244, v177
; %bb.556:                              ;   in Loop: Header=BB1044_548 Depth=1
	v_lshlrev_b32_e32 v179, 1, v244
	ds_read_u16 v180, v179
; %bb.557:                              ;   in Loop: Header=BB1044_548 Depth=1
	s_or_b32 exec_lo, exec_lo, s11
	s_nor_b32 s11, vcc_lo, s10
	s_and_saveexec_b32 s4, s11
	s_cbranch_execz .LBB1044_559
; %bb.558:                              ;   in Loop: Header=BB1044_548 Depth=1
	s_waitcnt lgkmcnt(0)
	v_bfe_i32 v181, v180, 0, 16
	v_bfe_i32 v192, v178, 0, 16
	s_andn2_b32 s10, s10, exec_lo
	v_ashrrev_i32_e32 v182, 31, v181
	v_ashrrev_i32_e32 v193, 31, v192
	v_lshlrev_b64 v[181:182], 1, v[181:182]
	v_lshlrev_b64 v[192:193], 1, v[192:193]
	v_add_co_u32 v181, vcc_lo, v6, v181
	v_add_co_ci_u32_e64 v182, null, v7, v182, vcc_lo
	v_add_co_u32 v192, vcc_lo, v6, v192
	v_add_co_ci_u32_e64 v193, null, v7, v193, vcc_lo
	s_clause 0x1
	flat_load_ushort v179, v[181:182]
	flat_load_ushort v181, v[192:193]
	s_waitcnt vmcnt(0) lgkmcnt(0)
	v_cmp_ge_i16_e32 vcc_lo, v179, v181
	s_and_b32 s11, vcc_lo, exec_lo
	s_or_b32 s10, s10, s11
.LBB1044_559:                           ;   in Loop: Header=BB1044_548 Depth=1
	s_or_b32 exec_lo, exec_lo, s4
	v_cndmask_b32_e64 v179, v244, v243, s10
	v_cndmask_b32_e64 v181, v177, v176, s10
	s_mov_b32 s11, -1
	s_mov_b32 s4, -1
	s_mov_b32 s14, exec_lo
	v_add_nc_u32_e32 v182, 1, v179
	v_add_nc_u32_e32 v179, -1, v181
	v_cndmask_b32_e64 v181, v243, v182, s10
	v_min_u32_e32 v179, v182, v179
	v_lshlrev_b32_e32 v179, 1, v179
	ds_read_u16 v183, v179
	v_cndmask_b32_e64 v179, v182, v244, s10
	s_waitcnt lgkmcnt(0)
	v_cndmask_b32_e64 v193, v183, v180, s10
	v_cndmask_b32_e64 v194, v178, v183, s10
	v_cmpx_lt_u32_e64 v179, v177
	s_cbranch_execz .LBB1044_563
; %bb.560:                              ;   in Loop: Header=BB1044_548 Depth=1
	s_mov_b32 s15, 0
	s_mov_b32 s4, exec_lo
	v_cmpx_lt_u32_e64 v181, v176
	s_cbranch_execz .LBB1044_562
; %bb.561:                              ;   in Loop: Header=BB1044_548 Depth=1
	v_bfe_i32 v182, v193, 0, 16
	v_bfe_i32 v195, v194, 0, 16
	v_ashrrev_i32_e32 v183, 31, v182
	v_ashrrev_i32_e32 v196, 31, v195
	v_lshlrev_b64 v[182:183], 1, v[182:183]
	v_lshlrev_b64 v[195:196], 1, v[195:196]
	v_add_co_u32 v182, vcc_lo, v6, v182
	v_add_co_ci_u32_e64 v183, null, v7, v183, vcc_lo
	v_add_co_u32 v195, vcc_lo, v6, v195
	v_add_co_ci_u32_e64 v196, null, v7, v196, vcc_lo
	s_clause 0x1
	flat_load_ushort v182, v[182:183]
	flat_load_ushort v183, v[195:196]
	s_waitcnt vmcnt(0) lgkmcnt(0)
	v_cmp_ge_i16_e32 vcc_lo, v182, v183
	s_and_b32 s15, vcc_lo, exec_lo
.LBB1044_562:                           ;   in Loop: Header=BB1044_548 Depth=1
	s_or_b32 exec_lo, exec_lo, s4
	s_orn2_b32 s4, s15, exec_lo
.LBB1044_563:                           ;   in Loop: Header=BB1044_548 Depth=1
	s_or_b32 exec_lo, exec_lo, s14
	v_cndmask_b32_e64 v182, v179, v181, s4
	v_cndmask_b32_e64 v183, v177, v176, s4
	s_mov_b32 s14, exec_lo
	v_add_nc_u32_e32 v182, 1, v182
	v_add_nc_u32_e32 v183, -1, v183
	v_cndmask_b32_e64 v179, v182, v179, s4
	v_min_u32_e32 v183, v182, v183
	v_cndmask_b32_e64 v181, v181, v182, s4
	v_lshlrev_b32_e32 v183, 1, v183
	ds_read_u16 v183, v183
	s_waitcnt lgkmcnt(0)
	v_cndmask_b32_e64 v240, v183, v193, s4
	v_cndmask_b32_e64 v243, v194, v183, s4
	v_cmpx_lt_u32_e64 v179, v177
	s_cbranch_execz .LBB1044_567
; %bb.564:                              ;   in Loop: Header=BB1044_548 Depth=1
	s_mov_b32 s15, 0
	s_mov_b32 s11, exec_lo
	v_cmpx_lt_u32_e64 v181, v176
	s_cbranch_execz .LBB1044_566
; %bb.565:                              ;   in Loop: Header=BB1044_548 Depth=1
	v_bfe_i32 v182, v240, 0, 16
	v_bfe_i32 v195, v243, 0, 16
	v_ashrrev_i32_e32 v183, 31, v182
	v_ashrrev_i32_e32 v196, 31, v195
	v_lshlrev_b64 v[182:183], 1, v[182:183]
	v_lshlrev_b64 v[195:196], 1, v[195:196]
	v_add_co_u32 v182, vcc_lo, v6, v182
	v_add_co_ci_u32_e64 v183, null, v7, v183, vcc_lo
	v_add_co_u32 v195, vcc_lo, v6, v195
	v_add_co_ci_u32_e64 v196, null, v7, v196, vcc_lo
	s_clause 0x1
	flat_load_ushort v182, v[182:183]
	flat_load_ushort v183, v[195:196]
	s_waitcnt vmcnt(0) lgkmcnt(0)
	v_cmp_ge_i16_e32 vcc_lo, v182, v183
	s_and_b32 s15, vcc_lo, exec_lo
.LBB1044_566:                           ;   in Loop: Header=BB1044_548 Depth=1
	s_or_b32 exec_lo, exec_lo, s11
	s_orn2_b32 s11, s15, exec_lo
.LBB1044_567:                           ;   in Loop: Header=BB1044_548 Depth=1
	s_or_b32 exec_lo, exec_lo, s14
	v_cndmask_b32_e64 v182, v179, v181, s11
	v_cndmask_b32_e64 v183, v177, v176, s11
	s_mov_b32 s15, -1
	s_mov_b32 s14, -1
	s_mov_b32 s16, exec_lo
	v_add_nc_u32_e32 v182, 1, v182
	v_add_nc_u32_e32 v183, -1, v183
	v_cndmask_b32_e64 v179, v182, v179, s11
	v_min_u32_e32 v183, v182, v183
	v_cndmask_b32_e64 v181, v181, v182, s11
	v_lshlrev_b32_e32 v183, 1, v183
	ds_read_u16 v183, v183
	s_waitcnt lgkmcnt(0)
	v_cndmask_b32_e64 v242, v183, v240, s11
	v_cndmask_b32_e64 v244, v243, v183, s11
	v_cmpx_lt_u32_e64 v179, v177
	s_cbranch_execz .LBB1044_571
; %bb.568:                              ;   in Loop: Header=BB1044_548 Depth=1
	s_mov_b32 s17, 0
	s_mov_b32 s14, exec_lo
	v_cmpx_lt_u32_e64 v181, v176
	s_cbranch_execz .LBB1044_570
; %bb.569:                              ;   in Loop: Header=BB1044_548 Depth=1
	v_bfe_i32 v182, v242, 0, 16
	v_bfe_i32 v195, v244, 0, 16
	v_ashrrev_i32_e32 v183, 31, v182
	v_ashrrev_i32_e32 v196, 31, v195
	v_lshlrev_b64 v[182:183], 1, v[182:183]
	v_lshlrev_b64 v[195:196], 1, v[195:196]
	v_add_co_u32 v182, vcc_lo, v6, v182
	v_add_co_ci_u32_e64 v183, null, v7, v183, vcc_lo
	v_add_co_u32 v195, vcc_lo, v6, v195
	v_add_co_ci_u32_e64 v196, null, v7, v196, vcc_lo
	s_clause 0x1
	flat_load_ushort v182, v[182:183]
	flat_load_ushort v183, v[195:196]
	s_waitcnt vmcnt(0) lgkmcnt(0)
	v_cmp_ge_i16_e32 vcc_lo, v182, v183
	s_and_b32 s17, vcc_lo, exec_lo
.LBB1044_570:                           ;   in Loop: Header=BB1044_548 Depth=1
	s_or_b32 exec_lo, exec_lo, s14
	s_orn2_b32 s14, s17, exec_lo
.LBB1044_571:                           ;   in Loop: Header=BB1044_548 Depth=1
	s_or_b32 exec_lo, exec_lo, s16
	v_cndmask_b32_e64 v182, v179, v181, s14
	v_cndmask_b32_e64 v183, v177, v176, s14
	s_mov_b32 s16, exec_lo
	v_add_nc_u32_e32 v182, 1, v182
	v_add_nc_u32_e32 v183, -1, v183
	v_cndmask_b32_e64 v179, v182, v179, s14
	v_min_u32_e32 v183, v182, v183
	v_cndmask_b32_e64 v181, v181, v182, s14
	v_lshlrev_b32_e32 v183, 1, v183
	ds_read_u16 v183, v183
	s_waitcnt lgkmcnt(0)
	v_cndmask_b32_e64 v230, v183, v242, s14
	v_cndmask_b32_e64 v245, v244, v183, s14
	v_cmpx_lt_u32_e64 v179, v177
	s_cbranch_execz .LBB1044_575
; %bb.572:                              ;   in Loop: Header=BB1044_548 Depth=1
	s_mov_b32 s17, 0
	s_mov_b32 s15, exec_lo
	v_cmpx_lt_u32_e64 v181, v176
	s_cbranch_execz .LBB1044_574
; %bb.573:                              ;   in Loop: Header=BB1044_548 Depth=1
	v_bfe_i32 v182, v230, 0, 16
	v_bfe_i32 v195, v245, 0, 16
	v_ashrrev_i32_e32 v183, 31, v182
	v_ashrrev_i32_e32 v196, 31, v195
	v_lshlrev_b64 v[182:183], 1, v[182:183]
	v_lshlrev_b64 v[195:196], 1, v[195:196]
	v_add_co_u32 v182, vcc_lo, v6, v182
	v_add_co_ci_u32_e64 v183, null, v7, v183, vcc_lo
	v_add_co_u32 v195, vcc_lo, v6, v195
	v_add_co_ci_u32_e64 v196, null, v7, v196, vcc_lo
	s_clause 0x1
	flat_load_ushort v182, v[182:183]
	flat_load_ushort v183, v[195:196]
	s_waitcnt vmcnt(0) lgkmcnt(0)
	v_cmp_ge_i16_e32 vcc_lo, v182, v183
	s_and_b32 s17, vcc_lo, exec_lo
.LBB1044_574:                           ;   in Loop: Header=BB1044_548 Depth=1
	s_or_b32 exec_lo, exec_lo, s15
	s_orn2_b32 s15, s17, exec_lo
.LBB1044_575:                           ;   in Loop: Header=BB1044_548 Depth=1
	s_or_b32 exec_lo, exec_lo, s16
	v_cndmask_b32_e64 v182, v179, v181, s15
	v_cndmask_b32_e64 v183, v177, v176, s15
	s_mov_b32 s17, -1
	s_mov_b32 s16, -1
	s_mov_b32 s18, exec_lo
	v_add_nc_u32_e32 v182, 1, v182
	v_add_nc_u32_e32 v183, -1, v183
	v_cndmask_b32_e64 v179, v182, v179, s15
	v_min_u32_e32 v183, v182, v183
	v_cndmask_b32_e64 v181, v181, v182, s15
	v_lshlrev_b32_e32 v183, 1, v183
	ds_read_u16 v183, v183
	s_waitcnt lgkmcnt(0)
	v_cndmask_b32_e64 v241, v183, v230, s15
	v_cndmask_b32_e64 v246, v245, v183, s15
	v_cmpx_lt_u32_e64 v179, v177
	s_cbranch_execz .LBB1044_579
; %bb.576:                              ;   in Loop: Header=BB1044_548 Depth=1
	s_mov_b32 s19, 0
	s_mov_b32 s16, exec_lo
	v_cmpx_lt_u32_e64 v181, v176
	s_cbranch_execz .LBB1044_578
; %bb.577:                              ;   in Loop: Header=BB1044_548 Depth=1
	v_bfe_i32 v182, v241, 0, 16
	v_bfe_i32 v195, v246, 0, 16
	v_ashrrev_i32_e32 v183, 31, v182
	v_ashrrev_i32_e32 v196, 31, v195
	v_lshlrev_b64 v[182:183], 1, v[182:183]
	v_lshlrev_b64 v[195:196], 1, v[195:196]
	v_add_co_u32 v182, vcc_lo, v6, v182
	v_add_co_ci_u32_e64 v183, null, v7, v183, vcc_lo
	v_add_co_u32 v195, vcc_lo, v6, v195
	v_add_co_ci_u32_e64 v196, null, v7, v196, vcc_lo
	s_clause 0x1
	flat_load_ushort v182, v[182:183]
	flat_load_ushort v183, v[195:196]
	s_waitcnt vmcnt(0) lgkmcnt(0)
	v_cmp_ge_i16_e32 vcc_lo, v182, v183
	s_and_b32 s19, vcc_lo, exec_lo
.LBB1044_578:                           ;   in Loop: Header=BB1044_548 Depth=1
	s_or_b32 exec_lo, exec_lo, s16
	s_orn2_b32 s16, s19, exec_lo
.LBB1044_579:                           ;   in Loop: Header=BB1044_548 Depth=1
	s_or_b32 exec_lo, exec_lo, s18
	v_cndmask_b32_e64 v182, v179, v181, s16
	v_cndmask_b32_e64 v183, v177, v176, s16
	s_mov_b32 s18, exec_lo
	v_add_nc_u32_e32 v182, 1, v182
	v_add_nc_u32_e32 v183, -1, v183
	v_cndmask_b32_e64 v179, v182, v179, s16
	v_min_u32_e32 v183, v182, v183
	v_cndmask_b32_e64 v181, v181, v182, s16
	v_lshlrev_b32_e32 v183, 1, v183
	ds_read_u16 v183, v183
	s_waitcnt lgkmcnt(0)
	v_cndmask_b32_e64 v228, v183, v241, s16
	v_cndmask_b32_e64 v247, v246, v183, s16
	v_cmpx_lt_u32_e64 v179, v177
	s_cbranch_execz .LBB1044_583
; %bb.580:                              ;   in Loop: Header=BB1044_548 Depth=1
	s_mov_b32 s19, 0
	s_mov_b32 s17, exec_lo
	v_cmpx_lt_u32_e64 v181, v176
	s_cbranch_execz .LBB1044_582
; %bb.581:                              ;   in Loop: Header=BB1044_548 Depth=1
	v_bfe_i32 v182, v228, 0, 16
	v_bfe_i32 v195, v247, 0, 16
	v_ashrrev_i32_e32 v183, 31, v182
	v_ashrrev_i32_e32 v196, 31, v195
	v_lshlrev_b64 v[182:183], 1, v[182:183]
	v_lshlrev_b64 v[195:196], 1, v[195:196]
	v_add_co_u32 v182, vcc_lo, v6, v182
	v_add_co_ci_u32_e64 v183, null, v7, v183, vcc_lo
	v_add_co_u32 v195, vcc_lo, v6, v195
	v_add_co_ci_u32_e64 v196, null, v7, v196, vcc_lo
	s_clause 0x1
	flat_load_ushort v182, v[182:183]
	flat_load_ushort v183, v[195:196]
	s_waitcnt vmcnt(0) lgkmcnt(0)
	v_cmp_ge_i16_e32 vcc_lo, v182, v183
	s_and_b32 s19, vcc_lo, exec_lo
.LBB1044_582:                           ;   in Loop: Header=BB1044_548 Depth=1
	s_or_b32 exec_lo, exec_lo, s17
	s_orn2_b32 s17, s19, exec_lo
.LBB1044_583:                           ;   in Loop: Header=BB1044_548 Depth=1
	s_or_b32 exec_lo, exec_lo, s18
	v_cndmask_b32_e64 v182, v179, v181, s17
	v_cndmask_b32_e64 v183, v177, v176, s17
	s_mov_b32 s19, -1
	s_mov_b32 s18, -1
	s_mov_b32 s20, exec_lo
	v_add_nc_u32_e32 v182, 1, v182
	v_add_nc_u32_e32 v183, -1, v183
	v_cndmask_b32_e64 v179, v182, v179, s17
	v_min_u32_e32 v183, v182, v183
	v_cndmask_b32_e64 v181, v181, v182, s17
	v_lshlrev_b32_e32 v183, 1, v183
	ds_read_u16 v183, v183
	s_waitcnt lgkmcnt(0)
	v_cndmask_b32_e64 v231, v183, v228, s17
	v_cndmask_b32_e64 v40, v247, v183, s17
	v_cmpx_lt_u32_e64 v179, v177
	s_cbranch_execz .LBB1044_587
; %bb.584:                              ;   in Loop: Header=BB1044_548 Depth=1
	s_mov_b32 s22, 0
	s_mov_b32 s18, exec_lo
	v_cmpx_lt_u32_e64 v181, v176
	s_cbranch_execz .LBB1044_586
; %bb.585:                              ;   in Loop: Header=BB1044_548 Depth=1
	v_bfe_i32 v182, v231, 0, 16
	v_bfe_i32 v195, v40, 0, 16
	v_ashrrev_i32_e32 v183, 31, v182
	v_ashrrev_i32_e32 v196, 31, v195
	v_lshlrev_b64 v[182:183], 1, v[182:183]
	v_lshlrev_b64 v[195:196], 1, v[195:196]
	v_add_co_u32 v182, vcc_lo, v6, v182
	v_add_co_ci_u32_e64 v183, null, v7, v183, vcc_lo
	v_add_co_u32 v195, vcc_lo, v6, v195
	v_add_co_ci_u32_e64 v196, null, v7, v196, vcc_lo
	s_clause 0x1
	flat_load_ushort v182, v[182:183]
	flat_load_ushort v183, v[195:196]
	s_waitcnt vmcnt(0) lgkmcnt(0)
	v_cmp_ge_i16_e32 vcc_lo, v182, v183
	s_and_b32 s22, vcc_lo, exec_lo
.LBB1044_586:                           ;   in Loop: Header=BB1044_548 Depth=1
	s_or_b32 exec_lo, exec_lo, s18
	s_orn2_b32 s18, s22, exec_lo
.LBB1044_587:                           ;   in Loop: Header=BB1044_548 Depth=1
	s_or_b32 exec_lo, exec_lo, s20
	v_cndmask_b32_e64 v182, v179, v181, s18
	v_cndmask_b32_e64 v183, v177, v176, s18
	s_mov_b32 s20, exec_lo
	v_add_nc_u32_e32 v182, 1, v182
	v_add_nc_u32_e32 v183, -1, v183
	v_cndmask_b32_e64 v179, v182, v179, s18
	v_min_u32_e32 v183, v182, v183
	v_cndmask_b32_e64 v181, v181, v182, s18
	v_lshlrev_b32_e32 v183, 1, v183
	ds_read_u16 v183, v183
	s_waitcnt lgkmcnt(0)
	v_cndmask_b32_e64 v226, v183, v231, s18
	v_cndmask_b32_e64 v41, v40, v183, s18
	v_cmpx_lt_u32_e64 v179, v177
	s_cbranch_execz .LBB1044_591
; %bb.588:                              ;   in Loop: Header=BB1044_548 Depth=1
	s_mov_b32 s22, 0
	s_mov_b32 s19, exec_lo
	v_cmpx_lt_u32_e64 v181, v176
	s_cbranch_execz .LBB1044_590
; %bb.589:                              ;   in Loop: Header=BB1044_548 Depth=1
	v_bfe_i32 v182, v226, 0, 16
	v_bfe_i32 v195, v41, 0, 16
	v_ashrrev_i32_e32 v183, 31, v182
	v_ashrrev_i32_e32 v196, 31, v195
	v_lshlrev_b64 v[182:183], 1, v[182:183]
	v_lshlrev_b64 v[195:196], 1, v[195:196]
	v_add_co_u32 v182, vcc_lo, v6, v182
	v_add_co_ci_u32_e64 v183, null, v7, v183, vcc_lo
	v_add_co_u32 v195, vcc_lo, v6, v195
	v_add_co_ci_u32_e64 v196, null, v7, v196, vcc_lo
	s_clause 0x1
	flat_load_ushort v182, v[182:183]
	flat_load_ushort v183, v[195:196]
	s_waitcnt vmcnt(0) lgkmcnt(0)
	v_cmp_ge_i16_e32 vcc_lo, v182, v183
	s_and_b32 s22, vcc_lo, exec_lo
.LBB1044_590:                           ;   in Loop: Header=BB1044_548 Depth=1
	s_or_b32 exec_lo, exec_lo, s19
	s_orn2_b32 s19, s22, exec_lo
.LBB1044_591:                           ;   in Loop: Header=BB1044_548 Depth=1
	s_or_b32 exec_lo, exec_lo, s20
	v_cndmask_b32_e64 v182, v179, v181, s19
	v_cndmask_b32_e64 v183, v177, v176, s19
	s_mov_b32 s22, -1
	s_mov_b32 s20, -1
	s_mov_b32 s23, exec_lo
	v_add_nc_u32_e32 v182, 1, v182
	v_add_nc_u32_e32 v183, -1, v183
	v_cndmask_b32_e64 v179, v182, v179, s19
	v_min_u32_e32 v183, v182, v183
	v_cndmask_b32_e64 v181, v181, v182, s19
	v_lshlrev_b32_e32 v183, 1, v183
	ds_read_u16 v183, v183
	s_waitcnt lgkmcnt(0)
	v_cndmask_b32_e64 v229, v183, v226, s19
	v_cndmask_b32_e64 v42, v41, v183, s19
	v_cmpx_lt_u32_e64 v179, v177
	s_cbranch_execz .LBB1044_595
; %bb.592:                              ;   in Loop: Header=BB1044_548 Depth=1
	s_mov_b32 s24, 0
	s_mov_b32 s20, exec_lo
	v_cmpx_lt_u32_e64 v181, v176
	s_cbranch_execz .LBB1044_594
; %bb.593:                              ;   in Loop: Header=BB1044_548 Depth=1
	v_bfe_i32 v182, v229, 0, 16
	v_bfe_i32 v195, v42, 0, 16
	v_ashrrev_i32_e32 v183, 31, v182
	v_ashrrev_i32_e32 v196, 31, v195
	v_lshlrev_b64 v[182:183], 1, v[182:183]
	v_lshlrev_b64 v[195:196], 1, v[195:196]
	v_add_co_u32 v182, vcc_lo, v6, v182
	v_add_co_ci_u32_e64 v183, null, v7, v183, vcc_lo
	v_add_co_u32 v195, vcc_lo, v6, v195
	v_add_co_ci_u32_e64 v196, null, v7, v196, vcc_lo
	s_clause 0x1
	flat_load_ushort v182, v[182:183]
	flat_load_ushort v183, v[195:196]
	s_waitcnt vmcnt(0) lgkmcnt(0)
	v_cmp_ge_i16_e32 vcc_lo, v182, v183
	s_and_b32 s24, vcc_lo, exec_lo
.LBB1044_594:                           ;   in Loop: Header=BB1044_548 Depth=1
	s_or_b32 exec_lo, exec_lo, s20
	s_orn2_b32 s20, s24, exec_lo
.LBB1044_595:                           ;   in Loop: Header=BB1044_548 Depth=1
	s_or_b32 exec_lo, exec_lo, s23
	v_cndmask_b32_e64 v182, v179, v181, s20
	v_cndmask_b32_e64 v183, v177, v176, s20
	s_mov_b32 s23, exec_lo
	v_add_nc_u32_e32 v182, 1, v182
	v_add_nc_u32_e32 v183, -1, v183
	v_cndmask_b32_e64 v179, v182, v179, s20
	v_min_u32_e32 v183, v182, v183
	v_cndmask_b32_e64 v181, v181, v182, s20
	v_lshlrev_b32_e32 v183, 1, v183
	ds_read_u16 v183, v183
	s_waitcnt lgkmcnt(0)
	v_cndmask_b32_e64 v225, v183, v229, s20
	v_cndmask_b32_e64 v43, v42, v183, s20
	v_cmpx_lt_u32_e64 v179, v177
	s_cbranch_execz .LBB1044_599
; %bb.596:                              ;   in Loop: Header=BB1044_548 Depth=1
	s_mov_b32 s24, 0
	s_mov_b32 s22, exec_lo
	v_cmpx_lt_u32_e64 v181, v176
	s_cbranch_execz .LBB1044_598
; %bb.597:                              ;   in Loop: Header=BB1044_548 Depth=1
	v_bfe_i32 v182, v225, 0, 16
	v_bfe_i32 v195, v43, 0, 16
	v_ashrrev_i32_e32 v183, 31, v182
	v_ashrrev_i32_e32 v196, 31, v195
	v_lshlrev_b64 v[182:183], 1, v[182:183]
	v_lshlrev_b64 v[195:196], 1, v[195:196]
	v_add_co_u32 v182, vcc_lo, v6, v182
	v_add_co_ci_u32_e64 v183, null, v7, v183, vcc_lo
	v_add_co_u32 v195, vcc_lo, v6, v195
	v_add_co_ci_u32_e64 v196, null, v7, v196, vcc_lo
	s_clause 0x1
	flat_load_ushort v182, v[182:183]
	flat_load_ushort v183, v[195:196]
	s_waitcnt vmcnt(0) lgkmcnt(0)
	v_cmp_ge_i16_e32 vcc_lo, v182, v183
	s_and_b32 s24, vcc_lo, exec_lo
.LBB1044_598:                           ;   in Loop: Header=BB1044_548 Depth=1
	s_or_b32 exec_lo, exec_lo, s22
	s_orn2_b32 s22, s24, exec_lo
.LBB1044_599:                           ;   in Loop: Header=BB1044_548 Depth=1
	s_or_b32 exec_lo, exec_lo, s23
	v_cndmask_b32_e64 v182, v179, v181, s22
	v_cndmask_b32_e64 v183, v177, v176, s22
	s_mov_b32 s24, -1
	s_mov_b32 s23, -1
	s_mov_b32 s25, exec_lo
	v_add_nc_u32_e32 v182, 1, v182
	v_add_nc_u32_e32 v183, -1, v183
	v_cndmask_b32_e64 v179, v182, v179, s22
	v_min_u32_e32 v183, v182, v183
	v_cndmask_b32_e64 v181, v181, v182, s22
	v_lshlrev_b32_e32 v183, 1, v183
	ds_read_u16 v183, v183
	s_waitcnt lgkmcnt(0)
	v_cndmask_b32_e64 v227, v183, v225, s22
	v_cndmask_b32_e64 v44, v43, v183, s22
	v_cmpx_lt_u32_e64 v179, v177
	s_cbranch_execz .LBB1044_603
; %bb.600:                              ;   in Loop: Header=BB1044_548 Depth=1
	s_mov_b32 s26, 0
	s_mov_b32 s23, exec_lo
	v_cmpx_lt_u32_e64 v181, v176
	s_cbranch_execz .LBB1044_602
; %bb.601:                              ;   in Loop: Header=BB1044_548 Depth=1
	v_bfe_i32 v182, v227, 0, 16
	v_bfe_i32 v195, v44, 0, 16
	v_ashrrev_i32_e32 v183, 31, v182
	v_ashrrev_i32_e32 v196, 31, v195
	v_lshlrev_b64 v[182:183], 1, v[182:183]
	v_lshlrev_b64 v[195:196], 1, v[195:196]
	v_add_co_u32 v182, vcc_lo, v6, v182
	v_add_co_ci_u32_e64 v183, null, v7, v183, vcc_lo
	v_add_co_u32 v195, vcc_lo, v6, v195
	v_add_co_ci_u32_e64 v196, null, v7, v196, vcc_lo
	s_clause 0x1
	flat_load_ushort v182, v[182:183]
	flat_load_ushort v183, v[195:196]
	s_waitcnt vmcnt(0) lgkmcnt(0)
	v_cmp_ge_i16_e32 vcc_lo, v182, v183
	s_and_b32 s26, vcc_lo, exec_lo
.LBB1044_602:                           ;   in Loop: Header=BB1044_548 Depth=1
	s_or_b32 exec_lo, exec_lo, s23
	s_orn2_b32 s23, s26, exec_lo
.LBB1044_603:                           ;   in Loop: Header=BB1044_548 Depth=1
	s_or_b32 exec_lo, exec_lo, s25
	v_cndmask_b32_e64 v182, v179, v181, s23
	v_cndmask_b32_e64 v183, v177, v176, s23
	s_mov_b32 s25, exec_lo
	v_add_nc_u32_e32 v182, 1, v182
	v_add_nc_u32_e32 v183, -1, v183
	v_cndmask_b32_e64 v179, v182, v179, s23
	v_min_u32_e32 v183, v182, v183
	v_cndmask_b32_e64 v181, v181, v182, s23
	v_lshlrev_b32_e32 v183, 1, v183
	ds_read_u16 v183, v183
	s_waitcnt lgkmcnt(0)
	v_cndmask_b32_e64 v215, v183, v227, s23
	v_cndmask_b32_e64 v45, v44, v183, s23
	v_cmpx_lt_u32_e64 v179, v177
	s_cbranch_execz .LBB1044_607
; %bb.604:                              ;   in Loop: Header=BB1044_548 Depth=1
	s_mov_b32 s26, 0
	s_mov_b32 s24, exec_lo
	v_cmpx_lt_u32_e64 v181, v176
	s_cbranch_execz .LBB1044_606
; %bb.605:                              ;   in Loop: Header=BB1044_548 Depth=1
	v_bfe_i32 v182, v215, 0, 16
	v_bfe_i32 v195, v45, 0, 16
	v_ashrrev_i32_e32 v183, 31, v182
	v_ashrrev_i32_e32 v196, 31, v195
	v_lshlrev_b64 v[182:183], 1, v[182:183]
	v_lshlrev_b64 v[195:196], 1, v[195:196]
	v_add_co_u32 v182, vcc_lo, v6, v182
	v_add_co_ci_u32_e64 v183, null, v7, v183, vcc_lo
	v_add_co_u32 v195, vcc_lo, v6, v195
	v_add_co_ci_u32_e64 v196, null, v7, v196, vcc_lo
	s_clause 0x1
	flat_load_ushort v182, v[182:183]
	flat_load_ushort v183, v[195:196]
	s_waitcnt vmcnt(0) lgkmcnt(0)
	v_cmp_ge_i16_e32 vcc_lo, v182, v183
	s_and_b32 s26, vcc_lo, exec_lo
.LBB1044_606:                           ;   in Loop: Header=BB1044_548 Depth=1
	s_or_b32 exec_lo, exec_lo, s24
	s_orn2_b32 s24, s26, exec_lo
.LBB1044_607:                           ;   in Loop: Header=BB1044_548 Depth=1
	s_or_b32 exec_lo, exec_lo, s25
	v_cndmask_b32_e64 v182, v179, v181, s24
	v_cndmask_b32_e64 v183, v177, v176, s24
	s_mov_b32 s26, -1
	s_mov_b32 s25, -1
	s_mov_b32 s27, exec_lo
	v_add_nc_u32_e32 v182, 1, v182
	v_add_nc_u32_e32 v183, -1, v183
	v_cndmask_b32_e64 v179, v182, v179, s24
	v_min_u32_e32 v183, v182, v183
	v_cndmask_b32_e64 v181, v181, v182, s24
	v_lshlrev_b32_e32 v183, 1, v183
	ds_read_u16 v183, v183
	s_waitcnt lgkmcnt(0)
	v_cndmask_b32_e64 v224, v183, v215, s24
	v_cndmask_b32_e64 v46, v45, v183, s24
	v_cmpx_lt_u32_e64 v179, v177
	s_cbranch_execz .LBB1044_611
; %bb.608:                              ;   in Loop: Header=BB1044_548 Depth=1
	s_mov_b32 s28, 0
	s_mov_b32 s25, exec_lo
	v_cmpx_lt_u32_e64 v181, v176
	s_cbranch_execz .LBB1044_610
; %bb.609:                              ;   in Loop: Header=BB1044_548 Depth=1
	v_bfe_i32 v182, v224, 0, 16
	v_bfe_i32 v195, v46, 0, 16
	v_ashrrev_i32_e32 v183, 31, v182
	v_ashrrev_i32_e32 v196, 31, v195
	v_lshlrev_b64 v[182:183], 1, v[182:183]
	v_lshlrev_b64 v[195:196], 1, v[195:196]
	v_add_co_u32 v182, vcc_lo, v6, v182
	v_add_co_ci_u32_e64 v183, null, v7, v183, vcc_lo
	v_add_co_u32 v195, vcc_lo, v6, v195
	v_add_co_ci_u32_e64 v196, null, v7, v196, vcc_lo
	s_clause 0x1
	flat_load_ushort v182, v[182:183]
	flat_load_ushort v183, v[195:196]
	s_waitcnt vmcnt(0) lgkmcnt(0)
	v_cmp_ge_i16_e32 vcc_lo, v182, v183
	s_and_b32 s28, vcc_lo, exec_lo
.LBB1044_610:                           ;   in Loop: Header=BB1044_548 Depth=1
	s_or_b32 exec_lo, exec_lo, s25
	s_orn2_b32 s25, s28, exec_lo
.LBB1044_611:                           ;   in Loop: Header=BB1044_548 Depth=1
	s_or_b32 exec_lo, exec_lo, s27
	v_cndmask_b32_e64 v182, v179, v181, s25
	v_cndmask_b32_e64 v183, v177, v176, s25
	s_mov_b32 s27, exec_lo
	v_add_nc_u32_e32 v182, 1, v182
	v_add_nc_u32_e32 v183, -1, v183
	v_cndmask_b32_e64 v179, v182, v179, s25
	v_min_u32_e32 v183, v182, v183
	v_cndmask_b32_e64 v181, v181, v182, s25
	v_lshlrev_b32_e32 v183, 1, v183
	ds_read_u16 v183, v183
	s_waitcnt lgkmcnt(0)
	v_cndmask_b32_e64 v213, v183, v224, s25
	v_cndmask_b32_e64 v47, v46, v183, s25
	v_cmpx_lt_u32_e64 v179, v177
	s_cbranch_execz .LBB1044_615
; %bb.612:                              ;   in Loop: Header=BB1044_548 Depth=1
	s_mov_b32 s28, 0
	s_mov_b32 s26, exec_lo
	v_cmpx_lt_u32_e64 v181, v176
	s_cbranch_execz .LBB1044_614
; %bb.613:                              ;   in Loop: Header=BB1044_548 Depth=1
	v_bfe_i32 v182, v213, 0, 16
	v_bfe_i32 v195, v47, 0, 16
	v_ashrrev_i32_e32 v183, 31, v182
	v_ashrrev_i32_e32 v196, 31, v195
	v_lshlrev_b64 v[182:183], 1, v[182:183]
	v_lshlrev_b64 v[195:196], 1, v[195:196]
	v_add_co_u32 v182, vcc_lo, v6, v182
	v_add_co_ci_u32_e64 v183, null, v7, v183, vcc_lo
	v_add_co_u32 v195, vcc_lo, v6, v195
	v_add_co_ci_u32_e64 v196, null, v7, v196, vcc_lo
	s_clause 0x1
	flat_load_ushort v182, v[182:183]
	flat_load_ushort v183, v[195:196]
	s_waitcnt vmcnt(0) lgkmcnt(0)
	v_cmp_ge_i16_e32 vcc_lo, v182, v183
	s_and_b32 s28, vcc_lo, exec_lo
.LBB1044_614:                           ;   in Loop: Header=BB1044_548 Depth=1
	s_or_b32 exec_lo, exec_lo, s26
	s_orn2_b32 s26, s28, exec_lo
.LBB1044_615:                           ;   in Loop: Header=BB1044_548 Depth=1
	s_or_b32 exec_lo, exec_lo, s27
	v_cndmask_b32_e64 v182, v179, v181, s26
	v_cndmask_b32_e64 v183, v177, v176, s26
	s_mov_b32 s28, -1
	s_mov_b32 s27, -1
	s_mov_b32 s29, exec_lo
	v_add_nc_u32_e32 v182, 1, v182
	v_add_nc_u32_e32 v183, -1, v183
	v_cndmask_b32_e64 v179, v182, v179, s26
	v_min_u32_e32 v183, v182, v183
	v_cndmask_b32_e64 v181, v181, v182, s26
	v_lshlrev_b32_e32 v183, 1, v183
	ds_read_u16 v183, v183
	s_waitcnt lgkmcnt(0)
	v_cndmask_b32_e64 v214, v183, v213, s26
	v_cndmask_b32_e64 v56, v47, v183, s26
	v_cmpx_lt_u32_e64 v179, v177
	s_cbranch_execz .LBB1044_619
; %bb.616:                              ;   in Loop: Header=BB1044_548 Depth=1
	s_mov_b32 s40, 0
	s_mov_b32 s27, exec_lo
	v_cmpx_lt_u32_e64 v181, v176
	s_cbranch_execz .LBB1044_618
; %bb.617:                              ;   in Loop: Header=BB1044_548 Depth=1
	v_bfe_i32 v182, v214, 0, 16
	v_bfe_i32 v195, v56, 0, 16
	v_ashrrev_i32_e32 v183, 31, v182
	v_ashrrev_i32_e32 v196, 31, v195
	v_lshlrev_b64 v[182:183], 1, v[182:183]
	v_lshlrev_b64 v[195:196], 1, v[195:196]
	v_add_co_u32 v182, vcc_lo, v6, v182
	v_add_co_ci_u32_e64 v183, null, v7, v183, vcc_lo
	v_add_co_u32 v195, vcc_lo, v6, v195
	v_add_co_ci_u32_e64 v196, null, v7, v196, vcc_lo
	s_clause 0x1
	flat_load_ushort v182, v[182:183]
	flat_load_ushort v183, v[195:196]
	s_waitcnt vmcnt(0) lgkmcnt(0)
	v_cmp_ge_i16_e32 vcc_lo, v182, v183
	s_and_b32 s40, vcc_lo, exec_lo
.LBB1044_618:                           ;   in Loop: Header=BB1044_548 Depth=1
	s_or_b32 exec_lo, exec_lo, s27
	s_orn2_b32 s27, s40, exec_lo
.LBB1044_619:                           ;   in Loop: Header=BB1044_548 Depth=1
	s_or_b32 exec_lo, exec_lo, s29
	v_cndmask_b32_e64 v182, v179, v181, s27
	v_cndmask_b32_e64 v183, v177, v176, s27
	s_mov_b32 s29, exec_lo
	v_add_nc_u32_e32 v182, 1, v182
	v_add_nc_u32_e32 v183, -1, v183
	v_cndmask_b32_e64 v179, v182, v179, s27
	v_min_u32_e32 v183, v182, v183
	v_cndmask_b32_e64 v181, v181, v182, s27
	v_lshlrev_b32_e32 v183, 1, v183
	ds_read_u16 v183, v183
	s_waitcnt lgkmcnt(0)
	v_cndmask_b32_e64 v210, v183, v214, s27
	v_cndmask_b32_e64 v57, v56, v183, s27
	v_cmpx_lt_u32_e64 v179, v177
	s_cbranch_execz .LBB1044_623
; %bb.620:                              ;   in Loop: Header=BB1044_548 Depth=1
	s_mov_b32 s40, 0
	s_mov_b32 s28, exec_lo
	v_cmpx_lt_u32_e64 v181, v176
	s_cbranch_execz .LBB1044_622
; %bb.621:                              ;   in Loop: Header=BB1044_548 Depth=1
	v_bfe_i32 v182, v210, 0, 16
	v_bfe_i32 v195, v57, 0, 16
	v_ashrrev_i32_e32 v183, 31, v182
	v_ashrrev_i32_e32 v196, 31, v195
	v_lshlrev_b64 v[182:183], 1, v[182:183]
	v_lshlrev_b64 v[195:196], 1, v[195:196]
	v_add_co_u32 v182, vcc_lo, v6, v182
	v_add_co_ci_u32_e64 v183, null, v7, v183, vcc_lo
	v_add_co_u32 v195, vcc_lo, v6, v195
	v_add_co_ci_u32_e64 v196, null, v7, v196, vcc_lo
	s_clause 0x1
	flat_load_ushort v182, v[182:183]
	flat_load_ushort v183, v[195:196]
	s_waitcnt vmcnt(0) lgkmcnt(0)
	v_cmp_ge_i16_e32 vcc_lo, v182, v183
	s_and_b32 s40, vcc_lo, exec_lo
.LBB1044_622:                           ;   in Loop: Header=BB1044_548 Depth=1
	s_or_b32 exec_lo, exec_lo, s28
	s_orn2_b32 s28, s40, exec_lo
.LBB1044_623:                           ;   in Loop: Header=BB1044_548 Depth=1
	s_or_b32 exec_lo, exec_lo, s29
	v_cndmask_b32_e64 v182, v179, v181, s28
	v_cndmask_b32_e64 v183, v177, v176, s28
	s_mov_b32 s40, -1
	s_mov_b32 s29, -1
	s_mov_b32 s41, exec_lo
	v_add_nc_u32_e32 v182, 1, v182
	v_add_nc_u32_e32 v183, -1, v183
	v_cndmask_b32_e64 v179, v182, v179, s28
	v_min_u32_e32 v183, v182, v183
	v_cndmask_b32_e64 v181, v181, v182, s28
	v_lshlrev_b32_e32 v183, 1, v183
	ds_read_u16 v183, v183
	s_waitcnt lgkmcnt(0)
	v_cndmask_b32_e64 v211, v183, v210, s28
	v_cndmask_b32_e64 v58, v57, v183, s28
	v_cmpx_lt_u32_e64 v179, v177
	s_cbranch_execz .LBB1044_627
; %bb.624:                              ;   in Loop: Header=BB1044_548 Depth=1
	s_mov_b32 s42, 0
	s_mov_b32 s29, exec_lo
	v_cmpx_lt_u32_e64 v181, v176
	s_cbranch_execz .LBB1044_626
; %bb.625:                              ;   in Loop: Header=BB1044_548 Depth=1
	v_bfe_i32 v182, v211, 0, 16
	v_bfe_i32 v195, v58, 0, 16
	v_ashrrev_i32_e32 v183, 31, v182
	v_ashrrev_i32_e32 v196, 31, v195
	v_lshlrev_b64 v[182:183], 1, v[182:183]
	v_lshlrev_b64 v[195:196], 1, v[195:196]
	v_add_co_u32 v182, vcc_lo, v6, v182
	v_add_co_ci_u32_e64 v183, null, v7, v183, vcc_lo
	v_add_co_u32 v195, vcc_lo, v6, v195
	v_add_co_ci_u32_e64 v196, null, v7, v196, vcc_lo
	s_clause 0x1
	flat_load_ushort v182, v[182:183]
	flat_load_ushort v183, v[195:196]
	s_waitcnt vmcnt(0) lgkmcnt(0)
	v_cmp_ge_i16_e32 vcc_lo, v182, v183
	s_and_b32 s42, vcc_lo, exec_lo
.LBB1044_626:                           ;   in Loop: Header=BB1044_548 Depth=1
	s_or_b32 exec_lo, exec_lo, s29
	s_orn2_b32 s29, s42, exec_lo
.LBB1044_627:                           ;   in Loop: Header=BB1044_548 Depth=1
	s_or_b32 exec_lo, exec_lo, s41
	v_cndmask_b32_e64 v182, v179, v181, s29
	v_cndmask_b32_e64 v183, v177, v176, s29
	s_mov_b32 s41, exec_lo
	v_add_nc_u32_e32 v182, 1, v182
	v_add_nc_u32_e32 v183, -1, v183
	v_cndmask_b32_e64 v179, v182, v179, s29
	v_min_u32_e32 v183, v182, v183
	v_cndmask_b32_e64 v181, v181, v182, s29
	v_lshlrev_b32_e32 v183, 1, v183
	ds_read_u16 v183, v183
	s_waitcnt lgkmcnt(0)
	v_cndmask_b32_e64 v199, v183, v211, s29
	v_cndmask_b32_e64 v59, v58, v183, s29
	v_cmpx_lt_u32_e64 v179, v177
	s_cbranch_execz .LBB1044_631
; %bb.628:                              ;   in Loop: Header=BB1044_548 Depth=1
	s_mov_b32 s42, 0
	s_mov_b32 s40, exec_lo
	v_cmpx_lt_u32_e64 v181, v176
	s_cbranch_execz .LBB1044_630
; %bb.629:                              ;   in Loop: Header=BB1044_548 Depth=1
	v_bfe_i32 v182, v199, 0, 16
	v_bfe_i32 v195, v59, 0, 16
	v_ashrrev_i32_e32 v183, 31, v182
	v_ashrrev_i32_e32 v196, 31, v195
	v_lshlrev_b64 v[182:183], 1, v[182:183]
	v_lshlrev_b64 v[195:196], 1, v[195:196]
	v_add_co_u32 v182, vcc_lo, v6, v182
	v_add_co_ci_u32_e64 v183, null, v7, v183, vcc_lo
	v_add_co_u32 v195, vcc_lo, v6, v195
	v_add_co_ci_u32_e64 v196, null, v7, v196, vcc_lo
	s_clause 0x1
	flat_load_ushort v182, v[182:183]
	flat_load_ushort v183, v[195:196]
	s_waitcnt vmcnt(0) lgkmcnt(0)
	v_cmp_ge_i16_e32 vcc_lo, v182, v183
	s_and_b32 s42, vcc_lo, exec_lo
.LBB1044_630:                           ;   in Loop: Header=BB1044_548 Depth=1
	s_or_b32 exec_lo, exec_lo, s40
	s_orn2_b32 s40, s42, exec_lo
.LBB1044_631:                           ;   in Loop: Header=BB1044_548 Depth=1
	s_or_b32 exec_lo, exec_lo, s41
	v_cndmask_b32_e64 v182, v179, v181, s40
	v_cndmask_b32_e64 v183, v177, v176, s40
	s_mov_b32 s42, -1
	s_mov_b32 s41, -1
	s_mov_b32 s43, exec_lo
	v_add_nc_u32_e32 v182, 1, v182
	v_add_nc_u32_e32 v183, -1, v183
	v_cndmask_b32_e64 v179, v182, v179, s40
	v_min_u32_e32 v183, v182, v183
	v_cndmask_b32_e64 v181, v181, v182, s40
	v_lshlrev_b32_e32 v183, 1, v183
	ds_read_u16 v183, v183
	s_waitcnt lgkmcnt(0)
	v_cndmask_b32_e64 v212, v183, v199, s40
	v_cndmask_b32_e64 v60, v59, v183, s40
	v_cmpx_lt_u32_e64 v179, v177
	s_cbranch_execz .LBB1044_635
; %bb.632:                              ;   in Loop: Header=BB1044_548 Depth=1
	s_mov_b32 s44, 0
	s_mov_b32 s41, exec_lo
	v_cmpx_lt_u32_e64 v181, v176
	s_cbranch_execz .LBB1044_634
; %bb.633:                              ;   in Loop: Header=BB1044_548 Depth=1
	v_bfe_i32 v182, v212, 0, 16
	v_bfe_i32 v195, v60, 0, 16
	v_ashrrev_i32_e32 v183, 31, v182
	v_ashrrev_i32_e32 v196, 31, v195
	v_lshlrev_b64 v[182:183], 1, v[182:183]
	v_lshlrev_b64 v[195:196], 1, v[195:196]
	v_add_co_u32 v182, vcc_lo, v6, v182
	v_add_co_ci_u32_e64 v183, null, v7, v183, vcc_lo
	v_add_co_u32 v195, vcc_lo, v6, v195
	v_add_co_ci_u32_e64 v196, null, v7, v196, vcc_lo
	s_clause 0x1
	flat_load_ushort v182, v[182:183]
	flat_load_ushort v183, v[195:196]
	s_waitcnt vmcnt(0) lgkmcnt(0)
	v_cmp_ge_i16_e32 vcc_lo, v182, v183
	s_and_b32 s44, vcc_lo, exec_lo
.LBB1044_634:                           ;   in Loop: Header=BB1044_548 Depth=1
	s_or_b32 exec_lo, exec_lo, s41
	s_orn2_b32 s41, s44, exec_lo
.LBB1044_635:                           ;   in Loop: Header=BB1044_548 Depth=1
	s_or_b32 exec_lo, exec_lo, s43
	v_cndmask_b32_e64 v182, v179, v181, s41
	v_cndmask_b32_e64 v183, v177, v176, s41
	s_mov_b32 s43, exec_lo
	v_add_nc_u32_e32 v182, 1, v182
	v_add_nc_u32_e32 v183, -1, v183
	v_cndmask_b32_e64 v179, v182, v179, s41
	v_min_u32_e32 v183, v182, v183
	v_cndmask_b32_e64 v181, v181, v182, s41
	v_lshlrev_b32_e32 v183, 1, v183
	ds_read_u16 v183, v183
	s_waitcnt lgkmcnt(0)
	v_cndmask_b32_e64 v208, v183, v212, s41
	v_cndmask_b32_e64 v61, v60, v183, s41
	v_cmpx_lt_u32_e64 v179, v177
	s_cbranch_execz .LBB1044_639
; %bb.636:                              ;   in Loop: Header=BB1044_548 Depth=1
	s_mov_b32 s44, 0
	s_mov_b32 s42, exec_lo
	v_cmpx_lt_u32_e64 v181, v176
	s_cbranch_execz .LBB1044_638
; %bb.637:                              ;   in Loop: Header=BB1044_548 Depth=1
	v_bfe_i32 v182, v208, 0, 16
	v_bfe_i32 v195, v61, 0, 16
	v_ashrrev_i32_e32 v183, 31, v182
	v_ashrrev_i32_e32 v196, 31, v195
	v_lshlrev_b64 v[182:183], 1, v[182:183]
	v_lshlrev_b64 v[195:196], 1, v[195:196]
	v_add_co_u32 v182, vcc_lo, v6, v182
	v_add_co_ci_u32_e64 v183, null, v7, v183, vcc_lo
	v_add_co_u32 v195, vcc_lo, v6, v195
	v_add_co_ci_u32_e64 v196, null, v7, v196, vcc_lo
	s_clause 0x1
	flat_load_ushort v182, v[182:183]
	flat_load_ushort v183, v[195:196]
	s_waitcnt vmcnt(0) lgkmcnt(0)
	v_cmp_ge_i16_e32 vcc_lo, v182, v183
	s_and_b32 s44, vcc_lo, exec_lo
.LBB1044_638:                           ;   in Loop: Header=BB1044_548 Depth=1
	s_or_b32 exec_lo, exec_lo, s42
	s_orn2_b32 s42, s44, exec_lo
.LBB1044_639:                           ;   in Loop: Header=BB1044_548 Depth=1
	s_or_b32 exec_lo, exec_lo, s43
	v_cndmask_b32_e64 v182, v179, v181, s42
	v_cndmask_b32_e64 v183, v177, v176, s42
	s_mov_b32 s44, -1
	s_mov_b32 s43, -1
	s_mov_b32 s45, exec_lo
	v_add_nc_u32_e32 v182, 1, v182
	v_add_nc_u32_e32 v183, -1, v183
	v_cndmask_b32_e64 v179, v182, v179, s42
	v_min_u32_e32 v183, v182, v183
	v_cndmask_b32_e64 v181, v181, v182, s42
	v_lshlrev_b32_e32 v183, 1, v183
	ds_read_u16 v183, v183
	s_waitcnt lgkmcnt(0)
	v_cndmask_b32_e64 v209, v183, v208, s42
	v_cndmask_b32_e64 v62, v61, v183, s42
	v_cmpx_lt_u32_e64 v179, v177
	s_cbranch_execz .LBB1044_643
; %bb.640:                              ;   in Loop: Header=BB1044_548 Depth=1
	s_mov_b32 s46, 0
	s_mov_b32 s43, exec_lo
	v_cmpx_lt_u32_e64 v181, v176
	s_cbranch_execz .LBB1044_642
; %bb.641:                              ;   in Loop: Header=BB1044_548 Depth=1
	v_bfe_i32 v182, v209, 0, 16
	v_bfe_i32 v195, v62, 0, 16
	v_ashrrev_i32_e32 v183, 31, v182
	v_ashrrev_i32_e32 v196, 31, v195
	v_lshlrev_b64 v[182:183], 1, v[182:183]
	v_lshlrev_b64 v[195:196], 1, v[195:196]
	v_add_co_u32 v182, vcc_lo, v6, v182
	v_add_co_ci_u32_e64 v183, null, v7, v183, vcc_lo
	v_add_co_u32 v195, vcc_lo, v6, v195
	v_add_co_ci_u32_e64 v196, null, v7, v196, vcc_lo
	s_clause 0x1
	flat_load_ushort v182, v[182:183]
	flat_load_ushort v183, v[195:196]
	s_waitcnt vmcnt(0) lgkmcnt(0)
	v_cmp_ge_i16_e32 vcc_lo, v182, v183
	s_and_b32 s46, vcc_lo, exec_lo
.LBB1044_642:                           ;   in Loop: Header=BB1044_548 Depth=1
	s_or_b32 exec_lo, exec_lo, s43
	s_orn2_b32 s43, s46, exec_lo
.LBB1044_643:                           ;   in Loop: Header=BB1044_548 Depth=1
	s_or_b32 exec_lo, exec_lo, s45
	v_cndmask_b32_e64 v182, v179, v181, s43
	v_cndmask_b32_e64 v183, v177, v176, s43
	s_mov_b32 s45, exec_lo
	v_add_nc_u32_e32 v182, 1, v182
	v_add_nc_u32_e32 v183, -1, v183
	v_cndmask_b32_e64 v179, v182, v179, s43
	v_min_u32_e32 v183, v182, v183
	v_cndmask_b32_e64 v181, v181, v182, s43
	v_lshlrev_b32_e32 v183, 1, v183
	ds_read_u16 v183, v183
	s_waitcnt lgkmcnt(0)
	v_cndmask_b32_e64 v197, v183, v209, s43
	v_cndmask_b32_e64 v63, v62, v183, s43
	v_cmpx_lt_u32_e64 v179, v177
	s_cbranch_execz .LBB1044_647
; %bb.644:                              ;   in Loop: Header=BB1044_548 Depth=1
	s_mov_b32 s46, 0
	s_mov_b32 s44, exec_lo
	v_cmpx_lt_u32_e64 v181, v176
	s_cbranch_execz .LBB1044_646
; %bb.645:                              ;   in Loop: Header=BB1044_548 Depth=1
	v_bfe_i32 v182, v197, 0, 16
	v_bfe_i32 v195, v63, 0, 16
	v_ashrrev_i32_e32 v183, 31, v182
	v_ashrrev_i32_e32 v196, 31, v195
	v_lshlrev_b64 v[182:183], 1, v[182:183]
	v_lshlrev_b64 v[195:196], 1, v[195:196]
	v_add_co_u32 v182, vcc_lo, v6, v182
	v_add_co_ci_u32_e64 v183, null, v7, v183, vcc_lo
	v_add_co_u32 v195, vcc_lo, v6, v195
	v_add_co_ci_u32_e64 v196, null, v7, v196, vcc_lo
	s_clause 0x1
	flat_load_ushort v182, v[182:183]
	flat_load_ushort v183, v[195:196]
	s_waitcnt vmcnt(0) lgkmcnt(0)
	v_cmp_ge_i16_e32 vcc_lo, v182, v183
	s_and_b32 s46, vcc_lo, exec_lo
.LBB1044_646:                           ;   in Loop: Header=BB1044_548 Depth=1
	s_or_b32 exec_lo, exec_lo, s44
	s_orn2_b32 s44, s46, exec_lo
.LBB1044_647:                           ;   in Loop: Header=BB1044_548 Depth=1
	s_or_b32 exec_lo, exec_lo, s45
	v_cndmask_b32_e64 v182, v179, v181, s44
	v_cndmask_b32_e64 v183, v177, v176, s44
	s_mov_b32 s46, -1
	s_mov_b32 s45, -1
	s_mov_b32 s47, exec_lo
	v_add_nc_u32_e32 v182, 1, v182
	v_add_nc_u32_e32 v183, -1, v183
	v_cndmask_b32_e64 v179, v182, v179, s44
	v_min_u32_e32 v183, v182, v183
	v_cndmask_b32_e64 v181, v181, v182, s44
	v_lshlrev_b32_e32 v183, 1, v183
	ds_read_u16 v183, v183
	s_waitcnt lgkmcnt(0)
	v_cndmask_b32_e64 v198, v183, v197, s44
	v_cndmask_b32_e64 v72, v63, v183, s44
	v_cmpx_lt_u32_e64 v179, v177
	s_cbranch_execz .LBB1044_651
; %bb.648:                              ;   in Loop: Header=BB1044_548 Depth=1
	s_mov_b32 s56, 0
	s_mov_b32 s45, exec_lo
	v_cmpx_lt_u32_e64 v181, v176
	s_cbranch_execz .LBB1044_650
; %bb.649:                              ;   in Loop: Header=BB1044_548 Depth=1
	v_bfe_i32 v182, v198, 0, 16
	v_bfe_i32 v195, v72, 0, 16
	v_ashrrev_i32_e32 v183, 31, v182
	v_ashrrev_i32_e32 v196, 31, v195
	v_lshlrev_b64 v[182:183], 1, v[182:183]
	v_lshlrev_b64 v[195:196], 1, v[195:196]
	v_add_co_u32 v182, vcc_lo, v6, v182
	v_add_co_ci_u32_e64 v183, null, v7, v183, vcc_lo
	v_add_co_u32 v195, vcc_lo, v6, v195
	v_add_co_ci_u32_e64 v196, null, v7, v196, vcc_lo
	s_clause 0x1
	flat_load_ushort v182, v[182:183]
	flat_load_ushort v183, v[195:196]
	s_waitcnt vmcnt(0) lgkmcnt(0)
	v_cmp_ge_i16_e32 vcc_lo, v182, v183
	s_and_b32 s56, vcc_lo, exec_lo
.LBB1044_650:                           ;   in Loop: Header=BB1044_548 Depth=1
	s_or_b32 exec_lo, exec_lo, s45
	s_orn2_b32 s45, s56, exec_lo
.LBB1044_651:                           ;   in Loop: Header=BB1044_548 Depth=1
	s_or_b32 exec_lo, exec_lo, s47
	v_cndmask_b32_e64 v182, v179, v181, s45
	v_cndmask_b32_e64 v183, v177, v176, s45
	s_mov_b32 s47, exec_lo
	v_add_nc_u32_e32 v182, 1, v182
	v_add_nc_u32_e32 v183, -1, v183
	v_cndmask_b32_e64 v179, v182, v179, s45
	v_min_u32_e32 v183, v182, v183
	v_cndmask_b32_e64 v181, v181, v182, s45
	v_lshlrev_b32_e32 v183, 1, v183
	ds_read_u16 v183, v183
	s_waitcnt lgkmcnt(0)
	v_cndmask_b32_e64 v196, v183, v198, s45
	v_cndmask_b32_e64 v73, v72, v183, s45
	v_cmpx_lt_u32_e64 v179, v177
	s_cbranch_execz .LBB1044_655
; %bb.652:                              ;   in Loop: Header=BB1044_548 Depth=1
	s_mov_b32 s56, 0
	s_mov_b32 s46, exec_lo
	v_cmpx_lt_u32_e64 v181, v176
	s_cbranch_execz .LBB1044_654
; %bb.653:                              ;   in Loop: Header=BB1044_548 Depth=1
	v_bfe_i32 v182, v196, 0, 16
	v_bfe_i32 v74, v73, 0, 16
	v_ashrrev_i32_e32 v183, 31, v182
	v_ashrrev_i32_e32 v75, 31, v74
	v_lshlrev_b64 v[182:183], 1, v[182:183]
	v_lshlrev_b64 v[74:75], 1, v[74:75]
	v_add_co_u32 v182, vcc_lo, v6, v182
	v_add_co_ci_u32_e64 v183, null, v7, v183, vcc_lo
	v_add_co_u32 v74, vcc_lo, v6, v74
	v_add_co_ci_u32_e64 v75, null, v7, v75, vcc_lo
	s_clause 0x1
	flat_load_ushort v182, v[182:183]
	flat_load_ushort v183, v[74:75]
	s_waitcnt vmcnt(0) lgkmcnt(0)
	v_cmp_ge_i16_e32 vcc_lo, v182, v183
	s_and_b32 s56, vcc_lo, exec_lo
.LBB1044_654:                           ;   in Loop: Header=BB1044_548 Depth=1
	s_or_b32 exec_lo, exec_lo, s46
	s_orn2_b32 s46, s56, exec_lo
.LBB1044_655:                           ;   in Loop: Header=BB1044_548 Depth=1
	s_or_b32 exec_lo, exec_lo, s47
	v_cndmask_b32_e64 v182, v179, v181, s46
	v_cndmask_b32_e64 v183, v177, v176, s46
	s_mov_b32 s56, -1
	s_mov_b32 s47, -1
	s_mov_b32 s57, exec_lo
	v_add_nc_u32_e32 v182, 1, v182
	v_add_nc_u32_e32 v183, -1, v183
	v_cndmask_b32_e64 v179, v182, v179, s46
	v_min_u32_e32 v183, v182, v183
	v_cndmask_b32_e64 v181, v181, v182, s46
	v_lshlrev_b32_e32 v183, 1, v183
	ds_read_u16 v183, v183
	s_waitcnt lgkmcnt(0)
	v_cndmask_b32_e64 v195, v183, v196, s46
	v_cndmask_b32_e64 v74, v73, v183, s46
	v_cmpx_lt_u32_e64 v179, v177
	s_cbranch_execz .LBB1044_659
; %bb.656:                              ;   in Loop: Header=BB1044_548 Depth=1
	s_mov_b32 s58, 0
	s_mov_b32 s47, exec_lo
	v_cmpx_lt_u32_e64 v181, v176
	s_cbranch_execz .LBB1044_658
; %bb.657:                              ;   in Loop: Header=BB1044_548 Depth=1
	v_bfe_i32 v182, v195, 0, 16
	v_bfe_i32 v75, v74, 0, 16
	v_ashrrev_i32_e32 v183, 31, v182
	v_ashrrev_i32_e32 v76, 31, v75
	v_lshlrev_b64 v[182:183], 1, v[182:183]
	v_lshlrev_b64 v[75:76], 1, v[75:76]
	v_add_co_u32 v182, vcc_lo, v6, v182
	v_add_co_ci_u32_e64 v183, null, v7, v183, vcc_lo
	v_add_co_u32 v75, vcc_lo, v6, v75
	v_add_co_ci_u32_e64 v76, null, v7, v76, vcc_lo
	s_clause 0x1
	flat_load_ushort v182, v[182:183]
	flat_load_ushort v183, v[75:76]
	s_waitcnt vmcnt(0) lgkmcnt(0)
	v_cmp_ge_i16_e32 vcc_lo, v182, v183
	s_and_b32 s58, vcc_lo, exec_lo
.LBB1044_658:                           ;   in Loop: Header=BB1044_548 Depth=1
	s_or_b32 exec_lo, exec_lo, s47
	s_orn2_b32 s47, s58, exec_lo
.LBB1044_659:                           ;   in Loop: Header=BB1044_548 Depth=1
	s_or_b32 exec_lo, exec_lo, s57
	v_cndmask_b32_e64 v182, v179, v181, s47
	v_cndmask_b32_e64 v183, v177, v176, s47
	s_mov_b32 s57, exec_lo
	v_add_nc_u32_e32 v182, 1, v182
	v_add_nc_u32_e32 v183, -1, v183
	v_cndmask_b32_e64 v179, v182, v179, s47
	v_min_u32_e32 v183, v182, v183
	v_cndmask_b32_e64 v181, v181, v182, s47
	v_lshlrev_b32_e32 v183, 1, v183
	ds_read_u16 v183, v183
	s_waitcnt lgkmcnt(0)
	v_cndmask_b32_e64 v192, v183, v195, s47
	v_cndmask_b32_e64 v75, v74, v183, s47
	v_cmpx_lt_u32_e64 v179, v177
	s_cbranch_execz .LBB1044_663
; %bb.660:                              ;   in Loop: Header=BB1044_548 Depth=1
	s_mov_b32 s58, 0
	s_mov_b32 s56, exec_lo
	v_cmpx_lt_u32_e64 v181, v176
	s_cbranch_execz .LBB1044_662
; %bb.661:                              ;   in Loop: Header=BB1044_548 Depth=1
	v_bfe_i32 v182, v192, 0, 16
	v_bfe_i32 v76, v75, 0, 16
	v_ashrrev_i32_e32 v183, 31, v182
	v_ashrrev_i32_e32 v77, 31, v76
	v_lshlrev_b64 v[182:183], 1, v[182:183]
	v_lshlrev_b64 v[76:77], 1, v[76:77]
	v_add_co_u32 v182, vcc_lo, v6, v182
	v_add_co_ci_u32_e64 v183, null, v7, v183, vcc_lo
	v_add_co_u32 v76, vcc_lo, v6, v76
	v_add_co_ci_u32_e64 v77, null, v7, v77, vcc_lo
	s_clause 0x1
	flat_load_ushort v182, v[182:183]
	flat_load_ushort v183, v[76:77]
	s_waitcnt vmcnt(0) lgkmcnt(0)
	v_cmp_ge_i16_e32 vcc_lo, v182, v183
	s_and_b32 s58, vcc_lo, exec_lo
.LBB1044_662:                           ;   in Loop: Header=BB1044_548 Depth=1
	s_or_b32 exec_lo, exec_lo, s56
	s_orn2_b32 s56, s58, exec_lo
.LBB1044_663:                           ;   in Loop: Header=BB1044_548 Depth=1
	s_or_b32 exec_lo, exec_lo, s57
	v_cndmask_b32_e64 v182, v179, v181, s56
	v_cndmask_b32_e64 v183, v177, v176, s56
	s_mov_b32 s58, -1
	s_mov_b32 s57, -1
	s_mov_b32 s59, exec_lo
	v_add_nc_u32_e32 v182, 1, v182
	v_add_nc_u32_e32 v183, -1, v183
	v_cndmask_b32_e64 v179, v182, v179, s56
	v_min_u32_e32 v183, v182, v183
	v_cndmask_b32_e64 v181, v181, v182, s56
	v_lshlrev_b32_e32 v183, 1, v183
	ds_read_u16 v76, v183
	s_waitcnt lgkmcnt(0)
	v_cndmask_b32_e64 v183, v76, v192, s56
	v_cndmask_b32_e64 v76, v75, v76, s56
	v_cmpx_lt_u32_e64 v179, v177
	s_cbranch_execz .LBB1044_667
; %bb.664:                              ;   in Loop: Header=BB1044_548 Depth=1
	s_mov_b32 s60, 0
	s_mov_b32 s57, exec_lo
	v_cmpx_lt_u32_e64 v181, v176
	s_cbranch_execz .LBB1044_666
; %bb.665:                              ;   in Loop: Header=BB1044_548 Depth=1
	v_bfe_i32 v77, v183, 0, 16
	v_bfe_i32 v88, v76, 0, 16
	v_ashrrev_i32_e32 v78, 31, v77
	v_ashrrev_i32_e32 v89, 31, v88
	v_lshlrev_b64 v[77:78], 1, v[77:78]
	v_lshlrev_b64 v[88:89], 1, v[88:89]
	v_add_co_u32 v77, vcc_lo, v6, v77
	v_add_co_ci_u32_e64 v78, null, v7, v78, vcc_lo
	v_add_co_u32 v88, vcc_lo, v6, v88
	v_add_co_ci_u32_e64 v89, null, v7, v89, vcc_lo
	s_clause 0x1
	flat_load_ushort v182, v[77:78]
	flat_load_ushort v77, v[88:89]
	s_waitcnt vmcnt(0) lgkmcnt(0)
	v_cmp_ge_i16_e32 vcc_lo, v182, v77
	s_and_b32 s60, vcc_lo, exec_lo
.LBB1044_666:                           ;   in Loop: Header=BB1044_548 Depth=1
	s_or_b32 exec_lo, exec_lo, s57
	s_orn2_b32 s57, s60, exec_lo
.LBB1044_667:                           ;   in Loop: Header=BB1044_548 Depth=1
	s_or_b32 exec_lo, exec_lo, s59
	v_cndmask_b32_e64 v182, v179, v181, s57
	v_cndmask_b32_e64 v77, v177, v176, s57
	s_mov_b32 s59, exec_lo
	v_add_nc_u32_e32 v182, 1, v182
	v_add_nc_u32_e32 v77, -1, v77
	v_cndmask_b32_e64 v179, v182, v179, s57
	v_min_u32_e32 v77, v182, v77
	v_cndmask_b32_e64 v181, v181, v182, s57
	v_lshlrev_b32_e32 v77, 1, v77
	ds_read_u16 v77, v77
	s_waitcnt lgkmcnt(0)
	v_cndmask_b32_e64 v182, v77, v183, s57
	v_cndmask_b32_e64 v77, v76, v77, s57
	v_cmpx_lt_u32_e64 v179, v177
	s_cbranch_execz .LBB1044_671
; %bb.668:                              ;   in Loop: Header=BB1044_548 Depth=1
	s_mov_b32 s60, 0
	s_mov_b32 s58, exec_lo
	v_cmpx_lt_u32_e64 v181, v176
	s_cbranch_execz .LBB1044_670
; %bb.669:                              ;   in Loop: Header=BB1044_548 Depth=1
	v_bfe_i32 v78, v182, 0, 16
	v_bfe_i32 v88, v77, 0, 16
	v_ashrrev_i32_e32 v79, 31, v78
	v_ashrrev_i32_e32 v89, 31, v88
	v_lshlrev_b64 v[78:79], 1, v[78:79]
	v_lshlrev_b64 v[88:89], 1, v[88:89]
	v_add_co_u32 v78, vcc_lo, v6, v78
	v_add_co_ci_u32_e64 v79, null, v7, v79, vcc_lo
	v_add_co_u32 v88, vcc_lo, v6, v88
	v_add_co_ci_u32_e64 v89, null, v7, v89, vcc_lo
	s_clause 0x1
	flat_load_ushort v78, v[78:79]
	flat_load_ushort v79, v[88:89]
	s_waitcnt vmcnt(0) lgkmcnt(0)
	v_cmp_ge_i16_e32 vcc_lo, v78, v79
	s_and_b32 s60, vcc_lo, exec_lo
.LBB1044_670:                           ;   in Loop: Header=BB1044_548 Depth=1
	s_or_b32 exec_lo, exec_lo, s58
	s_orn2_b32 s58, s60, exec_lo
.LBB1044_671:                           ;   in Loop: Header=BB1044_548 Depth=1
	s_or_b32 exec_lo, exec_lo, s59
	v_cndmask_b32_e64 v78, v179, v181, s58
	v_cndmask_b32_e64 v79, v177, v176, s58
	s_mov_b32 s59, -1
	s_mov_b32 s60, -1
	s_mov_b32 s61, exec_lo
	v_add_nc_u32_e32 v78, 1, v78
	v_add_nc_u32_e32 v79, -1, v79
	v_cndmask_b32_e64 v179, v78, v179, s58
	v_min_u32_e32 v79, v78, v79
	v_lshlrev_b32_e32 v79, 1, v79
	ds_read_u16 v88, v79
	v_cndmask_b32_e64 v79, v181, v78, s58
	s_waitcnt lgkmcnt(0)
	v_cndmask_b32_e64 v181, v88, v182, s58
	v_cndmask_b32_e64 v78, v77, v88, s58
	v_cmpx_lt_u32_e64 v179, v177
	s_cbranch_execz .LBB1044_675
; %bb.672:                              ;   in Loop: Header=BB1044_548 Depth=1
	s_mov_b32 s62, 0
	s_mov_b32 s60, exec_lo
	v_cmpx_lt_u32_e64 v79, v176
	s_cbranch_execz .LBB1044_674
; %bb.673:                              ;   in Loop: Header=BB1044_548 Depth=1
	v_bfe_i32 v88, v181, 0, 16
	v_bfe_i32 v90, v78, 0, 16
	v_ashrrev_i32_e32 v89, 31, v88
	v_ashrrev_i32_e32 v91, 31, v90
	v_lshlrev_b64 v[88:89], 1, v[88:89]
	v_lshlrev_b64 v[90:91], 1, v[90:91]
	v_add_co_u32 v88, vcc_lo, v6, v88
	v_add_co_ci_u32_e64 v89, null, v7, v89, vcc_lo
	v_add_co_u32 v90, vcc_lo, v6, v90
	v_add_co_ci_u32_e64 v91, null, v7, v91, vcc_lo
	s_clause 0x1
	flat_load_ushort v88, v[88:89]
	flat_load_ushort v89, v[90:91]
	s_waitcnt vmcnt(0) lgkmcnt(0)
	v_cmp_ge_i16_e32 vcc_lo, v88, v89
	s_and_b32 s62, vcc_lo, exec_lo
.LBB1044_674:                           ;   in Loop: Header=BB1044_548 Depth=1
	s_or_b32 exec_lo, exec_lo, s60
	s_orn2_b32 s60, s62, exec_lo
.LBB1044_675:                           ;   in Loop: Header=BB1044_548 Depth=1
	s_or_b32 exec_lo, exec_lo, s61
	v_cndmask_b32_e64 v88, v179, v79, s60
	v_cndmask_b32_e64 v89, v177, v176, s60
	s_mov_b32 s61, exec_lo
	v_add_nc_u32_e32 v88, 1, v88
	v_add_nc_u32_e32 v89, -1, v89
	v_cndmask_b32_e64 v179, v88, v179, s60
	v_min_u32_e32 v89, v88, v89
	v_lshlrev_b32_e32 v89, 1, v89
	ds_read_u16 v90, v89
	v_cndmask_b32_e64 v89, v79, v88, s60
	s_waitcnt lgkmcnt(0)
	v_cndmask_b32_e64 v79, v90, v181, s60
	v_cndmask_b32_e64 v88, v78, v90, s60
	v_cmpx_lt_u32_e64 v179, v177
	s_cbranch_execz .LBB1044_679
; %bb.676:                              ;   in Loop: Header=BB1044_548 Depth=1
	s_mov_b32 s62, 0
	s_mov_b32 s59, exec_lo
	v_cmpx_lt_u32_e64 v89, v176
	s_cbranch_execz .LBB1044_678
; %bb.677:                              ;   in Loop: Header=BB1044_548 Depth=1
	v_bfe_i32 v90, v79, 0, 16
	v_bfe_i32 v92, v88, 0, 16
	v_ashrrev_i32_e32 v91, 31, v90
	v_ashrrev_i32_e32 v93, 31, v92
	v_lshlrev_b64 v[90:91], 1, v[90:91]
	v_lshlrev_b64 v[92:93], 1, v[92:93]
	v_add_co_u32 v90, vcc_lo, v6, v90
	v_add_co_ci_u32_e64 v91, null, v7, v91, vcc_lo
	v_add_co_u32 v92, vcc_lo, v6, v92
	v_add_co_ci_u32_e64 v93, null, v7, v93, vcc_lo
	s_clause 0x1
	flat_load_ushort v90, v[90:91]
	flat_load_ushort v91, v[92:93]
	s_waitcnt vmcnt(0) lgkmcnt(0)
	v_cmp_ge_i16_e32 vcc_lo, v90, v91
	s_and_b32 s62, vcc_lo, exec_lo
.LBB1044_678:                           ;   in Loop: Header=BB1044_548 Depth=1
	s_or_b32 exec_lo, exec_lo, s59
	s_orn2_b32 s59, s62, exec_lo
.LBB1044_679:                           ;   in Loop: Header=BB1044_548 Depth=1
	s_or_b32 exec_lo, exec_lo, s61
	v_cndmask_b32_e64 v90, v179, v89, s59
	v_cndmask_b32_e64 v91, v177, v176, s59
	s_mov_b32 s61, exec_lo
	v_add_nc_u32_e32 v90, 1, v90
	v_add_nc_u32_e32 v91, -1, v91
	v_cndmask_b32_e64 v92, v90, v179, s59
	v_min_u32_e32 v91, v90, v91
	v_lshlrev_b32_e32 v91, 1, v91
	ds_read_u16 v91, v91
	s_waitcnt lgkmcnt(0)
	v_cndmask_b32_e64 v179, v88, v91, s59
	v_cmpx_lt_u32_e64 v92, v177
	s_cbranch_execz .LBB1044_683
; %bb.680:                              ;   in Loop: Header=BB1044_548 Depth=1
	v_cndmask_b32_e64 v89, v89, v90, s59
	v_cndmask_b32_e64 v177, v91, v79, s59
	s_mov_b32 s62, exec_lo
	v_cmpx_lt_u32_e64 v89, v176
	s_cbranch_execz .LBB1044_682
; %bb.681:                              ;   in Loop: Header=BB1044_548 Depth=1
	v_bfe_i32 v89, v177, 0, 16
	v_bfe_i32 v91, v179, 0, 16
	v_ashrrev_i32_e32 v90, 31, v89
	v_ashrrev_i32_e32 v92, 31, v91
	v_lshlrev_b64 v[89:90], 1, v[89:90]
	v_lshlrev_b64 v[91:92], 1, v[91:92]
	v_add_co_u32 v89, vcc_lo, v6, v89
	v_add_co_ci_u32_e64 v90, null, v7, v90, vcc_lo
	v_add_co_u32 v91, vcc_lo, v6, v91
	v_add_co_ci_u32_e64 v92, null, v7, v92, vcc_lo
	s_clause 0x1
	flat_load_ushort v176, v[89:90]
	flat_load_ushort v89, v[91:92]
	s_waitcnt vmcnt(0) lgkmcnt(0)
	v_cmp_lt_i16_e32 vcc_lo, v176, v89
	v_cndmask_b32_e32 v177, v179, v177, vcc_lo
.LBB1044_682:                           ;   in Loop: Header=BB1044_548 Depth=1
	s_or_b32 exec_lo, exec_lo, s62
	v_mov_b32_e32 v179, v177
.LBB1044_683:                           ;   in Loop: Header=BB1044_548 Depth=1
	s_or_b32 exec_lo, exec_lo, s61
	v_cndmask_b32_e64 v181, v181, v78, s60
	v_cndmask_b32_e64 v182, v182, v77, s58
	;; [unrolled: 1-line block ×31, first 2 shown]
.LBB1044_684:                           ;   in Loop: Header=BB1044_548 Depth=1
	s_or_b32 exec_lo, exec_lo, s7
	s_cmpk_lt_u32 s5, 0x1000
	s_barrier
	buffer_gl0_inv
	s_cbranch_scc0 .LBB1044_767
; %bb.685:                              ;   in Loop: Header=BB1044_548 Depth=1
	s_mov_b32 s5, s6
	s_branch .LBB1044_548
.LBB1044_686:
	s_andn2_saveexec_b32 s37, s21
	s_cbranch_execz .LBB1044_768
.LBB1044_687:
	v_cmp_lt_u32_e32 vcc_lo, v8, v0
                                        ; implicit-def: $vgpr9
	s_and_saveexec_b32 s5, vcc_lo
	s_cbranch_execz .LBB1044_689
; %bb.688:
	s_waitcnt lgkmcnt(31)
	v_add_co_u32 v52, s4, v2, v10
	v_add_co_ci_u32_e64 v53, null, 0, v3, s4
	flat_load_ushort v9, v[52:53]
.LBB1044_689:
	s_or_b32 exec_lo, exec_lo, s5
	v_cmp_lt_u32_e64 s4, v48, v0
                                        ; implicit-def: $vgpr52
	s_and_saveexec_b32 s6, s4
	s_cbranch_execz .LBB1044_691
; %bb.690:
	s_waitcnt lgkmcnt(31)
	v_add_co_u32 v52, s5, v2, v10
	v_add_co_ci_u32_e64 v53, null, 0, v3, s5
	flat_load_ushort v52, v[52:53] offset:512
.LBB1044_691:
	s_or_b32 exec_lo, exec_lo, s6
	v_cmp_lt_u32_e64 s5, v37, v0
                                        ; implicit-def: $vgpr53
	s_and_saveexec_b32 s7, s5
	s_cbranch_execz .LBB1044_693
; %bb.692:
	v_add_co_u32 v53, s6, v2, v10
	v_add_co_ci_u32_e64 v54, null, 0, v3, s6
	flat_load_ushort v53, v[53:54] offset:1024
.LBB1044_693:
	s_or_b32 exec_lo, exec_lo, s7
	v_cmp_lt_u32_e64 s6, v1, v0
                                        ; implicit-def: $vgpr54
	s_and_saveexec_b32 s10, s6
	s_cbranch_execz .LBB1044_695
; %bb.694:
	v_add_co_u32 v54, s7, v2, v10
	v_add_co_ci_u32_e64 v55, null, 0, v3, s7
	flat_load_ushort v54, v[54:55] offset:1536
.LBB1044_695:
	s_or_b32 exec_lo, exec_lo, s10
	v_cmp_lt_u32_e64 s7, v12, v0
                                        ; implicit-def: $vgpr55
	s_and_saveexec_b32 s11, s7
	s_cbranch_execz .LBB1044_697
; %bb.696:
	v_lshlrev_b32_e32 v55, 1, v12
	v_add_co_u32 v64, s10, v2, v55
	v_add_co_ci_u32_e64 v65, null, 0, v3, s10
	flat_load_ushort v55, v[64:65]
.LBB1044_697:
	s_or_b32 exec_lo, exec_lo, s11
	v_cmp_lt_u32_e64 s10, v51, v0
                                        ; implicit-def: $vgpr64
	s_and_saveexec_b32 s14, s10
	s_cbranch_execz .LBB1044_699
; %bb.698:
	v_lshlrev_b32_e32 v64, 1, v51
	v_add_co_u32 v64, s11, v2, v64
	v_add_co_ci_u32_e64 v65, null, 0, v3, s11
	flat_load_ushort v64, v[64:65]
.LBB1044_699:
	s_or_b32 exec_lo, exec_lo, s14
	v_cmp_lt_u32_e64 s11, v13, v0
                                        ; implicit-def: $vgpr66
	s_and_saveexec_b32 s15, s11
	s_cbranch_execz .LBB1044_701
; %bb.700:
	v_lshlrev_b32_e32 v65, 1, v13
	v_add_co_u32 v65, s14, v2, v65
	v_add_co_ci_u32_e64 v66, null, 0, v3, s14
	flat_load_ushort v66, v[65:66]
.LBB1044_701:
	s_or_b32 exec_lo, exec_lo, s15
	v_cmp_lt_u32_e64 s47, v14, v0
                                        ; implicit-def: $vgpr65
	s_and_saveexec_b32 s15, s47
	s_cbranch_execz .LBB1044_703
; %bb.702:
	v_lshlrev_b32_e32 v65, 1, v14
	v_add_co_u32 v67, s14, v2, v65
	v_add_co_ci_u32_e64 v68, null, 0, v3, s14
	flat_load_ushort v65, v[67:68]
.LBB1044_703:
	s_or_b32 exec_lo, exec_lo, s15
	v_cmp_lt_u32_e64 s56, v15, v0
                                        ; implicit-def: $vgpr67
	s_and_saveexec_b32 s15, s56
	s_cbranch_execz .LBB1044_705
; %bb.704:
	v_lshlrev_b32_e32 v67, 1, v15
	v_add_co_u32 v67, s14, v2, v67
	v_add_co_ci_u32_e64 v68, null, 0, v3, s14
	flat_load_ushort v67, v[67:68]
.LBB1044_705:
	s_or_b32 exec_lo, exec_lo, s15
	v_cmp_lt_u32_e64 s14, v16, v0
                                        ; implicit-def: $vgpr68
	s_and_saveexec_b32 s16, s14
	s_cbranch_execz .LBB1044_707
; %bb.706:
	v_lshlrev_b32_e32 v68, 1, v16
	v_add_co_u32 v68, s15, v2, v68
	v_add_co_ci_u32_e64 v69, null, 0, v3, s15
	flat_load_ushort v68, v[68:69]
.LBB1044_707:
	s_or_b32 exec_lo, exec_lo, s16
	v_cmp_lt_u32_e64 s15, v17, v0
                                        ; implicit-def: $vgpr69
	s_and_saveexec_b32 s17, s15
	s_cbranch_execz .LBB1044_709
; %bb.708:
	v_lshlrev_b32_e32 v69, 1, v17
	v_add_co_u32 v69, s16, v2, v69
	v_add_co_ci_u32_e64 v70, null, 0, v3, s16
	flat_load_ushort v69, v[69:70]
.LBB1044_709:
	s_or_b32 exec_lo, exec_lo, s17
	v_cmp_lt_u32_e64 s16, v18, v0
                                        ; implicit-def: $vgpr71
	s_and_saveexec_b32 s18, s16
	s_cbranch_execz .LBB1044_711
; %bb.710:
	v_lshlrev_b32_e32 v70, 1, v18
	v_add_co_u32 v70, s17, v2, v70
	v_add_co_ci_u32_e64 v71, null, 0, v3, s17
	flat_load_ushort v71, v[70:71]
.LBB1044_711:
	s_or_b32 exec_lo, exec_lo, s18
	v_cmp_lt_u32_e64 s17, v19, v0
                                        ; implicit-def: $vgpr70
	s_and_saveexec_b32 s19, s17
	s_cbranch_execz .LBB1044_713
; %bb.712:
	v_lshlrev_b32_e32 v70, 1, v19
	v_add_co_u32 v80, s18, v2, v70
	v_add_co_ci_u32_e64 v81, null, 0, v3, s18
	flat_load_ushort v70, v[80:81]
.LBB1044_713:
	s_or_b32 exec_lo, exec_lo, s19
	v_cmp_lt_u32_e64 s18, v20, v0
                                        ; implicit-def: $vgpr80
	s_and_saveexec_b32 s20, s18
	s_cbranch_execz .LBB1044_715
; %bb.714:
	v_lshlrev_b32_e32 v80, 1, v20
	v_add_co_u32 v80, s19, v2, v80
	v_add_co_ci_u32_e64 v81, null, 0, v3, s19
	flat_load_ushort v80, v[80:81]
.LBB1044_715:
	s_or_b32 exec_lo, exec_lo, s20
	v_cmp_lt_u32_e64 s19, v21, v0
                                        ; implicit-def: $vgpr81
	s_and_saveexec_b32 s21, s19
	s_cbranch_execz .LBB1044_717
; %bb.716:
	v_lshlrev_b32_e32 v81, 1, v21
	v_add_co_u32 v81, s20, v2, v81
	v_add_co_ci_u32_e64 v82, null, 0, v3, s20
	flat_load_ushort v81, v[81:82]
.LBB1044_717:
	s_or_b32 exec_lo, exec_lo, s21
	v_cmp_lt_u32_e64 s20, v22, v0
                                        ; implicit-def: $vgpr82
	s_and_saveexec_b32 s22, s20
	s_cbranch_execz .LBB1044_719
; %bb.718:
	v_lshlrev_b32_e32 v82, 1, v22
	v_add_co_u32 v82, s21, v2, v82
	v_add_co_ci_u32_e64 v83, null, 0, v3, s21
	flat_load_ushort v82, v[82:83]
.LBB1044_719:
	s_or_b32 exec_lo, exec_lo, s22
	v_cmp_lt_u32_e64 s21, v23, v0
                                        ; implicit-def: $vgpr84
	s_and_saveexec_b32 s23, s21
	s_cbranch_execz .LBB1044_721
; %bb.720:
	v_lshlrev_b32_e32 v83, 1, v23
	v_add_co_u32 v83, s22, v2, v83
	v_add_co_ci_u32_e64 v84, null, 0, v3, s22
	flat_load_ushort v84, v[83:84]
.LBB1044_721:
	s_or_b32 exec_lo, exec_lo, s23
	v_cmp_lt_u32_e64 s22, v24, v0
                                        ; implicit-def: $vgpr83
	s_and_saveexec_b32 s24, s22
	s_cbranch_execz .LBB1044_723
; %bb.722:
	v_lshlrev_b32_e32 v83, 1, v24
	v_add_co_u32 v85, s23, v2, v83
	v_add_co_ci_u32_e64 v86, null, 0, v3, s23
	flat_load_ushort v83, v[85:86]
.LBB1044_723:
	s_or_b32 exec_lo, exec_lo, s24
	v_cmp_lt_u32_e64 s23, v25, v0
                                        ; implicit-def: $vgpr85
	s_and_saveexec_b32 s25, s23
	s_cbranch_execz .LBB1044_725
; %bb.724:
	v_lshlrev_b32_e32 v85, 1, v25
	v_add_co_u32 v85, s24, v2, v85
	v_add_co_ci_u32_e64 v86, null, 0, v3, s24
	flat_load_ushort v85, v[85:86]
.LBB1044_725:
	s_or_b32 exec_lo, exec_lo, s25
	v_cmp_lt_u32_e64 s24, v26, v0
                                        ; implicit-def: $vgpr86
	s_and_saveexec_b32 s26, s24
	s_cbranch_execz .LBB1044_727
; %bb.726:
	v_lshlrev_b32_e32 v86, 1, v26
	v_add_co_u32 v86, s25, v2, v86
	v_add_co_ci_u32_e64 v87, null, 0, v3, s25
	flat_load_ushort v86, v[86:87]
.LBB1044_727:
	s_or_b32 exec_lo, exec_lo, s26
	v_cmp_lt_u32_e64 s25, v27, v0
                                        ; implicit-def: $vgpr87
	s_and_saveexec_b32 s27, s25
	s_cbranch_execz .LBB1044_729
; %bb.728:
	v_lshlrev_b32_e32 v87, 1, v27
	v_add_co_u32 v96, s26, v2, v87
	v_add_co_ci_u32_e64 v97, null, 0, v3, s26
	flat_load_ushort v87, v[96:97]
.LBB1044_729:
	s_or_b32 exec_lo, exec_lo, s27
	v_cmp_lt_u32_e64 s26, v28, v0
                                        ; implicit-def: $vgpr97
	s_and_saveexec_b32 s28, s26
	s_cbranch_execz .LBB1044_731
; %bb.730:
	v_lshlrev_b32_e32 v96, 1, v28
	v_add_co_u32 v96, s27, v2, v96
	v_add_co_ci_u32_e64 v97, null, 0, v3, s27
	flat_load_ushort v97, v[96:97]
.LBB1044_731:
	s_or_b32 exec_lo, exec_lo, s28
	v_cmp_lt_u32_e64 s27, v29, v0
                                        ; implicit-def: $vgpr96
	s_and_saveexec_b32 s29, s27
	s_cbranch_execz .LBB1044_733
; %bb.732:
	v_lshlrev_b32_e32 v96, 1, v29
	v_add_co_u32 v98, s28, v2, v96
	v_add_co_ci_u32_e64 v99, null, 0, v3, s28
	flat_load_ushort v96, v[98:99]
.LBB1044_733:
	s_or_b32 exec_lo, exec_lo, s29
	v_cmp_lt_u32_e64 s28, v30, v0
                                        ; implicit-def: $vgpr98
	s_and_saveexec_b32 s40, s28
	s_cbranch_execz .LBB1044_735
; %bb.734:
	v_lshlrev_b32_e32 v98, 1, v30
	v_add_co_u32 v98, s29, v2, v98
	v_add_co_ci_u32_e64 v99, null, 0, v3, s29
	flat_load_ushort v98, v[98:99]
.LBB1044_735:
	s_or_b32 exec_lo, exec_lo, s40
	v_cmp_lt_u32_e64 s29, v31, v0
                                        ; implicit-def: $vgpr99
	s_and_saveexec_b32 s41, s29
	s_cbranch_execz .LBB1044_737
; %bb.736:
	v_lshlrev_b32_e32 v99, 1, v31
	v_add_co_u32 v99, s40, v2, v99
	v_add_co_ci_u32_e64 v100, null, 0, v3, s40
	flat_load_ushort v99, v[99:100]
.LBB1044_737:
	s_or_b32 exec_lo, exec_lo, s41
	v_cmp_lt_u32_e64 s40, v32, v0
                                        ; implicit-def: $vgpr100
	s_and_saveexec_b32 s42, s40
	s_cbranch_execz .LBB1044_739
; %bb.738:
	v_lshlrev_b32_e32 v100, 1, v32
	v_add_co_u32 v100, s41, v2, v100
	v_add_co_ci_u32_e64 v101, null, 0, v3, s41
	flat_load_ushort v100, v[100:101]
.LBB1044_739:
	s_or_b32 exec_lo, exec_lo, s42
	v_cmp_lt_u32_e64 s41, v33, v0
                                        ; implicit-def: $vgpr102
	s_and_saveexec_b32 s43, s41
	s_cbranch_execz .LBB1044_741
; %bb.740:
	v_lshlrev_b32_e32 v101, 1, v33
	v_add_co_u32 v101, s42, v2, v101
	v_add_co_ci_u32_e64 v102, null, 0, v3, s42
	flat_load_ushort v102, v[101:102]
.LBB1044_741:
	s_or_b32 exec_lo, exec_lo, s43
	v_cmp_lt_u32_e64 s42, v34, v0
                                        ; implicit-def: $vgpr101
	s_and_saveexec_b32 s44, s42
	s_cbranch_execz .LBB1044_743
; %bb.742:
	v_lshlrev_b32_e32 v101, 1, v34
	v_add_co_u32 v115, s43, v2, v101
	v_add_co_ci_u32_e64 v116, null, 0, v3, s43
	flat_load_ushort v101, v[115:116]
.LBB1044_743:
	s_or_b32 exec_lo, exec_lo, s44
	v_cmp_lt_u32_e64 s43, v35, v0
                                        ; implicit-def: $vgpr103
	s_and_saveexec_b32 s45, s43
	s_cbranch_execz .LBB1044_745
; %bb.744:
	v_lshlrev_b32_e32 v103, 1, v35
	v_add_co_u32 v115, s44, v2, v103
	v_add_co_ci_u32_e64 v116, null, 0, v3, s44
	flat_load_ushort v103, v[115:116]
.LBB1044_745:
	s_or_b32 exec_lo, exec_lo, s45
	v_cmp_lt_u32_e64 s44, v36, v0
                                        ; implicit-def: $vgpr115
	s_and_saveexec_b32 s46, s44
	s_cbranch_execz .LBB1044_747
; %bb.746:
	v_lshlrev_b32_e32 v112, 1, v36
	v_add_co_u32 v115, s45, v2, v112
	v_add_co_ci_u32_e64 v116, null, 0, v3, s45
	flat_load_ushort v115, v[115:116]
.LBB1044_747:
	s_or_b32 exec_lo, exec_lo, s46
	v_cmp_lt_u32_e64 s45, v50, v0
                                        ; implicit-def: $vgpr116
	s_and_saveexec_b32 s57, s45
	s_cbranch_execz .LBB1044_749
; %bb.748:
	v_lshlrev_b32_e32 v112, 1, v50
	v_add_co_u32 v116, s46, v2, v112
	v_add_co_ci_u32_e64 v117, null, 0, v3, s46
	flat_load_ushort v116, v[116:117]
.LBB1044_749:
	s_or_b32 exec_lo, exec_lo, s57
	v_cmp_lt_u32_e64 s46, v49, v0
                                        ; implicit-def: $vgpr117
	s_and_saveexec_b32 s58, s46
	s_cbranch_execz .LBB1044_751
; %bb.750:
	v_lshlrev_b32_e32 v112, 1, v49
	v_add_co_u32 v2, s57, v2, v112
	v_add_co_ci_u32_e64 v3, null, 0, v3, s57
	flat_load_ushort v117, v[2:3]
.LBB1044_751:
	s_or_b32 exec_lo, exec_lo, s58
	v_lshrrev_b32_e32 v2, 5, v48
	v_lshrrev_b32_e32 v37, 5, v37
	v_and_b32_e32 v3, 30, v38
	v_lshrrev_b32_e32 v38, 5, v1
	v_lshrrev_b32_e32 v112, 5, v13
	v_and_b32_e32 v1, 62, v2
	v_lshrrev_b32_e32 v2, 5, v51
	v_and_b32_e32 v37, 62, v37
	v_add_lshl_u32 v3, v3, v8, 1
	v_lshrrev_b32_e32 v48, 5, v12
	v_add_lshl_u32 v1, v1, v8, 1
	v_and_b32_e32 v118, 0x7e, v2
	v_add_lshl_u32 v2, v37, v8, 1
	v_and_b32_e32 v37, 0x7e, v112
	s_waitcnt vmcnt(0) lgkmcnt(0)
	ds_write_b16 v3, v9
	ds_write_b16 v1, v52 offset:512
	v_lshrrev_b32_e32 v52, 5, v18
	v_and_b32_e32 v38, 62, v38
	v_and_b32_e32 v48, 62, v48
	v_add_lshl_u32 v13, v37, v13, 1
	v_lshrrev_b32_e32 v37, 5, v14
	v_add_lshl_u32 v39, v39, v11, 1
	v_add_lshl_u32 v112, v38, v8, 1
	v_lshrrev_b32_e32 v38, 5, v15
	v_add_lshl_u32 v9, v48, v12, 1
	v_and_b32_e32 v37, 0x7e, v37
	v_lshrrev_b32_e32 v48, 5, v16
	v_add_lshl_u32 v12, v118, v51, 1
	v_lshrrev_b32_e32 v51, 5, v17
	v_and_b32_e32 v38, 0x5e, v38
	v_add_lshl_u32 v14, v37, v14, 1
	v_and_b32_e32 v37, 0x7e, v52
	v_lshrrev_b32_e32 v52, 5, v23
	v_and_b32_e32 v48, 0x7e, v48
	v_and_b32_e32 v51, 0x7e, v51
	v_add_lshl_u32 v15, v38, v15, 1
	v_add_lshl_u32 v18, v37, v18, 1
	v_lshrrev_b32_e32 v37, 5, v19
	v_lshrrev_b32_e32 v38, 5, v20
	v_add_lshl_u32 v16, v48, v16, 1
	v_lshrrev_b32_e32 v48, 5, v21
	v_add_lshl_u32 v17, v51, v17, 1
	v_and_b32_e32 v37, 0x7e, v37
	v_lshrrev_b32_e32 v51, 5, v22
	v_and_b32_e32 v38, 0xfe, v38
	v_and_b32_e32 v48, 0xfe, v48
	ds_write_b16 v2, v53 offset:1024
	v_add_lshl_u32 v19, v37, v19, 1
	v_and_b32_e32 v37, 0x9e, v52
	v_lshrrev_b32_e32 v52, 5, v28
	v_and_b32_e32 v51, 0xfe, v51
	v_add_lshl_u32 v20, v38, v20, 1
	v_lshrrev_b32_e32 v38, 5, v25
	v_add_lshl_u32 v23, v37, v23, 1
	v_lshrrev_b32_e32 v37, 5, v24
	;; [unrolled: 2-line block ×4, first 2 shown]
	v_and_b32_e32 v37, 0xbe, v37
	v_and_b32_e32 v38, 0xbe, v38
	;; [unrolled: 1-line block ×3, first 2 shown]
	ds_write_b16 v112, v54 offset:1536
	ds_write_b16 v9, v55
	ds_write_b16 v12, v64
	v_and_b32_e32 v51, 0xbe, v51
	v_add_lshl_u32 v24, v37, v24, 1
	v_and_b32_e32 v37, 0xfe, v52
	v_add_lshl_u32 v25, v38, v25, 1
	v_lshrrev_b32_e32 v38, 5, v30
	v_lshrrev_b32_e32 v52, 5, v33
	v_add_lshl_u32 v26, v48, v26, 1
	v_add_lshl_u32 v28, v37, v28, 1
	v_lshrrev_b32_e32 v37, 5, v29
	v_lshrrev_b32_e32 v48, 5, v31
	v_add_lshl_u32 v27, v51, v27, 1
	v_lshrrev_b32_e32 v51, 5, v32
	v_and_b32_e32 v38, 0xfe, v38
	v_and_b32_e32 v37, 0xfe, v37
	;; [unrolled: 1-line block ×3, first 2 shown]
	ds_write_b16 v13, v66
	v_and_b32_e32 v51, 0xfe, v51
	v_add_lshl_u32 v30, v38, v30, 1
	v_add_lshl_u32 v29, v37, v29, 1
	v_and_b32_e32 v37, 0xfe, v52
	v_lshrrev_b32_e32 v38, 5, v35
	v_lshrrev_b32_e32 v52, 5, v49
	v_add_lshl_u32 v31, v48, v31, 1
	v_lshrrev_b32_e32 v48, 5, v36
	v_add_lshl_u32 v33, v37, v33, 1
	v_lshrrev_b32_e32 v37, 5, v34
	v_add_lshl_u32 v32, v51, v32, 1
	v_lshrrev_b32_e32 v51, 5, v50
	v_and_b32_e32 v38, 0xfe, v38
	v_and_b32_e32 v52, 0x1fe, v52
	;; [unrolled: 1-line block ×5, first 2 shown]
	v_add_lshl_u32 v35, v38, v35, 1
	v_add_lshl_u32 v38, v52, v49, 1
	;; [unrolled: 1-line block ×5, first 2 shown]
	ds_write_b16 v14, v65
	ds_write_b16 v15, v67
	;; [unrolled: 1-line block ×25, first 2 shown]
	s_waitcnt lgkmcnt(0)
	s_waitcnt_vscnt null, 0x0
	s_barrier
	buffer_gl0_inv
	ds_read_u16 v99, v39
	ds_read_u16 v102, v39 offset:2
	ds_read_u16 v101, v39 offset:4
	;; [unrolled: 1-line block ×31, first 2 shown]
	s_waitcnt lgkmcnt(0)
	s_barrier
	buffer_gl0_inv
	s_load_dwordx2 s[58:59], s[8:9], 0x0
	v_mov_b32_e32 v115, 0
	s_waitcnt lgkmcnt(0)
	s_cmp_lt_u32 s13, s59
	s_cselect_b32 s13, 14, 20
	s_add_u32 s60, s8, s13
	s_addc_u32 s61, s9, 0
	s_cmp_lt_u32 s12, s58
	global_load_ushort v116, v115, s[60:61]
	s_cselect_b32 s12, 12, 18
	s_add_u32 s8, s8, s12
	s_addc_u32 s9, s9, 0
	global_load_ushort v115, v115, s[8:9]
	s_waitcnt vmcnt(1)
	v_mad_u32_u24 v113, v114, v116, v113
	s_waitcnt vmcnt(0)
	v_mul_lo_u32 v113, v113, v115
	v_add_lshl_u32 v113, v113, v8, 5
	v_sub_nc_u32_e64 v114, v0, v113 clamp
	v_cmp_lt_u32_e64 s8, 1, v114
	s_and_saveexec_b32 s12, s8
	s_cbranch_execz .LBB1044_771
; %bb.752:
	v_bfe_i32 v115, v102, 0, 16
	v_ashrrev_i32_e32 v116, 31, v115
	v_lshlrev_b64 v[115:116], 1, v[115:116]
	v_add_co_u32 v115, s9, v6, v115
	v_add_co_ci_u32_e64 v116, null, v7, v116, s9
	flat_load_ushort v117, v[115:116]
	v_bfe_i32 v115, v99, 0, 16
	v_ashrrev_i32_e32 v116, 31, v115
	v_lshlrev_b64 v[115:116], 1, v[115:116]
	v_add_co_u32 v115, s9, v6, v115
	v_add_co_ci_u32_e64 v116, null, v7, v116, s9
	flat_load_ushort v115, v[115:116]
	s_waitcnt vmcnt(0) lgkmcnt(0)
	v_cmp_lt_i16_e64 s9, v117, v115
	v_cndmask_b32_e64 v115, v102, v99, s9
	v_cndmask_b32_e64 v99, v99, v102, s9
	v_mov_b32_e32 v102, v115
	s_or_b32 exec_lo, exec_lo, s12
	v_cmp_lt_u32_e64 s9, 3, v114
	s_and_saveexec_b32 s13, s9
	s_cbranch_execnz .LBB1044_772
.LBB1044_753:
	s_or_b32 exec_lo, exec_lo, s13
	v_cmp_lt_u32_e64 s12, 5, v114
	s_and_saveexec_b32 s57, s12
	s_cbranch_execz .LBB1044_773
.LBB1044_754:
	v_bfe_i32 v115, v97, 0, 16
	v_ashrrev_i32_e32 v116, 31, v115
	v_lshlrev_b64 v[115:116], 1, v[115:116]
	v_add_co_u32 v115, s13, v6, v115
	v_add_co_ci_u32_e64 v116, null, v7, v116, s13
	flat_load_ushort v117, v[115:116]
	v_bfe_i32 v115, v98, 0, 16
	v_ashrrev_i32_e32 v116, 31, v115
	v_lshlrev_b64 v[115:116], 1, v[115:116]
	v_add_co_u32 v115, s13, v6, v115
	v_add_co_ci_u32_e64 v116, null, v7, v116, s13
	flat_load_ushort v115, v[115:116]
	s_waitcnt vmcnt(0) lgkmcnt(0)
	v_cmp_lt_i16_e64 s13, v117, v115
	v_cndmask_b32_e64 v115, v97, v98, s13
	v_cndmask_b32_e64 v98, v98, v97, s13
	v_mov_b32_e32 v97, v115
	s_or_b32 exec_lo, exec_lo, s57
	v_cmp_lt_u32_e64 s13, 7, v114
	s_and_saveexec_b32 s58, s13
	s_cbranch_execnz .LBB1044_774
.LBB1044_755:
	s_or_b32 exec_lo, exec_lo, s58
	v_cmp_lt_u32_e64 s57, 9, v114
	s_and_saveexec_b32 s59, s57
	s_cbranch_execz .LBB1044_775
.LBB1044_756:
	v_bfe_i32 v115, v85, 0, 16
	v_ashrrev_i32_e32 v116, 31, v115
	v_lshlrev_b64 v[115:116], 1, v[115:116]
	v_add_co_u32 v115, s58, v6, v115
	v_add_co_ci_u32_e64 v116, null, v7, v116, s58
	flat_load_ushort v117, v[115:116]
	v_bfe_i32 v115, v86, 0, 16
	v_ashrrev_i32_e32 v116, 31, v115
	v_lshlrev_b64 v[115:116], 1, v[115:116]
	v_add_co_u32 v115, s58, v6, v115
	v_add_co_ci_u32_e64 v116, null, v7, v116, s58
	flat_load_ushort v115, v[115:116]
	s_waitcnt vmcnt(0) lgkmcnt(0)
	v_cmp_lt_i16_e64 s58, v117, v115
	v_cndmask_b32_e64 v115, v85, v86, s58
	v_cndmask_b32_e64 v86, v86, v85, s58
	v_mov_b32_e32 v85, v115
	s_or_b32 exec_lo, exec_lo, s59
	v_cmp_lt_u32_e64 s58, 11, v114
	s_and_saveexec_b32 s60, s58
	s_cbranch_execnz .LBB1044_776
.LBB1044_757:
	s_or_b32 exec_lo, exec_lo, s60
	v_cmp_lt_u32_e64 s59, 13, v114
	s_and_saveexec_b32 s61, s59
	s_cbranch_execz .LBB1044_777
.LBB1044_758:
	v_bfe_i32 v115, v81, 0, 16
	v_ashrrev_i32_e32 v116, 31, v115
	v_lshlrev_b64 v[115:116], 1, v[115:116]
	v_add_co_u32 v115, s60, v6, v115
	v_add_co_ci_u32_e64 v116, null, v7, v116, s60
	flat_load_ushort v117, v[115:116]
	v_bfe_i32 v115, v82, 0, 16
	v_ashrrev_i32_e32 v116, 31, v115
	v_lshlrev_b64 v[115:116], 1, v[115:116]
	v_add_co_u32 v115, s60, v6, v115
	v_add_co_ci_u32_e64 v116, null, v7, v116, s60
	flat_load_ushort v115, v[115:116]
	s_waitcnt vmcnt(0) lgkmcnt(0)
	v_cmp_lt_i16_e64 s60, v117, v115
	v_cndmask_b32_e64 v115, v81, v82, s60
	v_cndmask_b32_e64 v82, v82, v81, s60
	v_mov_b32_e32 v81, v115
	s_or_b32 exec_lo, exec_lo, s61
	v_cmp_lt_u32_e64 s60, 15, v114
	s_and_saveexec_b32 s62, s60
	s_cbranch_execnz .LBB1044_778
.LBB1044_759:
	s_or_b32 exec_lo, exec_lo, s62
	v_cmp_lt_u32_e64 s61, 17, v114
	s_and_saveexec_b32 s63, s61
	s_cbranch_execz .LBB1044_779
.LBB1044_760:
	v_bfe_i32 v115, v69, 0, 16
	v_ashrrev_i32_e32 v116, 31, v115
	v_lshlrev_b64 v[115:116], 1, v[115:116]
	v_add_co_u32 v115, s62, v6, v115
	v_add_co_ci_u32_e64 v116, null, v7, v116, s62
	flat_load_ushort v117, v[115:116]
	v_bfe_i32 v115, v70, 0, 16
	v_ashrrev_i32_e32 v116, 31, v115
	v_lshlrev_b64 v[115:116], 1, v[115:116]
	v_add_co_u32 v115, s62, v6, v115
	v_add_co_ci_u32_e64 v116, null, v7, v116, s62
	flat_load_ushort v115, v[115:116]
	s_waitcnt vmcnt(0) lgkmcnt(0)
	v_cmp_lt_i16_e64 s62, v117, v115
	v_cndmask_b32_e64 v115, v69, v70, s62
	v_cndmask_b32_e64 v70, v70, v69, s62
	v_mov_b32_e32 v69, v115
	s_or_b32 exec_lo, exec_lo, s63
	v_cmp_lt_u32_e64 s62, 19, v114
	s_and_saveexec_b32 s72, s62
	s_cbranch_execnz .LBB1044_780
.LBB1044_761:
	s_or_b32 exec_lo, exec_lo, s72
	v_cmp_lt_u32_e64 s63, 21, v114
	s_and_saveexec_b32 s73, s63
	s_cbranch_execz .LBB1044_781
.LBB1044_762:
	v_bfe_i32 v115, v65, 0, 16
	v_ashrrev_i32_e32 v116, 31, v115
	v_lshlrev_b64 v[115:116], 1, v[115:116]
	v_add_co_u32 v115, s72, v6, v115
	v_add_co_ci_u32_e64 v116, null, v7, v116, s72
	flat_load_ushort v117, v[115:116]
	v_bfe_i32 v115, v66, 0, 16
	v_ashrrev_i32_e32 v116, 31, v115
	v_lshlrev_b64 v[115:116], 1, v[115:116]
	v_add_co_u32 v115, s72, v6, v115
	v_add_co_ci_u32_e64 v116, null, v7, v116, s72
	flat_load_ushort v115, v[115:116]
	s_waitcnt vmcnt(0) lgkmcnt(0)
	v_cmp_lt_i16_e64 s72, v117, v115
	v_cndmask_b32_e64 v115, v65, v66, s72
	v_cndmask_b32_e64 v66, v66, v65, s72
	v_mov_b32_e32 v65, v115
	s_or_b32 exec_lo, exec_lo, s73
	v_cmp_lt_u32_e64 s72, 23, v114
	s_and_saveexec_b32 s74, s72
	s_cbranch_execnz .LBB1044_782
.LBB1044_763:
	s_or_b32 exec_lo, exec_lo, s74
	v_cmp_lt_u32_e64 s73, 25, v114
	s_and_saveexec_b32 s75, s73
	s_cbranch_execz .LBB1044_783
.LBB1044_764:
	v_bfe_i32 v115, v64, 0, 16
	v_ashrrev_i32_e32 v116, 31, v115
	v_lshlrev_b64 v[115:116], 1, v[115:116]
	v_add_co_u32 v115, s74, v6, v115
	v_add_co_ci_u32_e64 v116, null, v7, v116, s74
	flat_load_ushort v117, v[115:116]
	v_bfe_i32 v115, v53, 0, 16
	v_ashrrev_i32_e32 v116, 31, v115
	v_lshlrev_b64 v[115:116], 1, v[115:116]
	v_add_co_u32 v115, s74, v6, v115
	v_add_co_ci_u32_e64 v116, null, v7, v116, s74
	flat_load_ushort v115, v[115:116]
	s_waitcnt vmcnt(0) lgkmcnt(0)
	v_cmp_lt_i16_e64 s74, v117, v115
	v_cndmask_b32_e64 v115, v64, v53, s74
	v_cndmask_b32_e64 v53, v53, v64, s74
	v_mov_b32_e32 v64, v115
	s_or_b32 exec_lo, exec_lo, s75
	v_cmp_lt_u32_e64 s74, 27, v114
	s_and_saveexec_b32 s76, s74
	s_cbranch_execnz .LBB1044_784
.LBB1044_765:
	s_or_b32 exec_lo, exec_lo, s76
	v_cmp_lt_u32_e64 s75, 29, v114
	s_and_saveexec_b32 s77, s75
	s_cbranch_execz .LBB1044_785
.LBB1044_766:
	v_bfe_i32 v115, v49, 0, 16
	v_ashrrev_i32_e32 v116, 31, v115
	v_lshlrev_b64 v[115:116], 1, v[115:116]
	v_add_co_u32 v115, s76, v6, v115
	v_add_co_ci_u32_e64 v116, null, v7, v116, s76
	flat_load_ushort v117, v[115:116]
	v_bfe_i32 v115, v50, 0, 16
	v_ashrrev_i32_e32 v116, 31, v115
	v_lshlrev_b64 v[115:116], 1, v[115:116]
	v_add_co_u32 v115, s76, v6, v115
	v_add_co_ci_u32_e64 v116, null, v7, v116, s76
	flat_load_ushort v115, v[115:116]
	s_waitcnt vmcnt(0) lgkmcnt(0)
	v_cmp_lt_i16_e64 s76, v117, v115
	v_cndmask_b32_e64 v115, v50, v49, s76
	v_cndmask_b32_e64 v49, v49, v50, s76
	v_mov_b32_e32 v50, v115
	s_or_b32 exec_lo, exec_lo, s77
	v_cmp_lt_u32_e64 s76, 31, v114
	s_and_saveexec_b32 s78, s76
	s_cbranch_execnz .LBB1044_786
	s_branch .LBB1044_787
.LBB1044_767:
	s_barrier
	buffer_gl0_inv
	ds_write_b16 v37, v193
	ds_write_b16 v49, v194
	;; [unrolled: 1-line block ×32, first 2 shown]
	s_waitcnt lgkmcnt(0)
	s_barrier
	buffer_gl0_inv
	ds_read_u16 v6, v0
	ds_read_u16 v7, v38
	;; [unrolled: 1-line block ×31, first 2 shown]
	v_add_co_u32 v2, vcc_lo, v4, v10
	v_add_co_ci_u32_e64 v3, null, 0, v5, vcc_lo
	ds_read_u16 v52, v1
	v_add_co_u32 v0, vcc_lo, 0x800, v2
	v_add_co_ci_u32_e64 v1, null, 0, v3, vcc_lo
	s_waitcnt lgkmcnt(31)
	flat_store_short v[2:3], v6
	s_waitcnt lgkmcnt(31)
	flat_store_short v[2:3], v7 offset:512
	s_waitcnt lgkmcnt(31)
	flat_store_short v[2:3], v11 offset:1024
	s_waitcnt lgkmcnt(31)
	flat_store_short v[2:3], v37 offset:1536
	s_waitcnt lgkmcnt(31)
	flat_store_short v[0:1], v38
	s_waitcnt lgkmcnt(31)
	flat_store_short v[0:1], v39 offset:512
	s_waitcnt lgkmcnt(31)
	flat_store_short v[0:1], v12 offset:1024
	s_waitcnt lgkmcnt(31)
	flat_store_short v[0:1], v13 offset:1536
	v_add_co_u32 v0, vcc_lo, 0x1000, v2
	v_add_co_ci_u32_e64 v1, null, 0, v3, vcc_lo
	v_add_co_u32 v6, vcc_lo, 0x1800, v2
	v_add_co_ci_u32_e64 v7, null, 0, v3, vcc_lo
	s_waitcnt lgkmcnt(31)
	flat_store_short v[0:1], v14
	s_waitcnt lgkmcnt(31)
	flat_store_short v[0:1], v15 offset:512
	s_waitcnt lgkmcnt(31)
	flat_store_short v[0:1], v16 offset:1024
	s_waitcnt lgkmcnt(31)
	flat_store_short v[0:1], v17 offset:1536
	s_waitcnt lgkmcnt(31)
	flat_store_short v[6:7], v18
	s_waitcnt lgkmcnt(31)
	flat_store_short v[6:7], v19 offset:512
	s_waitcnt lgkmcnt(31)
	flat_store_short v[6:7], v20 offset:1024
	s_waitcnt lgkmcnt(31)
	flat_store_short v[6:7], v21 offset:1536
	v_add_co_u32 v0, vcc_lo, 0x2000, v2
	v_add_co_ci_u32_e64 v1, null, 0, v3, vcc_lo
	;; [unrolled: 20-line block ×3, first 2 shown]
	v_add_co_u32 v2, vcc_lo, 0x3800, v2
	s_mov_b32 s36, exec_lo
	v_add_co_ci_u32_e64 v3, null, 0, v3, vcc_lo
	s_waitcnt lgkmcnt(31)
	flat_store_short v[0:1], v30
	s_waitcnt lgkmcnt(31)
	flat_store_short v[0:1], v31 offset:512
	s_waitcnt lgkmcnt(31)
	flat_store_short v[0:1], v32 offset:1024
	;; [unrolled: 2-line block ×3, first 2 shown]
	s_waitcnt lgkmcnt(31)
	flat_store_short v[2:3], v34
	s_waitcnt lgkmcnt(31)
	flat_store_short v[2:3], v35 offset:512
	s_waitcnt lgkmcnt(31)
	flat_store_short v[2:3], v36 offset:1024
                                        ; implicit-def: $vgpr0
                                        ; implicit-def: $vgpr2
                                        ; implicit-def: $vgpr3
                                        ; implicit-def: $vgpr6
                                        ; implicit-def: $vgpr7
                                        ; implicit-def: $vgpr113
                                        ; implicit-def: $vgpr114
                                        ; implicit-def: $vgpr10
                                        ; implicit-def: $vgpr38
                                        ; implicit-def: $vgpr48
                                        ; implicit-def: $vgpr37
                                        ; implicit-def: $vgpr1
                                        ; implicit-def: $vgpr12
                                        ; implicit-def: $vgpr51
                                        ; implicit-def: $vgpr13
                                        ; implicit-def: $vgpr14
                                        ; implicit-def: $vgpr15
                                        ; implicit-def: $vgpr16
                                        ; implicit-def: $vgpr17
                                        ; implicit-def: $vgpr18
                                        ; implicit-def: $vgpr19
                                        ; implicit-def: $vgpr20
                                        ; implicit-def: $vgpr21
                                        ; implicit-def: $vgpr22
                                        ; implicit-def: $vgpr23
                                        ; implicit-def: $vgpr24
                                        ; implicit-def: $vgpr25
                                        ; implicit-def: $vgpr26
                                        ; implicit-def: $vgpr27
                                        ; implicit-def: $vgpr28
                                        ; implicit-def: $vgpr29
                                        ; implicit-def: $vgpr30
                                        ; implicit-def: $vgpr31
                                        ; implicit-def: $vgpr32
                                        ; implicit-def: $vgpr33
                                        ; implicit-def: $vgpr34
                                        ; implicit-def: $vgpr35
                                        ; implicit-def: $vgpr36
                                        ; implicit-def: $vgpr50
                                        ; implicit-def: $vgpr49
                                        ; implicit-def: $vgpr11
                                        ; implicit-def: $vgpr39
	s_andn2_saveexec_b32 s37, s21
	s_cbranch_execnz .LBB1044_687
.LBB1044_768:
	s_or_b32 exec_lo, exec_lo, s37
	s_and_saveexec_b32 s4, s36
	s_cbranch_execz .LBB1044_770
.LBB1044_769:
	v_lshlrev_b64 v[0:1], 1, v[8:9]
	v_add_co_u32 v0, vcc_lo, v4, v0
	v_add_co_ci_u32_e64 v1, null, v5, v1, vcc_lo
	v_add_co_u32 v0, vcc_lo, 0x3800, v0
	v_add_co_ci_u32_e64 v1, null, 0, v1, vcc_lo
	s_waitcnt lgkmcnt(0)
	flat_store_short v[0:1], v52 offset:1536
.LBB1044_770:
	s_or_b32 exec_lo, exec_lo, s4
	s_clause 0x21
	buffer_load_dword v105, off, s[0:3], s32
	buffer_load_dword v104, off, s[0:3], s32 offset:4
	buffer_load_dword v95, off, s[0:3], s32 offset:8
	buffer_load_dword v94, off, s[0:3], s32 offset:12
	buffer_load_dword v93, off, s[0:3], s32 offset:16
	buffer_load_dword v92, off, s[0:3], s32 offset:20
	buffer_load_dword v91, off, s[0:3], s32 offset:24
	buffer_load_dword v90, off, s[0:3], s32 offset:28
	buffer_load_dword v89, off, s[0:3], s32 offset:32
	buffer_load_dword v88, off, s[0:3], s32 offset:36
	buffer_load_dword v79, off, s[0:3], s32 offset:40
	buffer_load_dword v78, off, s[0:3], s32 offset:44
	buffer_load_dword v77, off, s[0:3], s32 offset:48
	buffer_load_dword v76, off, s[0:3], s32 offset:52
	buffer_load_dword v75, off, s[0:3], s32 offset:56
	buffer_load_dword v74, off, s[0:3], s32 offset:60
	buffer_load_dword v73, off, s[0:3], s32 offset:64
	buffer_load_dword v72, off, s[0:3], s32 offset:68
	buffer_load_dword v63, off, s[0:3], s32 offset:72
	buffer_load_dword v62, off, s[0:3], s32 offset:76
	buffer_load_dword v61, off, s[0:3], s32 offset:80
	buffer_load_dword v60, off, s[0:3], s32 offset:84
	buffer_load_dword v59, off, s[0:3], s32 offset:88
	buffer_load_dword v58, off, s[0:3], s32 offset:92
	buffer_load_dword v57, off, s[0:3], s32 offset:96
	buffer_load_dword v56, off, s[0:3], s32 offset:100
	buffer_load_dword v47, off, s[0:3], s32 offset:104
	buffer_load_dword v46, off, s[0:3], s32 offset:108
	buffer_load_dword v45, off, s[0:3], s32 offset:112
	buffer_load_dword v44, off, s[0:3], s32 offset:116
	buffer_load_dword v43, off, s[0:3], s32 offset:120
	buffer_load_dword v42, off, s[0:3], s32 offset:124
	buffer_load_dword v41, off, s[0:3], s32 offset:128
	buffer_load_dword v40, off, s[0:3], s32 offset:132
	v_readlane_b32 s30, v106, 10
	v_readlane_b32 s31, v106, 11
	;; [unrolled: 1-line block ×12, first 2 shown]
	s_or_saveexec_b32 s4, -1
	buffer_load_dword v106, off, s[0:3], s32 offset:136 ; 4-byte Folded Reload
	s_mov_b32 exec_lo, s4
	s_waitcnt vmcnt(0) lgkmcnt(0)
	s_setpc_b64 s[30:31]
.LBB1044_771:
	s_or_b32 exec_lo, exec_lo, s12
	v_cmp_lt_u32_e64 s9, 3, v114
	s_and_saveexec_b32 s13, s9
	s_cbranch_execz .LBB1044_753
.LBB1044_772:
	v_bfe_i32 v115, v100, 0, 16
	v_ashrrev_i32_e32 v116, 31, v115
	v_lshlrev_b64 v[115:116], 1, v[115:116]
	v_add_co_u32 v115, s12, v6, v115
	v_add_co_ci_u32_e64 v116, null, v7, v116, s12
	flat_load_ushort v117, v[115:116]
	v_bfe_i32 v115, v101, 0, 16
	v_ashrrev_i32_e32 v116, 31, v115
	v_lshlrev_b64 v[115:116], 1, v[115:116]
	v_add_co_u32 v115, s12, v6, v115
	v_add_co_ci_u32_e64 v116, null, v7, v116, s12
	flat_load_ushort v115, v[115:116]
	s_waitcnt vmcnt(0) lgkmcnt(0)
	v_cmp_lt_i16_e64 s12, v117, v115
	v_cndmask_b32_e64 v115, v100, v101, s12
	v_cndmask_b32_e64 v101, v101, v100, s12
	v_mov_b32_e32 v100, v115
	s_or_b32 exec_lo, exec_lo, s13
	v_cmp_lt_u32_e64 s12, 5, v114
	s_and_saveexec_b32 s57, s12
	s_cbranch_execnz .LBB1044_754
.LBB1044_773:
	s_or_b32 exec_lo, exec_lo, s57
	v_cmp_lt_u32_e64 s13, 7, v114
	s_and_saveexec_b32 s58, s13
	s_cbranch_execz .LBB1044_755
.LBB1044_774:
	v_bfe_i32 v115, v87, 0, 16
	v_ashrrev_i32_e32 v116, 31, v115
	v_lshlrev_b64 v[115:116], 1, v[115:116]
	v_add_co_u32 v115, s57, v6, v115
	v_add_co_ci_u32_e64 v116, null, v7, v116, s57
	flat_load_ushort v117, v[115:116]
	v_bfe_i32 v115, v96, 0, 16
	v_ashrrev_i32_e32 v116, 31, v115
	v_lshlrev_b64 v[115:116], 1, v[115:116]
	v_add_co_u32 v115, s57, v6, v115
	v_add_co_ci_u32_e64 v116, null, v7, v116, s57
	flat_load_ushort v115, v[115:116]
	s_waitcnt vmcnt(0) lgkmcnt(0)
	v_cmp_lt_i16_e64 s57, v117, v115
	v_cndmask_b32_e64 v115, v87, v96, s57
	v_cndmask_b32_e64 v96, v96, v87, s57
	v_mov_b32_e32 v87, v115
	s_or_b32 exec_lo, exec_lo, s58
	v_cmp_lt_u32_e64 s57, 9, v114
	s_and_saveexec_b32 s59, s57
	s_cbranch_execnz .LBB1044_756
.LBB1044_775:
	s_or_b32 exec_lo, exec_lo, s59
	v_cmp_lt_u32_e64 s58, 11, v114
	s_and_saveexec_b32 s60, s58
	s_cbranch_execz .LBB1044_757
.LBB1044_776:
	v_bfe_i32 v115, v83, 0, 16
	v_ashrrev_i32_e32 v116, 31, v115
	v_lshlrev_b64 v[115:116], 1, v[115:116]
	v_add_co_u32 v115, s59, v6, v115
	v_add_co_ci_u32_e64 v116, null, v7, v116, s59
	flat_load_ushort v117, v[115:116]
	v_bfe_i32 v115, v84, 0, 16
	v_ashrrev_i32_e32 v116, 31, v115
	v_lshlrev_b64 v[115:116], 1, v[115:116]
	v_add_co_u32 v115, s59, v6, v115
	v_add_co_ci_u32_e64 v116, null, v7, v116, s59
	flat_load_ushort v115, v[115:116]
	s_waitcnt vmcnt(0) lgkmcnt(0)
	v_cmp_lt_i16_e64 s59, v117, v115
	v_cndmask_b32_e64 v115, v83, v84, s59
	v_cndmask_b32_e64 v84, v84, v83, s59
	v_mov_b32_e32 v83, v115
	s_or_b32 exec_lo, exec_lo, s60
	v_cmp_lt_u32_e64 s59, 13, v114
	s_and_saveexec_b32 s61, s59
	s_cbranch_execnz .LBB1044_758
.LBB1044_777:
	s_or_b32 exec_lo, exec_lo, s61
	v_cmp_lt_u32_e64 s60, 15, v114
	s_and_saveexec_b32 s62, s60
	s_cbranch_execz .LBB1044_759
.LBB1044_778:
	v_bfe_i32 v115, v71, 0, 16
	v_ashrrev_i32_e32 v116, 31, v115
	v_lshlrev_b64 v[115:116], 1, v[115:116]
	v_add_co_u32 v115, s61, v6, v115
	v_add_co_ci_u32_e64 v116, null, v7, v116, s61
	flat_load_ushort v117, v[115:116]
	v_bfe_i32 v115, v80, 0, 16
	v_ashrrev_i32_e32 v116, 31, v115
	v_lshlrev_b64 v[115:116], 1, v[115:116]
	v_add_co_u32 v115, s61, v6, v115
	v_add_co_ci_u32_e64 v116, null, v7, v116, s61
	flat_load_ushort v115, v[115:116]
	s_waitcnt vmcnt(0) lgkmcnt(0)
	v_cmp_lt_i16_e64 s61, v117, v115
	v_cndmask_b32_e64 v115, v71, v80, s61
	v_cndmask_b32_e64 v80, v80, v71, s61
	v_mov_b32_e32 v71, v115
	s_or_b32 exec_lo, exec_lo, s62
	v_cmp_lt_u32_e64 s61, 17, v114
	s_and_saveexec_b32 s63, s61
	s_cbranch_execnz .LBB1044_760
.LBB1044_779:
	s_or_b32 exec_lo, exec_lo, s63
	v_cmp_lt_u32_e64 s62, 19, v114
	s_and_saveexec_b32 s72, s62
	s_cbranch_execz .LBB1044_761
.LBB1044_780:
	v_bfe_i32 v115, v67, 0, 16
	v_ashrrev_i32_e32 v116, 31, v115
	v_lshlrev_b64 v[115:116], 1, v[115:116]
	v_add_co_u32 v115, s63, v6, v115
	v_add_co_ci_u32_e64 v116, null, v7, v116, s63
	flat_load_ushort v117, v[115:116]
	v_bfe_i32 v115, v68, 0, 16
	v_ashrrev_i32_e32 v116, 31, v115
	v_lshlrev_b64 v[115:116], 1, v[115:116]
	v_add_co_u32 v115, s63, v6, v115
	v_add_co_ci_u32_e64 v116, null, v7, v116, s63
	flat_load_ushort v115, v[115:116]
	s_waitcnt vmcnt(0) lgkmcnt(0)
	v_cmp_lt_i16_e64 s63, v117, v115
	v_cndmask_b32_e64 v115, v67, v68, s63
	v_cndmask_b32_e64 v68, v68, v67, s63
	v_mov_b32_e32 v67, v115
	s_or_b32 exec_lo, exec_lo, s72
	v_cmp_lt_u32_e64 s63, 21, v114
	s_and_saveexec_b32 s73, s63
	s_cbranch_execnz .LBB1044_762
.LBB1044_781:
	s_or_b32 exec_lo, exec_lo, s73
	v_cmp_lt_u32_e64 s72, 23, v114
	s_and_saveexec_b32 s74, s72
	s_cbranch_execz .LBB1044_763
.LBB1044_782:
	v_bfe_i32 v115, v54, 0, 16
	v_ashrrev_i32_e32 v116, 31, v115
	v_lshlrev_b64 v[115:116], 1, v[115:116]
	v_add_co_u32 v115, s73, v6, v115
	v_add_co_ci_u32_e64 v116, null, v7, v116, s73
	flat_load_ushort v117, v[115:116]
	v_bfe_i32 v115, v55, 0, 16
	v_ashrrev_i32_e32 v116, 31, v115
	v_lshlrev_b64 v[115:116], 1, v[115:116]
	v_add_co_u32 v115, s73, v6, v115
	v_add_co_ci_u32_e64 v116, null, v7, v116, s73
	flat_load_ushort v115, v[115:116]
	s_waitcnt vmcnt(0) lgkmcnt(0)
	v_cmp_lt_i16_e64 s73, v117, v115
	v_cndmask_b32_e64 v115, v54, v55, s73
	v_cndmask_b32_e64 v55, v55, v54, s73
	v_mov_b32_e32 v54, v115
	s_or_b32 exec_lo, exec_lo, s74
	v_cmp_lt_u32_e64 s73, 25, v114
	s_and_saveexec_b32 s75, s73
	s_cbranch_execnz .LBB1044_764
.LBB1044_783:
	s_or_b32 exec_lo, exec_lo, s75
	v_cmp_lt_u32_e64 s74, 27, v114
	s_and_saveexec_b32 s76, s74
	s_cbranch_execz .LBB1044_765
.LBB1044_784:
	v_bfe_i32 v115, v51, 0, 16
	v_ashrrev_i32_e32 v116, 31, v115
	v_lshlrev_b64 v[115:116], 1, v[115:116]
	v_add_co_u32 v115, s75, v6, v115
	v_add_co_ci_u32_e64 v116, null, v7, v116, s75
	flat_load_ushort v117, v[115:116]
	v_bfe_i32 v115, v52, 0, 16
	v_ashrrev_i32_e32 v116, 31, v115
	v_lshlrev_b64 v[115:116], 1, v[115:116]
	v_add_co_u32 v115, s75, v6, v115
	v_add_co_ci_u32_e64 v116, null, v7, v116, s75
	flat_load_ushort v115, v[115:116]
	s_waitcnt vmcnt(0) lgkmcnt(0)
	v_cmp_lt_i16_e64 s75, v117, v115
	v_cndmask_b32_e64 v115, v52, v51, s75
	v_cndmask_b32_e64 v51, v51, v52, s75
	v_mov_b32_e32 v52, v115
	s_or_b32 exec_lo, exec_lo, s76
	v_cmp_lt_u32_e64 s75, 29, v114
	s_and_saveexec_b32 s77, s75
	s_cbranch_execnz .LBB1044_766
.LBB1044_785:
	s_or_b32 exec_lo, exec_lo, s77
	v_cmp_lt_u32_e64 s76, 31, v114
	s_and_saveexec_b32 s78, s76
	s_cbranch_execz .LBB1044_787
.LBB1044_786:
	v_bfe_i32 v115, v48, 0, 16
	v_ashrrev_i32_e32 v116, 31, v115
	v_lshlrev_b64 v[115:116], 1, v[115:116]
	v_add_co_u32 v115, s77, v6, v115
	v_add_co_ci_u32_e64 v116, null, v7, v116, s77
	flat_load_ushort v117, v[115:116]
	v_bfe_i32 v115, v103, 0, 16
	v_ashrrev_i32_e32 v116, 31, v115
	v_lshlrev_b64 v[115:116], 1, v[115:116]
	v_add_co_u32 v115, s77, v6, v115
	v_add_co_ci_u32_e64 v116, null, v7, v116, s77
	flat_load_ushort v115, v[115:116]
	s_waitcnt vmcnt(0) lgkmcnt(0)
	v_cmp_lt_i16_e64 s77, v117, v115
	v_cndmask_b32_e64 v115, v103, v48, s77
	v_cndmask_b32_e64 v48, v48, v103, s77
	v_mov_b32_e32 v103, v115
.LBB1044_787:
	s_or_b32 exec_lo, exec_lo, s78
	v_cmp_lt_u32_e64 s77, 2, v114
	s_and_saveexec_b32 s78, s77
	s_xor_b32 s79, exec_lo, s78
	s_cbranch_execz .LBB1044_1267
; %bb.788:
	v_bfe_i32 v115, v101, 0, 16
	v_ashrrev_i32_e32 v116, 31, v115
	v_lshlrev_b64 v[115:116], 1, v[115:116]
	v_add_co_u32 v115, s78, v6, v115
	v_add_co_ci_u32_e64 v116, null, v7, v116, s78
	flat_load_ushort v117, v[115:116]
	v_bfe_i32 v115, v102, 0, 16
	v_ashrrev_i32_e32 v116, 31, v115
	v_lshlrev_b64 v[115:116], 1, v[115:116]
	v_add_co_u32 v115, s78, v6, v115
	v_add_co_ci_u32_e64 v116, null, v7, v116, s78
	flat_load_ushort v115, v[115:116]
	s_waitcnt vmcnt(0) lgkmcnt(0)
	v_cmp_lt_i16_e64 s78, v117, v115
	v_cndmask_b32_e64 v115, v101, v102, s78
	v_cndmask_b32_e64 v102, v102, v101, s78
	v_mov_b32_e32 v101, v115
	s_or_b32 exec_lo, exec_lo, s79
	v_cmp_lt_u32_e64 s78, 4, v114
	s_and_saveexec_b32 s88, s78
	s_cbranch_execnz .LBB1044_1268
.LBB1044_789:
	s_or_b32 exec_lo, exec_lo, s88
	v_cmp_lt_u32_e64 s79, 6, v114
	s_and_saveexec_b32 s89, s79
	s_cbranch_execz .LBB1044_1269
.LBB1044_790:
	v_bfe_i32 v115, v96, 0, 16
	v_ashrrev_i32_e32 v116, 31, v115
	v_lshlrev_b64 v[115:116], 1, v[115:116]
	v_add_co_u32 v115, s88, v6, v115
	v_add_co_ci_u32_e64 v116, null, v7, v116, s88
	flat_load_ushort v117, v[115:116]
	v_bfe_i32 v115, v97, 0, 16
	v_ashrrev_i32_e32 v116, 31, v115
	v_lshlrev_b64 v[115:116], 1, v[115:116]
	v_add_co_u32 v115, s88, v6, v115
	v_add_co_ci_u32_e64 v116, null, v7, v116, s88
	flat_load_ushort v115, v[115:116]
	s_waitcnt vmcnt(0) lgkmcnt(0)
	v_cmp_lt_i16_e64 s88, v117, v115
	v_cndmask_b32_e64 v115, v96, v97, s88
	v_cndmask_b32_e64 v97, v97, v96, s88
	v_mov_b32_e32 v96, v115
	s_or_b32 exec_lo, exec_lo, s89
	v_cmp_lt_u32_e64 s88, 8, v114
	s_and_saveexec_b32 s90, s88
	s_cbranch_execnz .LBB1044_1270
.LBB1044_791:
	s_or_b32 exec_lo, exec_lo, s90
	v_cmp_lt_u32_e64 s89, 10, v114
	s_and_saveexec_b32 s91, s89
	s_cbranch_execz .LBB1044_1271
.LBB1044_792:
	v_bfe_i32 v115, v84, 0, 16
	v_ashrrev_i32_e32 v116, 31, v115
	v_lshlrev_b64 v[115:116], 1, v[115:116]
	v_add_co_u32 v115, s90, v6, v115
	v_add_co_ci_u32_e64 v116, null, v7, v116, s90
	flat_load_ushort v117, v[115:116]
	v_bfe_i32 v115, v85, 0, 16
	v_ashrrev_i32_e32 v116, 31, v115
	v_lshlrev_b64 v[115:116], 1, v[115:116]
	v_add_co_u32 v115, s90, v6, v115
	v_add_co_ci_u32_e64 v116, null, v7, v116, s90
	flat_load_ushort v115, v[115:116]
	s_waitcnt vmcnt(0) lgkmcnt(0)
	v_cmp_lt_i16_e64 s90, v117, v115
	v_cndmask_b32_e64 v115, v84, v85, s90
	v_cndmask_b32_e64 v85, v85, v84, s90
	v_mov_b32_e32 v84, v115
	s_or_b32 exec_lo, exec_lo, s91
	v_cmp_lt_u32_e64 s90, 12, v114
	s_and_saveexec_b32 s92, s90
	s_cbranch_execnz .LBB1044_1272
.LBB1044_793:
	s_or_b32 exec_lo, exec_lo, s92
	v_cmp_lt_u32_e64 s91, 14, v114
	s_and_saveexec_b32 s93, s91
	s_cbranch_execz .LBB1044_1273
.LBB1044_794:
	v_bfe_i32 v115, v80, 0, 16
	v_ashrrev_i32_e32 v116, 31, v115
	v_lshlrev_b64 v[115:116], 1, v[115:116]
	v_add_co_u32 v115, s92, v6, v115
	v_add_co_ci_u32_e64 v116, null, v7, v116, s92
	flat_load_ushort v117, v[115:116]
	v_bfe_i32 v115, v81, 0, 16
	v_ashrrev_i32_e32 v116, 31, v115
	v_lshlrev_b64 v[115:116], 1, v[115:116]
	v_add_co_u32 v115, s92, v6, v115
	v_add_co_ci_u32_e64 v116, null, v7, v116, s92
	flat_load_ushort v115, v[115:116]
	s_waitcnt vmcnt(0) lgkmcnt(0)
	v_cmp_lt_i16_e64 s92, v117, v115
	v_cndmask_b32_e64 v115, v80, v81, s92
	v_cndmask_b32_e64 v81, v81, v80, s92
	v_mov_b32_e32 v80, v115
	s_or_b32 exec_lo, exec_lo, s93
	v_cmp_lt_u32_e64 s92, 16, v114
	s_and_saveexec_b32 s94, s92
	s_cbranch_execnz .LBB1044_1274
.LBB1044_795:
	s_or_b32 exec_lo, exec_lo, s94
	v_cmp_lt_u32_e64 s93, 18, v114
	s_and_saveexec_b32 s95, s93
	s_cbranch_execz .LBB1044_1275
.LBB1044_796:
	v_bfe_i32 v115, v68, 0, 16
	v_ashrrev_i32_e32 v116, 31, v115
	v_lshlrev_b64 v[115:116], 1, v[115:116]
	v_add_co_u32 v115, s94, v6, v115
	v_add_co_ci_u32_e64 v116, null, v7, v116, s94
	flat_load_ushort v117, v[115:116]
	v_bfe_i32 v115, v69, 0, 16
	v_ashrrev_i32_e32 v116, 31, v115
	v_lshlrev_b64 v[115:116], 1, v[115:116]
	v_add_co_u32 v115, s94, v6, v115
	v_add_co_ci_u32_e64 v116, null, v7, v116, s94
	flat_load_ushort v115, v[115:116]
	s_waitcnt vmcnt(0) lgkmcnt(0)
	v_cmp_lt_i16_e64 s94, v117, v115
	v_cndmask_b32_e64 v115, v68, v69, s94
	v_cndmask_b32_e64 v69, v69, v68, s94
	v_mov_b32_e32 v68, v115
	s_or_b32 exec_lo, exec_lo, s95
	v_cmp_lt_u32_e64 s94, 20, v114
	s_and_saveexec_b32 vcc_hi, s94
	s_cbranch_execnz .LBB1044_1276
.LBB1044_797:
	s_or_b32 exec_lo, exec_lo, vcc_hi
	v_cmp_lt_u32_e64 s95, 22, v114
	s_and_saveexec_b32 s30, s95
	s_cbranch_execz .LBB1044_1277
.LBB1044_798:
	v_bfe_i32 v115, v55, 0, 16
	v_ashrrev_i32_e32 v116, 31, v115
	v_lshlrev_b64 v[115:116], 1, v[115:116]
	v_add_co_u32 v115, vcc_hi, v6, v115
	v_add_co_ci_u32_e64 v116, null, v7, v116, vcc_hi
	flat_load_ushort v117, v[115:116]
	v_bfe_i32 v115, v65, 0, 16
	v_ashrrev_i32_e32 v116, 31, v115
	v_lshlrev_b64 v[115:116], 1, v[115:116]
	v_add_co_u32 v115, vcc_hi, v6, v115
	v_add_co_ci_u32_e64 v116, null, v7, v116, vcc_hi
	flat_load_ushort v115, v[115:116]
	s_waitcnt vmcnt(0) lgkmcnt(0)
	v_cmp_lt_i16_e64 vcc_hi, v117, v115
	v_cndmask_b32_e64 v115, v55, v65, vcc_hi
	v_cndmask_b32_e64 v65, v65, v55, vcc_hi
	v_mov_b32_e32 v55, v115
	s_or_b32 exec_lo, exec_lo, s30
	v_cmp_lt_u32_e64 vcc_hi, 24, v114
	s_and_saveexec_b32 s31, vcc_hi
	s_cbranch_execnz .LBB1044_1278
.LBB1044_799:
	s_or_b32 exec_lo, exec_lo, s31
	v_cmp_lt_u32_e64 s30, 26, v114
	s_and_saveexec_b32 s34, s30
	s_cbranch_execz .LBB1044_1279
.LBB1044_800:
	v_bfe_i32 v115, v52, 0, 16
	v_ashrrev_i32_e32 v116, 31, v115
	v_lshlrev_b64 v[115:116], 1, v[115:116]
	v_add_co_u32 v115, s31, v6, v115
	v_add_co_ci_u32_e64 v116, null, v7, v116, s31
	flat_load_ushort v117, v[115:116]
	v_bfe_i32 v115, v64, 0, 16
	v_ashrrev_i32_e32 v116, 31, v115
	v_lshlrev_b64 v[115:116], 1, v[115:116]
	v_add_co_u32 v115, s31, v6, v115
	v_add_co_ci_u32_e64 v116, null, v7, v116, s31
	flat_load_ushort v115, v[115:116]
	s_waitcnt vmcnt(0) lgkmcnt(0)
	v_cmp_lt_i16_e64 s31, v117, v115
	v_cndmask_b32_e64 v115, v64, v52, s31
	v_cndmask_b32_e64 v52, v52, v64, s31
	v_mov_b32_e32 v64, v115
	s_or_b32 exec_lo, exec_lo, s34
	v_cmp_lt_u32_e64 s31, 28, v114
	s_and_saveexec_b32 s35, s31
	s_cbranch_execnz .LBB1044_1280
.LBB1044_801:
	s_or_b32 exec_lo, exec_lo, s35
	v_cmp_lt_u32_e64 s34, 30, v114
	s_and_saveexec_b32 s38, s34
	s_cbranch_execz .LBB1044_1281
.LBB1044_802:
	v_bfe_i32 v114, v103, 0, 16
	v_bfe_i32 v116, v49, 0, 16
	v_ashrrev_i32_e32 v115, 31, v114
	v_ashrrev_i32_e32 v117, 31, v116
	v_lshlrev_b64 v[114:115], 1, v[114:115]
	v_lshlrev_b64 v[116:117], 1, v[116:117]
	v_add_co_u32 v114, s35, v6, v114
	v_add_co_ci_u32_e64 v115, null, v7, v115, s35
	v_add_co_u32 v116, s35, v6, v116
	v_add_co_ci_u32_e64 v117, null, v7, v117, s35
	s_clause 0x1
	flat_load_ushort v114, v[114:115]
	flat_load_ushort v115, v[116:117]
	s_waitcnt vmcnt(0) lgkmcnt(0)
	v_cmp_lt_i16_e64 s35, v114, v115
	v_cndmask_b32_e64 v114, v49, v103, s35
	v_cndmask_b32_e64 v103, v103, v49, s35
	v_mov_b32_e32 v49, v114
	s_or_b32 exec_lo, exec_lo, s38
	s_and_saveexec_b32 s38, s8
	s_cbranch_execnz .LBB1044_1282
.LBB1044_803:
	s_or_b32 exec_lo, exec_lo, s38
	s_and_saveexec_b32 s38, s9
	s_cbranch_execz .LBB1044_1283
.LBB1044_804:
	v_bfe_i32 v114, v100, 0, 16
	v_bfe_i32 v116, v101, 0, 16
	v_ashrrev_i32_e32 v115, 31, v114
	v_ashrrev_i32_e32 v117, 31, v116
	v_lshlrev_b64 v[114:115], 1, v[114:115]
	v_lshlrev_b64 v[116:117], 1, v[116:117]
	v_add_co_u32 v114, s35, v6, v114
	v_add_co_ci_u32_e64 v115, null, v7, v115, s35
	v_add_co_u32 v116, s35, v6, v116
	v_add_co_ci_u32_e64 v117, null, v7, v117, s35
	s_clause 0x1
	flat_load_ushort v114, v[114:115]
	flat_load_ushort v115, v[116:117]
	s_waitcnt vmcnt(0) lgkmcnt(0)
	v_cmp_lt_i16_e64 s35, v114, v115
	v_cndmask_b32_e64 v114, v100, v101, s35
	v_cndmask_b32_e64 v101, v101, v100, s35
	v_mov_b32_e32 v100, v114
	s_or_b32 exec_lo, exec_lo, s38
	s_and_saveexec_b32 s38, s12
	s_cbranch_execnz .LBB1044_1284
.LBB1044_805:
	s_or_b32 exec_lo, exec_lo, s38
	s_and_saveexec_b32 s38, s13
	s_cbranch_execz .LBB1044_1285
.LBB1044_806:
	v_bfe_i32 v114, v87, 0, 16
	v_bfe_i32 v116, v96, 0, 16
	v_ashrrev_i32_e32 v115, 31, v114
	v_ashrrev_i32_e32 v117, 31, v116
	v_lshlrev_b64 v[114:115], 1, v[114:115]
	v_lshlrev_b64 v[116:117], 1, v[116:117]
	v_add_co_u32 v114, s35, v6, v114
	v_add_co_ci_u32_e64 v115, null, v7, v115, s35
	v_add_co_u32 v116, s35, v6, v116
	v_add_co_ci_u32_e64 v117, null, v7, v117, s35
	s_clause 0x1
	flat_load_ushort v114, v[114:115]
	flat_load_ushort v115, v[116:117]
	s_waitcnt vmcnt(0) lgkmcnt(0)
	v_cmp_lt_i16_e64 s35, v114, v115
	v_cndmask_b32_e64 v114, v87, v96, s35
	v_cndmask_b32_e64 v96, v96, v87, s35
	v_mov_b32_e32 v87, v114
	s_or_b32 exec_lo, exec_lo, s38
	s_and_saveexec_b32 s38, s57
	s_cbranch_execnz .LBB1044_1286
.LBB1044_807:
	s_or_b32 exec_lo, exec_lo, s38
	s_and_saveexec_b32 s38, s58
	s_cbranch_execz .LBB1044_1287
.LBB1044_808:
	v_bfe_i32 v114, v83, 0, 16
	v_bfe_i32 v116, v84, 0, 16
	v_ashrrev_i32_e32 v115, 31, v114
	v_ashrrev_i32_e32 v117, 31, v116
	v_lshlrev_b64 v[114:115], 1, v[114:115]
	v_lshlrev_b64 v[116:117], 1, v[116:117]
	v_add_co_u32 v114, s35, v6, v114
	v_add_co_ci_u32_e64 v115, null, v7, v115, s35
	v_add_co_u32 v116, s35, v6, v116
	v_add_co_ci_u32_e64 v117, null, v7, v117, s35
	s_clause 0x1
	flat_load_ushort v114, v[114:115]
	flat_load_ushort v115, v[116:117]
	s_waitcnt vmcnt(0) lgkmcnt(0)
	v_cmp_lt_i16_e64 s35, v114, v115
	v_cndmask_b32_e64 v114, v83, v84, s35
	v_cndmask_b32_e64 v84, v84, v83, s35
	v_mov_b32_e32 v83, v114
	s_or_b32 exec_lo, exec_lo, s38
	s_and_saveexec_b32 s38, s59
	s_cbranch_execnz .LBB1044_1288
.LBB1044_809:
	s_or_b32 exec_lo, exec_lo, s38
	s_and_saveexec_b32 s38, s60
	s_cbranch_execz .LBB1044_1289
.LBB1044_810:
	v_bfe_i32 v114, v71, 0, 16
	v_bfe_i32 v116, v80, 0, 16
	v_ashrrev_i32_e32 v115, 31, v114
	v_ashrrev_i32_e32 v117, 31, v116
	v_lshlrev_b64 v[114:115], 1, v[114:115]
	v_lshlrev_b64 v[116:117], 1, v[116:117]
	v_add_co_u32 v114, s35, v6, v114
	v_add_co_ci_u32_e64 v115, null, v7, v115, s35
	v_add_co_u32 v116, s35, v6, v116
	v_add_co_ci_u32_e64 v117, null, v7, v117, s35
	s_clause 0x1
	flat_load_ushort v114, v[114:115]
	flat_load_ushort v115, v[116:117]
	s_waitcnt vmcnt(0) lgkmcnt(0)
	v_cmp_lt_i16_e64 s35, v114, v115
	v_cndmask_b32_e64 v114, v71, v80, s35
	v_cndmask_b32_e64 v80, v80, v71, s35
	v_mov_b32_e32 v71, v114
	s_or_b32 exec_lo, exec_lo, s38
	s_and_saveexec_b32 s38, s61
	s_cbranch_execnz .LBB1044_1290
.LBB1044_811:
	s_or_b32 exec_lo, exec_lo, s38
	s_and_saveexec_b32 s38, s62
	s_cbranch_execz .LBB1044_1291
.LBB1044_812:
	v_bfe_i32 v114, v67, 0, 16
	v_bfe_i32 v116, v68, 0, 16
	v_ashrrev_i32_e32 v115, 31, v114
	v_ashrrev_i32_e32 v117, 31, v116
	v_lshlrev_b64 v[114:115], 1, v[114:115]
	v_lshlrev_b64 v[116:117], 1, v[116:117]
	v_add_co_u32 v114, s35, v6, v114
	v_add_co_ci_u32_e64 v115, null, v7, v115, s35
	v_add_co_u32 v116, s35, v6, v116
	v_add_co_ci_u32_e64 v117, null, v7, v117, s35
	s_clause 0x1
	flat_load_ushort v114, v[114:115]
	flat_load_ushort v115, v[116:117]
	s_waitcnt vmcnt(0) lgkmcnt(0)
	v_cmp_lt_i16_e64 s35, v114, v115
	v_cndmask_b32_e64 v114, v67, v68, s35
	v_cndmask_b32_e64 v68, v68, v67, s35
	v_mov_b32_e32 v67, v114
	s_or_b32 exec_lo, exec_lo, s38
	s_and_saveexec_b32 s38, s63
	s_cbranch_execnz .LBB1044_1292
.LBB1044_813:
	s_or_b32 exec_lo, exec_lo, s38
	s_and_saveexec_b32 s38, s72
	s_cbranch_execz .LBB1044_1293
.LBB1044_814:
	v_bfe_i32 v114, v54, 0, 16
	v_bfe_i32 v116, v55, 0, 16
	v_ashrrev_i32_e32 v115, 31, v114
	v_ashrrev_i32_e32 v117, 31, v116
	v_lshlrev_b64 v[114:115], 1, v[114:115]
	v_lshlrev_b64 v[116:117], 1, v[116:117]
	v_add_co_u32 v114, s35, v6, v114
	v_add_co_ci_u32_e64 v115, null, v7, v115, s35
	v_add_co_u32 v116, s35, v6, v116
	v_add_co_ci_u32_e64 v117, null, v7, v117, s35
	s_clause 0x1
	flat_load_ushort v114, v[114:115]
	flat_load_ushort v115, v[116:117]
	s_waitcnt vmcnt(0) lgkmcnt(0)
	v_cmp_lt_i16_e64 s35, v114, v115
	v_cndmask_b32_e64 v114, v54, v55, s35
	v_cndmask_b32_e64 v55, v55, v54, s35
	v_mov_b32_e32 v54, v114
	s_or_b32 exec_lo, exec_lo, s38
	s_and_saveexec_b32 s38, s73
	s_cbranch_execnz .LBB1044_1294
.LBB1044_815:
	s_or_b32 exec_lo, exec_lo, s38
	s_and_saveexec_b32 s38, s74
	s_cbranch_execz .LBB1044_1295
.LBB1044_816:
	v_bfe_i32 v114, v51, 0, 16
	v_bfe_i32 v116, v52, 0, 16
	v_ashrrev_i32_e32 v115, 31, v114
	v_ashrrev_i32_e32 v117, 31, v116
	v_lshlrev_b64 v[114:115], 1, v[114:115]
	v_lshlrev_b64 v[116:117], 1, v[116:117]
	v_add_co_u32 v114, s35, v6, v114
	v_add_co_ci_u32_e64 v115, null, v7, v115, s35
	v_add_co_u32 v116, s35, v6, v116
	v_add_co_ci_u32_e64 v117, null, v7, v117, s35
	s_clause 0x1
	flat_load_ushort v114, v[114:115]
	flat_load_ushort v115, v[116:117]
	s_waitcnt vmcnt(0) lgkmcnt(0)
	v_cmp_lt_i16_e64 s35, v114, v115
	v_cndmask_b32_e64 v114, v52, v51, s35
	v_cndmask_b32_e64 v51, v51, v52, s35
	v_mov_b32_e32 v52, v114
	s_or_b32 exec_lo, exec_lo, s38
	s_and_saveexec_b32 s38, s75
	s_cbranch_execnz .LBB1044_1296
.LBB1044_817:
	s_or_b32 exec_lo, exec_lo, s38
	s_and_saveexec_b32 s38, s76
	s_cbranch_execz .LBB1044_1297
.LBB1044_818:
	v_bfe_i32 v114, v48, 0, 16
	v_bfe_i32 v116, v103, 0, 16
	v_ashrrev_i32_e32 v115, 31, v114
	v_ashrrev_i32_e32 v117, 31, v116
	v_lshlrev_b64 v[114:115], 1, v[114:115]
	v_lshlrev_b64 v[116:117], 1, v[116:117]
	v_add_co_u32 v114, s35, v6, v114
	v_add_co_ci_u32_e64 v115, null, v7, v115, s35
	v_add_co_u32 v116, s35, v6, v116
	v_add_co_ci_u32_e64 v117, null, v7, v117, s35
	s_clause 0x1
	flat_load_ushort v114, v[114:115]
	flat_load_ushort v115, v[116:117]
	s_waitcnt vmcnt(0) lgkmcnt(0)
	v_cmp_lt_i16_e64 s35, v114, v115
	v_cndmask_b32_e64 v114, v103, v48, s35
	v_cndmask_b32_e64 v48, v48, v103, s35
	v_mov_b32_e32 v103, v114
	s_or_b32 exec_lo, exec_lo, s38
	s_and_saveexec_b32 s38, s77
	s_cbranch_execnz .LBB1044_1298
.LBB1044_819:
	s_or_b32 exec_lo, exec_lo, s38
	s_and_saveexec_b32 s38, s78
	s_cbranch_execz .LBB1044_1299
.LBB1044_820:
	v_bfe_i32 v114, v98, 0, 16
	v_bfe_i32 v116, v100, 0, 16
	v_ashrrev_i32_e32 v115, 31, v114
	v_ashrrev_i32_e32 v117, 31, v116
	v_lshlrev_b64 v[114:115], 1, v[114:115]
	v_lshlrev_b64 v[116:117], 1, v[116:117]
	v_add_co_u32 v114, s35, v6, v114
	v_add_co_ci_u32_e64 v115, null, v7, v115, s35
	v_add_co_u32 v116, s35, v6, v116
	v_add_co_ci_u32_e64 v117, null, v7, v117, s35
	s_clause 0x1
	flat_load_ushort v114, v[114:115]
	flat_load_ushort v115, v[116:117]
	s_waitcnt vmcnt(0) lgkmcnt(0)
	v_cmp_lt_i16_e64 s35, v114, v115
	v_cndmask_b32_e64 v114, v98, v100, s35
	v_cndmask_b32_e64 v100, v100, v98, s35
	v_mov_b32_e32 v98, v114
	s_or_b32 exec_lo, exec_lo, s38
	s_and_saveexec_b32 s38, s79
	s_cbranch_execnz .LBB1044_1300
.LBB1044_821:
	s_or_b32 exec_lo, exec_lo, s38
	s_and_saveexec_b32 s38, s88
	s_cbranch_execz .LBB1044_1301
.LBB1044_822:
	v_bfe_i32 v114, v86, 0, 16
	v_bfe_i32 v116, v87, 0, 16
	v_ashrrev_i32_e32 v115, 31, v114
	v_ashrrev_i32_e32 v117, 31, v116
	v_lshlrev_b64 v[114:115], 1, v[114:115]
	v_lshlrev_b64 v[116:117], 1, v[116:117]
	v_add_co_u32 v114, s35, v6, v114
	v_add_co_ci_u32_e64 v115, null, v7, v115, s35
	v_add_co_u32 v116, s35, v6, v116
	v_add_co_ci_u32_e64 v117, null, v7, v117, s35
	s_clause 0x1
	flat_load_ushort v114, v[114:115]
	flat_load_ushort v115, v[116:117]
	s_waitcnt vmcnt(0) lgkmcnt(0)
	v_cmp_lt_i16_e64 s35, v114, v115
	v_cndmask_b32_e64 v114, v86, v87, s35
	v_cndmask_b32_e64 v87, v87, v86, s35
	v_mov_b32_e32 v86, v114
	s_or_b32 exec_lo, exec_lo, s38
	s_and_saveexec_b32 s38, s89
	s_cbranch_execnz .LBB1044_1302
.LBB1044_823:
	s_or_b32 exec_lo, exec_lo, s38
	s_and_saveexec_b32 s38, s90
	s_cbranch_execz .LBB1044_1303
.LBB1044_824:
	v_bfe_i32 v114, v82, 0, 16
	v_bfe_i32 v116, v83, 0, 16
	v_ashrrev_i32_e32 v115, 31, v114
	v_ashrrev_i32_e32 v117, 31, v116
	v_lshlrev_b64 v[114:115], 1, v[114:115]
	v_lshlrev_b64 v[116:117], 1, v[116:117]
	v_add_co_u32 v114, s35, v6, v114
	v_add_co_ci_u32_e64 v115, null, v7, v115, s35
	v_add_co_u32 v116, s35, v6, v116
	v_add_co_ci_u32_e64 v117, null, v7, v117, s35
	s_clause 0x1
	flat_load_ushort v114, v[114:115]
	flat_load_ushort v115, v[116:117]
	s_waitcnt vmcnt(0) lgkmcnt(0)
	v_cmp_lt_i16_e64 s35, v114, v115
	v_cndmask_b32_e64 v114, v82, v83, s35
	v_cndmask_b32_e64 v83, v83, v82, s35
	v_mov_b32_e32 v82, v114
	s_or_b32 exec_lo, exec_lo, s38
	s_and_saveexec_b32 s38, s91
	s_cbranch_execnz .LBB1044_1304
.LBB1044_825:
	s_or_b32 exec_lo, exec_lo, s38
	s_and_saveexec_b32 s38, s92
	s_cbranch_execz .LBB1044_1305
.LBB1044_826:
	v_bfe_i32 v114, v70, 0, 16
	v_bfe_i32 v116, v71, 0, 16
	v_ashrrev_i32_e32 v115, 31, v114
	v_ashrrev_i32_e32 v117, 31, v116
	v_lshlrev_b64 v[114:115], 1, v[114:115]
	v_lshlrev_b64 v[116:117], 1, v[116:117]
	v_add_co_u32 v114, s35, v6, v114
	v_add_co_ci_u32_e64 v115, null, v7, v115, s35
	v_add_co_u32 v116, s35, v6, v116
	v_add_co_ci_u32_e64 v117, null, v7, v117, s35
	s_clause 0x1
	flat_load_ushort v114, v[114:115]
	flat_load_ushort v115, v[116:117]
	s_waitcnt vmcnt(0) lgkmcnt(0)
	v_cmp_lt_i16_e64 s35, v114, v115
	v_cndmask_b32_e64 v114, v70, v71, s35
	v_cndmask_b32_e64 v71, v71, v70, s35
	v_mov_b32_e32 v70, v114
	s_or_b32 exec_lo, exec_lo, s38
	s_and_saveexec_b32 s38, s93
	s_cbranch_execnz .LBB1044_1306
.LBB1044_827:
	s_or_b32 exec_lo, exec_lo, s38
	s_and_saveexec_b32 s38, s94
	s_cbranch_execz .LBB1044_1307
.LBB1044_828:
	v_bfe_i32 v114, v66, 0, 16
	v_bfe_i32 v116, v67, 0, 16
	v_ashrrev_i32_e32 v115, 31, v114
	v_ashrrev_i32_e32 v117, 31, v116
	v_lshlrev_b64 v[114:115], 1, v[114:115]
	v_lshlrev_b64 v[116:117], 1, v[116:117]
	v_add_co_u32 v114, s35, v6, v114
	v_add_co_ci_u32_e64 v115, null, v7, v115, s35
	v_add_co_u32 v116, s35, v6, v116
	v_add_co_ci_u32_e64 v117, null, v7, v117, s35
	s_clause 0x1
	flat_load_ushort v114, v[114:115]
	flat_load_ushort v115, v[116:117]
	s_waitcnt vmcnt(0) lgkmcnt(0)
	v_cmp_lt_i16_e64 s35, v114, v115
	v_cndmask_b32_e64 v114, v66, v67, s35
	v_cndmask_b32_e64 v67, v67, v66, s35
	v_mov_b32_e32 v66, v114
	s_or_b32 exec_lo, exec_lo, s38
	s_and_saveexec_b32 s38, s95
	s_cbranch_execnz .LBB1044_1308
.LBB1044_829:
	s_or_b32 exec_lo, exec_lo, s38
	s_and_saveexec_b32 s38, vcc_hi
	s_cbranch_execz .LBB1044_1309
.LBB1044_830:
	v_bfe_i32 v114, v53, 0, 16
	v_bfe_i32 v116, v54, 0, 16
	v_ashrrev_i32_e32 v115, 31, v114
	v_ashrrev_i32_e32 v117, 31, v116
	v_lshlrev_b64 v[114:115], 1, v[114:115]
	v_lshlrev_b64 v[116:117], 1, v[116:117]
	v_add_co_u32 v114, s35, v6, v114
	v_add_co_ci_u32_e64 v115, null, v7, v115, s35
	v_add_co_u32 v116, s35, v6, v116
	v_add_co_ci_u32_e64 v117, null, v7, v117, s35
	s_clause 0x1
	flat_load_ushort v114, v[114:115]
	flat_load_ushort v115, v[116:117]
	s_waitcnt vmcnt(0) lgkmcnt(0)
	v_cmp_lt_i16_e64 s35, v114, v115
	v_cndmask_b32_e64 v114, v53, v54, s35
	v_cndmask_b32_e64 v54, v54, v53, s35
	v_mov_b32_e32 v53, v114
	s_or_b32 exec_lo, exec_lo, s38
	s_and_saveexec_b32 s38, s30
	s_cbranch_execnz .LBB1044_1310
.LBB1044_831:
	s_or_b32 exec_lo, exec_lo, s38
	s_and_saveexec_b32 s38, s31
	s_cbranch_execz .LBB1044_1311
.LBB1044_832:
	v_bfe_i32 v114, v50, 0, 16
	v_bfe_i32 v116, v51, 0, 16
	v_ashrrev_i32_e32 v115, 31, v114
	v_ashrrev_i32_e32 v117, 31, v116
	v_lshlrev_b64 v[114:115], 1, v[114:115]
	v_lshlrev_b64 v[116:117], 1, v[116:117]
	v_add_co_u32 v114, s35, v6, v114
	v_add_co_ci_u32_e64 v115, null, v7, v115, s35
	v_add_co_u32 v116, s35, v6, v116
	v_add_co_ci_u32_e64 v117, null, v7, v117, s35
	s_clause 0x1
	flat_load_ushort v114, v[114:115]
	flat_load_ushort v115, v[116:117]
	s_waitcnt vmcnt(0) lgkmcnt(0)
	v_cmp_lt_i16_e64 s35, v114, v115
	v_cndmask_b32_e64 v114, v51, v50, s35
	v_cndmask_b32_e64 v50, v50, v51, s35
	v_mov_b32_e32 v51, v114
	s_or_b32 exec_lo, exec_lo, s38
	s_and_saveexec_b32 s38, s34
	s_cbranch_execnz .LBB1044_1312
.LBB1044_833:
	s_or_b32 exec_lo, exec_lo, s38
	s_and_saveexec_b32 s38, s8
	s_cbranch_execz .LBB1044_1313
.LBB1044_834:
	v_bfe_i32 v114, v102, 0, 16
	v_bfe_i32 v116, v99, 0, 16
	v_ashrrev_i32_e32 v115, 31, v114
	v_ashrrev_i32_e32 v117, 31, v116
	v_lshlrev_b64 v[114:115], 1, v[114:115]
	v_lshlrev_b64 v[116:117], 1, v[116:117]
	v_add_co_u32 v114, s35, v6, v114
	v_add_co_ci_u32_e64 v115, null, v7, v115, s35
	v_add_co_u32 v116, s35, v6, v116
	v_add_co_ci_u32_e64 v117, null, v7, v117, s35
	s_clause 0x1
	flat_load_ushort v114, v[114:115]
	flat_load_ushort v115, v[116:117]
	s_waitcnt vmcnt(0) lgkmcnt(0)
	v_cmp_lt_i16_e64 s35, v114, v115
	v_cndmask_b32_e64 v114, v102, v99, s35
	v_cndmask_b32_e64 v99, v99, v102, s35
	v_mov_b32_e32 v102, v114
	s_or_b32 exec_lo, exec_lo, s38
	s_and_saveexec_b32 s38, s9
	s_cbranch_execnz .LBB1044_1314
.LBB1044_835:
	s_or_b32 exec_lo, exec_lo, s38
	s_and_saveexec_b32 s38, s12
	s_cbranch_execz .LBB1044_1315
.LBB1044_836:
	v_bfe_i32 v114, v97, 0, 16
	v_bfe_i32 v116, v98, 0, 16
	v_ashrrev_i32_e32 v115, 31, v114
	v_ashrrev_i32_e32 v117, 31, v116
	v_lshlrev_b64 v[114:115], 1, v[114:115]
	v_lshlrev_b64 v[116:117], 1, v[116:117]
	v_add_co_u32 v114, s35, v6, v114
	v_add_co_ci_u32_e64 v115, null, v7, v115, s35
	v_add_co_u32 v116, s35, v6, v116
	v_add_co_ci_u32_e64 v117, null, v7, v117, s35
	s_clause 0x1
	flat_load_ushort v114, v[114:115]
	flat_load_ushort v115, v[116:117]
	s_waitcnt vmcnt(0) lgkmcnt(0)
	v_cmp_lt_i16_e64 s35, v114, v115
	v_cndmask_b32_e64 v114, v97, v98, s35
	v_cndmask_b32_e64 v98, v98, v97, s35
	v_mov_b32_e32 v97, v114
	s_or_b32 exec_lo, exec_lo, s38
	s_and_saveexec_b32 s38, s13
	s_cbranch_execnz .LBB1044_1316
.LBB1044_837:
	s_or_b32 exec_lo, exec_lo, s38
	s_and_saveexec_b32 s38, s57
	s_cbranch_execz .LBB1044_1317
.LBB1044_838:
	v_bfe_i32 v114, v85, 0, 16
	v_bfe_i32 v116, v86, 0, 16
	v_ashrrev_i32_e32 v115, 31, v114
	v_ashrrev_i32_e32 v117, 31, v116
	v_lshlrev_b64 v[114:115], 1, v[114:115]
	v_lshlrev_b64 v[116:117], 1, v[116:117]
	v_add_co_u32 v114, s35, v6, v114
	v_add_co_ci_u32_e64 v115, null, v7, v115, s35
	v_add_co_u32 v116, s35, v6, v116
	v_add_co_ci_u32_e64 v117, null, v7, v117, s35
	s_clause 0x1
	flat_load_ushort v114, v[114:115]
	flat_load_ushort v115, v[116:117]
	s_waitcnt vmcnt(0) lgkmcnt(0)
	v_cmp_lt_i16_e64 s35, v114, v115
	v_cndmask_b32_e64 v114, v85, v86, s35
	v_cndmask_b32_e64 v86, v86, v85, s35
	v_mov_b32_e32 v85, v114
	s_or_b32 exec_lo, exec_lo, s38
	s_and_saveexec_b32 s38, s58
	s_cbranch_execnz .LBB1044_1318
.LBB1044_839:
	s_or_b32 exec_lo, exec_lo, s38
	s_and_saveexec_b32 s38, s59
	s_cbranch_execz .LBB1044_1319
.LBB1044_840:
	v_bfe_i32 v114, v81, 0, 16
	v_bfe_i32 v116, v82, 0, 16
	v_ashrrev_i32_e32 v115, 31, v114
	v_ashrrev_i32_e32 v117, 31, v116
	v_lshlrev_b64 v[114:115], 1, v[114:115]
	v_lshlrev_b64 v[116:117], 1, v[116:117]
	v_add_co_u32 v114, s35, v6, v114
	v_add_co_ci_u32_e64 v115, null, v7, v115, s35
	v_add_co_u32 v116, s35, v6, v116
	v_add_co_ci_u32_e64 v117, null, v7, v117, s35
	s_clause 0x1
	flat_load_ushort v114, v[114:115]
	flat_load_ushort v115, v[116:117]
	s_waitcnt vmcnt(0) lgkmcnt(0)
	v_cmp_lt_i16_e64 s35, v114, v115
	v_cndmask_b32_e64 v114, v81, v82, s35
	v_cndmask_b32_e64 v82, v82, v81, s35
	v_mov_b32_e32 v81, v114
	s_or_b32 exec_lo, exec_lo, s38
	s_and_saveexec_b32 s38, s60
	s_cbranch_execnz .LBB1044_1320
.LBB1044_841:
	s_or_b32 exec_lo, exec_lo, s38
	s_and_saveexec_b32 s38, s61
	s_cbranch_execz .LBB1044_1321
.LBB1044_842:
	v_bfe_i32 v114, v69, 0, 16
	v_bfe_i32 v116, v70, 0, 16
	v_ashrrev_i32_e32 v115, 31, v114
	v_ashrrev_i32_e32 v117, 31, v116
	v_lshlrev_b64 v[114:115], 1, v[114:115]
	v_lshlrev_b64 v[116:117], 1, v[116:117]
	v_add_co_u32 v114, s35, v6, v114
	v_add_co_ci_u32_e64 v115, null, v7, v115, s35
	v_add_co_u32 v116, s35, v6, v116
	v_add_co_ci_u32_e64 v117, null, v7, v117, s35
	s_clause 0x1
	flat_load_ushort v114, v[114:115]
	flat_load_ushort v115, v[116:117]
	s_waitcnt vmcnt(0) lgkmcnt(0)
	v_cmp_lt_i16_e64 s35, v114, v115
	v_cndmask_b32_e64 v114, v69, v70, s35
	v_cndmask_b32_e64 v70, v70, v69, s35
	v_mov_b32_e32 v69, v114
	s_or_b32 exec_lo, exec_lo, s38
	s_and_saveexec_b32 s38, s62
	s_cbranch_execnz .LBB1044_1322
.LBB1044_843:
	s_or_b32 exec_lo, exec_lo, s38
	s_and_saveexec_b32 s38, s63
	s_cbranch_execz .LBB1044_1323
.LBB1044_844:
	v_bfe_i32 v114, v65, 0, 16
	v_bfe_i32 v116, v66, 0, 16
	v_ashrrev_i32_e32 v115, 31, v114
	v_ashrrev_i32_e32 v117, 31, v116
	v_lshlrev_b64 v[114:115], 1, v[114:115]
	v_lshlrev_b64 v[116:117], 1, v[116:117]
	v_add_co_u32 v114, s35, v6, v114
	v_add_co_ci_u32_e64 v115, null, v7, v115, s35
	v_add_co_u32 v116, s35, v6, v116
	v_add_co_ci_u32_e64 v117, null, v7, v117, s35
	s_clause 0x1
	flat_load_ushort v114, v[114:115]
	flat_load_ushort v115, v[116:117]
	s_waitcnt vmcnt(0) lgkmcnt(0)
	v_cmp_lt_i16_e64 s35, v114, v115
	v_cndmask_b32_e64 v114, v65, v66, s35
	v_cndmask_b32_e64 v66, v66, v65, s35
	v_mov_b32_e32 v65, v114
	s_or_b32 exec_lo, exec_lo, s38
	s_and_saveexec_b32 s38, s72
	s_cbranch_execnz .LBB1044_1324
.LBB1044_845:
	s_or_b32 exec_lo, exec_lo, s38
	s_and_saveexec_b32 s38, s73
	s_cbranch_execz .LBB1044_1325
.LBB1044_846:
	v_bfe_i32 v114, v64, 0, 16
	v_bfe_i32 v116, v53, 0, 16
	v_ashrrev_i32_e32 v115, 31, v114
	v_ashrrev_i32_e32 v117, 31, v116
	v_lshlrev_b64 v[114:115], 1, v[114:115]
	v_lshlrev_b64 v[116:117], 1, v[116:117]
	v_add_co_u32 v114, s35, v6, v114
	v_add_co_ci_u32_e64 v115, null, v7, v115, s35
	v_add_co_u32 v116, s35, v6, v116
	v_add_co_ci_u32_e64 v117, null, v7, v117, s35
	s_clause 0x1
	flat_load_ushort v114, v[114:115]
	flat_load_ushort v115, v[116:117]
	s_waitcnt vmcnt(0) lgkmcnt(0)
	v_cmp_lt_i16_e64 s35, v114, v115
	v_cndmask_b32_e64 v114, v64, v53, s35
	v_cndmask_b32_e64 v53, v53, v64, s35
	v_mov_b32_e32 v64, v114
	s_or_b32 exec_lo, exec_lo, s38
	s_and_saveexec_b32 s38, s74
	s_cbranch_execnz .LBB1044_1326
.LBB1044_847:
	s_or_b32 exec_lo, exec_lo, s38
	s_and_saveexec_b32 s38, s75
	s_cbranch_execz .LBB1044_1327
.LBB1044_848:
	v_bfe_i32 v114, v49, 0, 16
	v_bfe_i32 v116, v50, 0, 16
	v_ashrrev_i32_e32 v115, 31, v114
	v_ashrrev_i32_e32 v117, 31, v116
	v_lshlrev_b64 v[114:115], 1, v[114:115]
	v_lshlrev_b64 v[116:117], 1, v[116:117]
	v_add_co_u32 v114, s35, v6, v114
	v_add_co_ci_u32_e64 v115, null, v7, v115, s35
	v_add_co_u32 v116, s35, v6, v116
	v_add_co_ci_u32_e64 v117, null, v7, v117, s35
	s_clause 0x1
	flat_load_ushort v114, v[114:115]
	flat_load_ushort v115, v[116:117]
	s_waitcnt vmcnt(0) lgkmcnt(0)
	v_cmp_lt_i16_e64 s35, v114, v115
	v_cndmask_b32_e64 v114, v50, v49, s35
	v_cndmask_b32_e64 v49, v49, v50, s35
	v_mov_b32_e32 v50, v114
	s_or_b32 exec_lo, exec_lo, s38
	s_and_saveexec_b32 s38, s76
	s_cbranch_execnz .LBB1044_1328
.LBB1044_849:
	s_or_b32 exec_lo, exec_lo, s38
	s_and_saveexec_b32 s38, s77
	s_cbranch_execz .LBB1044_1329
.LBB1044_850:
	v_bfe_i32 v114, v101, 0, 16
	v_bfe_i32 v116, v102, 0, 16
	v_ashrrev_i32_e32 v115, 31, v114
	v_ashrrev_i32_e32 v117, 31, v116
	v_lshlrev_b64 v[114:115], 1, v[114:115]
	v_lshlrev_b64 v[116:117], 1, v[116:117]
	v_add_co_u32 v114, s35, v6, v114
	v_add_co_ci_u32_e64 v115, null, v7, v115, s35
	v_add_co_u32 v116, s35, v6, v116
	v_add_co_ci_u32_e64 v117, null, v7, v117, s35
	s_clause 0x1
	flat_load_ushort v114, v[114:115]
	flat_load_ushort v115, v[116:117]
	s_waitcnt vmcnt(0) lgkmcnt(0)
	v_cmp_lt_i16_e64 s35, v114, v115
	v_cndmask_b32_e64 v114, v101, v102, s35
	v_cndmask_b32_e64 v102, v102, v101, s35
	v_mov_b32_e32 v101, v114
	s_or_b32 exec_lo, exec_lo, s38
	s_and_saveexec_b32 s38, s78
	s_cbranch_execnz .LBB1044_1330
.LBB1044_851:
	s_or_b32 exec_lo, exec_lo, s38
	s_and_saveexec_b32 s38, s79
	s_cbranch_execz .LBB1044_1331
.LBB1044_852:
	v_bfe_i32 v114, v96, 0, 16
	v_bfe_i32 v116, v97, 0, 16
	v_ashrrev_i32_e32 v115, 31, v114
	v_ashrrev_i32_e32 v117, 31, v116
	v_lshlrev_b64 v[114:115], 1, v[114:115]
	v_lshlrev_b64 v[116:117], 1, v[116:117]
	v_add_co_u32 v114, s35, v6, v114
	v_add_co_ci_u32_e64 v115, null, v7, v115, s35
	v_add_co_u32 v116, s35, v6, v116
	v_add_co_ci_u32_e64 v117, null, v7, v117, s35
	s_clause 0x1
	flat_load_ushort v114, v[114:115]
	flat_load_ushort v115, v[116:117]
	s_waitcnt vmcnt(0) lgkmcnt(0)
	v_cmp_lt_i16_e64 s35, v114, v115
	v_cndmask_b32_e64 v114, v96, v97, s35
	v_cndmask_b32_e64 v97, v97, v96, s35
	v_mov_b32_e32 v96, v114
	s_or_b32 exec_lo, exec_lo, s38
	s_and_saveexec_b32 s38, s88
	s_cbranch_execnz .LBB1044_1332
.LBB1044_853:
	s_or_b32 exec_lo, exec_lo, s38
	s_and_saveexec_b32 s38, s89
	s_cbranch_execz .LBB1044_1333
.LBB1044_854:
	v_bfe_i32 v114, v84, 0, 16
	v_bfe_i32 v116, v85, 0, 16
	v_ashrrev_i32_e32 v115, 31, v114
	v_ashrrev_i32_e32 v117, 31, v116
	v_lshlrev_b64 v[114:115], 1, v[114:115]
	v_lshlrev_b64 v[116:117], 1, v[116:117]
	v_add_co_u32 v114, s35, v6, v114
	v_add_co_ci_u32_e64 v115, null, v7, v115, s35
	v_add_co_u32 v116, s35, v6, v116
	v_add_co_ci_u32_e64 v117, null, v7, v117, s35
	s_clause 0x1
	flat_load_ushort v114, v[114:115]
	flat_load_ushort v115, v[116:117]
	s_waitcnt vmcnt(0) lgkmcnt(0)
	v_cmp_lt_i16_e64 s35, v114, v115
	v_cndmask_b32_e64 v114, v84, v85, s35
	v_cndmask_b32_e64 v85, v85, v84, s35
	v_mov_b32_e32 v84, v114
	s_or_b32 exec_lo, exec_lo, s38
	s_and_saveexec_b32 s38, s90
	s_cbranch_execnz .LBB1044_1334
.LBB1044_855:
	s_or_b32 exec_lo, exec_lo, s38
	s_and_saveexec_b32 s38, s91
	s_cbranch_execz .LBB1044_1335
.LBB1044_856:
	v_bfe_i32 v114, v80, 0, 16
	v_bfe_i32 v116, v81, 0, 16
	v_ashrrev_i32_e32 v115, 31, v114
	v_ashrrev_i32_e32 v117, 31, v116
	v_lshlrev_b64 v[114:115], 1, v[114:115]
	v_lshlrev_b64 v[116:117], 1, v[116:117]
	v_add_co_u32 v114, s35, v6, v114
	v_add_co_ci_u32_e64 v115, null, v7, v115, s35
	v_add_co_u32 v116, s35, v6, v116
	v_add_co_ci_u32_e64 v117, null, v7, v117, s35
	s_clause 0x1
	flat_load_ushort v114, v[114:115]
	flat_load_ushort v115, v[116:117]
	s_waitcnt vmcnt(0) lgkmcnt(0)
	v_cmp_lt_i16_e64 s35, v114, v115
	v_cndmask_b32_e64 v114, v80, v81, s35
	v_cndmask_b32_e64 v81, v81, v80, s35
	v_mov_b32_e32 v80, v114
	s_or_b32 exec_lo, exec_lo, s38
	s_and_saveexec_b32 s38, s92
	s_cbranch_execnz .LBB1044_1336
.LBB1044_857:
	s_or_b32 exec_lo, exec_lo, s38
	s_and_saveexec_b32 s38, s93
	s_cbranch_execz .LBB1044_1337
.LBB1044_858:
	v_bfe_i32 v114, v68, 0, 16
	v_bfe_i32 v116, v69, 0, 16
	v_ashrrev_i32_e32 v115, 31, v114
	v_ashrrev_i32_e32 v117, 31, v116
	v_lshlrev_b64 v[114:115], 1, v[114:115]
	v_lshlrev_b64 v[116:117], 1, v[116:117]
	v_add_co_u32 v114, s35, v6, v114
	v_add_co_ci_u32_e64 v115, null, v7, v115, s35
	v_add_co_u32 v116, s35, v6, v116
	v_add_co_ci_u32_e64 v117, null, v7, v117, s35
	s_clause 0x1
	flat_load_ushort v114, v[114:115]
	flat_load_ushort v115, v[116:117]
	s_waitcnt vmcnt(0) lgkmcnt(0)
	v_cmp_lt_i16_e64 s35, v114, v115
	v_cndmask_b32_e64 v114, v68, v69, s35
	v_cndmask_b32_e64 v69, v69, v68, s35
	v_mov_b32_e32 v68, v114
	s_or_b32 exec_lo, exec_lo, s38
	s_and_saveexec_b32 s38, s94
	s_cbranch_execnz .LBB1044_1338
.LBB1044_859:
	s_or_b32 exec_lo, exec_lo, s38
	s_and_saveexec_b32 s38, s95
	s_cbranch_execz .LBB1044_1339
.LBB1044_860:
	v_bfe_i32 v114, v55, 0, 16
	v_bfe_i32 v116, v65, 0, 16
	v_ashrrev_i32_e32 v115, 31, v114
	v_ashrrev_i32_e32 v117, 31, v116
	v_lshlrev_b64 v[114:115], 1, v[114:115]
	v_lshlrev_b64 v[116:117], 1, v[116:117]
	v_add_co_u32 v114, s35, v6, v114
	v_add_co_ci_u32_e64 v115, null, v7, v115, s35
	v_add_co_u32 v116, s35, v6, v116
	v_add_co_ci_u32_e64 v117, null, v7, v117, s35
	s_clause 0x1
	flat_load_ushort v114, v[114:115]
	flat_load_ushort v115, v[116:117]
	s_waitcnt vmcnt(0) lgkmcnt(0)
	v_cmp_lt_i16_e64 s35, v114, v115
	v_cndmask_b32_e64 v114, v55, v65, s35
	v_cndmask_b32_e64 v65, v65, v55, s35
	v_mov_b32_e32 v55, v114
	s_or_b32 exec_lo, exec_lo, s38
	s_and_saveexec_b32 s38, vcc_hi
	s_cbranch_execnz .LBB1044_1340
.LBB1044_861:
	s_or_b32 exec_lo, exec_lo, s38
	s_and_saveexec_b32 s38, s30
	s_cbranch_execz .LBB1044_1341
.LBB1044_862:
	v_bfe_i32 v114, v52, 0, 16
	v_bfe_i32 v116, v64, 0, 16
	v_ashrrev_i32_e32 v115, 31, v114
	v_ashrrev_i32_e32 v117, 31, v116
	v_lshlrev_b64 v[114:115], 1, v[114:115]
	v_lshlrev_b64 v[116:117], 1, v[116:117]
	v_add_co_u32 v114, s35, v6, v114
	v_add_co_ci_u32_e64 v115, null, v7, v115, s35
	v_add_co_u32 v116, s35, v6, v116
	v_add_co_ci_u32_e64 v117, null, v7, v117, s35
	s_clause 0x1
	flat_load_ushort v114, v[114:115]
	flat_load_ushort v115, v[116:117]
	s_waitcnt vmcnt(0) lgkmcnt(0)
	v_cmp_lt_i16_e64 s35, v114, v115
	v_cndmask_b32_e64 v114, v64, v52, s35
	v_cndmask_b32_e64 v52, v52, v64, s35
	v_mov_b32_e32 v64, v114
	s_or_b32 exec_lo, exec_lo, s38
	s_and_saveexec_b32 s38, s31
	s_cbranch_execnz .LBB1044_1342
.LBB1044_863:
	s_or_b32 exec_lo, exec_lo, s38
	s_and_saveexec_b32 s38, s34
	s_cbranch_execz .LBB1044_1343
.LBB1044_864:
	v_bfe_i32 v114, v103, 0, 16
	v_bfe_i32 v116, v49, 0, 16
	v_ashrrev_i32_e32 v115, 31, v114
	v_ashrrev_i32_e32 v117, 31, v116
	v_lshlrev_b64 v[114:115], 1, v[114:115]
	v_lshlrev_b64 v[116:117], 1, v[116:117]
	v_add_co_u32 v114, s35, v6, v114
	v_add_co_ci_u32_e64 v115, null, v7, v115, s35
	v_add_co_u32 v116, s35, v6, v116
	v_add_co_ci_u32_e64 v117, null, v7, v117, s35
	s_clause 0x1
	flat_load_ushort v114, v[114:115]
	flat_load_ushort v115, v[116:117]
	s_waitcnt vmcnt(0) lgkmcnt(0)
	v_cmp_lt_i16_e64 s35, v114, v115
	v_cndmask_b32_e64 v114, v49, v103, s35
	v_cndmask_b32_e64 v103, v103, v49, s35
	v_mov_b32_e32 v49, v114
	s_or_b32 exec_lo, exec_lo, s38
	s_and_saveexec_b32 s38, s8
	s_cbranch_execnz .LBB1044_1344
.LBB1044_865:
	s_or_b32 exec_lo, exec_lo, s38
	s_and_saveexec_b32 s38, s9
	s_cbranch_execz .LBB1044_1345
.LBB1044_866:
	v_bfe_i32 v114, v100, 0, 16
	v_bfe_i32 v116, v101, 0, 16
	v_ashrrev_i32_e32 v115, 31, v114
	v_ashrrev_i32_e32 v117, 31, v116
	v_lshlrev_b64 v[114:115], 1, v[114:115]
	v_lshlrev_b64 v[116:117], 1, v[116:117]
	v_add_co_u32 v114, s35, v6, v114
	v_add_co_ci_u32_e64 v115, null, v7, v115, s35
	v_add_co_u32 v116, s35, v6, v116
	v_add_co_ci_u32_e64 v117, null, v7, v117, s35
	s_clause 0x1
	flat_load_ushort v114, v[114:115]
	flat_load_ushort v115, v[116:117]
	s_waitcnt vmcnt(0) lgkmcnt(0)
	v_cmp_lt_i16_e64 s35, v114, v115
	v_cndmask_b32_e64 v114, v100, v101, s35
	v_cndmask_b32_e64 v101, v101, v100, s35
	v_mov_b32_e32 v100, v114
	s_or_b32 exec_lo, exec_lo, s38
	s_and_saveexec_b32 s38, s12
	s_cbranch_execnz .LBB1044_1346
.LBB1044_867:
	s_or_b32 exec_lo, exec_lo, s38
	s_and_saveexec_b32 s38, s13
	s_cbranch_execz .LBB1044_1347
.LBB1044_868:
	v_bfe_i32 v114, v87, 0, 16
	v_bfe_i32 v116, v96, 0, 16
	v_ashrrev_i32_e32 v115, 31, v114
	v_ashrrev_i32_e32 v117, 31, v116
	v_lshlrev_b64 v[114:115], 1, v[114:115]
	v_lshlrev_b64 v[116:117], 1, v[116:117]
	v_add_co_u32 v114, s35, v6, v114
	v_add_co_ci_u32_e64 v115, null, v7, v115, s35
	v_add_co_u32 v116, s35, v6, v116
	v_add_co_ci_u32_e64 v117, null, v7, v117, s35
	s_clause 0x1
	flat_load_ushort v114, v[114:115]
	flat_load_ushort v115, v[116:117]
	s_waitcnt vmcnt(0) lgkmcnt(0)
	v_cmp_lt_i16_e64 s35, v114, v115
	v_cndmask_b32_e64 v114, v87, v96, s35
	v_cndmask_b32_e64 v96, v96, v87, s35
	v_mov_b32_e32 v87, v114
	s_or_b32 exec_lo, exec_lo, s38
	s_and_saveexec_b32 s38, s57
	s_cbranch_execnz .LBB1044_1348
.LBB1044_869:
	s_or_b32 exec_lo, exec_lo, s38
	s_and_saveexec_b32 s38, s58
	s_cbranch_execz .LBB1044_1349
.LBB1044_870:
	v_bfe_i32 v114, v83, 0, 16
	v_bfe_i32 v116, v84, 0, 16
	v_ashrrev_i32_e32 v115, 31, v114
	v_ashrrev_i32_e32 v117, 31, v116
	v_lshlrev_b64 v[114:115], 1, v[114:115]
	v_lshlrev_b64 v[116:117], 1, v[116:117]
	v_add_co_u32 v114, s35, v6, v114
	v_add_co_ci_u32_e64 v115, null, v7, v115, s35
	v_add_co_u32 v116, s35, v6, v116
	v_add_co_ci_u32_e64 v117, null, v7, v117, s35
	s_clause 0x1
	flat_load_ushort v114, v[114:115]
	flat_load_ushort v115, v[116:117]
	s_waitcnt vmcnt(0) lgkmcnt(0)
	v_cmp_lt_i16_e64 s35, v114, v115
	v_cndmask_b32_e64 v114, v83, v84, s35
	v_cndmask_b32_e64 v84, v84, v83, s35
	v_mov_b32_e32 v83, v114
	s_or_b32 exec_lo, exec_lo, s38
	s_and_saveexec_b32 s38, s59
	s_cbranch_execnz .LBB1044_1350
.LBB1044_871:
	s_or_b32 exec_lo, exec_lo, s38
	s_and_saveexec_b32 s38, s60
	s_cbranch_execz .LBB1044_1351
.LBB1044_872:
	v_bfe_i32 v114, v71, 0, 16
	v_bfe_i32 v116, v80, 0, 16
	v_ashrrev_i32_e32 v115, 31, v114
	v_ashrrev_i32_e32 v117, 31, v116
	v_lshlrev_b64 v[114:115], 1, v[114:115]
	v_lshlrev_b64 v[116:117], 1, v[116:117]
	v_add_co_u32 v114, s35, v6, v114
	v_add_co_ci_u32_e64 v115, null, v7, v115, s35
	v_add_co_u32 v116, s35, v6, v116
	v_add_co_ci_u32_e64 v117, null, v7, v117, s35
	s_clause 0x1
	flat_load_ushort v114, v[114:115]
	flat_load_ushort v115, v[116:117]
	s_waitcnt vmcnt(0) lgkmcnt(0)
	v_cmp_lt_i16_e64 s35, v114, v115
	v_cndmask_b32_e64 v114, v71, v80, s35
	v_cndmask_b32_e64 v80, v80, v71, s35
	v_mov_b32_e32 v71, v114
	s_or_b32 exec_lo, exec_lo, s38
	s_and_saveexec_b32 s38, s61
	s_cbranch_execnz .LBB1044_1352
.LBB1044_873:
	s_or_b32 exec_lo, exec_lo, s38
	s_and_saveexec_b32 s38, s62
	s_cbranch_execz .LBB1044_1353
.LBB1044_874:
	v_bfe_i32 v114, v67, 0, 16
	v_bfe_i32 v116, v68, 0, 16
	v_ashrrev_i32_e32 v115, 31, v114
	v_ashrrev_i32_e32 v117, 31, v116
	v_lshlrev_b64 v[114:115], 1, v[114:115]
	v_lshlrev_b64 v[116:117], 1, v[116:117]
	v_add_co_u32 v114, s35, v6, v114
	v_add_co_ci_u32_e64 v115, null, v7, v115, s35
	v_add_co_u32 v116, s35, v6, v116
	v_add_co_ci_u32_e64 v117, null, v7, v117, s35
	s_clause 0x1
	flat_load_ushort v114, v[114:115]
	flat_load_ushort v115, v[116:117]
	s_waitcnt vmcnt(0) lgkmcnt(0)
	v_cmp_lt_i16_e64 s35, v114, v115
	v_cndmask_b32_e64 v114, v67, v68, s35
	v_cndmask_b32_e64 v68, v68, v67, s35
	v_mov_b32_e32 v67, v114
	s_or_b32 exec_lo, exec_lo, s38
	s_and_saveexec_b32 s38, s63
	s_cbranch_execnz .LBB1044_1354
.LBB1044_875:
	s_or_b32 exec_lo, exec_lo, s38
	s_and_saveexec_b32 s38, s72
	s_cbranch_execz .LBB1044_1355
.LBB1044_876:
	v_bfe_i32 v114, v54, 0, 16
	v_bfe_i32 v116, v55, 0, 16
	v_ashrrev_i32_e32 v115, 31, v114
	v_ashrrev_i32_e32 v117, 31, v116
	v_lshlrev_b64 v[114:115], 1, v[114:115]
	v_lshlrev_b64 v[116:117], 1, v[116:117]
	v_add_co_u32 v114, s35, v6, v114
	v_add_co_ci_u32_e64 v115, null, v7, v115, s35
	v_add_co_u32 v116, s35, v6, v116
	v_add_co_ci_u32_e64 v117, null, v7, v117, s35
	s_clause 0x1
	flat_load_ushort v114, v[114:115]
	flat_load_ushort v115, v[116:117]
	s_waitcnt vmcnt(0) lgkmcnt(0)
	v_cmp_lt_i16_e64 s35, v114, v115
	v_cndmask_b32_e64 v114, v54, v55, s35
	v_cndmask_b32_e64 v55, v55, v54, s35
	v_mov_b32_e32 v54, v114
	s_or_b32 exec_lo, exec_lo, s38
	s_and_saveexec_b32 s38, s73
	s_cbranch_execnz .LBB1044_1356
.LBB1044_877:
	s_or_b32 exec_lo, exec_lo, s38
	s_and_saveexec_b32 s38, s74
	s_cbranch_execz .LBB1044_1357
.LBB1044_878:
	v_bfe_i32 v114, v51, 0, 16
	v_bfe_i32 v116, v52, 0, 16
	v_ashrrev_i32_e32 v115, 31, v114
	v_ashrrev_i32_e32 v117, 31, v116
	v_lshlrev_b64 v[114:115], 1, v[114:115]
	v_lshlrev_b64 v[116:117], 1, v[116:117]
	v_add_co_u32 v114, s35, v6, v114
	v_add_co_ci_u32_e64 v115, null, v7, v115, s35
	v_add_co_u32 v116, s35, v6, v116
	v_add_co_ci_u32_e64 v117, null, v7, v117, s35
	s_clause 0x1
	flat_load_ushort v114, v[114:115]
	flat_load_ushort v115, v[116:117]
	s_waitcnt vmcnt(0) lgkmcnt(0)
	v_cmp_lt_i16_e64 s35, v114, v115
	v_cndmask_b32_e64 v114, v52, v51, s35
	v_cndmask_b32_e64 v51, v51, v52, s35
	v_mov_b32_e32 v52, v114
	s_or_b32 exec_lo, exec_lo, s38
	s_and_saveexec_b32 s38, s75
	s_cbranch_execnz .LBB1044_1358
.LBB1044_879:
	s_or_b32 exec_lo, exec_lo, s38
	s_and_saveexec_b32 s38, s76
	s_cbranch_execz .LBB1044_1359
.LBB1044_880:
	v_bfe_i32 v114, v48, 0, 16
	v_bfe_i32 v116, v103, 0, 16
	v_ashrrev_i32_e32 v115, 31, v114
	v_ashrrev_i32_e32 v117, 31, v116
	v_lshlrev_b64 v[114:115], 1, v[114:115]
	v_lshlrev_b64 v[116:117], 1, v[116:117]
	v_add_co_u32 v114, s35, v6, v114
	v_add_co_ci_u32_e64 v115, null, v7, v115, s35
	v_add_co_u32 v116, s35, v6, v116
	v_add_co_ci_u32_e64 v117, null, v7, v117, s35
	s_clause 0x1
	flat_load_ushort v114, v[114:115]
	flat_load_ushort v115, v[116:117]
	s_waitcnt vmcnt(0) lgkmcnt(0)
	v_cmp_lt_i16_e64 s35, v114, v115
	v_cndmask_b32_e64 v114, v103, v48, s35
	v_cndmask_b32_e64 v48, v48, v103, s35
	v_mov_b32_e32 v103, v114
	s_or_b32 exec_lo, exec_lo, s38
	s_and_saveexec_b32 s38, s77
	s_cbranch_execnz .LBB1044_1360
.LBB1044_881:
	s_or_b32 exec_lo, exec_lo, s38
	s_and_saveexec_b32 s38, s78
	s_cbranch_execz .LBB1044_1361
.LBB1044_882:
	v_bfe_i32 v114, v98, 0, 16
	v_bfe_i32 v116, v100, 0, 16
	v_ashrrev_i32_e32 v115, 31, v114
	v_ashrrev_i32_e32 v117, 31, v116
	v_lshlrev_b64 v[114:115], 1, v[114:115]
	v_lshlrev_b64 v[116:117], 1, v[116:117]
	v_add_co_u32 v114, s35, v6, v114
	v_add_co_ci_u32_e64 v115, null, v7, v115, s35
	v_add_co_u32 v116, s35, v6, v116
	v_add_co_ci_u32_e64 v117, null, v7, v117, s35
	s_clause 0x1
	flat_load_ushort v114, v[114:115]
	flat_load_ushort v115, v[116:117]
	s_waitcnt vmcnt(0) lgkmcnt(0)
	v_cmp_lt_i16_e64 s35, v114, v115
	v_cndmask_b32_e64 v114, v98, v100, s35
	v_cndmask_b32_e64 v100, v100, v98, s35
	v_mov_b32_e32 v98, v114
	s_or_b32 exec_lo, exec_lo, s38
	s_and_saveexec_b32 s38, s79
	s_cbranch_execnz .LBB1044_1362
.LBB1044_883:
	s_or_b32 exec_lo, exec_lo, s38
	s_and_saveexec_b32 s38, s88
	s_cbranch_execz .LBB1044_1363
.LBB1044_884:
	v_bfe_i32 v114, v86, 0, 16
	v_bfe_i32 v116, v87, 0, 16
	v_ashrrev_i32_e32 v115, 31, v114
	v_ashrrev_i32_e32 v117, 31, v116
	v_lshlrev_b64 v[114:115], 1, v[114:115]
	v_lshlrev_b64 v[116:117], 1, v[116:117]
	v_add_co_u32 v114, s35, v6, v114
	v_add_co_ci_u32_e64 v115, null, v7, v115, s35
	v_add_co_u32 v116, s35, v6, v116
	v_add_co_ci_u32_e64 v117, null, v7, v117, s35
	s_clause 0x1
	flat_load_ushort v114, v[114:115]
	flat_load_ushort v115, v[116:117]
	s_waitcnt vmcnt(0) lgkmcnt(0)
	v_cmp_lt_i16_e64 s35, v114, v115
	v_cndmask_b32_e64 v114, v86, v87, s35
	v_cndmask_b32_e64 v87, v87, v86, s35
	v_mov_b32_e32 v86, v114
	s_or_b32 exec_lo, exec_lo, s38
	s_and_saveexec_b32 s38, s89
	s_cbranch_execnz .LBB1044_1364
.LBB1044_885:
	s_or_b32 exec_lo, exec_lo, s38
	s_and_saveexec_b32 s38, s90
	s_cbranch_execz .LBB1044_1365
.LBB1044_886:
	v_bfe_i32 v114, v82, 0, 16
	v_bfe_i32 v116, v83, 0, 16
	v_ashrrev_i32_e32 v115, 31, v114
	v_ashrrev_i32_e32 v117, 31, v116
	v_lshlrev_b64 v[114:115], 1, v[114:115]
	v_lshlrev_b64 v[116:117], 1, v[116:117]
	v_add_co_u32 v114, s35, v6, v114
	v_add_co_ci_u32_e64 v115, null, v7, v115, s35
	v_add_co_u32 v116, s35, v6, v116
	v_add_co_ci_u32_e64 v117, null, v7, v117, s35
	s_clause 0x1
	flat_load_ushort v114, v[114:115]
	flat_load_ushort v115, v[116:117]
	s_waitcnt vmcnt(0) lgkmcnt(0)
	v_cmp_lt_i16_e64 s35, v114, v115
	v_cndmask_b32_e64 v114, v82, v83, s35
	v_cndmask_b32_e64 v83, v83, v82, s35
	v_mov_b32_e32 v82, v114
	s_or_b32 exec_lo, exec_lo, s38
	s_and_saveexec_b32 s38, s91
	s_cbranch_execnz .LBB1044_1366
.LBB1044_887:
	s_or_b32 exec_lo, exec_lo, s38
	s_and_saveexec_b32 s38, s92
	s_cbranch_execz .LBB1044_1367
.LBB1044_888:
	v_bfe_i32 v114, v70, 0, 16
	v_bfe_i32 v116, v71, 0, 16
	v_ashrrev_i32_e32 v115, 31, v114
	v_ashrrev_i32_e32 v117, 31, v116
	v_lshlrev_b64 v[114:115], 1, v[114:115]
	v_lshlrev_b64 v[116:117], 1, v[116:117]
	v_add_co_u32 v114, s35, v6, v114
	v_add_co_ci_u32_e64 v115, null, v7, v115, s35
	v_add_co_u32 v116, s35, v6, v116
	v_add_co_ci_u32_e64 v117, null, v7, v117, s35
	s_clause 0x1
	flat_load_ushort v114, v[114:115]
	flat_load_ushort v115, v[116:117]
	s_waitcnt vmcnt(0) lgkmcnt(0)
	v_cmp_lt_i16_e64 s35, v114, v115
	v_cndmask_b32_e64 v114, v70, v71, s35
	v_cndmask_b32_e64 v71, v71, v70, s35
	v_mov_b32_e32 v70, v114
	s_or_b32 exec_lo, exec_lo, s38
	s_and_saveexec_b32 s38, s93
	s_cbranch_execnz .LBB1044_1368
.LBB1044_889:
	s_or_b32 exec_lo, exec_lo, s38
	s_and_saveexec_b32 s38, s94
	s_cbranch_execz .LBB1044_1369
.LBB1044_890:
	v_bfe_i32 v114, v66, 0, 16
	v_bfe_i32 v116, v67, 0, 16
	v_ashrrev_i32_e32 v115, 31, v114
	v_ashrrev_i32_e32 v117, 31, v116
	v_lshlrev_b64 v[114:115], 1, v[114:115]
	v_lshlrev_b64 v[116:117], 1, v[116:117]
	v_add_co_u32 v114, s35, v6, v114
	v_add_co_ci_u32_e64 v115, null, v7, v115, s35
	v_add_co_u32 v116, s35, v6, v116
	v_add_co_ci_u32_e64 v117, null, v7, v117, s35
	s_clause 0x1
	flat_load_ushort v114, v[114:115]
	flat_load_ushort v115, v[116:117]
	s_waitcnt vmcnt(0) lgkmcnt(0)
	v_cmp_lt_i16_e64 s35, v114, v115
	v_cndmask_b32_e64 v114, v66, v67, s35
	v_cndmask_b32_e64 v67, v67, v66, s35
	v_mov_b32_e32 v66, v114
	s_or_b32 exec_lo, exec_lo, s38
	s_and_saveexec_b32 s38, s95
	s_cbranch_execnz .LBB1044_1370
.LBB1044_891:
	s_or_b32 exec_lo, exec_lo, s38
	s_and_saveexec_b32 s38, vcc_hi
	s_cbranch_execz .LBB1044_1371
.LBB1044_892:
	v_bfe_i32 v114, v53, 0, 16
	v_bfe_i32 v116, v54, 0, 16
	v_ashrrev_i32_e32 v115, 31, v114
	v_ashrrev_i32_e32 v117, 31, v116
	v_lshlrev_b64 v[114:115], 1, v[114:115]
	v_lshlrev_b64 v[116:117], 1, v[116:117]
	v_add_co_u32 v114, s35, v6, v114
	v_add_co_ci_u32_e64 v115, null, v7, v115, s35
	v_add_co_u32 v116, s35, v6, v116
	v_add_co_ci_u32_e64 v117, null, v7, v117, s35
	s_clause 0x1
	flat_load_ushort v114, v[114:115]
	flat_load_ushort v115, v[116:117]
	s_waitcnt vmcnt(0) lgkmcnt(0)
	v_cmp_lt_i16_e64 s35, v114, v115
	v_cndmask_b32_e64 v114, v53, v54, s35
	v_cndmask_b32_e64 v54, v54, v53, s35
	v_mov_b32_e32 v53, v114
	s_or_b32 exec_lo, exec_lo, s38
	s_and_saveexec_b32 s38, s30
	s_cbranch_execnz .LBB1044_1372
.LBB1044_893:
	s_or_b32 exec_lo, exec_lo, s38
	s_and_saveexec_b32 s38, s31
	s_cbranch_execz .LBB1044_1373
.LBB1044_894:
	v_bfe_i32 v114, v50, 0, 16
	v_bfe_i32 v116, v51, 0, 16
	v_ashrrev_i32_e32 v115, 31, v114
	v_ashrrev_i32_e32 v117, 31, v116
	v_lshlrev_b64 v[114:115], 1, v[114:115]
	v_lshlrev_b64 v[116:117], 1, v[116:117]
	v_add_co_u32 v114, s35, v6, v114
	v_add_co_ci_u32_e64 v115, null, v7, v115, s35
	v_add_co_u32 v116, s35, v6, v116
	v_add_co_ci_u32_e64 v117, null, v7, v117, s35
	s_clause 0x1
	flat_load_ushort v114, v[114:115]
	flat_load_ushort v115, v[116:117]
	s_waitcnt vmcnt(0) lgkmcnt(0)
	v_cmp_lt_i16_e64 s35, v114, v115
	v_cndmask_b32_e64 v114, v51, v50, s35
	v_cndmask_b32_e64 v50, v50, v51, s35
	v_mov_b32_e32 v51, v114
	s_or_b32 exec_lo, exec_lo, s38
	s_and_saveexec_b32 s38, s34
	s_cbranch_execnz .LBB1044_1374
.LBB1044_895:
	s_or_b32 exec_lo, exec_lo, s38
	s_and_saveexec_b32 s38, s8
	s_cbranch_execz .LBB1044_1375
.LBB1044_896:
	v_bfe_i32 v114, v102, 0, 16
	v_bfe_i32 v116, v99, 0, 16
	v_ashrrev_i32_e32 v115, 31, v114
	v_ashrrev_i32_e32 v117, 31, v116
	v_lshlrev_b64 v[114:115], 1, v[114:115]
	v_lshlrev_b64 v[116:117], 1, v[116:117]
	v_add_co_u32 v114, s35, v6, v114
	v_add_co_ci_u32_e64 v115, null, v7, v115, s35
	v_add_co_u32 v116, s35, v6, v116
	v_add_co_ci_u32_e64 v117, null, v7, v117, s35
	s_clause 0x1
	flat_load_ushort v114, v[114:115]
	flat_load_ushort v115, v[116:117]
	s_waitcnt vmcnt(0) lgkmcnt(0)
	v_cmp_lt_i16_e64 s35, v114, v115
	v_cndmask_b32_e64 v114, v102, v99, s35
	v_cndmask_b32_e64 v99, v99, v102, s35
	v_mov_b32_e32 v102, v114
	s_or_b32 exec_lo, exec_lo, s38
	s_and_saveexec_b32 s38, s9
	s_cbranch_execnz .LBB1044_1376
.LBB1044_897:
	s_or_b32 exec_lo, exec_lo, s38
	s_and_saveexec_b32 s38, s12
	s_cbranch_execz .LBB1044_1377
.LBB1044_898:
	v_bfe_i32 v114, v97, 0, 16
	v_bfe_i32 v116, v98, 0, 16
	v_ashrrev_i32_e32 v115, 31, v114
	v_ashrrev_i32_e32 v117, 31, v116
	v_lshlrev_b64 v[114:115], 1, v[114:115]
	v_lshlrev_b64 v[116:117], 1, v[116:117]
	v_add_co_u32 v114, s35, v6, v114
	v_add_co_ci_u32_e64 v115, null, v7, v115, s35
	v_add_co_u32 v116, s35, v6, v116
	v_add_co_ci_u32_e64 v117, null, v7, v117, s35
	s_clause 0x1
	flat_load_ushort v114, v[114:115]
	flat_load_ushort v115, v[116:117]
	s_waitcnt vmcnt(0) lgkmcnt(0)
	v_cmp_lt_i16_e64 s35, v114, v115
	v_cndmask_b32_e64 v114, v97, v98, s35
	v_cndmask_b32_e64 v98, v98, v97, s35
	v_mov_b32_e32 v97, v114
	s_or_b32 exec_lo, exec_lo, s38
	s_and_saveexec_b32 s38, s13
	s_cbranch_execnz .LBB1044_1378
.LBB1044_899:
	s_or_b32 exec_lo, exec_lo, s38
	s_and_saveexec_b32 s38, s57
	s_cbranch_execz .LBB1044_1379
.LBB1044_900:
	v_bfe_i32 v114, v85, 0, 16
	v_bfe_i32 v116, v86, 0, 16
	v_ashrrev_i32_e32 v115, 31, v114
	v_ashrrev_i32_e32 v117, 31, v116
	v_lshlrev_b64 v[114:115], 1, v[114:115]
	v_lshlrev_b64 v[116:117], 1, v[116:117]
	v_add_co_u32 v114, s35, v6, v114
	v_add_co_ci_u32_e64 v115, null, v7, v115, s35
	v_add_co_u32 v116, s35, v6, v116
	v_add_co_ci_u32_e64 v117, null, v7, v117, s35
	s_clause 0x1
	flat_load_ushort v114, v[114:115]
	flat_load_ushort v115, v[116:117]
	s_waitcnt vmcnt(0) lgkmcnt(0)
	v_cmp_lt_i16_e64 s35, v114, v115
	v_cndmask_b32_e64 v114, v85, v86, s35
	v_cndmask_b32_e64 v86, v86, v85, s35
	v_mov_b32_e32 v85, v114
	s_or_b32 exec_lo, exec_lo, s38
	s_and_saveexec_b32 s38, s58
	s_cbranch_execnz .LBB1044_1380
.LBB1044_901:
	s_or_b32 exec_lo, exec_lo, s38
	s_and_saveexec_b32 s38, s59
	s_cbranch_execz .LBB1044_1381
.LBB1044_902:
	v_bfe_i32 v114, v81, 0, 16
	v_bfe_i32 v116, v82, 0, 16
	v_ashrrev_i32_e32 v115, 31, v114
	v_ashrrev_i32_e32 v117, 31, v116
	v_lshlrev_b64 v[114:115], 1, v[114:115]
	v_lshlrev_b64 v[116:117], 1, v[116:117]
	v_add_co_u32 v114, s35, v6, v114
	v_add_co_ci_u32_e64 v115, null, v7, v115, s35
	v_add_co_u32 v116, s35, v6, v116
	v_add_co_ci_u32_e64 v117, null, v7, v117, s35
	s_clause 0x1
	flat_load_ushort v114, v[114:115]
	flat_load_ushort v115, v[116:117]
	s_waitcnt vmcnt(0) lgkmcnt(0)
	v_cmp_lt_i16_e64 s35, v114, v115
	v_cndmask_b32_e64 v114, v81, v82, s35
	v_cndmask_b32_e64 v82, v82, v81, s35
	v_mov_b32_e32 v81, v114
	s_or_b32 exec_lo, exec_lo, s38
	s_and_saveexec_b32 s38, s60
	s_cbranch_execnz .LBB1044_1382
.LBB1044_903:
	s_or_b32 exec_lo, exec_lo, s38
	s_and_saveexec_b32 s38, s61
	s_cbranch_execz .LBB1044_1383
.LBB1044_904:
	v_bfe_i32 v114, v69, 0, 16
	v_bfe_i32 v116, v70, 0, 16
	v_ashrrev_i32_e32 v115, 31, v114
	v_ashrrev_i32_e32 v117, 31, v116
	v_lshlrev_b64 v[114:115], 1, v[114:115]
	v_lshlrev_b64 v[116:117], 1, v[116:117]
	v_add_co_u32 v114, s35, v6, v114
	v_add_co_ci_u32_e64 v115, null, v7, v115, s35
	v_add_co_u32 v116, s35, v6, v116
	v_add_co_ci_u32_e64 v117, null, v7, v117, s35
	s_clause 0x1
	flat_load_ushort v114, v[114:115]
	flat_load_ushort v115, v[116:117]
	s_waitcnt vmcnt(0) lgkmcnt(0)
	v_cmp_lt_i16_e64 s35, v114, v115
	v_cndmask_b32_e64 v114, v69, v70, s35
	v_cndmask_b32_e64 v70, v70, v69, s35
	v_mov_b32_e32 v69, v114
	s_or_b32 exec_lo, exec_lo, s38
	s_and_saveexec_b32 s38, s62
	s_cbranch_execnz .LBB1044_1384
.LBB1044_905:
	s_or_b32 exec_lo, exec_lo, s38
	s_and_saveexec_b32 s38, s63
	s_cbranch_execz .LBB1044_1385
.LBB1044_906:
	v_bfe_i32 v114, v65, 0, 16
	v_bfe_i32 v116, v66, 0, 16
	v_ashrrev_i32_e32 v115, 31, v114
	v_ashrrev_i32_e32 v117, 31, v116
	v_lshlrev_b64 v[114:115], 1, v[114:115]
	v_lshlrev_b64 v[116:117], 1, v[116:117]
	v_add_co_u32 v114, s35, v6, v114
	v_add_co_ci_u32_e64 v115, null, v7, v115, s35
	v_add_co_u32 v116, s35, v6, v116
	v_add_co_ci_u32_e64 v117, null, v7, v117, s35
	s_clause 0x1
	flat_load_ushort v114, v[114:115]
	flat_load_ushort v115, v[116:117]
	s_waitcnt vmcnt(0) lgkmcnt(0)
	v_cmp_lt_i16_e64 s35, v114, v115
	v_cndmask_b32_e64 v114, v65, v66, s35
	v_cndmask_b32_e64 v66, v66, v65, s35
	v_mov_b32_e32 v65, v114
	s_or_b32 exec_lo, exec_lo, s38
	s_and_saveexec_b32 s38, s72
	s_cbranch_execnz .LBB1044_1386
.LBB1044_907:
	s_or_b32 exec_lo, exec_lo, s38
	s_and_saveexec_b32 s38, s73
	s_cbranch_execz .LBB1044_1387
.LBB1044_908:
	v_bfe_i32 v114, v64, 0, 16
	v_bfe_i32 v116, v53, 0, 16
	v_ashrrev_i32_e32 v115, 31, v114
	v_ashrrev_i32_e32 v117, 31, v116
	v_lshlrev_b64 v[114:115], 1, v[114:115]
	v_lshlrev_b64 v[116:117], 1, v[116:117]
	v_add_co_u32 v114, s35, v6, v114
	v_add_co_ci_u32_e64 v115, null, v7, v115, s35
	v_add_co_u32 v116, s35, v6, v116
	v_add_co_ci_u32_e64 v117, null, v7, v117, s35
	s_clause 0x1
	flat_load_ushort v114, v[114:115]
	flat_load_ushort v115, v[116:117]
	s_waitcnt vmcnt(0) lgkmcnt(0)
	v_cmp_lt_i16_e64 s35, v114, v115
	v_cndmask_b32_e64 v114, v64, v53, s35
	v_cndmask_b32_e64 v53, v53, v64, s35
	v_mov_b32_e32 v64, v114
	s_or_b32 exec_lo, exec_lo, s38
	s_and_saveexec_b32 s38, s74
	s_cbranch_execnz .LBB1044_1388
.LBB1044_909:
	s_or_b32 exec_lo, exec_lo, s38
	s_and_saveexec_b32 s38, s75
	s_cbranch_execz .LBB1044_1389
.LBB1044_910:
	v_bfe_i32 v114, v49, 0, 16
	v_bfe_i32 v116, v50, 0, 16
	v_ashrrev_i32_e32 v115, 31, v114
	v_ashrrev_i32_e32 v117, 31, v116
	v_lshlrev_b64 v[114:115], 1, v[114:115]
	v_lshlrev_b64 v[116:117], 1, v[116:117]
	v_add_co_u32 v114, s35, v6, v114
	v_add_co_ci_u32_e64 v115, null, v7, v115, s35
	v_add_co_u32 v116, s35, v6, v116
	v_add_co_ci_u32_e64 v117, null, v7, v117, s35
	s_clause 0x1
	flat_load_ushort v114, v[114:115]
	flat_load_ushort v115, v[116:117]
	s_waitcnt vmcnt(0) lgkmcnt(0)
	v_cmp_lt_i16_e64 s35, v114, v115
	v_cndmask_b32_e64 v114, v50, v49, s35
	v_cndmask_b32_e64 v49, v49, v50, s35
	v_mov_b32_e32 v50, v114
	s_or_b32 exec_lo, exec_lo, s38
	s_and_saveexec_b32 s38, s76
	s_cbranch_execnz .LBB1044_1390
.LBB1044_911:
	s_or_b32 exec_lo, exec_lo, s38
	s_and_saveexec_b32 s38, s77
	s_cbranch_execz .LBB1044_1391
.LBB1044_912:
	v_bfe_i32 v114, v101, 0, 16
	v_bfe_i32 v116, v102, 0, 16
	v_ashrrev_i32_e32 v115, 31, v114
	v_ashrrev_i32_e32 v117, 31, v116
	v_lshlrev_b64 v[114:115], 1, v[114:115]
	v_lshlrev_b64 v[116:117], 1, v[116:117]
	v_add_co_u32 v114, s35, v6, v114
	v_add_co_ci_u32_e64 v115, null, v7, v115, s35
	v_add_co_u32 v116, s35, v6, v116
	v_add_co_ci_u32_e64 v117, null, v7, v117, s35
	s_clause 0x1
	flat_load_ushort v114, v[114:115]
	flat_load_ushort v115, v[116:117]
	s_waitcnt vmcnt(0) lgkmcnt(0)
	v_cmp_lt_i16_e64 s35, v114, v115
	v_cndmask_b32_e64 v114, v101, v102, s35
	v_cndmask_b32_e64 v102, v102, v101, s35
	v_mov_b32_e32 v101, v114
	s_or_b32 exec_lo, exec_lo, s38
	s_and_saveexec_b32 s38, s78
	s_cbranch_execnz .LBB1044_1392
.LBB1044_913:
	s_or_b32 exec_lo, exec_lo, s38
	s_and_saveexec_b32 s38, s79
	s_cbranch_execz .LBB1044_1393
.LBB1044_914:
	v_bfe_i32 v114, v96, 0, 16
	v_bfe_i32 v116, v97, 0, 16
	v_ashrrev_i32_e32 v115, 31, v114
	v_ashrrev_i32_e32 v117, 31, v116
	v_lshlrev_b64 v[114:115], 1, v[114:115]
	v_lshlrev_b64 v[116:117], 1, v[116:117]
	v_add_co_u32 v114, s35, v6, v114
	v_add_co_ci_u32_e64 v115, null, v7, v115, s35
	v_add_co_u32 v116, s35, v6, v116
	v_add_co_ci_u32_e64 v117, null, v7, v117, s35
	s_clause 0x1
	flat_load_ushort v114, v[114:115]
	flat_load_ushort v115, v[116:117]
	s_waitcnt vmcnt(0) lgkmcnt(0)
	v_cmp_lt_i16_e64 s35, v114, v115
	v_cndmask_b32_e64 v114, v96, v97, s35
	v_cndmask_b32_e64 v97, v97, v96, s35
	v_mov_b32_e32 v96, v114
	s_or_b32 exec_lo, exec_lo, s38
	s_and_saveexec_b32 s38, s88
	s_cbranch_execnz .LBB1044_1394
.LBB1044_915:
	s_or_b32 exec_lo, exec_lo, s38
	s_and_saveexec_b32 s38, s89
	s_cbranch_execz .LBB1044_1395
.LBB1044_916:
	v_bfe_i32 v114, v84, 0, 16
	v_bfe_i32 v116, v85, 0, 16
	v_ashrrev_i32_e32 v115, 31, v114
	v_ashrrev_i32_e32 v117, 31, v116
	v_lshlrev_b64 v[114:115], 1, v[114:115]
	v_lshlrev_b64 v[116:117], 1, v[116:117]
	v_add_co_u32 v114, s35, v6, v114
	v_add_co_ci_u32_e64 v115, null, v7, v115, s35
	v_add_co_u32 v116, s35, v6, v116
	v_add_co_ci_u32_e64 v117, null, v7, v117, s35
	s_clause 0x1
	flat_load_ushort v114, v[114:115]
	flat_load_ushort v115, v[116:117]
	s_waitcnt vmcnt(0) lgkmcnt(0)
	v_cmp_lt_i16_e64 s35, v114, v115
	v_cndmask_b32_e64 v114, v84, v85, s35
	v_cndmask_b32_e64 v85, v85, v84, s35
	v_mov_b32_e32 v84, v114
	s_or_b32 exec_lo, exec_lo, s38
	s_and_saveexec_b32 s38, s90
	s_cbranch_execnz .LBB1044_1396
.LBB1044_917:
	s_or_b32 exec_lo, exec_lo, s38
	s_and_saveexec_b32 s38, s91
	s_cbranch_execz .LBB1044_1397
.LBB1044_918:
	v_bfe_i32 v114, v80, 0, 16
	v_bfe_i32 v116, v81, 0, 16
	v_ashrrev_i32_e32 v115, 31, v114
	v_ashrrev_i32_e32 v117, 31, v116
	v_lshlrev_b64 v[114:115], 1, v[114:115]
	v_lshlrev_b64 v[116:117], 1, v[116:117]
	v_add_co_u32 v114, s35, v6, v114
	v_add_co_ci_u32_e64 v115, null, v7, v115, s35
	v_add_co_u32 v116, s35, v6, v116
	v_add_co_ci_u32_e64 v117, null, v7, v117, s35
	s_clause 0x1
	flat_load_ushort v114, v[114:115]
	flat_load_ushort v115, v[116:117]
	s_waitcnt vmcnt(0) lgkmcnt(0)
	v_cmp_lt_i16_e64 s35, v114, v115
	v_cndmask_b32_e64 v114, v80, v81, s35
	v_cndmask_b32_e64 v81, v81, v80, s35
	v_mov_b32_e32 v80, v114
	s_or_b32 exec_lo, exec_lo, s38
	s_and_saveexec_b32 s38, s92
	s_cbranch_execnz .LBB1044_1398
.LBB1044_919:
	s_or_b32 exec_lo, exec_lo, s38
	s_and_saveexec_b32 s38, s93
	s_cbranch_execz .LBB1044_1399
.LBB1044_920:
	v_bfe_i32 v114, v68, 0, 16
	v_bfe_i32 v116, v69, 0, 16
	v_ashrrev_i32_e32 v115, 31, v114
	v_ashrrev_i32_e32 v117, 31, v116
	v_lshlrev_b64 v[114:115], 1, v[114:115]
	v_lshlrev_b64 v[116:117], 1, v[116:117]
	v_add_co_u32 v114, s35, v6, v114
	v_add_co_ci_u32_e64 v115, null, v7, v115, s35
	v_add_co_u32 v116, s35, v6, v116
	v_add_co_ci_u32_e64 v117, null, v7, v117, s35
	s_clause 0x1
	flat_load_ushort v114, v[114:115]
	flat_load_ushort v115, v[116:117]
	s_waitcnt vmcnt(0) lgkmcnt(0)
	v_cmp_lt_i16_e64 s35, v114, v115
	v_cndmask_b32_e64 v114, v68, v69, s35
	v_cndmask_b32_e64 v69, v69, v68, s35
	v_mov_b32_e32 v68, v114
	s_or_b32 exec_lo, exec_lo, s38
	s_and_saveexec_b32 s38, s94
	s_cbranch_execnz .LBB1044_1400
.LBB1044_921:
	s_or_b32 exec_lo, exec_lo, s38
	s_and_saveexec_b32 s38, s95
	s_cbranch_execz .LBB1044_1401
.LBB1044_922:
	v_bfe_i32 v114, v55, 0, 16
	v_bfe_i32 v116, v65, 0, 16
	v_ashrrev_i32_e32 v115, 31, v114
	v_ashrrev_i32_e32 v117, 31, v116
	v_lshlrev_b64 v[114:115], 1, v[114:115]
	v_lshlrev_b64 v[116:117], 1, v[116:117]
	v_add_co_u32 v114, s35, v6, v114
	v_add_co_ci_u32_e64 v115, null, v7, v115, s35
	v_add_co_u32 v116, s35, v6, v116
	v_add_co_ci_u32_e64 v117, null, v7, v117, s35
	s_clause 0x1
	flat_load_ushort v114, v[114:115]
	flat_load_ushort v115, v[116:117]
	s_waitcnt vmcnt(0) lgkmcnt(0)
	v_cmp_lt_i16_e64 s35, v114, v115
	v_cndmask_b32_e64 v114, v55, v65, s35
	v_cndmask_b32_e64 v65, v65, v55, s35
	v_mov_b32_e32 v55, v114
	s_or_b32 exec_lo, exec_lo, s38
	s_and_saveexec_b32 s38, vcc_hi
	s_cbranch_execnz .LBB1044_1402
.LBB1044_923:
	s_or_b32 exec_lo, exec_lo, s38
	s_and_saveexec_b32 s38, s30
	s_cbranch_execz .LBB1044_1403
.LBB1044_924:
	v_bfe_i32 v114, v52, 0, 16
	v_bfe_i32 v116, v64, 0, 16
	v_ashrrev_i32_e32 v115, 31, v114
	v_ashrrev_i32_e32 v117, 31, v116
	v_lshlrev_b64 v[114:115], 1, v[114:115]
	v_lshlrev_b64 v[116:117], 1, v[116:117]
	v_add_co_u32 v114, s35, v6, v114
	v_add_co_ci_u32_e64 v115, null, v7, v115, s35
	v_add_co_u32 v116, s35, v6, v116
	v_add_co_ci_u32_e64 v117, null, v7, v117, s35
	s_clause 0x1
	flat_load_ushort v114, v[114:115]
	flat_load_ushort v115, v[116:117]
	s_waitcnt vmcnt(0) lgkmcnt(0)
	v_cmp_lt_i16_e64 s35, v114, v115
	v_cndmask_b32_e64 v114, v64, v52, s35
	v_cndmask_b32_e64 v52, v52, v64, s35
	v_mov_b32_e32 v64, v114
	s_or_b32 exec_lo, exec_lo, s38
	s_and_saveexec_b32 s38, s31
	s_cbranch_execnz .LBB1044_1404
.LBB1044_925:
	s_or_b32 exec_lo, exec_lo, s38
	s_and_saveexec_b32 s38, s34
	s_cbranch_execz .LBB1044_1405
.LBB1044_926:
	v_bfe_i32 v114, v103, 0, 16
	v_bfe_i32 v116, v49, 0, 16
	v_ashrrev_i32_e32 v115, 31, v114
	v_ashrrev_i32_e32 v117, 31, v116
	v_lshlrev_b64 v[114:115], 1, v[114:115]
	v_lshlrev_b64 v[116:117], 1, v[116:117]
	v_add_co_u32 v114, s35, v6, v114
	v_add_co_ci_u32_e64 v115, null, v7, v115, s35
	v_add_co_u32 v116, s35, v6, v116
	v_add_co_ci_u32_e64 v117, null, v7, v117, s35
	s_clause 0x1
	flat_load_ushort v114, v[114:115]
	flat_load_ushort v115, v[116:117]
	s_waitcnt vmcnt(0) lgkmcnt(0)
	v_cmp_lt_i16_e64 s35, v114, v115
	v_cndmask_b32_e64 v114, v49, v103, s35
	v_cndmask_b32_e64 v103, v103, v49, s35
	v_mov_b32_e32 v49, v114
	s_or_b32 exec_lo, exec_lo, s38
	s_and_saveexec_b32 s38, s8
	s_cbranch_execnz .LBB1044_1406
.LBB1044_927:
	s_or_b32 exec_lo, exec_lo, s38
	s_and_saveexec_b32 s38, s9
	s_cbranch_execz .LBB1044_1407
.LBB1044_928:
	v_bfe_i32 v114, v100, 0, 16
	v_bfe_i32 v116, v101, 0, 16
	v_ashrrev_i32_e32 v115, 31, v114
	v_ashrrev_i32_e32 v117, 31, v116
	v_lshlrev_b64 v[114:115], 1, v[114:115]
	v_lshlrev_b64 v[116:117], 1, v[116:117]
	v_add_co_u32 v114, s35, v6, v114
	v_add_co_ci_u32_e64 v115, null, v7, v115, s35
	v_add_co_u32 v116, s35, v6, v116
	v_add_co_ci_u32_e64 v117, null, v7, v117, s35
	s_clause 0x1
	flat_load_ushort v114, v[114:115]
	flat_load_ushort v115, v[116:117]
	s_waitcnt vmcnt(0) lgkmcnt(0)
	v_cmp_lt_i16_e64 s35, v114, v115
	v_cndmask_b32_e64 v114, v100, v101, s35
	v_cndmask_b32_e64 v101, v101, v100, s35
	v_mov_b32_e32 v100, v114
	s_or_b32 exec_lo, exec_lo, s38
	s_and_saveexec_b32 s38, s12
	s_cbranch_execnz .LBB1044_1408
.LBB1044_929:
	s_or_b32 exec_lo, exec_lo, s38
	s_and_saveexec_b32 s38, s13
	s_cbranch_execz .LBB1044_1409
.LBB1044_930:
	v_bfe_i32 v114, v87, 0, 16
	v_bfe_i32 v116, v96, 0, 16
	v_ashrrev_i32_e32 v115, 31, v114
	v_ashrrev_i32_e32 v117, 31, v116
	v_lshlrev_b64 v[114:115], 1, v[114:115]
	v_lshlrev_b64 v[116:117], 1, v[116:117]
	v_add_co_u32 v114, s35, v6, v114
	v_add_co_ci_u32_e64 v115, null, v7, v115, s35
	v_add_co_u32 v116, s35, v6, v116
	v_add_co_ci_u32_e64 v117, null, v7, v117, s35
	s_clause 0x1
	flat_load_ushort v114, v[114:115]
	flat_load_ushort v115, v[116:117]
	s_waitcnt vmcnt(0) lgkmcnt(0)
	v_cmp_lt_i16_e64 s35, v114, v115
	v_cndmask_b32_e64 v114, v87, v96, s35
	v_cndmask_b32_e64 v96, v96, v87, s35
	v_mov_b32_e32 v87, v114
	s_or_b32 exec_lo, exec_lo, s38
	s_and_saveexec_b32 s38, s57
	s_cbranch_execnz .LBB1044_1410
.LBB1044_931:
	s_or_b32 exec_lo, exec_lo, s38
	s_and_saveexec_b32 s38, s58
	s_cbranch_execz .LBB1044_1411
.LBB1044_932:
	v_bfe_i32 v114, v83, 0, 16
	v_bfe_i32 v116, v84, 0, 16
	v_ashrrev_i32_e32 v115, 31, v114
	v_ashrrev_i32_e32 v117, 31, v116
	v_lshlrev_b64 v[114:115], 1, v[114:115]
	v_lshlrev_b64 v[116:117], 1, v[116:117]
	v_add_co_u32 v114, s35, v6, v114
	v_add_co_ci_u32_e64 v115, null, v7, v115, s35
	v_add_co_u32 v116, s35, v6, v116
	v_add_co_ci_u32_e64 v117, null, v7, v117, s35
	s_clause 0x1
	flat_load_ushort v114, v[114:115]
	flat_load_ushort v115, v[116:117]
	s_waitcnt vmcnt(0) lgkmcnt(0)
	v_cmp_lt_i16_e64 s35, v114, v115
	v_cndmask_b32_e64 v114, v83, v84, s35
	v_cndmask_b32_e64 v84, v84, v83, s35
	v_mov_b32_e32 v83, v114
	s_or_b32 exec_lo, exec_lo, s38
	s_and_saveexec_b32 s38, s59
	s_cbranch_execnz .LBB1044_1412
.LBB1044_933:
	s_or_b32 exec_lo, exec_lo, s38
	s_and_saveexec_b32 s38, s60
	s_cbranch_execz .LBB1044_1413
.LBB1044_934:
	v_bfe_i32 v114, v71, 0, 16
	v_bfe_i32 v116, v80, 0, 16
	v_ashrrev_i32_e32 v115, 31, v114
	v_ashrrev_i32_e32 v117, 31, v116
	v_lshlrev_b64 v[114:115], 1, v[114:115]
	v_lshlrev_b64 v[116:117], 1, v[116:117]
	v_add_co_u32 v114, s35, v6, v114
	v_add_co_ci_u32_e64 v115, null, v7, v115, s35
	v_add_co_u32 v116, s35, v6, v116
	v_add_co_ci_u32_e64 v117, null, v7, v117, s35
	s_clause 0x1
	flat_load_ushort v114, v[114:115]
	flat_load_ushort v115, v[116:117]
	s_waitcnt vmcnt(0) lgkmcnt(0)
	v_cmp_lt_i16_e64 s35, v114, v115
	v_cndmask_b32_e64 v114, v71, v80, s35
	v_cndmask_b32_e64 v80, v80, v71, s35
	v_mov_b32_e32 v71, v114
	s_or_b32 exec_lo, exec_lo, s38
	s_and_saveexec_b32 s38, s61
	s_cbranch_execnz .LBB1044_1414
.LBB1044_935:
	s_or_b32 exec_lo, exec_lo, s38
	s_and_saveexec_b32 s38, s62
	s_cbranch_execz .LBB1044_1415
.LBB1044_936:
	v_bfe_i32 v114, v67, 0, 16
	v_bfe_i32 v116, v68, 0, 16
	v_ashrrev_i32_e32 v115, 31, v114
	v_ashrrev_i32_e32 v117, 31, v116
	v_lshlrev_b64 v[114:115], 1, v[114:115]
	v_lshlrev_b64 v[116:117], 1, v[116:117]
	v_add_co_u32 v114, s35, v6, v114
	v_add_co_ci_u32_e64 v115, null, v7, v115, s35
	v_add_co_u32 v116, s35, v6, v116
	v_add_co_ci_u32_e64 v117, null, v7, v117, s35
	s_clause 0x1
	flat_load_ushort v114, v[114:115]
	flat_load_ushort v115, v[116:117]
	s_waitcnt vmcnt(0) lgkmcnt(0)
	v_cmp_lt_i16_e64 s35, v114, v115
	v_cndmask_b32_e64 v114, v67, v68, s35
	v_cndmask_b32_e64 v68, v68, v67, s35
	v_mov_b32_e32 v67, v114
	s_or_b32 exec_lo, exec_lo, s38
	s_and_saveexec_b32 s38, s63
	s_cbranch_execnz .LBB1044_1416
.LBB1044_937:
	s_or_b32 exec_lo, exec_lo, s38
	s_and_saveexec_b32 s38, s72
	s_cbranch_execz .LBB1044_1417
.LBB1044_938:
	v_bfe_i32 v114, v54, 0, 16
	v_bfe_i32 v116, v55, 0, 16
	v_ashrrev_i32_e32 v115, 31, v114
	v_ashrrev_i32_e32 v117, 31, v116
	v_lshlrev_b64 v[114:115], 1, v[114:115]
	v_lshlrev_b64 v[116:117], 1, v[116:117]
	v_add_co_u32 v114, s35, v6, v114
	v_add_co_ci_u32_e64 v115, null, v7, v115, s35
	v_add_co_u32 v116, s35, v6, v116
	v_add_co_ci_u32_e64 v117, null, v7, v117, s35
	s_clause 0x1
	flat_load_ushort v114, v[114:115]
	flat_load_ushort v115, v[116:117]
	s_waitcnt vmcnt(0) lgkmcnt(0)
	v_cmp_lt_i16_e64 s35, v114, v115
	v_cndmask_b32_e64 v114, v54, v55, s35
	v_cndmask_b32_e64 v55, v55, v54, s35
	v_mov_b32_e32 v54, v114
	s_or_b32 exec_lo, exec_lo, s38
	s_and_saveexec_b32 s38, s73
	s_cbranch_execnz .LBB1044_1418
.LBB1044_939:
	s_or_b32 exec_lo, exec_lo, s38
	s_and_saveexec_b32 s38, s74
	s_cbranch_execz .LBB1044_1419
.LBB1044_940:
	v_bfe_i32 v114, v51, 0, 16
	v_bfe_i32 v116, v52, 0, 16
	v_ashrrev_i32_e32 v115, 31, v114
	v_ashrrev_i32_e32 v117, 31, v116
	v_lshlrev_b64 v[114:115], 1, v[114:115]
	v_lshlrev_b64 v[116:117], 1, v[116:117]
	v_add_co_u32 v114, s35, v6, v114
	v_add_co_ci_u32_e64 v115, null, v7, v115, s35
	v_add_co_u32 v116, s35, v6, v116
	v_add_co_ci_u32_e64 v117, null, v7, v117, s35
	s_clause 0x1
	flat_load_ushort v114, v[114:115]
	flat_load_ushort v115, v[116:117]
	s_waitcnt vmcnt(0) lgkmcnt(0)
	v_cmp_lt_i16_e64 s35, v114, v115
	v_cndmask_b32_e64 v114, v52, v51, s35
	v_cndmask_b32_e64 v51, v51, v52, s35
	v_mov_b32_e32 v52, v114
	s_or_b32 exec_lo, exec_lo, s38
	s_and_saveexec_b32 s38, s75
	s_cbranch_execnz .LBB1044_1420
.LBB1044_941:
	s_or_b32 exec_lo, exec_lo, s38
	s_and_saveexec_b32 s38, s76
	s_cbranch_execz .LBB1044_1421
.LBB1044_942:
	v_bfe_i32 v114, v48, 0, 16
	v_bfe_i32 v116, v103, 0, 16
	v_ashrrev_i32_e32 v115, 31, v114
	v_ashrrev_i32_e32 v117, 31, v116
	v_lshlrev_b64 v[114:115], 1, v[114:115]
	v_lshlrev_b64 v[116:117], 1, v[116:117]
	v_add_co_u32 v114, s35, v6, v114
	v_add_co_ci_u32_e64 v115, null, v7, v115, s35
	v_add_co_u32 v116, s35, v6, v116
	v_add_co_ci_u32_e64 v117, null, v7, v117, s35
	s_clause 0x1
	flat_load_ushort v114, v[114:115]
	flat_load_ushort v115, v[116:117]
	s_waitcnt vmcnt(0) lgkmcnt(0)
	v_cmp_lt_i16_e64 s35, v114, v115
	v_cndmask_b32_e64 v114, v103, v48, s35
	v_cndmask_b32_e64 v48, v48, v103, s35
	v_mov_b32_e32 v103, v114
	s_or_b32 exec_lo, exec_lo, s38
	s_and_saveexec_b32 s38, s77
	s_cbranch_execnz .LBB1044_1422
.LBB1044_943:
	s_or_b32 exec_lo, exec_lo, s38
	s_and_saveexec_b32 s38, s78
	s_cbranch_execz .LBB1044_1423
.LBB1044_944:
	v_bfe_i32 v114, v98, 0, 16
	v_bfe_i32 v116, v100, 0, 16
	v_ashrrev_i32_e32 v115, 31, v114
	v_ashrrev_i32_e32 v117, 31, v116
	v_lshlrev_b64 v[114:115], 1, v[114:115]
	v_lshlrev_b64 v[116:117], 1, v[116:117]
	v_add_co_u32 v114, s35, v6, v114
	v_add_co_ci_u32_e64 v115, null, v7, v115, s35
	v_add_co_u32 v116, s35, v6, v116
	v_add_co_ci_u32_e64 v117, null, v7, v117, s35
	s_clause 0x1
	flat_load_ushort v114, v[114:115]
	flat_load_ushort v115, v[116:117]
	s_waitcnt vmcnt(0) lgkmcnt(0)
	v_cmp_lt_i16_e64 s35, v114, v115
	v_cndmask_b32_e64 v114, v98, v100, s35
	v_cndmask_b32_e64 v100, v100, v98, s35
	v_mov_b32_e32 v98, v114
	s_or_b32 exec_lo, exec_lo, s38
	s_and_saveexec_b32 s38, s79
	s_cbranch_execnz .LBB1044_1424
.LBB1044_945:
	s_or_b32 exec_lo, exec_lo, s38
	s_and_saveexec_b32 s38, s88
	s_cbranch_execz .LBB1044_1425
.LBB1044_946:
	v_bfe_i32 v114, v86, 0, 16
	v_bfe_i32 v116, v87, 0, 16
	v_ashrrev_i32_e32 v115, 31, v114
	v_ashrrev_i32_e32 v117, 31, v116
	v_lshlrev_b64 v[114:115], 1, v[114:115]
	v_lshlrev_b64 v[116:117], 1, v[116:117]
	v_add_co_u32 v114, s35, v6, v114
	v_add_co_ci_u32_e64 v115, null, v7, v115, s35
	v_add_co_u32 v116, s35, v6, v116
	v_add_co_ci_u32_e64 v117, null, v7, v117, s35
	s_clause 0x1
	flat_load_ushort v114, v[114:115]
	flat_load_ushort v115, v[116:117]
	s_waitcnt vmcnt(0) lgkmcnt(0)
	v_cmp_lt_i16_e64 s35, v114, v115
	v_cndmask_b32_e64 v114, v86, v87, s35
	v_cndmask_b32_e64 v87, v87, v86, s35
	v_mov_b32_e32 v86, v114
	s_or_b32 exec_lo, exec_lo, s38
	s_and_saveexec_b32 s38, s89
	s_cbranch_execnz .LBB1044_1426
.LBB1044_947:
	s_or_b32 exec_lo, exec_lo, s38
	s_and_saveexec_b32 s38, s90
	s_cbranch_execz .LBB1044_1427
.LBB1044_948:
	v_bfe_i32 v114, v82, 0, 16
	v_bfe_i32 v116, v83, 0, 16
	v_ashrrev_i32_e32 v115, 31, v114
	v_ashrrev_i32_e32 v117, 31, v116
	v_lshlrev_b64 v[114:115], 1, v[114:115]
	v_lshlrev_b64 v[116:117], 1, v[116:117]
	v_add_co_u32 v114, s35, v6, v114
	v_add_co_ci_u32_e64 v115, null, v7, v115, s35
	v_add_co_u32 v116, s35, v6, v116
	v_add_co_ci_u32_e64 v117, null, v7, v117, s35
	s_clause 0x1
	flat_load_ushort v114, v[114:115]
	flat_load_ushort v115, v[116:117]
	s_waitcnt vmcnt(0) lgkmcnt(0)
	v_cmp_lt_i16_e64 s35, v114, v115
	v_cndmask_b32_e64 v114, v82, v83, s35
	v_cndmask_b32_e64 v83, v83, v82, s35
	v_mov_b32_e32 v82, v114
	s_or_b32 exec_lo, exec_lo, s38
	s_and_saveexec_b32 s38, s91
	s_cbranch_execnz .LBB1044_1428
.LBB1044_949:
	s_or_b32 exec_lo, exec_lo, s38
	s_and_saveexec_b32 s38, s92
	s_cbranch_execz .LBB1044_1429
.LBB1044_950:
	v_bfe_i32 v114, v70, 0, 16
	v_bfe_i32 v116, v71, 0, 16
	v_ashrrev_i32_e32 v115, 31, v114
	v_ashrrev_i32_e32 v117, 31, v116
	v_lshlrev_b64 v[114:115], 1, v[114:115]
	v_lshlrev_b64 v[116:117], 1, v[116:117]
	v_add_co_u32 v114, s35, v6, v114
	v_add_co_ci_u32_e64 v115, null, v7, v115, s35
	v_add_co_u32 v116, s35, v6, v116
	v_add_co_ci_u32_e64 v117, null, v7, v117, s35
	s_clause 0x1
	flat_load_ushort v114, v[114:115]
	flat_load_ushort v115, v[116:117]
	s_waitcnt vmcnt(0) lgkmcnt(0)
	v_cmp_lt_i16_e64 s35, v114, v115
	v_cndmask_b32_e64 v114, v70, v71, s35
	v_cndmask_b32_e64 v71, v71, v70, s35
	v_mov_b32_e32 v70, v114
	s_or_b32 exec_lo, exec_lo, s38
	s_and_saveexec_b32 s38, s93
	s_cbranch_execnz .LBB1044_1430
.LBB1044_951:
	s_or_b32 exec_lo, exec_lo, s38
	s_and_saveexec_b32 s38, s94
	s_cbranch_execz .LBB1044_1431
.LBB1044_952:
	v_bfe_i32 v114, v66, 0, 16
	v_bfe_i32 v116, v67, 0, 16
	v_ashrrev_i32_e32 v115, 31, v114
	v_ashrrev_i32_e32 v117, 31, v116
	v_lshlrev_b64 v[114:115], 1, v[114:115]
	v_lshlrev_b64 v[116:117], 1, v[116:117]
	v_add_co_u32 v114, s35, v6, v114
	v_add_co_ci_u32_e64 v115, null, v7, v115, s35
	v_add_co_u32 v116, s35, v6, v116
	v_add_co_ci_u32_e64 v117, null, v7, v117, s35
	s_clause 0x1
	flat_load_ushort v114, v[114:115]
	flat_load_ushort v115, v[116:117]
	s_waitcnt vmcnt(0) lgkmcnt(0)
	v_cmp_lt_i16_e64 s35, v114, v115
	v_cndmask_b32_e64 v114, v66, v67, s35
	v_cndmask_b32_e64 v67, v67, v66, s35
	v_mov_b32_e32 v66, v114
	s_or_b32 exec_lo, exec_lo, s38
	s_and_saveexec_b32 s38, s95
	s_cbranch_execnz .LBB1044_1432
.LBB1044_953:
	s_or_b32 exec_lo, exec_lo, s38
	s_and_saveexec_b32 s38, vcc_hi
	s_cbranch_execz .LBB1044_1433
.LBB1044_954:
	v_bfe_i32 v114, v53, 0, 16
	v_bfe_i32 v116, v54, 0, 16
	v_ashrrev_i32_e32 v115, 31, v114
	v_ashrrev_i32_e32 v117, 31, v116
	v_lshlrev_b64 v[114:115], 1, v[114:115]
	v_lshlrev_b64 v[116:117], 1, v[116:117]
	v_add_co_u32 v114, s35, v6, v114
	v_add_co_ci_u32_e64 v115, null, v7, v115, s35
	v_add_co_u32 v116, s35, v6, v116
	v_add_co_ci_u32_e64 v117, null, v7, v117, s35
	s_clause 0x1
	flat_load_ushort v114, v[114:115]
	flat_load_ushort v115, v[116:117]
	s_waitcnt vmcnt(0) lgkmcnt(0)
	v_cmp_lt_i16_e64 s35, v114, v115
	v_cndmask_b32_e64 v114, v53, v54, s35
	v_cndmask_b32_e64 v54, v54, v53, s35
	v_mov_b32_e32 v53, v114
	s_or_b32 exec_lo, exec_lo, s38
	s_and_saveexec_b32 s38, s30
	s_cbranch_execnz .LBB1044_1434
.LBB1044_955:
	s_or_b32 exec_lo, exec_lo, s38
	s_and_saveexec_b32 s38, s31
	s_cbranch_execz .LBB1044_1435
.LBB1044_956:
	v_bfe_i32 v114, v50, 0, 16
	v_bfe_i32 v116, v51, 0, 16
	v_ashrrev_i32_e32 v115, 31, v114
	v_ashrrev_i32_e32 v117, 31, v116
	v_lshlrev_b64 v[114:115], 1, v[114:115]
	v_lshlrev_b64 v[116:117], 1, v[116:117]
	v_add_co_u32 v114, s35, v6, v114
	v_add_co_ci_u32_e64 v115, null, v7, v115, s35
	v_add_co_u32 v116, s35, v6, v116
	v_add_co_ci_u32_e64 v117, null, v7, v117, s35
	s_clause 0x1
	flat_load_ushort v114, v[114:115]
	flat_load_ushort v115, v[116:117]
	s_waitcnt vmcnt(0) lgkmcnt(0)
	v_cmp_lt_i16_e64 s35, v114, v115
	v_cndmask_b32_e64 v114, v51, v50, s35
	v_cndmask_b32_e64 v50, v50, v51, s35
	v_mov_b32_e32 v51, v114
	s_or_b32 exec_lo, exec_lo, s38
	s_and_saveexec_b32 s38, s34
	s_cbranch_execnz .LBB1044_1436
.LBB1044_957:
	s_or_b32 exec_lo, exec_lo, s38
	s_and_saveexec_b32 s38, s8
	s_cbranch_execz .LBB1044_1437
.LBB1044_958:
	v_bfe_i32 v114, v102, 0, 16
	v_bfe_i32 v116, v99, 0, 16
	v_ashrrev_i32_e32 v115, 31, v114
	v_ashrrev_i32_e32 v117, 31, v116
	v_lshlrev_b64 v[114:115], 1, v[114:115]
	v_lshlrev_b64 v[116:117], 1, v[116:117]
	v_add_co_u32 v114, s35, v6, v114
	v_add_co_ci_u32_e64 v115, null, v7, v115, s35
	v_add_co_u32 v116, s35, v6, v116
	v_add_co_ci_u32_e64 v117, null, v7, v117, s35
	s_clause 0x1
	flat_load_ushort v114, v[114:115]
	flat_load_ushort v115, v[116:117]
	s_waitcnt vmcnt(0) lgkmcnt(0)
	v_cmp_lt_i16_e64 s35, v114, v115
	v_cndmask_b32_e64 v114, v102, v99, s35
	v_cndmask_b32_e64 v99, v99, v102, s35
	v_mov_b32_e32 v102, v114
	s_or_b32 exec_lo, exec_lo, s38
	s_and_saveexec_b32 s38, s9
	s_cbranch_execnz .LBB1044_1438
.LBB1044_959:
	s_or_b32 exec_lo, exec_lo, s38
	s_and_saveexec_b32 s38, s12
	s_cbranch_execz .LBB1044_1439
.LBB1044_960:
	v_bfe_i32 v114, v97, 0, 16
	v_bfe_i32 v116, v98, 0, 16
	v_ashrrev_i32_e32 v115, 31, v114
	v_ashrrev_i32_e32 v117, 31, v116
	v_lshlrev_b64 v[114:115], 1, v[114:115]
	v_lshlrev_b64 v[116:117], 1, v[116:117]
	v_add_co_u32 v114, s35, v6, v114
	v_add_co_ci_u32_e64 v115, null, v7, v115, s35
	v_add_co_u32 v116, s35, v6, v116
	v_add_co_ci_u32_e64 v117, null, v7, v117, s35
	s_clause 0x1
	flat_load_ushort v114, v[114:115]
	flat_load_ushort v115, v[116:117]
	s_waitcnt vmcnt(0) lgkmcnt(0)
	v_cmp_lt_i16_e64 s35, v114, v115
	v_cndmask_b32_e64 v114, v97, v98, s35
	v_cndmask_b32_e64 v98, v98, v97, s35
	v_mov_b32_e32 v97, v114
	s_or_b32 exec_lo, exec_lo, s38
	s_and_saveexec_b32 s38, s13
	s_cbranch_execnz .LBB1044_1440
.LBB1044_961:
	s_or_b32 exec_lo, exec_lo, s38
	s_and_saveexec_b32 s38, s57
	s_cbranch_execz .LBB1044_1441
.LBB1044_962:
	v_bfe_i32 v114, v85, 0, 16
	v_bfe_i32 v116, v86, 0, 16
	v_ashrrev_i32_e32 v115, 31, v114
	v_ashrrev_i32_e32 v117, 31, v116
	v_lshlrev_b64 v[114:115], 1, v[114:115]
	v_lshlrev_b64 v[116:117], 1, v[116:117]
	v_add_co_u32 v114, s35, v6, v114
	v_add_co_ci_u32_e64 v115, null, v7, v115, s35
	v_add_co_u32 v116, s35, v6, v116
	v_add_co_ci_u32_e64 v117, null, v7, v117, s35
	s_clause 0x1
	flat_load_ushort v114, v[114:115]
	flat_load_ushort v115, v[116:117]
	s_waitcnt vmcnt(0) lgkmcnt(0)
	v_cmp_lt_i16_e64 s35, v114, v115
	v_cndmask_b32_e64 v114, v85, v86, s35
	v_cndmask_b32_e64 v86, v86, v85, s35
	v_mov_b32_e32 v85, v114
	s_or_b32 exec_lo, exec_lo, s38
	s_and_saveexec_b32 s38, s58
	s_cbranch_execnz .LBB1044_1442
.LBB1044_963:
	s_or_b32 exec_lo, exec_lo, s38
	s_and_saveexec_b32 s38, s59
	s_cbranch_execz .LBB1044_1443
.LBB1044_964:
	v_bfe_i32 v114, v81, 0, 16
	v_bfe_i32 v116, v82, 0, 16
	v_ashrrev_i32_e32 v115, 31, v114
	v_ashrrev_i32_e32 v117, 31, v116
	v_lshlrev_b64 v[114:115], 1, v[114:115]
	v_lshlrev_b64 v[116:117], 1, v[116:117]
	v_add_co_u32 v114, s35, v6, v114
	v_add_co_ci_u32_e64 v115, null, v7, v115, s35
	v_add_co_u32 v116, s35, v6, v116
	v_add_co_ci_u32_e64 v117, null, v7, v117, s35
	s_clause 0x1
	flat_load_ushort v114, v[114:115]
	flat_load_ushort v115, v[116:117]
	s_waitcnt vmcnt(0) lgkmcnt(0)
	v_cmp_lt_i16_e64 s35, v114, v115
	v_cndmask_b32_e64 v114, v81, v82, s35
	v_cndmask_b32_e64 v82, v82, v81, s35
	v_mov_b32_e32 v81, v114
	s_or_b32 exec_lo, exec_lo, s38
	s_and_saveexec_b32 s38, s60
	s_cbranch_execnz .LBB1044_1444
.LBB1044_965:
	s_or_b32 exec_lo, exec_lo, s38
	s_and_saveexec_b32 s38, s61
	s_cbranch_execz .LBB1044_1445
.LBB1044_966:
	v_bfe_i32 v114, v69, 0, 16
	v_bfe_i32 v116, v70, 0, 16
	v_ashrrev_i32_e32 v115, 31, v114
	v_ashrrev_i32_e32 v117, 31, v116
	v_lshlrev_b64 v[114:115], 1, v[114:115]
	v_lshlrev_b64 v[116:117], 1, v[116:117]
	v_add_co_u32 v114, s35, v6, v114
	v_add_co_ci_u32_e64 v115, null, v7, v115, s35
	v_add_co_u32 v116, s35, v6, v116
	v_add_co_ci_u32_e64 v117, null, v7, v117, s35
	s_clause 0x1
	flat_load_ushort v114, v[114:115]
	flat_load_ushort v115, v[116:117]
	s_waitcnt vmcnt(0) lgkmcnt(0)
	v_cmp_lt_i16_e64 s35, v114, v115
	v_cndmask_b32_e64 v114, v69, v70, s35
	v_cndmask_b32_e64 v70, v70, v69, s35
	v_mov_b32_e32 v69, v114
	s_or_b32 exec_lo, exec_lo, s38
	s_and_saveexec_b32 s38, s62
	s_cbranch_execnz .LBB1044_1446
.LBB1044_967:
	s_or_b32 exec_lo, exec_lo, s38
	s_and_saveexec_b32 s38, s63
	s_cbranch_execz .LBB1044_1447
.LBB1044_968:
	v_bfe_i32 v114, v65, 0, 16
	v_bfe_i32 v116, v66, 0, 16
	v_ashrrev_i32_e32 v115, 31, v114
	v_ashrrev_i32_e32 v117, 31, v116
	v_lshlrev_b64 v[114:115], 1, v[114:115]
	v_lshlrev_b64 v[116:117], 1, v[116:117]
	v_add_co_u32 v114, s35, v6, v114
	v_add_co_ci_u32_e64 v115, null, v7, v115, s35
	v_add_co_u32 v116, s35, v6, v116
	v_add_co_ci_u32_e64 v117, null, v7, v117, s35
	s_clause 0x1
	flat_load_ushort v114, v[114:115]
	flat_load_ushort v115, v[116:117]
	s_waitcnt vmcnt(0) lgkmcnt(0)
	v_cmp_lt_i16_e64 s35, v114, v115
	v_cndmask_b32_e64 v114, v65, v66, s35
	v_cndmask_b32_e64 v66, v66, v65, s35
	v_mov_b32_e32 v65, v114
	s_or_b32 exec_lo, exec_lo, s38
	s_and_saveexec_b32 s38, s72
	s_cbranch_execnz .LBB1044_1448
.LBB1044_969:
	s_or_b32 exec_lo, exec_lo, s38
	s_and_saveexec_b32 s38, s73
	s_cbranch_execz .LBB1044_1449
.LBB1044_970:
	v_bfe_i32 v114, v64, 0, 16
	v_bfe_i32 v116, v53, 0, 16
	v_ashrrev_i32_e32 v115, 31, v114
	v_ashrrev_i32_e32 v117, 31, v116
	v_lshlrev_b64 v[114:115], 1, v[114:115]
	v_lshlrev_b64 v[116:117], 1, v[116:117]
	v_add_co_u32 v114, s35, v6, v114
	v_add_co_ci_u32_e64 v115, null, v7, v115, s35
	v_add_co_u32 v116, s35, v6, v116
	v_add_co_ci_u32_e64 v117, null, v7, v117, s35
	s_clause 0x1
	flat_load_ushort v114, v[114:115]
	flat_load_ushort v115, v[116:117]
	s_waitcnt vmcnt(0) lgkmcnt(0)
	v_cmp_lt_i16_e64 s35, v114, v115
	v_cndmask_b32_e64 v114, v64, v53, s35
	v_cndmask_b32_e64 v53, v53, v64, s35
	v_mov_b32_e32 v64, v114
	s_or_b32 exec_lo, exec_lo, s38
	s_and_saveexec_b32 s38, s74
	s_cbranch_execnz .LBB1044_1450
.LBB1044_971:
	s_or_b32 exec_lo, exec_lo, s38
	s_and_saveexec_b32 s38, s75
	s_cbranch_execz .LBB1044_1451
.LBB1044_972:
	v_bfe_i32 v114, v49, 0, 16
	v_bfe_i32 v116, v50, 0, 16
	v_ashrrev_i32_e32 v115, 31, v114
	v_ashrrev_i32_e32 v117, 31, v116
	v_lshlrev_b64 v[114:115], 1, v[114:115]
	v_lshlrev_b64 v[116:117], 1, v[116:117]
	v_add_co_u32 v114, s35, v6, v114
	v_add_co_ci_u32_e64 v115, null, v7, v115, s35
	v_add_co_u32 v116, s35, v6, v116
	v_add_co_ci_u32_e64 v117, null, v7, v117, s35
	s_clause 0x1
	flat_load_ushort v114, v[114:115]
	flat_load_ushort v115, v[116:117]
	s_waitcnt vmcnt(0) lgkmcnt(0)
	v_cmp_lt_i16_e64 s35, v114, v115
	v_cndmask_b32_e64 v114, v50, v49, s35
	v_cndmask_b32_e64 v49, v49, v50, s35
	v_mov_b32_e32 v50, v114
	s_or_b32 exec_lo, exec_lo, s38
	s_and_saveexec_b32 s38, s76
	s_cbranch_execnz .LBB1044_1452
.LBB1044_973:
	s_or_b32 exec_lo, exec_lo, s38
	s_and_saveexec_b32 s38, s77
	s_cbranch_execz .LBB1044_1453
.LBB1044_974:
	v_bfe_i32 v114, v101, 0, 16
	v_bfe_i32 v116, v102, 0, 16
	v_ashrrev_i32_e32 v115, 31, v114
	v_ashrrev_i32_e32 v117, 31, v116
	v_lshlrev_b64 v[114:115], 1, v[114:115]
	v_lshlrev_b64 v[116:117], 1, v[116:117]
	v_add_co_u32 v114, s35, v6, v114
	v_add_co_ci_u32_e64 v115, null, v7, v115, s35
	v_add_co_u32 v116, s35, v6, v116
	v_add_co_ci_u32_e64 v117, null, v7, v117, s35
	s_clause 0x1
	flat_load_ushort v114, v[114:115]
	flat_load_ushort v115, v[116:117]
	s_waitcnt vmcnt(0) lgkmcnt(0)
	v_cmp_lt_i16_e64 s35, v114, v115
	v_cndmask_b32_e64 v114, v101, v102, s35
	v_cndmask_b32_e64 v102, v102, v101, s35
	v_mov_b32_e32 v101, v114
	s_or_b32 exec_lo, exec_lo, s38
	s_and_saveexec_b32 s38, s78
	s_cbranch_execnz .LBB1044_1454
.LBB1044_975:
	s_or_b32 exec_lo, exec_lo, s38
	s_and_saveexec_b32 s38, s79
	s_cbranch_execz .LBB1044_1455
.LBB1044_976:
	v_bfe_i32 v114, v96, 0, 16
	v_bfe_i32 v116, v97, 0, 16
	v_ashrrev_i32_e32 v115, 31, v114
	v_ashrrev_i32_e32 v117, 31, v116
	v_lshlrev_b64 v[114:115], 1, v[114:115]
	v_lshlrev_b64 v[116:117], 1, v[116:117]
	v_add_co_u32 v114, s35, v6, v114
	v_add_co_ci_u32_e64 v115, null, v7, v115, s35
	v_add_co_u32 v116, s35, v6, v116
	v_add_co_ci_u32_e64 v117, null, v7, v117, s35
	s_clause 0x1
	flat_load_ushort v114, v[114:115]
	flat_load_ushort v115, v[116:117]
	s_waitcnt vmcnt(0) lgkmcnt(0)
	v_cmp_lt_i16_e64 s35, v114, v115
	v_cndmask_b32_e64 v114, v96, v97, s35
	v_cndmask_b32_e64 v97, v97, v96, s35
	v_mov_b32_e32 v96, v114
	s_or_b32 exec_lo, exec_lo, s38
	s_and_saveexec_b32 s38, s88
	s_cbranch_execnz .LBB1044_1456
.LBB1044_977:
	s_or_b32 exec_lo, exec_lo, s38
	s_and_saveexec_b32 s38, s89
	s_cbranch_execz .LBB1044_1457
.LBB1044_978:
	v_bfe_i32 v114, v84, 0, 16
	v_bfe_i32 v116, v85, 0, 16
	v_ashrrev_i32_e32 v115, 31, v114
	v_ashrrev_i32_e32 v117, 31, v116
	v_lshlrev_b64 v[114:115], 1, v[114:115]
	v_lshlrev_b64 v[116:117], 1, v[116:117]
	v_add_co_u32 v114, s35, v6, v114
	v_add_co_ci_u32_e64 v115, null, v7, v115, s35
	v_add_co_u32 v116, s35, v6, v116
	v_add_co_ci_u32_e64 v117, null, v7, v117, s35
	s_clause 0x1
	flat_load_ushort v114, v[114:115]
	flat_load_ushort v115, v[116:117]
	s_waitcnt vmcnt(0) lgkmcnt(0)
	v_cmp_lt_i16_e64 s35, v114, v115
	v_cndmask_b32_e64 v114, v84, v85, s35
	v_cndmask_b32_e64 v85, v85, v84, s35
	v_mov_b32_e32 v84, v114
	s_or_b32 exec_lo, exec_lo, s38
	s_and_saveexec_b32 s38, s90
	s_cbranch_execnz .LBB1044_1458
.LBB1044_979:
	s_or_b32 exec_lo, exec_lo, s38
	s_and_saveexec_b32 s38, s91
	s_cbranch_execz .LBB1044_1459
.LBB1044_980:
	v_bfe_i32 v114, v80, 0, 16
	v_bfe_i32 v116, v81, 0, 16
	v_ashrrev_i32_e32 v115, 31, v114
	v_ashrrev_i32_e32 v117, 31, v116
	v_lshlrev_b64 v[114:115], 1, v[114:115]
	v_lshlrev_b64 v[116:117], 1, v[116:117]
	v_add_co_u32 v114, s35, v6, v114
	v_add_co_ci_u32_e64 v115, null, v7, v115, s35
	v_add_co_u32 v116, s35, v6, v116
	v_add_co_ci_u32_e64 v117, null, v7, v117, s35
	s_clause 0x1
	flat_load_ushort v114, v[114:115]
	flat_load_ushort v115, v[116:117]
	s_waitcnt vmcnt(0) lgkmcnt(0)
	v_cmp_lt_i16_e64 s35, v114, v115
	v_cndmask_b32_e64 v114, v80, v81, s35
	v_cndmask_b32_e64 v81, v81, v80, s35
	v_mov_b32_e32 v80, v114
	s_or_b32 exec_lo, exec_lo, s38
	s_and_saveexec_b32 s38, s92
	s_cbranch_execnz .LBB1044_1460
.LBB1044_981:
	s_or_b32 exec_lo, exec_lo, s38
	s_and_saveexec_b32 s38, s93
	s_cbranch_execz .LBB1044_1461
.LBB1044_982:
	v_bfe_i32 v114, v68, 0, 16
	v_bfe_i32 v116, v69, 0, 16
	v_ashrrev_i32_e32 v115, 31, v114
	v_ashrrev_i32_e32 v117, 31, v116
	v_lshlrev_b64 v[114:115], 1, v[114:115]
	v_lshlrev_b64 v[116:117], 1, v[116:117]
	v_add_co_u32 v114, s35, v6, v114
	v_add_co_ci_u32_e64 v115, null, v7, v115, s35
	v_add_co_u32 v116, s35, v6, v116
	v_add_co_ci_u32_e64 v117, null, v7, v117, s35
	s_clause 0x1
	flat_load_ushort v114, v[114:115]
	flat_load_ushort v115, v[116:117]
	s_waitcnt vmcnt(0) lgkmcnt(0)
	v_cmp_lt_i16_e64 s35, v114, v115
	v_cndmask_b32_e64 v114, v68, v69, s35
	v_cndmask_b32_e64 v69, v69, v68, s35
	v_mov_b32_e32 v68, v114
	s_or_b32 exec_lo, exec_lo, s38
	s_and_saveexec_b32 s38, s94
	s_cbranch_execnz .LBB1044_1462
.LBB1044_983:
	s_or_b32 exec_lo, exec_lo, s38
	s_and_saveexec_b32 s38, s95
	s_cbranch_execz .LBB1044_1463
.LBB1044_984:
	v_bfe_i32 v114, v55, 0, 16
	v_bfe_i32 v116, v65, 0, 16
	v_ashrrev_i32_e32 v115, 31, v114
	v_ashrrev_i32_e32 v117, 31, v116
	v_lshlrev_b64 v[114:115], 1, v[114:115]
	v_lshlrev_b64 v[116:117], 1, v[116:117]
	v_add_co_u32 v114, s35, v6, v114
	v_add_co_ci_u32_e64 v115, null, v7, v115, s35
	v_add_co_u32 v116, s35, v6, v116
	v_add_co_ci_u32_e64 v117, null, v7, v117, s35
	s_clause 0x1
	flat_load_ushort v114, v[114:115]
	flat_load_ushort v115, v[116:117]
	s_waitcnt vmcnt(0) lgkmcnt(0)
	v_cmp_lt_i16_e64 s35, v114, v115
	v_cndmask_b32_e64 v114, v55, v65, s35
	v_cndmask_b32_e64 v65, v65, v55, s35
	v_mov_b32_e32 v55, v114
	s_or_b32 exec_lo, exec_lo, s38
	s_and_saveexec_b32 s38, vcc_hi
	s_cbranch_execnz .LBB1044_1464
.LBB1044_985:
	s_or_b32 exec_lo, exec_lo, s38
	s_and_saveexec_b32 s38, s30
	s_cbranch_execz .LBB1044_1465
.LBB1044_986:
	v_bfe_i32 v114, v52, 0, 16
	v_bfe_i32 v116, v64, 0, 16
	v_ashrrev_i32_e32 v115, 31, v114
	v_ashrrev_i32_e32 v117, 31, v116
	v_lshlrev_b64 v[114:115], 1, v[114:115]
	v_lshlrev_b64 v[116:117], 1, v[116:117]
	v_add_co_u32 v114, s35, v6, v114
	v_add_co_ci_u32_e64 v115, null, v7, v115, s35
	v_add_co_u32 v116, s35, v6, v116
	v_add_co_ci_u32_e64 v117, null, v7, v117, s35
	s_clause 0x1
	flat_load_ushort v114, v[114:115]
	flat_load_ushort v115, v[116:117]
	s_waitcnt vmcnt(0) lgkmcnt(0)
	v_cmp_lt_i16_e64 s35, v114, v115
	v_cndmask_b32_e64 v114, v64, v52, s35
	v_cndmask_b32_e64 v52, v52, v64, s35
	v_mov_b32_e32 v64, v114
	s_or_b32 exec_lo, exec_lo, s38
	s_and_saveexec_b32 s38, s31
	s_cbranch_execnz .LBB1044_1466
.LBB1044_987:
	s_or_b32 exec_lo, exec_lo, s38
	s_and_saveexec_b32 s38, s34
	s_cbranch_execz .LBB1044_1467
.LBB1044_988:
	v_bfe_i32 v114, v103, 0, 16
	v_bfe_i32 v116, v49, 0, 16
	v_ashrrev_i32_e32 v115, 31, v114
	v_ashrrev_i32_e32 v117, 31, v116
	v_lshlrev_b64 v[114:115], 1, v[114:115]
	v_lshlrev_b64 v[116:117], 1, v[116:117]
	v_add_co_u32 v114, s35, v6, v114
	v_add_co_ci_u32_e64 v115, null, v7, v115, s35
	v_add_co_u32 v116, s35, v6, v116
	v_add_co_ci_u32_e64 v117, null, v7, v117, s35
	s_clause 0x1
	flat_load_ushort v114, v[114:115]
	flat_load_ushort v115, v[116:117]
	s_waitcnt vmcnt(0) lgkmcnt(0)
	v_cmp_lt_i16_e64 s35, v114, v115
	v_cndmask_b32_e64 v114, v49, v103, s35
	v_cndmask_b32_e64 v103, v103, v49, s35
	v_mov_b32_e32 v49, v114
	s_or_b32 exec_lo, exec_lo, s38
	s_and_saveexec_b32 s38, s8
	s_cbranch_execnz .LBB1044_1468
.LBB1044_989:
	s_or_b32 exec_lo, exec_lo, s38
	s_and_saveexec_b32 s38, s9
	s_cbranch_execz .LBB1044_1469
.LBB1044_990:
	v_bfe_i32 v114, v100, 0, 16
	v_bfe_i32 v116, v101, 0, 16
	v_ashrrev_i32_e32 v115, 31, v114
	v_ashrrev_i32_e32 v117, 31, v116
	v_lshlrev_b64 v[114:115], 1, v[114:115]
	v_lshlrev_b64 v[116:117], 1, v[116:117]
	v_add_co_u32 v114, s35, v6, v114
	v_add_co_ci_u32_e64 v115, null, v7, v115, s35
	v_add_co_u32 v116, s35, v6, v116
	v_add_co_ci_u32_e64 v117, null, v7, v117, s35
	s_clause 0x1
	flat_load_ushort v114, v[114:115]
	flat_load_ushort v115, v[116:117]
	s_waitcnt vmcnt(0) lgkmcnt(0)
	v_cmp_lt_i16_e64 s35, v114, v115
	v_cndmask_b32_e64 v114, v100, v101, s35
	v_cndmask_b32_e64 v101, v101, v100, s35
	v_mov_b32_e32 v100, v114
	s_or_b32 exec_lo, exec_lo, s38
	s_and_saveexec_b32 s38, s12
	s_cbranch_execnz .LBB1044_1470
.LBB1044_991:
	s_or_b32 exec_lo, exec_lo, s38
	s_and_saveexec_b32 s38, s13
	s_cbranch_execz .LBB1044_1471
.LBB1044_992:
	v_bfe_i32 v114, v87, 0, 16
	v_bfe_i32 v116, v96, 0, 16
	v_ashrrev_i32_e32 v115, 31, v114
	v_ashrrev_i32_e32 v117, 31, v116
	v_lshlrev_b64 v[114:115], 1, v[114:115]
	v_lshlrev_b64 v[116:117], 1, v[116:117]
	v_add_co_u32 v114, s35, v6, v114
	v_add_co_ci_u32_e64 v115, null, v7, v115, s35
	v_add_co_u32 v116, s35, v6, v116
	v_add_co_ci_u32_e64 v117, null, v7, v117, s35
	s_clause 0x1
	flat_load_ushort v114, v[114:115]
	flat_load_ushort v115, v[116:117]
	s_waitcnt vmcnt(0) lgkmcnt(0)
	v_cmp_lt_i16_e64 s35, v114, v115
	v_cndmask_b32_e64 v114, v87, v96, s35
	v_cndmask_b32_e64 v96, v96, v87, s35
	v_mov_b32_e32 v87, v114
	s_or_b32 exec_lo, exec_lo, s38
	s_and_saveexec_b32 s38, s57
	s_cbranch_execnz .LBB1044_1472
.LBB1044_993:
	s_or_b32 exec_lo, exec_lo, s38
	s_and_saveexec_b32 s38, s58
	s_cbranch_execz .LBB1044_1473
.LBB1044_994:
	v_bfe_i32 v114, v83, 0, 16
	v_bfe_i32 v116, v84, 0, 16
	v_ashrrev_i32_e32 v115, 31, v114
	v_ashrrev_i32_e32 v117, 31, v116
	v_lshlrev_b64 v[114:115], 1, v[114:115]
	v_lshlrev_b64 v[116:117], 1, v[116:117]
	v_add_co_u32 v114, s35, v6, v114
	v_add_co_ci_u32_e64 v115, null, v7, v115, s35
	v_add_co_u32 v116, s35, v6, v116
	v_add_co_ci_u32_e64 v117, null, v7, v117, s35
	s_clause 0x1
	flat_load_ushort v114, v[114:115]
	flat_load_ushort v115, v[116:117]
	s_waitcnt vmcnt(0) lgkmcnt(0)
	v_cmp_lt_i16_e64 s35, v114, v115
	v_cndmask_b32_e64 v114, v83, v84, s35
	v_cndmask_b32_e64 v84, v84, v83, s35
	v_mov_b32_e32 v83, v114
	s_or_b32 exec_lo, exec_lo, s38
	s_and_saveexec_b32 s38, s59
	s_cbranch_execnz .LBB1044_1474
.LBB1044_995:
	s_or_b32 exec_lo, exec_lo, s38
	s_and_saveexec_b32 s38, s60
	s_cbranch_execz .LBB1044_1475
.LBB1044_996:
	v_bfe_i32 v114, v71, 0, 16
	v_bfe_i32 v116, v80, 0, 16
	v_ashrrev_i32_e32 v115, 31, v114
	v_ashrrev_i32_e32 v117, 31, v116
	v_lshlrev_b64 v[114:115], 1, v[114:115]
	v_lshlrev_b64 v[116:117], 1, v[116:117]
	v_add_co_u32 v114, s35, v6, v114
	v_add_co_ci_u32_e64 v115, null, v7, v115, s35
	v_add_co_u32 v116, s35, v6, v116
	v_add_co_ci_u32_e64 v117, null, v7, v117, s35
	s_clause 0x1
	flat_load_ushort v114, v[114:115]
	flat_load_ushort v115, v[116:117]
	s_waitcnt vmcnt(0) lgkmcnt(0)
	v_cmp_lt_i16_e64 s35, v114, v115
	v_cndmask_b32_e64 v114, v71, v80, s35
	v_cndmask_b32_e64 v80, v80, v71, s35
	v_mov_b32_e32 v71, v114
	s_or_b32 exec_lo, exec_lo, s38
	s_and_saveexec_b32 s38, s61
	s_cbranch_execnz .LBB1044_1476
.LBB1044_997:
	s_or_b32 exec_lo, exec_lo, s38
	s_and_saveexec_b32 s38, s62
	s_cbranch_execz .LBB1044_1477
.LBB1044_998:
	v_bfe_i32 v114, v67, 0, 16
	v_bfe_i32 v116, v68, 0, 16
	v_ashrrev_i32_e32 v115, 31, v114
	v_ashrrev_i32_e32 v117, 31, v116
	v_lshlrev_b64 v[114:115], 1, v[114:115]
	v_lshlrev_b64 v[116:117], 1, v[116:117]
	v_add_co_u32 v114, s35, v6, v114
	v_add_co_ci_u32_e64 v115, null, v7, v115, s35
	v_add_co_u32 v116, s35, v6, v116
	v_add_co_ci_u32_e64 v117, null, v7, v117, s35
	s_clause 0x1
	flat_load_ushort v114, v[114:115]
	flat_load_ushort v115, v[116:117]
	s_waitcnt vmcnt(0) lgkmcnt(0)
	v_cmp_lt_i16_e64 s35, v114, v115
	v_cndmask_b32_e64 v114, v67, v68, s35
	v_cndmask_b32_e64 v68, v68, v67, s35
	v_mov_b32_e32 v67, v114
	s_or_b32 exec_lo, exec_lo, s38
	s_and_saveexec_b32 s38, s63
	s_cbranch_execnz .LBB1044_1478
.LBB1044_999:
	s_or_b32 exec_lo, exec_lo, s38
	s_and_saveexec_b32 s38, s72
	s_cbranch_execz .LBB1044_1479
.LBB1044_1000:
	v_bfe_i32 v114, v54, 0, 16
	v_bfe_i32 v116, v55, 0, 16
	v_ashrrev_i32_e32 v115, 31, v114
	v_ashrrev_i32_e32 v117, 31, v116
	v_lshlrev_b64 v[114:115], 1, v[114:115]
	v_lshlrev_b64 v[116:117], 1, v[116:117]
	v_add_co_u32 v114, s35, v6, v114
	v_add_co_ci_u32_e64 v115, null, v7, v115, s35
	v_add_co_u32 v116, s35, v6, v116
	v_add_co_ci_u32_e64 v117, null, v7, v117, s35
	s_clause 0x1
	flat_load_ushort v114, v[114:115]
	flat_load_ushort v115, v[116:117]
	s_waitcnt vmcnt(0) lgkmcnt(0)
	v_cmp_lt_i16_e64 s35, v114, v115
	v_cndmask_b32_e64 v114, v54, v55, s35
	v_cndmask_b32_e64 v55, v55, v54, s35
	v_mov_b32_e32 v54, v114
	s_or_b32 exec_lo, exec_lo, s38
	s_and_saveexec_b32 s38, s73
	s_cbranch_execnz .LBB1044_1480
.LBB1044_1001:
	s_or_b32 exec_lo, exec_lo, s38
	s_and_saveexec_b32 s38, s74
	s_cbranch_execz .LBB1044_1481
.LBB1044_1002:
	v_bfe_i32 v114, v51, 0, 16
	v_bfe_i32 v116, v52, 0, 16
	v_ashrrev_i32_e32 v115, 31, v114
	v_ashrrev_i32_e32 v117, 31, v116
	v_lshlrev_b64 v[114:115], 1, v[114:115]
	v_lshlrev_b64 v[116:117], 1, v[116:117]
	v_add_co_u32 v114, s35, v6, v114
	v_add_co_ci_u32_e64 v115, null, v7, v115, s35
	v_add_co_u32 v116, s35, v6, v116
	v_add_co_ci_u32_e64 v117, null, v7, v117, s35
	s_clause 0x1
	flat_load_ushort v114, v[114:115]
	flat_load_ushort v115, v[116:117]
	s_waitcnt vmcnt(0) lgkmcnt(0)
	v_cmp_lt_i16_e64 s35, v114, v115
	v_cndmask_b32_e64 v114, v52, v51, s35
	v_cndmask_b32_e64 v51, v51, v52, s35
	v_mov_b32_e32 v52, v114
	s_or_b32 exec_lo, exec_lo, s38
	s_and_saveexec_b32 s38, s75
	s_cbranch_execnz .LBB1044_1482
.LBB1044_1003:
	s_or_b32 exec_lo, exec_lo, s38
	s_and_saveexec_b32 s38, s76
	s_cbranch_execz .LBB1044_1483
.LBB1044_1004:
	v_bfe_i32 v114, v48, 0, 16
	v_bfe_i32 v116, v103, 0, 16
	v_ashrrev_i32_e32 v115, 31, v114
	v_ashrrev_i32_e32 v117, 31, v116
	v_lshlrev_b64 v[114:115], 1, v[114:115]
	v_lshlrev_b64 v[116:117], 1, v[116:117]
	v_add_co_u32 v114, s35, v6, v114
	v_add_co_ci_u32_e64 v115, null, v7, v115, s35
	v_add_co_u32 v116, s35, v6, v116
	v_add_co_ci_u32_e64 v117, null, v7, v117, s35
	s_clause 0x1
	flat_load_ushort v114, v[114:115]
	flat_load_ushort v115, v[116:117]
	s_waitcnt vmcnt(0) lgkmcnt(0)
	v_cmp_lt_i16_e64 s35, v114, v115
	v_cndmask_b32_e64 v114, v103, v48, s35
	v_cndmask_b32_e64 v48, v48, v103, s35
	v_mov_b32_e32 v103, v114
	s_or_b32 exec_lo, exec_lo, s38
	s_and_saveexec_b32 s38, s77
	s_cbranch_execnz .LBB1044_1484
.LBB1044_1005:
	s_or_b32 exec_lo, exec_lo, s38
	s_and_saveexec_b32 s38, s78
	s_cbranch_execz .LBB1044_1485
.LBB1044_1006:
	v_bfe_i32 v114, v98, 0, 16
	v_bfe_i32 v116, v100, 0, 16
	v_ashrrev_i32_e32 v115, 31, v114
	v_ashrrev_i32_e32 v117, 31, v116
	v_lshlrev_b64 v[114:115], 1, v[114:115]
	v_lshlrev_b64 v[116:117], 1, v[116:117]
	v_add_co_u32 v114, s35, v6, v114
	v_add_co_ci_u32_e64 v115, null, v7, v115, s35
	v_add_co_u32 v116, s35, v6, v116
	v_add_co_ci_u32_e64 v117, null, v7, v117, s35
	s_clause 0x1
	flat_load_ushort v114, v[114:115]
	flat_load_ushort v115, v[116:117]
	s_waitcnt vmcnt(0) lgkmcnt(0)
	v_cmp_lt_i16_e64 s35, v114, v115
	v_cndmask_b32_e64 v114, v98, v100, s35
	v_cndmask_b32_e64 v100, v100, v98, s35
	v_mov_b32_e32 v98, v114
	s_or_b32 exec_lo, exec_lo, s38
	s_and_saveexec_b32 s38, s79
	s_cbranch_execnz .LBB1044_1486
.LBB1044_1007:
	s_or_b32 exec_lo, exec_lo, s38
	s_and_saveexec_b32 s38, s88
	s_cbranch_execz .LBB1044_1487
.LBB1044_1008:
	v_bfe_i32 v114, v86, 0, 16
	v_bfe_i32 v116, v87, 0, 16
	v_ashrrev_i32_e32 v115, 31, v114
	v_ashrrev_i32_e32 v117, 31, v116
	v_lshlrev_b64 v[114:115], 1, v[114:115]
	v_lshlrev_b64 v[116:117], 1, v[116:117]
	v_add_co_u32 v114, s35, v6, v114
	v_add_co_ci_u32_e64 v115, null, v7, v115, s35
	v_add_co_u32 v116, s35, v6, v116
	v_add_co_ci_u32_e64 v117, null, v7, v117, s35
	s_clause 0x1
	flat_load_ushort v114, v[114:115]
	flat_load_ushort v115, v[116:117]
	s_waitcnt vmcnt(0) lgkmcnt(0)
	v_cmp_lt_i16_e64 s35, v114, v115
	v_cndmask_b32_e64 v114, v86, v87, s35
	v_cndmask_b32_e64 v87, v87, v86, s35
	v_mov_b32_e32 v86, v114
	s_or_b32 exec_lo, exec_lo, s38
	s_and_saveexec_b32 s38, s89
	s_cbranch_execnz .LBB1044_1488
.LBB1044_1009:
	s_or_b32 exec_lo, exec_lo, s38
	s_and_saveexec_b32 s38, s90
	s_cbranch_execz .LBB1044_1489
.LBB1044_1010:
	v_bfe_i32 v114, v82, 0, 16
	v_bfe_i32 v116, v83, 0, 16
	v_ashrrev_i32_e32 v115, 31, v114
	v_ashrrev_i32_e32 v117, 31, v116
	v_lshlrev_b64 v[114:115], 1, v[114:115]
	v_lshlrev_b64 v[116:117], 1, v[116:117]
	v_add_co_u32 v114, s35, v6, v114
	v_add_co_ci_u32_e64 v115, null, v7, v115, s35
	v_add_co_u32 v116, s35, v6, v116
	v_add_co_ci_u32_e64 v117, null, v7, v117, s35
	s_clause 0x1
	flat_load_ushort v114, v[114:115]
	flat_load_ushort v115, v[116:117]
	s_waitcnt vmcnt(0) lgkmcnt(0)
	v_cmp_lt_i16_e64 s35, v114, v115
	v_cndmask_b32_e64 v114, v82, v83, s35
	v_cndmask_b32_e64 v83, v83, v82, s35
	v_mov_b32_e32 v82, v114
	s_or_b32 exec_lo, exec_lo, s38
	s_and_saveexec_b32 s38, s91
	s_cbranch_execnz .LBB1044_1490
.LBB1044_1011:
	s_or_b32 exec_lo, exec_lo, s38
	s_and_saveexec_b32 s38, s92
	s_cbranch_execz .LBB1044_1491
.LBB1044_1012:
	v_bfe_i32 v114, v70, 0, 16
	v_bfe_i32 v116, v71, 0, 16
	v_ashrrev_i32_e32 v115, 31, v114
	v_ashrrev_i32_e32 v117, 31, v116
	v_lshlrev_b64 v[114:115], 1, v[114:115]
	v_lshlrev_b64 v[116:117], 1, v[116:117]
	v_add_co_u32 v114, s35, v6, v114
	v_add_co_ci_u32_e64 v115, null, v7, v115, s35
	v_add_co_u32 v116, s35, v6, v116
	v_add_co_ci_u32_e64 v117, null, v7, v117, s35
	s_clause 0x1
	flat_load_ushort v114, v[114:115]
	flat_load_ushort v115, v[116:117]
	s_waitcnt vmcnt(0) lgkmcnt(0)
	v_cmp_lt_i16_e64 s35, v114, v115
	v_cndmask_b32_e64 v114, v70, v71, s35
	v_cndmask_b32_e64 v71, v71, v70, s35
	v_mov_b32_e32 v70, v114
	s_or_b32 exec_lo, exec_lo, s38
	s_and_saveexec_b32 s38, s93
	s_cbranch_execnz .LBB1044_1492
.LBB1044_1013:
	s_or_b32 exec_lo, exec_lo, s38
	s_and_saveexec_b32 s38, s94
	s_cbranch_execz .LBB1044_1493
.LBB1044_1014:
	v_bfe_i32 v114, v66, 0, 16
	v_bfe_i32 v116, v67, 0, 16
	v_ashrrev_i32_e32 v115, 31, v114
	v_ashrrev_i32_e32 v117, 31, v116
	v_lshlrev_b64 v[114:115], 1, v[114:115]
	v_lshlrev_b64 v[116:117], 1, v[116:117]
	v_add_co_u32 v114, s35, v6, v114
	v_add_co_ci_u32_e64 v115, null, v7, v115, s35
	v_add_co_u32 v116, s35, v6, v116
	v_add_co_ci_u32_e64 v117, null, v7, v117, s35
	s_clause 0x1
	flat_load_ushort v114, v[114:115]
	flat_load_ushort v115, v[116:117]
	s_waitcnt vmcnt(0) lgkmcnt(0)
	v_cmp_lt_i16_e64 s35, v114, v115
	v_cndmask_b32_e64 v114, v66, v67, s35
	v_cndmask_b32_e64 v67, v67, v66, s35
	v_mov_b32_e32 v66, v114
	s_or_b32 exec_lo, exec_lo, s38
	s_and_saveexec_b32 s38, s95
	s_cbranch_execnz .LBB1044_1494
.LBB1044_1015:
	s_or_b32 exec_lo, exec_lo, s38
	s_and_saveexec_b32 s38, vcc_hi
	s_cbranch_execz .LBB1044_1495
.LBB1044_1016:
	v_bfe_i32 v114, v53, 0, 16
	v_bfe_i32 v116, v54, 0, 16
	v_ashrrev_i32_e32 v115, 31, v114
	v_ashrrev_i32_e32 v117, 31, v116
	v_lshlrev_b64 v[114:115], 1, v[114:115]
	v_lshlrev_b64 v[116:117], 1, v[116:117]
	v_add_co_u32 v114, s35, v6, v114
	v_add_co_ci_u32_e64 v115, null, v7, v115, s35
	v_add_co_u32 v116, s35, v6, v116
	v_add_co_ci_u32_e64 v117, null, v7, v117, s35
	s_clause 0x1
	flat_load_ushort v114, v[114:115]
	flat_load_ushort v115, v[116:117]
	s_waitcnt vmcnt(0) lgkmcnt(0)
	v_cmp_lt_i16_e64 s35, v114, v115
	v_cndmask_b32_e64 v114, v53, v54, s35
	v_cndmask_b32_e64 v54, v54, v53, s35
	v_mov_b32_e32 v53, v114
	s_or_b32 exec_lo, exec_lo, s38
	s_and_saveexec_b32 s38, s30
	s_cbranch_execnz .LBB1044_1496
.LBB1044_1017:
	s_or_b32 exec_lo, exec_lo, s38
	s_and_saveexec_b32 s38, s31
	s_cbranch_execz .LBB1044_1497
.LBB1044_1018:
	v_bfe_i32 v114, v50, 0, 16
	v_bfe_i32 v116, v51, 0, 16
	v_ashrrev_i32_e32 v115, 31, v114
	v_ashrrev_i32_e32 v117, 31, v116
	v_lshlrev_b64 v[114:115], 1, v[114:115]
	v_lshlrev_b64 v[116:117], 1, v[116:117]
	v_add_co_u32 v114, s35, v6, v114
	v_add_co_ci_u32_e64 v115, null, v7, v115, s35
	v_add_co_u32 v116, s35, v6, v116
	v_add_co_ci_u32_e64 v117, null, v7, v117, s35
	s_clause 0x1
	flat_load_ushort v114, v[114:115]
	flat_load_ushort v115, v[116:117]
	s_waitcnt vmcnt(0) lgkmcnt(0)
	v_cmp_lt_i16_e64 s35, v114, v115
	v_cndmask_b32_e64 v114, v51, v50, s35
	v_cndmask_b32_e64 v50, v50, v51, s35
	v_mov_b32_e32 v51, v114
	s_or_b32 exec_lo, exec_lo, s38
	s_and_saveexec_b32 s38, s34
	s_cbranch_execnz .LBB1044_1498
.LBB1044_1019:
	s_or_b32 exec_lo, exec_lo, s38
	s_and_saveexec_b32 s38, s8
	s_cbranch_execz .LBB1044_1499
.LBB1044_1020:
	v_bfe_i32 v114, v102, 0, 16
	v_bfe_i32 v116, v99, 0, 16
	v_ashrrev_i32_e32 v115, 31, v114
	v_ashrrev_i32_e32 v117, 31, v116
	v_lshlrev_b64 v[114:115], 1, v[114:115]
	v_lshlrev_b64 v[116:117], 1, v[116:117]
	v_add_co_u32 v114, s35, v6, v114
	v_add_co_ci_u32_e64 v115, null, v7, v115, s35
	v_add_co_u32 v116, s35, v6, v116
	v_add_co_ci_u32_e64 v117, null, v7, v117, s35
	s_clause 0x1
	flat_load_ushort v114, v[114:115]
	flat_load_ushort v115, v[116:117]
	s_waitcnt vmcnt(0) lgkmcnt(0)
	v_cmp_lt_i16_e64 s35, v114, v115
	v_cndmask_b32_e64 v114, v102, v99, s35
	v_cndmask_b32_e64 v99, v99, v102, s35
	v_mov_b32_e32 v102, v114
	s_or_b32 exec_lo, exec_lo, s38
	s_and_saveexec_b32 s38, s9
	s_cbranch_execnz .LBB1044_1500
.LBB1044_1021:
	s_or_b32 exec_lo, exec_lo, s38
	s_and_saveexec_b32 s38, s12
	s_cbranch_execz .LBB1044_1501
.LBB1044_1022:
	v_bfe_i32 v114, v97, 0, 16
	v_bfe_i32 v116, v98, 0, 16
	v_ashrrev_i32_e32 v115, 31, v114
	v_ashrrev_i32_e32 v117, 31, v116
	v_lshlrev_b64 v[114:115], 1, v[114:115]
	v_lshlrev_b64 v[116:117], 1, v[116:117]
	v_add_co_u32 v114, s35, v6, v114
	v_add_co_ci_u32_e64 v115, null, v7, v115, s35
	v_add_co_u32 v116, s35, v6, v116
	v_add_co_ci_u32_e64 v117, null, v7, v117, s35
	s_clause 0x1
	flat_load_ushort v114, v[114:115]
	flat_load_ushort v115, v[116:117]
	s_waitcnt vmcnt(0) lgkmcnt(0)
	v_cmp_lt_i16_e64 s35, v114, v115
	v_cndmask_b32_e64 v114, v97, v98, s35
	v_cndmask_b32_e64 v98, v98, v97, s35
	v_mov_b32_e32 v97, v114
	s_or_b32 exec_lo, exec_lo, s38
	s_and_saveexec_b32 s38, s13
	s_cbranch_execnz .LBB1044_1502
.LBB1044_1023:
	s_or_b32 exec_lo, exec_lo, s38
	s_and_saveexec_b32 s38, s57
	s_cbranch_execz .LBB1044_1503
.LBB1044_1024:
	v_bfe_i32 v114, v85, 0, 16
	v_bfe_i32 v116, v86, 0, 16
	v_ashrrev_i32_e32 v115, 31, v114
	v_ashrrev_i32_e32 v117, 31, v116
	v_lshlrev_b64 v[114:115], 1, v[114:115]
	v_lshlrev_b64 v[116:117], 1, v[116:117]
	v_add_co_u32 v114, s35, v6, v114
	v_add_co_ci_u32_e64 v115, null, v7, v115, s35
	v_add_co_u32 v116, s35, v6, v116
	v_add_co_ci_u32_e64 v117, null, v7, v117, s35
	s_clause 0x1
	flat_load_ushort v114, v[114:115]
	flat_load_ushort v115, v[116:117]
	s_waitcnt vmcnt(0) lgkmcnt(0)
	v_cmp_lt_i16_e64 s35, v114, v115
	v_cndmask_b32_e64 v114, v85, v86, s35
	v_cndmask_b32_e64 v86, v86, v85, s35
	v_mov_b32_e32 v85, v114
	s_or_b32 exec_lo, exec_lo, s38
	s_and_saveexec_b32 s38, s58
	s_cbranch_execnz .LBB1044_1504
.LBB1044_1025:
	s_or_b32 exec_lo, exec_lo, s38
	s_and_saveexec_b32 s38, s59
	s_cbranch_execz .LBB1044_1505
.LBB1044_1026:
	v_bfe_i32 v114, v81, 0, 16
	v_bfe_i32 v116, v82, 0, 16
	v_ashrrev_i32_e32 v115, 31, v114
	v_ashrrev_i32_e32 v117, 31, v116
	v_lshlrev_b64 v[114:115], 1, v[114:115]
	v_lshlrev_b64 v[116:117], 1, v[116:117]
	v_add_co_u32 v114, s35, v6, v114
	v_add_co_ci_u32_e64 v115, null, v7, v115, s35
	v_add_co_u32 v116, s35, v6, v116
	v_add_co_ci_u32_e64 v117, null, v7, v117, s35
	s_clause 0x1
	flat_load_ushort v114, v[114:115]
	flat_load_ushort v115, v[116:117]
	s_waitcnt vmcnt(0) lgkmcnt(0)
	v_cmp_lt_i16_e64 s35, v114, v115
	v_cndmask_b32_e64 v114, v81, v82, s35
	v_cndmask_b32_e64 v82, v82, v81, s35
	v_mov_b32_e32 v81, v114
	s_or_b32 exec_lo, exec_lo, s38
	s_and_saveexec_b32 s38, s60
	s_cbranch_execnz .LBB1044_1506
.LBB1044_1027:
	s_or_b32 exec_lo, exec_lo, s38
	s_and_saveexec_b32 s38, s61
	s_cbranch_execz .LBB1044_1507
.LBB1044_1028:
	v_bfe_i32 v114, v69, 0, 16
	v_bfe_i32 v116, v70, 0, 16
	v_ashrrev_i32_e32 v115, 31, v114
	v_ashrrev_i32_e32 v117, 31, v116
	v_lshlrev_b64 v[114:115], 1, v[114:115]
	v_lshlrev_b64 v[116:117], 1, v[116:117]
	v_add_co_u32 v114, s35, v6, v114
	v_add_co_ci_u32_e64 v115, null, v7, v115, s35
	v_add_co_u32 v116, s35, v6, v116
	v_add_co_ci_u32_e64 v117, null, v7, v117, s35
	s_clause 0x1
	flat_load_ushort v114, v[114:115]
	flat_load_ushort v115, v[116:117]
	s_waitcnt vmcnt(0) lgkmcnt(0)
	v_cmp_lt_i16_e64 s35, v114, v115
	v_cndmask_b32_e64 v114, v69, v70, s35
	v_cndmask_b32_e64 v70, v70, v69, s35
	v_mov_b32_e32 v69, v114
	s_or_b32 exec_lo, exec_lo, s38
	s_and_saveexec_b32 s38, s62
	s_cbranch_execnz .LBB1044_1508
.LBB1044_1029:
	s_or_b32 exec_lo, exec_lo, s38
	s_and_saveexec_b32 s38, s63
	s_cbranch_execz .LBB1044_1509
.LBB1044_1030:
	v_bfe_i32 v114, v65, 0, 16
	v_bfe_i32 v116, v66, 0, 16
	v_ashrrev_i32_e32 v115, 31, v114
	v_ashrrev_i32_e32 v117, 31, v116
	v_lshlrev_b64 v[114:115], 1, v[114:115]
	v_lshlrev_b64 v[116:117], 1, v[116:117]
	v_add_co_u32 v114, s35, v6, v114
	v_add_co_ci_u32_e64 v115, null, v7, v115, s35
	v_add_co_u32 v116, s35, v6, v116
	v_add_co_ci_u32_e64 v117, null, v7, v117, s35
	s_clause 0x1
	flat_load_ushort v114, v[114:115]
	flat_load_ushort v115, v[116:117]
	s_waitcnt vmcnt(0) lgkmcnt(0)
	v_cmp_lt_i16_e64 s35, v114, v115
	v_cndmask_b32_e64 v114, v65, v66, s35
	v_cndmask_b32_e64 v66, v66, v65, s35
	v_mov_b32_e32 v65, v114
	s_or_b32 exec_lo, exec_lo, s38
	s_and_saveexec_b32 s38, s72
	s_cbranch_execnz .LBB1044_1510
.LBB1044_1031:
	s_or_b32 exec_lo, exec_lo, s38
	s_and_saveexec_b32 s38, s73
	s_cbranch_execz .LBB1044_1511
.LBB1044_1032:
	v_bfe_i32 v114, v64, 0, 16
	v_bfe_i32 v116, v53, 0, 16
	v_ashrrev_i32_e32 v115, 31, v114
	v_ashrrev_i32_e32 v117, 31, v116
	v_lshlrev_b64 v[114:115], 1, v[114:115]
	v_lshlrev_b64 v[116:117], 1, v[116:117]
	v_add_co_u32 v114, s35, v6, v114
	v_add_co_ci_u32_e64 v115, null, v7, v115, s35
	v_add_co_u32 v116, s35, v6, v116
	v_add_co_ci_u32_e64 v117, null, v7, v117, s35
	s_clause 0x1
	flat_load_ushort v114, v[114:115]
	flat_load_ushort v115, v[116:117]
	s_waitcnt vmcnt(0) lgkmcnt(0)
	v_cmp_lt_i16_e64 s35, v114, v115
	v_cndmask_b32_e64 v114, v64, v53, s35
	v_cndmask_b32_e64 v53, v53, v64, s35
	v_mov_b32_e32 v64, v114
	s_or_b32 exec_lo, exec_lo, s38
	s_and_saveexec_b32 s38, s74
	s_cbranch_execnz .LBB1044_1512
.LBB1044_1033:
	s_or_b32 exec_lo, exec_lo, s38
	s_and_saveexec_b32 s38, s75
	s_cbranch_execz .LBB1044_1513
.LBB1044_1034:
	v_bfe_i32 v114, v49, 0, 16
	v_bfe_i32 v116, v50, 0, 16
	v_ashrrev_i32_e32 v115, 31, v114
	v_ashrrev_i32_e32 v117, 31, v116
	v_lshlrev_b64 v[114:115], 1, v[114:115]
	v_lshlrev_b64 v[116:117], 1, v[116:117]
	v_add_co_u32 v114, s35, v6, v114
	v_add_co_ci_u32_e64 v115, null, v7, v115, s35
	v_add_co_u32 v116, s35, v6, v116
	v_add_co_ci_u32_e64 v117, null, v7, v117, s35
	s_clause 0x1
	flat_load_ushort v114, v[114:115]
	flat_load_ushort v115, v[116:117]
	s_waitcnt vmcnt(0) lgkmcnt(0)
	v_cmp_lt_i16_e64 s35, v114, v115
	v_cndmask_b32_e64 v114, v50, v49, s35
	v_cndmask_b32_e64 v49, v49, v50, s35
	v_mov_b32_e32 v50, v114
	s_or_b32 exec_lo, exec_lo, s38
	s_and_saveexec_b32 s38, s76
	s_cbranch_execnz .LBB1044_1514
.LBB1044_1035:
	s_or_b32 exec_lo, exec_lo, s38
	s_and_saveexec_b32 s38, s77
	s_cbranch_execz .LBB1044_1515
.LBB1044_1036:
	v_bfe_i32 v114, v101, 0, 16
	v_bfe_i32 v116, v102, 0, 16
	v_ashrrev_i32_e32 v115, 31, v114
	v_ashrrev_i32_e32 v117, 31, v116
	v_lshlrev_b64 v[114:115], 1, v[114:115]
	v_lshlrev_b64 v[116:117], 1, v[116:117]
	v_add_co_u32 v114, s35, v6, v114
	v_add_co_ci_u32_e64 v115, null, v7, v115, s35
	v_add_co_u32 v116, s35, v6, v116
	v_add_co_ci_u32_e64 v117, null, v7, v117, s35
	s_clause 0x1
	flat_load_ushort v114, v[114:115]
	flat_load_ushort v115, v[116:117]
	s_waitcnt vmcnt(0) lgkmcnt(0)
	v_cmp_lt_i16_e64 s35, v114, v115
	v_cndmask_b32_e64 v114, v101, v102, s35
	v_cndmask_b32_e64 v102, v102, v101, s35
	v_mov_b32_e32 v101, v114
	s_or_b32 exec_lo, exec_lo, s38
	s_and_saveexec_b32 s38, s78
	s_cbranch_execnz .LBB1044_1516
.LBB1044_1037:
	s_or_b32 exec_lo, exec_lo, s38
	s_and_saveexec_b32 s38, s79
	s_cbranch_execz .LBB1044_1517
.LBB1044_1038:
	v_bfe_i32 v114, v96, 0, 16
	v_bfe_i32 v116, v97, 0, 16
	v_ashrrev_i32_e32 v115, 31, v114
	v_ashrrev_i32_e32 v117, 31, v116
	v_lshlrev_b64 v[114:115], 1, v[114:115]
	v_lshlrev_b64 v[116:117], 1, v[116:117]
	v_add_co_u32 v114, s35, v6, v114
	v_add_co_ci_u32_e64 v115, null, v7, v115, s35
	v_add_co_u32 v116, s35, v6, v116
	v_add_co_ci_u32_e64 v117, null, v7, v117, s35
	s_clause 0x1
	flat_load_ushort v114, v[114:115]
	flat_load_ushort v115, v[116:117]
	s_waitcnt vmcnt(0) lgkmcnt(0)
	v_cmp_lt_i16_e64 s35, v114, v115
	v_cndmask_b32_e64 v114, v96, v97, s35
	v_cndmask_b32_e64 v97, v97, v96, s35
	v_mov_b32_e32 v96, v114
	s_or_b32 exec_lo, exec_lo, s38
	s_and_saveexec_b32 s38, s88
	s_cbranch_execnz .LBB1044_1518
.LBB1044_1039:
	s_or_b32 exec_lo, exec_lo, s38
	s_and_saveexec_b32 s38, s89
	s_cbranch_execz .LBB1044_1519
.LBB1044_1040:
	v_bfe_i32 v114, v84, 0, 16
	v_bfe_i32 v116, v85, 0, 16
	v_ashrrev_i32_e32 v115, 31, v114
	v_ashrrev_i32_e32 v117, 31, v116
	v_lshlrev_b64 v[114:115], 1, v[114:115]
	v_lshlrev_b64 v[116:117], 1, v[116:117]
	v_add_co_u32 v114, s35, v6, v114
	v_add_co_ci_u32_e64 v115, null, v7, v115, s35
	v_add_co_u32 v116, s35, v6, v116
	v_add_co_ci_u32_e64 v117, null, v7, v117, s35
	s_clause 0x1
	flat_load_ushort v114, v[114:115]
	flat_load_ushort v115, v[116:117]
	s_waitcnt vmcnt(0) lgkmcnt(0)
	v_cmp_lt_i16_e64 s35, v114, v115
	v_cndmask_b32_e64 v114, v84, v85, s35
	v_cndmask_b32_e64 v85, v85, v84, s35
	v_mov_b32_e32 v84, v114
	s_or_b32 exec_lo, exec_lo, s38
	s_and_saveexec_b32 s38, s90
	s_cbranch_execnz .LBB1044_1520
.LBB1044_1041:
	s_or_b32 exec_lo, exec_lo, s38
	s_and_saveexec_b32 s38, s91
	s_cbranch_execz .LBB1044_1521
.LBB1044_1042:
	v_bfe_i32 v114, v80, 0, 16
	v_bfe_i32 v116, v81, 0, 16
	v_ashrrev_i32_e32 v115, 31, v114
	v_ashrrev_i32_e32 v117, 31, v116
	v_lshlrev_b64 v[114:115], 1, v[114:115]
	v_lshlrev_b64 v[116:117], 1, v[116:117]
	v_add_co_u32 v114, s35, v6, v114
	v_add_co_ci_u32_e64 v115, null, v7, v115, s35
	v_add_co_u32 v116, s35, v6, v116
	v_add_co_ci_u32_e64 v117, null, v7, v117, s35
	s_clause 0x1
	flat_load_ushort v114, v[114:115]
	flat_load_ushort v115, v[116:117]
	s_waitcnt vmcnt(0) lgkmcnt(0)
	v_cmp_lt_i16_e64 s35, v114, v115
	v_cndmask_b32_e64 v114, v80, v81, s35
	v_cndmask_b32_e64 v81, v81, v80, s35
	v_mov_b32_e32 v80, v114
	s_or_b32 exec_lo, exec_lo, s38
	s_and_saveexec_b32 s38, s92
	s_cbranch_execnz .LBB1044_1522
.LBB1044_1043:
	s_or_b32 exec_lo, exec_lo, s38
	s_and_saveexec_b32 s38, s93
	s_cbranch_execz .LBB1044_1523
.LBB1044_1044:
	v_bfe_i32 v114, v68, 0, 16
	v_bfe_i32 v116, v69, 0, 16
	v_ashrrev_i32_e32 v115, 31, v114
	v_ashrrev_i32_e32 v117, 31, v116
	v_lshlrev_b64 v[114:115], 1, v[114:115]
	v_lshlrev_b64 v[116:117], 1, v[116:117]
	v_add_co_u32 v114, s35, v6, v114
	v_add_co_ci_u32_e64 v115, null, v7, v115, s35
	v_add_co_u32 v116, s35, v6, v116
	v_add_co_ci_u32_e64 v117, null, v7, v117, s35
	s_clause 0x1
	flat_load_ushort v114, v[114:115]
	flat_load_ushort v115, v[116:117]
	s_waitcnt vmcnt(0) lgkmcnt(0)
	v_cmp_lt_i16_e64 s35, v114, v115
	v_cndmask_b32_e64 v114, v68, v69, s35
	v_cndmask_b32_e64 v69, v69, v68, s35
	v_mov_b32_e32 v68, v114
	s_or_b32 exec_lo, exec_lo, s38
	s_and_saveexec_b32 s38, s94
	s_cbranch_execnz .LBB1044_1524
.LBB1044_1045:
	s_or_b32 exec_lo, exec_lo, s38
	s_and_saveexec_b32 s38, s95
	s_cbranch_execz .LBB1044_1525
.LBB1044_1046:
	v_bfe_i32 v114, v55, 0, 16
	v_bfe_i32 v116, v65, 0, 16
	v_ashrrev_i32_e32 v115, 31, v114
	v_ashrrev_i32_e32 v117, 31, v116
	v_lshlrev_b64 v[114:115], 1, v[114:115]
	v_lshlrev_b64 v[116:117], 1, v[116:117]
	v_add_co_u32 v114, s35, v6, v114
	v_add_co_ci_u32_e64 v115, null, v7, v115, s35
	v_add_co_u32 v116, s35, v6, v116
	v_add_co_ci_u32_e64 v117, null, v7, v117, s35
	s_clause 0x1
	flat_load_ushort v114, v[114:115]
	flat_load_ushort v115, v[116:117]
	s_waitcnt vmcnt(0) lgkmcnt(0)
	v_cmp_lt_i16_e64 s35, v114, v115
	v_cndmask_b32_e64 v114, v55, v65, s35
	v_cndmask_b32_e64 v65, v65, v55, s35
	v_mov_b32_e32 v55, v114
	s_or_b32 exec_lo, exec_lo, s38
	s_and_saveexec_b32 s38, vcc_hi
	s_cbranch_execnz .LBB1044_1526
.LBB1044_1047:
	s_or_b32 exec_lo, exec_lo, s38
	s_and_saveexec_b32 s38, s30
	s_cbranch_execz .LBB1044_1527
.LBB1044_1048:
	v_bfe_i32 v114, v52, 0, 16
	v_bfe_i32 v116, v64, 0, 16
	v_ashrrev_i32_e32 v115, 31, v114
	v_ashrrev_i32_e32 v117, 31, v116
	v_lshlrev_b64 v[114:115], 1, v[114:115]
	v_lshlrev_b64 v[116:117], 1, v[116:117]
	v_add_co_u32 v114, s35, v6, v114
	v_add_co_ci_u32_e64 v115, null, v7, v115, s35
	v_add_co_u32 v116, s35, v6, v116
	v_add_co_ci_u32_e64 v117, null, v7, v117, s35
	s_clause 0x1
	flat_load_ushort v114, v[114:115]
	flat_load_ushort v115, v[116:117]
	s_waitcnt vmcnt(0) lgkmcnt(0)
	v_cmp_lt_i16_e64 s35, v114, v115
	v_cndmask_b32_e64 v114, v64, v52, s35
	v_cndmask_b32_e64 v52, v52, v64, s35
	v_mov_b32_e32 v64, v114
	s_or_b32 exec_lo, exec_lo, s38
	s_and_saveexec_b32 s38, s31
	s_cbranch_execnz .LBB1044_1528
.LBB1044_1049:
	s_or_b32 exec_lo, exec_lo, s38
	s_and_saveexec_b32 s38, s34
	s_cbranch_execz .LBB1044_1529
.LBB1044_1050:
	v_bfe_i32 v114, v103, 0, 16
	v_bfe_i32 v116, v49, 0, 16
	v_ashrrev_i32_e32 v115, 31, v114
	v_ashrrev_i32_e32 v117, 31, v116
	v_lshlrev_b64 v[114:115], 1, v[114:115]
	v_lshlrev_b64 v[116:117], 1, v[116:117]
	v_add_co_u32 v114, s35, v6, v114
	v_add_co_ci_u32_e64 v115, null, v7, v115, s35
	v_add_co_u32 v116, s35, v6, v116
	v_add_co_ci_u32_e64 v117, null, v7, v117, s35
	s_clause 0x1
	flat_load_ushort v114, v[114:115]
	flat_load_ushort v115, v[116:117]
	s_waitcnt vmcnt(0) lgkmcnt(0)
	v_cmp_lt_i16_e64 s35, v114, v115
	v_cndmask_b32_e64 v114, v49, v103, s35
	v_cndmask_b32_e64 v103, v103, v49, s35
	v_mov_b32_e32 v49, v114
	s_or_b32 exec_lo, exec_lo, s38
	s_and_saveexec_b32 s38, s8
	s_cbranch_execnz .LBB1044_1530
.LBB1044_1051:
	s_or_b32 exec_lo, exec_lo, s38
	s_and_saveexec_b32 s38, s9
	s_cbranch_execz .LBB1044_1531
.LBB1044_1052:
	v_bfe_i32 v114, v100, 0, 16
	v_bfe_i32 v116, v101, 0, 16
	v_ashrrev_i32_e32 v115, 31, v114
	v_ashrrev_i32_e32 v117, 31, v116
	v_lshlrev_b64 v[114:115], 1, v[114:115]
	v_lshlrev_b64 v[116:117], 1, v[116:117]
	v_add_co_u32 v114, s35, v6, v114
	v_add_co_ci_u32_e64 v115, null, v7, v115, s35
	v_add_co_u32 v116, s35, v6, v116
	v_add_co_ci_u32_e64 v117, null, v7, v117, s35
	s_clause 0x1
	flat_load_ushort v114, v[114:115]
	flat_load_ushort v115, v[116:117]
	s_waitcnt vmcnt(0) lgkmcnt(0)
	v_cmp_lt_i16_e64 s35, v114, v115
	v_cndmask_b32_e64 v114, v100, v101, s35
	v_cndmask_b32_e64 v101, v101, v100, s35
	v_mov_b32_e32 v100, v114
	s_or_b32 exec_lo, exec_lo, s38
	s_and_saveexec_b32 s38, s12
	s_cbranch_execnz .LBB1044_1532
.LBB1044_1053:
	s_or_b32 exec_lo, exec_lo, s38
	s_and_saveexec_b32 s38, s13
	s_cbranch_execz .LBB1044_1533
.LBB1044_1054:
	v_bfe_i32 v114, v87, 0, 16
	v_bfe_i32 v116, v96, 0, 16
	v_ashrrev_i32_e32 v115, 31, v114
	v_ashrrev_i32_e32 v117, 31, v116
	v_lshlrev_b64 v[114:115], 1, v[114:115]
	v_lshlrev_b64 v[116:117], 1, v[116:117]
	v_add_co_u32 v114, s35, v6, v114
	v_add_co_ci_u32_e64 v115, null, v7, v115, s35
	v_add_co_u32 v116, s35, v6, v116
	v_add_co_ci_u32_e64 v117, null, v7, v117, s35
	s_clause 0x1
	flat_load_ushort v114, v[114:115]
	flat_load_ushort v115, v[116:117]
	s_waitcnt vmcnt(0) lgkmcnt(0)
	v_cmp_lt_i16_e64 s35, v114, v115
	v_cndmask_b32_e64 v114, v87, v96, s35
	v_cndmask_b32_e64 v96, v96, v87, s35
	v_mov_b32_e32 v87, v114
	s_or_b32 exec_lo, exec_lo, s38
	s_and_saveexec_b32 s38, s57
	s_cbranch_execnz .LBB1044_1534
.LBB1044_1055:
	s_or_b32 exec_lo, exec_lo, s38
	s_and_saveexec_b32 s38, s58
	s_cbranch_execz .LBB1044_1535
.LBB1044_1056:
	v_bfe_i32 v114, v83, 0, 16
	v_bfe_i32 v116, v84, 0, 16
	v_ashrrev_i32_e32 v115, 31, v114
	v_ashrrev_i32_e32 v117, 31, v116
	v_lshlrev_b64 v[114:115], 1, v[114:115]
	v_lshlrev_b64 v[116:117], 1, v[116:117]
	v_add_co_u32 v114, s35, v6, v114
	v_add_co_ci_u32_e64 v115, null, v7, v115, s35
	v_add_co_u32 v116, s35, v6, v116
	v_add_co_ci_u32_e64 v117, null, v7, v117, s35
	s_clause 0x1
	flat_load_ushort v114, v[114:115]
	flat_load_ushort v115, v[116:117]
	s_waitcnt vmcnt(0) lgkmcnt(0)
	v_cmp_lt_i16_e64 s35, v114, v115
	v_cndmask_b32_e64 v114, v83, v84, s35
	v_cndmask_b32_e64 v84, v84, v83, s35
	v_mov_b32_e32 v83, v114
	s_or_b32 exec_lo, exec_lo, s38
	s_and_saveexec_b32 s38, s59
	s_cbranch_execnz .LBB1044_1536
.LBB1044_1057:
	s_or_b32 exec_lo, exec_lo, s38
	s_and_saveexec_b32 s38, s60
	s_cbranch_execz .LBB1044_1537
.LBB1044_1058:
	v_bfe_i32 v114, v71, 0, 16
	v_bfe_i32 v116, v80, 0, 16
	v_ashrrev_i32_e32 v115, 31, v114
	v_ashrrev_i32_e32 v117, 31, v116
	v_lshlrev_b64 v[114:115], 1, v[114:115]
	v_lshlrev_b64 v[116:117], 1, v[116:117]
	v_add_co_u32 v114, s35, v6, v114
	v_add_co_ci_u32_e64 v115, null, v7, v115, s35
	v_add_co_u32 v116, s35, v6, v116
	v_add_co_ci_u32_e64 v117, null, v7, v117, s35
	s_clause 0x1
	flat_load_ushort v114, v[114:115]
	flat_load_ushort v115, v[116:117]
	s_waitcnt vmcnt(0) lgkmcnt(0)
	v_cmp_lt_i16_e64 s35, v114, v115
	v_cndmask_b32_e64 v114, v71, v80, s35
	v_cndmask_b32_e64 v80, v80, v71, s35
	v_mov_b32_e32 v71, v114
	s_or_b32 exec_lo, exec_lo, s38
	s_and_saveexec_b32 s38, s61
	s_cbranch_execnz .LBB1044_1538
.LBB1044_1059:
	s_or_b32 exec_lo, exec_lo, s38
	s_and_saveexec_b32 s38, s62
	s_cbranch_execz .LBB1044_1539
.LBB1044_1060:
	v_bfe_i32 v114, v67, 0, 16
	v_bfe_i32 v116, v68, 0, 16
	v_ashrrev_i32_e32 v115, 31, v114
	v_ashrrev_i32_e32 v117, 31, v116
	v_lshlrev_b64 v[114:115], 1, v[114:115]
	v_lshlrev_b64 v[116:117], 1, v[116:117]
	v_add_co_u32 v114, s35, v6, v114
	v_add_co_ci_u32_e64 v115, null, v7, v115, s35
	v_add_co_u32 v116, s35, v6, v116
	v_add_co_ci_u32_e64 v117, null, v7, v117, s35
	s_clause 0x1
	flat_load_ushort v114, v[114:115]
	flat_load_ushort v115, v[116:117]
	s_waitcnt vmcnt(0) lgkmcnt(0)
	v_cmp_lt_i16_e64 s35, v114, v115
	v_cndmask_b32_e64 v114, v67, v68, s35
	v_cndmask_b32_e64 v68, v68, v67, s35
	v_mov_b32_e32 v67, v114
	s_or_b32 exec_lo, exec_lo, s38
	s_and_saveexec_b32 s38, s63
	s_cbranch_execnz .LBB1044_1540
.LBB1044_1061:
	s_or_b32 exec_lo, exec_lo, s38
	s_and_saveexec_b32 s38, s72
	s_cbranch_execz .LBB1044_1541
.LBB1044_1062:
	v_bfe_i32 v114, v54, 0, 16
	v_bfe_i32 v116, v55, 0, 16
	v_ashrrev_i32_e32 v115, 31, v114
	v_ashrrev_i32_e32 v117, 31, v116
	v_lshlrev_b64 v[114:115], 1, v[114:115]
	v_lshlrev_b64 v[116:117], 1, v[116:117]
	v_add_co_u32 v114, s35, v6, v114
	v_add_co_ci_u32_e64 v115, null, v7, v115, s35
	v_add_co_u32 v116, s35, v6, v116
	v_add_co_ci_u32_e64 v117, null, v7, v117, s35
	s_clause 0x1
	flat_load_ushort v114, v[114:115]
	flat_load_ushort v115, v[116:117]
	s_waitcnt vmcnt(0) lgkmcnt(0)
	v_cmp_lt_i16_e64 s35, v114, v115
	v_cndmask_b32_e64 v114, v54, v55, s35
	v_cndmask_b32_e64 v55, v55, v54, s35
	v_mov_b32_e32 v54, v114
	s_or_b32 exec_lo, exec_lo, s38
	s_and_saveexec_b32 s38, s73
	s_cbranch_execnz .LBB1044_1542
.LBB1044_1063:
	s_or_b32 exec_lo, exec_lo, s38
	s_and_saveexec_b32 s38, s74
	s_cbranch_execz .LBB1044_1543
.LBB1044_1064:
	v_bfe_i32 v114, v51, 0, 16
	v_bfe_i32 v116, v52, 0, 16
	v_ashrrev_i32_e32 v115, 31, v114
	v_ashrrev_i32_e32 v117, 31, v116
	v_lshlrev_b64 v[114:115], 1, v[114:115]
	v_lshlrev_b64 v[116:117], 1, v[116:117]
	v_add_co_u32 v114, s35, v6, v114
	v_add_co_ci_u32_e64 v115, null, v7, v115, s35
	v_add_co_u32 v116, s35, v6, v116
	v_add_co_ci_u32_e64 v117, null, v7, v117, s35
	s_clause 0x1
	flat_load_ushort v114, v[114:115]
	flat_load_ushort v115, v[116:117]
	s_waitcnt vmcnt(0) lgkmcnt(0)
	v_cmp_lt_i16_e64 s35, v114, v115
	v_cndmask_b32_e64 v114, v52, v51, s35
	v_cndmask_b32_e64 v51, v51, v52, s35
	v_mov_b32_e32 v52, v114
	s_or_b32 exec_lo, exec_lo, s38
	s_and_saveexec_b32 s38, s75
	s_cbranch_execnz .LBB1044_1544
.LBB1044_1065:
	s_or_b32 exec_lo, exec_lo, s38
	s_and_saveexec_b32 s38, s76
	s_cbranch_execz .LBB1044_1545
.LBB1044_1066:
	v_bfe_i32 v114, v48, 0, 16
	v_bfe_i32 v116, v103, 0, 16
	v_ashrrev_i32_e32 v115, 31, v114
	v_ashrrev_i32_e32 v117, 31, v116
	v_lshlrev_b64 v[114:115], 1, v[114:115]
	v_lshlrev_b64 v[116:117], 1, v[116:117]
	v_add_co_u32 v114, s35, v6, v114
	v_add_co_ci_u32_e64 v115, null, v7, v115, s35
	v_add_co_u32 v116, s35, v6, v116
	v_add_co_ci_u32_e64 v117, null, v7, v117, s35
	s_clause 0x1
	flat_load_ushort v114, v[114:115]
	flat_load_ushort v115, v[116:117]
	s_waitcnt vmcnt(0) lgkmcnt(0)
	v_cmp_lt_i16_e64 s35, v114, v115
	v_cndmask_b32_e64 v114, v103, v48, s35
	v_cndmask_b32_e64 v48, v48, v103, s35
	v_mov_b32_e32 v103, v114
	s_or_b32 exec_lo, exec_lo, s38
	s_and_saveexec_b32 s38, s77
	s_cbranch_execnz .LBB1044_1546
.LBB1044_1067:
	s_or_b32 exec_lo, exec_lo, s38
	s_and_saveexec_b32 s38, s78
	s_cbranch_execz .LBB1044_1547
.LBB1044_1068:
	v_bfe_i32 v114, v98, 0, 16
	v_bfe_i32 v116, v100, 0, 16
	v_ashrrev_i32_e32 v115, 31, v114
	v_ashrrev_i32_e32 v117, 31, v116
	v_lshlrev_b64 v[114:115], 1, v[114:115]
	v_lshlrev_b64 v[116:117], 1, v[116:117]
	v_add_co_u32 v114, s35, v6, v114
	v_add_co_ci_u32_e64 v115, null, v7, v115, s35
	v_add_co_u32 v116, s35, v6, v116
	v_add_co_ci_u32_e64 v117, null, v7, v117, s35
	s_clause 0x1
	flat_load_ushort v114, v[114:115]
	flat_load_ushort v115, v[116:117]
	s_waitcnt vmcnt(0) lgkmcnt(0)
	v_cmp_lt_i16_e64 s35, v114, v115
	v_cndmask_b32_e64 v114, v98, v100, s35
	v_cndmask_b32_e64 v100, v100, v98, s35
	v_mov_b32_e32 v98, v114
	s_or_b32 exec_lo, exec_lo, s38
	s_and_saveexec_b32 s38, s79
	s_cbranch_execnz .LBB1044_1548
.LBB1044_1069:
	s_or_b32 exec_lo, exec_lo, s38
	s_and_saveexec_b32 s38, s88
	s_cbranch_execz .LBB1044_1549
.LBB1044_1070:
	v_bfe_i32 v114, v86, 0, 16
	v_bfe_i32 v116, v87, 0, 16
	v_ashrrev_i32_e32 v115, 31, v114
	v_ashrrev_i32_e32 v117, 31, v116
	v_lshlrev_b64 v[114:115], 1, v[114:115]
	v_lshlrev_b64 v[116:117], 1, v[116:117]
	v_add_co_u32 v114, s35, v6, v114
	v_add_co_ci_u32_e64 v115, null, v7, v115, s35
	v_add_co_u32 v116, s35, v6, v116
	v_add_co_ci_u32_e64 v117, null, v7, v117, s35
	s_clause 0x1
	flat_load_ushort v114, v[114:115]
	flat_load_ushort v115, v[116:117]
	s_waitcnt vmcnt(0) lgkmcnt(0)
	v_cmp_lt_i16_e64 s35, v114, v115
	v_cndmask_b32_e64 v114, v86, v87, s35
	v_cndmask_b32_e64 v87, v87, v86, s35
	v_mov_b32_e32 v86, v114
	s_or_b32 exec_lo, exec_lo, s38
	s_and_saveexec_b32 s38, s89
	s_cbranch_execnz .LBB1044_1550
.LBB1044_1071:
	s_or_b32 exec_lo, exec_lo, s38
	s_and_saveexec_b32 s38, s90
	s_cbranch_execz .LBB1044_1551
.LBB1044_1072:
	v_bfe_i32 v114, v82, 0, 16
	v_bfe_i32 v116, v83, 0, 16
	v_ashrrev_i32_e32 v115, 31, v114
	v_ashrrev_i32_e32 v117, 31, v116
	v_lshlrev_b64 v[114:115], 1, v[114:115]
	v_lshlrev_b64 v[116:117], 1, v[116:117]
	v_add_co_u32 v114, s35, v6, v114
	v_add_co_ci_u32_e64 v115, null, v7, v115, s35
	v_add_co_u32 v116, s35, v6, v116
	v_add_co_ci_u32_e64 v117, null, v7, v117, s35
	s_clause 0x1
	flat_load_ushort v114, v[114:115]
	flat_load_ushort v115, v[116:117]
	s_waitcnt vmcnt(0) lgkmcnt(0)
	v_cmp_lt_i16_e64 s35, v114, v115
	v_cndmask_b32_e64 v114, v82, v83, s35
	v_cndmask_b32_e64 v83, v83, v82, s35
	v_mov_b32_e32 v82, v114
	s_or_b32 exec_lo, exec_lo, s38
	s_and_saveexec_b32 s38, s91
	s_cbranch_execnz .LBB1044_1552
.LBB1044_1073:
	s_or_b32 exec_lo, exec_lo, s38
	s_and_saveexec_b32 s38, s92
	s_cbranch_execz .LBB1044_1553
.LBB1044_1074:
	v_bfe_i32 v114, v70, 0, 16
	v_bfe_i32 v116, v71, 0, 16
	v_ashrrev_i32_e32 v115, 31, v114
	v_ashrrev_i32_e32 v117, 31, v116
	v_lshlrev_b64 v[114:115], 1, v[114:115]
	v_lshlrev_b64 v[116:117], 1, v[116:117]
	v_add_co_u32 v114, s35, v6, v114
	v_add_co_ci_u32_e64 v115, null, v7, v115, s35
	v_add_co_u32 v116, s35, v6, v116
	v_add_co_ci_u32_e64 v117, null, v7, v117, s35
	s_clause 0x1
	flat_load_ushort v114, v[114:115]
	flat_load_ushort v115, v[116:117]
	s_waitcnt vmcnt(0) lgkmcnt(0)
	v_cmp_lt_i16_e64 s35, v114, v115
	v_cndmask_b32_e64 v114, v70, v71, s35
	v_cndmask_b32_e64 v71, v71, v70, s35
	v_mov_b32_e32 v70, v114
	s_or_b32 exec_lo, exec_lo, s38
	s_and_saveexec_b32 s38, s93
	s_cbranch_execnz .LBB1044_1554
.LBB1044_1075:
	s_or_b32 exec_lo, exec_lo, s38
	s_and_saveexec_b32 s38, s94
	s_cbranch_execz .LBB1044_1555
.LBB1044_1076:
	v_bfe_i32 v114, v66, 0, 16
	v_bfe_i32 v116, v67, 0, 16
	v_ashrrev_i32_e32 v115, 31, v114
	v_ashrrev_i32_e32 v117, 31, v116
	v_lshlrev_b64 v[114:115], 1, v[114:115]
	v_lshlrev_b64 v[116:117], 1, v[116:117]
	v_add_co_u32 v114, s35, v6, v114
	v_add_co_ci_u32_e64 v115, null, v7, v115, s35
	v_add_co_u32 v116, s35, v6, v116
	v_add_co_ci_u32_e64 v117, null, v7, v117, s35
	s_clause 0x1
	flat_load_ushort v114, v[114:115]
	flat_load_ushort v115, v[116:117]
	s_waitcnt vmcnt(0) lgkmcnt(0)
	v_cmp_lt_i16_e64 s35, v114, v115
	v_cndmask_b32_e64 v114, v66, v67, s35
	v_cndmask_b32_e64 v67, v67, v66, s35
	v_mov_b32_e32 v66, v114
	s_or_b32 exec_lo, exec_lo, s38
	s_and_saveexec_b32 s38, s95
	s_cbranch_execnz .LBB1044_1556
.LBB1044_1077:
	s_or_b32 exec_lo, exec_lo, s38
	s_and_saveexec_b32 s38, vcc_hi
	s_cbranch_execz .LBB1044_1557
.LBB1044_1078:
	v_bfe_i32 v114, v53, 0, 16
	v_bfe_i32 v116, v54, 0, 16
	v_ashrrev_i32_e32 v115, 31, v114
	v_ashrrev_i32_e32 v117, 31, v116
	v_lshlrev_b64 v[114:115], 1, v[114:115]
	v_lshlrev_b64 v[116:117], 1, v[116:117]
	v_add_co_u32 v114, s35, v6, v114
	v_add_co_ci_u32_e64 v115, null, v7, v115, s35
	v_add_co_u32 v116, s35, v6, v116
	v_add_co_ci_u32_e64 v117, null, v7, v117, s35
	s_clause 0x1
	flat_load_ushort v114, v[114:115]
	flat_load_ushort v115, v[116:117]
	s_waitcnt vmcnt(0) lgkmcnt(0)
	v_cmp_lt_i16_e64 s35, v114, v115
	v_cndmask_b32_e64 v114, v53, v54, s35
	v_cndmask_b32_e64 v54, v54, v53, s35
	v_mov_b32_e32 v53, v114
	s_or_b32 exec_lo, exec_lo, s38
	s_and_saveexec_b32 s38, s30
	s_cbranch_execnz .LBB1044_1558
.LBB1044_1079:
	s_or_b32 exec_lo, exec_lo, s38
	s_and_saveexec_b32 s38, s31
	s_cbranch_execz .LBB1044_1559
.LBB1044_1080:
	v_bfe_i32 v114, v50, 0, 16
	v_bfe_i32 v116, v51, 0, 16
	v_ashrrev_i32_e32 v115, 31, v114
	v_ashrrev_i32_e32 v117, 31, v116
	v_lshlrev_b64 v[114:115], 1, v[114:115]
	v_lshlrev_b64 v[116:117], 1, v[116:117]
	v_add_co_u32 v114, s35, v6, v114
	v_add_co_ci_u32_e64 v115, null, v7, v115, s35
	v_add_co_u32 v116, s35, v6, v116
	v_add_co_ci_u32_e64 v117, null, v7, v117, s35
	s_clause 0x1
	flat_load_ushort v114, v[114:115]
	flat_load_ushort v115, v[116:117]
	s_waitcnt vmcnt(0) lgkmcnt(0)
	v_cmp_lt_i16_e64 s35, v114, v115
	v_cndmask_b32_e64 v114, v51, v50, s35
	v_cndmask_b32_e64 v50, v50, v51, s35
	v_mov_b32_e32 v51, v114
	s_or_b32 exec_lo, exec_lo, s38
	s_and_saveexec_b32 s38, s34
	s_cbranch_execnz .LBB1044_1560
.LBB1044_1081:
	s_or_b32 exec_lo, exec_lo, s38
	s_and_saveexec_b32 s38, s8
	s_cbranch_execz .LBB1044_1561
.LBB1044_1082:
	v_bfe_i32 v114, v102, 0, 16
	v_bfe_i32 v116, v99, 0, 16
	v_ashrrev_i32_e32 v115, 31, v114
	v_ashrrev_i32_e32 v117, 31, v116
	v_lshlrev_b64 v[114:115], 1, v[114:115]
	v_lshlrev_b64 v[116:117], 1, v[116:117]
	v_add_co_u32 v114, s35, v6, v114
	v_add_co_ci_u32_e64 v115, null, v7, v115, s35
	v_add_co_u32 v116, s35, v6, v116
	v_add_co_ci_u32_e64 v117, null, v7, v117, s35
	s_clause 0x1
	flat_load_ushort v114, v[114:115]
	flat_load_ushort v115, v[116:117]
	s_waitcnt vmcnt(0) lgkmcnt(0)
	v_cmp_lt_i16_e64 s35, v114, v115
	v_cndmask_b32_e64 v114, v102, v99, s35
	v_cndmask_b32_e64 v99, v99, v102, s35
	v_mov_b32_e32 v102, v114
	s_or_b32 exec_lo, exec_lo, s38
	s_and_saveexec_b32 s38, s9
	s_cbranch_execnz .LBB1044_1562
.LBB1044_1083:
	s_or_b32 exec_lo, exec_lo, s38
	s_and_saveexec_b32 s38, s12
	s_cbranch_execz .LBB1044_1563
.LBB1044_1084:
	v_bfe_i32 v114, v97, 0, 16
	v_bfe_i32 v116, v98, 0, 16
	v_ashrrev_i32_e32 v115, 31, v114
	v_ashrrev_i32_e32 v117, 31, v116
	v_lshlrev_b64 v[114:115], 1, v[114:115]
	v_lshlrev_b64 v[116:117], 1, v[116:117]
	v_add_co_u32 v114, s35, v6, v114
	v_add_co_ci_u32_e64 v115, null, v7, v115, s35
	v_add_co_u32 v116, s35, v6, v116
	v_add_co_ci_u32_e64 v117, null, v7, v117, s35
	s_clause 0x1
	flat_load_ushort v114, v[114:115]
	flat_load_ushort v115, v[116:117]
	s_waitcnt vmcnt(0) lgkmcnt(0)
	v_cmp_lt_i16_e64 s35, v114, v115
	v_cndmask_b32_e64 v114, v97, v98, s35
	v_cndmask_b32_e64 v98, v98, v97, s35
	v_mov_b32_e32 v97, v114
	s_or_b32 exec_lo, exec_lo, s38
	s_and_saveexec_b32 s38, s13
	s_cbranch_execnz .LBB1044_1564
.LBB1044_1085:
	s_or_b32 exec_lo, exec_lo, s38
	s_and_saveexec_b32 s38, s57
	s_cbranch_execz .LBB1044_1565
.LBB1044_1086:
	v_bfe_i32 v114, v85, 0, 16
	v_bfe_i32 v116, v86, 0, 16
	v_ashrrev_i32_e32 v115, 31, v114
	v_ashrrev_i32_e32 v117, 31, v116
	v_lshlrev_b64 v[114:115], 1, v[114:115]
	v_lshlrev_b64 v[116:117], 1, v[116:117]
	v_add_co_u32 v114, s35, v6, v114
	v_add_co_ci_u32_e64 v115, null, v7, v115, s35
	v_add_co_u32 v116, s35, v6, v116
	v_add_co_ci_u32_e64 v117, null, v7, v117, s35
	s_clause 0x1
	flat_load_ushort v114, v[114:115]
	flat_load_ushort v115, v[116:117]
	s_waitcnt vmcnt(0) lgkmcnt(0)
	v_cmp_lt_i16_e64 s35, v114, v115
	v_cndmask_b32_e64 v114, v85, v86, s35
	v_cndmask_b32_e64 v86, v86, v85, s35
	v_mov_b32_e32 v85, v114
	s_or_b32 exec_lo, exec_lo, s38
	s_and_saveexec_b32 s38, s58
	s_cbranch_execnz .LBB1044_1566
.LBB1044_1087:
	s_or_b32 exec_lo, exec_lo, s38
	s_and_saveexec_b32 s38, s59
	s_cbranch_execz .LBB1044_1567
.LBB1044_1088:
	v_bfe_i32 v114, v81, 0, 16
	v_bfe_i32 v116, v82, 0, 16
	v_ashrrev_i32_e32 v115, 31, v114
	v_ashrrev_i32_e32 v117, 31, v116
	v_lshlrev_b64 v[114:115], 1, v[114:115]
	v_lshlrev_b64 v[116:117], 1, v[116:117]
	v_add_co_u32 v114, s35, v6, v114
	v_add_co_ci_u32_e64 v115, null, v7, v115, s35
	v_add_co_u32 v116, s35, v6, v116
	v_add_co_ci_u32_e64 v117, null, v7, v117, s35
	s_clause 0x1
	flat_load_ushort v114, v[114:115]
	flat_load_ushort v115, v[116:117]
	s_waitcnt vmcnt(0) lgkmcnt(0)
	v_cmp_lt_i16_e64 s35, v114, v115
	v_cndmask_b32_e64 v114, v81, v82, s35
	v_cndmask_b32_e64 v82, v82, v81, s35
	v_mov_b32_e32 v81, v114
	s_or_b32 exec_lo, exec_lo, s38
	s_and_saveexec_b32 s38, s60
	s_cbranch_execnz .LBB1044_1568
.LBB1044_1089:
	s_or_b32 exec_lo, exec_lo, s38
	s_and_saveexec_b32 s38, s61
	s_cbranch_execz .LBB1044_1569
.LBB1044_1090:
	v_bfe_i32 v114, v69, 0, 16
	v_bfe_i32 v116, v70, 0, 16
	v_ashrrev_i32_e32 v115, 31, v114
	v_ashrrev_i32_e32 v117, 31, v116
	v_lshlrev_b64 v[114:115], 1, v[114:115]
	v_lshlrev_b64 v[116:117], 1, v[116:117]
	v_add_co_u32 v114, s35, v6, v114
	v_add_co_ci_u32_e64 v115, null, v7, v115, s35
	v_add_co_u32 v116, s35, v6, v116
	v_add_co_ci_u32_e64 v117, null, v7, v117, s35
	s_clause 0x1
	flat_load_ushort v114, v[114:115]
	flat_load_ushort v115, v[116:117]
	s_waitcnt vmcnt(0) lgkmcnt(0)
	v_cmp_lt_i16_e64 s35, v114, v115
	v_cndmask_b32_e64 v114, v69, v70, s35
	v_cndmask_b32_e64 v70, v70, v69, s35
	v_mov_b32_e32 v69, v114
	s_or_b32 exec_lo, exec_lo, s38
	s_and_saveexec_b32 s38, s62
	s_cbranch_execnz .LBB1044_1570
.LBB1044_1091:
	s_or_b32 exec_lo, exec_lo, s38
	s_and_saveexec_b32 s38, s63
	s_cbranch_execz .LBB1044_1571
.LBB1044_1092:
	v_bfe_i32 v114, v65, 0, 16
	v_bfe_i32 v116, v66, 0, 16
	v_ashrrev_i32_e32 v115, 31, v114
	v_ashrrev_i32_e32 v117, 31, v116
	v_lshlrev_b64 v[114:115], 1, v[114:115]
	v_lshlrev_b64 v[116:117], 1, v[116:117]
	v_add_co_u32 v114, s35, v6, v114
	v_add_co_ci_u32_e64 v115, null, v7, v115, s35
	v_add_co_u32 v116, s35, v6, v116
	v_add_co_ci_u32_e64 v117, null, v7, v117, s35
	s_clause 0x1
	flat_load_ushort v114, v[114:115]
	flat_load_ushort v115, v[116:117]
	s_waitcnt vmcnt(0) lgkmcnt(0)
	v_cmp_lt_i16_e64 s35, v114, v115
	v_cndmask_b32_e64 v114, v65, v66, s35
	v_cndmask_b32_e64 v66, v66, v65, s35
	v_mov_b32_e32 v65, v114
	s_or_b32 exec_lo, exec_lo, s38
	s_and_saveexec_b32 s38, s72
	s_cbranch_execnz .LBB1044_1572
.LBB1044_1093:
	s_or_b32 exec_lo, exec_lo, s38
	s_and_saveexec_b32 s38, s73
	s_cbranch_execz .LBB1044_1573
.LBB1044_1094:
	v_bfe_i32 v114, v64, 0, 16
	v_bfe_i32 v116, v53, 0, 16
	v_ashrrev_i32_e32 v115, 31, v114
	v_ashrrev_i32_e32 v117, 31, v116
	v_lshlrev_b64 v[114:115], 1, v[114:115]
	v_lshlrev_b64 v[116:117], 1, v[116:117]
	v_add_co_u32 v114, s35, v6, v114
	v_add_co_ci_u32_e64 v115, null, v7, v115, s35
	v_add_co_u32 v116, s35, v6, v116
	v_add_co_ci_u32_e64 v117, null, v7, v117, s35
	s_clause 0x1
	flat_load_ushort v114, v[114:115]
	flat_load_ushort v115, v[116:117]
	s_waitcnt vmcnt(0) lgkmcnt(0)
	v_cmp_lt_i16_e64 s35, v114, v115
	v_cndmask_b32_e64 v114, v64, v53, s35
	v_cndmask_b32_e64 v53, v53, v64, s35
	v_mov_b32_e32 v64, v114
	s_or_b32 exec_lo, exec_lo, s38
	s_and_saveexec_b32 s38, s74
	s_cbranch_execnz .LBB1044_1574
.LBB1044_1095:
	s_or_b32 exec_lo, exec_lo, s38
	s_and_saveexec_b32 s38, s75
	s_cbranch_execz .LBB1044_1575
.LBB1044_1096:
	v_bfe_i32 v114, v49, 0, 16
	v_bfe_i32 v116, v50, 0, 16
	v_ashrrev_i32_e32 v115, 31, v114
	v_ashrrev_i32_e32 v117, 31, v116
	v_lshlrev_b64 v[114:115], 1, v[114:115]
	v_lshlrev_b64 v[116:117], 1, v[116:117]
	v_add_co_u32 v114, s35, v6, v114
	v_add_co_ci_u32_e64 v115, null, v7, v115, s35
	v_add_co_u32 v116, s35, v6, v116
	v_add_co_ci_u32_e64 v117, null, v7, v117, s35
	s_clause 0x1
	flat_load_ushort v114, v[114:115]
	flat_load_ushort v115, v[116:117]
	s_waitcnt vmcnt(0) lgkmcnt(0)
	v_cmp_lt_i16_e64 s35, v114, v115
	v_cndmask_b32_e64 v114, v50, v49, s35
	v_cndmask_b32_e64 v49, v49, v50, s35
	v_mov_b32_e32 v50, v114
	s_or_b32 exec_lo, exec_lo, s38
	s_and_saveexec_b32 s38, s76
	s_cbranch_execnz .LBB1044_1576
.LBB1044_1097:
	s_or_b32 exec_lo, exec_lo, s38
	s_and_saveexec_b32 s38, s77
	s_cbranch_execz .LBB1044_1577
.LBB1044_1098:
	v_bfe_i32 v114, v101, 0, 16
	v_bfe_i32 v116, v102, 0, 16
	v_ashrrev_i32_e32 v115, 31, v114
	v_ashrrev_i32_e32 v117, 31, v116
	v_lshlrev_b64 v[114:115], 1, v[114:115]
	v_lshlrev_b64 v[116:117], 1, v[116:117]
	v_add_co_u32 v114, s35, v6, v114
	v_add_co_ci_u32_e64 v115, null, v7, v115, s35
	v_add_co_u32 v116, s35, v6, v116
	v_add_co_ci_u32_e64 v117, null, v7, v117, s35
	s_clause 0x1
	flat_load_ushort v114, v[114:115]
	flat_load_ushort v115, v[116:117]
	s_waitcnt vmcnt(0) lgkmcnt(0)
	v_cmp_lt_i16_e64 s35, v114, v115
	v_cndmask_b32_e64 v114, v101, v102, s35
	v_cndmask_b32_e64 v102, v102, v101, s35
	v_mov_b32_e32 v101, v114
	s_or_b32 exec_lo, exec_lo, s38
	s_and_saveexec_b32 s38, s78
	s_cbranch_execnz .LBB1044_1578
.LBB1044_1099:
	s_or_b32 exec_lo, exec_lo, s38
	s_and_saveexec_b32 s38, s79
	s_cbranch_execz .LBB1044_1579
.LBB1044_1100:
	v_bfe_i32 v114, v96, 0, 16
	v_bfe_i32 v116, v97, 0, 16
	v_ashrrev_i32_e32 v115, 31, v114
	v_ashrrev_i32_e32 v117, 31, v116
	v_lshlrev_b64 v[114:115], 1, v[114:115]
	v_lshlrev_b64 v[116:117], 1, v[116:117]
	v_add_co_u32 v114, s35, v6, v114
	v_add_co_ci_u32_e64 v115, null, v7, v115, s35
	v_add_co_u32 v116, s35, v6, v116
	v_add_co_ci_u32_e64 v117, null, v7, v117, s35
	s_clause 0x1
	flat_load_ushort v114, v[114:115]
	flat_load_ushort v115, v[116:117]
	s_waitcnt vmcnt(0) lgkmcnt(0)
	v_cmp_lt_i16_e64 s35, v114, v115
	v_cndmask_b32_e64 v114, v96, v97, s35
	v_cndmask_b32_e64 v97, v97, v96, s35
	v_mov_b32_e32 v96, v114
	s_or_b32 exec_lo, exec_lo, s38
	s_and_saveexec_b32 s38, s88
	s_cbranch_execnz .LBB1044_1580
.LBB1044_1101:
	s_or_b32 exec_lo, exec_lo, s38
	s_and_saveexec_b32 s38, s89
	s_cbranch_execz .LBB1044_1581
.LBB1044_1102:
	v_bfe_i32 v114, v84, 0, 16
	v_bfe_i32 v116, v85, 0, 16
	v_ashrrev_i32_e32 v115, 31, v114
	v_ashrrev_i32_e32 v117, 31, v116
	v_lshlrev_b64 v[114:115], 1, v[114:115]
	v_lshlrev_b64 v[116:117], 1, v[116:117]
	v_add_co_u32 v114, s35, v6, v114
	v_add_co_ci_u32_e64 v115, null, v7, v115, s35
	v_add_co_u32 v116, s35, v6, v116
	v_add_co_ci_u32_e64 v117, null, v7, v117, s35
	s_clause 0x1
	flat_load_ushort v114, v[114:115]
	flat_load_ushort v115, v[116:117]
	s_waitcnt vmcnt(0) lgkmcnt(0)
	v_cmp_lt_i16_e64 s35, v114, v115
	v_cndmask_b32_e64 v114, v84, v85, s35
	v_cndmask_b32_e64 v85, v85, v84, s35
	v_mov_b32_e32 v84, v114
	s_or_b32 exec_lo, exec_lo, s38
	s_and_saveexec_b32 s38, s90
	s_cbranch_execnz .LBB1044_1582
.LBB1044_1103:
	s_or_b32 exec_lo, exec_lo, s38
	s_and_saveexec_b32 s38, s91
	s_cbranch_execz .LBB1044_1583
.LBB1044_1104:
	v_bfe_i32 v114, v80, 0, 16
	v_bfe_i32 v116, v81, 0, 16
	v_ashrrev_i32_e32 v115, 31, v114
	v_ashrrev_i32_e32 v117, 31, v116
	v_lshlrev_b64 v[114:115], 1, v[114:115]
	v_lshlrev_b64 v[116:117], 1, v[116:117]
	v_add_co_u32 v114, s35, v6, v114
	v_add_co_ci_u32_e64 v115, null, v7, v115, s35
	v_add_co_u32 v116, s35, v6, v116
	v_add_co_ci_u32_e64 v117, null, v7, v117, s35
	s_clause 0x1
	flat_load_ushort v114, v[114:115]
	flat_load_ushort v115, v[116:117]
	s_waitcnt vmcnt(0) lgkmcnt(0)
	v_cmp_lt_i16_e64 s35, v114, v115
	v_cndmask_b32_e64 v114, v80, v81, s35
	v_cndmask_b32_e64 v81, v81, v80, s35
	v_mov_b32_e32 v80, v114
	s_or_b32 exec_lo, exec_lo, s38
	s_and_saveexec_b32 s38, s92
	s_cbranch_execnz .LBB1044_1584
.LBB1044_1105:
	s_or_b32 exec_lo, exec_lo, s38
	s_and_saveexec_b32 s38, s93
	s_cbranch_execz .LBB1044_1585
.LBB1044_1106:
	v_bfe_i32 v114, v68, 0, 16
	v_bfe_i32 v116, v69, 0, 16
	v_ashrrev_i32_e32 v115, 31, v114
	v_ashrrev_i32_e32 v117, 31, v116
	v_lshlrev_b64 v[114:115], 1, v[114:115]
	v_lshlrev_b64 v[116:117], 1, v[116:117]
	v_add_co_u32 v114, s35, v6, v114
	v_add_co_ci_u32_e64 v115, null, v7, v115, s35
	v_add_co_u32 v116, s35, v6, v116
	v_add_co_ci_u32_e64 v117, null, v7, v117, s35
	s_clause 0x1
	flat_load_ushort v114, v[114:115]
	flat_load_ushort v115, v[116:117]
	s_waitcnt vmcnt(0) lgkmcnt(0)
	v_cmp_lt_i16_e64 s35, v114, v115
	v_cndmask_b32_e64 v114, v68, v69, s35
	v_cndmask_b32_e64 v69, v69, v68, s35
	v_mov_b32_e32 v68, v114
	s_or_b32 exec_lo, exec_lo, s38
	s_and_saveexec_b32 s38, s94
	s_cbranch_execnz .LBB1044_1586
.LBB1044_1107:
	s_or_b32 exec_lo, exec_lo, s38
	s_and_saveexec_b32 s38, s95
	s_cbranch_execz .LBB1044_1587
.LBB1044_1108:
	v_bfe_i32 v114, v55, 0, 16
	v_bfe_i32 v116, v65, 0, 16
	v_ashrrev_i32_e32 v115, 31, v114
	v_ashrrev_i32_e32 v117, 31, v116
	v_lshlrev_b64 v[114:115], 1, v[114:115]
	v_lshlrev_b64 v[116:117], 1, v[116:117]
	v_add_co_u32 v114, s35, v6, v114
	v_add_co_ci_u32_e64 v115, null, v7, v115, s35
	v_add_co_u32 v116, s35, v6, v116
	v_add_co_ci_u32_e64 v117, null, v7, v117, s35
	s_clause 0x1
	flat_load_ushort v114, v[114:115]
	flat_load_ushort v115, v[116:117]
	s_waitcnt vmcnt(0) lgkmcnt(0)
	v_cmp_lt_i16_e64 s35, v114, v115
	v_cndmask_b32_e64 v114, v55, v65, s35
	v_cndmask_b32_e64 v65, v65, v55, s35
	v_mov_b32_e32 v55, v114
	s_or_b32 exec_lo, exec_lo, s38
	s_and_saveexec_b32 s38, vcc_hi
	s_cbranch_execnz .LBB1044_1588
.LBB1044_1109:
	s_or_b32 exec_lo, exec_lo, s38
	s_and_saveexec_b32 s38, s30
	s_cbranch_execz .LBB1044_1589
.LBB1044_1110:
	v_bfe_i32 v114, v52, 0, 16
	v_bfe_i32 v116, v64, 0, 16
	v_ashrrev_i32_e32 v115, 31, v114
	v_ashrrev_i32_e32 v117, 31, v116
	v_lshlrev_b64 v[114:115], 1, v[114:115]
	v_lshlrev_b64 v[116:117], 1, v[116:117]
	v_add_co_u32 v114, s35, v6, v114
	v_add_co_ci_u32_e64 v115, null, v7, v115, s35
	v_add_co_u32 v116, s35, v6, v116
	v_add_co_ci_u32_e64 v117, null, v7, v117, s35
	s_clause 0x1
	flat_load_ushort v114, v[114:115]
	flat_load_ushort v115, v[116:117]
	s_waitcnt vmcnt(0) lgkmcnt(0)
	v_cmp_lt_i16_e64 s35, v114, v115
	v_cndmask_b32_e64 v114, v64, v52, s35
	v_cndmask_b32_e64 v52, v52, v64, s35
	v_mov_b32_e32 v64, v114
	s_or_b32 exec_lo, exec_lo, s38
	s_and_saveexec_b32 s38, s31
	s_cbranch_execnz .LBB1044_1590
.LBB1044_1111:
	s_or_b32 exec_lo, exec_lo, s38
	s_and_saveexec_b32 s38, s34
	s_cbranch_execz .LBB1044_1591
.LBB1044_1112:
	v_bfe_i32 v114, v103, 0, 16
	v_bfe_i32 v116, v49, 0, 16
	v_ashrrev_i32_e32 v115, 31, v114
	v_ashrrev_i32_e32 v117, 31, v116
	v_lshlrev_b64 v[114:115], 1, v[114:115]
	v_lshlrev_b64 v[116:117], 1, v[116:117]
	v_add_co_u32 v114, s35, v6, v114
	v_add_co_ci_u32_e64 v115, null, v7, v115, s35
	v_add_co_u32 v116, s35, v6, v116
	v_add_co_ci_u32_e64 v117, null, v7, v117, s35
	s_clause 0x1
	flat_load_ushort v114, v[114:115]
	flat_load_ushort v115, v[116:117]
	s_waitcnt vmcnt(0) lgkmcnt(0)
	v_cmp_lt_i16_e64 s35, v114, v115
	v_cndmask_b32_e64 v114, v49, v103, s35
	v_cndmask_b32_e64 v103, v103, v49, s35
	v_mov_b32_e32 v49, v114
	s_or_b32 exec_lo, exec_lo, s38
	s_and_saveexec_b32 s38, s8
	s_cbranch_execnz .LBB1044_1592
.LBB1044_1113:
	s_or_b32 exec_lo, exec_lo, s38
	s_and_saveexec_b32 s38, s9
	s_cbranch_execz .LBB1044_1593
.LBB1044_1114:
	v_bfe_i32 v114, v100, 0, 16
	v_bfe_i32 v116, v101, 0, 16
	v_ashrrev_i32_e32 v115, 31, v114
	v_ashrrev_i32_e32 v117, 31, v116
	v_lshlrev_b64 v[114:115], 1, v[114:115]
	v_lshlrev_b64 v[116:117], 1, v[116:117]
	v_add_co_u32 v114, s35, v6, v114
	v_add_co_ci_u32_e64 v115, null, v7, v115, s35
	v_add_co_u32 v116, s35, v6, v116
	v_add_co_ci_u32_e64 v117, null, v7, v117, s35
	s_clause 0x1
	flat_load_ushort v114, v[114:115]
	flat_load_ushort v115, v[116:117]
	s_waitcnt vmcnt(0) lgkmcnt(0)
	v_cmp_lt_i16_e64 s35, v114, v115
	v_cndmask_b32_e64 v114, v100, v101, s35
	v_cndmask_b32_e64 v101, v101, v100, s35
	v_mov_b32_e32 v100, v114
	s_or_b32 exec_lo, exec_lo, s38
	s_and_saveexec_b32 s38, s12
	s_cbranch_execnz .LBB1044_1594
.LBB1044_1115:
	s_or_b32 exec_lo, exec_lo, s38
	s_and_saveexec_b32 s38, s13
	s_cbranch_execz .LBB1044_1595
.LBB1044_1116:
	v_bfe_i32 v114, v87, 0, 16
	v_bfe_i32 v116, v96, 0, 16
	v_ashrrev_i32_e32 v115, 31, v114
	v_ashrrev_i32_e32 v117, 31, v116
	v_lshlrev_b64 v[114:115], 1, v[114:115]
	v_lshlrev_b64 v[116:117], 1, v[116:117]
	v_add_co_u32 v114, s35, v6, v114
	v_add_co_ci_u32_e64 v115, null, v7, v115, s35
	v_add_co_u32 v116, s35, v6, v116
	v_add_co_ci_u32_e64 v117, null, v7, v117, s35
	s_clause 0x1
	flat_load_ushort v114, v[114:115]
	flat_load_ushort v115, v[116:117]
	s_waitcnt vmcnt(0) lgkmcnt(0)
	v_cmp_lt_i16_e64 s35, v114, v115
	v_cndmask_b32_e64 v114, v87, v96, s35
	v_cndmask_b32_e64 v96, v96, v87, s35
	v_mov_b32_e32 v87, v114
	s_or_b32 exec_lo, exec_lo, s38
	s_and_saveexec_b32 s38, s57
	s_cbranch_execnz .LBB1044_1596
.LBB1044_1117:
	s_or_b32 exec_lo, exec_lo, s38
	s_and_saveexec_b32 s38, s58
	s_cbranch_execz .LBB1044_1597
.LBB1044_1118:
	v_bfe_i32 v114, v83, 0, 16
	v_bfe_i32 v116, v84, 0, 16
	v_ashrrev_i32_e32 v115, 31, v114
	v_ashrrev_i32_e32 v117, 31, v116
	v_lshlrev_b64 v[114:115], 1, v[114:115]
	v_lshlrev_b64 v[116:117], 1, v[116:117]
	v_add_co_u32 v114, s35, v6, v114
	v_add_co_ci_u32_e64 v115, null, v7, v115, s35
	v_add_co_u32 v116, s35, v6, v116
	v_add_co_ci_u32_e64 v117, null, v7, v117, s35
	s_clause 0x1
	flat_load_ushort v114, v[114:115]
	flat_load_ushort v115, v[116:117]
	s_waitcnt vmcnt(0) lgkmcnt(0)
	v_cmp_lt_i16_e64 s35, v114, v115
	v_cndmask_b32_e64 v114, v83, v84, s35
	v_cndmask_b32_e64 v84, v84, v83, s35
	v_mov_b32_e32 v83, v114
	s_or_b32 exec_lo, exec_lo, s38
	s_and_saveexec_b32 s38, s59
	s_cbranch_execnz .LBB1044_1598
.LBB1044_1119:
	s_or_b32 exec_lo, exec_lo, s38
	s_and_saveexec_b32 s38, s60
	s_cbranch_execz .LBB1044_1599
.LBB1044_1120:
	v_bfe_i32 v114, v71, 0, 16
	v_bfe_i32 v116, v80, 0, 16
	v_ashrrev_i32_e32 v115, 31, v114
	v_ashrrev_i32_e32 v117, 31, v116
	v_lshlrev_b64 v[114:115], 1, v[114:115]
	v_lshlrev_b64 v[116:117], 1, v[116:117]
	v_add_co_u32 v114, s35, v6, v114
	v_add_co_ci_u32_e64 v115, null, v7, v115, s35
	v_add_co_u32 v116, s35, v6, v116
	v_add_co_ci_u32_e64 v117, null, v7, v117, s35
	s_clause 0x1
	flat_load_ushort v114, v[114:115]
	flat_load_ushort v115, v[116:117]
	s_waitcnt vmcnt(0) lgkmcnt(0)
	v_cmp_lt_i16_e64 s35, v114, v115
	v_cndmask_b32_e64 v114, v71, v80, s35
	v_cndmask_b32_e64 v80, v80, v71, s35
	v_mov_b32_e32 v71, v114
	s_or_b32 exec_lo, exec_lo, s38
	s_and_saveexec_b32 s38, s61
	s_cbranch_execnz .LBB1044_1600
.LBB1044_1121:
	s_or_b32 exec_lo, exec_lo, s38
	s_and_saveexec_b32 s38, s62
	s_cbranch_execz .LBB1044_1601
.LBB1044_1122:
	v_bfe_i32 v114, v67, 0, 16
	v_bfe_i32 v116, v68, 0, 16
	v_ashrrev_i32_e32 v115, 31, v114
	v_ashrrev_i32_e32 v117, 31, v116
	v_lshlrev_b64 v[114:115], 1, v[114:115]
	v_lshlrev_b64 v[116:117], 1, v[116:117]
	v_add_co_u32 v114, s35, v6, v114
	v_add_co_ci_u32_e64 v115, null, v7, v115, s35
	v_add_co_u32 v116, s35, v6, v116
	v_add_co_ci_u32_e64 v117, null, v7, v117, s35
	s_clause 0x1
	flat_load_ushort v114, v[114:115]
	flat_load_ushort v115, v[116:117]
	s_waitcnt vmcnt(0) lgkmcnt(0)
	v_cmp_lt_i16_e64 s35, v114, v115
	v_cndmask_b32_e64 v114, v67, v68, s35
	v_cndmask_b32_e64 v68, v68, v67, s35
	v_mov_b32_e32 v67, v114
	s_or_b32 exec_lo, exec_lo, s38
	s_and_saveexec_b32 s38, s63
	s_cbranch_execnz .LBB1044_1602
.LBB1044_1123:
	s_or_b32 exec_lo, exec_lo, s38
	s_and_saveexec_b32 s38, s72
	s_cbranch_execz .LBB1044_1603
.LBB1044_1124:
	v_bfe_i32 v114, v54, 0, 16
	v_bfe_i32 v116, v55, 0, 16
	v_ashrrev_i32_e32 v115, 31, v114
	v_ashrrev_i32_e32 v117, 31, v116
	v_lshlrev_b64 v[114:115], 1, v[114:115]
	v_lshlrev_b64 v[116:117], 1, v[116:117]
	v_add_co_u32 v114, s35, v6, v114
	v_add_co_ci_u32_e64 v115, null, v7, v115, s35
	v_add_co_u32 v116, s35, v6, v116
	v_add_co_ci_u32_e64 v117, null, v7, v117, s35
	s_clause 0x1
	flat_load_ushort v114, v[114:115]
	flat_load_ushort v115, v[116:117]
	s_waitcnt vmcnt(0) lgkmcnt(0)
	v_cmp_lt_i16_e64 s35, v114, v115
	v_cndmask_b32_e64 v114, v54, v55, s35
	v_cndmask_b32_e64 v55, v55, v54, s35
	v_mov_b32_e32 v54, v114
	s_or_b32 exec_lo, exec_lo, s38
	s_and_saveexec_b32 s38, s73
	s_cbranch_execnz .LBB1044_1604
.LBB1044_1125:
	s_or_b32 exec_lo, exec_lo, s38
	s_and_saveexec_b32 s38, s74
	s_cbranch_execz .LBB1044_1605
.LBB1044_1126:
	v_bfe_i32 v114, v51, 0, 16
	v_bfe_i32 v116, v52, 0, 16
	v_ashrrev_i32_e32 v115, 31, v114
	v_ashrrev_i32_e32 v117, 31, v116
	v_lshlrev_b64 v[114:115], 1, v[114:115]
	v_lshlrev_b64 v[116:117], 1, v[116:117]
	v_add_co_u32 v114, s35, v6, v114
	v_add_co_ci_u32_e64 v115, null, v7, v115, s35
	v_add_co_u32 v116, s35, v6, v116
	v_add_co_ci_u32_e64 v117, null, v7, v117, s35
	s_clause 0x1
	flat_load_ushort v114, v[114:115]
	flat_load_ushort v115, v[116:117]
	s_waitcnt vmcnt(0) lgkmcnt(0)
	v_cmp_lt_i16_e64 s35, v114, v115
	v_cndmask_b32_e64 v114, v52, v51, s35
	v_cndmask_b32_e64 v51, v51, v52, s35
	v_mov_b32_e32 v52, v114
	s_or_b32 exec_lo, exec_lo, s38
	s_and_saveexec_b32 s38, s75
	s_cbranch_execnz .LBB1044_1606
.LBB1044_1127:
	s_or_b32 exec_lo, exec_lo, s38
	s_and_saveexec_b32 s38, s76
	s_cbranch_execz .LBB1044_1607
.LBB1044_1128:
	v_bfe_i32 v114, v48, 0, 16
	v_bfe_i32 v116, v103, 0, 16
	v_ashrrev_i32_e32 v115, 31, v114
	v_ashrrev_i32_e32 v117, 31, v116
	v_lshlrev_b64 v[114:115], 1, v[114:115]
	v_lshlrev_b64 v[116:117], 1, v[116:117]
	v_add_co_u32 v114, s35, v6, v114
	v_add_co_ci_u32_e64 v115, null, v7, v115, s35
	v_add_co_u32 v116, s35, v6, v116
	v_add_co_ci_u32_e64 v117, null, v7, v117, s35
	s_clause 0x1
	flat_load_ushort v114, v[114:115]
	flat_load_ushort v115, v[116:117]
	s_waitcnt vmcnt(0) lgkmcnt(0)
	v_cmp_lt_i16_e64 s35, v114, v115
	v_cndmask_b32_e64 v114, v103, v48, s35
	v_cndmask_b32_e64 v48, v48, v103, s35
	v_mov_b32_e32 v103, v114
	s_or_b32 exec_lo, exec_lo, s38
	s_and_saveexec_b32 s38, s77
	s_cbranch_execnz .LBB1044_1608
.LBB1044_1129:
	s_or_b32 exec_lo, exec_lo, s38
	s_and_saveexec_b32 s38, s78
	s_cbranch_execz .LBB1044_1609
.LBB1044_1130:
	v_bfe_i32 v114, v98, 0, 16
	v_bfe_i32 v116, v100, 0, 16
	v_ashrrev_i32_e32 v115, 31, v114
	v_ashrrev_i32_e32 v117, 31, v116
	v_lshlrev_b64 v[114:115], 1, v[114:115]
	v_lshlrev_b64 v[116:117], 1, v[116:117]
	v_add_co_u32 v114, s35, v6, v114
	v_add_co_ci_u32_e64 v115, null, v7, v115, s35
	v_add_co_u32 v116, s35, v6, v116
	v_add_co_ci_u32_e64 v117, null, v7, v117, s35
	s_clause 0x1
	flat_load_ushort v114, v[114:115]
	flat_load_ushort v115, v[116:117]
	s_waitcnt vmcnt(0) lgkmcnt(0)
	v_cmp_lt_i16_e64 s35, v114, v115
	v_cndmask_b32_e64 v114, v98, v100, s35
	v_cndmask_b32_e64 v100, v100, v98, s35
	v_mov_b32_e32 v98, v114
	s_or_b32 exec_lo, exec_lo, s38
	s_and_saveexec_b32 s38, s79
	s_cbranch_execnz .LBB1044_1610
.LBB1044_1131:
	s_or_b32 exec_lo, exec_lo, s38
	s_and_saveexec_b32 s38, s88
	s_cbranch_execz .LBB1044_1611
.LBB1044_1132:
	v_bfe_i32 v114, v86, 0, 16
	v_bfe_i32 v116, v87, 0, 16
	v_ashrrev_i32_e32 v115, 31, v114
	v_ashrrev_i32_e32 v117, 31, v116
	v_lshlrev_b64 v[114:115], 1, v[114:115]
	v_lshlrev_b64 v[116:117], 1, v[116:117]
	v_add_co_u32 v114, s35, v6, v114
	v_add_co_ci_u32_e64 v115, null, v7, v115, s35
	v_add_co_u32 v116, s35, v6, v116
	v_add_co_ci_u32_e64 v117, null, v7, v117, s35
	s_clause 0x1
	flat_load_ushort v114, v[114:115]
	flat_load_ushort v115, v[116:117]
	s_waitcnt vmcnt(0) lgkmcnt(0)
	v_cmp_lt_i16_e64 s35, v114, v115
	v_cndmask_b32_e64 v114, v86, v87, s35
	v_cndmask_b32_e64 v87, v87, v86, s35
	v_mov_b32_e32 v86, v114
	s_or_b32 exec_lo, exec_lo, s38
	s_and_saveexec_b32 s38, s89
	s_cbranch_execnz .LBB1044_1612
.LBB1044_1133:
	s_or_b32 exec_lo, exec_lo, s38
	s_and_saveexec_b32 s38, s90
	s_cbranch_execz .LBB1044_1613
.LBB1044_1134:
	v_bfe_i32 v114, v82, 0, 16
	v_bfe_i32 v116, v83, 0, 16
	v_ashrrev_i32_e32 v115, 31, v114
	v_ashrrev_i32_e32 v117, 31, v116
	v_lshlrev_b64 v[114:115], 1, v[114:115]
	v_lshlrev_b64 v[116:117], 1, v[116:117]
	v_add_co_u32 v114, s35, v6, v114
	v_add_co_ci_u32_e64 v115, null, v7, v115, s35
	v_add_co_u32 v116, s35, v6, v116
	v_add_co_ci_u32_e64 v117, null, v7, v117, s35
	s_clause 0x1
	flat_load_ushort v114, v[114:115]
	flat_load_ushort v115, v[116:117]
	s_waitcnt vmcnt(0) lgkmcnt(0)
	v_cmp_lt_i16_e64 s35, v114, v115
	v_cndmask_b32_e64 v114, v82, v83, s35
	v_cndmask_b32_e64 v83, v83, v82, s35
	v_mov_b32_e32 v82, v114
	s_or_b32 exec_lo, exec_lo, s38
	s_and_saveexec_b32 s38, s91
	s_cbranch_execnz .LBB1044_1614
.LBB1044_1135:
	s_or_b32 exec_lo, exec_lo, s38
	s_and_saveexec_b32 s38, s92
	s_cbranch_execz .LBB1044_1615
.LBB1044_1136:
	v_bfe_i32 v114, v70, 0, 16
	v_bfe_i32 v116, v71, 0, 16
	v_ashrrev_i32_e32 v115, 31, v114
	v_ashrrev_i32_e32 v117, 31, v116
	v_lshlrev_b64 v[114:115], 1, v[114:115]
	v_lshlrev_b64 v[116:117], 1, v[116:117]
	v_add_co_u32 v114, s35, v6, v114
	v_add_co_ci_u32_e64 v115, null, v7, v115, s35
	v_add_co_u32 v116, s35, v6, v116
	v_add_co_ci_u32_e64 v117, null, v7, v117, s35
	s_clause 0x1
	flat_load_ushort v114, v[114:115]
	flat_load_ushort v115, v[116:117]
	s_waitcnt vmcnt(0) lgkmcnt(0)
	v_cmp_lt_i16_e64 s35, v114, v115
	v_cndmask_b32_e64 v114, v70, v71, s35
	v_cndmask_b32_e64 v71, v71, v70, s35
	v_mov_b32_e32 v70, v114
	s_or_b32 exec_lo, exec_lo, s38
	s_and_saveexec_b32 s38, s93
	s_cbranch_execnz .LBB1044_1616
.LBB1044_1137:
	s_or_b32 exec_lo, exec_lo, s38
	s_and_saveexec_b32 s38, s94
	s_cbranch_execz .LBB1044_1617
.LBB1044_1138:
	v_bfe_i32 v114, v66, 0, 16
	v_bfe_i32 v116, v67, 0, 16
	v_ashrrev_i32_e32 v115, 31, v114
	v_ashrrev_i32_e32 v117, 31, v116
	v_lshlrev_b64 v[114:115], 1, v[114:115]
	v_lshlrev_b64 v[116:117], 1, v[116:117]
	v_add_co_u32 v114, s35, v6, v114
	v_add_co_ci_u32_e64 v115, null, v7, v115, s35
	v_add_co_u32 v116, s35, v6, v116
	v_add_co_ci_u32_e64 v117, null, v7, v117, s35
	s_clause 0x1
	flat_load_ushort v114, v[114:115]
	flat_load_ushort v115, v[116:117]
	s_waitcnt vmcnt(0) lgkmcnt(0)
	v_cmp_lt_i16_e64 s35, v114, v115
	v_cndmask_b32_e64 v114, v66, v67, s35
	v_cndmask_b32_e64 v67, v67, v66, s35
	v_mov_b32_e32 v66, v114
	s_or_b32 exec_lo, exec_lo, s38
	s_and_saveexec_b32 s38, s95
	s_cbranch_execnz .LBB1044_1618
.LBB1044_1139:
	s_or_b32 exec_lo, exec_lo, s38
	s_and_saveexec_b32 s38, vcc_hi
	s_cbranch_execz .LBB1044_1619
.LBB1044_1140:
	v_bfe_i32 v114, v53, 0, 16
	v_bfe_i32 v116, v54, 0, 16
	v_ashrrev_i32_e32 v115, 31, v114
	v_ashrrev_i32_e32 v117, 31, v116
	v_lshlrev_b64 v[114:115], 1, v[114:115]
	v_lshlrev_b64 v[116:117], 1, v[116:117]
	v_add_co_u32 v114, s35, v6, v114
	v_add_co_ci_u32_e64 v115, null, v7, v115, s35
	v_add_co_u32 v116, s35, v6, v116
	v_add_co_ci_u32_e64 v117, null, v7, v117, s35
	s_clause 0x1
	flat_load_ushort v114, v[114:115]
	flat_load_ushort v115, v[116:117]
	s_waitcnt vmcnt(0) lgkmcnt(0)
	v_cmp_lt_i16_e64 s35, v114, v115
	v_cndmask_b32_e64 v114, v53, v54, s35
	v_cndmask_b32_e64 v54, v54, v53, s35
	v_mov_b32_e32 v53, v114
	s_or_b32 exec_lo, exec_lo, s38
	s_and_saveexec_b32 s38, s30
	s_cbranch_execnz .LBB1044_1620
.LBB1044_1141:
	s_or_b32 exec_lo, exec_lo, s38
	s_and_saveexec_b32 s38, s31
	s_cbranch_execz .LBB1044_1621
.LBB1044_1142:
	v_bfe_i32 v114, v50, 0, 16
	v_bfe_i32 v116, v51, 0, 16
	v_ashrrev_i32_e32 v115, 31, v114
	v_ashrrev_i32_e32 v117, 31, v116
	v_lshlrev_b64 v[114:115], 1, v[114:115]
	v_lshlrev_b64 v[116:117], 1, v[116:117]
	v_add_co_u32 v114, s35, v6, v114
	v_add_co_ci_u32_e64 v115, null, v7, v115, s35
	v_add_co_u32 v116, s35, v6, v116
	v_add_co_ci_u32_e64 v117, null, v7, v117, s35
	s_clause 0x1
	flat_load_ushort v114, v[114:115]
	flat_load_ushort v115, v[116:117]
	s_waitcnt vmcnt(0) lgkmcnt(0)
	v_cmp_lt_i16_e64 s35, v114, v115
	v_cndmask_b32_e64 v114, v51, v50, s35
	v_cndmask_b32_e64 v50, v50, v51, s35
	v_mov_b32_e32 v51, v114
	s_or_b32 exec_lo, exec_lo, s38
	s_and_saveexec_b32 s38, s34
	s_cbranch_execnz .LBB1044_1622
.LBB1044_1143:
	s_or_b32 exec_lo, exec_lo, s38
	s_and_saveexec_b32 s38, s8
	s_cbranch_execz .LBB1044_1623
.LBB1044_1144:
	v_bfe_i32 v114, v102, 0, 16
	v_bfe_i32 v116, v99, 0, 16
	v_ashrrev_i32_e32 v115, 31, v114
	v_ashrrev_i32_e32 v117, 31, v116
	v_lshlrev_b64 v[114:115], 1, v[114:115]
	v_lshlrev_b64 v[116:117], 1, v[116:117]
	v_add_co_u32 v114, s35, v6, v114
	v_add_co_ci_u32_e64 v115, null, v7, v115, s35
	v_add_co_u32 v116, s35, v6, v116
	v_add_co_ci_u32_e64 v117, null, v7, v117, s35
	s_clause 0x1
	flat_load_ushort v114, v[114:115]
	flat_load_ushort v115, v[116:117]
	s_waitcnt vmcnt(0) lgkmcnt(0)
	v_cmp_lt_i16_e64 s35, v114, v115
	v_cndmask_b32_e64 v114, v102, v99, s35
	v_cndmask_b32_e64 v99, v99, v102, s35
	v_mov_b32_e32 v102, v114
	s_or_b32 exec_lo, exec_lo, s38
	s_and_saveexec_b32 s38, s9
	s_cbranch_execnz .LBB1044_1624
.LBB1044_1145:
	s_or_b32 exec_lo, exec_lo, s38
	s_and_saveexec_b32 s38, s12
	s_cbranch_execz .LBB1044_1625
.LBB1044_1146:
	v_bfe_i32 v114, v97, 0, 16
	v_bfe_i32 v116, v98, 0, 16
	v_ashrrev_i32_e32 v115, 31, v114
	v_ashrrev_i32_e32 v117, 31, v116
	v_lshlrev_b64 v[114:115], 1, v[114:115]
	v_lshlrev_b64 v[116:117], 1, v[116:117]
	v_add_co_u32 v114, s35, v6, v114
	v_add_co_ci_u32_e64 v115, null, v7, v115, s35
	v_add_co_u32 v116, s35, v6, v116
	v_add_co_ci_u32_e64 v117, null, v7, v117, s35
	s_clause 0x1
	flat_load_ushort v114, v[114:115]
	flat_load_ushort v115, v[116:117]
	s_waitcnt vmcnt(0) lgkmcnt(0)
	v_cmp_lt_i16_e64 s35, v114, v115
	v_cndmask_b32_e64 v114, v97, v98, s35
	v_cndmask_b32_e64 v98, v98, v97, s35
	v_mov_b32_e32 v97, v114
	s_or_b32 exec_lo, exec_lo, s38
	s_and_saveexec_b32 s38, s13
	s_cbranch_execnz .LBB1044_1626
.LBB1044_1147:
	s_or_b32 exec_lo, exec_lo, s38
	s_and_saveexec_b32 s38, s57
	s_cbranch_execz .LBB1044_1627
.LBB1044_1148:
	v_bfe_i32 v114, v85, 0, 16
	v_bfe_i32 v116, v86, 0, 16
	v_ashrrev_i32_e32 v115, 31, v114
	v_ashrrev_i32_e32 v117, 31, v116
	v_lshlrev_b64 v[114:115], 1, v[114:115]
	v_lshlrev_b64 v[116:117], 1, v[116:117]
	v_add_co_u32 v114, s35, v6, v114
	v_add_co_ci_u32_e64 v115, null, v7, v115, s35
	v_add_co_u32 v116, s35, v6, v116
	v_add_co_ci_u32_e64 v117, null, v7, v117, s35
	s_clause 0x1
	flat_load_ushort v114, v[114:115]
	flat_load_ushort v115, v[116:117]
	s_waitcnt vmcnt(0) lgkmcnt(0)
	v_cmp_lt_i16_e64 s35, v114, v115
	v_cndmask_b32_e64 v114, v85, v86, s35
	v_cndmask_b32_e64 v86, v86, v85, s35
	v_mov_b32_e32 v85, v114
	s_or_b32 exec_lo, exec_lo, s38
	s_and_saveexec_b32 s38, s58
	s_cbranch_execnz .LBB1044_1628
.LBB1044_1149:
	s_or_b32 exec_lo, exec_lo, s38
	s_and_saveexec_b32 s38, s59
	s_cbranch_execz .LBB1044_1629
.LBB1044_1150:
	v_bfe_i32 v114, v81, 0, 16
	v_bfe_i32 v116, v82, 0, 16
	v_ashrrev_i32_e32 v115, 31, v114
	v_ashrrev_i32_e32 v117, 31, v116
	v_lshlrev_b64 v[114:115], 1, v[114:115]
	v_lshlrev_b64 v[116:117], 1, v[116:117]
	v_add_co_u32 v114, s35, v6, v114
	v_add_co_ci_u32_e64 v115, null, v7, v115, s35
	v_add_co_u32 v116, s35, v6, v116
	v_add_co_ci_u32_e64 v117, null, v7, v117, s35
	s_clause 0x1
	flat_load_ushort v114, v[114:115]
	flat_load_ushort v115, v[116:117]
	s_waitcnt vmcnt(0) lgkmcnt(0)
	v_cmp_lt_i16_e64 s35, v114, v115
	v_cndmask_b32_e64 v114, v81, v82, s35
	v_cndmask_b32_e64 v82, v82, v81, s35
	v_mov_b32_e32 v81, v114
	s_or_b32 exec_lo, exec_lo, s38
	s_and_saveexec_b32 s38, s60
	s_cbranch_execnz .LBB1044_1630
.LBB1044_1151:
	s_or_b32 exec_lo, exec_lo, s38
	s_and_saveexec_b32 s38, s61
	s_cbranch_execz .LBB1044_1631
.LBB1044_1152:
	v_bfe_i32 v114, v69, 0, 16
	v_bfe_i32 v116, v70, 0, 16
	v_ashrrev_i32_e32 v115, 31, v114
	v_ashrrev_i32_e32 v117, 31, v116
	v_lshlrev_b64 v[114:115], 1, v[114:115]
	v_lshlrev_b64 v[116:117], 1, v[116:117]
	v_add_co_u32 v114, s35, v6, v114
	v_add_co_ci_u32_e64 v115, null, v7, v115, s35
	v_add_co_u32 v116, s35, v6, v116
	v_add_co_ci_u32_e64 v117, null, v7, v117, s35
	s_clause 0x1
	flat_load_ushort v114, v[114:115]
	flat_load_ushort v115, v[116:117]
	s_waitcnt vmcnt(0) lgkmcnt(0)
	v_cmp_lt_i16_e64 s35, v114, v115
	v_cndmask_b32_e64 v114, v69, v70, s35
	v_cndmask_b32_e64 v70, v70, v69, s35
	v_mov_b32_e32 v69, v114
	s_or_b32 exec_lo, exec_lo, s38
	s_and_saveexec_b32 s38, s62
	s_cbranch_execnz .LBB1044_1632
.LBB1044_1153:
	s_or_b32 exec_lo, exec_lo, s38
	s_and_saveexec_b32 s38, s63
	s_cbranch_execz .LBB1044_1633
.LBB1044_1154:
	v_bfe_i32 v114, v65, 0, 16
	v_bfe_i32 v116, v66, 0, 16
	v_ashrrev_i32_e32 v115, 31, v114
	v_ashrrev_i32_e32 v117, 31, v116
	v_lshlrev_b64 v[114:115], 1, v[114:115]
	v_lshlrev_b64 v[116:117], 1, v[116:117]
	v_add_co_u32 v114, s35, v6, v114
	v_add_co_ci_u32_e64 v115, null, v7, v115, s35
	v_add_co_u32 v116, s35, v6, v116
	v_add_co_ci_u32_e64 v117, null, v7, v117, s35
	s_clause 0x1
	flat_load_ushort v114, v[114:115]
	flat_load_ushort v115, v[116:117]
	s_waitcnt vmcnt(0) lgkmcnt(0)
	v_cmp_lt_i16_e64 s35, v114, v115
	v_cndmask_b32_e64 v114, v65, v66, s35
	v_cndmask_b32_e64 v66, v66, v65, s35
	v_mov_b32_e32 v65, v114
	s_or_b32 exec_lo, exec_lo, s38
	s_and_saveexec_b32 s38, s72
	s_cbranch_execnz .LBB1044_1634
.LBB1044_1155:
	s_or_b32 exec_lo, exec_lo, s38
	s_and_saveexec_b32 s38, s73
	s_cbranch_execz .LBB1044_1635
.LBB1044_1156:
	v_bfe_i32 v114, v64, 0, 16
	v_bfe_i32 v116, v53, 0, 16
	v_ashrrev_i32_e32 v115, 31, v114
	v_ashrrev_i32_e32 v117, 31, v116
	v_lshlrev_b64 v[114:115], 1, v[114:115]
	v_lshlrev_b64 v[116:117], 1, v[116:117]
	v_add_co_u32 v114, s35, v6, v114
	v_add_co_ci_u32_e64 v115, null, v7, v115, s35
	v_add_co_u32 v116, s35, v6, v116
	v_add_co_ci_u32_e64 v117, null, v7, v117, s35
	s_clause 0x1
	flat_load_ushort v114, v[114:115]
	flat_load_ushort v115, v[116:117]
	s_waitcnt vmcnt(0) lgkmcnt(0)
	v_cmp_lt_i16_e64 s35, v114, v115
	v_cndmask_b32_e64 v114, v64, v53, s35
	v_cndmask_b32_e64 v53, v53, v64, s35
	v_mov_b32_e32 v64, v114
	s_or_b32 exec_lo, exec_lo, s38
	s_and_saveexec_b32 s38, s74
	s_cbranch_execnz .LBB1044_1636
.LBB1044_1157:
	s_or_b32 exec_lo, exec_lo, s38
	s_and_saveexec_b32 s38, s75
	s_cbranch_execz .LBB1044_1637
.LBB1044_1158:
	v_bfe_i32 v114, v49, 0, 16
	v_bfe_i32 v116, v50, 0, 16
	v_ashrrev_i32_e32 v115, 31, v114
	v_ashrrev_i32_e32 v117, 31, v116
	v_lshlrev_b64 v[114:115], 1, v[114:115]
	v_lshlrev_b64 v[116:117], 1, v[116:117]
	v_add_co_u32 v114, s35, v6, v114
	v_add_co_ci_u32_e64 v115, null, v7, v115, s35
	v_add_co_u32 v116, s35, v6, v116
	v_add_co_ci_u32_e64 v117, null, v7, v117, s35
	s_clause 0x1
	flat_load_ushort v114, v[114:115]
	flat_load_ushort v115, v[116:117]
	s_waitcnt vmcnt(0) lgkmcnt(0)
	v_cmp_lt_i16_e64 s35, v114, v115
	v_cndmask_b32_e64 v114, v50, v49, s35
	v_cndmask_b32_e64 v49, v49, v50, s35
	v_mov_b32_e32 v50, v114
	s_or_b32 exec_lo, exec_lo, s38
	s_and_saveexec_b32 s38, s76
	s_cbranch_execnz .LBB1044_1638
.LBB1044_1159:
	s_or_b32 exec_lo, exec_lo, s38
	s_and_saveexec_b32 s38, s77
	s_cbranch_execz .LBB1044_1639
.LBB1044_1160:
	v_bfe_i32 v114, v101, 0, 16
	v_bfe_i32 v116, v102, 0, 16
	v_ashrrev_i32_e32 v115, 31, v114
	v_ashrrev_i32_e32 v117, 31, v116
	v_lshlrev_b64 v[114:115], 1, v[114:115]
	v_lshlrev_b64 v[116:117], 1, v[116:117]
	v_add_co_u32 v114, s35, v6, v114
	v_add_co_ci_u32_e64 v115, null, v7, v115, s35
	v_add_co_u32 v116, s35, v6, v116
	v_add_co_ci_u32_e64 v117, null, v7, v117, s35
	s_clause 0x1
	flat_load_ushort v114, v[114:115]
	flat_load_ushort v115, v[116:117]
	s_waitcnt vmcnt(0) lgkmcnt(0)
	v_cmp_lt_i16_e64 s35, v114, v115
	v_cndmask_b32_e64 v114, v101, v102, s35
	v_cndmask_b32_e64 v102, v102, v101, s35
	v_mov_b32_e32 v101, v114
	s_or_b32 exec_lo, exec_lo, s38
	s_and_saveexec_b32 s38, s78
	s_cbranch_execnz .LBB1044_1640
.LBB1044_1161:
	s_or_b32 exec_lo, exec_lo, s38
	s_and_saveexec_b32 s38, s79
	s_cbranch_execz .LBB1044_1641
.LBB1044_1162:
	v_bfe_i32 v114, v96, 0, 16
	v_bfe_i32 v116, v97, 0, 16
	v_ashrrev_i32_e32 v115, 31, v114
	v_ashrrev_i32_e32 v117, 31, v116
	v_lshlrev_b64 v[114:115], 1, v[114:115]
	v_lshlrev_b64 v[116:117], 1, v[116:117]
	v_add_co_u32 v114, s35, v6, v114
	v_add_co_ci_u32_e64 v115, null, v7, v115, s35
	v_add_co_u32 v116, s35, v6, v116
	v_add_co_ci_u32_e64 v117, null, v7, v117, s35
	s_clause 0x1
	flat_load_ushort v114, v[114:115]
	flat_load_ushort v115, v[116:117]
	s_waitcnt vmcnt(0) lgkmcnt(0)
	v_cmp_lt_i16_e64 s35, v114, v115
	v_cndmask_b32_e64 v114, v96, v97, s35
	v_cndmask_b32_e64 v97, v97, v96, s35
	v_mov_b32_e32 v96, v114
	s_or_b32 exec_lo, exec_lo, s38
	s_and_saveexec_b32 s38, s88
	s_cbranch_execnz .LBB1044_1642
.LBB1044_1163:
	s_or_b32 exec_lo, exec_lo, s38
	s_and_saveexec_b32 s38, s89
	s_cbranch_execz .LBB1044_1643
.LBB1044_1164:
	v_bfe_i32 v114, v84, 0, 16
	v_bfe_i32 v116, v85, 0, 16
	v_ashrrev_i32_e32 v115, 31, v114
	v_ashrrev_i32_e32 v117, 31, v116
	v_lshlrev_b64 v[114:115], 1, v[114:115]
	v_lshlrev_b64 v[116:117], 1, v[116:117]
	v_add_co_u32 v114, s35, v6, v114
	v_add_co_ci_u32_e64 v115, null, v7, v115, s35
	v_add_co_u32 v116, s35, v6, v116
	v_add_co_ci_u32_e64 v117, null, v7, v117, s35
	s_clause 0x1
	flat_load_ushort v114, v[114:115]
	flat_load_ushort v115, v[116:117]
	s_waitcnt vmcnt(0) lgkmcnt(0)
	v_cmp_lt_i16_e64 s35, v114, v115
	v_cndmask_b32_e64 v114, v84, v85, s35
	v_cndmask_b32_e64 v85, v85, v84, s35
	v_mov_b32_e32 v84, v114
	s_or_b32 exec_lo, exec_lo, s38
	s_and_saveexec_b32 s38, s90
	s_cbranch_execnz .LBB1044_1644
.LBB1044_1165:
	s_or_b32 exec_lo, exec_lo, s38
	s_and_saveexec_b32 s38, s91
	s_cbranch_execz .LBB1044_1645
.LBB1044_1166:
	v_bfe_i32 v114, v80, 0, 16
	v_bfe_i32 v116, v81, 0, 16
	v_ashrrev_i32_e32 v115, 31, v114
	v_ashrrev_i32_e32 v117, 31, v116
	v_lshlrev_b64 v[114:115], 1, v[114:115]
	v_lshlrev_b64 v[116:117], 1, v[116:117]
	v_add_co_u32 v114, s35, v6, v114
	v_add_co_ci_u32_e64 v115, null, v7, v115, s35
	v_add_co_u32 v116, s35, v6, v116
	v_add_co_ci_u32_e64 v117, null, v7, v117, s35
	s_clause 0x1
	flat_load_ushort v114, v[114:115]
	flat_load_ushort v115, v[116:117]
	s_waitcnt vmcnt(0) lgkmcnt(0)
	v_cmp_lt_i16_e64 s35, v114, v115
	v_cndmask_b32_e64 v114, v80, v81, s35
	v_cndmask_b32_e64 v81, v81, v80, s35
	v_mov_b32_e32 v80, v114
	s_or_b32 exec_lo, exec_lo, s38
	s_and_saveexec_b32 s38, s92
	s_cbranch_execnz .LBB1044_1646
.LBB1044_1167:
	s_or_b32 exec_lo, exec_lo, s38
	s_and_saveexec_b32 s38, s93
	s_cbranch_execz .LBB1044_1647
.LBB1044_1168:
	v_bfe_i32 v114, v68, 0, 16
	v_bfe_i32 v116, v69, 0, 16
	v_ashrrev_i32_e32 v115, 31, v114
	v_ashrrev_i32_e32 v117, 31, v116
	v_lshlrev_b64 v[114:115], 1, v[114:115]
	v_lshlrev_b64 v[116:117], 1, v[116:117]
	v_add_co_u32 v114, s35, v6, v114
	v_add_co_ci_u32_e64 v115, null, v7, v115, s35
	v_add_co_u32 v116, s35, v6, v116
	v_add_co_ci_u32_e64 v117, null, v7, v117, s35
	s_clause 0x1
	flat_load_ushort v114, v[114:115]
	flat_load_ushort v115, v[116:117]
	s_waitcnt vmcnt(0) lgkmcnt(0)
	v_cmp_lt_i16_e64 s35, v114, v115
	v_cndmask_b32_e64 v114, v68, v69, s35
	v_cndmask_b32_e64 v69, v69, v68, s35
	v_mov_b32_e32 v68, v114
	s_or_b32 exec_lo, exec_lo, s38
	s_and_saveexec_b32 s38, s94
	s_cbranch_execnz .LBB1044_1648
.LBB1044_1169:
	s_or_b32 exec_lo, exec_lo, s38
	s_and_saveexec_b32 s38, s95
	s_cbranch_execz .LBB1044_1649
.LBB1044_1170:
	v_bfe_i32 v114, v55, 0, 16
	v_bfe_i32 v116, v65, 0, 16
	v_ashrrev_i32_e32 v115, 31, v114
	v_ashrrev_i32_e32 v117, 31, v116
	v_lshlrev_b64 v[114:115], 1, v[114:115]
	v_lshlrev_b64 v[116:117], 1, v[116:117]
	v_add_co_u32 v114, s35, v6, v114
	v_add_co_ci_u32_e64 v115, null, v7, v115, s35
	v_add_co_u32 v116, s35, v6, v116
	v_add_co_ci_u32_e64 v117, null, v7, v117, s35
	s_clause 0x1
	flat_load_ushort v114, v[114:115]
	flat_load_ushort v115, v[116:117]
	s_waitcnt vmcnt(0) lgkmcnt(0)
	v_cmp_lt_i16_e64 s35, v114, v115
	v_cndmask_b32_e64 v114, v55, v65, s35
	v_cndmask_b32_e64 v65, v65, v55, s35
	v_mov_b32_e32 v55, v114
	s_or_b32 exec_lo, exec_lo, s38
	s_and_saveexec_b32 s38, vcc_hi
	s_cbranch_execnz .LBB1044_1650
.LBB1044_1171:
	s_or_b32 exec_lo, exec_lo, s38
	s_and_saveexec_b32 s38, s30
	s_cbranch_execz .LBB1044_1651
.LBB1044_1172:
	v_bfe_i32 v114, v52, 0, 16
	v_bfe_i32 v116, v64, 0, 16
	v_ashrrev_i32_e32 v115, 31, v114
	v_ashrrev_i32_e32 v117, 31, v116
	v_lshlrev_b64 v[114:115], 1, v[114:115]
	v_lshlrev_b64 v[116:117], 1, v[116:117]
	v_add_co_u32 v114, s35, v6, v114
	v_add_co_ci_u32_e64 v115, null, v7, v115, s35
	v_add_co_u32 v116, s35, v6, v116
	v_add_co_ci_u32_e64 v117, null, v7, v117, s35
	s_clause 0x1
	flat_load_ushort v114, v[114:115]
	flat_load_ushort v115, v[116:117]
	s_waitcnt vmcnt(0) lgkmcnt(0)
	v_cmp_lt_i16_e64 s35, v114, v115
	v_cndmask_b32_e64 v114, v64, v52, s35
	v_cndmask_b32_e64 v52, v52, v64, s35
	v_mov_b32_e32 v64, v114
	s_or_b32 exec_lo, exec_lo, s38
	s_and_saveexec_b32 s38, s31
	s_cbranch_execnz .LBB1044_1652
.LBB1044_1173:
	s_or_b32 exec_lo, exec_lo, s38
	s_and_saveexec_b32 s38, s34
	s_cbranch_execz .LBB1044_1653
.LBB1044_1174:
	v_bfe_i32 v114, v103, 0, 16
	v_bfe_i32 v116, v49, 0, 16
	v_ashrrev_i32_e32 v115, 31, v114
	v_ashrrev_i32_e32 v117, 31, v116
	v_lshlrev_b64 v[114:115], 1, v[114:115]
	v_lshlrev_b64 v[116:117], 1, v[116:117]
	v_add_co_u32 v114, s35, v6, v114
	v_add_co_ci_u32_e64 v115, null, v7, v115, s35
	v_add_co_u32 v116, s35, v6, v116
	v_add_co_ci_u32_e64 v117, null, v7, v117, s35
	s_clause 0x1
	flat_load_ushort v114, v[114:115]
	flat_load_ushort v115, v[116:117]
	s_waitcnt vmcnt(0) lgkmcnt(0)
	v_cmp_lt_i16_e64 s35, v114, v115
	v_cndmask_b32_e64 v114, v49, v103, s35
	v_cndmask_b32_e64 v103, v103, v49, s35
	v_mov_b32_e32 v49, v114
	s_or_b32 exec_lo, exec_lo, s38
	s_and_saveexec_b32 s38, s8
	s_cbranch_execnz .LBB1044_1654
.LBB1044_1175:
	s_or_b32 exec_lo, exec_lo, s38
	s_and_saveexec_b32 s38, s9
	s_cbranch_execz .LBB1044_1655
.LBB1044_1176:
	v_bfe_i32 v114, v100, 0, 16
	v_bfe_i32 v116, v101, 0, 16
	v_ashrrev_i32_e32 v115, 31, v114
	v_ashrrev_i32_e32 v117, 31, v116
	v_lshlrev_b64 v[114:115], 1, v[114:115]
	v_lshlrev_b64 v[116:117], 1, v[116:117]
	v_add_co_u32 v114, s35, v6, v114
	v_add_co_ci_u32_e64 v115, null, v7, v115, s35
	v_add_co_u32 v116, s35, v6, v116
	v_add_co_ci_u32_e64 v117, null, v7, v117, s35
	s_clause 0x1
	flat_load_ushort v114, v[114:115]
	flat_load_ushort v115, v[116:117]
	s_waitcnt vmcnt(0) lgkmcnt(0)
	v_cmp_lt_i16_e64 s35, v114, v115
	v_cndmask_b32_e64 v114, v100, v101, s35
	v_cndmask_b32_e64 v101, v101, v100, s35
	v_mov_b32_e32 v100, v114
	s_or_b32 exec_lo, exec_lo, s38
	s_and_saveexec_b32 s38, s12
	s_cbranch_execnz .LBB1044_1656
.LBB1044_1177:
	s_or_b32 exec_lo, exec_lo, s38
	s_and_saveexec_b32 s38, s13
	s_cbranch_execz .LBB1044_1657
.LBB1044_1178:
	v_bfe_i32 v114, v87, 0, 16
	v_bfe_i32 v116, v96, 0, 16
	v_ashrrev_i32_e32 v115, 31, v114
	v_ashrrev_i32_e32 v117, 31, v116
	v_lshlrev_b64 v[114:115], 1, v[114:115]
	v_lshlrev_b64 v[116:117], 1, v[116:117]
	v_add_co_u32 v114, s35, v6, v114
	v_add_co_ci_u32_e64 v115, null, v7, v115, s35
	v_add_co_u32 v116, s35, v6, v116
	v_add_co_ci_u32_e64 v117, null, v7, v117, s35
	s_clause 0x1
	flat_load_ushort v114, v[114:115]
	flat_load_ushort v115, v[116:117]
	s_waitcnt vmcnt(0) lgkmcnt(0)
	v_cmp_lt_i16_e64 s35, v114, v115
	v_cndmask_b32_e64 v114, v87, v96, s35
	v_cndmask_b32_e64 v96, v96, v87, s35
	v_mov_b32_e32 v87, v114
	s_or_b32 exec_lo, exec_lo, s38
	s_and_saveexec_b32 s38, s57
	s_cbranch_execnz .LBB1044_1658
.LBB1044_1179:
	s_or_b32 exec_lo, exec_lo, s38
	s_and_saveexec_b32 s38, s58
	s_cbranch_execz .LBB1044_1659
.LBB1044_1180:
	v_bfe_i32 v114, v83, 0, 16
	v_bfe_i32 v116, v84, 0, 16
	v_ashrrev_i32_e32 v115, 31, v114
	v_ashrrev_i32_e32 v117, 31, v116
	v_lshlrev_b64 v[114:115], 1, v[114:115]
	v_lshlrev_b64 v[116:117], 1, v[116:117]
	v_add_co_u32 v114, s35, v6, v114
	v_add_co_ci_u32_e64 v115, null, v7, v115, s35
	v_add_co_u32 v116, s35, v6, v116
	v_add_co_ci_u32_e64 v117, null, v7, v117, s35
	s_clause 0x1
	flat_load_ushort v114, v[114:115]
	flat_load_ushort v115, v[116:117]
	s_waitcnt vmcnt(0) lgkmcnt(0)
	v_cmp_lt_i16_e64 s35, v114, v115
	v_cndmask_b32_e64 v114, v83, v84, s35
	v_cndmask_b32_e64 v84, v84, v83, s35
	v_mov_b32_e32 v83, v114
	s_or_b32 exec_lo, exec_lo, s38
	s_and_saveexec_b32 s38, s59
	s_cbranch_execnz .LBB1044_1660
.LBB1044_1181:
	s_or_b32 exec_lo, exec_lo, s38
	s_and_saveexec_b32 s38, s60
	s_cbranch_execz .LBB1044_1661
.LBB1044_1182:
	v_bfe_i32 v114, v71, 0, 16
	v_bfe_i32 v116, v80, 0, 16
	v_ashrrev_i32_e32 v115, 31, v114
	v_ashrrev_i32_e32 v117, 31, v116
	v_lshlrev_b64 v[114:115], 1, v[114:115]
	v_lshlrev_b64 v[116:117], 1, v[116:117]
	v_add_co_u32 v114, s35, v6, v114
	v_add_co_ci_u32_e64 v115, null, v7, v115, s35
	v_add_co_u32 v116, s35, v6, v116
	v_add_co_ci_u32_e64 v117, null, v7, v117, s35
	s_clause 0x1
	flat_load_ushort v114, v[114:115]
	flat_load_ushort v115, v[116:117]
	s_waitcnt vmcnt(0) lgkmcnt(0)
	v_cmp_lt_i16_e64 s35, v114, v115
	v_cndmask_b32_e64 v114, v71, v80, s35
	v_cndmask_b32_e64 v80, v80, v71, s35
	v_mov_b32_e32 v71, v114
	s_or_b32 exec_lo, exec_lo, s38
	s_and_saveexec_b32 s38, s61
	s_cbranch_execnz .LBB1044_1662
.LBB1044_1183:
	s_or_b32 exec_lo, exec_lo, s38
	s_and_saveexec_b32 s38, s62
	s_cbranch_execz .LBB1044_1663
.LBB1044_1184:
	v_bfe_i32 v114, v67, 0, 16
	v_bfe_i32 v116, v68, 0, 16
	v_ashrrev_i32_e32 v115, 31, v114
	v_ashrrev_i32_e32 v117, 31, v116
	v_lshlrev_b64 v[114:115], 1, v[114:115]
	v_lshlrev_b64 v[116:117], 1, v[116:117]
	v_add_co_u32 v114, s35, v6, v114
	v_add_co_ci_u32_e64 v115, null, v7, v115, s35
	v_add_co_u32 v116, s35, v6, v116
	v_add_co_ci_u32_e64 v117, null, v7, v117, s35
	s_clause 0x1
	flat_load_ushort v114, v[114:115]
	flat_load_ushort v115, v[116:117]
	s_waitcnt vmcnt(0) lgkmcnt(0)
	v_cmp_lt_i16_e64 s35, v114, v115
	v_cndmask_b32_e64 v114, v67, v68, s35
	v_cndmask_b32_e64 v68, v68, v67, s35
	v_mov_b32_e32 v67, v114
	s_or_b32 exec_lo, exec_lo, s38
	s_and_saveexec_b32 s38, s63
	s_cbranch_execnz .LBB1044_1664
.LBB1044_1185:
	s_or_b32 exec_lo, exec_lo, s38
	s_and_saveexec_b32 s38, s72
	s_cbranch_execz .LBB1044_1665
.LBB1044_1186:
	v_bfe_i32 v114, v54, 0, 16
	v_bfe_i32 v116, v55, 0, 16
	v_ashrrev_i32_e32 v115, 31, v114
	v_ashrrev_i32_e32 v117, 31, v116
	v_lshlrev_b64 v[114:115], 1, v[114:115]
	v_lshlrev_b64 v[116:117], 1, v[116:117]
	v_add_co_u32 v114, s35, v6, v114
	v_add_co_ci_u32_e64 v115, null, v7, v115, s35
	v_add_co_u32 v116, s35, v6, v116
	v_add_co_ci_u32_e64 v117, null, v7, v117, s35
	s_clause 0x1
	flat_load_ushort v114, v[114:115]
	flat_load_ushort v115, v[116:117]
	s_waitcnt vmcnt(0) lgkmcnt(0)
	v_cmp_lt_i16_e64 s35, v114, v115
	v_cndmask_b32_e64 v114, v54, v55, s35
	v_cndmask_b32_e64 v55, v55, v54, s35
	v_mov_b32_e32 v54, v114
	s_or_b32 exec_lo, exec_lo, s38
	s_and_saveexec_b32 s38, s73
	s_cbranch_execnz .LBB1044_1666
.LBB1044_1187:
	s_or_b32 exec_lo, exec_lo, s38
	s_and_saveexec_b32 s38, s74
	s_cbranch_execz .LBB1044_1667
.LBB1044_1188:
	v_bfe_i32 v114, v51, 0, 16
	v_bfe_i32 v116, v52, 0, 16
	v_ashrrev_i32_e32 v115, 31, v114
	v_ashrrev_i32_e32 v117, 31, v116
	v_lshlrev_b64 v[114:115], 1, v[114:115]
	v_lshlrev_b64 v[116:117], 1, v[116:117]
	v_add_co_u32 v114, s35, v6, v114
	v_add_co_ci_u32_e64 v115, null, v7, v115, s35
	v_add_co_u32 v116, s35, v6, v116
	v_add_co_ci_u32_e64 v117, null, v7, v117, s35
	s_clause 0x1
	flat_load_ushort v114, v[114:115]
	flat_load_ushort v115, v[116:117]
	s_waitcnt vmcnt(0) lgkmcnt(0)
	v_cmp_lt_i16_e64 s35, v114, v115
	v_cndmask_b32_e64 v114, v52, v51, s35
	v_cndmask_b32_e64 v51, v51, v52, s35
	v_mov_b32_e32 v52, v114
	s_or_b32 exec_lo, exec_lo, s38
	s_and_saveexec_b32 s38, s75
	s_cbranch_execnz .LBB1044_1668
.LBB1044_1189:
	s_or_b32 exec_lo, exec_lo, s38
	s_and_saveexec_b32 s38, s76
	s_cbranch_execz .LBB1044_1669
.LBB1044_1190:
	v_bfe_i32 v114, v48, 0, 16
	v_bfe_i32 v116, v103, 0, 16
	v_ashrrev_i32_e32 v115, 31, v114
	v_ashrrev_i32_e32 v117, 31, v116
	v_lshlrev_b64 v[114:115], 1, v[114:115]
	v_lshlrev_b64 v[116:117], 1, v[116:117]
	v_add_co_u32 v114, s35, v6, v114
	v_add_co_ci_u32_e64 v115, null, v7, v115, s35
	v_add_co_u32 v116, s35, v6, v116
	v_add_co_ci_u32_e64 v117, null, v7, v117, s35
	s_clause 0x1
	flat_load_ushort v114, v[114:115]
	flat_load_ushort v115, v[116:117]
	s_waitcnt vmcnt(0) lgkmcnt(0)
	v_cmp_lt_i16_e64 s35, v114, v115
	v_cndmask_b32_e64 v114, v103, v48, s35
	v_cndmask_b32_e64 v48, v48, v103, s35
	v_mov_b32_e32 v103, v114
	s_or_b32 exec_lo, exec_lo, s38
	s_and_saveexec_b32 s38, s77
	s_cbranch_execnz .LBB1044_1670
.LBB1044_1191:
	s_or_b32 exec_lo, exec_lo, s38
	s_and_saveexec_b32 s38, s78
	s_cbranch_execz .LBB1044_1671
.LBB1044_1192:
	v_bfe_i32 v114, v98, 0, 16
	v_bfe_i32 v116, v100, 0, 16
	v_ashrrev_i32_e32 v115, 31, v114
	v_ashrrev_i32_e32 v117, 31, v116
	v_lshlrev_b64 v[114:115], 1, v[114:115]
	v_lshlrev_b64 v[116:117], 1, v[116:117]
	v_add_co_u32 v114, s35, v6, v114
	v_add_co_ci_u32_e64 v115, null, v7, v115, s35
	v_add_co_u32 v116, s35, v6, v116
	v_add_co_ci_u32_e64 v117, null, v7, v117, s35
	s_clause 0x1
	flat_load_ushort v114, v[114:115]
	flat_load_ushort v115, v[116:117]
	s_waitcnt vmcnt(0) lgkmcnt(0)
	v_cmp_lt_i16_e64 s35, v114, v115
	v_cndmask_b32_e64 v114, v98, v100, s35
	v_cndmask_b32_e64 v100, v100, v98, s35
	v_mov_b32_e32 v98, v114
	s_or_b32 exec_lo, exec_lo, s38
	s_and_saveexec_b32 s38, s79
	s_cbranch_execnz .LBB1044_1672
.LBB1044_1193:
	s_or_b32 exec_lo, exec_lo, s38
	s_and_saveexec_b32 s38, s88
	s_cbranch_execz .LBB1044_1673
.LBB1044_1194:
	v_bfe_i32 v114, v86, 0, 16
	v_bfe_i32 v116, v87, 0, 16
	v_ashrrev_i32_e32 v115, 31, v114
	v_ashrrev_i32_e32 v117, 31, v116
	v_lshlrev_b64 v[114:115], 1, v[114:115]
	v_lshlrev_b64 v[116:117], 1, v[116:117]
	v_add_co_u32 v114, s35, v6, v114
	v_add_co_ci_u32_e64 v115, null, v7, v115, s35
	v_add_co_u32 v116, s35, v6, v116
	v_add_co_ci_u32_e64 v117, null, v7, v117, s35
	s_clause 0x1
	flat_load_ushort v114, v[114:115]
	flat_load_ushort v115, v[116:117]
	s_waitcnt vmcnt(0) lgkmcnt(0)
	v_cmp_lt_i16_e64 s35, v114, v115
	v_cndmask_b32_e64 v114, v86, v87, s35
	v_cndmask_b32_e64 v87, v87, v86, s35
	v_mov_b32_e32 v86, v114
	s_or_b32 exec_lo, exec_lo, s38
	s_and_saveexec_b32 s38, s89
	s_cbranch_execnz .LBB1044_1674
.LBB1044_1195:
	s_or_b32 exec_lo, exec_lo, s38
	s_and_saveexec_b32 s38, s90
	s_cbranch_execz .LBB1044_1675
.LBB1044_1196:
	v_bfe_i32 v114, v82, 0, 16
	v_bfe_i32 v116, v83, 0, 16
	v_ashrrev_i32_e32 v115, 31, v114
	v_ashrrev_i32_e32 v117, 31, v116
	v_lshlrev_b64 v[114:115], 1, v[114:115]
	v_lshlrev_b64 v[116:117], 1, v[116:117]
	v_add_co_u32 v114, s35, v6, v114
	v_add_co_ci_u32_e64 v115, null, v7, v115, s35
	v_add_co_u32 v116, s35, v6, v116
	v_add_co_ci_u32_e64 v117, null, v7, v117, s35
	s_clause 0x1
	flat_load_ushort v114, v[114:115]
	flat_load_ushort v115, v[116:117]
	s_waitcnt vmcnt(0) lgkmcnt(0)
	v_cmp_lt_i16_e64 s35, v114, v115
	v_cndmask_b32_e64 v114, v82, v83, s35
	v_cndmask_b32_e64 v83, v83, v82, s35
	v_mov_b32_e32 v82, v114
	s_or_b32 exec_lo, exec_lo, s38
	s_and_saveexec_b32 s38, s91
	s_cbranch_execnz .LBB1044_1676
.LBB1044_1197:
	s_or_b32 exec_lo, exec_lo, s38
	s_and_saveexec_b32 s38, s92
	s_cbranch_execz .LBB1044_1677
.LBB1044_1198:
	v_bfe_i32 v114, v70, 0, 16
	v_bfe_i32 v116, v71, 0, 16
	v_ashrrev_i32_e32 v115, 31, v114
	v_ashrrev_i32_e32 v117, 31, v116
	v_lshlrev_b64 v[114:115], 1, v[114:115]
	v_lshlrev_b64 v[116:117], 1, v[116:117]
	v_add_co_u32 v114, s35, v6, v114
	v_add_co_ci_u32_e64 v115, null, v7, v115, s35
	v_add_co_u32 v116, s35, v6, v116
	v_add_co_ci_u32_e64 v117, null, v7, v117, s35
	s_clause 0x1
	flat_load_ushort v114, v[114:115]
	flat_load_ushort v115, v[116:117]
	s_waitcnt vmcnt(0) lgkmcnt(0)
	v_cmp_lt_i16_e64 s35, v114, v115
	v_cndmask_b32_e64 v114, v70, v71, s35
	v_cndmask_b32_e64 v71, v71, v70, s35
	v_mov_b32_e32 v70, v114
	s_or_b32 exec_lo, exec_lo, s38
	s_and_saveexec_b32 s38, s93
	s_cbranch_execnz .LBB1044_1678
.LBB1044_1199:
	s_or_b32 exec_lo, exec_lo, s38
	s_and_saveexec_b32 s38, s94
	s_cbranch_execz .LBB1044_1679
.LBB1044_1200:
	v_bfe_i32 v114, v66, 0, 16
	v_bfe_i32 v116, v67, 0, 16
	v_ashrrev_i32_e32 v115, 31, v114
	v_ashrrev_i32_e32 v117, 31, v116
	v_lshlrev_b64 v[114:115], 1, v[114:115]
	v_lshlrev_b64 v[116:117], 1, v[116:117]
	v_add_co_u32 v114, s35, v6, v114
	v_add_co_ci_u32_e64 v115, null, v7, v115, s35
	v_add_co_u32 v116, s35, v6, v116
	v_add_co_ci_u32_e64 v117, null, v7, v117, s35
	s_clause 0x1
	flat_load_ushort v114, v[114:115]
	flat_load_ushort v115, v[116:117]
	s_waitcnt vmcnt(0) lgkmcnt(0)
	v_cmp_lt_i16_e64 s35, v114, v115
	v_cndmask_b32_e64 v114, v66, v67, s35
	v_cndmask_b32_e64 v67, v67, v66, s35
	v_mov_b32_e32 v66, v114
	s_or_b32 exec_lo, exec_lo, s38
	s_and_saveexec_b32 s38, s95
	s_cbranch_execnz .LBB1044_1680
.LBB1044_1201:
	s_or_b32 exec_lo, exec_lo, s38
	s_and_saveexec_b32 s38, vcc_hi
	s_cbranch_execz .LBB1044_1681
.LBB1044_1202:
	v_bfe_i32 v114, v53, 0, 16
	v_bfe_i32 v116, v54, 0, 16
	v_ashrrev_i32_e32 v115, 31, v114
	v_ashrrev_i32_e32 v117, 31, v116
	v_lshlrev_b64 v[114:115], 1, v[114:115]
	v_lshlrev_b64 v[116:117], 1, v[116:117]
	v_add_co_u32 v114, s35, v6, v114
	v_add_co_ci_u32_e64 v115, null, v7, v115, s35
	v_add_co_u32 v116, s35, v6, v116
	v_add_co_ci_u32_e64 v117, null, v7, v117, s35
	s_clause 0x1
	flat_load_ushort v114, v[114:115]
	flat_load_ushort v115, v[116:117]
	s_waitcnt vmcnt(0) lgkmcnt(0)
	v_cmp_lt_i16_e64 s35, v114, v115
	v_cndmask_b32_e64 v114, v53, v54, s35
	v_cndmask_b32_e64 v54, v54, v53, s35
	v_mov_b32_e32 v53, v114
	s_or_b32 exec_lo, exec_lo, s38
	s_and_saveexec_b32 s38, s30
	s_cbranch_execnz .LBB1044_1682
.LBB1044_1203:
	s_or_b32 exec_lo, exec_lo, s38
	s_and_saveexec_b32 s38, s31
	s_cbranch_execz .LBB1044_1683
.LBB1044_1204:
	v_bfe_i32 v114, v50, 0, 16
	v_bfe_i32 v116, v51, 0, 16
	v_ashrrev_i32_e32 v115, 31, v114
	v_ashrrev_i32_e32 v117, 31, v116
	v_lshlrev_b64 v[114:115], 1, v[114:115]
	v_lshlrev_b64 v[116:117], 1, v[116:117]
	v_add_co_u32 v114, s35, v6, v114
	v_add_co_ci_u32_e64 v115, null, v7, v115, s35
	v_add_co_u32 v116, s35, v6, v116
	v_add_co_ci_u32_e64 v117, null, v7, v117, s35
	s_clause 0x1
	flat_load_ushort v114, v[114:115]
	flat_load_ushort v115, v[116:117]
	s_waitcnt vmcnt(0) lgkmcnt(0)
	v_cmp_lt_i16_e64 s35, v114, v115
	v_cndmask_b32_e64 v114, v51, v50, s35
	v_cndmask_b32_e64 v50, v50, v51, s35
	v_mov_b32_e32 v51, v114
	s_or_b32 exec_lo, exec_lo, s38
	s_and_saveexec_b32 s38, s34
	s_cbranch_execnz .LBB1044_1684
.LBB1044_1205:
	s_or_b32 exec_lo, exec_lo, s38
	s_and_saveexec_b32 s38, s8
	s_cbranch_execz .LBB1044_1685
.LBB1044_1206:
	v_bfe_i32 v114, v102, 0, 16
	v_bfe_i32 v116, v99, 0, 16
	v_ashrrev_i32_e32 v115, 31, v114
	v_ashrrev_i32_e32 v117, 31, v116
	v_lshlrev_b64 v[114:115], 1, v[114:115]
	v_lshlrev_b64 v[116:117], 1, v[116:117]
	v_add_co_u32 v114, s35, v6, v114
	v_add_co_ci_u32_e64 v115, null, v7, v115, s35
	v_add_co_u32 v116, s35, v6, v116
	v_add_co_ci_u32_e64 v117, null, v7, v117, s35
	s_clause 0x1
	flat_load_ushort v114, v[114:115]
	flat_load_ushort v115, v[116:117]
	s_waitcnt vmcnt(0) lgkmcnt(0)
	v_cmp_lt_i16_e64 s35, v114, v115
	v_cndmask_b32_e64 v114, v102, v99, s35
	v_cndmask_b32_e64 v99, v99, v102, s35
	v_mov_b32_e32 v102, v114
	s_or_b32 exec_lo, exec_lo, s38
	s_and_saveexec_b32 s38, s9
	s_cbranch_execnz .LBB1044_1686
.LBB1044_1207:
	s_or_b32 exec_lo, exec_lo, s38
	s_and_saveexec_b32 s38, s12
	s_cbranch_execz .LBB1044_1687
.LBB1044_1208:
	v_bfe_i32 v114, v97, 0, 16
	v_bfe_i32 v116, v98, 0, 16
	v_ashrrev_i32_e32 v115, 31, v114
	v_ashrrev_i32_e32 v117, 31, v116
	v_lshlrev_b64 v[114:115], 1, v[114:115]
	v_lshlrev_b64 v[116:117], 1, v[116:117]
	v_add_co_u32 v114, s35, v6, v114
	v_add_co_ci_u32_e64 v115, null, v7, v115, s35
	v_add_co_u32 v116, s35, v6, v116
	v_add_co_ci_u32_e64 v117, null, v7, v117, s35
	s_clause 0x1
	flat_load_ushort v114, v[114:115]
	flat_load_ushort v115, v[116:117]
	s_waitcnt vmcnt(0) lgkmcnt(0)
	v_cmp_lt_i16_e64 s35, v114, v115
	v_cndmask_b32_e64 v114, v97, v98, s35
	v_cndmask_b32_e64 v98, v98, v97, s35
	v_mov_b32_e32 v97, v114
	s_or_b32 exec_lo, exec_lo, s38
	s_and_saveexec_b32 s38, s13
	s_cbranch_execnz .LBB1044_1688
.LBB1044_1209:
	s_or_b32 exec_lo, exec_lo, s38
	s_and_saveexec_b32 s38, s57
	s_cbranch_execz .LBB1044_1689
.LBB1044_1210:
	v_bfe_i32 v114, v85, 0, 16
	v_bfe_i32 v116, v86, 0, 16
	v_ashrrev_i32_e32 v115, 31, v114
	v_ashrrev_i32_e32 v117, 31, v116
	v_lshlrev_b64 v[114:115], 1, v[114:115]
	v_lshlrev_b64 v[116:117], 1, v[116:117]
	v_add_co_u32 v114, s35, v6, v114
	v_add_co_ci_u32_e64 v115, null, v7, v115, s35
	v_add_co_u32 v116, s35, v6, v116
	v_add_co_ci_u32_e64 v117, null, v7, v117, s35
	s_clause 0x1
	flat_load_ushort v114, v[114:115]
	flat_load_ushort v115, v[116:117]
	s_waitcnt vmcnt(0) lgkmcnt(0)
	v_cmp_lt_i16_e64 s35, v114, v115
	v_cndmask_b32_e64 v114, v85, v86, s35
	v_cndmask_b32_e64 v86, v86, v85, s35
	v_mov_b32_e32 v85, v114
	s_or_b32 exec_lo, exec_lo, s38
	s_and_saveexec_b32 s38, s58
	s_cbranch_execnz .LBB1044_1690
.LBB1044_1211:
	s_or_b32 exec_lo, exec_lo, s38
	s_and_saveexec_b32 s38, s59
	s_cbranch_execz .LBB1044_1691
.LBB1044_1212:
	v_bfe_i32 v114, v81, 0, 16
	v_bfe_i32 v116, v82, 0, 16
	v_ashrrev_i32_e32 v115, 31, v114
	v_ashrrev_i32_e32 v117, 31, v116
	v_lshlrev_b64 v[114:115], 1, v[114:115]
	v_lshlrev_b64 v[116:117], 1, v[116:117]
	v_add_co_u32 v114, s35, v6, v114
	v_add_co_ci_u32_e64 v115, null, v7, v115, s35
	v_add_co_u32 v116, s35, v6, v116
	v_add_co_ci_u32_e64 v117, null, v7, v117, s35
	s_clause 0x1
	flat_load_ushort v114, v[114:115]
	flat_load_ushort v115, v[116:117]
	s_waitcnt vmcnt(0) lgkmcnt(0)
	v_cmp_lt_i16_e64 s35, v114, v115
	v_cndmask_b32_e64 v114, v81, v82, s35
	v_cndmask_b32_e64 v82, v82, v81, s35
	v_mov_b32_e32 v81, v114
	s_or_b32 exec_lo, exec_lo, s38
	s_and_saveexec_b32 s38, s60
	s_cbranch_execnz .LBB1044_1692
.LBB1044_1213:
	s_or_b32 exec_lo, exec_lo, s38
	s_and_saveexec_b32 s38, s61
	s_cbranch_execz .LBB1044_1693
.LBB1044_1214:
	v_bfe_i32 v114, v69, 0, 16
	v_bfe_i32 v116, v70, 0, 16
	v_ashrrev_i32_e32 v115, 31, v114
	v_ashrrev_i32_e32 v117, 31, v116
	v_lshlrev_b64 v[114:115], 1, v[114:115]
	v_lshlrev_b64 v[116:117], 1, v[116:117]
	v_add_co_u32 v114, s35, v6, v114
	v_add_co_ci_u32_e64 v115, null, v7, v115, s35
	v_add_co_u32 v116, s35, v6, v116
	v_add_co_ci_u32_e64 v117, null, v7, v117, s35
	s_clause 0x1
	flat_load_ushort v114, v[114:115]
	flat_load_ushort v115, v[116:117]
	s_waitcnt vmcnt(0) lgkmcnt(0)
	v_cmp_lt_i16_e64 s35, v114, v115
	v_cndmask_b32_e64 v114, v69, v70, s35
	v_cndmask_b32_e64 v70, v70, v69, s35
	v_mov_b32_e32 v69, v114
	s_or_b32 exec_lo, exec_lo, s38
	s_and_saveexec_b32 s38, s62
	s_cbranch_execnz .LBB1044_1694
.LBB1044_1215:
	s_or_b32 exec_lo, exec_lo, s38
	s_and_saveexec_b32 s38, s63
	s_cbranch_execz .LBB1044_1695
.LBB1044_1216:
	v_bfe_i32 v114, v65, 0, 16
	v_bfe_i32 v116, v66, 0, 16
	v_ashrrev_i32_e32 v115, 31, v114
	v_ashrrev_i32_e32 v117, 31, v116
	v_lshlrev_b64 v[114:115], 1, v[114:115]
	v_lshlrev_b64 v[116:117], 1, v[116:117]
	v_add_co_u32 v114, s35, v6, v114
	v_add_co_ci_u32_e64 v115, null, v7, v115, s35
	v_add_co_u32 v116, s35, v6, v116
	v_add_co_ci_u32_e64 v117, null, v7, v117, s35
	s_clause 0x1
	flat_load_ushort v114, v[114:115]
	flat_load_ushort v115, v[116:117]
	s_waitcnt vmcnt(0) lgkmcnt(0)
	v_cmp_lt_i16_e64 s35, v114, v115
	v_cndmask_b32_e64 v114, v65, v66, s35
	v_cndmask_b32_e64 v66, v66, v65, s35
	v_mov_b32_e32 v65, v114
	s_or_b32 exec_lo, exec_lo, s38
	s_and_saveexec_b32 s38, s72
	s_cbranch_execnz .LBB1044_1696
.LBB1044_1217:
	s_or_b32 exec_lo, exec_lo, s38
	s_and_saveexec_b32 s38, s73
	s_cbranch_execz .LBB1044_1697
.LBB1044_1218:
	v_bfe_i32 v114, v64, 0, 16
	v_bfe_i32 v116, v53, 0, 16
	v_ashrrev_i32_e32 v115, 31, v114
	v_ashrrev_i32_e32 v117, 31, v116
	v_lshlrev_b64 v[114:115], 1, v[114:115]
	v_lshlrev_b64 v[116:117], 1, v[116:117]
	v_add_co_u32 v114, s35, v6, v114
	v_add_co_ci_u32_e64 v115, null, v7, v115, s35
	v_add_co_u32 v116, s35, v6, v116
	v_add_co_ci_u32_e64 v117, null, v7, v117, s35
	s_clause 0x1
	flat_load_ushort v114, v[114:115]
	flat_load_ushort v115, v[116:117]
	s_waitcnt vmcnt(0) lgkmcnt(0)
	v_cmp_lt_i16_e64 s35, v114, v115
	v_cndmask_b32_e64 v114, v64, v53, s35
	v_cndmask_b32_e64 v53, v53, v64, s35
	v_mov_b32_e32 v64, v114
	s_or_b32 exec_lo, exec_lo, s38
	s_and_saveexec_b32 s38, s74
	s_cbranch_execnz .LBB1044_1698
.LBB1044_1219:
	s_or_b32 exec_lo, exec_lo, s38
	s_and_saveexec_b32 s38, s75
	s_cbranch_execz .LBB1044_1699
.LBB1044_1220:
	v_bfe_i32 v114, v49, 0, 16
	v_bfe_i32 v116, v50, 0, 16
	v_ashrrev_i32_e32 v115, 31, v114
	v_ashrrev_i32_e32 v117, 31, v116
	v_lshlrev_b64 v[114:115], 1, v[114:115]
	v_lshlrev_b64 v[116:117], 1, v[116:117]
	v_add_co_u32 v114, s35, v6, v114
	v_add_co_ci_u32_e64 v115, null, v7, v115, s35
	v_add_co_u32 v116, s35, v6, v116
	v_add_co_ci_u32_e64 v117, null, v7, v117, s35
	s_clause 0x1
	flat_load_ushort v114, v[114:115]
	flat_load_ushort v115, v[116:117]
	s_waitcnt vmcnt(0) lgkmcnt(0)
	v_cmp_lt_i16_e64 s35, v114, v115
	v_cndmask_b32_e64 v114, v50, v49, s35
	v_cndmask_b32_e64 v49, v49, v50, s35
	v_mov_b32_e32 v50, v114
	s_or_b32 exec_lo, exec_lo, s38
	s_and_saveexec_b32 s38, s76
	s_cbranch_execnz .LBB1044_1700
.LBB1044_1221:
	s_or_b32 exec_lo, exec_lo, s38
	s_and_saveexec_b32 s38, s77
	s_cbranch_execz .LBB1044_1701
.LBB1044_1222:
	v_bfe_i32 v114, v101, 0, 16
	v_bfe_i32 v116, v102, 0, 16
	v_ashrrev_i32_e32 v115, 31, v114
	v_ashrrev_i32_e32 v117, 31, v116
	v_lshlrev_b64 v[114:115], 1, v[114:115]
	v_lshlrev_b64 v[116:117], 1, v[116:117]
	v_add_co_u32 v114, s35, v6, v114
	v_add_co_ci_u32_e64 v115, null, v7, v115, s35
	v_add_co_u32 v116, s35, v6, v116
	v_add_co_ci_u32_e64 v117, null, v7, v117, s35
	s_clause 0x1
	flat_load_ushort v114, v[114:115]
	flat_load_ushort v115, v[116:117]
	s_waitcnt vmcnt(0) lgkmcnt(0)
	v_cmp_lt_i16_e64 s35, v114, v115
	v_cndmask_b32_e64 v114, v101, v102, s35
	v_cndmask_b32_e64 v102, v102, v101, s35
	v_mov_b32_e32 v101, v114
	s_or_b32 exec_lo, exec_lo, s38
	s_and_saveexec_b32 s38, s78
	s_cbranch_execnz .LBB1044_1702
.LBB1044_1223:
	s_or_b32 exec_lo, exec_lo, s38
	s_and_saveexec_b32 s38, s79
	s_cbranch_execz .LBB1044_1703
.LBB1044_1224:
	v_bfe_i32 v114, v96, 0, 16
	v_bfe_i32 v116, v97, 0, 16
	v_ashrrev_i32_e32 v115, 31, v114
	v_ashrrev_i32_e32 v117, 31, v116
	v_lshlrev_b64 v[114:115], 1, v[114:115]
	v_lshlrev_b64 v[116:117], 1, v[116:117]
	v_add_co_u32 v114, s35, v6, v114
	v_add_co_ci_u32_e64 v115, null, v7, v115, s35
	v_add_co_u32 v116, s35, v6, v116
	v_add_co_ci_u32_e64 v117, null, v7, v117, s35
	s_clause 0x1
	flat_load_ushort v114, v[114:115]
	flat_load_ushort v115, v[116:117]
	s_waitcnt vmcnt(0) lgkmcnt(0)
	v_cmp_lt_i16_e64 s35, v114, v115
	v_cndmask_b32_e64 v114, v96, v97, s35
	v_cndmask_b32_e64 v97, v97, v96, s35
	v_mov_b32_e32 v96, v114
	s_or_b32 exec_lo, exec_lo, s38
	s_and_saveexec_b32 s38, s88
	s_cbranch_execnz .LBB1044_1704
.LBB1044_1225:
	s_or_b32 exec_lo, exec_lo, s38
	s_and_saveexec_b32 s38, s89
	s_cbranch_execz .LBB1044_1705
.LBB1044_1226:
	v_bfe_i32 v114, v84, 0, 16
	v_bfe_i32 v116, v85, 0, 16
	v_ashrrev_i32_e32 v115, 31, v114
	v_ashrrev_i32_e32 v117, 31, v116
	v_lshlrev_b64 v[114:115], 1, v[114:115]
	v_lshlrev_b64 v[116:117], 1, v[116:117]
	v_add_co_u32 v114, s35, v6, v114
	v_add_co_ci_u32_e64 v115, null, v7, v115, s35
	v_add_co_u32 v116, s35, v6, v116
	v_add_co_ci_u32_e64 v117, null, v7, v117, s35
	s_clause 0x1
	flat_load_ushort v114, v[114:115]
	flat_load_ushort v115, v[116:117]
	s_waitcnt vmcnt(0) lgkmcnt(0)
	v_cmp_lt_i16_e64 s35, v114, v115
	v_cndmask_b32_e64 v114, v84, v85, s35
	v_cndmask_b32_e64 v85, v85, v84, s35
	v_mov_b32_e32 v84, v114
	s_or_b32 exec_lo, exec_lo, s38
	s_and_saveexec_b32 s38, s90
	s_cbranch_execnz .LBB1044_1706
.LBB1044_1227:
	s_or_b32 exec_lo, exec_lo, s38
	s_and_saveexec_b32 s38, s91
	s_cbranch_execz .LBB1044_1707
.LBB1044_1228:
	v_bfe_i32 v114, v80, 0, 16
	v_bfe_i32 v116, v81, 0, 16
	v_ashrrev_i32_e32 v115, 31, v114
	v_ashrrev_i32_e32 v117, 31, v116
	v_lshlrev_b64 v[114:115], 1, v[114:115]
	v_lshlrev_b64 v[116:117], 1, v[116:117]
	v_add_co_u32 v114, s35, v6, v114
	v_add_co_ci_u32_e64 v115, null, v7, v115, s35
	v_add_co_u32 v116, s35, v6, v116
	v_add_co_ci_u32_e64 v117, null, v7, v117, s35
	s_clause 0x1
	flat_load_ushort v114, v[114:115]
	flat_load_ushort v115, v[116:117]
	s_waitcnt vmcnt(0) lgkmcnt(0)
	v_cmp_lt_i16_e64 s35, v114, v115
	v_cndmask_b32_e64 v114, v80, v81, s35
	v_cndmask_b32_e64 v81, v81, v80, s35
	v_mov_b32_e32 v80, v114
	s_or_b32 exec_lo, exec_lo, s38
	s_and_saveexec_b32 s38, s92
	s_cbranch_execnz .LBB1044_1708
.LBB1044_1229:
	s_or_b32 exec_lo, exec_lo, s38
	s_and_saveexec_b32 s38, s93
	s_cbranch_execz .LBB1044_1709
.LBB1044_1230:
	v_bfe_i32 v114, v68, 0, 16
	v_bfe_i32 v116, v69, 0, 16
	v_ashrrev_i32_e32 v115, 31, v114
	v_ashrrev_i32_e32 v117, 31, v116
	v_lshlrev_b64 v[114:115], 1, v[114:115]
	v_lshlrev_b64 v[116:117], 1, v[116:117]
	v_add_co_u32 v114, s35, v6, v114
	v_add_co_ci_u32_e64 v115, null, v7, v115, s35
	v_add_co_u32 v116, s35, v6, v116
	v_add_co_ci_u32_e64 v117, null, v7, v117, s35
	s_clause 0x1
	flat_load_ushort v114, v[114:115]
	flat_load_ushort v115, v[116:117]
	s_waitcnt vmcnt(0) lgkmcnt(0)
	v_cmp_lt_i16_e64 s35, v114, v115
	v_cndmask_b32_e64 v114, v68, v69, s35
	v_cndmask_b32_e64 v69, v69, v68, s35
	v_mov_b32_e32 v68, v114
	s_or_b32 exec_lo, exec_lo, s38
	s_and_saveexec_b32 s38, s94
	s_cbranch_execnz .LBB1044_1710
.LBB1044_1231:
	s_or_b32 exec_lo, exec_lo, s38
	s_and_saveexec_b32 s38, s95
	s_cbranch_execz .LBB1044_1711
.LBB1044_1232:
	v_bfe_i32 v114, v55, 0, 16
	v_bfe_i32 v116, v65, 0, 16
	v_ashrrev_i32_e32 v115, 31, v114
	v_ashrrev_i32_e32 v117, 31, v116
	v_lshlrev_b64 v[114:115], 1, v[114:115]
	v_lshlrev_b64 v[116:117], 1, v[116:117]
	v_add_co_u32 v114, s35, v6, v114
	v_add_co_ci_u32_e64 v115, null, v7, v115, s35
	v_add_co_u32 v116, s35, v6, v116
	v_add_co_ci_u32_e64 v117, null, v7, v117, s35
	s_clause 0x1
	flat_load_ushort v114, v[114:115]
	flat_load_ushort v115, v[116:117]
	s_waitcnt vmcnt(0) lgkmcnt(0)
	v_cmp_lt_i16_e64 s35, v114, v115
	v_cndmask_b32_e64 v114, v55, v65, s35
	v_cndmask_b32_e64 v65, v65, v55, s35
	v_mov_b32_e32 v55, v114
	s_or_b32 exec_lo, exec_lo, s38
	s_and_saveexec_b32 s38, vcc_hi
	s_cbranch_execnz .LBB1044_1712
.LBB1044_1233:
	s_or_b32 exec_lo, exec_lo, s38
	s_and_saveexec_b32 s38, s30
	s_cbranch_execz .LBB1044_1713
.LBB1044_1234:
	v_bfe_i32 v114, v52, 0, 16
	v_bfe_i32 v116, v64, 0, 16
	v_ashrrev_i32_e32 v115, 31, v114
	v_ashrrev_i32_e32 v117, 31, v116
	v_lshlrev_b64 v[114:115], 1, v[114:115]
	v_lshlrev_b64 v[116:117], 1, v[116:117]
	v_add_co_u32 v114, s35, v6, v114
	v_add_co_ci_u32_e64 v115, null, v7, v115, s35
	v_add_co_u32 v116, s35, v6, v116
	v_add_co_ci_u32_e64 v117, null, v7, v117, s35
	s_clause 0x1
	flat_load_ushort v114, v[114:115]
	flat_load_ushort v115, v[116:117]
	s_waitcnt vmcnt(0) lgkmcnt(0)
	v_cmp_lt_i16_e64 s35, v114, v115
	v_cndmask_b32_e64 v114, v64, v52, s35
	v_cndmask_b32_e64 v52, v52, v64, s35
	v_mov_b32_e32 v64, v114
	s_or_b32 exec_lo, exec_lo, s38
	s_and_saveexec_b32 s38, s31
	s_cbranch_execnz .LBB1044_1714
.LBB1044_1235:
	s_or_b32 exec_lo, exec_lo, s38
	s_and_saveexec_b32 s38, s34
	s_cbranch_execz .LBB1044_1715
.LBB1044_1236:
	v_bfe_i32 v114, v103, 0, 16
	v_bfe_i32 v116, v49, 0, 16
	v_ashrrev_i32_e32 v115, 31, v114
	v_ashrrev_i32_e32 v117, 31, v116
	v_lshlrev_b64 v[114:115], 1, v[114:115]
	v_lshlrev_b64 v[116:117], 1, v[116:117]
	v_add_co_u32 v114, s35, v6, v114
	v_add_co_ci_u32_e64 v115, null, v7, v115, s35
	v_add_co_u32 v116, s35, v6, v116
	v_add_co_ci_u32_e64 v117, null, v7, v117, s35
	s_clause 0x1
	flat_load_ushort v114, v[114:115]
	flat_load_ushort v115, v[116:117]
	s_waitcnt vmcnt(0) lgkmcnt(0)
	v_cmp_lt_i16_e64 s35, v114, v115
	v_cndmask_b32_e64 v114, v49, v103, s35
	v_cndmask_b32_e64 v103, v103, v49, s35
	v_mov_b32_e32 v49, v114
	s_or_b32 exec_lo, exec_lo, s38
	s_and_saveexec_b32 s35, s8
	s_cbranch_execnz .LBB1044_1716
.LBB1044_1237:
	s_or_b32 exec_lo, exec_lo, s35
	s_and_saveexec_b32 s35, s9
	s_cbranch_execz .LBB1044_1717
.LBB1044_1238:
	v_bfe_i32 v114, v100, 0, 16
	v_bfe_i32 v116, v101, 0, 16
	v_ashrrev_i32_e32 v115, 31, v114
	v_ashrrev_i32_e32 v117, 31, v116
	v_lshlrev_b64 v[114:115], 1, v[114:115]
	v_lshlrev_b64 v[116:117], 1, v[116:117]
	v_add_co_u32 v114, s8, v6, v114
	v_add_co_ci_u32_e64 v115, null, v7, v115, s8
	v_add_co_u32 v116, s8, v6, v116
	v_add_co_ci_u32_e64 v117, null, v7, v117, s8
	s_clause 0x1
	flat_load_ushort v114, v[114:115]
	flat_load_ushort v115, v[116:117]
	s_waitcnt vmcnt(0) lgkmcnt(0)
	v_cmp_lt_i16_e64 s8, v114, v115
	v_cndmask_b32_e64 v114, v100, v101, s8
	v_cndmask_b32_e64 v101, v101, v100, s8
	v_mov_b32_e32 v100, v114
	s_or_b32 exec_lo, exec_lo, s35
	s_and_saveexec_b32 s9, s12
	s_cbranch_execnz .LBB1044_1718
.LBB1044_1239:
	s_or_b32 exec_lo, exec_lo, s9
	s_and_saveexec_b32 s9, s13
	s_cbranch_execz .LBB1044_1719
.LBB1044_1240:
	v_bfe_i32 v114, v87, 0, 16
	v_bfe_i32 v116, v96, 0, 16
	v_ashrrev_i32_e32 v115, 31, v114
	v_ashrrev_i32_e32 v117, 31, v116
	v_lshlrev_b64 v[114:115], 1, v[114:115]
	v_lshlrev_b64 v[116:117], 1, v[116:117]
	v_add_co_u32 v114, s8, v6, v114
	v_add_co_ci_u32_e64 v115, null, v7, v115, s8
	v_add_co_u32 v116, s8, v6, v116
	v_add_co_ci_u32_e64 v117, null, v7, v117, s8
	s_clause 0x1
	flat_load_ushort v114, v[114:115]
	flat_load_ushort v115, v[116:117]
	s_waitcnt vmcnt(0) lgkmcnt(0)
	v_cmp_lt_i16_e64 s8, v114, v115
	v_cndmask_b32_e64 v114, v87, v96, s8
	v_cndmask_b32_e64 v96, v96, v87, s8
	v_mov_b32_e32 v87, v114
	s_or_b32 exec_lo, exec_lo, s9
	s_and_saveexec_b32 s9, s57
	s_cbranch_execnz .LBB1044_1720
.LBB1044_1241:
	s_or_b32 exec_lo, exec_lo, s9
	s_and_saveexec_b32 s9, s58
	s_cbranch_execz .LBB1044_1721
.LBB1044_1242:
	v_bfe_i32 v114, v83, 0, 16
	v_bfe_i32 v116, v84, 0, 16
	v_ashrrev_i32_e32 v115, 31, v114
	v_ashrrev_i32_e32 v117, 31, v116
	v_lshlrev_b64 v[114:115], 1, v[114:115]
	v_lshlrev_b64 v[116:117], 1, v[116:117]
	v_add_co_u32 v114, s8, v6, v114
	v_add_co_ci_u32_e64 v115, null, v7, v115, s8
	v_add_co_u32 v116, s8, v6, v116
	v_add_co_ci_u32_e64 v117, null, v7, v117, s8
	s_clause 0x1
	flat_load_ushort v114, v[114:115]
	flat_load_ushort v115, v[116:117]
	s_waitcnt vmcnt(0) lgkmcnt(0)
	v_cmp_lt_i16_e64 s8, v114, v115
	v_cndmask_b32_e64 v114, v83, v84, s8
	v_cndmask_b32_e64 v84, v84, v83, s8
	v_mov_b32_e32 v83, v114
	s_or_b32 exec_lo, exec_lo, s9
	s_and_saveexec_b32 s9, s59
	s_cbranch_execnz .LBB1044_1722
.LBB1044_1243:
	s_or_b32 exec_lo, exec_lo, s9
	s_and_saveexec_b32 s9, s60
	s_cbranch_execz .LBB1044_1723
.LBB1044_1244:
	v_bfe_i32 v114, v71, 0, 16
	v_bfe_i32 v116, v80, 0, 16
	v_ashrrev_i32_e32 v115, 31, v114
	v_ashrrev_i32_e32 v117, 31, v116
	v_lshlrev_b64 v[114:115], 1, v[114:115]
	v_lshlrev_b64 v[116:117], 1, v[116:117]
	v_add_co_u32 v114, s8, v6, v114
	v_add_co_ci_u32_e64 v115, null, v7, v115, s8
	v_add_co_u32 v116, s8, v6, v116
	v_add_co_ci_u32_e64 v117, null, v7, v117, s8
	s_clause 0x1
	flat_load_ushort v114, v[114:115]
	flat_load_ushort v115, v[116:117]
	s_waitcnt vmcnt(0) lgkmcnt(0)
	v_cmp_lt_i16_e64 s8, v114, v115
	v_cndmask_b32_e64 v114, v71, v80, s8
	v_cndmask_b32_e64 v80, v80, v71, s8
	v_mov_b32_e32 v71, v114
	s_or_b32 exec_lo, exec_lo, s9
	s_and_saveexec_b32 s9, s61
	s_cbranch_execnz .LBB1044_1724
.LBB1044_1245:
	s_or_b32 exec_lo, exec_lo, s9
	s_and_saveexec_b32 s9, s62
	s_cbranch_execz .LBB1044_1725
.LBB1044_1246:
	v_bfe_i32 v114, v67, 0, 16
	v_bfe_i32 v116, v68, 0, 16
	v_ashrrev_i32_e32 v115, 31, v114
	v_ashrrev_i32_e32 v117, 31, v116
	v_lshlrev_b64 v[114:115], 1, v[114:115]
	v_lshlrev_b64 v[116:117], 1, v[116:117]
	v_add_co_u32 v114, s8, v6, v114
	v_add_co_ci_u32_e64 v115, null, v7, v115, s8
	v_add_co_u32 v116, s8, v6, v116
	v_add_co_ci_u32_e64 v117, null, v7, v117, s8
	s_clause 0x1
	flat_load_ushort v114, v[114:115]
	flat_load_ushort v115, v[116:117]
	s_waitcnt vmcnt(0) lgkmcnt(0)
	v_cmp_lt_i16_e64 s8, v114, v115
	v_cndmask_b32_e64 v114, v67, v68, s8
	v_cndmask_b32_e64 v68, v68, v67, s8
	v_mov_b32_e32 v67, v114
	s_or_b32 exec_lo, exec_lo, s9
	s_and_saveexec_b32 s9, s63
	s_cbranch_execnz .LBB1044_1726
.LBB1044_1247:
	s_or_b32 exec_lo, exec_lo, s9
	s_and_saveexec_b32 s9, s72
	s_cbranch_execz .LBB1044_1727
.LBB1044_1248:
	v_bfe_i32 v114, v54, 0, 16
	v_bfe_i32 v116, v55, 0, 16
	v_ashrrev_i32_e32 v115, 31, v114
	v_ashrrev_i32_e32 v117, 31, v116
	v_lshlrev_b64 v[114:115], 1, v[114:115]
	v_lshlrev_b64 v[116:117], 1, v[116:117]
	v_add_co_u32 v114, s8, v6, v114
	v_add_co_ci_u32_e64 v115, null, v7, v115, s8
	v_add_co_u32 v116, s8, v6, v116
	v_add_co_ci_u32_e64 v117, null, v7, v117, s8
	s_clause 0x1
	flat_load_ushort v114, v[114:115]
	flat_load_ushort v115, v[116:117]
	s_waitcnt vmcnt(0) lgkmcnt(0)
	v_cmp_lt_i16_e64 s8, v114, v115
	v_cndmask_b32_e64 v114, v54, v55, s8
	v_cndmask_b32_e64 v55, v55, v54, s8
	v_mov_b32_e32 v54, v114
	s_or_b32 exec_lo, exec_lo, s9
	s_and_saveexec_b32 s9, s73
	s_cbranch_execnz .LBB1044_1728
.LBB1044_1249:
	s_or_b32 exec_lo, exec_lo, s9
	s_and_saveexec_b32 s9, s74
	s_cbranch_execz .LBB1044_1729
.LBB1044_1250:
	v_bfe_i32 v114, v51, 0, 16
	v_bfe_i32 v116, v52, 0, 16
	v_ashrrev_i32_e32 v115, 31, v114
	v_ashrrev_i32_e32 v117, 31, v116
	v_lshlrev_b64 v[114:115], 1, v[114:115]
	v_lshlrev_b64 v[116:117], 1, v[116:117]
	v_add_co_u32 v114, s8, v6, v114
	v_add_co_ci_u32_e64 v115, null, v7, v115, s8
	v_add_co_u32 v116, s8, v6, v116
	v_add_co_ci_u32_e64 v117, null, v7, v117, s8
	s_clause 0x1
	flat_load_ushort v114, v[114:115]
	flat_load_ushort v115, v[116:117]
	s_waitcnt vmcnt(0) lgkmcnt(0)
	v_cmp_lt_i16_e64 s8, v114, v115
	v_cndmask_b32_e64 v114, v52, v51, s8
	v_cndmask_b32_e64 v51, v51, v52, s8
	v_mov_b32_e32 v52, v114
	s_or_b32 exec_lo, exec_lo, s9
	s_and_saveexec_b32 s9, s75
	s_cbranch_execnz .LBB1044_1730
.LBB1044_1251:
	s_or_b32 exec_lo, exec_lo, s9
	s_and_saveexec_b32 s9, s76
	s_cbranch_execz .LBB1044_1731
.LBB1044_1252:
	v_bfe_i32 v114, v48, 0, 16
	v_bfe_i32 v116, v103, 0, 16
	v_ashrrev_i32_e32 v115, 31, v114
	v_ashrrev_i32_e32 v117, 31, v116
	v_lshlrev_b64 v[114:115], 1, v[114:115]
	v_lshlrev_b64 v[116:117], 1, v[116:117]
	v_add_co_u32 v114, s8, v6, v114
	v_add_co_ci_u32_e64 v115, null, v7, v115, s8
	v_add_co_u32 v116, s8, v6, v116
	v_add_co_ci_u32_e64 v117, null, v7, v117, s8
	s_clause 0x1
	flat_load_ushort v114, v[114:115]
	flat_load_ushort v115, v[116:117]
	s_waitcnt vmcnt(0) lgkmcnt(0)
	v_cmp_lt_i16_e64 s8, v114, v115
	v_cndmask_b32_e64 v114, v103, v48, s8
	v_cndmask_b32_e64 v48, v48, v103, s8
	v_mov_b32_e32 v103, v114
	s_or_b32 exec_lo, exec_lo, s9
	s_and_saveexec_b32 s9, s77
	s_cbranch_execnz .LBB1044_1732
.LBB1044_1253:
	s_or_b32 exec_lo, exec_lo, s9
	s_and_saveexec_b32 s9, s78
	s_cbranch_execz .LBB1044_1733
.LBB1044_1254:
	v_bfe_i32 v114, v98, 0, 16
	v_bfe_i32 v116, v100, 0, 16
	v_ashrrev_i32_e32 v115, 31, v114
	v_ashrrev_i32_e32 v117, 31, v116
	v_lshlrev_b64 v[114:115], 1, v[114:115]
	v_lshlrev_b64 v[116:117], 1, v[116:117]
	v_add_co_u32 v114, s8, v6, v114
	v_add_co_ci_u32_e64 v115, null, v7, v115, s8
	v_add_co_u32 v116, s8, v6, v116
	v_add_co_ci_u32_e64 v117, null, v7, v117, s8
	s_clause 0x1
	flat_load_ushort v114, v[114:115]
	flat_load_ushort v115, v[116:117]
	s_waitcnt vmcnt(0) lgkmcnt(0)
	v_cmp_lt_i16_e64 s8, v114, v115
	v_cndmask_b32_e64 v114, v98, v100, s8
	v_cndmask_b32_e64 v100, v100, v98, s8
	v_mov_b32_e32 v98, v114
	s_or_b32 exec_lo, exec_lo, s9
	s_and_saveexec_b32 s9, s79
	s_cbranch_execnz .LBB1044_1734
.LBB1044_1255:
	s_or_b32 exec_lo, exec_lo, s9
	s_and_saveexec_b32 s9, s88
	s_cbranch_execz .LBB1044_1735
.LBB1044_1256:
	v_bfe_i32 v114, v86, 0, 16
	v_bfe_i32 v116, v87, 0, 16
	v_ashrrev_i32_e32 v115, 31, v114
	v_ashrrev_i32_e32 v117, 31, v116
	v_lshlrev_b64 v[114:115], 1, v[114:115]
	v_lshlrev_b64 v[116:117], 1, v[116:117]
	v_add_co_u32 v114, s8, v6, v114
	v_add_co_ci_u32_e64 v115, null, v7, v115, s8
	v_add_co_u32 v116, s8, v6, v116
	v_add_co_ci_u32_e64 v117, null, v7, v117, s8
	s_clause 0x1
	flat_load_ushort v114, v[114:115]
	flat_load_ushort v115, v[116:117]
	s_waitcnt vmcnt(0) lgkmcnt(0)
	v_cmp_lt_i16_e64 s8, v114, v115
	v_cndmask_b32_e64 v114, v86, v87, s8
	v_cndmask_b32_e64 v87, v87, v86, s8
	v_mov_b32_e32 v86, v114
	s_or_b32 exec_lo, exec_lo, s9
	s_and_saveexec_b32 s9, s89
	s_cbranch_execnz .LBB1044_1736
.LBB1044_1257:
	s_or_b32 exec_lo, exec_lo, s9
	s_and_saveexec_b32 s9, s90
	s_cbranch_execz .LBB1044_1737
.LBB1044_1258:
	v_bfe_i32 v114, v82, 0, 16
	v_bfe_i32 v116, v83, 0, 16
	v_ashrrev_i32_e32 v115, 31, v114
	v_ashrrev_i32_e32 v117, 31, v116
	v_lshlrev_b64 v[114:115], 1, v[114:115]
	v_lshlrev_b64 v[116:117], 1, v[116:117]
	v_add_co_u32 v114, s8, v6, v114
	v_add_co_ci_u32_e64 v115, null, v7, v115, s8
	v_add_co_u32 v116, s8, v6, v116
	v_add_co_ci_u32_e64 v117, null, v7, v117, s8
	s_clause 0x1
	flat_load_ushort v114, v[114:115]
	flat_load_ushort v115, v[116:117]
	s_waitcnt vmcnt(0) lgkmcnt(0)
	v_cmp_lt_i16_e64 s8, v114, v115
	v_cndmask_b32_e64 v114, v82, v83, s8
	v_cndmask_b32_e64 v83, v83, v82, s8
	v_mov_b32_e32 v82, v114
	s_or_b32 exec_lo, exec_lo, s9
	s_and_saveexec_b32 s9, s91
	s_cbranch_execnz .LBB1044_1738
.LBB1044_1259:
	s_or_b32 exec_lo, exec_lo, s9
	s_and_saveexec_b32 s9, s92
	s_cbranch_execz .LBB1044_1739
.LBB1044_1260:
	v_bfe_i32 v114, v70, 0, 16
	v_bfe_i32 v116, v71, 0, 16
	v_ashrrev_i32_e32 v115, 31, v114
	v_ashrrev_i32_e32 v117, 31, v116
	v_lshlrev_b64 v[114:115], 1, v[114:115]
	v_lshlrev_b64 v[116:117], 1, v[116:117]
	v_add_co_u32 v114, s8, v6, v114
	v_add_co_ci_u32_e64 v115, null, v7, v115, s8
	v_add_co_u32 v116, s8, v6, v116
	v_add_co_ci_u32_e64 v117, null, v7, v117, s8
	s_clause 0x1
	flat_load_ushort v114, v[114:115]
	flat_load_ushort v115, v[116:117]
	s_waitcnt vmcnt(0) lgkmcnt(0)
	v_cmp_lt_i16_e64 s8, v114, v115
	v_cndmask_b32_e64 v114, v70, v71, s8
	v_cndmask_b32_e64 v71, v71, v70, s8
	v_mov_b32_e32 v70, v114
	s_or_b32 exec_lo, exec_lo, s9
	s_and_saveexec_b32 s9, s93
	s_cbranch_execnz .LBB1044_1740
.LBB1044_1261:
	s_or_b32 exec_lo, exec_lo, s9
	s_and_saveexec_b32 s9, s94
	s_cbranch_execz .LBB1044_1741
.LBB1044_1262:
	v_bfe_i32 v114, v66, 0, 16
	v_bfe_i32 v116, v67, 0, 16
	v_ashrrev_i32_e32 v115, 31, v114
	v_ashrrev_i32_e32 v117, 31, v116
	v_lshlrev_b64 v[114:115], 1, v[114:115]
	v_lshlrev_b64 v[116:117], 1, v[116:117]
	v_add_co_u32 v114, s8, v6, v114
	v_add_co_ci_u32_e64 v115, null, v7, v115, s8
	v_add_co_u32 v116, s8, v6, v116
	v_add_co_ci_u32_e64 v117, null, v7, v117, s8
	s_clause 0x1
	flat_load_ushort v114, v[114:115]
	flat_load_ushort v115, v[116:117]
	s_waitcnt vmcnt(0) lgkmcnt(0)
	v_cmp_lt_i16_e64 s8, v114, v115
	v_cndmask_b32_e64 v114, v66, v67, s8
	v_cndmask_b32_e64 v67, v67, v66, s8
	v_mov_b32_e32 v66, v114
	s_or_b32 exec_lo, exec_lo, s9
	s_and_saveexec_b32 s9, s95
	s_cbranch_execnz .LBB1044_1742
.LBB1044_1263:
	s_or_b32 exec_lo, exec_lo, s9
	s_and_saveexec_b32 s9, vcc_hi
	s_cbranch_execz .LBB1044_1743
.LBB1044_1264:
	v_bfe_i32 v114, v53, 0, 16
	v_bfe_i32 v116, v54, 0, 16
	v_ashrrev_i32_e32 v115, 31, v114
	v_ashrrev_i32_e32 v117, 31, v116
	v_lshlrev_b64 v[114:115], 1, v[114:115]
	v_lshlrev_b64 v[116:117], 1, v[116:117]
	v_add_co_u32 v114, s8, v6, v114
	v_add_co_ci_u32_e64 v115, null, v7, v115, s8
	v_add_co_u32 v116, s8, v6, v116
	v_add_co_ci_u32_e64 v117, null, v7, v117, s8
	s_clause 0x1
	flat_load_ushort v114, v[114:115]
	flat_load_ushort v115, v[116:117]
	s_waitcnt vmcnt(0) lgkmcnt(0)
	v_cmp_lt_i16_e64 s8, v114, v115
	v_cndmask_b32_e64 v114, v53, v54, s8
	v_cndmask_b32_e64 v54, v54, v53, s8
	v_mov_b32_e32 v53, v114
	s_or_b32 exec_lo, exec_lo, s9
	s_and_saveexec_b32 s9, s30
	s_cbranch_execnz .LBB1044_1744
.LBB1044_1265:
	s_or_b32 exec_lo, exec_lo, s9
	s_and_saveexec_b32 s9, s31
	s_cbranch_execz .LBB1044_1745
.LBB1044_1266:
	v_bfe_i32 v114, v50, 0, 16
	v_bfe_i32 v116, v51, 0, 16
	v_ashrrev_i32_e32 v115, 31, v114
	v_ashrrev_i32_e32 v117, 31, v116
	v_lshlrev_b64 v[114:115], 1, v[114:115]
	v_lshlrev_b64 v[116:117], 1, v[116:117]
	v_add_co_u32 v114, s8, v6, v114
	v_add_co_ci_u32_e64 v115, null, v7, v115, s8
	v_add_co_u32 v116, s8, v6, v116
	v_add_co_ci_u32_e64 v117, null, v7, v117, s8
	s_clause 0x1
	flat_load_ushort v114, v[114:115]
	flat_load_ushort v115, v[116:117]
	s_waitcnt vmcnt(0) lgkmcnt(0)
	v_cmp_lt_i16_e64 s8, v114, v115
	v_cndmask_b32_e64 v114, v51, v50, s8
	v_cndmask_b32_e64 v50, v50, v51, s8
	v_mov_b32_e32 v51, v114
	s_or_b32 exec_lo, exec_lo, s9
	s_and_saveexec_b32 s9, s34
	s_cbranch_execnz .LBB1044_1746
	s_branch .LBB1044_1747
.LBB1044_1267:
	s_or_b32 exec_lo, exec_lo, s79
	v_cmp_lt_u32_e64 s78, 4, v114
	s_and_saveexec_b32 s88, s78
	s_cbranch_execz .LBB1044_789
.LBB1044_1268:
	v_bfe_i32 v115, v98, 0, 16
	v_ashrrev_i32_e32 v116, 31, v115
	v_lshlrev_b64 v[115:116], 1, v[115:116]
	v_add_co_u32 v115, s79, v6, v115
	v_add_co_ci_u32_e64 v116, null, v7, v116, s79
	flat_load_ushort v117, v[115:116]
	v_bfe_i32 v115, v100, 0, 16
	v_ashrrev_i32_e32 v116, 31, v115
	v_lshlrev_b64 v[115:116], 1, v[115:116]
	v_add_co_u32 v115, s79, v6, v115
	v_add_co_ci_u32_e64 v116, null, v7, v116, s79
	flat_load_ushort v115, v[115:116]
	s_waitcnt vmcnt(0) lgkmcnt(0)
	v_cmp_lt_i16_e64 s79, v117, v115
	v_cndmask_b32_e64 v115, v98, v100, s79
	v_cndmask_b32_e64 v100, v100, v98, s79
	v_mov_b32_e32 v98, v115
	s_or_b32 exec_lo, exec_lo, s88
	v_cmp_lt_u32_e64 s79, 6, v114
	s_and_saveexec_b32 s89, s79
	s_cbranch_execnz .LBB1044_790
.LBB1044_1269:
	s_or_b32 exec_lo, exec_lo, s89
	v_cmp_lt_u32_e64 s88, 8, v114
	s_and_saveexec_b32 s90, s88
	s_cbranch_execz .LBB1044_791
.LBB1044_1270:
	v_bfe_i32 v115, v86, 0, 16
	v_ashrrev_i32_e32 v116, 31, v115
	v_lshlrev_b64 v[115:116], 1, v[115:116]
	v_add_co_u32 v115, s89, v6, v115
	v_add_co_ci_u32_e64 v116, null, v7, v116, s89
	flat_load_ushort v117, v[115:116]
	v_bfe_i32 v115, v87, 0, 16
	v_ashrrev_i32_e32 v116, 31, v115
	v_lshlrev_b64 v[115:116], 1, v[115:116]
	v_add_co_u32 v115, s89, v6, v115
	v_add_co_ci_u32_e64 v116, null, v7, v116, s89
	flat_load_ushort v115, v[115:116]
	s_waitcnt vmcnt(0) lgkmcnt(0)
	v_cmp_lt_i16_e64 s89, v117, v115
	v_cndmask_b32_e64 v115, v86, v87, s89
	v_cndmask_b32_e64 v87, v87, v86, s89
	v_mov_b32_e32 v86, v115
	s_or_b32 exec_lo, exec_lo, s90
	v_cmp_lt_u32_e64 s89, 10, v114
	s_and_saveexec_b32 s91, s89
	s_cbranch_execnz .LBB1044_792
.LBB1044_1271:
	s_or_b32 exec_lo, exec_lo, s91
	v_cmp_lt_u32_e64 s90, 12, v114
	s_and_saveexec_b32 s92, s90
	s_cbranch_execz .LBB1044_793
.LBB1044_1272:
	v_bfe_i32 v115, v82, 0, 16
	v_ashrrev_i32_e32 v116, 31, v115
	v_lshlrev_b64 v[115:116], 1, v[115:116]
	v_add_co_u32 v115, s91, v6, v115
	v_add_co_ci_u32_e64 v116, null, v7, v116, s91
	flat_load_ushort v117, v[115:116]
	v_bfe_i32 v115, v83, 0, 16
	v_ashrrev_i32_e32 v116, 31, v115
	v_lshlrev_b64 v[115:116], 1, v[115:116]
	v_add_co_u32 v115, s91, v6, v115
	v_add_co_ci_u32_e64 v116, null, v7, v116, s91
	flat_load_ushort v115, v[115:116]
	s_waitcnt vmcnt(0) lgkmcnt(0)
	v_cmp_lt_i16_e64 s91, v117, v115
	v_cndmask_b32_e64 v115, v82, v83, s91
	v_cndmask_b32_e64 v83, v83, v82, s91
	v_mov_b32_e32 v82, v115
	s_or_b32 exec_lo, exec_lo, s92
	v_cmp_lt_u32_e64 s91, 14, v114
	s_and_saveexec_b32 s93, s91
	s_cbranch_execnz .LBB1044_794
.LBB1044_1273:
	s_or_b32 exec_lo, exec_lo, s93
	v_cmp_lt_u32_e64 s92, 16, v114
	s_and_saveexec_b32 s94, s92
	s_cbranch_execz .LBB1044_795
.LBB1044_1274:
	v_bfe_i32 v115, v70, 0, 16
	v_ashrrev_i32_e32 v116, 31, v115
	v_lshlrev_b64 v[115:116], 1, v[115:116]
	v_add_co_u32 v115, s93, v6, v115
	v_add_co_ci_u32_e64 v116, null, v7, v116, s93
	flat_load_ushort v117, v[115:116]
	v_bfe_i32 v115, v71, 0, 16
	v_ashrrev_i32_e32 v116, 31, v115
	v_lshlrev_b64 v[115:116], 1, v[115:116]
	v_add_co_u32 v115, s93, v6, v115
	v_add_co_ci_u32_e64 v116, null, v7, v116, s93
	flat_load_ushort v115, v[115:116]
	s_waitcnt vmcnt(0) lgkmcnt(0)
	v_cmp_lt_i16_e64 s93, v117, v115
	v_cndmask_b32_e64 v115, v70, v71, s93
	v_cndmask_b32_e64 v71, v71, v70, s93
	v_mov_b32_e32 v70, v115
	s_or_b32 exec_lo, exec_lo, s94
	v_cmp_lt_u32_e64 s93, 18, v114
	s_and_saveexec_b32 s95, s93
	s_cbranch_execnz .LBB1044_796
.LBB1044_1275:
	s_or_b32 exec_lo, exec_lo, s95
	v_cmp_lt_u32_e64 s94, 20, v114
	s_and_saveexec_b32 vcc_hi, s94
	s_cbranch_execz .LBB1044_797
.LBB1044_1276:
	v_bfe_i32 v115, v66, 0, 16
	v_ashrrev_i32_e32 v116, 31, v115
	v_lshlrev_b64 v[115:116], 1, v[115:116]
	v_add_co_u32 v115, s95, v6, v115
	v_add_co_ci_u32_e64 v116, null, v7, v116, s95
	flat_load_ushort v117, v[115:116]
	v_bfe_i32 v115, v67, 0, 16
	v_ashrrev_i32_e32 v116, 31, v115
	v_lshlrev_b64 v[115:116], 1, v[115:116]
	v_add_co_u32 v115, s95, v6, v115
	v_add_co_ci_u32_e64 v116, null, v7, v116, s95
	flat_load_ushort v115, v[115:116]
	s_waitcnt vmcnt(0) lgkmcnt(0)
	v_cmp_lt_i16_e64 s95, v117, v115
	v_cndmask_b32_e64 v115, v66, v67, s95
	v_cndmask_b32_e64 v67, v67, v66, s95
	v_mov_b32_e32 v66, v115
	s_or_b32 exec_lo, exec_lo, vcc_hi
	v_cmp_lt_u32_e64 s95, 22, v114
	s_and_saveexec_b32 s30, s95
	s_cbranch_execnz .LBB1044_798
.LBB1044_1277:
	s_or_b32 exec_lo, exec_lo, s30
	v_cmp_lt_u32_e64 vcc_hi, 24, v114
	s_and_saveexec_b32 s31, vcc_hi
	s_cbranch_execz .LBB1044_799
.LBB1044_1278:
	v_bfe_i32 v115, v53, 0, 16
	v_ashrrev_i32_e32 v116, 31, v115
	v_lshlrev_b64 v[115:116], 1, v[115:116]
	v_add_co_u32 v115, s30, v6, v115
	v_add_co_ci_u32_e64 v116, null, v7, v116, s30
	flat_load_ushort v117, v[115:116]
	v_bfe_i32 v115, v54, 0, 16
	v_ashrrev_i32_e32 v116, 31, v115
	v_lshlrev_b64 v[115:116], 1, v[115:116]
	v_add_co_u32 v115, s30, v6, v115
	v_add_co_ci_u32_e64 v116, null, v7, v116, s30
	flat_load_ushort v115, v[115:116]
	s_waitcnt vmcnt(0) lgkmcnt(0)
	v_cmp_lt_i16_e64 s30, v117, v115
	v_cndmask_b32_e64 v115, v53, v54, s30
	v_cndmask_b32_e64 v54, v54, v53, s30
	v_mov_b32_e32 v53, v115
	s_or_b32 exec_lo, exec_lo, s31
	v_cmp_lt_u32_e64 s30, 26, v114
	s_and_saveexec_b32 s34, s30
	s_cbranch_execnz .LBB1044_800
.LBB1044_1279:
	s_or_b32 exec_lo, exec_lo, s34
	v_cmp_lt_u32_e64 s31, 28, v114
	s_and_saveexec_b32 s35, s31
	s_cbranch_execz .LBB1044_801
.LBB1044_1280:
	v_bfe_i32 v115, v50, 0, 16
	v_ashrrev_i32_e32 v116, 31, v115
	v_lshlrev_b64 v[115:116], 1, v[115:116]
	v_add_co_u32 v115, s34, v6, v115
	v_add_co_ci_u32_e64 v116, null, v7, v116, s34
	flat_load_ushort v117, v[115:116]
	v_bfe_i32 v115, v51, 0, 16
	v_ashrrev_i32_e32 v116, 31, v115
	v_lshlrev_b64 v[115:116], 1, v[115:116]
	v_add_co_u32 v115, s34, v6, v115
	v_add_co_ci_u32_e64 v116, null, v7, v116, s34
	flat_load_ushort v115, v[115:116]
	s_waitcnt vmcnt(0) lgkmcnt(0)
	v_cmp_lt_i16_e64 s34, v117, v115
	v_cndmask_b32_e64 v115, v51, v50, s34
	v_cndmask_b32_e64 v50, v50, v51, s34
	v_mov_b32_e32 v51, v115
	s_or_b32 exec_lo, exec_lo, s35
	v_cmp_lt_u32_e64 s34, 30, v114
	s_and_saveexec_b32 s38, s34
	s_cbranch_execnz .LBB1044_802
.LBB1044_1281:
	s_or_b32 exec_lo, exec_lo, s38
	s_and_saveexec_b32 s38, s8
	s_cbranch_execz .LBB1044_803
.LBB1044_1282:
	v_bfe_i32 v114, v102, 0, 16
	v_bfe_i32 v116, v99, 0, 16
	v_ashrrev_i32_e32 v115, 31, v114
	v_ashrrev_i32_e32 v117, 31, v116
	v_lshlrev_b64 v[114:115], 1, v[114:115]
	v_lshlrev_b64 v[116:117], 1, v[116:117]
	v_add_co_u32 v114, s35, v6, v114
	v_add_co_ci_u32_e64 v115, null, v7, v115, s35
	v_add_co_u32 v116, s35, v6, v116
	v_add_co_ci_u32_e64 v117, null, v7, v117, s35
	s_clause 0x1
	flat_load_ushort v114, v[114:115]
	flat_load_ushort v115, v[116:117]
	s_waitcnt vmcnt(0) lgkmcnt(0)
	v_cmp_lt_i16_e64 s35, v114, v115
	v_cndmask_b32_e64 v114, v102, v99, s35
	v_cndmask_b32_e64 v99, v99, v102, s35
	v_mov_b32_e32 v102, v114
	s_or_b32 exec_lo, exec_lo, s38
	s_and_saveexec_b32 s38, s9
	s_cbranch_execnz .LBB1044_804
.LBB1044_1283:
	s_or_b32 exec_lo, exec_lo, s38
	s_and_saveexec_b32 s38, s12
	s_cbranch_execz .LBB1044_805
.LBB1044_1284:
	v_bfe_i32 v114, v97, 0, 16
	v_bfe_i32 v116, v98, 0, 16
	v_ashrrev_i32_e32 v115, 31, v114
	v_ashrrev_i32_e32 v117, 31, v116
	v_lshlrev_b64 v[114:115], 1, v[114:115]
	v_lshlrev_b64 v[116:117], 1, v[116:117]
	v_add_co_u32 v114, s35, v6, v114
	v_add_co_ci_u32_e64 v115, null, v7, v115, s35
	v_add_co_u32 v116, s35, v6, v116
	v_add_co_ci_u32_e64 v117, null, v7, v117, s35
	s_clause 0x1
	flat_load_ushort v114, v[114:115]
	flat_load_ushort v115, v[116:117]
	s_waitcnt vmcnt(0) lgkmcnt(0)
	v_cmp_lt_i16_e64 s35, v114, v115
	v_cndmask_b32_e64 v114, v97, v98, s35
	v_cndmask_b32_e64 v98, v98, v97, s35
	v_mov_b32_e32 v97, v114
	s_or_b32 exec_lo, exec_lo, s38
	s_and_saveexec_b32 s38, s13
	s_cbranch_execnz .LBB1044_806
.LBB1044_1285:
	s_or_b32 exec_lo, exec_lo, s38
	s_and_saveexec_b32 s38, s57
	s_cbranch_execz .LBB1044_807
.LBB1044_1286:
	v_bfe_i32 v114, v85, 0, 16
	v_bfe_i32 v116, v86, 0, 16
	v_ashrrev_i32_e32 v115, 31, v114
	v_ashrrev_i32_e32 v117, 31, v116
	v_lshlrev_b64 v[114:115], 1, v[114:115]
	v_lshlrev_b64 v[116:117], 1, v[116:117]
	v_add_co_u32 v114, s35, v6, v114
	v_add_co_ci_u32_e64 v115, null, v7, v115, s35
	v_add_co_u32 v116, s35, v6, v116
	v_add_co_ci_u32_e64 v117, null, v7, v117, s35
	s_clause 0x1
	flat_load_ushort v114, v[114:115]
	flat_load_ushort v115, v[116:117]
	s_waitcnt vmcnt(0) lgkmcnt(0)
	v_cmp_lt_i16_e64 s35, v114, v115
	v_cndmask_b32_e64 v114, v85, v86, s35
	v_cndmask_b32_e64 v86, v86, v85, s35
	v_mov_b32_e32 v85, v114
	s_or_b32 exec_lo, exec_lo, s38
	s_and_saveexec_b32 s38, s58
	s_cbranch_execnz .LBB1044_808
.LBB1044_1287:
	s_or_b32 exec_lo, exec_lo, s38
	s_and_saveexec_b32 s38, s59
	s_cbranch_execz .LBB1044_809
.LBB1044_1288:
	v_bfe_i32 v114, v81, 0, 16
	v_bfe_i32 v116, v82, 0, 16
	v_ashrrev_i32_e32 v115, 31, v114
	v_ashrrev_i32_e32 v117, 31, v116
	v_lshlrev_b64 v[114:115], 1, v[114:115]
	v_lshlrev_b64 v[116:117], 1, v[116:117]
	v_add_co_u32 v114, s35, v6, v114
	v_add_co_ci_u32_e64 v115, null, v7, v115, s35
	v_add_co_u32 v116, s35, v6, v116
	v_add_co_ci_u32_e64 v117, null, v7, v117, s35
	s_clause 0x1
	flat_load_ushort v114, v[114:115]
	flat_load_ushort v115, v[116:117]
	s_waitcnt vmcnt(0) lgkmcnt(0)
	v_cmp_lt_i16_e64 s35, v114, v115
	v_cndmask_b32_e64 v114, v81, v82, s35
	v_cndmask_b32_e64 v82, v82, v81, s35
	v_mov_b32_e32 v81, v114
	s_or_b32 exec_lo, exec_lo, s38
	s_and_saveexec_b32 s38, s60
	s_cbranch_execnz .LBB1044_810
.LBB1044_1289:
	s_or_b32 exec_lo, exec_lo, s38
	s_and_saveexec_b32 s38, s61
	s_cbranch_execz .LBB1044_811
.LBB1044_1290:
	v_bfe_i32 v114, v69, 0, 16
	v_bfe_i32 v116, v70, 0, 16
	v_ashrrev_i32_e32 v115, 31, v114
	v_ashrrev_i32_e32 v117, 31, v116
	v_lshlrev_b64 v[114:115], 1, v[114:115]
	v_lshlrev_b64 v[116:117], 1, v[116:117]
	v_add_co_u32 v114, s35, v6, v114
	v_add_co_ci_u32_e64 v115, null, v7, v115, s35
	v_add_co_u32 v116, s35, v6, v116
	v_add_co_ci_u32_e64 v117, null, v7, v117, s35
	s_clause 0x1
	flat_load_ushort v114, v[114:115]
	flat_load_ushort v115, v[116:117]
	s_waitcnt vmcnt(0) lgkmcnt(0)
	v_cmp_lt_i16_e64 s35, v114, v115
	v_cndmask_b32_e64 v114, v69, v70, s35
	v_cndmask_b32_e64 v70, v70, v69, s35
	v_mov_b32_e32 v69, v114
	s_or_b32 exec_lo, exec_lo, s38
	s_and_saveexec_b32 s38, s62
	s_cbranch_execnz .LBB1044_812
.LBB1044_1291:
	s_or_b32 exec_lo, exec_lo, s38
	s_and_saveexec_b32 s38, s63
	s_cbranch_execz .LBB1044_813
.LBB1044_1292:
	v_bfe_i32 v114, v65, 0, 16
	v_bfe_i32 v116, v66, 0, 16
	v_ashrrev_i32_e32 v115, 31, v114
	v_ashrrev_i32_e32 v117, 31, v116
	v_lshlrev_b64 v[114:115], 1, v[114:115]
	v_lshlrev_b64 v[116:117], 1, v[116:117]
	v_add_co_u32 v114, s35, v6, v114
	v_add_co_ci_u32_e64 v115, null, v7, v115, s35
	v_add_co_u32 v116, s35, v6, v116
	v_add_co_ci_u32_e64 v117, null, v7, v117, s35
	s_clause 0x1
	flat_load_ushort v114, v[114:115]
	flat_load_ushort v115, v[116:117]
	s_waitcnt vmcnt(0) lgkmcnt(0)
	v_cmp_lt_i16_e64 s35, v114, v115
	v_cndmask_b32_e64 v114, v65, v66, s35
	v_cndmask_b32_e64 v66, v66, v65, s35
	v_mov_b32_e32 v65, v114
	s_or_b32 exec_lo, exec_lo, s38
	s_and_saveexec_b32 s38, s72
	s_cbranch_execnz .LBB1044_814
.LBB1044_1293:
	s_or_b32 exec_lo, exec_lo, s38
	s_and_saveexec_b32 s38, s73
	s_cbranch_execz .LBB1044_815
.LBB1044_1294:
	v_bfe_i32 v114, v64, 0, 16
	v_bfe_i32 v116, v53, 0, 16
	v_ashrrev_i32_e32 v115, 31, v114
	v_ashrrev_i32_e32 v117, 31, v116
	v_lshlrev_b64 v[114:115], 1, v[114:115]
	v_lshlrev_b64 v[116:117], 1, v[116:117]
	v_add_co_u32 v114, s35, v6, v114
	v_add_co_ci_u32_e64 v115, null, v7, v115, s35
	v_add_co_u32 v116, s35, v6, v116
	v_add_co_ci_u32_e64 v117, null, v7, v117, s35
	s_clause 0x1
	flat_load_ushort v114, v[114:115]
	flat_load_ushort v115, v[116:117]
	s_waitcnt vmcnt(0) lgkmcnt(0)
	v_cmp_lt_i16_e64 s35, v114, v115
	v_cndmask_b32_e64 v114, v64, v53, s35
	v_cndmask_b32_e64 v53, v53, v64, s35
	v_mov_b32_e32 v64, v114
	s_or_b32 exec_lo, exec_lo, s38
	s_and_saveexec_b32 s38, s74
	s_cbranch_execnz .LBB1044_816
.LBB1044_1295:
	s_or_b32 exec_lo, exec_lo, s38
	s_and_saveexec_b32 s38, s75
	s_cbranch_execz .LBB1044_817
.LBB1044_1296:
	v_bfe_i32 v114, v49, 0, 16
	v_bfe_i32 v116, v50, 0, 16
	v_ashrrev_i32_e32 v115, 31, v114
	v_ashrrev_i32_e32 v117, 31, v116
	v_lshlrev_b64 v[114:115], 1, v[114:115]
	v_lshlrev_b64 v[116:117], 1, v[116:117]
	v_add_co_u32 v114, s35, v6, v114
	v_add_co_ci_u32_e64 v115, null, v7, v115, s35
	v_add_co_u32 v116, s35, v6, v116
	v_add_co_ci_u32_e64 v117, null, v7, v117, s35
	s_clause 0x1
	flat_load_ushort v114, v[114:115]
	flat_load_ushort v115, v[116:117]
	s_waitcnt vmcnt(0) lgkmcnt(0)
	v_cmp_lt_i16_e64 s35, v114, v115
	v_cndmask_b32_e64 v114, v50, v49, s35
	v_cndmask_b32_e64 v49, v49, v50, s35
	v_mov_b32_e32 v50, v114
	s_or_b32 exec_lo, exec_lo, s38
	s_and_saveexec_b32 s38, s76
	s_cbranch_execnz .LBB1044_818
.LBB1044_1297:
	s_or_b32 exec_lo, exec_lo, s38
	s_and_saveexec_b32 s38, s77
	s_cbranch_execz .LBB1044_819
.LBB1044_1298:
	v_bfe_i32 v114, v101, 0, 16
	v_bfe_i32 v116, v102, 0, 16
	v_ashrrev_i32_e32 v115, 31, v114
	v_ashrrev_i32_e32 v117, 31, v116
	v_lshlrev_b64 v[114:115], 1, v[114:115]
	v_lshlrev_b64 v[116:117], 1, v[116:117]
	v_add_co_u32 v114, s35, v6, v114
	v_add_co_ci_u32_e64 v115, null, v7, v115, s35
	v_add_co_u32 v116, s35, v6, v116
	v_add_co_ci_u32_e64 v117, null, v7, v117, s35
	s_clause 0x1
	flat_load_ushort v114, v[114:115]
	flat_load_ushort v115, v[116:117]
	s_waitcnt vmcnt(0) lgkmcnt(0)
	v_cmp_lt_i16_e64 s35, v114, v115
	v_cndmask_b32_e64 v114, v101, v102, s35
	v_cndmask_b32_e64 v102, v102, v101, s35
	v_mov_b32_e32 v101, v114
	s_or_b32 exec_lo, exec_lo, s38
	s_and_saveexec_b32 s38, s78
	s_cbranch_execnz .LBB1044_820
.LBB1044_1299:
	s_or_b32 exec_lo, exec_lo, s38
	s_and_saveexec_b32 s38, s79
	s_cbranch_execz .LBB1044_821
.LBB1044_1300:
	v_bfe_i32 v114, v96, 0, 16
	v_bfe_i32 v116, v97, 0, 16
	v_ashrrev_i32_e32 v115, 31, v114
	v_ashrrev_i32_e32 v117, 31, v116
	v_lshlrev_b64 v[114:115], 1, v[114:115]
	v_lshlrev_b64 v[116:117], 1, v[116:117]
	v_add_co_u32 v114, s35, v6, v114
	v_add_co_ci_u32_e64 v115, null, v7, v115, s35
	v_add_co_u32 v116, s35, v6, v116
	v_add_co_ci_u32_e64 v117, null, v7, v117, s35
	s_clause 0x1
	flat_load_ushort v114, v[114:115]
	flat_load_ushort v115, v[116:117]
	s_waitcnt vmcnt(0) lgkmcnt(0)
	v_cmp_lt_i16_e64 s35, v114, v115
	v_cndmask_b32_e64 v114, v96, v97, s35
	v_cndmask_b32_e64 v97, v97, v96, s35
	v_mov_b32_e32 v96, v114
	s_or_b32 exec_lo, exec_lo, s38
	s_and_saveexec_b32 s38, s88
	s_cbranch_execnz .LBB1044_822
.LBB1044_1301:
	s_or_b32 exec_lo, exec_lo, s38
	s_and_saveexec_b32 s38, s89
	s_cbranch_execz .LBB1044_823
.LBB1044_1302:
	v_bfe_i32 v114, v84, 0, 16
	v_bfe_i32 v116, v85, 0, 16
	v_ashrrev_i32_e32 v115, 31, v114
	v_ashrrev_i32_e32 v117, 31, v116
	v_lshlrev_b64 v[114:115], 1, v[114:115]
	v_lshlrev_b64 v[116:117], 1, v[116:117]
	v_add_co_u32 v114, s35, v6, v114
	v_add_co_ci_u32_e64 v115, null, v7, v115, s35
	v_add_co_u32 v116, s35, v6, v116
	v_add_co_ci_u32_e64 v117, null, v7, v117, s35
	s_clause 0x1
	flat_load_ushort v114, v[114:115]
	flat_load_ushort v115, v[116:117]
	s_waitcnt vmcnt(0) lgkmcnt(0)
	v_cmp_lt_i16_e64 s35, v114, v115
	v_cndmask_b32_e64 v114, v84, v85, s35
	v_cndmask_b32_e64 v85, v85, v84, s35
	v_mov_b32_e32 v84, v114
	s_or_b32 exec_lo, exec_lo, s38
	s_and_saveexec_b32 s38, s90
	s_cbranch_execnz .LBB1044_824
.LBB1044_1303:
	s_or_b32 exec_lo, exec_lo, s38
	s_and_saveexec_b32 s38, s91
	s_cbranch_execz .LBB1044_825
.LBB1044_1304:
	v_bfe_i32 v114, v80, 0, 16
	v_bfe_i32 v116, v81, 0, 16
	v_ashrrev_i32_e32 v115, 31, v114
	v_ashrrev_i32_e32 v117, 31, v116
	v_lshlrev_b64 v[114:115], 1, v[114:115]
	v_lshlrev_b64 v[116:117], 1, v[116:117]
	v_add_co_u32 v114, s35, v6, v114
	v_add_co_ci_u32_e64 v115, null, v7, v115, s35
	v_add_co_u32 v116, s35, v6, v116
	v_add_co_ci_u32_e64 v117, null, v7, v117, s35
	s_clause 0x1
	flat_load_ushort v114, v[114:115]
	flat_load_ushort v115, v[116:117]
	s_waitcnt vmcnt(0) lgkmcnt(0)
	v_cmp_lt_i16_e64 s35, v114, v115
	v_cndmask_b32_e64 v114, v80, v81, s35
	v_cndmask_b32_e64 v81, v81, v80, s35
	v_mov_b32_e32 v80, v114
	s_or_b32 exec_lo, exec_lo, s38
	s_and_saveexec_b32 s38, s92
	s_cbranch_execnz .LBB1044_826
.LBB1044_1305:
	s_or_b32 exec_lo, exec_lo, s38
	s_and_saveexec_b32 s38, s93
	s_cbranch_execz .LBB1044_827
.LBB1044_1306:
	v_bfe_i32 v114, v68, 0, 16
	v_bfe_i32 v116, v69, 0, 16
	v_ashrrev_i32_e32 v115, 31, v114
	v_ashrrev_i32_e32 v117, 31, v116
	v_lshlrev_b64 v[114:115], 1, v[114:115]
	v_lshlrev_b64 v[116:117], 1, v[116:117]
	v_add_co_u32 v114, s35, v6, v114
	v_add_co_ci_u32_e64 v115, null, v7, v115, s35
	v_add_co_u32 v116, s35, v6, v116
	v_add_co_ci_u32_e64 v117, null, v7, v117, s35
	s_clause 0x1
	flat_load_ushort v114, v[114:115]
	flat_load_ushort v115, v[116:117]
	s_waitcnt vmcnt(0) lgkmcnt(0)
	v_cmp_lt_i16_e64 s35, v114, v115
	v_cndmask_b32_e64 v114, v68, v69, s35
	v_cndmask_b32_e64 v69, v69, v68, s35
	v_mov_b32_e32 v68, v114
	s_or_b32 exec_lo, exec_lo, s38
	s_and_saveexec_b32 s38, s94
	s_cbranch_execnz .LBB1044_828
.LBB1044_1307:
	s_or_b32 exec_lo, exec_lo, s38
	s_and_saveexec_b32 s38, s95
	s_cbranch_execz .LBB1044_829
.LBB1044_1308:
	v_bfe_i32 v114, v55, 0, 16
	v_bfe_i32 v116, v65, 0, 16
	v_ashrrev_i32_e32 v115, 31, v114
	v_ashrrev_i32_e32 v117, 31, v116
	v_lshlrev_b64 v[114:115], 1, v[114:115]
	v_lshlrev_b64 v[116:117], 1, v[116:117]
	v_add_co_u32 v114, s35, v6, v114
	v_add_co_ci_u32_e64 v115, null, v7, v115, s35
	v_add_co_u32 v116, s35, v6, v116
	v_add_co_ci_u32_e64 v117, null, v7, v117, s35
	s_clause 0x1
	flat_load_ushort v114, v[114:115]
	flat_load_ushort v115, v[116:117]
	s_waitcnt vmcnt(0) lgkmcnt(0)
	v_cmp_lt_i16_e64 s35, v114, v115
	v_cndmask_b32_e64 v114, v55, v65, s35
	v_cndmask_b32_e64 v65, v65, v55, s35
	v_mov_b32_e32 v55, v114
	s_or_b32 exec_lo, exec_lo, s38
	s_and_saveexec_b32 s38, vcc_hi
	s_cbranch_execnz .LBB1044_830
.LBB1044_1309:
	s_or_b32 exec_lo, exec_lo, s38
	s_and_saveexec_b32 s38, s30
	s_cbranch_execz .LBB1044_831
.LBB1044_1310:
	v_bfe_i32 v114, v52, 0, 16
	v_bfe_i32 v116, v64, 0, 16
	v_ashrrev_i32_e32 v115, 31, v114
	v_ashrrev_i32_e32 v117, 31, v116
	v_lshlrev_b64 v[114:115], 1, v[114:115]
	v_lshlrev_b64 v[116:117], 1, v[116:117]
	v_add_co_u32 v114, s35, v6, v114
	v_add_co_ci_u32_e64 v115, null, v7, v115, s35
	v_add_co_u32 v116, s35, v6, v116
	v_add_co_ci_u32_e64 v117, null, v7, v117, s35
	s_clause 0x1
	flat_load_ushort v114, v[114:115]
	flat_load_ushort v115, v[116:117]
	s_waitcnt vmcnt(0) lgkmcnt(0)
	v_cmp_lt_i16_e64 s35, v114, v115
	v_cndmask_b32_e64 v114, v64, v52, s35
	v_cndmask_b32_e64 v52, v52, v64, s35
	v_mov_b32_e32 v64, v114
	s_or_b32 exec_lo, exec_lo, s38
	s_and_saveexec_b32 s38, s31
	s_cbranch_execnz .LBB1044_832
.LBB1044_1311:
	s_or_b32 exec_lo, exec_lo, s38
	s_and_saveexec_b32 s38, s34
	s_cbranch_execz .LBB1044_833
.LBB1044_1312:
	v_bfe_i32 v114, v103, 0, 16
	v_bfe_i32 v116, v49, 0, 16
	v_ashrrev_i32_e32 v115, 31, v114
	v_ashrrev_i32_e32 v117, 31, v116
	v_lshlrev_b64 v[114:115], 1, v[114:115]
	v_lshlrev_b64 v[116:117], 1, v[116:117]
	v_add_co_u32 v114, s35, v6, v114
	v_add_co_ci_u32_e64 v115, null, v7, v115, s35
	v_add_co_u32 v116, s35, v6, v116
	v_add_co_ci_u32_e64 v117, null, v7, v117, s35
	s_clause 0x1
	flat_load_ushort v114, v[114:115]
	flat_load_ushort v115, v[116:117]
	s_waitcnt vmcnt(0) lgkmcnt(0)
	v_cmp_lt_i16_e64 s35, v114, v115
	v_cndmask_b32_e64 v114, v49, v103, s35
	v_cndmask_b32_e64 v103, v103, v49, s35
	v_mov_b32_e32 v49, v114
	s_or_b32 exec_lo, exec_lo, s38
	s_and_saveexec_b32 s38, s8
	s_cbranch_execnz .LBB1044_834
.LBB1044_1313:
	s_or_b32 exec_lo, exec_lo, s38
	s_and_saveexec_b32 s38, s9
	s_cbranch_execz .LBB1044_835
.LBB1044_1314:
	v_bfe_i32 v114, v100, 0, 16
	v_bfe_i32 v116, v101, 0, 16
	v_ashrrev_i32_e32 v115, 31, v114
	v_ashrrev_i32_e32 v117, 31, v116
	v_lshlrev_b64 v[114:115], 1, v[114:115]
	v_lshlrev_b64 v[116:117], 1, v[116:117]
	v_add_co_u32 v114, s35, v6, v114
	v_add_co_ci_u32_e64 v115, null, v7, v115, s35
	v_add_co_u32 v116, s35, v6, v116
	v_add_co_ci_u32_e64 v117, null, v7, v117, s35
	s_clause 0x1
	flat_load_ushort v114, v[114:115]
	flat_load_ushort v115, v[116:117]
	s_waitcnt vmcnt(0) lgkmcnt(0)
	v_cmp_lt_i16_e64 s35, v114, v115
	v_cndmask_b32_e64 v114, v100, v101, s35
	v_cndmask_b32_e64 v101, v101, v100, s35
	v_mov_b32_e32 v100, v114
	s_or_b32 exec_lo, exec_lo, s38
	s_and_saveexec_b32 s38, s12
	s_cbranch_execnz .LBB1044_836
.LBB1044_1315:
	s_or_b32 exec_lo, exec_lo, s38
	s_and_saveexec_b32 s38, s13
	s_cbranch_execz .LBB1044_837
.LBB1044_1316:
	v_bfe_i32 v114, v87, 0, 16
	v_bfe_i32 v116, v96, 0, 16
	v_ashrrev_i32_e32 v115, 31, v114
	v_ashrrev_i32_e32 v117, 31, v116
	v_lshlrev_b64 v[114:115], 1, v[114:115]
	v_lshlrev_b64 v[116:117], 1, v[116:117]
	v_add_co_u32 v114, s35, v6, v114
	v_add_co_ci_u32_e64 v115, null, v7, v115, s35
	v_add_co_u32 v116, s35, v6, v116
	v_add_co_ci_u32_e64 v117, null, v7, v117, s35
	s_clause 0x1
	flat_load_ushort v114, v[114:115]
	flat_load_ushort v115, v[116:117]
	s_waitcnt vmcnt(0) lgkmcnt(0)
	v_cmp_lt_i16_e64 s35, v114, v115
	v_cndmask_b32_e64 v114, v87, v96, s35
	v_cndmask_b32_e64 v96, v96, v87, s35
	v_mov_b32_e32 v87, v114
	s_or_b32 exec_lo, exec_lo, s38
	s_and_saveexec_b32 s38, s57
	s_cbranch_execnz .LBB1044_838
.LBB1044_1317:
	s_or_b32 exec_lo, exec_lo, s38
	s_and_saveexec_b32 s38, s58
	s_cbranch_execz .LBB1044_839
.LBB1044_1318:
	v_bfe_i32 v114, v83, 0, 16
	v_bfe_i32 v116, v84, 0, 16
	v_ashrrev_i32_e32 v115, 31, v114
	v_ashrrev_i32_e32 v117, 31, v116
	v_lshlrev_b64 v[114:115], 1, v[114:115]
	v_lshlrev_b64 v[116:117], 1, v[116:117]
	v_add_co_u32 v114, s35, v6, v114
	v_add_co_ci_u32_e64 v115, null, v7, v115, s35
	v_add_co_u32 v116, s35, v6, v116
	v_add_co_ci_u32_e64 v117, null, v7, v117, s35
	s_clause 0x1
	flat_load_ushort v114, v[114:115]
	flat_load_ushort v115, v[116:117]
	s_waitcnt vmcnt(0) lgkmcnt(0)
	v_cmp_lt_i16_e64 s35, v114, v115
	v_cndmask_b32_e64 v114, v83, v84, s35
	v_cndmask_b32_e64 v84, v84, v83, s35
	v_mov_b32_e32 v83, v114
	s_or_b32 exec_lo, exec_lo, s38
	s_and_saveexec_b32 s38, s59
	s_cbranch_execnz .LBB1044_840
.LBB1044_1319:
	s_or_b32 exec_lo, exec_lo, s38
	s_and_saveexec_b32 s38, s60
	s_cbranch_execz .LBB1044_841
.LBB1044_1320:
	v_bfe_i32 v114, v71, 0, 16
	v_bfe_i32 v116, v80, 0, 16
	v_ashrrev_i32_e32 v115, 31, v114
	v_ashrrev_i32_e32 v117, 31, v116
	v_lshlrev_b64 v[114:115], 1, v[114:115]
	v_lshlrev_b64 v[116:117], 1, v[116:117]
	v_add_co_u32 v114, s35, v6, v114
	v_add_co_ci_u32_e64 v115, null, v7, v115, s35
	v_add_co_u32 v116, s35, v6, v116
	v_add_co_ci_u32_e64 v117, null, v7, v117, s35
	s_clause 0x1
	flat_load_ushort v114, v[114:115]
	flat_load_ushort v115, v[116:117]
	s_waitcnt vmcnt(0) lgkmcnt(0)
	v_cmp_lt_i16_e64 s35, v114, v115
	v_cndmask_b32_e64 v114, v71, v80, s35
	v_cndmask_b32_e64 v80, v80, v71, s35
	v_mov_b32_e32 v71, v114
	s_or_b32 exec_lo, exec_lo, s38
	s_and_saveexec_b32 s38, s61
	s_cbranch_execnz .LBB1044_842
.LBB1044_1321:
	s_or_b32 exec_lo, exec_lo, s38
	s_and_saveexec_b32 s38, s62
	s_cbranch_execz .LBB1044_843
.LBB1044_1322:
	v_bfe_i32 v114, v67, 0, 16
	v_bfe_i32 v116, v68, 0, 16
	v_ashrrev_i32_e32 v115, 31, v114
	v_ashrrev_i32_e32 v117, 31, v116
	v_lshlrev_b64 v[114:115], 1, v[114:115]
	v_lshlrev_b64 v[116:117], 1, v[116:117]
	v_add_co_u32 v114, s35, v6, v114
	v_add_co_ci_u32_e64 v115, null, v7, v115, s35
	v_add_co_u32 v116, s35, v6, v116
	v_add_co_ci_u32_e64 v117, null, v7, v117, s35
	s_clause 0x1
	flat_load_ushort v114, v[114:115]
	flat_load_ushort v115, v[116:117]
	s_waitcnt vmcnt(0) lgkmcnt(0)
	v_cmp_lt_i16_e64 s35, v114, v115
	v_cndmask_b32_e64 v114, v67, v68, s35
	v_cndmask_b32_e64 v68, v68, v67, s35
	v_mov_b32_e32 v67, v114
	s_or_b32 exec_lo, exec_lo, s38
	s_and_saveexec_b32 s38, s63
	s_cbranch_execnz .LBB1044_844
.LBB1044_1323:
	s_or_b32 exec_lo, exec_lo, s38
	s_and_saveexec_b32 s38, s72
	s_cbranch_execz .LBB1044_845
.LBB1044_1324:
	v_bfe_i32 v114, v54, 0, 16
	v_bfe_i32 v116, v55, 0, 16
	v_ashrrev_i32_e32 v115, 31, v114
	v_ashrrev_i32_e32 v117, 31, v116
	v_lshlrev_b64 v[114:115], 1, v[114:115]
	v_lshlrev_b64 v[116:117], 1, v[116:117]
	v_add_co_u32 v114, s35, v6, v114
	v_add_co_ci_u32_e64 v115, null, v7, v115, s35
	v_add_co_u32 v116, s35, v6, v116
	v_add_co_ci_u32_e64 v117, null, v7, v117, s35
	s_clause 0x1
	flat_load_ushort v114, v[114:115]
	flat_load_ushort v115, v[116:117]
	s_waitcnt vmcnt(0) lgkmcnt(0)
	v_cmp_lt_i16_e64 s35, v114, v115
	v_cndmask_b32_e64 v114, v54, v55, s35
	v_cndmask_b32_e64 v55, v55, v54, s35
	v_mov_b32_e32 v54, v114
	s_or_b32 exec_lo, exec_lo, s38
	s_and_saveexec_b32 s38, s73
	s_cbranch_execnz .LBB1044_846
.LBB1044_1325:
	s_or_b32 exec_lo, exec_lo, s38
	s_and_saveexec_b32 s38, s74
	s_cbranch_execz .LBB1044_847
.LBB1044_1326:
	v_bfe_i32 v114, v51, 0, 16
	v_bfe_i32 v116, v52, 0, 16
	v_ashrrev_i32_e32 v115, 31, v114
	v_ashrrev_i32_e32 v117, 31, v116
	v_lshlrev_b64 v[114:115], 1, v[114:115]
	v_lshlrev_b64 v[116:117], 1, v[116:117]
	v_add_co_u32 v114, s35, v6, v114
	v_add_co_ci_u32_e64 v115, null, v7, v115, s35
	v_add_co_u32 v116, s35, v6, v116
	v_add_co_ci_u32_e64 v117, null, v7, v117, s35
	s_clause 0x1
	flat_load_ushort v114, v[114:115]
	flat_load_ushort v115, v[116:117]
	s_waitcnt vmcnt(0) lgkmcnt(0)
	v_cmp_lt_i16_e64 s35, v114, v115
	v_cndmask_b32_e64 v114, v52, v51, s35
	v_cndmask_b32_e64 v51, v51, v52, s35
	v_mov_b32_e32 v52, v114
	s_or_b32 exec_lo, exec_lo, s38
	s_and_saveexec_b32 s38, s75
	s_cbranch_execnz .LBB1044_848
.LBB1044_1327:
	s_or_b32 exec_lo, exec_lo, s38
	s_and_saveexec_b32 s38, s76
	s_cbranch_execz .LBB1044_849
.LBB1044_1328:
	v_bfe_i32 v114, v48, 0, 16
	v_bfe_i32 v116, v103, 0, 16
	v_ashrrev_i32_e32 v115, 31, v114
	v_ashrrev_i32_e32 v117, 31, v116
	v_lshlrev_b64 v[114:115], 1, v[114:115]
	v_lshlrev_b64 v[116:117], 1, v[116:117]
	v_add_co_u32 v114, s35, v6, v114
	v_add_co_ci_u32_e64 v115, null, v7, v115, s35
	v_add_co_u32 v116, s35, v6, v116
	v_add_co_ci_u32_e64 v117, null, v7, v117, s35
	s_clause 0x1
	flat_load_ushort v114, v[114:115]
	flat_load_ushort v115, v[116:117]
	s_waitcnt vmcnt(0) lgkmcnt(0)
	v_cmp_lt_i16_e64 s35, v114, v115
	v_cndmask_b32_e64 v114, v103, v48, s35
	v_cndmask_b32_e64 v48, v48, v103, s35
	v_mov_b32_e32 v103, v114
	s_or_b32 exec_lo, exec_lo, s38
	s_and_saveexec_b32 s38, s77
	s_cbranch_execnz .LBB1044_850
.LBB1044_1329:
	s_or_b32 exec_lo, exec_lo, s38
	s_and_saveexec_b32 s38, s78
	s_cbranch_execz .LBB1044_851
.LBB1044_1330:
	v_bfe_i32 v114, v98, 0, 16
	v_bfe_i32 v116, v100, 0, 16
	v_ashrrev_i32_e32 v115, 31, v114
	v_ashrrev_i32_e32 v117, 31, v116
	v_lshlrev_b64 v[114:115], 1, v[114:115]
	v_lshlrev_b64 v[116:117], 1, v[116:117]
	v_add_co_u32 v114, s35, v6, v114
	v_add_co_ci_u32_e64 v115, null, v7, v115, s35
	v_add_co_u32 v116, s35, v6, v116
	v_add_co_ci_u32_e64 v117, null, v7, v117, s35
	s_clause 0x1
	flat_load_ushort v114, v[114:115]
	flat_load_ushort v115, v[116:117]
	s_waitcnt vmcnt(0) lgkmcnt(0)
	v_cmp_lt_i16_e64 s35, v114, v115
	v_cndmask_b32_e64 v114, v98, v100, s35
	v_cndmask_b32_e64 v100, v100, v98, s35
	v_mov_b32_e32 v98, v114
	s_or_b32 exec_lo, exec_lo, s38
	s_and_saveexec_b32 s38, s79
	s_cbranch_execnz .LBB1044_852
.LBB1044_1331:
	s_or_b32 exec_lo, exec_lo, s38
	s_and_saveexec_b32 s38, s88
	s_cbranch_execz .LBB1044_853
.LBB1044_1332:
	v_bfe_i32 v114, v86, 0, 16
	v_bfe_i32 v116, v87, 0, 16
	v_ashrrev_i32_e32 v115, 31, v114
	v_ashrrev_i32_e32 v117, 31, v116
	v_lshlrev_b64 v[114:115], 1, v[114:115]
	v_lshlrev_b64 v[116:117], 1, v[116:117]
	v_add_co_u32 v114, s35, v6, v114
	v_add_co_ci_u32_e64 v115, null, v7, v115, s35
	v_add_co_u32 v116, s35, v6, v116
	v_add_co_ci_u32_e64 v117, null, v7, v117, s35
	s_clause 0x1
	flat_load_ushort v114, v[114:115]
	flat_load_ushort v115, v[116:117]
	s_waitcnt vmcnt(0) lgkmcnt(0)
	v_cmp_lt_i16_e64 s35, v114, v115
	v_cndmask_b32_e64 v114, v86, v87, s35
	v_cndmask_b32_e64 v87, v87, v86, s35
	v_mov_b32_e32 v86, v114
	s_or_b32 exec_lo, exec_lo, s38
	s_and_saveexec_b32 s38, s89
	s_cbranch_execnz .LBB1044_854
.LBB1044_1333:
	s_or_b32 exec_lo, exec_lo, s38
	s_and_saveexec_b32 s38, s90
	s_cbranch_execz .LBB1044_855
.LBB1044_1334:
	v_bfe_i32 v114, v82, 0, 16
	v_bfe_i32 v116, v83, 0, 16
	v_ashrrev_i32_e32 v115, 31, v114
	v_ashrrev_i32_e32 v117, 31, v116
	v_lshlrev_b64 v[114:115], 1, v[114:115]
	v_lshlrev_b64 v[116:117], 1, v[116:117]
	v_add_co_u32 v114, s35, v6, v114
	v_add_co_ci_u32_e64 v115, null, v7, v115, s35
	v_add_co_u32 v116, s35, v6, v116
	v_add_co_ci_u32_e64 v117, null, v7, v117, s35
	s_clause 0x1
	flat_load_ushort v114, v[114:115]
	flat_load_ushort v115, v[116:117]
	s_waitcnt vmcnt(0) lgkmcnt(0)
	v_cmp_lt_i16_e64 s35, v114, v115
	v_cndmask_b32_e64 v114, v82, v83, s35
	v_cndmask_b32_e64 v83, v83, v82, s35
	v_mov_b32_e32 v82, v114
	s_or_b32 exec_lo, exec_lo, s38
	s_and_saveexec_b32 s38, s91
	s_cbranch_execnz .LBB1044_856
.LBB1044_1335:
	s_or_b32 exec_lo, exec_lo, s38
	s_and_saveexec_b32 s38, s92
	s_cbranch_execz .LBB1044_857
.LBB1044_1336:
	v_bfe_i32 v114, v70, 0, 16
	v_bfe_i32 v116, v71, 0, 16
	v_ashrrev_i32_e32 v115, 31, v114
	v_ashrrev_i32_e32 v117, 31, v116
	v_lshlrev_b64 v[114:115], 1, v[114:115]
	v_lshlrev_b64 v[116:117], 1, v[116:117]
	v_add_co_u32 v114, s35, v6, v114
	v_add_co_ci_u32_e64 v115, null, v7, v115, s35
	v_add_co_u32 v116, s35, v6, v116
	v_add_co_ci_u32_e64 v117, null, v7, v117, s35
	s_clause 0x1
	flat_load_ushort v114, v[114:115]
	flat_load_ushort v115, v[116:117]
	s_waitcnt vmcnt(0) lgkmcnt(0)
	v_cmp_lt_i16_e64 s35, v114, v115
	v_cndmask_b32_e64 v114, v70, v71, s35
	v_cndmask_b32_e64 v71, v71, v70, s35
	v_mov_b32_e32 v70, v114
	s_or_b32 exec_lo, exec_lo, s38
	s_and_saveexec_b32 s38, s93
	s_cbranch_execnz .LBB1044_858
.LBB1044_1337:
	s_or_b32 exec_lo, exec_lo, s38
	s_and_saveexec_b32 s38, s94
	s_cbranch_execz .LBB1044_859
.LBB1044_1338:
	v_bfe_i32 v114, v66, 0, 16
	v_bfe_i32 v116, v67, 0, 16
	v_ashrrev_i32_e32 v115, 31, v114
	v_ashrrev_i32_e32 v117, 31, v116
	v_lshlrev_b64 v[114:115], 1, v[114:115]
	v_lshlrev_b64 v[116:117], 1, v[116:117]
	v_add_co_u32 v114, s35, v6, v114
	v_add_co_ci_u32_e64 v115, null, v7, v115, s35
	v_add_co_u32 v116, s35, v6, v116
	v_add_co_ci_u32_e64 v117, null, v7, v117, s35
	s_clause 0x1
	flat_load_ushort v114, v[114:115]
	flat_load_ushort v115, v[116:117]
	s_waitcnt vmcnt(0) lgkmcnt(0)
	v_cmp_lt_i16_e64 s35, v114, v115
	v_cndmask_b32_e64 v114, v66, v67, s35
	v_cndmask_b32_e64 v67, v67, v66, s35
	v_mov_b32_e32 v66, v114
	s_or_b32 exec_lo, exec_lo, s38
	s_and_saveexec_b32 s38, s95
	s_cbranch_execnz .LBB1044_860
.LBB1044_1339:
	s_or_b32 exec_lo, exec_lo, s38
	s_and_saveexec_b32 s38, vcc_hi
	s_cbranch_execz .LBB1044_861
.LBB1044_1340:
	v_bfe_i32 v114, v53, 0, 16
	v_bfe_i32 v116, v54, 0, 16
	v_ashrrev_i32_e32 v115, 31, v114
	v_ashrrev_i32_e32 v117, 31, v116
	v_lshlrev_b64 v[114:115], 1, v[114:115]
	v_lshlrev_b64 v[116:117], 1, v[116:117]
	v_add_co_u32 v114, s35, v6, v114
	v_add_co_ci_u32_e64 v115, null, v7, v115, s35
	v_add_co_u32 v116, s35, v6, v116
	v_add_co_ci_u32_e64 v117, null, v7, v117, s35
	s_clause 0x1
	flat_load_ushort v114, v[114:115]
	flat_load_ushort v115, v[116:117]
	s_waitcnt vmcnt(0) lgkmcnt(0)
	v_cmp_lt_i16_e64 s35, v114, v115
	v_cndmask_b32_e64 v114, v53, v54, s35
	v_cndmask_b32_e64 v54, v54, v53, s35
	v_mov_b32_e32 v53, v114
	s_or_b32 exec_lo, exec_lo, s38
	s_and_saveexec_b32 s38, s30
	s_cbranch_execnz .LBB1044_862
.LBB1044_1341:
	s_or_b32 exec_lo, exec_lo, s38
	s_and_saveexec_b32 s38, s31
	s_cbranch_execz .LBB1044_863
.LBB1044_1342:
	v_bfe_i32 v114, v50, 0, 16
	v_bfe_i32 v116, v51, 0, 16
	v_ashrrev_i32_e32 v115, 31, v114
	v_ashrrev_i32_e32 v117, 31, v116
	v_lshlrev_b64 v[114:115], 1, v[114:115]
	v_lshlrev_b64 v[116:117], 1, v[116:117]
	v_add_co_u32 v114, s35, v6, v114
	v_add_co_ci_u32_e64 v115, null, v7, v115, s35
	v_add_co_u32 v116, s35, v6, v116
	v_add_co_ci_u32_e64 v117, null, v7, v117, s35
	s_clause 0x1
	flat_load_ushort v114, v[114:115]
	flat_load_ushort v115, v[116:117]
	s_waitcnt vmcnt(0) lgkmcnt(0)
	v_cmp_lt_i16_e64 s35, v114, v115
	v_cndmask_b32_e64 v114, v51, v50, s35
	v_cndmask_b32_e64 v50, v50, v51, s35
	v_mov_b32_e32 v51, v114
	s_or_b32 exec_lo, exec_lo, s38
	s_and_saveexec_b32 s38, s34
	s_cbranch_execnz .LBB1044_864
.LBB1044_1343:
	s_or_b32 exec_lo, exec_lo, s38
	s_and_saveexec_b32 s38, s8
	s_cbranch_execz .LBB1044_865
.LBB1044_1344:
	v_bfe_i32 v114, v102, 0, 16
	v_bfe_i32 v116, v99, 0, 16
	v_ashrrev_i32_e32 v115, 31, v114
	v_ashrrev_i32_e32 v117, 31, v116
	v_lshlrev_b64 v[114:115], 1, v[114:115]
	v_lshlrev_b64 v[116:117], 1, v[116:117]
	v_add_co_u32 v114, s35, v6, v114
	v_add_co_ci_u32_e64 v115, null, v7, v115, s35
	v_add_co_u32 v116, s35, v6, v116
	v_add_co_ci_u32_e64 v117, null, v7, v117, s35
	s_clause 0x1
	flat_load_ushort v114, v[114:115]
	flat_load_ushort v115, v[116:117]
	s_waitcnt vmcnt(0) lgkmcnt(0)
	v_cmp_lt_i16_e64 s35, v114, v115
	v_cndmask_b32_e64 v114, v102, v99, s35
	v_cndmask_b32_e64 v99, v99, v102, s35
	v_mov_b32_e32 v102, v114
	s_or_b32 exec_lo, exec_lo, s38
	s_and_saveexec_b32 s38, s9
	s_cbranch_execnz .LBB1044_866
.LBB1044_1345:
	s_or_b32 exec_lo, exec_lo, s38
	s_and_saveexec_b32 s38, s12
	s_cbranch_execz .LBB1044_867
.LBB1044_1346:
	v_bfe_i32 v114, v97, 0, 16
	v_bfe_i32 v116, v98, 0, 16
	v_ashrrev_i32_e32 v115, 31, v114
	v_ashrrev_i32_e32 v117, 31, v116
	v_lshlrev_b64 v[114:115], 1, v[114:115]
	v_lshlrev_b64 v[116:117], 1, v[116:117]
	v_add_co_u32 v114, s35, v6, v114
	v_add_co_ci_u32_e64 v115, null, v7, v115, s35
	v_add_co_u32 v116, s35, v6, v116
	v_add_co_ci_u32_e64 v117, null, v7, v117, s35
	s_clause 0x1
	flat_load_ushort v114, v[114:115]
	flat_load_ushort v115, v[116:117]
	s_waitcnt vmcnt(0) lgkmcnt(0)
	v_cmp_lt_i16_e64 s35, v114, v115
	v_cndmask_b32_e64 v114, v97, v98, s35
	v_cndmask_b32_e64 v98, v98, v97, s35
	v_mov_b32_e32 v97, v114
	s_or_b32 exec_lo, exec_lo, s38
	s_and_saveexec_b32 s38, s13
	s_cbranch_execnz .LBB1044_868
.LBB1044_1347:
	s_or_b32 exec_lo, exec_lo, s38
	s_and_saveexec_b32 s38, s57
	s_cbranch_execz .LBB1044_869
.LBB1044_1348:
	v_bfe_i32 v114, v85, 0, 16
	v_bfe_i32 v116, v86, 0, 16
	v_ashrrev_i32_e32 v115, 31, v114
	v_ashrrev_i32_e32 v117, 31, v116
	v_lshlrev_b64 v[114:115], 1, v[114:115]
	v_lshlrev_b64 v[116:117], 1, v[116:117]
	v_add_co_u32 v114, s35, v6, v114
	v_add_co_ci_u32_e64 v115, null, v7, v115, s35
	v_add_co_u32 v116, s35, v6, v116
	v_add_co_ci_u32_e64 v117, null, v7, v117, s35
	s_clause 0x1
	flat_load_ushort v114, v[114:115]
	flat_load_ushort v115, v[116:117]
	s_waitcnt vmcnt(0) lgkmcnt(0)
	v_cmp_lt_i16_e64 s35, v114, v115
	v_cndmask_b32_e64 v114, v85, v86, s35
	v_cndmask_b32_e64 v86, v86, v85, s35
	v_mov_b32_e32 v85, v114
	s_or_b32 exec_lo, exec_lo, s38
	s_and_saveexec_b32 s38, s58
	s_cbranch_execnz .LBB1044_870
.LBB1044_1349:
	s_or_b32 exec_lo, exec_lo, s38
	s_and_saveexec_b32 s38, s59
	s_cbranch_execz .LBB1044_871
.LBB1044_1350:
	v_bfe_i32 v114, v81, 0, 16
	v_bfe_i32 v116, v82, 0, 16
	v_ashrrev_i32_e32 v115, 31, v114
	v_ashrrev_i32_e32 v117, 31, v116
	v_lshlrev_b64 v[114:115], 1, v[114:115]
	v_lshlrev_b64 v[116:117], 1, v[116:117]
	v_add_co_u32 v114, s35, v6, v114
	v_add_co_ci_u32_e64 v115, null, v7, v115, s35
	v_add_co_u32 v116, s35, v6, v116
	v_add_co_ci_u32_e64 v117, null, v7, v117, s35
	s_clause 0x1
	flat_load_ushort v114, v[114:115]
	flat_load_ushort v115, v[116:117]
	s_waitcnt vmcnt(0) lgkmcnt(0)
	v_cmp_lt_i16_e64 s35, v114, v115
	v_cndmask_b32_e64 v114, v81, v82, s35
	v_cndmask_b32_e64 v82, v82, v81, s35
	v_mov_b32_e32 v81, v114
	s_or_b32 exec_lo, exec_lo, s38
	s_and_saveexec_b32 s38, s60
	s_cbranch_execnz .LBB1044_872
.LBB1044_1351:
	s_or_b32 exec_lo, exec_lo, s38
	s_and_saveexec_b32 s38, s61
	s_cbranch_execz .LBB1044_873
.LBB1044_1352:
	v_bfe_i32 v114, v69, 0, 16
	v_bfe_i32 v116, v70, 0, 16
	v_ashrrev_i32_e32 v115, 31, v114
	v_ashrrev_i32_e32 v117, 31, v116
	v_lshlrev_b64 v[114:115], 1, v[114:115]
	v_lshlrev_b64 v[116:117], 1, v[116:117]
	v_add_co_u32 v114, s35, v6, v114
	v_add_co_ci_u32_e64 v115, null, v7, v115, s35
	v_add_co_u32 v116, s35, v6, v116
	v_add_co_ci_u32_e64 v117, null, v7, v117, s35
	s_clause 0x1
	flat_load_ushort v114, v[114:115]
	flat_load_ushort v115, v[116:117]
	s_waitcnt vmcnt(0) lgkmcnt(0)
	v_cmp_lt_i16_e64 s35, v114, v115
	v_cndmask_b32_e64 v114, v69, v70, s35
	v_cndmask_b32_e64 v70, v70, v69, s35
	v_mov_b32_e32 v69, v114
	s_or_b32 exec_lo, exec_lo, s38
	s_and_saveexec_b32 s38, s62
	s_cbranch_execnz .LBB1044_874
.LBB1044_1353:
	s_or_b32 exec_lo, exec_lo, s38
	s_and_saveexec_b32 s38, s63
	s_cbranch_execz .LBB1044_875
.LBB1044_1354:
	v_bfe_i32 v114, v65, 0, 16
	v_bfe_i32 v116, v66, 0, 16
	v_ashrrev_i32_e32 v115, 31, v114
	v_ashrrev_i32_e32 v117, 31, v116
	v_lshlrev_b64 v[114:115], 1, v[114:115]
	v_lshlrev_b64 v[116:117], 1, v[116:117]
	v_add_co_u32 v114, s35, v6, v114
	v_add_co_ci_u32_e64 v115, null, v7, v115, s35
	v_add_co_u32 v116, s35, v6, v116
	v_add_co_ci_u32_e64 v117, null, v7, v117, s35
	s_clause 0x1
	flat_load_ushort v114, v[114:115]
	flat_load_ushort v115, v[116:117]
	s_waitcnt vmcnt(0) lgkmcnt(0)
	v_cmp_lt_i16_e64 s35, v114, v115
	v_cndmask_b32_e64 v114, v65, v66, s35
	v_cndmask_b32_e64 v66, v66, v65, s35
	v_mov_b32_e32 v65, v114
	s_or_b32 exec_lo, exec_lo, s38
	s_and_saveexec_b32 s38, s72
	s_cbranch_execnz .LBB1044_876
.LBB1044_1355:
	s_or_b32 exec_lo, exec_lo, s38
	s_and_saveexec_b32 s38, s73
	s_cbranch_execz .LBB1044_877
.LBB1044_1356:
	v_bfe_i32 v114, v64, 0, 16
	v_bfe_i32 v116, v53, 0, 16
	v_ashrrev_i32_e32 v115, 31, v114
	v_ashrrev_i32_e32 v117, 31, v116
	v_lshlrev_b64 v[114:115], 1, v[114:115]
	v_lshlrev_b64 v[116:117], 1, v[116:117]
	v_add_co_u32 v114, s35, v6, v114
	v_add_co_ci_u32_e64 v115, null, v7, v115, s35
	v_add_co_u32 v116, s35, v6, v116
	v_add_co_ci_u32_e64 v117, null, v7, v117, s35
	s_clause 0x1
	flat_load_ushort v114, v[114:115]
	flat_load_ushort v115, v[116:117]
	s_waitcnt vmcnt(0) lgkmcnt(0)
	v_cmp_lt_i16_e64 s35, v114, v115
	v_cndmask_b32_e64 v114, v64, v53, s35
	v_cndmask_b32_e64 v53, v53, v64, s35
	v_mov_b32_e32 v64, v114
	s_or_b32 exec_lo, exec_lo, s38
	s_and_saveexec_b32 s38, s74
	s_cbranch_execnz .LBB1044_878
.LBB1044_1357:
	s_or_b32 exec_lo, exec_lo, s38
	s_and_saveexec_b32 s38, s75
	s_cbranch_execz .LBB1044_879
.LBB1044_1358:
	v_bfe_i32 v114, v49, 0, 16
	v_bfe_i32 v116, v50, 0, 16
	v_ashrrev_i32_e32 v115, 31, v114
	v_ashrrev_i32_e32 v117, 31, v116
	v_lshlrev_b64 v[114:115], 1, v[114:115]
	v_lshlrev_b64 v[116:117], 1, v[116:117]
	v_add_co_u32 v114, s35, v6, v114
	v_add_co_ci_u32_e64 v115, null, v7, v115, s35
	v_add_co_u32 v116, s35, v6, v116
	v_add_co_ci_u32_e64 v117, null, v7, v117, s35
	s_clause 0x1
	flat_load_ushort v114, v[114:115]
	flat_load_ushort v115, v[116:117]
	s_waitcnt vmcnt(0) lgkmcnt(0)
	v_cmp_lt_i16_e64 s35, v114, v115
	v_cndmask_b32_e64 v114, v50, v49, s35
	v_cndmask_b32_e64 v49, v49, v50, s35
	v_mov_b32_e32 v50, v114
	s_or_b32 exec_lo, exec_lo, s38
	s_and_saveexec_b32 s38, s76
	s_cbranch_execnz .LBB1044_880
.LBB1044_1359:
	s_or_b32 exec_lo, exec_lo, s38
	s_and_saveexec_b32 s38, s77
	s_cbranch_execz .LBB1044_881
.LBB1044_1360:
	v_bfe_i32 v114, v101, 0, 16
	v_bfe_i32 v116, v102, 0, 16
	v_ashrrev_i32_e32 v115, 31, v114
	v_ashrrev_i32_e32 v117, 31, v116
	v_lshlrev_b64 v[114:115], 1, v[114:115]
	v_lshlrev_b64 v[116:117], 1, v[116:117]
	v_add_co_u32 v114, s35, v6, v114
	v_add_co_ci_u32_e64 v115, null, v7, v115, s35
	v_add_co_u32 v116, s35, v6, v116
	v_add_co_ci_u32_e64 v117, null, v7, v117, s35
	s_clause 0x1
	flat_load_ushort v114, v[114:115]
	flat_load_ushort v115, v[116:117]
	s_waitcnt vmcnt(0) lgkmcnt(0)
	v_cmp_lt_i16_e64 s35, v114, v115
	v_cndmask_b32_e64 v114, v101, v102, s35
	v_cndmask_b32_e64 v102, v102, v101, s35
	v_mov_b32_e32 v101, v114
	s_or_b32 exec_lo, exec_lo, s38
	s_and_saveexec_b32 s38, s78
	s_cbranch_execnz .LBB1044_882
.LBB1044_1361:
	s_or_b32 exec_lo, exec_lo, s38
	s_and_saveexec_b32 s38, s79
	s_cbranch_execz .LBB1044_883
.LBB1044_1362:
	v_bfe_i32 v114, v96, 0, 16
	v_bfe_i32 v116, v97, 0, 16
	v_ashrrev_i32_e32 v115, 31, v114
	v_ashrrev_i32_e32 v117, 31, v116
	v_lshlrev_b64 v[114:115], 1, v[114:115]
	v_lshlrev_b64 v[116:117], 1, v[116:117]
	v_add_co_u32 v114, s35, v6, v114
	v_add_co_ci_u32_e64 v115, null, v7, v115, s35
	v_add_co_u32 v116, s35, v6, v116
	v_add_co_ci_u32_e64 v117, null, v7, v117, s35
	s_clause 0x1
	flat_load_ushort v114, v[114:115]
	flat_load_ushort v115, v[116:117]
	s_waitcnt vmcnt(0) lgkmcnt(0)
	v_cmp_lt_i16_e64 s35, v114, v115
	v_cndmask_b32_e64 v114, v96, v97, s35
	v_cndmask_b32_e64 v97, v97, v96, s35
	v_mov_b32_e32 v96, v114
	s_or_b32 exec_lo, exec_lo, s38
	s_and_saveexec_b32 s38, s88
	s_cbranch_execnz .LBB1044_884
.LBB1044_1363:
	s_or_b32 exec_lo, exec_lo, s38
	s_and_saveexec_b32 s38, s89
	s_cbranch_execz .LBB1044_885
.LBB1044_1364:
	v_bfe_i32 v114, v84, 0, 16
	v_bfe_i32 v116, v85, 0, 16
	v_ashrrev_i32_e32 v115, 31, v114
	v_ashrrev_i32_e32 v117, 31, v116
	v_lshlrev_b64 v[114:115], 1, v[114:115]
	v_lshlrev_b64 v[116:117], 1, v[116:117]
	v_add_co_u32 v114, s35, v6, v114
	v_add_co_ci_u32_e64 v115, null, v7, v115, s35
	v_add_co_u32 v116, s35, v6, v116
	v_add_co_ci_u32_e64 v117, null, v7, v117, s35
	s_clause 0x1
	flat_load_ushort v114, v[114:115]
	flat_load_ushort v115, v[116:117]
	s_waitcnt vmcnt(0) lgkmcnt(0)
	v_cmp_lt_i16_e64 s35, v114, v115
	v_cndmask_b32_e64 v114, v84, v85, s35
	v_cndmask_b32_e64 v85, v85, v84, s35
	v_mov_b32_e32 v84, v114
	s_or_b32 exec_lo, exec_lo, s38
	s_and_saveexec_b32 s38, s90
	s_cbranch_execnz .LBB1044_886
.LBB1044_1365:
	s_or_b32 exec_lo, exec_lo, s38
	s_and_saveexec_b32 s38, s91
	s_cbranch_execz .LBB1044_887
.LBB1044_1366:
	v_bfe_i32 v114, v80, 0, 16
	v_bfe_i32 v116, v81, 0, 16
	v_ashrrev_i32_e32 v115, 31, v114
	v_ashrrev_i32_e32 v117, 31, v116
	v_lshlrev_b64 v[114:115], 1, v[114:115]
	v_lshlrev_b64 v[116:117], 1, v[116:117]
	v_add_co_u32 v114, s35, v6, v114
	v_add_co_ci_u32_e64 v115, null, v7, v115, s35
	v_add_co_u32 v116, s35, v6, v116
	v_add_co_ci_u32_e64 v117, null, v7, v117, s35
	s_clause 0x1
	flat_load_ushort v114, v[114:115]
	flat_load_ushort v115, v[116:117]
	s_waitcnt vmcnt(0) lgkmcnt(0)
	v_cmp_lt_i16_e64 s35, v114, v115
	v_cndmask_b32_e64 v114, v80, v81, s35
	v_cndmask_b32_e64 v81, v81, v80, s35
	v_mov_b32_e32 v80, v114
	s_or_b32 exec_lo, exec_lo, s38
	s_and_saveexec_b32 s38, s92
	s_cbranch_execnz .LBB1044_888
.LBB1044_1367:
	s_or_b32 exec_lo, exec_lo, s38
	s_and_saveexec_b32 s38, s93
	s_cbranch_execz .LBB1044_889
.LBB1044_1368:
	v_bfe_i32 v114, v68, 0, 16
	v_bfe_i32 v116, v69, 0, 16
	v_ashrrev_i32_e32 v115, 31, v114
	v_ashrrev_i32_e32 v117, 31, v116
	v_lshlrev_b64 v[114:115], 1, v[114:115]
	v_lshlrev_b64 v[116:117], 1, v[116:117]
	v_add_co_u32 v114, s35, v6, v114
	v_add_co_ci_u32_e64 v115, null, v7, v115, s35
	v_add_co_u32 v116, s35, v6, v116
	v_add_co_ci_u32_e64 v117, null, v7, v117, s35
	s_clause 0x1
	flat_load_ushort v114, v[114:115]
	flat_load_ushort v115, v[116:117]
	s_waitcnt vmcnt(0) lgkmcnt(0)
	v_cmp_lt_i16_e64 s35, v114, v115
	v_cndmask_b32_e64 v114, v68, v69, s35
	v_cndmask_b32_e64 v69, v69, v68, s35
	v_mov_b32_e32 v68, v114
	s_or_b32 exec_lo, exec_lo, s38
	s_and_saveexec_b32 s38, s94
	s_cbranch_execnz .LBB1044_890
.LBB1044_1369:
	s_or_b32 exec_lo, exec_lo, s38
	s_and_saveexec_b32 s38, s95
	s_cbranch_execz .LBB1044_891
.LBB1044_1370:
	v_bfe_i32 v114, v55, 0, 16
	v_bfe_i32 v116, v65, 0, 16
	v_ashrrev_i32_e32 v115, 31, v114
	v_ashrrev_i32_e32 v117, 31, v116
	v_lshlrev_b64 v[114:115], 1, v[114:115]
	v_lshlrev_b64 v[116:117], 1, v[116:117]
	v_add_co_u32 v114, s35, v6, v114
	v_add_co_ci_u32_e64 v115, null, v7, v115, s35
	v_add_co_u32 v116, s35, v6, v116
	v_add_co_ci_u32_e64 v117, null, v7, v117, s35
	s_clause 0x1
	flat_load_ushort v114, v[114:115]
	flat_load_ushort v115, v[116:117]
	s_waitcnt vmcnt(0) lgkmcnt(0)
	v_cmp_lt_i16_e64 s35, v114, v115
	v_cndmask_b32_e64 v114, v55, v65, s35
	v_cndmask_b32_e64 v65, v65, v55, s35
	v_mov_b32_e32 v55, v114
	s_or_b32 exec_lo, exec_lo, s38
	s_and_saveexec_b32 s38, vcc_hi
	s_cbranch_execnz .LBB1044_892
.LBB1044_1371:
	s_or_b32 exec_lo, exec_lo, s38
	s_and_saveexec_b32 s38, s30
	s_cbranch_execz .LBB1044_893
.LBB1044_1372:
	v_bfe_i32 v114, v52, 0, 16
	v_bfe_i32 v116, v64, 0, 16
	v_ashrrev_i32_e32 v115, 31, v114
	v_ashrrev_i32_e32 v117, 31, v116
	v_lshlrev_b64 v[114:115], 1, v[114:115]
	v_lshlrev_b64 v[116:117], 1, v[116:117]
	v_add_co_u32 v114, s35, v6, v114
	v_add_co_ci_u32_e64 v115, null, v7, v115, s35
	v_add_co_u32 v116, s35, v6, v116
	v_add_co_ci_u32_e64 v117, null, v7, v117, s35
	s_clause 0x1
	flat_load_ushort v114, v[114:115]
	flat_load_ushort v115, v[116:117]
	s_waitcnt vmcnt(0) lgkmcnt(0)
	v_cmp_lt_i16_e64 s35, v114, v115
	v_cndmask_b32_e64 v114, v64, v52, s35
	v_cndmask_b32_e64 v52, v52, v64, s35
	v_mov_b32_e32 v64, v114
	s_or_b32 exec_lo, exec_lo, s38
	s_and_saveexec_b32 s38, s31
	s_cbranch_execnz .LBB1044_894
.LBB1044_1373:
	s_or_b32 exec_lo, exec_lo, s38
	s_and_saveexec_b32 s38, s34
	s_cbranch_execz .LBB1044_895
.LBB1044_1374:
	v_bfe_i32 v114, v103, 0, 16
	v_bfe_i32 v116, v49, 0, 16
	v_ashrrev_i32_e32 v115, 31, v114
	v_ashrrev_i32_e32 v117, 31, v116
	v_lshlrev_b64 v[114:115], 1, v[114:115]
	v_lshlrev_b64 v[116:117], 1, v[116:117]
	v_add_co_u32 v114, s35, v6, v114
	v_add_co_ci_u32_e64 v115, null, v7, v115, s35
	v_add_co_u32 v116, s35, v6, v116
	v_add_co_ci_u32_e64 v117, null, v7, v117, s35
	s_clause 0x1
	flat_load_ushort v114, v[114:115]
	flat_load_ushort v115, v[116:117]
	s_waitcnt vmcnt(0) lgkmcnt(0)
	v_cmp_lt_i16_e64 s35, v114, v115
	v_cndmask_b32_e64 v114, v49, v103, s35
	v_cndmask_b32_e64 v103, v103, v49, s35
	v_mov_b32_e32 v49, v114
	s_or_b32 exec_lo, exec_lo, s38
	s_and_saveexec_b32 s38, s8
	s_cbranch_execnz .LBB1044_896
.LBB1044_1375:
	s_or_b32 exec_lo, exec_lo, s38
	s_and_saveexec_b32 s38, s9
	s_cbranch_execz .LBB1044_897
.LBB1044_1376:
	v_bfe_i32 v114, v100, 0, 16
	v_bfe_i32 v116, v101, 0, 16
	v_ashrrev_i32_e32 v115, 31, v114
	v_ashrrev_i32_e32 v117, 31, v116
	v_lshlrev_b64 v[114:115], 1, v[114:115]
	v_lshlrev_b64 v[116:117], 1, v[116:117]
	v_add_co_u32 v114, s35, v6, v114
	v_add_co_ci_u32_e64 v115, null, v7, v115, s35
	v_add_co_u32 v116, s35, v6, v116
	v_add_co_ci_u32_e64 v117, null, v7, v117, s35
	s_clause 0x1
	flat_load_ushort v114, v[114:115]
	flat_load_ushort v115, v[116:117]
	s_waitcnt vmcnt(0) lgkmcnt(0)
	v_cmp_lt_i16_e64 s35, v114, v115
	v_cndmask_b32_e64 v114, v100, v101, s35
	v_cndmask_b32_e64 v101, v101, v100, s35
	v_mov_b32_e32 v100, v114
	s_or_b32 exec_lo, exec_lo, s38
	s_and_saveexec_b32 s38, s12
	s_cbranch_execnz .LBB1044_898
.LBB1044_1377:
	s_or_b32 exec_lo, exec_lo, s38
	s_and_saveexec_b32 s38, s13
	s_cbranch_execz .LBB1044_899
.LBB1044_1378:
	v_bfe_i32 v114, v87, 0, 16
	v_bfe_i32 v116, v96, 0, 16
	v_ashrrev_i32_e32 v115, 31, v114
	v_ashrrev_i32_e32 v117, 31, v116
	v_lshlrev_b64 v[114:115], 1, v[114:115]
	v_lshlrev_b64 v[116:117], 1, v[116:117]
	v_add_co_u32 v114, s35, v6, v114
	v_add_co_ci_u32_e64 v115, null, v7, v115, s35
	v_add_co_u32 v116, s35, v6, v116
	v_add_co_ci_u32_e64 v117, null, v7, v117, s35
	s_clause 0x1
	flat_load_ushort v114, v[114:115]
	flat_load_ushort v115, v[116:117]
	s_waitcnt vmcnt(0) lgkmcnt(0)
	v_cmp_lt_i16_e64 s35, v114, v115
	v_cndmask_b32_e64 v114, v87, v96, s35
	v_cndmask_b32_e64 v96, v96, v87, s35
	v_mov_b32_e32 v87, v114
	s_or_b32 exec_lo, exec_lo, s38
	s_and_saveexec_b32 s38, s57
	s_cbranch_execnz .LBB1044_900
.LBB1044_1379:
	s_or_b32 exec_lo, exec_lo, s38
	s_and_saveexec_b32 s38, s58
	s_cbranch_execz .LBB1044_901
.LBB1044_1380:
	v_bfe_i32 v114, v83, 0, 16
	v_bfe_i32 v116, v84, 0, 16
	v_ashrrev_i32_e32 v115, 31, v114
	v_ashrrev_i32_e32 v117, 31, v116
	v_lshlrev_b64 v[114:115], 1, v[114:115]
	v_lshlrev_b64 v[116:117], 1, v[116:117]
	v_add_co_u32 v114, s35, v6, v114
	v_add_co_ci_u32_e64 v115, null, v7, v115, s35
	v_add_co_u32 v116, s35, v6, v116
	v_add_co_ci_u32_e64 v117, null, v7, v117, s35
	s_clause 0x1
	flat_load_ushort v114, v[114:115]
	flat_load_ushort v115, v[116:117]
	s_waitcnt vmcnt(0) lgkmcnt(0)
	v_cmp_lt_i16_e64 s35, v114, v115
	v_cndmask_b32_e64 v114, v83, v84, s35
	v_cndmask_b32_e64 v84, v84, v83, s35
	v_mov_b32_e32 v83, v114
	s_or_b32 exec_lo, exec_lo, s38
	s_and_saveexec_b32 s38, s59
	s_cbranch_execnz .LBB1044_902
.LBB1044_1381:
	s_or_b32 exec_lo, exec_lo, s38
	s_and_saveexec_b32 s38, s60
	s_cbranch_execz .LBB1044_903
.LBB1044_1382:
	v_bfe_i32 v114, v71, 0, 16
	v_bfe_i32 v116, v80, 0, 16
	v_ashrrev_i32_e32 v115, 31, v114
	v_ashrrev_i32_e32 v117, 31, v116
	v_lshlrev_b64 v[114:115], 1, v[114:115]
	v_lshlrev_b64 v[116:117], 1, v[116:117]
	v_add_co_u32 v114, s35, v6, v114
	v_add_co_ci_u32_e64 v115, null, v7, v115, s35
	v_add_co_u32 v116, s35, v6, v116
	v_add_co_ci_u32_e64 v117, null, v7, v117, s35
	s_clause 0x1
	flat_load_ushort v114, v[114:115]
	flat_load_ushort v115, v[116:117]
	s_waitcnt vmcnt(0) lgkmcnt(0)
	v_cmp_lt_i16_e64 s35, v114, v115
	v_cndmask_b32_e64 v114, v71, v80, s35
	v_cndmask_b32_e64 v80, v80, v71, s35
	v_mov_b32_e32 v71, v114
	s_or_b32 exec_lo, exec_lo, s38
	s_and_saveexec_b32 s38, s61
	s_cbranch_execnz .LBB1044_904
.LBB1044_1383:
	s_or_b32 exec_lo, exec_lo, s38
	s_and_saveexec_b32 s38, s62
	s_cbranch_execz .LBB1044_905
.LBB1044_1384:
	v_bfe_i32 v114, v67, 0, 16
	v_bfe_i32 v116, v68, 0, 16
	v_ashrrev_i32_e32 v115, 31, v114
	v_ashrrev_i32_e32 v117, 31, v116
	v_lshlrev_b64 v[114:115], 1, v[114:115]
	v_lshlrev_b64 v[116:117], 1, v[116:117]
	v_add_co_u32 v114, s35, v6, v114
	v_add_co_ci_u32_e64 v115, null, v7, v115, s35
	v_add_co_u32 v116, s35, v6, v116
	v_add_co_ci_u32_e64 v117, null, v7, v117, s35
	s_clause 0x1
	flat_load_ushort v114, v[114:115]
	flat_load_ushort v115, v[116:117]
	s_waitcnt vmcnt(0) lgkmcnt(0)
	v_cmp_lt_i16_e64 s35, v114, v115
	v_cndmask_b32_e64 v114, v67, v68, s35
	v_cndmask_b32_e64 v68, v68, v67, s35
	v_mov_b32_e32 v67, v114
	s_or_b32 exec_lo, exec_lo, s38
	s_and_saveexec_b32 s38, s63
	s_cbranch_execnz .LBB1044_906
.LBB1044_1385:
	s_or_b32 exec_lo, exec_lo, s38
	s_and_saveexec_b32 s38, s72
	s_cbranch_execz .LBB1044_907
.LBB1044_1386:
	v_bfe_i32 v114, v54, 0, 16
	v_bfe_i32 v116, v55, 0, 16
	v_ashrrev_i32_e32 v115, 31, v114
	v_ashrrev_i32_e32 v117, 31, v116
	v_lshlrev_b64 v[114:115], 1, v[114:115]
	v_lshlrev_b64 v[116:117], 1, v[116:117]
	v_add_co_u32 v114, s35, v6, v114
	v_add_co_ci_u32_e64 v115, null, v7, v115, s35
	v_add_co_u32 v116, s35, v6, v116
	v_add_co_ci_u32_e64 v117, null, v7, v117, s35
	s_clause 0x1
	flat_load_ushort v114, v[114:115]
	flat_load_ushort v115, v[116:117]
	s_waitcnt vmcnt(0) lgkmcnt(0)
	v_cmp_lt_i16_e64 s35, v114, v115
	v_cndmask_b32_e64 v114, v54, v55, s35
	v_cndmask_b32_e64 v55, v55, v54, s35
	v_mov_b32_e32 v54, v114
	s_or_b32 exec_lo, exec_lo, s38
	s_and_saveexec_b32 s38, s73
	s_cbranch_execnz .LBB1044_908
.LBB1044_1387:
	s_or_b32 exec_lo, exec_lo, s38
	s_and_saveexec_b32 s38, s74
	s_cbranch_execz .LBB1044_909
.LBB1044_1388:
	v_bfe_i32 v114, v51, 0, 16
	v_bfe_i32 v116, v52, 0, 16
	v_ashrrev_i32_e32 v115, 31, v114
	v_ashrrev_i32_e32 v117, 31, v116
	v_lshlrev_b64 v[114:115], 1, v[114:115]
	v_lshlrev_b64 v[116:117], 1, v[116:117]
	v_add_co_u32 v114, s35, v6, v114
	v_add_co_ci_u32_e64 v115, null, v7, v115, s35
	v_add_co_u32 v116, s35, v6, v116
	v_add_co_ci_u32_e64 v117, null, v7, v117, s35
	s_clause 0x1
	flat_load_ushort v114, v[114:115]
	flat_load_ushort v115, v[116:117]
	s_waitcnt vmcnt(0) lgkmcnt(0)
	v_cmp_lt_i16_e64 s35, v114, v115
	v_cndmask_b32_e64 v114, v52, v51, s35
	v_cndmask_b32_e64 v51, v51, v52, s35
	v_mov_b32_e32 v52, v114
	s_or_b32 exec_lo, exec_lo, s38
	s_and_saveexec_b32 s38, s75
	s_cbranch_execnz .LBB1044_910
.LBB1044_1389:
	s_or_b32 exec_lo, exec_lo, s38
	s_and_saveexec_b32 s38, s76
	s_cbranch_execz .LBB1044_911
.LBB1044_1390:
	v_bfe_i32 v114, v48, 0, 16
	v_bfe_i32 v116, v103, 0, 16
	v_ashrrev_i32_e32 v115, 31, v114
	v_ashrrev_i32_e32 v117, 31, v116
	v_lshlrev_b64 v[114:115], 1, v[114:115]
	v_lshlrev_b64 v[116:117], 1, v[116:117]
	v_add_co_u32 v114, s35, v6, v114
	v_add_co_ci_u32_e64 v115, null, v7, v115, s35
	v_add_co_u32 v116, s35, v6, v116
	v_add_co_ci_u32_e64 v117, null, v7, v117, s35
	s_clause 0x1
	flat_load_ushort v114, v[114:115]
	flat_load_ushort v115, v[116:117]
	s_waitcnt vmcnt(0) lgkmcnt(0)
	v_cmp_lt_i16_e64 s35, v114, v115
	v_cndmask_b32_e64 v114, v103, v48, s35
	v_cndmask_b32_e64 v48, v48, v103, s35
	v_mov_b32_e32 v103, v114
	s_or_b32 exec_lo, exec_lo, s38
	s_and_saveexec_b32 s38, s77
	s_cbranch_execnz .LBB1044_912
.LBB1044_1391:
	s_or_b32 exec_lo, exec_lo, s38
	s_and_saveexec_b32 s38, s78
	s_cbranch_execz .LBB1044_913
.LBB1044_1392:
	v_bfe_i32 v114, v98, 0, 16
	v_bfe_i32 v116, v100, 0, 16
	v_ashrrev_i32_e32 v115, 31, v114
	v_ashrrev_i32_e32 v117, 31, v116
	v_lshlrev_b64 v[114:115], 1, v[114:115]
	v_lshlrev_b64 v[116:117], 1, v[116:117]
	v_add_co_u32 v114, s35, v6, v114
	v_add_co_ci_u32_e64 v115, null, v7, v115, s35
	v_add_co_u32 v116, s35, v6, v116
	v_add_co_ci_u32_e64 v117, null, v7, v117, s35
	s_clause 0x1
	flat_load_ushort v114, v[114:115]
	flat_load_ushort v115, v[116:117]
	s_waitcnt vmcnt(0) lgkmcnt(0)
	v_cmp_lt_i16_e64 s35, v114, v115
	v_cndmask_b32_e64 v114, v98, v100, s35
	v_cndmask_b32_e64 v100, v100, v98, s35
	v_mov_b32_e32 v98, v114
	s_or_b32 exec_lo, exec_lo, s38
	s_and_saveexec_b32 s38, s79
	s_cbranch_execnz .LBB1044_914
.LBB1044_1393:
	s_or_b32 exec_lo, exec_lo, s38
	s_and_saveexec_b32 s38, s88
	s_cbranch_execz .LBB1044_915
.LBB1044_1394:
	v_bfe_i32 v114, v86, 0, 16
	v_bfe_i32 v116, v87, 0, 16
	v_ashrrev_i32_e32 v115, 31, v114
	v_ashrrev_i32_e32 v117, 31, v116
	v_lshlrev_b64 v[114:115], 1, v[114:115]
	v_lshlrev_b64 v[116:117], 1, v[116:117]
	v_add_co_u32 v114, s35, v6, v114
	v_add_co_ci_u32_e64 v115, null, v7, v115, s35
	v_add_co_u32 v116, s35, v6, v116
	v_add_co_ci_u32_e64 v117, null, v7, v117, s35
	s_clause 0x1
	flat_load_ushort v114, v[114:115]
	flat_load_ushort v115, v[116:117]
	s_waitcnt vmcnt(0) lgkmcnt(0)
	v_cmp_lt_i16_e64 s35, v114, v115
	v_cndmask_b32_e64 v114, v86, v87, s35
	v_cndmask_b32_e64 v87, v87, v86, s35
	v_mov_b32_e32 v86, v114
	s_or_b32 exec_lo, exec_lo, s38
	s_and_saveexec_b32 s38, s89
	s_cbranch_execnz .LBB1044_916
.LBB1044_1395:
	s_or_b32 exec_lo, exec_lo, s38
	s_and_saveexec_b32 s38, s90
	s_cbranch_execz .LBB1044_917
.LBB1044_1396:
	v_bfe_i32 v114, v82, 0, 16
	v_bfe_i32 v116, v83, 0, 16
	v_ashrrev_i32_e32 v115, 31, v114
	v_ashrrev_i32_e32 v117, 31, v116
	v_lshlrev_b64 v[114:115], 1, v[114:115]
	v_lshlrev_b64 v[116:117], 1, v[116:117]
	v_add_co_u32 v114, s35, v6, v114
	v_add_co_ci_u32_e64 v115, null, v7, v115, s35
	v_add_co_u32 v116, s35, v6, v116
	v_add_co_ci_u32_e64 v117, null, v7, v117, s35
	s_clause 0x1
	flat_load_ushort v114, v[114:115]
	flat_load_ushort v115, v[116:117]
	s_waitcnt vmcnt(0) lgkmcnt(0)
	v_cmp_lt_i16_e64 s35, v114, v115
	v_cndmask_b32_e64 v114, v82, v83, s35
	v_cndmask_b32_e64 v83, v83, v82, s35
	v_mov_b32_e32 v82, v114
	s_or_b32 exec_lo, exec_lo, s38
	s_and_saveexec_b32 s38, s91
	s_cbranch_execnz .LBB1044_918
.LBB1044_1397:
	s_or_b32 exec_lo, exec_lo, s38
	s_and_saveexec_b32 s38, s92
	s_cbranch_execz .LBB1044_919
.LBB1044_1398:
	v_bfe_i32 v114, v70, 0, 16
	v_bfe_i32 v116, v71, 0, 16
	v_ashrrev_i32_e32 v115, 31, v114
	v_ashrrev_i32_e32 v117, 31, v116
	v_lshlrev_b64 v[114:115], 1, v[114:115]
	v_lshlrev_b64 v[116:117], 1, v[116:117]
	v_add_co_u32 v114, s35, v6, v114
	v_add_co_ci_u32_e64 v115, null, v7, v115, s35
	v_add_co_u32 v116, s35, v6, v116
	v_add_co_ci_u32_e64 v117, null, v7, v117, s35
	s_clause 0x1
	flat_load_ushort v114, v[114:115]
	flat_load_ushort v115, v[116:117]
	s_waitcnt vmcnt(0) lgkmcnt(0)
	v_cmp_lt_i16_e64 s35, v114, v115
	v_cndmask_b32_e64 v114, v70, v71, s35
	v_cndmask_b32_e64 v71, v71, v70, s35
	v_mov_b32_e32 v70, v114
	s_or_b32 exec_lo, exec_lo, s38
	s_and_saveexec_b32 s38, s93
	s_cbranch_execnz .LBB1044_920
.LBB1044_1399:
	s_or_b32 exec_lo, exec_lo, s38
	s_and_saveexec_b32 s38, s94
	s_cbranch_execz .LBB1044_921
.LBB1044_1400:
	v_bfe_i32 v114, v66, 0, 16
	v_bfe_i32 v116, v67, 0, 16
	v_ashrrev_i32_e32 v115, 31, v114
	v_ashrrev_i32_e32 v117, 31, v116
	v_lshlrev_b64 v[114:115], 1, v[114:115]
	v_lshlrev_b64 v[116:117], 1, v[116:117]
	v_add_co_u32 v114, s35, v6, v114
	v_add_co_ci_u32_e64 v115, null, v7, v115, s35
	v_add_co_u32 v116, s35, v6, v116
	v_add_co_ci_u32_e64 v117, null, v7, v117, s35
	s_clause 0x1
	flat_load_ushort v114, v[114:115]
	flat_load_ushort v115, v[116:117]
	s_waitcnt vmcnt(0) lgkmcnt(0)
	v_cmp_lt_i16_e64 s35, v114, v115
	v_cndmask_b32_e64 v114, v66, v67, s35
	v_cndmask_b32_e64 v67, v67, v66, s35
	v_mov_b32_e32 v66, v114
	s_or_b32 exec_lo, exec_lo, s38
	s_and_saveexec_b32 s38, s95
	s_cbranch_execnz .LBB1044_922
.LBB1044_1401:
	s_or_b32 exec_lo, exec_lo, s38
	s_and_saveexec_b32 s38, vcc_hi
	s_cbranch_execz .LBB1044_923
.LBB1044_1402:
	v_bfe_i32 v114, v53, 0, 16
	v_bfe_i32 v116, v54, 0, 16
	v_ashrrev_i32_e32 v115, 31, v114
	v_ashrrev_i32_e32 v117, 31, v116
	v_lshlrev_b64 v[114:115], 1, v[114:115]
	v_lshlrev_b64 v[116:117], 1, v[116:117]
	v_add_co_u32 v114, s35, v6, v114
	v_add_co_ci_u32_e64 v115, null, v7, v115, s35
	v_add_co_u32 v116, s35, v6, v116
	v_add_co_ci_u32_e64 v117, null, v7, v117, s35
	s_clause 0x1
	flat_load_ushort v114, v[114:115]
	flat_load_ushort v115, v[116:117]
	s_waitcnt vmcnt(0) lgkmcnt(0)
	v_cmp_lt_i16_e64 s35, v114, v115
	v_cndmask_b32_e64 v114, v53, v54, s35
	v_cndmask_b32_e64 v54, v54, v53, s35
	v_mov_b32_e32 v53, v114
	s_or_b32 exec_lo, exec_lo, s38
	s_and_saveexec_b32 s38, s30
	s_cbranch_execnz .LBB1044_924
.LBB1044_1403:
	s_or_b32 exec_lo, exec_lo, s38
	s_and_saveexec_b32 s38, s31
	s_cbranch_execz .LBB1044_925
.LBB1044_1404:
	v_bfe_i32 v114, v50, 0, 16
	v_bfe_i32 v116, v51, 0, 16
	v_ashrrev_i32_e32 v115, 31, v114
	v_ashrrev_i32_e32 v117, 31, v116
	v_lshlrev_b64 v[114:115], 1, v[114:115]
	v_lshlrev_b64 v[116:117], 1, v[116:117]
	v_add_co_u32 v114, s35, v6, v114
	v_add_co_ci_u32_e64 v115, null, v7, v115, s35
	v_add_co_u32 v116, s35, v6, v116
	v_add_co_ci_u32_e64 v117, null, v7, v117, s35
	s_clause 0x1
	flat_load_ushort v114, v[114:115]
	flat_load_ushort v115, v[116:117]
	s_waitcnt vmcnt(0) lgkmcnt(0)
	v_cmp_lt_i16_e64 s35, v114, v115
	v_cndmask_b32_e64 v114, v51, v50, s35
	v_cndmask_b32_e64 v50, v50, v51, s35
	v_mov_b32_e32 v51, v114
	s_or_b32 exec_lo, exec_lo, s38
	s_and_saveexec_b32 s38, s34
	s_cbranch_execnz .LBB1044_926
.LBB1044_1405:
	s_or_b32 exec_lo, exec_lo, s38
	s_and_saveexec_b32 s38, s8
	s_cbranch_execz .LBB1044_927
.LBB1044_1406:
	v_bfe_i32 v114, v102, 0, 16
	v_bfe_i32 v116, v99, 0, 16
	v_ashrrev_i32_e32 v115, 31, v114
	v_ashrrev_i32_e32 v117, 31, v116
	v_lshlrev_b64 v[114:115], 1, v[114:115]
	v_lshlrev_b64 v[116:117], 1, v[116:117]
	v_add_co_u32 v114, s35, v6, v114
	v_add_co_ci_u32_e64 v115, null, v7, v115, s35
	v_add_co_u32 v116, s35, v6, v116
	v_add_co_ci_u32_e64 v117, null, v7, v117, s35
	s_clause 0x1
	flat_load_ushort v114, v[114:115]
	flat_load_ushort v115, v[116:117]
	s_waitcnt vmcnt(0) lgkmcnt(0)
	v_cmp_lt_i16_e64 s35, v114, v115
	v_cndmask_b32_e64 v114, v102, v99, s35
	v_cndmask_b32_e64 v99, v99, v102, s35
	v_mov_b32_e32 v102, v114
	s_or_b32 exec_lo, exec_lo, s38
	s_and_saveexec_b32 s38, s9
	s_cbranch_execnz .LBB1044_928
.LBB1044_1407:
	s_or_b32 exec_lo, exec_lo, s38
	s_and_saveexec_b32 s38, s12
	s_cbranch_execz .LBB1044_929
.LBB1044_1408:
	v_bfe_i32 v114, v97, 0, 16
	v_bfe_i32 v116, v98, 0, 16
	v_ashrrev_i32_e32 v115, 31, v114
	v_ashrrev_i32_e32 v117, 31, v116
	v_lshlrev_b64 v[114:115], 1, v[114:115]
	v_lshlrev_b64 v[116:117], 1, v[116:117]
	v_add_co_u32 v114, s35, v6, v114
	v_add_co_ci_u32_e64 v115, null, v7, v115, s35
	v_add_co_u32 v116, s35, v6, v116
	v_add_co_ci_u32_e64 v117, null, v7, v117, s35
	s_clause 0x1
	flat_load_ushort v114, v[114:115]
	flat_load_ushort v115, v[116:117]
	s_waitcnt vmcnt(0) lgkmcnt(0)
	v_cmp_lt_i16_e64 s35, v114, v115
	v_cndmask_b32_e64 v114, v97, v98, s35
	v_cndmask_b32_e64 v98, v98, v97, s35
	v_mov_b32_e32 v97, v114
	s_or_b32 exec_lo, exec_lo, s38
	s_and_saveexec_b32 s38, s13
	s_cbranch_execnz .LBB1044_930
.LBB1044_1409:
	s_or_b32 exec_lo, exec_lo, s38
	s_and_saveexec_b32 s38, s57
	s_cbranch_execz .LBB1044_931
.LBB1044_1410:
	v_bfe_i32 v114, v85, 0, 16
	v_bfe_i32 v116, v86, 0, 16
	v_ashrrev_i32_e32 v115, 31, v114
	v_ashrrev_i32_e32 v117, 31, v116
	v_lshlrev_b64 v[114:115], 1, v[114:115]
	v_lshlrev_b64 v[116:117], 1, v[116:117]
	v_add_co_u32 v114, s35, v6, v114
	v_add_co_ci_u32_e64 v115, null, v7, v115, s35
	v_add_co_u32 v116, s35, v6, v116
	v_add_co_ci_u32_e64 v117, null, v7, v117, s35
	s_clause 0x1
	flat_load_ushort v114, v[114:115]
	flat_load_ushort v115, v[116:117]
	s_waitcnt vmcnt(0) lgkmcnt(0)
	v_cmp_lt_i16_e64 s35, v114, v115
	v_cndmask_b32_e64 v114, v85, v86, s35
	v_cndmask_b32_e64 v86, v86, v85, s35
	v_mov_b32_e32 v85, v114
	s_or_b32 exec_lo, exec_lo, s38
	s_and_saveexec_b32 s38, s58
	s_cbranch_execnz .LBB1044_932
.LBB1044_1411:
	s_or_b32 exec_lo, exec_lo, s38
	s_and_saveexec_b32 s38, s59
	s_cbranch_execz .LBB1044_933
.LBB1044_1412:
	v_bfe_i32 v114, v81, 0, 16
	v_bfe_i32 v116, v82, 0, 16
	v_ashrrev_i32_e32 v115, 31, v114
	v_ashrrev_i32_e32 v117, 31, v116
	v_lshlrev_b64 v[114:115], 1, v[114:115]
	v_lshlrev_b64 v[116:117], 1, v[116:117]
	v_add_co_u32 v114, s35, v6, v114
	v_add_co_ci_u32_e64 v115, null, v7, v115, s35
	v_add_co_u32 v116, s35, v6, v116
	v_add_co_ci_u32_e64 v117, null, v7, v117, s35
	s_clause 0x1
	flat_load_ushort v114, v[114:115]
	flat_load_ushort v115, v[116:117]
	s_waitcnt vmcnt(0) lgkmcnt(0)
	v_cmp_lt_i16_e64 s35, v114, v115
	v_cndmask_b32_e64 v114, v81, v82, s35
	v_cndmask_b32_e64 v82, v82, v81, s35
	v_mov_b32_e32 v81, v114
	s_or_b32 exec_lo, exec_lo, s38
	s_and_saveexec_b32 s38, s60
	s_cbranch_execnz .LBB1044_934
.LBB1044_1413:
	s_or_b32 exec_lo, exec_lo, s38
	s_and_saveexec_b32 s38, s61
	s_cbranch_execz .LBB1044_935
.LBB1044_1414:
	v_bfe_i32 v114, v69, 0, 16
	v_bfe_i32 v116, v70, 0, 16
	v_ashrrev_i32_e32 v115, 31, v114
	v_ashrrev_i32_e32 v117, 31, v116
	v_lshlrev_b64 v[114:115], 1, v[114:115]
	v_lshlrev_b64 v[116:117], 1, v[116:117]
	v_add_co_u32 v114, s35, v6, v114
	v_add_co_ci_u32_e64 v115, null, v7, v115, s35
	v_add_co_u32 v116, s35, v6, v116
	v_add_co_ci_u32_e64 v117, null, v7, v117, s35
	s_clause 0x1
	flat_load_ushort v114, v[114:115]
	flat_load_ushort v115, v[116:117]
	s_waitcnt vmcnt(0) lgkmcnt(0)
	v_cmp_lt_i16_e64 s35, v114, v115
	v_cndmask_b32_e64 v114, v69, v70, s35
	v_cndmask_b32_e64 v70, v70, v69, s35
	v_mov_b32_e32 v69, v114
	s_or_b32 exec_lo, exec_lo, s38
	s_and_saveexec_b32 s38, s62
	s_cbranch_execnz .LBB1044_936
.LBB1044_1415:
	s_or_b32 exec_lo, exec_lo, s38
	s_and_saveexec_b32 s38, s63
	s_cbranch_execz .LBB1044_937
.LBB1044_1416:
	v_bfe_i32 v114, v65, 0, 16
	v_bfe_i32 v116, v66, 0, 16
	v_ashrrev_i32_e32 v115, 31, v114
	v_ashrrev_i32_e32 v117, 31, v116
	v_lshlrev_b64 v[114:115], 1, v[114:115]
	v_lshlrev_b64 v[116:117], 1, v[116:117]
	v_add_co_u32 v114, s35, v6, v114
	v_add_co_ci_u32_e64 v115, null, v7, v115, s35
	v_add_co_u32 v116, s35, v6, v116
	v_add_co_ci_u32_e64 v117, null, v7, v117, s35
	s_clause 0x1
	flat_load_ushort v114, v[114:115]
	flat_load_ushort v115, v[116:117]
	s_waitcnt vmcnt(0) lgkmcnt(0)
	v_cmp_lt_i16_e64 s35, v114, v115
	v_cndmask_b32_e64 v114, v65, v66, s35
	v_cndmask_b32_e64 v66, v66, v65, s35
	v_mov_b32_e32 v65, v114
	s_or_b32 exec_lo, exec_lo, s38
	s_and_saveexec_b32 s38, s72
	s_cbranch_execnz .LBB1044_938
.LBB1044_1417:
	s_or_b32 exec_lo, exec_lo, s38
	s_and_saveexec_b32 s38, s73
	s_cbranch_execz .LBB1044_939
.LBB1044_1418:
	v_bfe_i32 v114, v64, 0, 16
	v_bfe_i32 v116, v53, 0, 16
	v_ashrrev_i32_e32 v115, 31, v114
	v_ashrrev_i32_e32 v117, 31, v116
	v_lshlrev_b64 v[114:115], 1, v[114:115]
	v_lshlrev_b64 v[116:117], 1, v[116:117]
	v_add_co_u32 v114, s35, v6, v114
	v_add_co_ci_u32_e64 v115, null, v7, v115, s35
	v_add_co_u32 v116, s35, v6, v116
	v_add_co_ci_u32_e64 v117, null, v7, v117, s35
	s_clause 0x1
	flat_load_ushort v114, v[114:115]
	flat_load_ushort v115, v[116:117]
	s_waitcnt vmcnt(0) lgkmcnt(0)
	v_cmp_lt_i16_e64 s35, v114, v115
	v_cndmask_b32_e64 v114, v64, v53, s35
	v_cndmask_b32_e64 v53, v53, v64, s35
	v_mov_b32_e32 v64, v114
	s_or_b32 exec_lo, exec_lo, s38
	s_and_saveexec_b32 s38, s74
	s_cbranch_execnz .LBB1044_940
.LBB1044_1419:
	s_or_b32 exec_lo, exec_lo, s38
	s_and_saveexec_b32 s38, s75
	s_cbranch_execz .LBB1044_941
.LBB1044_1420:
	v_bfe_i32 v114, v49, 0, 16
	v_bfe_i32 v116, v50, 0, 16
	v_ashrrev_i32_e32 v115, 31, v114
	v_ashrrev_i32_e32 v117, 31, v116
	v_lshlrev_b64 v[114:115], 1, v[114:115]
	v_lshlrev_b64 v[116:117], 1, v[116:117]
	v_add_co_u32 v114, s35, v6, v114
	v_add_co_ci_u32_e64 v115, null, v7, v115, s35
	v_add_co_u32 v116, s35, v6, v116
	v_add_co_ci_u32_e64 v117, null, v7, v117, s35
	s_clause 0x1
	flat_load_ushort v114, v[114:115]
	flat_load_ushort v115, v[116:117]
	s_waitcnt vmcnt(0) lgkmcnt(0)
	v_cmp_lt_i16_e64 s35, v114, v115
	v_cndmask_b32_e64 v114, v50, v49, s35
	v_cndmask_b32_e64 v49, v49, v50, s35
	v_mov_b32_e32 v50, v114
	s_or_b32 exec_lo, exec_lo, s38
	s_and_saveexec_b32 s38, s76
	s_cbranch_execnz .LBB1044_942
.LBB1044_1421:
	s_or_b32 exec_lo, exec_lo, s38
	s_and_saveexec_b32 s38, s77
	s_cbranch_execz .LBB1044_943
.LBB1044_1422:
	v_bfe_i32 v114, v101, 0, 16
	v_bfe_i32 v116, v102, 0, 16
	v_ashrrev_i32_e32 v115, 31, v114
	v_ashrrev_i32_e32 v117, 31, v116
	v_lshlrev_b64 v[114:115], 1, v[114:115]
	v_lshlrev_b64 v[116:117], 1, v[116:117]
	v_add_co_u32 v114, s35, v6, v114
	v_add_co_ci_u32_e64 v115, null, v7, v115, s35
	v_add_co_u32 v116, s35, v6, v116
	v_add_co_ci_u32_e64 v117, null, v7, v117, s35
	s_clause 0x1
	flat_load_ushort v114, v[114:115]
	flat_load_ushort v115, v[116:117]
	s_waitcnt vmcnt(0) lgkmcnt(0)
	v_cmp_lt_i16_e64 s35, v114, v115
	v_cndmask_b32_e64 v114, v101, v102, s35
	v_cndmask_b32_e64 v102, v102, v101, s35
	v_mov_b32_e32 v101, v114
	s_or_b32 exec_lo, exec_lo, s38
	s_and_saveexec_b32 s38, s78
	s_cbranch_execnz .LBB1044_944
.LBB1044_1423:
	s_or_b32 exec_lo, exec_lo, s38
	s_and_saveexec_b32 s38, s79
	s_cbranch_execz .LBB1044_945
.LBB1044_1424:
	v_bfe_i32 v114, v96, 0, 16
	v_bfe_i32 v116, v97, 0, 16
	v_ashrrev_i32_e32 v115, 31, v114
	v_ashrrev_i32_e32 v117, 31, v116
	v_lshlrev_b64 v[114:115], 1, v[114:115]
	v_lshlrev_b64 v[116:117], 1, v[116:117]
	v_add_co_u32 v114, s35, v6, v114
	v_add_co_ci_u32_e64 v115, null, v7, v115, s35
	v_add_co_u32 v116, s35, v6, v116
	v_add_co_ci_u32_e64 v117, null, v7, v117, s35
	s_clause 0x1
	flat_load_ushort v114, v[114:115]
	flat_load_ushort v115, v[116:117]
	s_waitcnt vmcnt(0) lgkmcnt(0)
	v_cmp_lt_i16_e64 s35, v114, v115
	v_cndmask_b32_e64 v114, v96, v97, s35
	v_cndmask_b32_e64 v97, v97, v96, s35
	v_mov_b32_e32 v96, v114
	s_or_b32 exec_lo, exec_lo, s38
	s_and_saveexec_b32 s38, s88
	s_cbranch_execnz .LBB1044_946
.LBB1044_1425:
	s_or_b32 exec_lo, exec_lo, s38
	s_and_saveexec_b32 s38, s89
	s_cbranch_execz .LBB1044_947
.LBB1044_1426:
	v_bfe_i32 v114, v84, 0, 16
	v_bfe_i32 v116, v85, 0, 16
	v_ashrrev_i32_e32 v115, 31, v114
	v_ashrrev_i32_e32 v117, 31, v116
	v_lshlrev_b64 v[114:115], 1, v[114:115]
	v_lshlrev_b64 v[116:117], 1, v[116:117]
	v_add_co_u32 v114, s35, v6, v114
	v_add_co_ci_u32_e64 v115, null, v7, v115, s35
	v_add_co_u32 v116, s35, v6, v116
	v_add_co_ci_u32_e64 v117, null, v7, v117, s35
	s_clause 0x1
	flat_load_ushort v114, v[114:115]
	flat_load_ushort v115, v[116:117]
	s_waitcnt vmcnt(0) lgkmcnt(0)
	v_cmp_lt_i16_e64 s35, v114, v115
	v_cndmask_b32_e64 v114, v84, v85, s35
	v_cndmask_b32_e64 v85, v85, v84, s35
	v_mov_b32_e32 v84, v114
	s_or_b32 exec_lo, exec_lo, s38
	s_and_saveexec_b32 s38, s90
	s_cbranch_execnz .LBB1044_948
.LBB1044_1427:
	s_or_b32 exec_lo, exec_lo, s38
	s_and_saveexec_b32 s38, s91
	s_cbranch_execz .LBB1044_949
.LBB1044_1428:
	v_bfe_i32 v114, v80, 0, 16
	v_bfe_i32 v116, v81, 0, 16
	v_ashrrev_i32_e32 v115, 31, v114
	v_ashrrev_i32_e32 v117, 31, v116
	v_lshlrev_b64 v[114:115], 1, v[114:115]
	v_lshlrev_b64 v[116:117], 1, v[116:117]
	v_add_co_u32 v114, s35, v6, v114
	v_add_co_ci_u32_e64 v115, null, v7, v115, s35
	v_add_co_u32 v116, s35, v6, v116
	v_add_co_ci_u32_e64 v117, null, v7, v117, s35
	s_clause 0x1
	flat_load_ushort v114, v[114:115]
	flat_load_ushort v115, v[116:117]
	s_waitcnt vmcnt(0) lgkmcnt(0)
	v_cmp_lt_i16_e64 s35, v114, v115
	v_cndmask_b32_e64 v114, v80, v81, s35
	v_cndmask_b32_e64 v81, v81, v80, s35
	v_mov_b32_e32 v80, v114
	s_or_b32 exec_lo, exec_lo, s38
	s_and_saveexec_b32 s38, s92
	s_cbranch_execnz .LBB1044_950
.LBB1044_1429:
	s_or_b32 exec_lo, exec_lo, s38
	s_and_saveexec_b32 s38, s93
	s_cbranch_execz .LBB1044_951
.LBB1044_1430:
	v_bfe_i32 v114, v68, 0, 16
	v_bfe_i32 v116, v69, 0, 16
	v_ashrrev_i32_e32 v115, 31, v114
	v_ashrrev_i32_e32 v117, 31, v116
	v_lshlrev_b64 v[114:115], 1, v[114:115]
	v_lshlrev_b64 v[116:117], 1, v[116:117]
	v_add_co_u32 v114, s35, v6, v114
	v_add_co_ci_u32_e64 v115, null, v7, v115, s35
	v_add_co_u32 v116, s35, v6, v116
	v_add_co_ci_u32_e64 v117, null, v7, v117, s35
	s_clause 0x1
	flat_load_ushort v114, v[114:115]
	flat_load_ushort v115, v[116:117]
	s_waitcnt vmcnt(0) lgkmcnt(0)
	v_cmp_lt_i16_e64 s35, v114, v115
	v_cndmask_b32_e64 v114, v68, v69, s35
	v_cndmask_b32_e64 v69, v69, v68, s35
	v_mov_b32_e32 v68, v114
	s_or_b32 exec_lo, exec_lo, s38
	s_and_saveexec_b32 s38, s94
	s_cbranch_execnz .LBB1044_952
.LBB1044_1431:
	s_or_b32 exec_lo, exec_lo, s38
	s_and_saveexec_b32 s38, s95
	s_cbranch_execz .LBB1044_953
.LBB1044_1432:
	v_bfe_i32 v114, v55, 0, 16
	v_bfe_i32 v116, v65, 0, 16
	v_ashrrev_i32_e32 v115, 31, v114
	v_ashrrev_i32_e32 v117, 31, v116
	v_lshlrev_b64 v[114:115], 1, v[114:115]
	v_lshlrev_b64 v[116:117], 1, v[116:117]
	v_add_co_u32 v114, s35, v6, v114
	v_add_co_ci_u32_e64 v115, null, v7, v115, s35
	v_add_co_u32 v116, s35, v6, v116
	v_add_co_ci_u32_e64 v117, null, v7, v117, s35
	s_clause 0x1
	flat_load_ushort v114, v[114:115]
	flat_load_ushort v115, v[116:117]
	s_waitcnt vmcnt(0) lgkmcnt(0)
	v_cmp_lt_i16_e64 s35, v114, v115
	v_cndmask_b32_e64 v114, v55, v65, s35
	v_cndmask_b32_e64 v65, v65, v55, s35
	v_mov_b32_e32 v55, v114
	s_or_b32 exec_lo, exec_lo, s38
	s_and_saveexec_b32 s38, vcc_hi
	s_cbranch_execnz .LBB1044_954
.LBB1044_1433:
	s_or_b32 exec_lo, exec_lo, s38
	s_and_saveexec_b32 s38, s30
	s_cbranch_execz .LBB1044_955
.LBB1044_1434:
	v_bfe_i32 v114, v52, 0, 16
	v_bfe_i32 v116, v64, 0, 16
	v_ashrrev_i32_e32 v115, 31, v114
	v_ashrrev_i32_e32 v117, 31, v116
	v_lshlrev_b64 v[114:115], 1, v[114:115]
	v_lshlrev_b64 v[116:117], 1, v[116:117]
	v_add_co_u32 v114, s35, v6, v114
	v_add_co_ci_u32_e64 v115, null, v7, v115, s35
	v_add_co_u32 v116, s35, v6, v116
	v_add_co_ci_u32_e64 v117, null, v7, v117, s35
	s_clause 0x1
	flat_load_ushort v114, v[114:115]
	flat_load_ushort v115, v[116:117]
	s_waitcnt vmcnt(0) lgkmcnt(0)
	v_cmp_lt_i16_e64 s35, v114, v115
	v_cndmask_b32_e64 v114, v64, v52, s35
	v_cndmask_b32_e64 v52, v52, v64, s35
	v_mov_b32_e32 v64, v114
	s_or_b32 exec_lo, exec_lo, s38
	s_and_saveexec_b32 s38, s31
	s_cbranch_execnz .LBB1044_956
.LBB1044_1435:
	s_or_b32 exec_lo, exec_lo, s38
	s_and_saveexec_b32 s38, s34
	s_cbranch_execz .LBB1044_957
.LBB1044_1436:
	v_bfe_i32 v114, v103, 0, 16
	v_bfe_i32 v116, v49, 0, 16
	v_ashrrev_i32_e32 v115, 31, v114
	v_ashrrev_i32_e32 v117, 31, v116
	v_lshlrev_b64 v[114:115], 1, v[114:115]
	v_lshlrev_b64 v[116:117], 1, v[116:117]
	v_add_co_u32 v114, s35, v6, v114
	v_add_co_ci_u32_e64 v115, null, v7, v115, s35
	v_add_co_u32 v116, s35, v6, v116
	v_add_co_ci_u32_e64 v117, null, v7, v117, s35
	s_clause 0x1
	flat_load_ushort v114, v[114:115]
	flat_load_ushort v115, v[116:117]
	s_waitcnt vmcnt(0) lgkmcnt(0)
	v_cmp_lt_i16_e64 s35, v114, v115
	v_cndmask_b32_e64 v114, v49, v103, s35
	v_cndmask_b32_e64 v103, v103, v49, s35
	v_mov_b32_e32 v49, v114
	s_or_b32 exec_lo, exec_lo, s38
	s_and_saveexec_b32 s38, s8
	s_cbranch_execnz .LBB1044_958
.LBB1044_1437:
	s_or_b32 exec_lo, exec_lo, s38
	s_and_saveexec_b32 s38, s9
	s_cbranch_execz .LBB1044_959
.LBB1044_1438:
	v_bfe_i32 v114, v100, 0, 16
	v_bfe_i32 v116, v101, 0, 16
	v_ashrrev_i32_e32 v115, 31, v114
	v_ashrrev_i32_e32 v117, 31, v116
	v_lshlrev_b64 v[114:115], 1, v[114:115]
	v_lshlrev_b64 v[116:117], 1, v[116:117]
	v_add_co_u32 v114, s35, v6, v114
	v_add_co_ci_u32_e64 v115, null, v7, v115, s35
	v_add_co_u32 v116, s35, v6, v116
	v_add_co_ci_u32_e64 v117, null, v7, v117, s35
	s_clause 0x1
	flat_load_ushort v114, v[114:115]
	flat_load_ushort v115, v[116:117]
	s_waitcnt vmcnt(0) lgkmcnt(0)
	v_cmp_lt_i16_e64 s35, v114, v115
	v_cndmask_b32_e64 v114, v100, v101, s35
	v_cndmask_b32_e64 v101, v101, v100, s35
	v_mov_b32_e32 v100, v114
	s_or_b32 exec_lo, exec_lo, s38
	s_and_saveexec_b32 s38, s12
	s_cbranch_execnz .LBB1044_960
.LBB1044_1439:
	s_or_b32 exec_lo, exec_lo, s38
	s_and_saveexec_b32 s38, s13
	s_cbranch_execz .LBB1044_961
.LBB1044_1440:
	v_bfe_i32 v114, v87, 0, 16
	v_bfe_i32 v116, v96, 0, 16
	v_ashrrev_i32_e32 v115, 31, v114
	v_ashrrev_i32_e32 v117, 31, v116
	v_lshlrev_b64 v[114:115], 1, v[114:115]
	v_lshlrev_b64 v[116:117], 1, v[116:117]
	v_add_co_u32 v114, s35, v6, v114
	v_add_co_ci_u32_e64 v115, null, v7, v115, s35
	v_add_co_u32 v116, s35, v6, v116
	v_add_co_ci_u32_e64 v117, null, v7, v117, s35
	s_clause 0x1
	flat_load_ushort v114, v[114:115]
	flat_load_ushort v115, v[116:117]
	s_waitcnt vmcnt(0) lgkmcnt(0)
	v_cmp_lt_i16_e64 s35, v114, v115
	v_cndmask_b32_e64 v114, v87, v96, s35
	v_cndmask_b32_e64 v96, v96, v87, s35
	v_mov_b32_e32 v87, v114
	s_or_b32 exec_lo, exec_lo, s38
	s_and_saveexec_b32 s38, s57
	s_cbranch_execnz .LBB1044_962
.LBB1044_1441:
	s_or_b32 exec_lo, exec_lo, s38
	s_and_saveexec_b32 s38, s58
	s_cbranch_execz .LBB1044_963
.LBB1044_1442:
	v_bfe_i32 v114, v83, 0, 16
	v_bfe_i32 v116, v84, 0, 16
	v_ashrrev_i32_e32 v115, 31, v114
	v_ashrrev_i32_e32 v117, 31, v116
	v_lshlrev_b64 v[114:115], 1, v[114:115]
	v_lshlrev_b64 v[116:117], 1, v[116:117]
	v_add_co_u32 v114, s35, v6, v114
	v_add_co_ci_u32_e64 v115, null, v7, v115, s35
	v_add_co_u32 v116, s35, v6, v116
	v_add_co_ci_u32_e64 v117, null, v7, v117, s35
	s_clause 0x1
	flat_load_ushort v114, v[114:115]
	flat_load_ushort v115, v[116:117]
	s_waitcnt vmcnt(0) lgkmcnt(0)
	v_cmp_lt_i16_e64 s35, v114, v115
	v_cndmask_b32_e64 v114, v83, v84, s35
	v_cndmask_b32_e64 v84, v84, v83, s35
	v_mov_b32_e32 v83, v114
	s_or_b32 exec_lo, exec_lo, s38
	s_and_saveexec_b32 s38, s59
	s_cbranch_execnz .LBB1044_964
.LBB1044_1443:
	s_or_b32 exec_lo, exec_lo, s38
	s_and_saveexec_b32 s38, s60
	s_cbranch_execz .LBB1044_965
.LBB1044_1444:
	v_bfe_i32 v114, v71, 0, 16
	v_bfe_i32 v116, v80, 0, 16
	v_ashrrev_i32_e32 v115, 31, v114
	v_ashrrev_i32_e32 v117, 31, v116
	v_lshlrev_b64 v[114:115], 1, v[114:115]
	v_lshlrev_b64 v[116:117], 1, v[116:117]
	v_add_co_u32 v114, s35, v6, v114
	v_add_co_ci_u32_e64 v115, null, v7, v115, s35
	v_add_co_u32 v116, s35, v6, v116
	v_add_co_ci_u32_e64 v117, null, v7, v117, s35
	s_clause 0x1
	flat_load_ushort v114, v[114:115]
	flat_load_ushort v115, v[116:117]
	s_waitcnt vmcnt(0) lgkmcnt(0)
	v_cmp_lt_i16_e64 s35, v114, v115
	v_cndmask_b32_e64 v114, v71, v80, s35
	v_cndmask_b32_e64 v80, v80, v71, s35
	v_mov_b32_e32 v71, v114
	s_or_b32 exec_lo, exec_lo, s38
	s_and_saveexec_b32 s38, s61
	s_cbranch_execnz .LBB1044_966
.LBB1044_1445:
	s_or_b32 exec_lo, exec_lo, s38
	s_and_saveexec_b32 s38, s62
	s_cbranch_execz .LBB1044_967
.LBB1044_1446:
	v_bfe_i32 v114, v67, 0, 16
	v_bfe_i32 v116, v68, 0, 16
	v_ashrrev_i32_e32 v115, 31, v114
	v_ashrrev_i32_e32 v117, 31, v116
	v_lshlrev_b64 v[114:115], 1, v[114:115]
	v_lshlrev_b64 v[116:117], 1, v[116:117]
	v_add_co_u32 v114, s35, v6, v114
	v_add_co_ci_u32_e64 v115, null, v7, v115, s35
	v_add_co_u32 v116, s35, v6, v116
	v_add_co_ci_u32_e64 v117, null, v7, v117, s35
	s_clause 0x1
	flat_load_ushort v114, v[114:115]
	flat_load_ushort v115, v[116:117]
	s_waitcnt vmcnt(0) lgkmcnt(0)
	v_cmp_lt_i16_e64 s35, v114, v115
	v_cndmask_b32_e64 v114, v67, v68, s35
	v_cndmask_b32_e64 v68, v68, v67, s35
	v_mov_b32_e32 v67, v114
	s_or_b32 exec_lo, exec_lo, s38
	s_and_saveexec_b32 s38, s63
	s_cbranch_execnz .LBB1044_968
.LBB1044_1447:
	s_or_b32 exec_lo, exec_lo, s38
	s_and_saveexec_b32 s38, s72
	s_cbranch_execz .LBB1044_969
.LBB1044_1448:
	v_bfe_i32 v114, v54, 0, 16
	v_bfe_i32 v116, v55, 0, 16
	v_ashrrev_i32_e32 v115, 31, v114
	v_ashrrev_i32_e32 v117, 31, v116
	v_lshlrev_b64 v[114:115], 1, v[114:115]
	v_lshlrev_b64 v[116:117], 1, v[116:117]
	v_add_co_u32 v114, s35, v6, v114
	v_add_co_ci_u32_e64 v115, null, v7, v115, s35
	v_add_co_u32 v116, s35, v6, v116
	v_add_co_ci_u32_e64 v117, null, v7, v117, s35
	s_clause 0x1
	flat_load_ushort v114, v[114:115]
	flat_load_ushort v115, v[116:117]
	s_waitcnt vmcnt(0) lgkmcnt(0)
	v_cmp_lt_i16_e64 s35, v114, v115
	v_cndmask_b32_e64 v114, v54, v55, s35
	v_cndmask_b32_e64 v55, v55, v54, s35
	v_mov_b32_e32 v54, v114
	s_or_b32 exec_lo, exec_lo, s38
	s_and_saveexec_b32 s38, s73
	s_cbranch_execnz .LBB1044_970
.LBB1044_1449:
	s_or_b32 exec_lo, exec_lo, s38
	s_and_saveexec_b32 s38, s74
	s_cbranch_execz .LBB1044_971
.LBB1044_1450:
	v_bfe_i32 v114, v51, 0, 16
	v_bfe_i32 v116, v52, 0, 16
	v_ashrrev_i32_e32 v115, 31, v114
	v_ashrrev_i32_e32 v117, 31, v116
	v_lshlrev_b64 v[114:115], 1, v[114:115]
	v_lshlrev_b64 v[116:117], 1, v[116:117]
	v_add_co_u32 v114, s35, v6, v114
	v_add_co_ci_u32_e64 v115, null, v7, v115, s35
	v_add_co_u32 v116, s35, v6, v116
	v_add_co_ci_u32_e64 v117, null, v7, v117, s35
	s_clause 0x1
	flat_load_ushort v114, v[114:115]
	flat_load_ushort v115, v[116:117]
	s_waitcnt vmcnt(0) lgkmcnt(0)
	v_cmp_lt_i16_e64 s35, v114, v115
	v_cndmask_b32_e64 v114, v52, v51, s35
	v_cndmask_b32_e64 v51, v51, v52, s35
	v_mov_b32_e32 v52, v114
	s_or_b32 exec_lo, exec_lo, s38
	s_and_saveexec_b32 s38, s75
	s_cbranch_execnz .LBB1044_972
.LBB1044_1451:
	s_or_b32 exec_lo, exec_lo, s38
	s_and_saveexec_b32 s38, s76
	s_cbranch_execz .LBB1044_973
.LBB1044_1452:
	v_bfe_i32 v114, v48, 0, 16
	v_bfe_i32 v116, v103, 0, 16
	v_ashrrev_i32_e32 v115, 31, v114
	v_ashrrev_i32_e32 v117, 31, v116
	v_lshlrev_b64 v[114:115], 1, v[114:115]
	v_lshlrev_b64 v[116:117], 1, v[116:117]
	v_add_co_u32 v114, s35, v6, v114
	v_add_co_ci_u32_e64 v115, null, v7, v115, s35
	v_add_co_u32 v116, s35, v6, v116
	v_add_co_ci_u32_e64 v117, null, v7, v117, s35
	s_clause 0x1
	flat_load_ushort v114, v[114:115]
	flat_load_ushort v115, v[116:117]
	s_waitcnt vmcnt(0) lgkmcnt(0)
	v_cmp_lt_i16_e64 s35, v114, v115
	v_cndmask_b32_e64 v114, v103, v48, s35
	v_cndmask_b32_e64 v48, v48, v103, s35
	v_mov_b32_e32 v103, v114
	s_or_b32 exec_lo, exec_lo, s38
	s_and_saveexec_b32 s38, s77
	s_cbranch_execnz .LBB1044_974
.LBB1044_1453:
	s_or_b32 exec_lo, exec_lo, s38
	s_and_saveexec_b32 s38, s78
	s_cbranch_execz .LBB1044_975
.LBB1044_1454:
	v_bfe_i32 v114, v98, 0, 16
	v_bfe_i32 v116, v100, 0, 16
	v_ashrrev_i32_e32 v115, 31, v114
	v_ashrrev_i32_e32 v117, 31, v116
	v_lshlrev_b64 v[114:115], 1, v[114:115]
	v_lshlrev_b64 v[116:117], 1, v[116:117]
	v_add_co_u32 v114, s35, v6, v114
	v_add_co_ci_u32_e64 v115, null, v7, v115, s35
	v_add_co_u32 v116, s35, v6, v116
	v_add_co_ci_u32_e64 v117, null, v7, v117, s35
	s_clause 0x1
	flat_load_ushort v114, v[114:115]
	flat_load_ushort v115, v[116:117]
	s_waitcnt vmcnt(0) lgkmcnt(0)
	v_cmp_lt_i16_e64 s35, v114, v115
	v_cndmask_b32_e64 v114, v98, v100, s35
	v_cndmask_b32_e64 v100, v100, v98, s35
	v_mov_b32_e32 v98, v114
	s_or_b32 exec_lo, exec_lo, s38
	s_and_saveexec_b32 s38, s79
	s_cbranch_execnz .LBB1044_976
.LBB1044_1455:
	s_or_b32 exec_lo, exec_lo, s38
	s_and_saveexec_b32 s38, s88
	s_cbranch_execz .LBB1044_977
.LBB1044_1456:
	v_bfe_i32 v114, v86, 0, 16
	v_bfe_i32 v116, v87, 0, 16
	v_ashrrev_i32_e32 v115, 31, v114
	v_ashrrev_i32_e32 v117, 31, v116
	v_lshlrev_b64 v[114:115], 1, v[114:115]
	v_lshlrev_b64 v[116:117], 1, v[116:117]
	v_add_co_u32 v114, s35, v6, v114
	v_add_co_ci_u32_e64 v115, null, v7, v115, s35
	v_add_co_u32 v116, s35, v6, v116
	v_add_co_ci_u32_e64 v117, null, v7, v117, s35
	s_clause 0x1
	flat_load_ushort v114, v[114:115]
	flat_load_ushort v115, v[116:117]
	s_waitcnt vmcnt(0) lgkmcnt(0)
	v_cmp_lt_i16_e64 s35, v114, v115
	v_cndmask_b32_e64 v114, v86, v87, s35
	v_cndmask_b32_e64 v87, v87, v86, s35
	v_mov_b32_e32 v86, v114
	s_or_b32 exec_lo, exec_lo, s38
	s_and_saveexec_b32 s38, s89
	s_cbranch_execnz .LBB1044_978
.LBB1044_1457:
	s_or_b32 exec_lo, exec_lo, s38
	s_and_saveexec_b32 s38, s90
	s_cbranch_execz .LBB1044_979
.LBB1044_1458:
	v_bfe_i32 v114, v82, 0, 16
	v_bfe_i32 v116, v83, 0, 16
	v_ashrrev_i32_e32 v115, 31, v114
	v_ashrrev_i32_e32 v117, 31, v116
	v_lshlrev_b64 v[114:115], 1, v[114:115]
	v_lshlrev_b64 v[116:117], 1, v[116:117]
	v_add_co_u32 v114, s35, v6, v114
	v_add_co_ci_u32_e64 v115, null, v7, v115, s35
	v_add_co_u32 v116, s35, v6, v116
	v_add_co_ci_u32_e64 v117, null, v7, v117, s35
	s_clause 0x1
	flat_load_ushort v114, v[114:115]
	flat_load_ushort v115, v[116:117]
	s_waitcnt vmcnt(0) lgkmcnt(0)
	v_cmp_lt_i16_e64 s35, v114, v115
	v_cndmask_b32_e64 v114, v82, v83, s35
	v_cndmask_b32_e64 v83, v83, v82, s35
	v_mov_b32_e32 v82, v114
	s_or_b32 exec_lo, exec_lo, s38
	s_and_saveexec_b32 s38, s91
	s_cbranch_execnz .LBB1044_980
.LBB1044_1459:
	s_or_b32 exec_lo, exec_lo, s38
	s_and_saveexec_b32 s38, s92
	s_cbranch_execz .LBB1044_981
.LBB1044_1460:
	v_bfe_i32 v114, v70, 0, 16
	v_bfe_i32 v116, v71, 0, 16
	v_ashrrev_i32_e32 v115, 31, v114
	v_ashrrev_i32_e32 v117, 31, v116
	v_lshlrev_b64 v[114:115], 1, v[114:115]
	v_lshlrev_b64 v[116:117], 1, v[116:117]
	v_add_co_u32 v114, s35, v6, v114
	v_add_co_ci_u32_e64 v115, null, v7, v115, s35
	v_add_co_u32 v116, s35, v6, v116
	v_add_co_ci_u32_e64 v117, null, v7, v117, s35
	s_clause 0x1
	flat_load_ushort v114, v[114:115]
	flat_load_ushort v115, v[116:117]
	s_waitcnt vmcnt(0) lgkmcnt(0)
	v_cmp_lt_i16_e64 s35, v114, v115
	v_cndmask_b32_e64 v114, v70, v71, s35
	v_cndmask_b32_e64 v71, v71, v70, s35
	v_mov_b32_e32 v70, v114
	s_or_b32 exec_lo, exec_lo, s38
	s_and_saveexec_b32 s38, s93
	s_cbranch_execnz .LBB1044_982
.LBB1044_1461:
	s_or_b32 exec_lo, exec_lo, s38
	s_and_saveexec_b32 s38, s94
	s_cbranch_execz .LBB1044_983
.LBB1044_1462:
	v_bfe_i32 v114, v66, 0, 16
	v_bfe_i32 v116, v67, 0, 16
	v_ashrrev_i32_e32 v115, 31, v114
	v_ashrrev_i32_e32 v117, 31, v116
	v_lshlrev_b64 v[114:115], 1, v[114:115]
	v_lshlrev_b64 v[116:117], 1, v[116:117]
	v_add_co_u32 v114, s35, v6, v114
	v_add_co_ci_u32_e64 v115, null, v7, v115, s35
	v_add_co_u32 v116, s35, v6, v116
	v_add_co_ci_u32_e64 v117, null, v7, v117, s35
	s_clause 0x1
	flat_load_ushort v114, v[114:115]
	flat_load_ushort v115, v[116:117]
	s_waitcnt vmcnt(0) lgkmcnt(0)
	v_cmp_lt_i16_e64 s35, v114, v115
	v_cndmask_b32_e64 v114, v66, v67, s35
	v_cndmask_b32_e64 v67, v67, v66, s35
	v_mov_b32_e32 v66, v114
	s_or_b32 exec_lo, exec_lo, s38
	s_and_saveexec_b32 s38, s95
	s_cbranch_execnz .LBB1044_984
.LBB1044_1463:
	s_or_b32 exec_lo, exec_lo, s38
	s_and_saveexec_b32 s38, vcc_hi
	s_cbranch_execz .LBB1044_985
.LBB1044_1464:
	v_bfe_i32 v114, v53, 0, 16
	v_bfe_i32 v116, v54, 0, 16
	v_ashrrev_i32_e32 v115, 31, v114
	v_ashrrev_i32_e32 v117, 31, v116
	v_lshlrev_b64 v[114:115], 1, v[114:115]
	v_lshlrev_b64 v[116:117], 1, v[116:117]
	v_add_co_u32 v114, s35, v6, v114
	v_add_co_ci_u32_e64 v115, null, v7, v115, s35
	v_add_co_u32 v116, s35, v6, v116
	v_add_co_ci_u32_e64 v117, null, v7, v117, s35
	s_clause 0x1
	flat_load_ushort v114, v[114:115]
	flat_load_ushort v115, v[116:117]
	s_waitcnt vmcnt(0) lgkmcnt(0)
	v_cmp_lt_i16_e64 s35, v114, v115
	v_cndmask_b32_e64 v114, v53, v54, s35
	v_cndmask_b32_e64 v54, v54, v53, s35
	v_mov_b32_e32 v53, v114
	s_or_b32 exec_lo, exec_lo, s38
	s_and_saveexec_b32 s38, s30
	s_cbranch_execnz .LBB1044_986
.LBB1044_1465:
	s_or_b32 exec_lo, exec_lo, s38
	s_and_saveexec_b32 s38, s31
	s_cbranch_execz .LBB1044_987
.LBB1044_1466:
	v_bfe_i32 v114, v50, 0, 16
	v_bfe_i32 v116, v51, 0, 16
	v_ashrrev_i32_e32 v115, 31, v114
	v_ashrrev_i32_e32 v117, 31, v116
	v_lshlrev_b64 v[114:115], 1, v[114:115]
	v_lshlrev_b64 v[116:117], 1, v[116:117]
	v_add_co_u32 v114, s35, v6, v114
	v_add_co_ci_u32_e64 v115, null, v7, v115, s35
	v_add_co_u32 v116, s35, v6, v116
	v_add_co_ci_u32_e64 v117, null, v7, v117, s35
	s_clause 0x1
	flat_load_ushort v114, v[114:115]
	flat_load_ushort v115, v[116:117]
	s_waitcnt vmcnt(0) lgkmcnt(0)
	v_cmp_lt_i16_e64 s35, v114, v115
	v_cndmask_b32_e64 v114, v51, v50, s35
	v_cndmask_b32_e64 v50, v50, v51, s35
	v_mov_b32_e32 v51, v114
	s_or_b32 exec_lo, exec_lo, s38
	s_and_saveexec_b32 s38, s34
	s_cbranch_execnz .LBB1044_988
.LBB1044_1467:
	s_or_b32 exec_lo, exec_lo, s38
	s_and_saveexec_b32 s38, s8
	s_cbranch_execz .LBB1044_989
.LBB1044_1468:
	v_bfe_i32 v114, v102, 0, 16
	v_bfe_i32 v116, v99, 0, 16
	v_ashrrev_i32_e32 v115, 31, v114
	v_ashrrev_i32_e32 v117, 31, v116
	v_lshlrev_b64 v[114:115], 1, v[114:115]
	v_lshlrev_b64 v[116:117], 1, v[116:117]
	v_add_co_u32 v114, s35, v6, v114
	v_add_co_ci_u32_e64 v115, null, v7, v115, s35
	v_add_co_u32 v116, s35, v6, v116
	v_add_co_ci_u32_e64 v117, null, v7, v117, s35
	s_clause 0x1
	flat_load_ushort v114, v[114:115]
	flat_load_ushort v115, v[116:117]
	s_waitcnt vmcnt(0) lgkmcnt(0)
	v_cmp_lt_i16_e64 s35, v114, v115
	v_cndmask_b32_e64 v114, v102, v99, s35
	v_cndmask_b32_e64 v99, v99, v102, s35
	v_mov_b32_e32 v102, v114
	s_or_b32 exec_lo, exec_lo, s38
	s_and_saveexec_b32 s38, s9
	s_cbranch_execnz .LBB1044_990
.LBB1044_1469:
	s_or_b32 exec_lo, exec_lo, s38
	s_and_saveexec_b32 s38, s12
	s_cbranch_execz .LBB1044_991
.LBB1044_1470:
	v_bfe_i32 v114, v97, 0, 16
	v_bfe_i32 v116, v98, 0, 16
	v_ashrrev_i32_e32 v115, 31, v114
	v_ashrrev_i32_e32 v117, 31, v116
	v_lshlrev_b64 v[114:115], 1, v[114:115]
	v_lshlrev_b64 v[116:117], 1, v[116:117]
	v_add_co_u32 v114, s35, v6, v114
	v_add_co_ci_u32_e64 v115, null, v7, v115, s35
	v_add_co_u32 v116, s35, v6, v116
	v_add_co_ci_u32_e64 v117, null, v7, v117, s35
	s_clause 0x1
	flat_load_ushort v114, v[114:115]
	flat_load_ushort v115, v[116:117]
	s_waitcnt vmcnt(0) lgkmcnt(0)
	v_cmp_lt_i16_e64 s35, v114, v115
	v_cndmask_b32_e64 v114, v97, v98, s35
	v_cndmask_b32_e64 v98, v98, v97, s35
	v_mov_b32_e32 v97, v114
	s_or_b32 exec_lo, exec_lo, s38
	s_and_saveexec_b32 s38, s13
	s_cbranch_execnz .LBB1044_992
.LBB1044_1471:
	s_or_b32 exec_lo, exec_lo, s38
	s_and_saveexec_b32 s38, s57
	s_cbranch_execz .LBB1044_993
.LBB1044_1472:
	v_bfe_i32 v114, v85, 0, 16
	v_bfe_i32 v116, v86, 0, 16
	v_ashrrev_i32_e32 v115, 31, v114
	v_ashrrev_i32_e32 v117, 31, v116
	v_lshlrev_b64 v[114:115], 1, v[114:115]
	v_lshlrev_b64 v[116:117], 1, v[116:117]
	v_add_co_u32 v114, s35, v6, v114
	v_add_co_ci_u32_e64 v115, null, v7, v115, s35
	v_add_co_u32 v116, s35, v6, v116
	v_add_co_ci_u32_e64 v117, null, v7, v117, s35
	s_clause 0x1
	flat_load_ushort v114, v[114:115]
	flat_load_ushort v115, v[116:117]
	s_waitcnt vmcnt(0) lgkmcnt(0)
	v_cmp_lt_i16_e64 s35, v114, v115
	v_cndmask_b32_e64 v114, v85, v86, s35
	v_cndmask_b32_e64 v86, v86, v85, s35
	v_mov_b32_e32 v85, v114
	s_or_b32 exec_lo, exec_lo, s38
	s_and_saveexec_b32 s38, s58
	s_cbranch_execnz .LBB1044_994
.LBB1044_1473:
	s_or_b32 exec_lo, exec_lo, s38
	s_and_saveexec_b32 s38, s59
	s_cbranch_execz .LBB1044_995
.LBB1044_1474:
	v_bfe_i32 v114, v81, 0, 16
	v_bfe_i32 v116, v82, 0, 16
	v_ashrrev_i32_e32 v115, 31, v114
	v_ashrrev_i32_e32 v117, 31, v116
	v_lshlrev_b64 v[114:115], 1, v[114:115]
	v_lshlrev_b64 v[116:117], 1, v[116:117]
	v_add_co_u32 v114, s35, v6, v114
	v_add_co_ci_u32_e64 v115, null, v7, v115, s35
	v_add_co_u32 v116, s35, v6, v116
	v_add_co_ci_u32_e64 v117, null, v7, v117, s35
	s_clause 0x1
	flat_load_ushort v114, v[114:115]
	flat_load_ushort v115, v[116:117]
	s_waitcnt vmcnt(0) lgkmcnt(0)
	v_cmp_lt_i16_e64 s35, v114, v115
	v_cndmask_b32_e64 v114, v81, v82, s35
	v_cndmask_b32_e64 v82, v82, v81, s35
	v_mov_b32_e32 v81, v114
	s_or_b32 exec_lo, exec_lo, s38
	s_and_saveexec_b32 s38, s60
	s_cbranch_execnz .LBB1044_996
.LBB1044_1475:
	s_or_b32 exec_lo, exec_lo, s38
	s_and_saveexec_b32 s38, s61
	s_cbranch_execz .LBB1044_997
.LBB1044_1476:
	v_bfe_i32 v114, v69, 0, 16
	v_bfe_i32 v116, v70, 0, 16
	v_ashrrev_i32_e32 v115, 31, v114
	v_ashrrev_i32_e32 v117, 31, v116
	v_lshlrev_b64 v[114:115], 1, v[114:115]
	v_lshlrev_b64 v[116:117], 1, v[116:117]
	v_add_co_u32 v114, s35, v6, v114
	v_add_co_ci_u32_e64 v115, null, v7, v115, s35
	v_add_co_u32 v116, s35, v6, v116
	v_add_co_ci_u32_e64 v117, null, v7, v117, s35
	s_clause 0x1
	flat_load_ushort v114, v[114:115]
	flat_load_ushort v115, v[116:117]
	s_waitcnt vmcnt(0) lgkmcnt(0)
	v_cmp_lt_i16_e64 s35, v114, v115
	v_cndmask_b32_e64 v114, v69, v70, s35
	v_cndmask_b32_e64 v70, v70, v69, s35
	v_mov_b32_e32 v69, v114
	s_or_b32 exec_lo, exec_lo, s38
	s_and_saveexec_b32 s38, s62
	s_cbranch_execnz .LBB1044_998
.LBB1044_1477:
	s_or_b32 exec_lo, exec_lo, s38
	s_and_saveexec_b32 s38, s63
	s_cbranch_execz .LBB1044_999
.LBB1044_1478:
	v_bfe_i32 v114, v65, 0, 16
	v_bfe_i32 v116, v66, 0, 16
	v_ashrrev_i32_e32 v115, 31, v114
	v_ashrrev_i32_e32 v117, 31, v116
	v_lshlrev_b64 v[114:115], 1, v[114:115]
	v_lshlrev_b64 v[116:117], 1, v[116:117]
	v_add_co_u32 v114, s35, v6, v114
	v_add_co_ci_u32_e64 v115, null, v7, v115, s35
	v_add_co_u32 v116, s35, v6, v116
	v_add_co_ci_u32_e64 v117, null, v7, v117, s35
	s_clause 0x1
	flat_load_ushort v114, v[114:115]
	flat_load_ushort v115, v[116:117]
	s_waitcnt vmcnt(0) lgkmcnt(0)
	v_cmp_lt_i16_e64 s35, v114, v115
	v_cndmask_b32_e64 v114, v65, v66, s35
	v_cndmask_b32_e64 v66, v66, v65, s35
	v_mov_b32_e32 v65, v114
	s_or_b32 exec_lo, exec_lo, s38
	s_and_saveexec_b32 s38, s72
	s_cbranch_execnz .LBB1044_1000
.LBB1044_1479:
	s_or_b32 exec_lo, exec_lo, s38
	s_and_saveexec_b32 s38, s73
	s_cbranch_execz .LBB1044_1001
.LBB1044_1480:
	v_bfe_i32 v114, v64, 0, 16
	v_bfe_i32 v116, v53, 0, 16
	v_ashrrev_i32_e32 v115, 31, v114
	v_ashrrev_i32_e32 v117, 31, v116
	v_lshlrev_b64 v[114:115], 1, v[114:115]
	v_lshlrev_b64 v[116:117], 1, v[116:117]
	v_add_co_u32 v114, s35, v6, v114
	v_add_co_ci_u32_e64 v115, null, v7, v115, s35
	v_add_co_u32 v116, s35, v6, v116
	v_add_co_ci_u32_e64 v117, null, v7, v117, s35
	s_clause 0x1
	flat_load_ushort v114, v[114:115]
	flat_load_ushort v115, v[116:117]
	s_waitcnt vmcnt(0) lgkmcnt(0)
	v_cmp_lt_i16_e64 s35, v114, v115
	v_cndmask_b32_e64 v114, v64, v53, s35
	v_cndmask_b32_e64 v53, v53, v64, s35
	v_mov_b32_e32 v64, v114
	s_or_b32 exec_lo, exec_lo, s38
	s_and_saveexec_b32 s38, s74
	s_cbranch_execnz .LBB1044_1002
.LBB1044_1481:
	s_or_b32 exec_lo, exec_lo, s38
	s_and_saveexec_b32 s38, s75
	s_cbranch_execz .LBB1044_1003
.LBB1044_1482:
	v_bfe_i32 v114, v49, 0, 16
	v_bfe_i32 v116, v50, 0, 16
	v_ashrrev_i32_e32 v115, 31, v114
	v_ashrrev_i32_e32 v117, 31, v116
	v_lshlrev_b64 v[114:115], 1, v[114:115]
	v_lshlrev_b64 v[116:117], 1, v[116:117]
	v_add_co_u32 v114, s35, v6, v114
	v_add_co_ci_u32_e64 v115, null, v7, v115, s35
	v_add_co_u32 v116, s35, v6, v116
	v_add_co_ci_u32_e64 v117, null, v7, v117, s35
	s_clause 0x1
	flat_load_ushort v114, v[114:115]
	flat_load_ushort v115, v[116:117]
	s_waitcnt vmcnt(0) lgkmcnt(0)
	v_cmp_lt_i16_e64 s35, v114, v115
	v_cndmask_b32_e64 v114, v50, v49, s35
	v_cndmask_b32_e64 v49, v49, v50, s35
	v_mov_b32_e32 v50, v114
	s_or_b32 exec_lo, exec_lo, s38
	s_and_saveexec_b32 s38, s76
	s_cbranch_execnz .LBB1044_1004
.LBB1044_1483:
	s_or_b32 exec_lo, exec_lo, s38
	s_and_saveexec_b32 s38, s77
	s_cbranch_execz .LBB1044_1005
.LBB1044_1484:
	v_bfe_i32 v114, v101, 0, 16
	v_bfe_i32 v116, v102, 0, 16
	v_ashrrev_i32_e32 v115, 31, v114
	v_ashrrev_i32_e32 v117, 31, v116
	v_lshlrev_b64 v[114:115], 1, v[114:115]
	v_lshlrev_b64 v[116:117], 1, v[116:117]
	v_add_co_u32 v114, s35, v6, v114
	v_add_co_ci_u32_e64 v115, null, v7, v115, s35
	v_add_co_u32 v116, s35, v6, v116
	v_add_co_ci_u32_e64 v117, null, v7, v117, s35
	s_clause 0x1
	flat_load_ushort v114, v[114:115]
	flat_load_ushort v115, v[116:117]
	s_waitcnt vmcnt(0) lgkmcnt(0)
	v_cmp_lt_i16_e64 s35, v114, v115
	v_cndmask_b32_e64 v114, v101, v102, s35
	v_cndmask_b32_e64 v102, v102, v101, s35
	v_mov_b32_e32 v101, v114
	s_or_b32 exec_lo, exec_lo, s38
	s_and_saveexec_b32 s38, s78
	s_cbranch_execnz .LBB1044_1006
.LBB1044_1485:
	s_or_b32 exec_lo, exec_lo, s38
	s_and_saveexec_b32 s38, s79
	s_cbranch_execz .LBB1044_1007
.LBB1044_1486:
	v_bfe_i32 v114, v96, 0, 16
	v_bfe_i32 v116, v97, 0, 16
	v_ashrrev_i32_e32 v115, 31, v114
	v_ashrrev_i32_e32 v117, 31, v116
	v_lshlrev_b64 v[114:115], 1, v[114:115]
	v_lshlrev_b64 v[116:117], 1, v[116:117]
	v_add_co_u32 v114, s35, v6, v114
	v_add_co_ci_u32_e64 v115, null, v7, v115, s35
	v_add_co_u32 v116, s35, v6, v116
	v_add_co_ci_u32_e64 v117, null, v7, v117, s35
	s_clause 0x1
	flat_load_ushort v114, v[114:115]
	flat_load_ushort v115, v[116:117]
	s_waitcnt vmcnt(0) lgkmcnt(0)
	v_cmp_lt_i16_e64 s35, v114, v115
	v_cndmask_b32_e64 v114, v96, v97, s35
	v_cndmask_b32_e64 v97, v97, v96, s35
	v_mov_b32_e32 v96, v114
	s_or_b32 exec_lo, exec_lo, s38
	s_and_saveexec_b32 s38, s88
	s_cbranch_execnz .LBB1044_1008
.LBB1044_1487:
	s_or_b32 exec_lo, exec_lo, s38
	s_and_saveexec_b32 s38, s89
	s_cbranch_execz .LBB1044_1009
.LBB1044_1488:
	v_bfe_i32 v114, v84, 0, 16
	v_bfe_i32 v116, v85, 0, 16
	v_ashrrev_i32_e32 v115, 31, v114
	v_ashrrev_i32_e32 v117, 31, v116
	v_lshlrev_b64 v[114:115], 1, v[114:115]
	v_lshlrev_b64 v[116:117], 1, v[116:117]
	v_add_co_u32 v114, s35, v6, v114
	v_add_co_ci_u32_e64 v115, null, v7, v115, s35
	v_add_co_u32 v116, s35, v6, v116
	v_add_co_ci_u32_e64 v117, null, v7, v117, s35
	s_clause 0x1
	flat_load_ushort v114, v[114:115]
	flat_load_ushort v115, v[116:117]
	s_waitcnt vmcnt(0) lgkmcnt(0)
	v_cmp_lt_i16_e64 s35, v114, v115
	v_cndmask_b32_e64 v114, v84, v85, s35
	v_cndmask_b32_e64 v85, v85, v84, s35
	v_mov_b32_e32 v84, v114
	s_or_b32 exec_lo, exec_lo, s38
	s_and_saveexec_b32 s38, s90
	s_cbranch_execnz .LBB1044_1010
.LBB1044_1489:
	s_or_b32 exec_lo, exec_lo, s38
	s_and_saveexec_b32 s38, s91
	s_cbranch_execz .LBB1044_1011
.LBB1044_1490:
	v_bfe_i32 v114, v80, 0, 16
	v_bfe_i32 v116, v81, 0, 16
	v_ashrrev_i32_e32 v115, 31, v114
	v_ashrrev_i32_e32 v117, 31, v116
	v_lshlrev_b64 v[114:115], 1, v[114:115]
	v_lshlrev_b64 v[116:117], 1, v[116:117]
	v_add_co_u32 v114, s35, v6, v114
	v_add_co_ci_u32_e64 v115, null, v7, v115, s35
	v_add_co_u32 v116, s35, v6, v116
	v_add_co_ci_u32_e64 v117, null, v7, v117, s35
	s_clause 0x1
	flat_load_ushort v114, v[114:115]
	flat_load_ushort v115, v[116:117]
	s_waitcnt vmcnt(0) lgkmcnt(0)
	v_cmp_lt_i16_e64 s35, v114, v115
	v_cndmask_b32_e64 v114, v80, v81, s35
	v_cndmask_b32_e64 v81, v81, v80, s35
	v_mov_b32_e32 v80, v114
	s_or_b32 exec_lo, exec_lo, s38
	s_and_saveexec_b32 s38, s92
	s_cbranch_execnz .LBB1044_1012
.LBB1044_1491:
	s_or_b32 exec_lo, exec_lo, s38
	s_and_saveexec_b32 s38, s93
	s_cbranch_execz .LBB1044_1013
.LBB1044_1492:
	v_bfe_i32 v114, v68, 0, 16
	v_bfe_i32 v116, v69, 0, 16
	v_ashrrev_i32_e32 v115, 31, v114
	v_ashrrev_i32_e32 v117, 31, v116
	v_lshlrev_b64 v[114:115], 1, v[114:115]
	v_lshlrev_b64 v[116:117], 1, v[116:117]
	v_add_co_u32 v114, s35, v6, v114
	v_add_co_ci_u32_e64 v115, null, v7, v115, s35
	v_add_co_u32 v116, s35, v6, v116
	v_add_co_ci_u32_e64 v117, null, v7, v117, s35
	s_clause 0x1
	flat_load_ushort v114, v[114:115]
	flat_load_ushort v115, v[116:117]
	s_waitcnt vmcnt(0) lgkmcnt(0)
	v_cmp_lt_i16_e64 s35, v114, v115
	v_cndmask_b32_e64 v114, v68, v69, s35
	v_cndmask_b32_e64 v69, v69, v68, s35
	v_mov_b32_e32 v68, v114
	s_or_b32 exec_lo, exec_lo, s38
	s_and_saveexec_b32 s38, s94
	s_cbranch_execnz .LBB1044_1014
.LBB1044_1493:
	s_or_b32 exec_lo, exec_lo, s38
	s_and_saveexec_b32 s38, s95
	s_cbranch_execz .LBB1044_1015
.LBB1044_1494:
	v_bfe_i32 v114, v55, 0, 16
	v_bfe_i32 v116, v65, 0, 16
	v_ashrrev_i32_e32 v115, 31, v114
	v_ashrrev_i32_e32 v117, 31, v116
	v_lshlrev_b64 v[114:115], 1, v[114:115]
	v_lshlrev_b64 v[116:117], 1, v[116:117]
	v_add_co_u32 v114, s35, v6, v114
	v_add_co_ci_u32_e64 v115, null, v7, v115, s35
	v_add_co_u32 v116, s35, v6, v116
	v_add_co_ci_u32_e64 v117, null, v7, v117, s35
	s_clause 0x1
	flat_load_ushort v114, v[114:115]
	flat_load_ushort v115, v[116:117]
	s_waitcnt vmcnt(0) lgkmcnt(0)
	v_cmp_lt_i16_e64 s35, v114, v115
	v_cndmask_b32_e64 v114, v55, v65, s35
	v_cndmask_b32_e64 v65, v65, v55, s35
	v_mov_b32_e32 v55, v114
	s_or_b32 exec_lo, exec_lo, s38
	s_and_saveexec_b32 s38, vcc_hi
	s_cbranch_execnz .LBB1044_1016
.LBB1044_1495:
	s_or_b32 exec_lo, exec_lo, s38
	s_and_saveexec_b32 s38, s30
	s_cbranch_execz .LBB1044_1017
.LBB1044_1496:
	v_bfe_i32 v114, v52, 0, 16
	v_bfe_i32 v116, v64, 0, 16
	v_ashrrev_i32_e32 v115, 31, v114
	v_ashrrev_i32_e32 v117, 31, v116
	v_lshlrev_b64 v[114:115], 1, v[114:115]
	v_lshlrev_b64 v[116:117], 1, v[116:117]
	v_add_co_u32 v114, s35, v6, v114
	v_add_co_ci_u32_e64 v115, null, v7, v115, s35
	v_add_co_u32 v116, s35, v6, v116
	v_add_co_ci_u32_e64 v117, null, v7, v117, s35
	s_clause 0x1
	flat_load_ushort v114, v[114:115]
	flat_load_ushort v115, v[116:117]
	s_waitcnt vmcnt(0) lgkmcnt(0)
	v_cmp_lt_i16_e64 s35, v114, v115
	v_cndmask_b32_e64 v114, v64, v52, s35
	v_cndmask_b32_e64 v52, v52, v64, s35
	v_mov_b32_e32 v64, v114
	s_or_b32 exec_lo, exec_lo, s38
	s_and_saveexec_b32 s38, s31
	s_cbranch_execnz .LBB1044_1018
.LBB1044_1497:
	s_or_b32 exec_lo, exec_lo, s38
	s_and_saveexec_b32 s38, s34
	s_cbranch_execz .LBB1044_1019
.LBB1044_1498:
	v_bfe_i32 v114, v103, 0, 16
	v_bfe_i32 v116, v49, 0, 16
	v_ashrrev_i32_e32 v115, 31, v114
	v_ashrrev_i32_e32 v117, 31, v116
	v_lshlrev_b64 v[114:115], 1, v[114:115]
	v_lshlrev_b64 v[116:117], 1, v[116:117]
	v_add_co_u32 v114, s35, v6, v114
	v_add_co_ci_u32_e64 v115, null, v7, v115, s35
	v_add_co_u32 v116, s35, v6, v116
	v_add_co_ci_u32_e64 v117, null, v7, v117, s35
	s_clause 0x1
	flat_load_ushort v114, v[114:115]
	flat_load_ushort v115, v[116:117]
	s_waitcnt vmcnt(0) lgkmcnt(0)
	v_cmp_lt_i16_e64 s35, v114, v115
	v_cndmask_b32_e64 v114, v49, v103, s35
	v_cndmask_b32_e64 v103, v103, v49, s35
	v_mov_b32_e32 v49, v114
	s_or_b32 exec_lo, exec_lo, s38
	s_and_saveexec_b32 s38, s8
	s_cbranch_execnz .LBB1044_1020
.LBB1044_1499:
	s_or_b32 exec_lo, exec_lo, s38
	s_and_saveexec_b32 s38, s9
	s_cbranch_execz .LBB1044_1021
.LBB1044_1500:
	v_bfe_i32 v114, v100, 0, 16
	v_bfe_i32 v116, v101, 0, 16
	v_ashrrev_i32_e32 v115, 31, v114
	v_ashrrev_i32_e32 v117, 31, v116
	v_lshlrev_b64 v[114:115], 1, v[114:115]
	v_lshlrev_b64 v[116:117], 1, v[116:117]
	v_add_co_u32 v114, s35, v6, v114
	v_add_co_ci_u32_e64 v115, null, v7, v115, s35
	v_add_co_u32 v116, s35, v6, v116
	v_add_co_ci_u32_e64 v117, null, v7, v117, s35
	s_clause 0x1
	flat_load_ushort v114, v[114:115]
	flat_load_ushort v115, v[116:117]
	s_waitcnt vmcnt(0) lgkmcnt(0)
	v_cmp_lt_i16_e64 s35, v114, v115
	v_cndmask_b32_e64 v114, v100, v101, s35
	v_cndmask_b32_e64 v101, v101, v100, s35
	v_mov_b32_e32 v100, v114
	s_or_b32 exec_lo, exec_lo, s38
	s_and_saveexec_b32 s38, s12
	s_cbranch_execnz .LBB1044_1022
.LBB1044_1501:
	s_or_b32 exec_lo, exec_lo, s38
	s_and_saveexec_b32 s38, s13
	s_cbranch_execz .LBB1044_1023
.LBB1044_1502:
	v_bfe_i32 v114, v87, 0, 16
	v_bfe_i32 v116, v96, 0, 16
	v_ashrrev_i32_e32 v115, 31, v114
	v_ashrrev_i32_e32 v117, 31, v116
	v_lshlrev_b64 v[114:115], 1, v[114:115]
	v_lshlrev_b64 v[116:117], 1, v[116:117]
	v_add_co_u32 v114, s35, v6, v114
	v_add_co_ci_u32_e64 v115, null, v7, v115, s35
	v_add_co_u32 v116, s35, v6, v116
	v_add_co_ci_u32_e64 v117, null, v7, v117, s35
	s_clause 0x1
	flat_load_ushort v114, v[114:115]
	flat_load_ushort v115, v[116:117]
	s_waitcnt vmcnt(0) lgkmcnt(0)
	v_cmp_lt_i16_e64 s35, v114, v115
	v_cndmask_b32_e64 v114, v87, v96, s35
	v_cndmask_b32_e64 v96, v96, v87, s35
	v_mov_b32_e32 v87, v114
	s_or_b32 exec_lo, exec_lo, s38
	s_and_saveexec_b32 s38, s57
	s_cbranch_execnz .LBB1044_1024
.LBB1044_1503:
	s_or_b32 exec_lo, exec_lo, s38
	s_and_saveexec_b32 s38, s58
	s_cbranch_execz .LBB1044_1025
.LBB1044_1504:
	v_bfe_i32 v114, v83, 0, 16
	v_bfe_i32 v116, v84, 0, 16
	v_ashrrev_i32_e32 v115, 31, v114
	v_ashrrev_i32_e32 v117, 31, v116
	v_lshlrev_b64 v[114:115], 1, v[114:115]
	v_lshlrev_b64 v[116:117], 1, v[116:117]
	v_add_co_u32 v114, s35, v6, v114
	v_add_co_ci_u32_e64 v115, null, v7, v115, s35
	v_add_co_u32 v116, s35, v6, v116
	v_add_co_ci_u32_e64 v117, null, v7, v117, s35
	s_clause 0x1
	flat_load_ushort v114, v[114:115]
	flat_load_ushort v115, v[116:117]
	s_waitcnt vmcnt(0) lgkmcnt(0)
	v_cmp_lt_i16_e64 s35, v114, v115
	v_cndmask_b32_e64 v114, v83, v84, s35
	v_cndmask_b32_e64 v84, v84, v83, s35
	v_mov_b32_e32 v83, v114
	s_or_b32 exec_lo, exec_lo, s38
	s_and_saveexec_b32 s38, s59
	s_cbranch_execnz .LBB1044_1026
.LBB1044_1505:
	s_or_b32 exec_lo, exec_lo, s38
	s_and_saveexec_b32 s38, s60
	s_cbranch_execz .LBB1044_1027
.LBB1044_1506:
	v_bfe_i32 v114, v71, 0, 16
	v_bfe_i32 v116, v80, 0, 16
	v_ashrrev_i32_e32 v115, 31, v114
	v_ashrrev_i32_e32 v117, 31, v116
	v_lshlrev_b64 v[114:115], 1, v[114:115]
	v_lshlrev_b64 v[116:117], 1, v[116:117]
	v_add_co_u32 v114, s35, v6, v114
	v_add_co_ci_u32_e64 v115, null, v7, v115, s35
	v_add_co_u32 v116, s35, v6, v116
	v_add_co_ci_u32_e64 v117, null, v7, v117, s35
	s_clause 0x1
	flat_load_ushort v114, v[114:115]
	flat_load_ushort v115, v[116:117]
	s_waitcnt vmcnt(0) lgkmcnt(0)
	v_cmp_lt_i16_e64 s35, v114, v115
	v_cndmask_b32_e64 v114, v71, v80, s35
	v_cndmask_b32_e64 v80, v80, v71, s35
	v_mov_b32_e32 v71, v114
	s_or_b32 exec_lo, exec_lo, s38
	s_and_saveexec_b32 s38, s61
	s_cbranch_execnz .LBB1044_1028
.LBB1044_1507:
	s_or_b32 exec_lo, exec_lo, s38
	s_and_saveexec_b32 s38, s62
	s_cbranch_execz .LBB1044_1029
.LBB1044_1508:
	v_bfe_i32 v114, v67, 0, 16
	v_bfe_i32 v116, v68, 0, 16
	v_ashrrev_i32_e32 v115, 31, v114
	v_ashrrev_i32_e32 v117, 31, v116
	v_lshlrev_b64 v[114:115], 1, v[114:115]
	v_lshlrev_b64 v[116:117], 1, v[116:117]
	v_add_co_u32 v114, s35, v6, v114
	v_add_co_ci_u32_e64 v115, null, v7, v115, s35
	v_add_co_u32 v116, s35, v6, v116
	v_add_co_ci_u32_e64 v117, null, v7, v117, s35
	s_clause 0x1
	flat_load_ushort v114, v[114:115]
	flat_load_ushort v115, v[116:117]
	s_waitcnt vmcnt(0) lgkmcnt(0)
	v_cmp_lt_i16_e64 s35, v114, v115
	v_cndmask_b32_e64 v114, v67, v68, s35
	v_cndmask_b32_e64 v68, v68, v67, s35
	v_mov_b32_e32 v67, v114
	s_or_b32 exec_lo, exec_lo, s38
	s_and_saveexec_b32 s38, s63
	s_cbranch_execnz .LBB1044_1030
.LBB1044_1509:
	s_or_b32 exec_lo, exec_lo, s38
	s_and_saveexec_b32 s38, s72
	s_cbranch_execz .LBB1044_1031
.LBB1044_1510:
	v_bfe_i32 v114, v54, 0, 16
	v_bfe_i32 v116, v55, 0, 16
	v_ashrrev_i32_e32 v115, 31, v114
	v_ashrrev_i32_e32 v117, 31, v116
	v_lshlrev_b64 v[114:115], 1, v[114:115]
	v_lshlrev_b64 v[116:117], 1, v[116:117]
	v_add_co_u32 v114, s35, v6, v114
	v_add_co_ci_u32_e64 v115, null, v7, v115, s35
	v_add_co_u32 v116, s35, v6, v116
	v_add_co_ci_u32_e64 v117, null, v7, v117, s35
	s_clause 0x1
	flat_load_ushort v114, v[114:115]
	flat_load_ushort v115, v[116:117]
	s_waitcnt vmcnt(0) lgkmcnt(0)
	v_cmp_lt_i16_e64 s35, v114, v115
	v_cndmask_b32_e64 v114, v54, v55, s35
	v_cndmask_b32_e64 v55, v55, v54, s35
	v_mov_b32_e32 v54, v114
	s_or_b32 exec_lo, exec_lo, s38
	s_and_saveexec_b32 s38, s73
	s_cbranch_execnz .LBB1044_1032
.LBB1044_1511:
	s_or_b32 exec_lo, exec_lo, s38
	s_and_saveexec_b32 s38, s74
	s_cbranch_execz .LBB1044_1033
.LBB1044_1512:
	v_bfe_i32 v114, v51, 0, 16
	v_bfe_i32 v116, v52, 0, 16
	v_ashrrev_i32_e32 v115, 31, v114
	v_ashrrev_i32_e32 v117, 31, v116
	v_lshlrev_b64 v[114:115], 1, v[114:115]
	v_lshlrev_b64 v[116:117], 1, v[116:117]
	v_add_co_u32 v114, s35, v6, v114
	v_add_co_ci_u32_e64 v115, null, v7, v115, s35
	v_add_co_u32 v116, s35, v6, v116
	v_add_co_ci_u32_e64 v117, null, v7, v117, s35
	s_clause 0x1
	flat_load_ushort v114, v[114:115]
	flat_load_ushort v115, v[116:117]
	s_waitcnt vmcnt(0) lgkmcnt(0)
	v_cmp_lt_i16_e64 s35, v114, v115
	v_cndmask_b32_e64 v114, v52, v51, s35
	v_cndmask_b32_e64 v51, v51, v52, s35
	v_mov_b32_e32 v52, v114
	s_or_b32 exec_lo, exec_lo, s38
	s_and_saveexec_b32 s38, s75
	s_cbranch_execnz .LBB1044_1034
.LBB1044_1513:
	s_or_b32 exec_lo, exec_lo, s38
	s_and_saveexec_b32 s38, s76
	s_cbranch_execz .LBB1044_1035
.LBB1044_1514:
	v_bfe_i32 v114, v48, 0, 16
	v_bfe_i32 v116, v103, 0, 16
	v_ashrrev_i32_e32 v115, 31, v114
	v_ashrrev_i32_e32 v117, 31, v116
	v_lshlrev_b64 v[114:115], 1, v[114:115]
	v_lshlrev_b64 v[116:117], 1, v[116:117]
	v_add_co_u32 v114, s35, v6, v114
	v_add_co_ci_u32_e64 v115, null, v7, v115, s35
	v_add_co_u32 v116, s35, v6, v116
	v_add_co_ci_u32_e64 v117, null, v7, v117, s35
	s_clause 0x1
	flat_load_ushort v114, v[114:115]
	flat_load_ushort v115, v[116:117]
	s_waitcnt vmcnt(0) lgkmcnt(0)
	v_cmp_lt_i16_e64 s35, v114, v115
	v_cndmask_b32_e64 v114, v103, v48, s35
	v_cndmask_b32_e64 v48, v48, v103, s35
	v_mov_b32_e32 v103, v114
	s_or_b32 exec_lo, exec_lo, s38
	s_and_saveexec_b32 s38, s77
	s_cbranch_execnz .LBB1044_1036
.LBB1044_1515:
	s_or_b32 exec_lo, exec_lo, s38
	s_and_saveexec_b32 s38, s78
	s_cbranch_execz .LBB1044_1037
.LBB1044_1516:
	v_bfe_i32 v114, v98, 0, 16
	v_bfe_i32 v116, v100, 0, 16
	v_ashrrev_i32_e32 v115, 31, v114
	v_ashrrev_i32_e32 v117, 31, v116
	v_lshlrev_b64 v[114:115], 1, v[114:115]
	v_lshlrev_b64 v[116:117], 1, v[116:117]
	v_add_co_u32 v114, s35, v6, v114
	v_add_co_ci_u32_e64 v115, null, v7, v115, s35
	v_add_co_u32 v116, s35, v6, v116
	v_add_co_ci_u32_e64 v117, null, v7, v117, s35
	s_clause 0x1
	flat_load_ushort v114, v[114:115]
	flat_load_ushort v115, v[116:117]
	s_waitcnt vmcnt(0) lgkmcnt(0)
	v_cmp_lt_i16_e64 s35, v114, v115
	v_cndmask_b32_e64 v114, v98, v100, s35
	v_cndmask_b32_e64 v100, v100, v98, s35
	v_mov_b32_e32 v98, v114
	s_or_b32 exec_lo, exec_lo, s38
	s_and_saveexec_b32 s38, s79
	s_cbranch_execnz .LBB1044_1038
.LBB1044_1517:
	s_or_b32 exec_lo, exec_lo, s38
	s_and_saveexec_b32 s38, s88
	s_cbranch_execz .LBB1044_1039
.LBB1044_1518:
	v_bfe_i32 v114, v86, 0, 16
	v_bfe_i32 v116, v87, 0, 16
	v_ashrrev_i32_e32 v115, 31, v114
	v_ashrrev_i32_e32 v117, 31, v116
	v_lshlrev_b64 v[114:115], 1, v[114:115]
	v_lshlrev_b64 v[116:117], 1, v[116:117]
	v_add_co_u32 v114, s35, v6, v114
	v_add_co_ci_u32_e64 v115, null, v7, v115, s35
	v_add_co_u32 v116, s35, v6, v116
	v_add_co_ci_u32_e64 v117, null, v7, v117, s35
	s_clause 0x1
	flat_load_ushort v114, v[114:115]
	flat_load_ushort v115, v[116:117]
	s_waitcnt vmcnt(0) lgkmcnt(0)
	v_cmp_lt_i16_e64 s35, v114, v115
	v_cndmask_b32_e64 v114, v86, v87, s35
	v_cndmask_b32_e64 v87, v87, v86, s35
	v_mov_b32_e32 v86, v114
	s_or_b32 exec_lo, exec_lo, s38
	s_and_saveexec_b32 s38, s89
	s_cbranch_execnz .LBB1044_1040
.LBB1044_1519:
	s_or_b32 exec_lo, exec_lo, s38
	s_and_saveexec_b32 s38, s90
	s_cbranch_execz .LBB1044_1041
.LBB1044_1520:
	v_bfe_i32 v114, v82, 0, 16
	v_bfe_i32 v116, v83, 0, 16
	v_ashrrev_i32_e32 v115, 31, v114
	v_ashrrev_i32_e32 v117, 31, v116
	v_lshlrev_b64 v[114:115], 1, v[114:115]
	v_lshlrev_b64 v[116:117], 1, v[116:117]
	v_add_co_u32 v114, s35, v6, v114
	v_add_co_ci_u32_e64 v115, null, v7, v115, s35
	v_add_co_u32 v116, s35, v6, v116
	v_add_co_ci_u32_e64 v117, null, v7, v117, s35
	s_clause 0x1
	flat_load_ushort v114, v[114:115]
	flat_load_ushort v115, v[116:117]
	s_waitcnt vmcnt(0) lgkmcnt(0)
	v_cmp_lt_i16_e64 s35, v114, v115
	v_cndmask_b32_e64 v114, v82, v83, s35
	v_cndmask_b32_e64 v83, v83, v82, s35
	v_mov_b32_e32 v82, v114
	s_or_b32 exec_lo, exec_lo, s38
	s_and_saveexec_b32 s38, s91
	s_cbranch_execnz .LBB1044_1042
.LBB1044_1521:
	s_or_b32 exec_lo, exec_lo, s38
	s_and_saveexec_b32 s38, s92
	s_cbranch_execz .LBB1044_1043
.LBB1044_1522:
	v_bfe_i32 v114, v70, 0, 16
	v_bfe_i32 v116, v71, 0, 16
	v_ashrrev_i32_e32 v115, 31, v114
	v_ashrrev_i32_e32 v117, 31, v116
	v_lshlrev_b64 v[114:115], 1, v[114:115]
	v_lshlrev_b64 v[116:117], 1, v[116:117]
	v_add_co_u32 v114, s35, v6, v114
	v_add_co_ci_u32_e64 v115, null, v7, v115, s35
	v_add_co_u32 v116, s35, v6, v116
	v_add_co_ci_u32_e64 v117, null, v7, v117, s35
	s_clause 0x1
	flat_load_ushort v114, v[114:115]
	flat_load_ushort v115, v[116:117]
	s_waitcnt vmcnt(0) lgkmcnt(0)
	v_cmp_lt_i16_e64 s35, v114, v115
	v_cndmask_b32_e64 v114, v70, v71, s35
	v_cndmask_b32_e64 v71, v71, v70, s35
	v_mov_b32_e32 v70, v114
	s_or_b32 exec_lo, exec_lo, s38
	s_and_saveexec_b32 s38, s93
	s_cbranch_execnz .LBB1044_1044
.LBB1044_1523:
	s_or_b32 exec_lo, exec_lo, s38
	s_and_saveexec_b32 s38, s94
	s_cbranch_execz .LBB1044_1045
.LBB1044_1524:
	v_bfe_i32 v114, v66, 0, 16
	v_bfe_i32 v116, v67, 0, 16
	v_ashrrev_i32_e32 v115, 31, v114
	v_ashrrev_i32_e32 v117, 31, v116
	v_lshlrev_b64 v[114:115], 1, v[114:115]
	v_lshlrev_b64 v[116:117], 1, v[116:117]
	v_add_co_u32 v114, s35, v6, v114
	v_add_co_ci_u32_e64 v115, null, v7, v115, s35
	v_add_co_u32 v116, s35, v6, v116
	v_add_co_ci_u32_e64 v117, null, v7, v117, s35
	s_clause 0x1
	flat_load_ushort v114, v[114:115]
	flat_load_ushort v115, v[116:117]
	s_waitcnt vmcnt(0) lgkmcnt(0)
	v_cmp_lt_i16_e64 s35, v114, v115
	v_cndmask_b32_e64 v114, v66, v67, s35
	v_cndmask_b32_e64 v67, v67, v66, s35
	v_mov_b32_e32 v66, v114
	s_or_b32 exec_lo, exec_lo, s38
	s_and_saveexec_b32 s38, s95
	s_cbranch_execnz .LBB1044_1046
.LBB1044_1525:
	s_or_b32 exec_lo, exec_lo, s38
	s_and_saveexec_b32 s38, vcc_hi
	s_cbranch_execz .LBB1044_1047
.LBB1044_1526:
	v_bfe_i32 v114, v53, 0, 16
	v_bfe_i32 v116, v54, 0, 16
	v_ashrrev_i32_e32 v115, 31, v114
	v_ashrrev_i32_e32 v117, 31, v116
	v_lshlrev_b64 v[114:115], 1, v[114:115]
	v_lshlrev_b64 v[116:117], 1, v[116:117]
	v_add_co_u32 v114, s35, v6, v114
	v_add_co_ci_u32_e64 v115, null, v7, v115, s35
	v_add_co_u32 v116, s35, v6, v116
	v_add_co_ci_u32_e64 v117, null, v7, v117, s35
	s_clause 0x1
	flat_load_ushort v114, v[114:115]
	flat_load_ushort v115, v[116:117]
	s_waitcnt vmcnt(0) lgkmcnt(0)
	v_cmp_lt_i16_e64 s35, v114, v115
	v_cndmask_b32_e64 v114, v53, v54, s35
	v_cndmask_b32_e64 v54, v54, v53, s35
	v_mov_b32_e32 v53, v114
	s_or_b32 exec_lo, exec_lo, s38
	s_and_saveexec_b32 s38, s30
	s_cbranch_execnz .LBB1044_1048
.LBB1044_1527:
	s_or_b32 exec_lo, exec_lo, s38
	s_and_saveexec_b32 s38, s31
	s_cbranch_execz .LBB1044_1049
.LBB1044_1528:
	v_bfe_i32 v114, v50, 0, 16
	v_bfe_i32 v116, v51, 0, 16
	v_ashrrev_i32_e32 v115, 31, v114
	v_ashrrev_i32_e32 v117, 31, v116
	v_lshlrev_b64 v[114:115], 1, v[114:115]
	v_lshlrev_b64 v[116:117], 1, v[116:117]
	v_add_co_u32 v114, s35, v6, v114
	v_add_co_ci_u32_e64 v115, null, v7, v115, s35
	v_add_co_u32 v116, s35, v6, v116
	v_add_co_ci_u32_e64 v117, null, v7, v117, s35
	s_clause 0x1
	flat_load_ushort v114, v[114:115]
	flat_load_ushort v115, v[116:117]
	s_waitcnt vmcnt(0) lgkmcnt(0)
	v_cmp_lt_i16_e64 s35, v114, v115
	v_cndmask_b32_e64 v114, v51, v50, s35
	v_cndmask_b32_e64 v50, v50, v51, s35
	v_mov_b32_e32 v51, v114
	s_or_b32 exec_lo, exec_lo, s38
	s_and_saveexec_b32 s38, s34
	s_cbranch_execnz .LBB1044_1050
.LBB1044_1529:
	s_or_b32 exec_lo, exec_lo, s38
	s_and_saveexec_b32 s38, s8
	s_cbranch_execz .LBB1044_1051
.LBB1044_1530:
	v_bfe_i32 v114, v102, 0, 16
	v_bfe_i32 v116, v99, 0, 16
	v_ashrrev_i32_e32 v115, 31, v114
	v_ashrrev_i32_e32 v117, 31, v116
	v_lshlrev_b64 v[114:115], 1, v[114:115]
	v_lshlrev_b64 v[116:117], 1, v[116:117]
	v_add_co_u32 v114, s35, v6, v114
	v_add_co_ci_u32_e64 v115, null, v7, v115, s35
	v_add_co_u32 v116, s35, v6, v116
	v_add_co_ci_u32_e64 v117, null, v7, v117, s35
	s_clause 0x1
	flat_load_ushort v114, v[114:115]
	flat_load_ushort v115, v[116:117]
	s_waitcnt vmcnt(0) lgkmcnt(0)
	v_cmp_lt_i16_e64 s35, v114, v115
	v_cndmask_b32_e64 v114, v102, v99, s35
	v_cndmask_b32_e64 v99, v99, v102, s35
	v_mov_b32_e32 v102, v114
	s_or_b32 exec_lo, exec_lo, s38
	s_and_saveexec_b32 s38, s9
	s_cbranch_execnz .LBB1044_1052
.LBB1044_1531:
	s_or_b32 exec_lo, exec_lo, s38
	s_and_saveexec_b32 s38, s12
	s_cbranch_execz .LBB1044_1053
.LBB1044_1532:
	v_bfe_i32 v114, v97, 0, 16
	v_bfe_i32 v116, v98, 0, 16
	v_ashrrev_i32_e32 v115, 31, v114
	v_ashrrev_i32_e32 v117, 31, v116
	v_lshlrev_b64 v[114:115], 1, v[114:115]
	v_lshlrev_b64 v[116:117], 1, v[116:117]
	v_add_co_u32 v114, s35, v6, v114
	v_add_co_ci_u32_e64 v115, null, v7, v115, s35
	v_add_co_u32 v116, s35, v6, v116
	v_add_co_ci_u32_e64 v117, null, v7, v117, s35
	s_clause 0x1
	flat_load_ushort v114, v[114:115]
	flat_load_ushort v115, v[116:117]
	s_waitcnt vmcnt(0) lgkmcnt(0)
	v_cmp_lt_i16_e64 s35, v114, v115
	v_cndmask_b32_e64 v114, v97, v98, s35
	v_cndmask_b32_e64 v98, v98, v97, s35
	v_mov_b32_e32 v97, v114
	s_or_b32 exec_lo, exec_lo, s38
	s_and_saveexec_b32 s38, s13
	s_cbranch_execnz .LBB1044_1054
.LBB1044_1533:
	s_or_b32 exec_lo, exec_lo, s38
	s_and_saveexec_b32 s38, s57
	s_cbranch_execz .LBB1044_1055
.LBB1044_1534:
	v_bfe_i32 v114, v85, 0, 16
	v_bfe_i32 v116, v86, 0, 16
	v_ashrrev_i32_e32 v115, 31, v114
	v_ashrrev_i32_e32 v117, 31, v116
	v_lshlrev_b64 v[114:115], 1, v[114:115]
	v_lshlrev_b64 v[116:117], 1, v[116:117]
	v_add_co_u32 v114, s35, v6, v114
	v_add_co_ci_u32_e64 v115, null, v7, v115, s35
	v_add_co_u32 v116, s35, v6, v116
	v_add_co_ci_u32_e64 v117, null, v7, v117, s35
	s_clause 0x1
	flat_load_ushort v114, v[114:115]
	flat_load_ushort v115, v[116:117]
	s_waitcnt vmcnt(0) lgkmcnt(0)
	v_cmp_lt_i16_e64 s35, v114, v115
	v_cndmask_b32_e64 v114, v85, v86, s35
	v_cndmask_b32_e64 v86, v86, v85, s35
	v_mov_b32_e32 v85, v114
	s_or_b32 exec_lo, exec_lo, s38
	s_and_saveexec_b32 s38, s58
	s_cbranch_execnz .LBB1044_1056
.LBB1044_1535:
	s_or_b32 exec_lo, exec_lo, s38
	s_and_saveexec_b32 s38, s59
	s_cbranch_execz .LBB1044_1057
.LBB1044_1536:
	v_bfe_i32 v114, v81, 0, 16
	v_bfe_i32 v116, v82, 0, 16
	v_ashrrev_i32_e32 v115, 31, v114
	v_ashrrev_i32_e32 v117, 31, v116
	v_lshlrev_b64 v[114:115], 1, v[114:115]
	v_lshlrev_b64 v[116:117], 1, v[116:117]
	v_add_co_u32 v114, s35, v6, v114
	v_add_co_ci_u32_e64 v115, null, v7, v115, s35
	v_add_co_u32 v116, s35, v6, v116
	v_add_co_ci_u32_e64 v117, null, v7, v117, s35
	s_clause 0x1
	flat_load_ushort v114, v[114:115]
	flat_load_ushort v115, v[116:117]
	s_waitcnt vmcnt(0) lgkmcnt(0)
	v_cmp_lt_i16_e64 s35, v114, v115
	v_cndmask_b32_e64 v114, v81, v82, s35
	v_cndmask_b32_e64 v82, v82, v81, s35
	v_mov_b32_e32 v81, v114
	s_or_b32 exec_lo, exec_lo, s38
	s_and_saveexec_b32 s38, s60
	s_cbranch_execnz .LBB1044_1058
.LBB1044_1537:
	s_or_b32 exec_lo, exec_lo, s38
	s_and_saveexec_b32 s38, s61
	s_cbranch_execz .LBB1044_1059
.LBB1044_1538:
	v_bfe_i32 v114, v69, 0, 16
	v_bfe_i32 v116, v70, 0, 16
	v_ashrrev_i32_e32 v115, 31, v114
	v_ashrrev_i32_e32 v117, 31, v116
	v_lshlrev_b64 v[114:115], 1, v[114:115]
	v_lshlrev_b64 v[116:117], 1, v[116:117]
	v_add_co_u32 v114, s35, v6, v114
	v_add_co_ci_u32_e64 v115, null, v7, v115, s35
	v_add_co_u32 v116, s35, v6, v116
	v_add_co_ci_u32_e64 v117, null, v7, v117, s35
	s_clause 0x1
	flat_load_ushort v114, v[114:115]
	flat_load_ushort v115, v[116:117]
	s_waitcnt vmcnt(0) lgkmcnt(0)
	v_cmp_lt_i16_e64 s35, v114, v115
	v_cndmask_b32_e64 v114, v69, v70, s35
	v_cndmask_b32_e64 v70, v70, v69, s35
	v_mov_b32_e32 v69, v114
	s_or_b32 exec_lo, exec_lo, s38
	s_and_saveexec_b32 s38, s62
	s_cbranch_execnz .LBB1044_1060
.LBB1044_1539:
	s_or_b32 exec_lo, exec_lo, s38
	s_and_saveexec_b32 s38, s63
	s_cbranch_execz .LBB1044_1061
.LBB1044_1540:
	v_bfe_i32 v114, v65, 0, 16
	v_bfe_i32 v116, v66, 0, 16
	v_ashrrev_i32_e32 v115, 31, v114
	v_ashrrev_i32_e32 v117, 31, v116
	v_lshlrev_b64 v[114:115], 1, v[114:115]
	v_lshlrev_b64 v[116:117], 1, v[116:117]
	v_add_co_u32 v114, s35, v6, v114
	v_add_co_ci_u32_e64 v115, null, v7, v115, s35
	v_add_co_u32 v116, s35, v6, v116
	v_add_co_ci_u32_e64 v117, null, v7, v117, s35
	s_clause 0x1
	flat_load_ushort v114, v[114:115]
	flat_load_ushort v115, v[116:117]
	s_waitcnt vmcnt(0) lgkmcnt(0)
	v_cmp_lt_i16_e64 s35, v114, v115
	v_cndmask_b32_e64 v114, v65, v66, s35
	v_cndmask_b32_e64 v66, v66, v65, s35
	v_mov_b32_e32 v65, v114
	s_or_b32 exec_lo, exec_lo, s38
	s_and_saveexec_b32 s38, s72
	s_cbranch_execnz .LBB1044_1062
.LBB1044_1541:
	s_or_b32 exec_lo, exec_lo, s38
	s_and_saveexec_b32 s38, s73
	s_cbranch_execz .LBB1044_1063
.LBB1044_1542:
	v_bfe_i32 v114, v64, 0, 16
	v_bfe_i32 v116, v53, 0, 16
	v_ashrrev_i32_e32 v115, 31, v114
	v_ashrrev_i32_e32 v117, 31, v116
	v_lshlrev_b64 v[114:115], 1, v[114:115]
	v_lshlrev_b64 v[116:117], 1, v[116:117]
	v_add_co_u32 v114, s35, v6, v114
	v_add_co_ci_u32_e64 v115, null, v7, v115, s35
	v_add_co_u32 v116, s35, v6, v116
	v_add_co_ci_u32_e64 v117, null, v7, v117, s35
	s_clause 0x1
	flat_load_ushort v114, v[114:115]
	flat_load_ushort v115, v[116:117]
	s_waitcnt vmcnt(0) lgkmcnt(0)
	v_cmp_lt_i16_e64 s35, v114, v115
	v_cndmask_b32_e64 v114, v64, v53, s35
	v_cndmask_b32_e64 v53, v53, v64, s35
	v_mov_b32_e32 v64, v114
	s_or_b32 exec_lo, exec_lo, s38
	s_and_saveexec_b32 s38, s74
	s_cbranch_execnz .LBB1044_1064
.LBB1044_1543:
	s_or_b32 exec_lo, exec_lo, s38
	s_and_saveexec_b32 s38, s75
	s_cbranch_execz .LBB1044_1065
.LBB1044_1544:
	v_bfe_i32 v114, v49, 0, 16
	v_bfe_i32 v116, v50, 0, 16
	v_ashrrev_i32_e32 v115, 31, v114
	v_ashrrev_i32_e32 v117, 31, v116
	v_lshlrev_b64 v[114:115], 1, v[114:115]
	v_lshlrev_b64 v[116:117], 1, v[116:117]
	v_add_co_u32 v114, s35, v6, v114
	v_add_co_ci_u32_e64 v115, null, v7, v115, s35
	v_add_co_u32 v116, s35, v6, v116
	v_add_co_ci_u32_e64 v117, null, v7, v117, s35
	s_clause 0x1
	flat_load_ushort v114, v[114:115]
	flat_load_ushort v115, v[116:117]
	s_waitcnt vmcnt(0) lgkmcnt(0)
	v_cmp_lt_i16_e64 s35, v114, v115
	v_cndmask_b32_e64 v114, v50, v49, s35
	v_cndmask_b32_e64 v49, v49, v50, s35
	v_mov_b32_e32 v50, v114
	s_or_b32 exec_lo, exec_lo, s38
	s_and_saveexec_b32 s38, s76
	s_cbranch_execnz .LBB1044_1066
.LBB1044_1545:
	s_or_b32 exec_lo, exec_lo, s38
	s_and_saveexec_b32 s38, s77
	s_cbranch_execz .LBB1044_1067
.LBB1044_1546:
	v_bfe_i32 v114, v101, 0, 16
	v_bfe_i32 v116, v102, 0, 16
	v_ashrrev_i32_e32 v115, 31, v114
	v_ashrrev_i32_e32 v117, 31, v116
	v_lshlrev_b64 v[114:115], 1, v[114:115]
	v_lshlrev_b64 v[116:117], 1, v[116:117]
	v_add_co_u32 v114, s35, v6, v114
	v_add_co_ci_u32_e64 v115, null, v7, v115, s35
	v_add_co_u32 v116, s35, v6, v116
	v_add_co_ci_u32_e64 v117, null, v7, v117, s35
	s_clause 0x1
	flat_load_ushort v114, v[114:115]
	flat_load_ushort v115, v[116:117]
	s_waitcnt vmcnt(0) lgkmcnt(0)
	v_cmp_lt_i16_e64 s35, v114, v115
	v_cndmask_b32_e64 v114, v101, v102, s35
	v_cndmask_b32_e64 v102, v102, v101, s35
	v_mov_b32_e32 v101, v114
	s_or_b32 exec_lo, exec_lo, s38
	s_and_saveexec_b32 s38, s78
	s_cbranch_execnz .LBB1044_1068
.LBB1044_1547:
	s_or_b32 exec_lo, exec_lo, s38
	s_and_saveexec_b32 s38, s79
	s_cbranch_execz .LBB1044_1069
.LBB1044_1548:
	v_bfe_i32 v114, v96, 0, 16
	v_bfe_i32 v116, v97, 0, 16
	v_ashrrev_i32_e32 v115, 31, v114
	v_ashrrev_i32_e32 v117, 31, v116
	v_lshlrev_b64 v[114:115], 1, v[114:115]
	v_lshlrev_b64 v[116:117], 1, v[116:117]
	v_add_co_u32 v114, s35, v6, v114
	v_add_co_ci_u32_e64 v115, null, v7, v115, s35
	v_add_co_u32 v116, s35, v6, v116
	v_add_co_ci_u32_e64 v117, null, v7, v117, s35
	s_clause 0x1
	flat_load_ushort v114, v[114:115]
	flat_load_ushort v115, v[116:117]
	s_waitcnt vmcnt(0) lgkmcnt(0)
	v_cmp_lt_i16_e64 s35, v114, v115
	v_cndmask_b32_e64 v114, v96, v97, s35
	v_cndmask_b32_e64 v97, v97, v96, s35
	v_mov_b32_e32 v96, v114
	s_or_b32 exec_lo, exec_lo, s38
	s_and_saveexec_b32 s38, s88
	s_cbranch_execnz .LBB1044_1070
.LBB1044_1549:
	s_or_b32 exec_lo, exec_lo, s38
	s_and_saveexec_b32 s38, s89
	s_cbranch_execz .LBB1044_1071
.LBB1044_1550:
	v_bfe_i32 v114, v84, 0, 16
	v_bfe_i32 v116, v85, 0, 16
	v_ashrrev_i32_e32 v115, 31, v114
	v_ashrrev_i32_e32 v117, 31, v116
	v_lshlrev_b64 v[114:115], 1, v[114:115]
	v_lshlrev_b64 v[116:117], 1, v[116:117]
	v_add_co_u32 v114, s35, v6, v114
	v_add_co_ci_u32_e64 v115, null, v7, v115, s35
	v_add_co_u32 v116, s35, v6, v116
	v_add_co_ci_u32_e64 v117, null, v7, v117, s35
	s_clause 0x1
	flat_load_ushort v114, v[114:115]
	flat_load_ushort v115, v[116:117]
	s_waitcnt vmcnt(0) lgkmcnt(0)
	v_cmp_lt_i16_e64 s35, v114, v115
	v_cndmask_b32_e64 v114, v84, v85, s35
	v_cndmask_b32_e64 v85, v85, v84, s35
	v_mov_b32_e32 v84, v114
	s_or_b32 exec_lo, exec_lo, s38
	s_and_saveexec_b32 s38, s90
	s_cbranch_execnz .LBB1044_1072
.LBB1044_1551:
	s_or_b32 exec_lo, exec_lo, s38
	s_and_saveexec_b32 s38, s91
	s_cbranch_execz .LBB1044_1073
.LBB1044_1552:
	v_bfe_i32 v114, v80, 0, 16
	v_bfe_i32 v116, v81, 0, 16
	v_ashrrev_i32_e32 v115, 31, v114
	v_ashrrev_i32_e32 v117, 31, v116
	v_lshlrev_b64 v[114:115], 1, v[114:115]
	v_lshlrev_b64 v[116:117], 1, v[116:117]
	v_add_co_u32 v114, s35, v6, v114
	v_add_co_ci_u32_e64 v115, null, v7, v115, s35
	v_add_co_u32 v116, s35, v6, v116
	v_add_co_ci_u32_e64 v117, null, v7, v117, s35
	s_clause 0x1
	flat_load_ushort v114, v[114:115]
	flat_load_ushort v115, v[116:117]
	s_waitcnt vmcnt(0) lgkmcnt(0)
	v_cmp_lt_i16_e64 s35, v114, v115
	v_cndmask_b32_e64 v114, v80, v81, s35
	v_cndmask_b32_e64 v81, v81, v80, s35
	v_mov_b32_e32 v80, v114
	s_or_b32 exec_lo, exec_lo, s38
	s_and_saveexec_b32 s38, s92
	s_cbranch_execnz .LBB1044_1074
.LBB1044_1553:
	s_or_b32 exec_lo, exec_lo, s38
	s_and_saveexec_b32 s38, s93
	s_cbranch_execz .LBB1044_1075
.LBB1044_1554:
	v_bfe_i32 v114, v68, 0, 16
	v_bfe_i32 v116, v69, 0, 16
	v_ashrrev_i32_e32 v115, 31, v114
	v_ashrrev_i32_e32 v117, 31, v116
	v_lshlrev_b64 v[114:115], 1, v[114:115]
	v_lshlrev_b64 v[116:117], 1, v[116:117]
	v_add_co_u32 v114, s35, v6, v114
	v_add_co_ci_u32_e64 v115, null, v7, v115, s35
	v_add_co_u32 v116, s35, v6, v116
	v_add_co_ci_u32_e64 v117, null, v7, v117, s35
	s_clause 0x1
	flat_load_ushort v114, v[114:115]
	flat_load_ushort v115, v[116:117]
	s_waitcnt vmcnt(0) lgkmcnt(0)
	v_cmp_lt_i16_e64 s35, v114, v115
	v_cndmask_b32_e64 v114, v68, v69, s35
	v_cndmask_b32_e64 v69, v69, v68, s35
	v_mov_b32_e32 v68, v114
	s_or_b32 exec_lo, exec_lo, s38
	s_and_saveexec_b32 s38, s94
	s_cbranch_execnz .LBB1044_1076
.LBB1044_1555:
	s_or_b32 exec_lo, exec_lo, s38
	s_and_saveexec_b32 s38, s95
	s_cbranch_execz .LBB1044_1077
.LBB1044_1556:
	v_bfe_i32 v114, v55, 0, 16
	v_bfe_i32 v116, v65, 0, 16
	v_ashrrev_i32_e32 v115, 31, v114
	v_ashrrev_i32_e32 v117, 31, v116
	v_lshlrev_b64 v[114:115], 1, v[114:115]
	v_lshlrev_b64 v[116:117], 1, v[116:117]
	v_add_co_u32 v114, s35, v6, v114
	v_add_co_ci_u32_e64 v115, null, v7, v115, s35
	v_add_co_u32 v116, s35, v6, v116
	v_add_co_ci_u32_e64 v117, null, v7, v117, s35
	s_clause 0x1
	flat_load_ushort v114, v[114:115]
	flat_load_ushort v115, v[116:117]
	s_waitcnt vmcnt(0) lgkmcnt(0)
	v_cmp_lt_i16_e64 s35, v114, v115
	v_cndmask_b32_e64 v114, v55, v65, s35
	v_cndmask_b32_e64 v65, v65, v55, s35
	v_mov_b32_e32 v55, v114
	s_or_b32 exec_lo, exec_lo, s38
	s_and_saveexec_b32 s38, vcc_hi
	s_cbranch_execnz .LBB1044_1078
.LBB1044_1557:
	s_or_b32 exec_lo, exec_lo, s38
	s_and_saveexec_b32 s38, s30
	s_cbranch_execz .LBB1044_1079
.LBB1044_1558:
	v_bfe_i32 v114, v52, 0, 16
	v_bfe_i32 v116, v64, 0, 16
	v_ashrrev_i32_e32 v115, 31, v114
	v_ashrrev_i32_e32 v117, 31, v116
	v_lshlrev_b64 v[114:115], 1, v[114:115]
	v_lshlrev_b64 v[116:117], 1, v[116:117]
	v_add_co_u32 v114, s35, v6, v114
	v_add_co_ci_u32_e64 v115, null, v7, v115, s35
	v_add_co_u32 v116, s35, v6, v116
	v_add_co_ci_u32_e64 v117, null, v7, v117, s35
	s_clause 0x1
	flat_load_ushort v114, v[114:115]
	flat_load_ushort v115, v[116:117]
	s_waitcnt vmcnt(0) lgkmcnt(0)
	v_cmp_lt_i16_e64 s35, v114, v115
	v_cndmask_b32_e64 v114, v64, v52, s35
	v_cndmask_b32_e64 v52, v52, v64, s35
	v_mov_b32_e32 v64, v114
	s_or_b32 exec_lo, exec_lo, s38
	s_and_saveexec_b32 s38, s31
	s_cbranch_execnz .LBB1044_1080
.LBB1044_1559:
	s_or_b32 exec_lo, exec_lo, s38
	s_and_saveexec_b32 s38, s34
	s_cbranch_execz .LBB1044_1081
.LBB1044_1560:
	v_bfe_i32 v114, v103, 0, 16
	v_bfe_i32 v116, v49, 0, 16
	v_ashrrev_i32_e32 v115, 31, v114
	v_ashrrev_i32_e32 v117, 31, v116
	v_lshlrev_b64 v[114:115], 1, v[114:115]
	v_lshlrev_b64 v[116:117], 1, v[116:117]
	v_add_co_u32 v114, s35, v6, v114
	v_add_co_ci_u32_e64 v115, null, v7, v115, s35
	v_add_co_u32 v116, s35, v6, v116
	v_add_co_ci_u32_e64 v117, null, v7, v117, s35
	s_clause 0x1
	flat_load_ushort v114, v[114:115]
	flat_load_ushort v115, v[116:117]
	s_waitcnt vmcnt(0) lgkmcnt(0)
	v_cmp_lt_i16_e64 s35, v114, v115
	v_cndmask_b32_e64 v114, v49, v103, s35
	v_cndmask_b32_e64 v103, v103, v49, s35
	v_mov_b32_e32 v49, v114
	s_or_b32 exec_lo, exec_lo, s38
	s_and_saveexec_b32 s38, s8
	s_cbranch_execnz .LBB1044_1082
.LBB1044_1561:
	s_or_b32 exec_lo, exec_lo, s38
	s_and_saveexec_b32 s38, s9
	s_cbranch_execz .LBB1044_1083
.LBB1044_1562:
	v_bfe_i32 v114, v100, 0, 16
	v_bfe_i32 v116, v101, 0, 16
	v_ashrrev_i32_e32 v115, 31, v114
	v_ashrrev_i32_e32 v117, 31, v116
	v_lshlrev_b64 v[114:115], 1, v[114:115]
	v_lshlrev_b64 v[116:117], 1, v[116:117]
	v_add_co_u32 v114, s35, v6, v114
	v_add_co_ci_u32_e64 v115, null, v7, v115, s35
	v_add_co_u32 v116, s35, v6, v116
	v_add_co_ci_u32_e64 v117, null, v7, v117, s35
	s_clause 0x1
	flat_load_ushort v114, v[114:115]
	flat_load_ushort v115, v[116:117]
	s_waitcnt vmcnt(0) lgkmcnt(0)
	v_cmp_lt_i16_e64 s35, v114, v115
	v_cndmask_b32_e64 v114, v100, v101, s35
	v_cndmask_b32_e64 v101, v101, v100, s35
	v_mov_b32_e32 v100, v114
	s_or_b32 exec_lo, exec_lo, s38
	s_and_saveexec_b32 s38, s12
	s_cbranch_execnz .LBB1044_1084
.LBB1044_1563:
	s_or_b32 exec_lo, exec_lo, s38
	s_and_saveexec_b32 s38, s13
	s_cbranch_execz .LBB1044_1085
.LBB1044_1564:
	v_bfe_i32 v114, v87, 0, 16
	v_bfe_i32 v116, v96, 0, 16
	v_ashrrev_i32_e32 v115, 31, v114
	v_ashrrev_i32_e32 v117, 31, v116
	v_lshlrev_b64 v[114:115], 1, v[114:115]
	v_lshlrev_b64 v[116:117], 1, v[116:117]
	v_add_co_u32 v114, s35, v6, v114
	v_add_co_ci_u32_e64 v115, null, v7, v115, s35
	v_add_co_u32 v116, s35, v6, v116
	v_add_co_ci_u32_e64 v117, null, v7, v117, s35
	s_clause 0x1
	flat_load_ushort v114, v[114:115]
	flat_load_ushort v115, v[116:117]
	s_waitcnt vmcnt(0) lgkmcnt(0)
	v_cmp_lt_i16_e64 s35, v114, v115
	v_cndmask_b32_e64 v114, v87, v96, s35
	v_cndmask_b32_e64 v96, v96, v87, s35
	v_mov_b32_e32 v87, v114
	s_or_b32 exec_lo, exec_lo, s38
	s_and_saveexec_b32 s38, s57
	s_cbranch_execnz .LBB1044_1086
.LBB1044_1565:
	s_or_b32 exec_lo, exec_lo, s38
	s_and_saveexec_b32 s38, s58
	s_cbranch_execz .LBB1044_1087
.LBB1044_1566:
	v_bfe_i32 v114, v83, 0, 16
	v_bfe_i32 v116, v84, 0, 16
	v_ashrrev_i32_e32 v115, 31, v114
	v_ashrrev_i32_e32 v117, 31, v116
	v_lshlrev_b64 v[114:115], 1, v[114:115]
	v_lshlrev_b64 v[116:117], 1, v[116:117]
	v_add_co_u32 v114, s35, v6, v114
	v_add_co_ci_u32_e64 v115, null, v7, v115, s35
	v_add_co_u32 v116, s35, v6, v116
	v_add_co_ci_u32_e64 v117, null, v7, v117, s35
	s_clause 0x1
	flat_load_ushort v114, v[114:115]
	flat_load_ushort v115, v[116:117]
	s_waitcnt vmcnt(0) lgkmcnt(0)
	v_cmp_lt_i16_e64 s35, v114, v115
	v_cndmask_b32_e64 v114, v83, v84, s35
	v_cndmask_b32_e64 v84, v84, v83, s35
	v_mov_b32_e32 v83, v114
	s_or_b32 exec_lo, exec_lo, s38
	s_and_saveexec_b32 s38, s59
	s_cbranch_execnz .LBB1044_1088
.LBB1044_1567:
	s_or_b32 exec_lo, exec_lo, s38
	s_and_saveexec_b32 s38, s60
	s_cbranch_execz .LBB1044_1089
.LBB1044_1568:
	v_bfe_i32 v114, v71, 0, 16
	v_bfe_i32 v116, v80, 0, 16
	v_ashrrev_i32_e32 v115, 31, v114
	v_ashrrev_i32_e32 v117, 31, v116
	v_lshlrev_b64 v[114:115], 1, v[114:115]
	v_lshlrev_b64 v[116:117], 1, v[116:117]
	v_add_co_u32 v114, s35, v6, v114
	v_add_co_ci_u32_e64 v115, null, v7, v115, s35
	v_add_co_u32 v116, s35, v6, v116
	v_add_co_ci_u32_e64 v117, null, v7, v117, s35
	s_clause 0x1
	flat_load_ushort v114, v[114:115]
	flat_load_ushort v115, v[116:117]
	s_waitcnt vmcnt(0) lgkmcnt(0)
	v_cmp_lt_i16_e64 s35, v114, v115
	v_cndmask_b32_e64 v114, v71, v80, s35
	v_cndmask_b32_e64 v80, v80, v71, s35
	v_mov_b32_e32 v71, v114
	s_or_b32 exec_lo, exec_lo, s38
	s_and_saveexec_b32 s38, s61
	s_cbranch_execnz .LBB1044_1090
.LBB1044_1569:
	s_or_b32 exec_lo, exec_lo, s38
	s_and_saveexec_b32 s38, s62
	s_cbranch_execz .LBB1044_1091
.LBB1044_1570:
	v_bfe_i32 v114, v67, 0, 16
	v_bfe_i32 v116, v68, 0, 16
	v_ashrrev_i32_e32 v115, 31, v114
	v_ashrrev_i32_e32 v117, 31, v116
	v_lshlrev_b64 v[114:115], 1, v[114:115]
	v_lshlrev_b64 v[116:117], 1, v[116:117]
	v_add_co_u32 v114, s35, v6, v114
	v_add_co_ci_u32_e64 v115, null, v7, v115, s35
	v_add_co_u32 v116, s35, v6, v116
	v_add_co_ci_u32_e64 v117, null, v7, v117, s35
	s_clause 0x1
	flat_load_ushort v114, v[114:115]
	flat_load_ushort v115, v[116:117]
	s_waitcnt vmcnt(0) lgkmcnt(0)
	v_cmp_lt_i16_e64 s35, v114, v115
	v_cndmask_b32_e64 v114, v67, v68, s35
	v_cndmask_b32_e64 v68, v68, v67, s35
	v_mov_b32_e32 v67, v114
	s_or_b32 exec_lo, exec_lo, s38
	s_and_saveexec_b32 s38, s63
	s_cbranch_execnz .LBB1044_1092
.LBB1044_1571:
	s_or_b32 exec_lo, exec_lo, s38
	s_and_saveexec_b32 s38, s72
	s_cbranch_execz .LBB1044_1093
.LBB1044_1572:
	v_bfe_i32 v114, v54, 0, 16
	v_bfe_i32 v116, v55, 0, 16
	v_ashrrev_i32_e32 v115, 31, v114
	v_ashrrev_i32_e32 v117, 31, v116
	v_lshlrev_b64 v[114:115], 1, v[114:115]
	v_lshlrev_b64 v[116:117], 1, v[116:117]
	v_add_co_u32 v114, s35, v6, v114
	v_add_co_ci_u32_e64 v115, null, v7, v115, s35
	v_add_co_u32 v116, s35, v6, v116
	v_add_co_ci_u32_e64 v117, null, v7, v117, s35
	s_clause 0x1
	flat_load_ushort v114, v[114:115]
	flat_load_ushort v115, v[116:117]
	s_waitcnt vmcnt(0) lgkmcnt(0)
	v_cmp_lt_i16_e64 s35, v114, v115
	v_cndmask_b32_e64 v114, v54, v55, s35
	v_cndmask_b32_e64 v55, v55, v54, s35
	v_mov_b32_e32 v54, v114
	s_or_b32 exec_lo, exec_lo, s38
	s_and_saveexec_b32 s38, s73
	s_cbranch_execnz .LBB1044_1094
.LBB1044_1573:
	s_or_b32 exec_lo, exec_lo, s38
	s_and_saveexec_b32 s38, s74
	s_cbranch_execz .LBB1044_1095
.LBB1044_1574:
	v_bfe_i32 v114, v51, 0, 16
	v_bfe_i32 v116, v52, 0, 16
	v_ashrrev_i32_e32 v115, 31, v114
	v_ashrrev_i32_e32 v117, 31, v116
	v_lshlrev_b64 v[114:115], 1, v[114:115]
	v_lshlrev_b64 v[116:117], 1, v[116:117]
	v_add_co_u32 v114, s35, v6, v114
	v_add_co_ci_u32_e64 v115, null, v7, v115, s35
	v_add_co_u32 v116, s35, v6, v116
	v_add_co_ci_u32_e64 v117, null, v7, v117, s35
	s_clause 0x1
	flat_load_ushort v114, v[114:115]
	flat_load_ushort v115, v[116:117]
	s_waitcnt vmcnt(0) lgkmcnt(0)
	v_cmp_lt_i16_e64 s35, v114, v115
	v_cndmask_b32_e64 v114, v52, v51, s35
	v_cndmask_b32_e64 v51, v51, v52, s35
	v_mov_b32_e32 v52, v114
	s_or_b32 exec_lo, exec_lo, s38
	s_and_saveexec_b32 s38, s75
	s_cbranch_execnz .LBB1044_1096
.LBB1044_1575:
	s_or_b32 exec_lo, exec_lo, s38
	s_and_saveexec_b32 s38, s76
	s_cbranch_execz .LBB1044_1097
.LBB1044_1576:
	v_bfe_i32 v114, v48, 0, 16
	v_bfe_i32 v116, v103, 0, 16
	v_ashrrev_i32_e32 v115, 31, v114
	v_ashrrev_i32_e32 v117, 31, v116
	v_lshlrev_b64 v[114:115], 1, v[114:115]
	v_lshlrev_b64 v[116:117], 1, v[116:117]
	v_add_co_u32 v114, s35, v6, v114
	v_add_co_ci_u32_e64 v115, null, v7, v115, s35
	v_add_co_u32 v116, s35, v6, v116
	v_add_co_ci_u32_e64 v117, null, v7, v117, s35
	s_clause 0x1
	flat_load_ushort v114, v[114:115]
	flat_load_ushort v115, v[116:117]
	s_waitcnt vmcnt(0) lgkmcnt(0)
	v_cmp_lt_i16_e64 s35, v114, v115
	v_cndmask_b32_e64 v114, v103, v48, s35
	v_cndmask_b32_e64 v48, v48, v103, s35
	v_mov_b32_e32 v103, v114
	s_or_b32 exec_lo, exec_lo, s38
	s_and_saveexec_b32 s38, s77
	s_cbranch_execnz .LBB1044_1098
.LBB1044_1577:
	s_or_b32 exec_lo, exec_lo, s38
	s_and_saveexec_b32 s38, s78
	s_cbranch_execz .LBB1044_1099
.LBB1044_1578:
	v_bfe_i32 v114, v98, 0, 16
	v_bfe_i32 v116, v100, 0, 16
	v_ashrrev_i32_e32 v115, 31, v114
	v_ashrrev_i32_e32 v117, 31, v116
	v_lshlrev_b64 v[114:115], 1, v[114:115]
	v_lshlrev_b64 v[116:117], 1, v[116:117]
	v_add_co_u32 v114, s35, v6, v114
	v_add_co_ci_u32_e64 v115, null, v7, v115, s35
	v_add_co_u32 v116, s35, v6, v116
	v_add_co_ci_u32_e64 v117, null, v7, v117, s35
	s_clause 0x1
	flat_load_ushort v114, v[114:115]
	flat_load_ushort v115, v[116:117]
	s_waitcnt vmcnt(0) lgkmcnt(0)
	v_cmp_lt_i16_e64 s35, v114, v115
	v_cndmask_b32_e64 v114, v98, v100, s35
	v_cndmask_b32_e64 v100, v100, v98, s35
	v_mov_b32_e32 v98, v114
	s_or_b32 exec_lo, exec_lo, s38
	s_and_saveexec_b32 s38, s79
	s_cbranch_execnz .LBB1044_1100
.LBB1044_1579:
	s_or_b32 exec_lo, exec_lo, s38
	s_and_saveexec_b32 s38, s88
	s_cbranch_execz .LBB1044_1101
.LBB1044_1580:
	v_bfe_i32 v114, v86, 0, 16
	v_bfe_i32 v116, v87, 0, 16
	v_ashrrev_i32_e32 v115, 31, v114
	v_ashrrev_i32_e32 v117, 31, v116
	v_lshlrev_b64 v[114:115], 1, v[114:115]
	v_lshlrev_b64 v[116:117], 1, v[116:117]
	v_add_co_u32 v114, s35, v6, v114
	v_add_co_ci_u32_e64 v115, null, v7, v115, s35
	v_add_co_u32 v116, s35, v6, v116
	v_add_co_ci_u32_e64 v117, null, v7, v117, s35
	s_clause 0x1
	flat_load_ushort v114, v[114:115]
	flat_load_ushort v115, v[116:117]
	s_waitcnt vmcnt(0) lgkmcnt(0)
	v_cmp_lt_i16_e64 s35, v114, v115
	v_cndmask_b32_e64 v114, v86, v87, s35
	v_cndmask_b32_e64 v87, v87, v86, s35
	v_mov_b32_e32 v86, v114
	s_or_b32 exec_lo, exec_lo, s38
	s_and_saveexec_b32 s38, s89
	s_cbranch_execnz .LBB1044_1102
.LBB1044_1581:
	s_or_b32 exec_lo, exec_lo, s38
	s_and_saveexec_b32 s38, s90
	s_cbranch_execz .LBB1044_1103
.LBB1044_1582:
	v_bfe_i32 v114, v82, 0, 16
	v_bfe_i32 v116, v83, 0, 16
	v_ashrrev_i32_e32 v115, 31, v114
	v_ashrrev_i32_e32 v117, 31, v116
	v_lshlrev_b64 v[114:115], 1, v[114:115]
	v_lshlrev_b64 v[116:117], 1, v[116:117]
	v_add_co_u32 v114, s35, v6, v114
	v_add_co_ci_u32_e64 v115, null, v7, v115, s35
	v_add_co_u32 v116, s35, v6, v116
	v_add_co_ci_u32_e64 v117, null, v7, v117, s35
	s_clause 0x1
	flat_load_ushort v114, v[114:115]
	flat_load_ushort v115, v[116:117]
	s_waitcnt vmcnt(0) lgkmcnt(0)
	v_cmp_lt_i16_e64 s35, v114, v115
	v_cndmask_b32_e64 v114, v82, v83, s35
	v_cndmask_b32_e64 v83, v83, v82, s35
	v_mov_b32_e32 v82, v114
	s_or_b32 exec_lo, exec_lo, s38
	s_and_saveexec_b32 s38, s91
	s_cbranch_execnz .LBB1044_1104
.LBB1044_1583:
	s_or_b32 exec_lo, exec_lo, s38
	s_and_saveexec_b32 s38, s92
	s_cbranch_execz .LBB1044_1105
.LBB1044_1584:
	v_bfe_i32 v114, v70, 0, 16
	v_bfe_i32 v116, v71, 0, 16
	v_ashrrev_i32_e32 v115, 31, v114
	v_ashrrev_i32_e32 v117, 31, v116
	v_lshlrev_b64 v[114:115], 1, v[114:115]
	v_lshlrev_b64 v[116:117], 1, v[116:117]
	v_add_co_u32 v114, s35, v6, v114
	v_add_co_ci_u32_e64 v115, null, v7, v115, s35
	v_add_co_u32 v116, s35, v6, v116
	v_add_co_ci_u32_e64 v117, null, v7, v117, s35
	s_clause 0x1
	flat_load_ushort v114, v[114:115]
	flat_load_ushort v115, v[116:117]
	s_waitcnt vmcnt(0) lgkmcnt(0)
	v_cmp_lt_i16_e64 s35, v114, v115
	v_cndmask_b32_e64 v114, v70, v71, s35
	v_cndmask_b32_e64 v71, v71, v70, s35
	v_mov_b32_e32 v70, v114
	s_or_b32 exec_lo, exec_lo, s38
	s_and_saveexec_b32 s38, s93
	s_cbranch_execnz .LBB1044_1106
.LBB1044_1585:
	s_or_b32 exec_lo, exec_lo, s38
	s_and_saveexec_b32 s38, s94
	s_cbranch_execz .LBB1044_1107
.LBB1044_1586:
	v_bfe_i32 v114, v66, 0, 16
	v_bfe_i32 v116, v67, 0, 16
	v_ashrrev_i32_e32 v115, 31, v114
	v_ashrrev_i32_e32 v117, 31, v116
	v_lshlrev_b64 v[114:115], 1, v[114:115]
	v_lshlrev_b64 v[116:117], 1, v[116:117]
	v_add_co_u32 v114, s35, v6, v114
	v_add_co_ci_u32_e64 v115, null, v7, v115, s35
	v_add_co_u32 v116, s35, v6, v116
	v_add_co_ci_u32_e64 v117, null, v7, v117, s35
	s_clause 0x1
	flat_load_ushort v114, v[114:115]
	flat_load_ushort v115, v[116:117]
	s_waitcnt vmcnt(0) lgkmcnt(0)
	v_cmp_lt_i16_e64 s35, v114, v115
	v_cndmask_b32_e64 v114, v66, v67, s35
	v_cndmask_b32_e64 v67, v67, v66, s35
	v_mov_b32_e32 v66, v114
	s_or_b32 exec_lo, exec_lo, s38
	s_and_saveexec_b32 s38, s95
	s_cbranch_execnz .LBB1044_1108
.LBB1044_1587:
	s_or_b32 exec_lo, exec_lo, s38
	s_and_saveexec_b32 s38, vcc_hi
	s_cbranch_execz .LBB1044_1109
.LBB1044_1588:
	v_bfe_i32 v114, v53, 0, 16
	v_bfe_i32 v116, v54, 0, 16
	v_ashrrev_i32_e32 v115, 31, v114
	v_ashrrev_i32_e32 v117, 31, v116
	v_lshlrev_b64 v[114:115], 1, v[114:115]
	v_lshlrev_b64 v[116:117], 1, v[116:117]
	v_add_co_u32 v114, s35, v6, v114
	v_add_co_ci_u32_e64 v115, null, v7, v115, s35
	v_add_co_u32 v116, s35, v6, v116
	v_add_co_ci_u32_e64 v117, null, v7, v117, s35
	s_clause 0x1
	flat_load_ushort v114, v[114:115]
	flat_load_ushort v115, v[116:117]
	s_waitcnt vmcnt(0) lgkmcnt(0)
	v_cmp_lt_i16_e64 s35, v114, v115
	v_cndmask_b32_e64 v114, v53, v54, s35
	v_cndmask_b32_e64 v54, v54, v53, s35
	v_mov_b32_e32 v53, v114
	s_or_b32 exec_lo, exec_lo, s38
	s_and_saveexec_b32 s38, s30
	s_cbranch_execnz .LBB1044_1110
.LBB1044_1589:
	s_or_b32 exec_lo, exec_lo, s38
	s_and_saveexec_b32 s38, s31
	s_cbranch_execz .LBB1044_1111
.LBB1044_1590:
	v_bfe_i32 v114, v50, 0, 16
	v_bfe_i32 v116, v51, 0, 16
	v_ashrrev_i32_e32 v115, 31, v114
	v_ashrrev_i32_e32 v117, 31, v116
	v_lshlrev_b64 v[114:115], 1, v[114:115]
	v_lshlrev_b64 v[116:117], 1, v[116:117]
	v_add_co_u32 v114, s35, v6, v114
	v_add_co_ci_u32_e64 v115, null, v7, v115, s35
	v_add_co_u32 v116, s35, v6, v116
	v_add_co_ci_u32_e64 v117, null, v7, v117, s35
	s_clause 0x1
	flat_load_ushort v114, v[114:115]
	flat_load_ushort v115, v[116:117]
	s_waitcnt vmcnt(0) lgkmcnt(0)
	v_cmp_lt_i16_e64 s35, v114, v115
	v_cndmask_b32_e64 v114, v51, v50, s35
	v_cndmask_b32_e64 v50, v50, v51, s35
	v_mov_b32_e32 v51, v114
	s_or_b32 exec_lo, exec_lo, s38
	s_and_saveexec_b32 s38, s34
	s_cbranch_execnz .LBB1044_1112
.LBB1044_1591:
	s_or_b32 exec_lo, exec_lo, s38
	s_and_saveexec_b32 s38, s8
	s_cbranch_execz .LBB1044_1113
.LBB1044_1592:
	v_bfe_i32 v114, v102, 0, 16
	v_bfe_i32 v116, v99, 0, 16
	v_ashrrev_i32_e32 v115, 31, v114
	v_ashrrev_i32_e32 v117, 31, v116
	v_lshlrev_b64 v[114:115], 1, v[114:115]
	v_lshlrev_b64 v[116:117], 1, v[116:117]
	v_add_co_u32 v114, s35, v6, v114
	v_add_co_ci_u32_e64 v115, null, v7, v115, s35
	v_add_co_u32 v116, s35, v6, v116
	v_add_co_ci_u32_e64 v117, null, v7, v117, s35
	s_clause 0x1
	flat_load_ushort v114, v[114:115]
	flat_load_ushort v115, v[116:117]
	s_waitcnt vmcnt(0) lgkmcnt(0)
	v_cmp_lt_i16_e64 s35, v114, v115
	v_cndmask_b32_e64 v114, v102, v99, s35
	v_cndmask_b32_e64 v99, v99, v102, s35
	v_mov_b32_e32 v102, v114
	s_or_b32 exec_lo, exec_lo, s38
	s_and_saveexec_b32 s38, s9
	s_cbranch_execnz .LBB1044_1114
.LBB1044_1593:
	s_or_b32 exec_lo, exec_lo, s38
	s_and_saveexec_b32 s38, s12
	s_cbranch_execz .LBB1044_1115
.LBB1044_1594:
	v_bfe_i32 v114, v97, 0, 16
	v_bfe_i32 v116, v98, 0, 16
	v_ashrrev_i32_e32 v115, 31, v114
	v_ashrrev_i32_e32 v117, 31, v116
	v_lshlrev_b64 v[114:115], 1, v[114:115]
	v_lshlrev_b64 v[116:117], 1, v[116:117]
	v_add_co_u32 v114, s35, v6, v114
	v_add_co_ci_u32_e64 v115, null, v7, v115, s35
	v_add_co_u32 v116, s35, v6, v116
	v_add_co_ci_u32_e64 v117, null, v7, v117, s35
	s_clause 0x1
	flat_load_ushort v114, v[114:115]
	flat_load_ushort v115, v[116:117]
	s_waitcnt vmcnt(0) lgkmcnt(0)
	v_cmp_lt_i16_e64 s35, v114, v115
	v_cndmask_b32_e64 v114, v97, v98, s35
	v_cndmask_b32_e64 v98, v98, v97, s35
	v_mov_b32_e32 v97, v114
	s_or_b32 exec_lo, exec_lo, s38
	s_and_saveexec_b32 s38, s13
	s_cbranch_execnz .LBB1044_1116
.LBB1044_1595:
	s_or_b32 exec_lo, exec_lo, s38
	s_and_saveexec_b32 s38, s57
	s_cbranch_execz .LBB1044_1117
.LBB1044_1596:
	v_bfe_i32 v114, v85, 0, 16
	v_bfe_i32 v116, v86, 0, 16
	v_ashrrev_i32_e32 v115, 31, v114
	v_ashrrev_i32_e32 v117, 31, v116
	v_lshlrev_b64 v[114:115], 1, v[114:115]
	v_lshlrev_b64 v[116:117], 1, v[116:117]
	v_add_co_u32 v114, s35, v6, v114
	v_add_co_ci_u32_e64 v115, null, v7, v115, s35
	v_add_co_u32 v116, s35, v6, v116
	v_add_co_ci_u32_e64 v117, null, v7, v117, s35
	s_clause 0x1
	flat_load_ushort v114, v[114:115]
	flat_load_ushort v115, v[116:117]
	s_waitcnt vmcnt(0) lgkmcnt(0)
	v_cmp_lt_i16_e64 s35, v114, v115
	v_cndmask_b32_e64 v114, v85, v86, s35
	v_cndmask_b32_e64 v86, v86, v85, s35
	v_mov_b32_e32 v85, v114
	s_or_b32 exec_lo, exec_lo, s38
	s_and_saveexec_b32 s38, s58
	s_cbranch_execnz .LBB1044_1118
.LBB1044_1597:
	s_or_b32 exec_lo, exec_lo, s38
	s_and_saveexec_b32 s38, s59
	s_cbranch_execz .LBB1044_1119
.LBB1044_1598:
	v_bfe_i32 v114, v81, 0, 16
	v_bfe_i32 v116, v82, 0, 16
	v_ashrrev_i32_e32 v115, 31, v114
	v_ashrrev_i32_e32 v117, 31, v116
	v_lshlrev_b64 v[114:115], 1, v[114:115]
	v_lshlrev_b64 v[116:117], 1, v[116:117]
	v_add_co_u32 v114, s35, v6, v114
	v_add_co_ci_u32_e64 v115, null, v7, v115, s35
	v_add_co_u32 v116, s35, v6, v116
	v_add_co_ci_u32_e64 v117, null, v7, v117, s35
	s_clause 0x1
	flat_load_ushort v114, v[114:115]
	flat_load_ushort v115, v[116:117]
	s_waitcnt vmcnt(0) lgkmcnt(0)
	v_cmp_lt_i16_e64 s35, v114, v115
	v_cndmask_b32_e64 v114, v81, v82, s35
	v_cndmask_b32_e64 v82, v82, v81, s35
	v_mov_b32_e32 v81, v114
	s_or_b32 exec_lo, exec_lo, s38
	s_and_saveexec_b32 s38, s60
	s_cbranch_execnz .LBB1044_1120
.LBB1044_1599:
	s_or_b32 exec_lo, exec_lo, s38
	s_and_saveexec_b32 s38, s61
	s_cbranch_execz .LBB1044_1121
.LBB1044_1600:
	v_bfe_i32 v114, v69, 0, 16
	v_bfe_i32 v116, v70, 0, 16
	v_ashrrev_i32_e32 v115, 31, v114
	v_ashrrev_i32_e32 v117, 31, v116
	v_lshlrev_b64 v[114:115], 1, v[114:115]
	v_lshlrev_b64 v[116:117], 1, v[116:117]
	v_add_co_u32 v114, s35, v6, v114
	v_add_co_ci_u32_e64 v115, null, v7, v115, s35
	v_add_co_u32 v116, s35, v6, v116
	v_add_co_ci_u32_e64 v117, null, v7, v117, s35
	s_clause 0x1
	flat_load_ushort v114, v[114:115]
	flat_load_ushort v115, v[116:117]
	s_waitcnt vmcnt(0) lgkmcnt(0)
	v_cmp_lt_i16_e64 s35, v114, v115
	v_cndmask_b32_e64 v114, v69, v70, s35
	v_cndmask_b32_e64 v70, v70, v69, s35
	v_mov_b32_e32 v69, v114
	s_or_b32 exec_lo, exec_lo, s38
	s_and_saveexec_b32 s38, s62
	s_cbranch_execnz .LBB1044_1122
.LBB1044_1601:
	s_or_b32 exec_lo, exec_lo, s38
	s_and_saveexec_b32 s38, s63
	s_cbranch_execz .LBB1044_1123
.LBB1044_1602:
	v_bfe_i32 v114, v65, 0, 16
	v_bfe_i32 v116, v66, 0, 16
	v_ashrrev_i32_e32 v115, 31, v114
	v_ashrrev_i32_e32 v117, 31, v116
	v_lshlrev_b64 v[114:115], 1, v[114:115]
	v_lshlrev_b64 v[116:117], 1, v[116:117]
	v_add_co_u32 v114, s35, v6, v114
	v_add_co_ci_u32_e64 v115, null, v7, v115, s35
	v_add_co_u32 v116, s35, v6, v116
	v_add_co_ci_u32_e64 v117, null, v7, v117, s35
	s_clause 0x1
	flat_load_ushort v114, v[114:115]
	flat_load_ushort v115, v[116:117]
	s_waitcnt vmcnt(0) lgkmcnt(0)
	v_cmp_lt_i16_e64 s35, v114, v115
	v_cndmask_b32_e64 v114, v65, v66, s35
	v_cndmask_b32_e64 v66, v66, v65, s35
	v_mov_b32_e32 v65, v114
	s_or_b32 exec_lo, exec_lo, s38
	s_and_saveexec_b32 s38, s72
	s_cbranch_execnz .LBB1044_1124
.LBB1044_1603:
	s_or_b32 exec_lo, exec_lo, s38
	s_and_saveexec_b32 s38, s73
	s_cbranch_execz .LBB1044_1125
.LBB1044_1604:
	v_bfe_i32 v114, v64, 0, 16
	v_bfe_i32 v116, v53, 0, 16
	v_ashrrev_i32_e32 v115, 31, v114
	v_ashrrev_i32_e32 v117, 31, v116
	v_lshlrev_b64 v[114:115], 1, v[114:115]
	v_lshlrev_b64 v[116:117], 1, v[116:117]
	v_add_co_u32 v114, s35, v6, v114
	v_add_co_ci_u32_e64 v115, null, v7, v115, s35
	v_add_co_u32 v116, s35, v6, v116
	v_add_co_ci_u32_e64 v117, null, v7, v117, s35
	s_clause 0x1
	flat_load_ushort v114, v[114:115]
	flat_load_ushort v115, v[116:117]
	s_waitcnt vmcnt(0) lgkmcnt(0)
	v_cmp_lt_i16_e64 s35, v114, v115
	v_cndmask_b32_e64 v114, v64, v53, s35
	v_cndmask_b32_e64 v53, v53, v64, s35
	v_mov_b32_e32 v64, v114
	s_or_b32 exec_lo, exec_lo, s38
	s_and_saveexec_b32 s38, s74
	s_cbranch_execnz .LBB1044_1126
.LBB1044_1605:
	s_or_b32 exec_lo, exec_lo, s38
	s_and_saveexec_b32 s38, s75
	s_cbranch_execz .LBB1044_1127
.LBB1044_1606:
	v_bfe_i32 v114, v49, 0, 16
	v_bfe_i32 v116, v50, 0, 16
	v_ashrrev_i32_e32 v115, 31, v114
	v_ashrrev_i32_e32 v117, 31, v116
	v_lshlrev_b64 v[114:115], 1, v[114:115]
	v_lshlrev_b64 v[116:117], 1, v[116:117]
	v_add_co_u32 v114, s35, v6, v114
	v_add_co_ci_u32_e64 v115, null, v7, v115, s35
	v_add_co_u32 v116, s35, v6, v116
	v_add_co_ci_u32_e64 v117, null, v7, v117, s35
	s_clause 0x1
	flat_load_ushort v114, v[114:115]
	flat_load_ushort v115, v[116:117]
	s_waitcnt vmcnt(0) lgkmcnt(0)
	v_cmp_lt_i16_e64 s35, v114, v115
	v_cndmask_b32_e64 v114, v50, v49, s35
	v_cndmask_b32_e64 v49, v49, v50, s35
	v_mov_b32_e32 v50, v114
	s_or_b32 exec_lo, exec_lo, s38
	s_and_saveexec_b32 s38, s76
	s_cbranch_execnz .LBB1044_1128
.LBB1044_1607:
	s_or_b32 exec_lo, exec_lo, s38
	s_and_saveexec_b32 s38, s77
	s_cbranch_execz .LBB1044_1129
.LBB1044_1608:
	v_bfe_i32 v114, v101, 0, 16
	v_bfe_i32 v116, v102, 0, 16
	v_ashrrev_i32_e32 v115, 31, v114
	v_ashrrev_i32_e32 v117, 31, v116
	v_lshlrev_b64 v[114:115], 1, v[114:115]
	v_lshlrev_b64 v[116:117], 1, v[116:117]
	v_add_co_u32 v114, s35, v6, v114
	v_add_co_ci_u32_e64 v115, null, v7, v115, s35
	v_add_co_u32 v116, s35, v6, v116
	v_add_co_ci_u32_e64 v117, null, v7, v117, s35
	s_clause 0x1
	flat_load_ushort v114, v[114:115]
	flat_load_ushort v115, v[116:117]
	s_waitcnt vmcnt(0) lgkmcnt(0)
	v_cmp_lt_i16_e64 s35, v114, v115
	v_cndmask_b32_e64 v114, v101, v102, s35
	v_cndmask_b32_e64 v102, v102, v101, s35
	v_mov_b32_e32 v101, v114
	s_or_b32 exec_lo, exec_lo, s38
	s_and_saveexec_b32 s38, s78
	s_cbranch_execnz .LBB1044_1130
.LBB1044_1609:
	s_or_b32 exec_lo, exec_lo, s38
	s_and_saveexec_b32 s38, s79
	s_cbranch_execz .LBB1044_1131
.LBB1044_1610:
	v_bfe_i32 v114, v96, 0, 16
	v_bfe_i32 v116, v97, 0, 16
	v_ashrrev_i32_e32 v115, 31, v114
	v_ashrrev_i32_e32 v117, 31, v116
	v_lshlrev_b64 v[114:115], 1, v[114:115]
	v_lshlrev_b64 v[116:117], 1, v[116:117]
	v_add_co_u32 v114, s35, v6, v114
	v_add_co_ci_u32_e64 v115, null, v7, v115, s35
	v_add_co_u32 v116, s35, v6, v116
	v_add_co_ci_u32_e64 v117, null, v7, v117, s35
	s_clause 0x1
	flat_load_ushort v114, v[114:115]
	flat_load_ushort v115, v[116:117]
	s_waitcnt vmcnt(0) lgkmcnt(0)
	v_cmp_lt_i16_e64 s35, v114, v115
	v_cndmask_b32_e64 v114, v96, v97, s35
	v_cndmask_b32_e64 v97, v97, v96, s35
	v_mov_b32_e32 v96, v114
	s_or_b32 exec_lo, exec_lo, s38
	s_and_saveexec_b32 s38, s88
	s_cbranch_execnz .LBB1044_1132
.LBB1044_1611:
	s_or_b32 exec_lo, exec_lo, s38
	s_and_saveexec_b32 s38, s89
	s_cbranch_execz .LBB1044_1133
.LBB1044_1612:
	v_bfe_i32 v114, v84, 0, 16
	v_bfe_i32 v116, v85, 0, 16
	v_ashrrev_i32_e32 v115, 31, v114
	v_ashrrev_i32_e32 v117, 31, v116
	v_lshlrev_b64 v[114:115], 1, v[114:115]
	v_lshlrev_b64 v[116:117], 1, v[116:117]
	v_add_co_u32 v114, s35, v6, v114
	v_add_co_ci_u32_e64 v115, null, v7, v115, s35
	v_add_co_u32 v116, s35, v6, v116
	v_add_co_ci_u32_e64 v117, null, v7, v117, s35
	s_clause 0x1
	flat_load_ushort v114, v[114:115]
	flat_load_ushort v115, v[116:117]
	s_waitcnt vmcnt(0) lgkmcnt(0)
	v_cmp_lt_i16_e64 s35, v114, v115
	v_cndmask_b32_e64 v114, v84, v85, s35
	v_cndmask_b32_e64 v85, v85, v84, s35
	v_mov_b32_e32 v84, v114
	s_or_b32 exec_lo, exec_lo, s38
	s_and_saveexec_b32 s38, s90
	s_cbranch_execnz .LBB1044_1134
.LBB1044_1613:
	s_or_b32 exec_lo, exec_lo, s38
	s_and_saveexec_b32 s38, s91
	s_cbranch_execz .LBB1044_1135
.LBB1044_1614:
	v_bfe_i32 v114, v80, 0, 16
	v_bfe_i32 v116, v81, 0, 16
	v_ashrrev_i32_e32 v115, 31, v114
	v_ashrrev_i32_e32 v117, 31, v116
	v_lshlrev_b64 v[114:115], 1, v[114:115]
	v_lshlrev_b64 v[116:117], 1, v[116:117]
	v_add_co_u32 v114, s35, v6, v114
	v_add_co_ci_u32_e64 v115, null, v7, v115, s35
	v_add_co_u32 v116, s35, v6, v116
	v_add_co_ci_u32_e64 v117, null, v7, v117, s35
	s_clause 0x1
	flat_load_ushort v114, v[114:115]
	flat_load_ushort v115, v[116:117]
	s_waitcnt vmcnt(0) lgkmcnt(0)
	v_cmp_lt_i16_e64 s35, v114, v115
	v_cndmask_b32_e64 v114, v80, v81, s35
	v_cndmask_b32_e64 v81, v81, v80, s35
	v_mov_b32_e32 v80, v114
	s_or_b32 exec_lo, exec_lo, s38
	s_and_saveexec_b32 s38, s92
	s_cbranch_execnz .LBB1044_1136
.LBB1044_1615:
	s_or_b32 exec_lo, exec_lo, s38
	s_and_saveexec_b32 s38, s93
	s_cbranch_execz .LBB1044_1137
.LBB1044_1616:
	v_bfe_i32 v114, v68, 0, 16
	v_bfe_i32 v116, v69, 0, 16
	v_ashrrev_i32_e32 v115, 31, v114
	v_ashrrev_i32_e32 v117, 31, v116
	v_lshlrev_b64 v[114:115], 1, v[114:115]
	v_lshlrev_b64 v[116:117], 1, v[116:117]
	v_add_co_u32 v114, s35, v6, v114
	v_add_co_ci_u32_e64 v115, null, v7, v115, s35
	v_add_co_u32 v116, s35, v6, v116
	v_add_co_ci_u32_e64 v117, null, v7, v117, s35
	s_clause 0x1
	flat_load_ushort v114, v[114:115]
	flat_load_ushort v115, v[116:117]
	s_waitcnt vmcnt(0) lgkmcnt(0)
	v_cmp_lt_i16_e64 s35, v114, v115
	v_cndmask_b32_e64 v114, v68, v69, s35
	v_cndmask_b32_e64 v69, v69, v68, s35
	v_mov_b32_e32 v68, v114
	s_or_b32 exec_lo, exec_lo, s38
	s_and_saveexec_b32 s38, s94
	s_cbranch_execnz .LBB1044_1138
.LBB1044_1617:
	s_or_b32 exec_lo, exec_lo, s38
	s_and_saveexec_b32 s38, s95
	s_cbranch_execz .LBB1044_1139
.LBB1044_1618:
	v_bfe_i32 v114, v55, 0, 16
	v_bfe_i32 v116, v65, 0, 16
	v_ashrrev_i32_e32 v115, 31, v114
	v_ashrrev_i32_e32 v117, 31, v116
	v_lshlrev_b64 v[114:115], 1, v[114:115]
	v_lshlrev_b64 v[116:117], 1, v[116:117]
	v_add_co_u32 v114, s35, v6, v114
	v_add_co_ci_u32_e64 v115, null, v7, v115, s35
	v_add_co_u32 v116, s35, v6, v116
	v_add_co_ci_u32_e64 v117, null, v7, v117, s35
	s_clause 0x1
	flat_load_ushort v114, v[114:115]
	flat_load_ushort v115, v[116:117]
	s_waitcnt vmcnt(0) lgkmcnt(0)
	v_cmp_lt_i16_e64 s35, v114, v115
	v_cndmask_b32_e64 v114, v55, v65, s35
	v_cndmask_b32_e64 v65, v65, v55, s35
	v_mov_b32_e32 v55, v114
	s_or_b32 exec_lo, exec_lo, s38
	s_and_saveexec_b32 s38, vcc_hi
	s_cbranch_execnz .LBB1044_1140
.LBB1044_1619:
	s_or_b32 exec_lo, exec_lo, s38
	s_and_saveexec_b32 s38, s30
	s_cbranch_execz .LBB1044_1141
.LBB1044_1620:
	v_bfe_i32 v114, v52, 0, 16
	v_bfe_i32 v116, v64, 0, 16
	v_ashrrev_i32_e32 v115, 31, v114
	v_ashrrev_i32_e32 v117, 31, v116
	v_lshlrev_b64 v[114:115], 1, v[114:115]
	v_lshlrev_b64 v[116:117], 1, v[116:117]
	v_add_co_u32 v114, s35, v6, v114
	v_add_co_ci_u32_e64 v115, null, v7, v115, s35
	v_add_co_u32 v116, s35, v6, v116
	v_add_co_ci_u32_e64 v117, null, v7, v117, s35
	s_clause 0x1
	flat_load_ushort v114, v[114:115]
	flat_load_ushort v115, v[116:117]
	s_waitcnt vmcnt(0) lgkmcnt(0)
	v_cmp_lt_i16_e64 s35, v114, v115
	v_cndmask_b32_e64 v114, v64, v52, s35
	v_cndmask_b32_e64 v52, v52, v64, s35
	v_mov_b32_e32 v64, v114
	s_or_b32 exec_lo, exec_lo, s38
	s_and_saveexec_b32 s38, s31
	s_cbranch_execnz .LBB1044_1142
.LBB1044_1621:
	s_or_b32 exec_lo, exec_lo, s38
	s_and_saveexec_b32 s38, s34
	s_cbranch_execz .LBB1044_1143
.LBB1044_1622:
	v_bfe_i32 v114, v103, 0, 16
	v_bfe_i32 v116, v49, 0, 16
	v_ashrrev_i32_e32 v115, 31, v114
	v_ashrrev_i32_e32 v117, 31, v116
	v_lshlrev_b64 v[114:115], 1, v[114:115]
	v_lshlrev_b64 v[116:117], 1, v[116:117]
	v_add_co_u32 v114, s35, v6, v114
	v_add_co_ci_u32_e64 v115, null, v7, v115, s35
	v_add_co_u32 v116, s35, v6, v116
	v_add_co_ci_u32_e64 v117, null, v7, v117, s35
	s_clause 0x1
	flat_load_ushort v114, v[114:115]
	flat_load_ushort v115, v[116:117]
	s_waitcnt vmcnt(0) lgkmcnt(0)
	v_cmp_lt_i16_e64 s35, v114, v115
	v_cndmask_b32_e64 v114, v49, v103, s35
	v_cndmask_b32_e64 v103, v103, v49, s35
	v_mov_b32_e32 v49, v114
	s_or_b32 exec_lo, exec_lo, s38
	s_and_saveexec_b32 s38, s8
	s_cbranch_execnz .LBB1044_1144
.LBB1044_1623:
	s_or_b32 exec_lo, exec_lo, s38
	s_and_saveexec_b32 s38, s9
	s_cbranch_execz .LBB1044_1145
.LBB1044_1624:
	v_bfe_i32 v114, v100, 0, 16
	v_bfe_i32 v116, v101, 0, 16
	v_ashrrev_i32_e32 v115, 31, v114
	v_ashrrev_i32_e32 v117, 31, v116
	v_lshlrev_b64 v[114:115], 1, v[114:115]
	v_lshlrev_b64 v[116:117], 1, v[116:117]
	v_add_co_u32 v114, s35, v6, v114
	v_add_co_ci_u32_e64 v115, null, v7, v115, s35
	v_add_co_u32 v116, s35, v6, v116
	v_add_co_ci_u32_e64 v117, null, v7, v117, s35
	s_clause 0x1
	flat_load_ushort v114, v[114:115]
	flat_load_ushort v115, v[116:117]
	s_waitcnt vmcnt(0) lgkmcnt(0)
	v_cmp_lt_i16_e64 s35, v114, v115
	v_cndmask_b32_e64 v114, v100, v101, s35
	v_cndmask_b32_e64 v101, v101, v100, s35
	v_mov_b32_e32 v100, v114
	s_or_b32 exec_lo, exec_lo, s38
	s_and_saveexec_b32 s38, s12
	s_cbranch_execnz .LBB1044_1146
.LBB1044_1625:
	s_or_b32 exec_lo, exec_lo, s38
	s_and_saveexec_b32 s38, s13
	s_cbranch_execz .LBB1044_1147
.LBB1044_1626:
	v_bfe_i32 v114, v87, 0, 16
	v_bfe_i32 v116, v96, 0, 16
	v_ashrrev_i32_e32 v115, 31, v114
	v_ashrrev_i32_e32 v117, 31, v116
	v_lshlrev_b64 v[114:115], 1, v[114:115]
	v_lshlrev_b64 v[116:117], 1, v[116:117]
	v_add_co_u32 v114, s35, v6, v114
	v_add_co_ci_u32_e64 v115, null, v7, v115, s35
	v_add_co_u32 v116, s35, v6, v116
	v_add_co_ci_u32_e64 v117, null, v7, v117, s35
	s_clause 0x1
	flat_load_ushort v114, v[114:115]
	flat_load_ushort v115, v[116:117]
	s_waitcnt vmcnt(0) lgkmcnt(0)
	v_cmp_lt_i16_e64 s35, v114, v115
	v_cndmask_b32_e64 v114, v87, v96, s35
	v_cndmask_b32_e64 v96, v96, v87, s35
	v_mov_b32_e32 v87, v114
	s_or_b32 exec_lo, exec_lo, s38
	s_and_saveexec_b32 s38, s57
	s_cbranch_execnz .LBB1044_1148
.LBB1044_1627:
	s_or_b32 exec_lo, exec_lo, s38
	s_and_saveexec_b32 s38, s58
	s_cbranch_execz .LBB1044_1149
.LBB1044_1628:
	v_bfe_i32 v114, v83, 0, 16
	v_bfe_i32 v116, v84, 0, 16
	v_ashrrev_i32_e32 v115, 31, v114
	v_ashrrev_i32_e32 v117, 31, v116
	v_lshlrev_b64 v[114:115], 1, v[114:115]
	v_lshlrev_b64 v[116:117], 1, v[116:117]
	v_add_co_u32 v114, s35, v6, v114
	v_add_co_ci_u32_e64 v115, null, v7, v115, s35
	v_add_co_u32 v116, s35, v6, v116
	v_add_co_ci_u32_e64 v117, null, v7, v117, s35
	s_clause 0x1
	flat_load_ushort v114, v[114:115]
	flat_load_ushort v115, v[116:117]
	s_waitcnt vmcnt(0) lgkmcnt(0)
	v_cmp_lt_i16_e64 s35, v114, v115
	v_cndmask_b32_e64 v114, v83, v84, s35
	v_cndmask_b32_e64 v84, v84, v83, s35
	v_mov_b32_e32 v83, v114
	s_or_b32 exec_lo, exec_lo, s38
	s_and_saveexec_b32 s38, s59
	s_cbranch_execnz .LBB1044_1150
.LBB1044_1629:
	s_or_b32 exec_lo, exec_lo, s38
	s_and_saveexec_b32 s38, s60
	s_cbranch_execz .LBB1044_1151
.LBB1044_1630:
	v_bfe_i32 v114, v71, 0, 16
	v_bfe_i32 v116, v80, 0, 16
	v_ashrrev_i32_e32 v115, 31, v114
	v_ashrrev_i32_e32 v117, 31, v116
	v_lshlrev_b64 v[114:115], 1, v[114:115]
	v_lshlrev_b64 v[116:117], 1, v[116:117]
	v_add_co_u32 v114, s35, v6, v114
	v_add_co_ci_u32_e64 v115, null, v7, v115, s35
	v_add_co_u32 v116, s35, v6, v116
	v_add_co_ci_u32_e64 v117, null, v7, v117, s35
	s_clause 0x1
	flat_load_ushort v114, v[114:115]
	flat_load_ushort v115, v[116:117]
	s_waitcnt vmcnt(0) lgkmcnt(0)
	v_cmp_lt_i16_e64 s35, v114, v115
	v_cndmask_b32_e64 v114, v71, v80, s35
	v_cndmask_b32_e64 v80, v80, v71, s35
	v_mov_b32_e32 v71, v114
	s_or_b32 exec_lo, exec_lo, s38
	s_and_saveexec_b32 s38, s61
	s_cbranch_execnz .LBB1044_1152
.LBB1044_1631:
	s_or_b32 exec_lo, exec_lo, s38
	s_and_saveexec_b32 s38, s62
	s_cbranch_execz .LBB1044_1153
.LBB1044_1632:
	v_bfe_i32 v114, v67, 0, 16
	v_bfe_i32 v116, v68, 0, 16
	v_ashrrev_i32_e32 v115, 31, v114
	v_ashrrev_i32_e32 v117, 31, v116
	v_lshlrev_b64 v[114:115], 1, v[114:115]
	v_lshlrev_b64 v[116:117], 1, v[116:117]
	v_add_co_u32 v114, s35, v6, v114
	v_add_co_ci_u32_e64 v115, null, v7, v115, s35
	v_add_co_u32 v116, s35, v6, v116
	v_add_co_ci_u32_e64 v117, null, v7, v117, s35
	s_clause 0x1
	flat_load_ushort v114, v[114:115]
	flat_load_ushort v115, v[116:117]
	s_waitcnt vmcnt(0) lgkmcnt(0)
	v_cmp_lt_i16_e64 s35, v114, v115
	v_cndmask_b32_e64 v114, v67, v68, s35
	v_cndmask_b32_e64 v68, v68, v67, s35
	v_mov_b32_e32 v67, v114
	s_or_b32 exec_lo, exec_lo, s38
	s_and_saveexec_b32 s38, s63
	s_cbranch_execnz .LBB1044_1154
.LBB1044_1633:
	s_or_b32 exec_lo, exec_lo, s38
	s_and_saveexec_b32 s38, s72
	s_cbranch_execz .LBB1044_1155
.LBB1044_1634:
	v_bfe_i32 v114, v54, 0, 16
	v_bfe_i32 v116, v55, 0, 16
	v_ashrrev_i32_e32 v115, 31, v114
	v_ashrrev_i32_e32 v117, 31, v116
	v_lshlrev_b64 v[114:115], 1, v[114:115]
	v_lshlrev_b64 v[116:117], 1, v[116:117]
	v_add_co_u32 v114, s35, v6, v114
	v_add_co_ci_u32_e64 v115, null, v7, v115, s35
	v_add_co_u32 v116, s35, v6, v116
	v_add_co_ci_u32_e64 v117, null, v7, v117, s35
	s_clause 0x1
	flat_load_ushort v114, v[114:115]
	flat_load_ushort v115, v[116:117]
	s_waitcnt vmcnt(0) lgkmcnt(0)
	v_cmp_lt_i16_e64 s35, v114, v115
	v_cndmask_b32_e64 v114, v54, v55, s35
	v_cndmask_b32_e64 v55, v55, v54, s35
	v_mov_b32_e32 v54, v114
	s_or_b32 exec_lo, exec_lo, s38
	s_and_saveexec_b32 s38, s73
	s_cbranch_execnz .LBB1044_1156
.LBB1044_1635:
	s_or_b32 exec_lo, exec_lo, s38
	s_and_saveexec_b32 s38, s74
	s_cbranch_execz .LBB1044_1157
.LBB1044_1636:
	v_bfe_i32 v114, v51, 0, 16
	v_bfe_i32 v116, v52, 0, 16
	v_ashrrev_i32_e32 v115, 31, v114
	v_ashrrev_i32_e32 v117, 31, v116
	v_lshlrev_b64 v[114:115], 1, v[114:115]
	v_lshlrev_b64 v[116:117], 1, v[116:117]
	v_add_co_u32 v114, s35, v6, v114
	v_add_co_ci_u32_e64 v115, null, v7, v115, s35
	v_add_co_u32 v116, s35, v6, v116
	v_add_co_ci_u32_e64 v117, null, v7, v117, s35
	s_clause 0x1
	flat_load_ushort v114, v[114:115]
	flat_load_ushort v115, v[116:117]
	s_waitcnt vmcnt(0) lgkmcnt(0)
	v_cmp_lt_i16_e64 s35, v114, v115
	v_cndmask_b32_e64 v114, v52, v51, s35
	v_cndmask_b32_e64 v51, v51, v52, s35
	v_mov_b32_e32 v52, v114
	s_or_b32 exec_lo, exec_lo, s38
	s_and_saveexec_b32 s38, s75
	s_cbranch_execnz .LBB1044_1158
.LBB1044_1637:
	s_or_b32 exec_lo, exec_lo, s38
	s_and_saveexec_b32 s38, s76
	s_cbranch_execz .LBB1044_1159
.LBB1044_1638:
	v_bfe_i32 v114, v48, 0, 16
	v_bfe_i32 v116, v103, 0, 16
	v_ashrrev_i32_e32 v115, 31, v114
	v_ashrrev_i32_e32 v117, 31, v116
	v_lshlrev_b64 v[114:115], 1, v[114:115]
	v_lshlrev_b64 v[116:117], 1, v[116:117]
	v_add_co_u32 v114, s35, v6, v114
	v_add_co_ci_u32_e64 v115, null, v7, v115, s35
	v_add_co_u32 v116, s35, v6, v116
	v_add_co_ci_u32_e64 v117, null, v7, v117, s35
	s_clause 0x1
	flat_load_ushort v114, v[114:115]
	flat_load_ushort v115, v[116:117]
	s_waitcnt vmcnt(0) lgkmcnt(0)
	v_cmp_lt_i16_e64 s35, v114, v115
	v_cndmask_b32_e64 v114, v103, v48, s35
	v_cndmask_b32_e64 v48, v48, v103, s35
	v_mov_b32_e32 v103, v114
	s_or_b32 exec_lo, exec_lo, s38
	s_and_saveexec_b32 s38, s77
	s_cbranch_execnz .LBB1044_1160
.LBB1044_1639:
	s_or_b32 exec_lo, exec_lo, s38
	s_and_saveexec_b32 s38, s78
	s_cbranch_execz .LBB1044_1161
.LBB1044_1640:
	v_bfe_i32 v114, v98, 0, 16
	v_bfe_i32 v116, v100, 0, 16
	v_ashrrev_i32_e32 v115, 31, v114
	v_ashrrev_i32_e32 v117, 31, v116
	v_lshlrev_b64 v[114:115], 1, v[114:115]
	v_lshlrev_b64 v[116:117], 1, v[116:117]
	v_add_co_u32 v114, s35, v6, v114
	v_add_co_ci_u32_e64 v115, null, v7, v115, s35
	v_add_co_u32 v116, s35, v6, v116
	v_add_co_ci_u32_e64 v117, null, v7, v117, s35
	s_clause 0x1
	flat_load_ushort v114, v[114:115]
	flat_load_ushort v115, v[116:117]
	s_waitcnt vmcnt(0) lgkmcnt(0)
	v_cmp_lt_i16_e64 s35, v114, v115
	v_cndmask_b32_e64 v114, v98, v100, s35
	v_cndmask_b32_e64 v100, v100, v98, s35
	v_mov_b32_e32 v98, v114
	s_or_b32 exec_lo, exec_lo, s38
	s_and_saveexec_b32 s38, s79
	s_cbranch_execnz .LBB1044_1162
.LBB1044_1641:
	s_or_b32 exec_lo, exec_lo, s38
	s_and_saveexec_b32 s38, s88
	s_cbranch_execz .LBB1044_1163
.LBB1044_1642:
	v_bfe_i32 v114, v86, 0, 16
	v_bfe_i32 v116, v87, 0, 16
	v_ashrrev_i32_e32 v115, 31, v114
	v_ashrrev_i32_e32 v117, 31, v116
	v_lshlrev_b64 v[114:115], 1, v[114:115]
	v_lshlrev_b64 v[116:117], 1, v[116:117]
	v_add_co_u32 v114, s35, v6, v114
	v_add_co_ci_u32_e64 v115, null, v7, v115, s35
	v_add_co_u32 v116, s35, v6, v116
	v_add_co_ci_u32_e64 v117, null, v7, v117, s35
	s_clause 0x1
	flat_load_ushort v114, v[114:115]
	flat_load_ushort v115, v[116:117]
	s_waitcnt vmcnt(0) lgkmcnt(0)
	v_cmp_lt_i16_e64 s35, v114, v115
	v_cndmask_b32_e64 v114, v86, v87, s35
	v_cndmask_b32_e64 v87, v87, v86, s35
	v_mov_b32_e32 v86, v114
	s_or_b32 exec_lo, exec_lo, s38
	s_and_saveexec_b32 s38, s89
	s_cbranch_execnz .LBB1044_1164
.LBB1044_1643:
	s_or_b32 exec_lo, exec_lo, s38
	s_and_saveexec_b32 s38, s90
	s_cbranch_execz .LBB1044_1165
.LBB1044_1644:
	v_bfe_i32 v114, v82, 0, 16
	v_bfe_i32 v116, v83, 0, 16
	v_ashrrev_i32_e32 v115, 31, v114
	v_ashrrev_i32_e32 v117, 31, v116
	v_lshlrev_b64 v[114:115], 1, v[114:115]
	v_lshlrev_b64 v[116:117], 1, v[116:117]
	v_add_co_u32 v114, s35, v6, v114
	v_add_co_ci_u32_e64 v115, null, v7, v115, s35
	v_add_co_u32 v116, s35, v6, v116
	v_add_co_ci_u32_e64 v117, null, v7, v117, s35
	s_clause 0x1
	flat_load_ushort v114, v[114:115]
	flat_load_ushort v115, v[116:117]
	s_waitcnt vmcnt(0) lgkmcnt(0)
	v_cmp_lt_i16_e64 s35, v114, v115
	v_cndmask_b32_e64 v114, v82, v83, s35
	v_cndmask_b32_e64 v83, v83, v82, s35
	v_mov_b32_e32 v82, v114
	s_or_b32 exec_lo, exec_lo, s38
	s_and_saveexec_b32 s38, s91
	s_cbranch_execnz .LBB1044_1166
.LBB1044_1645:
	s_or_b32 exec_lo, exec_lo, s38
	s_and_saveexec_b32 s38, s92
	s_cbranch_execz .LBB1044_1167
.LBB1044_1646:
	v_bfe_i32 v114, v70, 0, 16
	v_bfe_i32 v116, v71, 0, 16
	v_ashrrev_i32_e32 v115, 31, v114
	v_ashrrev_i32_e32 v117, 31, v116
	v_lshlrev_b64 v[114:115], 1, v[114:115]
	v_lshlrev_b64 v[116:117], 1, v[116:117]
	v_add_co_u32 v114, s35, v6, v114
	v_add_co_ci_u32_e64 v115, null, v7, v115, s35
	v_add_co_u32 v116, s35, v6, v116
	v_add_co_ci_u32_e64 v117, null, v7, v117, s35
	s_clause 0x1
	flat_load_ushort v114, v[114:115]
	flat_load_ushort v115, v[116:117]
	s_waitcnt vmcnt(0) lgkmcnt(0)
	v_cmp_lt_i16_e64 s35, v114, v115
	v_cndmask_b32_e64 v114, v70, v71, s35
	v_cndmask_b32_e64 v71, v71, v70, s35
	v_mov_b32_e32 v70, v114
	s_or_b32 exec_lo, exec_lo, s38
	s_and_saveexec_b32 s38, s93
	s_cbranch_execnz .LBB1044_1168
.LBB1044_1647:
	s_or_b32 exec_lo, exec_lo, s38
	s_and_saveexec_b32 s38, s94
	s_cbranch_execz .LBB1044_1169
.LBB1044_1648:
	v_bfe_i32 v114, v66, 0, 16
	v_bfe_i32 v116, v67, 0, 16
	v_ashrrev_i32_e32 v115, 31, v114
	v_ashrrev_i32_e32 v117, 31, v116
	v_lshlrev_b64 v[114:115], 1, v[114:115]
	v_lshlrev_b64 v[116:117], 1, v[116:117]
	v_add_co_u32 v114, s35, v6, v114
	v_add_co_ci_u32_e64 v115, null, v7, v115, s35
	v_add_co_u32 v116, s35, v6, v116
	v_add_co_ci_u32_e64 v117, null, v7, v117, s35
	s_clause 0x1
	flat_load_ushort v114, v[114:115]
	flat_load_ushort v115, v[116:117]
	s_waitcnt vmcnt(0) lgkmcnt(0)
	v_cmp_lt_i16_e64 s35, v114, v115
	v_cndmask_b32_e64 v114, v66, v67, s35
	v_cndmask_b32_e64 v67, v67, v66, s35
	v_mov_b32_e32 v66, v114
	s_or_b32 exec_lo, exec_lo, s38
	s_and_saveexec_b32 s38, s95
	s_cbranch_execnz .LBB1044_1170
.LBB1044_1649:
	s_or_b32 exec_lo, exec_lo, s38
	s_and_saveexec_b32 s38, vcc_hi
	s_cbranch_execz .LBB1044_1171
.LBB1044_1650:
	v_bfe_i32 v114, v53, 0, 16
	v_bfe_i32 v116, v54, 0, 16
	v_ashrrev_i32_e32 v115, 31, v114
	v_ashrrev_i32_e32 v117, 31, v116
	v_lshlrev_b64 v[114:115], 1, v[114:115]
	v_lshlrev_b64 v[116:117], 1, v[116:117]
	v_add_co_u32 v114, s35, v6, v114
	v_add_co_ci_u32_e64 v115, null, v7, v115, s35
	v_add_co_u32 v116, s35, v6, v116
	v_add_co_ci_u32_e64 v117, null, v7, v117, s35
	s_clause 0x1
	flat_load_ushort v114, v[114:115]
	flat_load_ushort v115, v[116:117]
	s_waitcnt vmcnt(0) lgkmcnt(0)
	v_cmp_lt_i16_e64 s35, v114, v115
	v_cndmask_b32_e64 v114, v53, v54, s35
	v_cndmask_b32_e64 v54, v54, v53, s35
	v_mov_b32_e32 v53, v114
	s_or_b32 exec_lo, exec_lo, s38
	s_and_saveexec_b32 s38, s30
	s_cbranch_execnz .LBB1044_1172
.LBB1044_1651:
	s_or_b32 exec_lo, exec_lo, s38
	s_and_saveexec_b32 s38, s31
	s_cbranch_execz .LBB1044_1173
.LBB1044_1652:
	v_bfe_i32 v114, v50, 0, 16
	v_bfe_i32 v116, v51, 0, 16
	v_ashrrev_i32_e32 v115, 31, v114
	v_ashrrev_i32_e32 v117, 31, v116
	v_lshlrev_b64 v[114:115], 1, v[114:115]
	v_lshlrev_b64 v[116:117], 1, v[116:117]
	v_add_co_u32 v114, s35, v6, v114
	v_add_co_ci_u32_e64 v115, null, v7, v115, s35
	v_add_co_u32 v116, s35, v6, v116
	v_add_co_ci_u32_e64 v117, null, v7, v117, s35
	s_clause 0x1
	flat_load_ushort v114, v[114:115]
	flat_load_ushort v115, v[116:117]
	s_waitcnt vmcnt(0) lgkmcnt(0)
	v_cmp_lt_i16_e64 s35, v114, v115
	v_cndmask_b32_e64 v114, v51, v50, s35
	v_cndmask_b32_e64 v50, v50, v51, s35
	v_mov_b32_e32 v51, v114
	s_or_b32 exec_lo, exec_lo, s38
	s_and_saveexec_b32 s38, s34
	s_cbranch_execnz .LBB1044_1174
.LBB1044_1653:
	s_or_b32 exec_lo, exec_lo, s38
	s_and_saveexec_b32 s38, s8
	s_cbranch_execz .LBB1044_1175
.LBB1044_1654:
	v_bfe_i32 v114, v102, 0, 16
	v_bfe_i32 v116, v99, 0, 16
	v_ashrrev_i32_e32 v115, 31, v114
	v_ashrrev_i32_e32 v117, 31, v116
	v_lshlrev_b64 v[114:115], 1, v[114:115]
	v_lshlrev_b64 v[116:117], 1, v[116:117]
	v_add_co_u32 v114, s35, v6, v114
	v_add_co_ci_u32_e64 v115, null, v7, v115, s35
	v_add_co_u32 v116, s35, v6, v116
	v_add_co_ci_u32_e64 v117, null, v7, v117, s35
	s_clause 0x1
	flat_load_ushort v114, v[114:115]
	flat_load_ushort v115, v[116:117]
	s_waitcnt vmcnt(0) lgkmcnt(0)
	v_cmp_lt_i16_e64 s35, v114, v115
	v_cndmask_b32_e64 v114, v102, v99, s35
	v_cndmask_b32_e64 v99, v99, v102, s35
	v_mov_b32_e32 v102, v114
	s_or_b32 exec_lo, exec_lo, s38
	s_and_saveexec_b32 s38, s9
	s_cbranch_execnz .LBB1044_1176
.LBB1044_1655:
	s_or_b32 exec_lo, exec_lo, s38
	s_and_saveexec_b32 s38, s12
	s_cbranch_execz .LBB1044_1177
.LBB1044_1656:
	v_bfe_i32 v114, v97, 0, 16
	v_bfe_i32 v116, v98, 0, 16
	v_ashrrev_i32_e32 v115, 31, v114
	v_ashrrev_i32_e32 v117, 31, v116
	v_lshlrev_b64 v[114:115], 1, v[114:115]
	v_lshlrev_b64 v[116:117], 1, v[116:117]
	v_add_co_u32 v114, s35, v6, v114
	v_add_co_ci_u32_e64 v115, null, v7, v115, s35
	v_add_co_u32 v116, s35, v6, v116
	v_add_co_ci_u32_e64 v117, null, v7, v117, s35
	s_clause 0x1
	flat_load_ushort v114, v[114:115]
	flat_load_ushort v115, v[116:117]
	s_waitcnt vmcnt(0) lgkmcnt(0)
	v_cmp_lt_i16_e64 s35, v114, v115
	v_cndmask_b32_e64 v114, v97, v98, s35
	v_cndmask_b32_e64 v98, v98, v97, s35
	v_mov_b32_e32 v97, v114
	s_or_b32 exec_lo, exec_lo, s38
	s_and_saveexec_b32 s38, s13
	s_cbranch_execnz .LBB1044_1178
.LBB1044_1657:
	s_or_b32 exec_lo, exec_lo, s38
	s_and_saveexec_b32 s38, s57
	s_cbranch_execz .LBB1044_1179
.LBB1044_1658:
	v_bfe_i32 v114, v85, 0, 16
	v_bfe_i32 v116, v86, 0, 16
	v_ashrrev_i32_e32 v115, 31, v114
	v_ashrrev_i32_e32 v117, 31, v116
	v_lshlrev_b64 v[114:115], 1, v[114:115]
	v_lshlrev_b64 v[116:117], 1, v[116:117]
	v_add_co_u32 v114, s35, v6, v114
	v_add_co_ci_u32_e64 v115, null, v7, v115, s35
	v_add_co_u32 v116, s35, v6, v116
	v_add_co_ci_u32_e64 v117, null, v7, v117, s35
	s_clause 0x1
	flat_load_ushort v114, v[114:115]
	flat_load_ushort v115, v[116:117]
	s_waitcnt vmcnt(0) lgkmcnt(0)
	v_cmp_lt_i16_e64 s35, v114, v115
	v_cndmask_b32_e64 v114, v85, v86, s35
	v_cndmask_b32_e64 v86, v86, v85, s35
	v_mov_b32_e32 v85, v114
	s_or_b32 exec_lo, exec_lo, s38
	s_and_saveexec_b32 s38, s58
	s_cbranch_execnz .LBB1044_1180
.LBB1044_1659:
	s_or_b32 exec_lo, exec_lo, s38
	s_and_saveexec_b32 s38, s59
	s_cbranch_execz .LBB1044_1181
.LBB1044_1660:
	v_bfe_i32 v114, v81, 0, 16
	v_bfe_i32 v116, v82, 0, 16
	v_ashrrev_i32_e32 v115, 31, v114
	v_ashrrev_i32_e32 v117, 31, v116
	v_lshlrev_b64 v[114:115], 1, v[114:115]
	v_lshlrev_b64 v[116:117], 1, v[116:117]
	v_add_co_u32 v114, s35, v6, v114
	v_add_co_ci_u32_e64 v115, null, v7, v115, s35
	v_add_co_u32 v116, s35, v6, v116
	v_add_co_ci_u32_e64 v117, null, v7, v117, s35
	s_clause 0x1
	flat_load_ushort v114, v[114:115]
	flat_load_ushort v115, v[116:117]
	s_waitcnt vmcnt(0) lgkmcnt(0)
	v_cmp_lt_i16_e64 s35, v114, v115
	v_cndmask_b32_e64 v114, v81, v82, s35
	v_cndmask_b32_e64 v82, v82, v81, s35
	v_mov_b32_e32 v81, v114
	s_or_b32 exec_lo, exec_lo, s38
	s_and_saveexec_b32 s38, s60
	s_cbranch_execnz .LBB1044_1182
.LBB1044_1661:
	s_or_b32 exec_lo, exec_lo, s38
	s_and_saveexec_b32 s38, s61
	s_cbranch_execz .LBB1044_1183
.LBB1044_1662:
	v_bfe_i32 v114, v69, 0, 16
	v_bfe_i32 v116, v70, 0, 16
	v_ashrrev_i32_e32 v115, 31, v114
	v_ashrrev_i32_e32 v117, 31, v116
	v_lshlrev_b64 v[114:115], 1, v[114:115]
	v_lshlrev_b64 v[116:117], 1, v[116:117]
	v_add_co_u32 v114, s35, v6, v114
	v_add_co_ci_u32_e64 v115, null, v7, v115, s35
	v_add_co_u32 v116, s35, v6, v116
	v_add_co_ci_u32_e64 v117, null, v7, v117, s35
	s_clause 0x1
	flat_load_ushort v114, v[114:115]
	flat_load_ushort v115, v[116:117]
	s_waitcnt vmcnt(0) lgkmcnt(0)
	v_cmp_lt_i16_e64 s35, v114, v115
	v_cndmask_b32_e64 v114, v69, v70, s35
	v_cndmask_b32_e64 v70, v70, v69, s35
	v_mov_b32_e32 v69, v114
	s_or_b32 exec_lo, exec_lo, s38
	s_and_saveexec_b32 s38, s62
	s_cbranch_execnz .LBB1044_1184
.LBB1044_1663:
	s_or_b32 exec_lo, exec_lo, s38
	s_and_saveexec_b32 s38, s63
	s_cbranch_execz .LBB1044_1185
.LBB1044_1664:
	v_bfe_i32 v114, v65, 0, 16
	v_bfe_i32 v116, v66, 0, 16
	v_ashrrev_i32_e32 v115, 31, v114
	v_ashrrev_i32_e32 v117, 31, v116
	v_lshlrev_b64 v[114:115], 1, v[114:115]
	v_lshlrev_b64 v[116:117], 1, v[116:117]
	v_add_co_u32 v114, s35, v6, v114
	v_add_co_ci_u32_e64 v115, null, v7, v115, s35
	v_add_co_u32 v116, s35, v6, v116
	v_add_co_ci_u32_e64 v117, null, v7, v117, s35
	s_clause 0x1
	flat_load_ushort v114, v[114:115]
	flat_load_ushort v115, v[116:117]
	s_waitcnt vmcnt(0) lgkmcnt(0)
	v_cmp_lt_i16_e64 s35, v114, v115
	v_cndmask_b32_e64 v114, v65, v66, s35
	v_cndmask_b32_e64 v66, v66, v65, s35
	v_mov_b32_e32 v65, v114
	s_or_b32 exec_lo, exec_lo, s38
	s_and_saveexec_b32 s38, s72
	s_cbranch_execnz .LBB1044_1186
.LBB1044_1665:
	s_or_b32 exec_lo, exec_lo, s38
	s_and_saveexec_b32 s38, s73
	s_cbranch_execz .LBB1044_1187
.LBB1044_1666:
	v_bfe_i32 v114, v64, 0, 16
	v_bfe_i32 v116, v53, 0, 16
	v_ashrrev_i32_e32 v115, 31, v114
	v_ashrrev_i32_e32 v117, 31, v116
	v_lshlrev_b64 v[114:115], 1, v[114:115]
	v_lshlrev_b64 v[116:117], 1, v[116:117]
	v_add_co_u32 v114, s35, v6, v114
	v_add_co_ci_u32_e64 v115, null, v7, v115, s35
	v_add_co_u32 v116, s35, v6, v116
	v_add_co_ci_u32_e64 v117, null, v7, v117, s35
	s_clause 0x1
	flat_load_ushort v114, v[114:115]
	flat_load_ushort v115, v[116:117]
	s_waitcnt vmcnt(0) lgkmcnt(0)
	v_cmp_lt_i16_e64 s35, v114, v115
	v_cndmask_b32_e64 v114, v64, v53, s35
	v_cndmask_b32_e64 v53, v53, v64, s35
	v_mov_b32_e32 v64, v114
	s_or_b32 exec_lo, exec_lo, s38
	s_and_saveexec_b32 s38, s74
	s_cbranch_execnz .LBB1044_1188
.LBB1044_1667:
	s_or_b32 exec_lo, exec_lo, s38
	s_and_saveexec_b32 s38, s75
	s_cbranch_execz .LBB1044_1189
.LBB1044_1668:
	v_bfe_i32 v114, v49, 0, 16
	v_bfe_i32 v116, v50, 0, 16
	v_ashrrev_i32_e32 v115, 31, v114
	v_ashrrev_i32_e32 v117, 31, v116
	v_lshlrev_b64 v[114:115], 1, v[114:115]
	v_lshlrev_b64 v[116:117], 1, v[116:117]
	v_add_co_u32 v114, s35, v6, v114
	v_add_co_ci_u32_e64 v115, null, v7, v115, s35
	v_add_co_u32 v116, s35, v6, v116
	v_add_co_ci_u32_e64 v117, null, v7, v117, s35
	s_clause 0x1
	flat_load_ushort v114, v[114:115]
	flat_load_ushort v115, v[116:117]
	s_waitcnt vmcnt(0) lgkmcnt(0)
	v_cmp_lt_i16_e64 s35, v114, v115
	v_cndmask_b32_e64 v114, v50, v49, s35
	v_cndmask_b32_e64 v49, v49, v50, s35
	v_mov_b32_e32 v50, v114
	s_or_b32 exec_lo, exec_lo, s38
	s_and_saveexec_b32 s38, s76
	s_cbranch_execnz .LBB1044_1190
.LBB1044_1669:
	s_or_b32 exec_lo, exec_lo, s38
	s_and_saveexec_b32 s38, s77
	s_cbranch_execz .LBB1044_1191
.LBB1044_1670:
	v_bfe_i32 v114, v101, 0, 16
	v_bfe_i32 v116, v102, 0, 16
	v_ashrrev_i32_e32 v115, 31, v114
	v_ashrrev_i32_e32 v117, 31, v116
	v_lshlrev_b64 v[114:115], 1, v[114:115]
	v_lshlrev_b64 v[116:117], 1, v[116:117]
	v_add_co_u32 v114, s35, v6, v114
	v_add_co_ci_u32_e64 v115, null, v7, v115, s35
	v_add_co_u32 v116, s35, v6, v116
	v_add_co_ci_u32_e64 v117, null, v7, v117, s35
	s_clause 0x1
	flat_load_ushort v114, v[114:115]
	flat_load_ushort v115, v[116:117]
	s_waitcnt vmcnt(0) lgkmcnt(0)
	v_cmp_lt_i16_e64 s35, v114, v115
	v_cndmask_b32_e64 v114, v101, v102, s35
	v_cndmask_b32_e64 v102, v102, v101, s35
	v_mov_b32_e32 v101, v114
	s_or_b32 exec_lo, exec_lo, s38
	s_and_saveexec_b32 s38, s78
	s_cbranch_execnz .LBB1044_1192
.LBB1044_1671:
	s_or_b32 exec_lo, exec_lo, s38
	s_and_saveexec_b32 s38, s79
	s_cbranch_execz .LBB1044_1193
.LBB1044_1672:
	v_bfe_i32 v114, v96, 0, 16
	v_bfe_i32 v116, v97, 0, 16
	v_ashrrev_i32_e32 v115, 31, v114
	v_ashrrev_i32_e32 v117, 31, v116
	v_lshlrev_b64 v[114:115], 1, v[114:115]
	v_lshlrev_b64 v[116:117], 1, v[116:117]
	v_add_co_u32 v114, s35, v6, v114
	v_add_co_ci_u32_e64 v115, null, v7, v115, s35
	v_add_co_u32 v116, s35, v6, v116
	v_add_co_ci_u32_e64 v117, null, v7, v117, s35
	s_clause 0x1
	flat_load_ushort v114, v[114:115]
	flat_load_ushort v115, v[116:117]
	s_waitcnt vmcnt(0) lgkmcnt(0)
	v_cmp_lt_i16_e64 s35, v114, v115
	v_cndmask_b32_e64 v114, v96, v97, s35
	v_cndmask_b32_e64 v97, v97, v96, s35
	v_mov_b32_e32 v96, v114
	s_or_b32 exec_lo, exec_lo, s38
	s_and_saveexec_b32 s38, s88
	s_cbranch_execnz .LBB1044_1194
.LBB1044_1673:
	s_or_b32 exec_lo, exec_lo, s38
	s_and_saveexec_b32 s38, s89
	s_cbranch_execz .LBB1044_1195
.LBB1044_1674:
	v_bfe_i32 v114, v84, 0, 16
	v_bfe_i32 v116, v85, 0, 16
	v_ashrrev_i32_e32 v115, 31, v114
	v_ashrrev_i32_e32 v117, 31, v116
	v_lshlrev_b64 v[114:115], 1, v[114:115]
	v_lshlrev_b64 v[116:117], 1, v[116:117]
	v_add_co_u32 v114, s35, v6, v114
	v_add_co_ci_u32_e64 v115, null, v7, v115, s35
	v_add_co_u32 v116, s35, v6, v116
	v_add_co_ci_u32_e64 v117, null, v7, v117, s35
	s_clause 0x1
	flat_load_ushort v114, v[114:115]
	flat_load_ushort v115, v[116:117]
	s_waitcnt vmcnt(0) lgkmcnt(0)
	v_cmp_lt_i16_e64 s35, v114, v115
	v_cndmask_b32_e64 v114, v84, v85, s35
	v_cndmask_b32_e64 v85, v85, v84, s35
	v_mov_b32_e32 v84, v114
	s_or_b32 exec_lo, exec_lo, s38
	s_and_saveexec_b32 s38, s90
	s_cbranch_execnz .LBB1044_1196
.LBB1044_1675:
	s_or_b32 exec_lo, exec_lo, s38
	s_and_saveexec_b32 s38, s91
	s_cbranch_execz .LBB1044_1197
.LBB1044_1676:
	v_bfe_i32 v114, v80, 0, 16
	v_bfe_i32 v116, v81, 0, 16
	v_ashrrev_i32_e32 v115, 31, v114
	v_ashrrev_i32_e32 v117, 31, v116
	v_lshlrev_b64 v[114:115], 1, v[114:115]
	v_lshlrev_b64 v[116:117], 1, v[116:117]
	v_add_co_u32 v114, s35, v6, v114
	v_add_co_ci_u32_e64 v115, null, v7, v115, s35
	v_add_co_u32 v116, s35, v6, v116
	v_add_co_ci_u32_e64 v117, null, v7, v117, s35
	s_clause 0x1
	flat_load_ushort v114, v[114:115]
	flat_load_ushort v115, v[116:117]
	s_waitcnt vmcnt(0) lgkmcnt(0)
	v_cmp_lt_i16_e64 s35, v114, v115
	v_cndmask_b32_e64 v114, v80, v81, s35
	v_cndmask_b32_e64 v81, v81, v80, s35
	v_mov_b32_e32 v80, v114
	s_or_b32 exec_lo, exec_lo, s38
	s_and_saveexec_b32 s38, s92
	s_cbranch_execnz .LBB1044_1198
.LBB1044_1677:
	s_or_b32 exec_lo, exec_lo, s38
	s_and_saveexec_b32 s38, s93
	s_cbranch_execz .LBB1044_1199
.LBB1044_1678:
	v_bfe_i32 v114, v68, 0, 16
	v_bfe_i32 v116, v69, 0, 16
	v_ashrrev_i32_e32 v115, 31, v114
	v_ashrrev_i32_e32 v117, 31, v116
	v_lshlrev_b64 v[114:115], 1, v[114:115]
	v_lshlrev_b64 v[116:117], 1, v[116:117]
	v_add_co_u32 v114, s35, v6, v114
	v_add_co_ci_u32_e64 v115, null, v7, v115, s35
	v_add_co_u32 v116, s35, v6, v116
	v_add_co_ci_u32_e64 v117, null, v7, v117, s35
	s_clause 0x1
	flat_load_ushort v114, v[114:115]
	flat_load_ushort v115, v[116:117]
	s_waitcnt vmcnt(0) lgkmcnt(0)
	v_cmp_lt_i16_e64 s35, v114, v115
	v_cndmask_b32_e64 v114, v68, v69, s35
	v_cndmask_b32_e64 v69, v69, v68, s35
	v_mov_b32_e32 v68, v114
	s_or_b32 exec_lo, exec_lo, s38
	s_and_saveexec_b32 s38, s94
	s_cbranch_execnz .LBB1044_1200
.LBB1044_1679:
	s_or_b32 exec_lo, exec_lo, s38
	s_and_saveexec_b32 s38, s95
	s_cbranch_execz .LBB1044_1201
.LBB1044_1680:
	v_bfe_i32 v114, v55, 0, 16
	v_bfe_i32 v116, v65, 0, 16
	v_ashrrev_i32_e32 v115, 31, v114
	v_ashrrev_i32_e32 v117, 31, v116
	v_lshlrev_b64 v[114:115], 1, v[114:115]
	v_lshlrev_b64 v[116:117], 1, v[116:117]
	v_add_co_u32 v114, s35, v6, v114
	v_add_co_ci_u32_e64 v115, null, v7, v115, s35
	v_add_co_u32 v116, s35, v6, v116
	v_add_co_ci_u32_e64 v117, null, v7, v117, s35
	s_clause 0x1
	flat_load_ushort v114, v[114:115]
	flat_load_ushort v115, v[116:117]
	s_waitcnt vmcnt(0) lgkmcnt(0)
	v_cmp_lt_i16_e64 s35, v114, v115
	v_cndmask_b32_e64 v114, v55, v65, s35
	v_cndmask_b32_e64 v65, v65, v55, s35
	v_mov_b32_e32 v55, v114
	s_or_b32 exec_lo, exec_lo, s38
	s_and_saveexec_b32 s38, vcc_hi
	s_cbranch_execnz .LBB1044_1202
.LBB1044_1681:
	s_or_b32 exec_lo, exec_lo, s38
	s_and_saveexec_b32 s38, s30
	s_cbranch_execz .LBB1044_1203
.LBB1044_1682:
	v_bfe_i32 v114, v52, 0, 16
	v_bfe_i32 v116, v64, 0, 16
	v_ashrrev_i32_e32 v115, 31, v114
	v_ashrrev_i32_e32 v117, 31, v116
	v_lshlrev_b64 v[114:115], 1, v[114:115]
	v_lshlrev_b64 v[116:117], 1, v[116:117]
	v_add_co_u32 v114, s35, v6, v114
	v_add_co_ci_u32_e64 v115, null, v7, v115, s35
	v_add_co_u32 v116, s35, v6, v116
	v_add_co_ci_u32_e64 v117, null, v7, v117, s35
	s_clause 0x1
	flat_load_ushort v114, v[114:115]
	flat_load_ushort v115, v[116:117]
	s_waitcnt vmcnt(0) lgkmcnt(0)
	v_cmp_lt_i16_e64 s35, v114, v115
	v_cndmask_b32_e64 v114, v64, v52, s35
	v_cndmask_b32_e64 v52, v52, v64, s35
	v_mov_b32_e32 v64, v114
	s_or_b32 exec_lo, exec_lo, s38
	s_and_saveexec_b32 s38, s31
	s_cbranch_execnz .LBB1044_1204
.LBB1044_1683:
	s_or_b32 exec_lo, exec_lo, s38
	s_and_saveexec_b32 s38, s34
	s_cbranch_execz .LBB1044_1205
.LBB1044_1684:
	v_bfe_i32 v114, v103, 0, 16
	v_bfe_i32 v116, v49, 0, 16
	v_ashrrev_i32_e32 v115, 31, v114
	v_ashrrev_i32_e32 v117, 31, v116
	v_lshlrev_b64 v[114:115], 1, v[114:115]
	v_lshlrev_b64 v[116:117], 1, v[116:117]
	v_add_co_u32 v114, s35, v6, v114
	v_add_co_ci_u32_e64 v115, null, v7, v115, s35
	v_add_co_u32 v116, s35, v6, v116
	v_add_co_ci_u32_e64 v117, null, v7, v117, s35
	s_clause 0x1
	flat_load_ushort v114, v[114:115]
	flat_load_ushort v115, v[116:117]
	s_waitcnt vmcnt(0) lgkmcnt(0)
	v_cmp_lt_i16_e64 s35, v114, v115
	v_cndmask_b32_e64 v114, v49, v103, s35
	v_cndmask_b32_e64 v103, v103, v49, s35
	v_mov_b32_e32 v49, v114
	s_or_b32 exec_lo, exec_lo, s38
	s_and_saveexec_b32 s38, s8
	s_cbranch_execnz .LBB1044_1206
.LBB1044_1685:
	s_or_b32 exec_lo, exec_lo, s38
	s_and_saveexec_b32 s38, s9
	s_cbranch_execz .LBB1044_1207
.LBB1044_1686:
	v_bfe_i32 v114, v100, 0, 16
	v_bfe_i32 v116, v101, 0, 16
	v_ashrrev_i32_e32 v115, 31, v114
	v_ashrrev_i32_e32 v117, 31, v116
	v_lshlrev_b64 v[114:115], 1, v[114:115]
	v_lshlrev_b64 v[116:117], 1, v[116:117]
	v_add_co_u32 v114, s35, v6, v114
	v_add_co_ci_u32_e64 v115, null, v7, v115, s35
	v_add_co_u32 v116, s35, v6, v116
	v_add_co_ci_u32_e64 v117, null, v7, v117, s35
	s_clause 0x1
	flat_load_ushort v114, v[114:115]
	flat_load_ushort v115, v[116:117]
	s_waitcnt vmcnt(0) lgkmcnt(0)
	v_cmp_lt_i16_e64 s35, v114, v115
	v_cndmask_b32_e64 v114, v100, v101, s35
	v_cndmask_b32_e64 v101, v101, v100, s35
	v_mov_b32_e32 v100, v114
	s_or_b32 exec_lo, exec_lo, s38
	s_and_saveexec_b32 s38, s12
	s_cbranch_execnz .LBB1044_1208
.LBB1044_1687:
	s_or_b32 exec_lo, exec_lo, s38
	s_and_saveexec_b32 s38, s13
	s_cbranch_execz .LBB1044_1209
.LBB1044_1688:
	v_bfe_i32 v114, v87, 0, 16
	v_bfe_i32 v116, v96, 0, 16
	v_ashrrev_i32_e32 v115, 31, v114
	v_ashrrev_i32_e32 v117, 31, v116
	v_lshlrev_b64 v[114:115], 1, v[114:115]
	v_lshlrev_b64 v[116:117], 1, v[116:117]
	v_add_co_u32 v114, s35, v6, v114
	v_add_co_ci_u32_e64 v115, null, v7, v115, s35
	v_add_co_u32 v116, s35, v6, v116
	v_add_co_ci_u32_e64 v117, null, v7, v117, s35
	s_clause 0x1
	flat_load_ushort v114, v[114:115]
	flat_load_ushort v115, v[116:117]
	s_waitcnt vmcnt(0) lgkmcnt(0)
	v_cmp_lt_i16_e64 s35, v114, v115
	v_cndmask_b32_e64 v114, v87, v96, s35
	v_cndmask_b32_e64 v96, v96, v87, s35
	v_mov_b32_e32 v87, v114
	s_or_b32 exec_lo, exec_lo, s38
	s_and_saveexec_b32 s38, s57
	s_cbranch_execnz .LBB1044_1210
.LBB1044_1689:
	s_or_b32 exec_lo, exec_lo, s38
	s_and_saveexec_b32 s38, s58
	s_cbranch_execz .LBB1044_1211
.LBB1044_1690:
	v_bfe_i32 v114, v83, 0, 16
	v_bfe_i32 v116, v84, 0, 16
	v_ashrrev_i32_e32 v115, 31, v114
	v_ashrrev_i32_e32 v117, 31, v116
	v_lshlrev_b64 v[114:115], 1, v[114:115]
	v_lshlrev_b64 v[116:117], 1, v[116:117]
	v_add_co_u32 v114, s35, v6, v114
	v_add_co_ci_u32_e64 v115, null, v7, v115, s35
	v_add_co_u32 v116, s35, v6, v116
	v_add_co_ci_u32_e64 v117, null, v7, v117, s35
	s_clause 0x1
	flat_load_ushort v114, v[114:115]
	flat_load_ushort v115, v[116:117]
	s_waitcnt vmcnt(0) lgkmcnt(0)
	v_cmp_lt_i16_e64 s35, v114, v115
	v_cndmask_b32_e64 v114, v83, v84, s35
	v_cndmask_b32_e64 v84, v84, v83, s35
	v_mov_b32_e32 v83, v114
	s_or_b32 exec_lo, exec_lo, s38
	s_and_saveexec_b32 s38, s59
	s_cbranch_execnz .LBB1044_1212
.LBB1044_1691:
	s_or_b32 exec_lo, exec_lo, s38
	s_and_saveexec_b32 s38, s60
	s_cbranch_execz .LBB1044_1213
.LBB1044_1692:
	v_bfe_i32 v114, v71, 0, 16
	v_bfe_i32 v116, v80, 0, 16
	v_ashrrev_i32_e32 v115, 31, v114
	v_ashrrev_i32_e32 v117, 31, v116
	v_lshlrev_b64 v[114:115], 1, v[114:115]
	v_lshlrev_b64 v[116:117], 1, v[116:117]
	v_add_co_u32 v114, s35, v6, v114
	v_add_co_ci_u32_e64 v115, null, v7, v115, s35
	v_add_co_u32 v116, s35, v6, v116
	v_add_co_ci_u32_e64 v117, null, v7, v117, s35
	s_clause 0x1
	flat_load_ushort v114, v[114:115]
	flat_load_ushort v115, v[116:117]
	s_waitcnt vmcnt(0) lgkmcnt(0)
	v_cmp_lt_i16_e64 s35, v114, v115
	v_cndmask_b32_e64 v114, v71, v80, s35
	v_cndmask_b32_e64 v80, v80, v71, s35
	v_mov_b32_e32 v71, v114
	s_or_b32 exec_lo, exec_lo, s38
	s_and_saveexec_b32 s38, s61
	s_cbranch_execnz .LBB1044_1214
.LBB1044_1693:
	s_or_b32 exec_lo, exec_lo, s38
	s_and_saveexec_b32 s38, s62
	s_cbranch_execz .LBB1044_1215
.LBB1044_1694:
	v_bfe_i32 v114, v67, 0, 16
	v_bfe_i32 v116, v68, 0, 16
	v_ashrrev_i32_e32 v115, 31, v114
	v_ashrrev_i32_e32 v117, 31, v116
	v_lshlrev_b64 v[114:115], 1, v[114:115]
	v_lshlrev_b64 v[116:117], 1, v[116:117]
	v_add_co_u32 v114, s35, v6, v114
	v_add_co_ci_u32_e64 v115, null, v7, v115, s35
	v_add_co_u32 v116, s35, v6, v116
	v_add_co_ci_u32_e64 v117, null, v7, v117, s35
	s_clause 0x1
	flat_load_ushort v114, v[114:115]
	flat_load_ushort v115, v[116:117]
	s_waitcnt vmcnt(0) lgkmcnt(0)
	v_cmp_lt_i16_e64 s35, v114, v115
	v_cndmask_b32_e64 v114, v67, v68, s35
	v_cndmask_b32_e64 v68, v68, v67, s35
	v_mov_b32_e32 v67, v114
	s_or_b32 exec_lo, exec_lo, s38
	s_and_saveexec_b32 s38, s63
	s_cbranch_execnz .LBB1044_1216
.LBB1044_1695:
	s_or_b32 exec_lo, exec_lo, s38
	s_and_saveexec_b32 s38, s72
	s_cbranch_execz .LBB1044_1217
.LBB1044_1696:
	v_bfe_i32 v114, v54, 0, 16
	v_bfe_i32 v116, v55, 0, 16
	v_ashrrev_i32_e32 v115, 31, v114
	v_ashrrev_i32_e32 v117, 31, v116
	v_lshlrev_b64 v[114:115], 1, v[114:115]
	v_lshlrev_b64 v[116:117], 1, v[116:117]
	v_add_co_u32 v114, s35, v6, v114
	v_add_co_ci_u32_e64 v115, null, v7, v115, s35
	v_add_co_u32 v116, s35, v6, v116
	v_add_co_ci_u32_e64 v117, null, v7, v117, s35
	s_clause 0x1
	flat_load_ushort v114, v[114:115]
	flat_load_ushort v115, v[116:117]
	s_waitcnt vmcnt(0) lgkmcnt(0)
	v_cmp_lt_i16_e64 s35, v114, v115
	v_cndmask_b32_e64 v114, v54, v55, s35
	v_cndmask_b32_e64 v55, v55, v54, s35
	v_mov_b32_e32 v54, v114
	s_or_b32 exec_lo, exec_lo, s38
	s_and_saveexec_b32 s38, s73
	s_cbranch_execnz .LBB1044_1218
.LBB1044_1697:
	s_or_b32 exec_lo, exec_lo, s38
	s_and_saveexec_b32 s38, s74
	s_cbranch_execz .LBB1044_1219
.LBB1044_1698:
	v_bfe_i32 v114, v51, 0, 16
	v_bfe_i32 v116, v52, 0, 16
	v_ashrrev_i32_e32 v115, 31, v114
	v_ashrrev_i32_e32 v117, 31, v116
	v_lshlrev_b64 v[114:115], 1, v[114:115]
	v_lshlrev_b64 v[116:117], 1, v[116:117]
	v_add_co_u32 v114, s35, v6, v114
	v_add_co_ci_u32_e64 v115, null, v7, v115, s35
	v_add_co_u32 v116, s35, v6, v116
	v_add_co_ci_u32_e64 v117, null, v7, v117, s35
	s_clause 0x1
	flat_load_ushort v114, v[114:115]
	flat_load_ushort v115, v[116:117]
	s_waitcnt vmcnt(0) lgkmcnt(0)
	v_cmp_lt_i16_e64 s35, v114, v115
	v_cndmask_b32_e64 v114, v52, v51, s35
	v_cndmask_b32_e64 v51, v51, v52, s35
	v_mov_b32_e32 v52, v114
	s_or_b32 exec_lo, exec_lo, s38
	s_and_saveexec_b32 s38, s75
	s_cbranch_execnz .LBB1044_1220
.LBB1044_1699:
	s_or_b32 exec_lo, exec_lo, s38
	s_and_saveexec_b32 s38, s76
	s_cbranch_execz .LBB1044_1221
.LBB1044_1700:
	v_bfe_i32 v114, v48, 0, 16
	v_bfe_i32 v116, v103, 0, 16
	v_ashrrev_i32_e32 v115, 31, v114
	v_ashrrev_i32_e32 v117, 31, v116
	v_lshlrev_b64 v[114:115], 1, v[114:115]
	v_lshlrev_b64 v[116:117], 1, v[116:117]
	v_add_co_u32 v114, s35, v6, v114
	v_add_co_ci_u32_e64 v115, null, v7, v115, s35
	v_add_co_u32 v116, s35, v6, v116
	v_add_co_ci_u32_e64 v117, null, v7, v117, s35
	s_clause 0x1
	flat_load_ushort v114, v[114:115]
	flat_load_ushort v115, v[116:117]
	s_waitcnt vmcnt(0) lgkmcnt(0)
	v_cmp_lt_i16_e64 s35, v114, v115
	v_cndmask_b32_e64 v114, v103, v48, s35
	v_cndmask_b32_e64 v48, v48, v103, s35
	v_mov_b32_e32 v103, v114
	s_or_b32 exec_lo, exec_lo, s38
	s_and_saveexec_b32 s38, s77
	s_cbranch_execnz .LBB1044_1222
.LBB1044_1701:
	s_or_b32 exec_lo, exec_lo, s38
	s_and_saveexec_b32 s38, s78
	s_cbranch_execz .LBB1044_1223
.LBB1044_1702:
	v_bfe_i32 v114, v98, 0, 16
	v_bfe_i32 v116, v100, 0, 16
	v_ashrrev_i32_e32 v115, 31, v114
	v_ashrrev_i32_e32 v117, 31, v116
	v_lshlrev_b64 v[114:115], 1, v[114:115]
	v_lshlrev_b64 v[116:117], 1, v[116:117]
	v_add_co_u32 v114, s35, v6, v114
	v_add_co_ci_u32_e64 v115, null, v7, v115, s35
	v_add_co_u32 v116, s35, v6, v116
	v_add_co_ci_u32_e64 v117, null, v7, v117, s35
	s_clause 0x1
	flat_load_ushort v114, v[114:115]
	flat_load_ushort v115, v[116:117]
	s_waitcnt vmcnt(0) lgkmcnt(0)
	v_cmp_lt_i16_e64 s35, v114, v115
	v_cndmask_b32_e64 v114, v98, v100, s35
	v_cndmask_b32_e64 v100, v100, v98, s35
	v_mov_b32_e32 v98, v114
	s_or_b32 exec_lo, exec_lo, s38
	s_and_saveexec_b32 s38, s79
	s_cbranch_execnz .LBB1044_1224
.LBB1044_1703:
	s_or_b32 exec_lo, exec_lo, s38
	s_and_saveexec_b32 s38, s88
	s_cbranch_execz .LBB1044_1225
.LBB1044_1704:
	v_bfe_i32 v114, v86, 0, 16
	v_bfe_i32 v116, v87, 0, 16
	v_ashrrev_i32_e32 v115, 31, v114
	v_ashrrev_i32_e32 v117, 31, v116
	v_lshlrev_b64 v[114:115], 1, v[114:115]
	v_lshlrev_b64 v[116:117], 1, v[116:117]
	v_add_co_u32 v114, s35, v6, v114
	v_add_co_ci_u32_e64 v115, null, v7, v115, s35
	v_add_co_u32 v116, s35, v6, v116
	v_add_co_ci_u32_e64 v117, null, v7, v117, s35
	s_clause 0x1
	flat_load_ushort v114, v[114:115]
	flat_load_ushort v115, v[116:117]
	s_waitcnt vmcnt(0) lgkmcnt(0)
	v_cmp_lt_i16_e64 s35, v114, v115
	v_cndmask_b32_e64 v114, v86, v87, s35
	v_cndmask_b32_e64 v87, v87, v86, s35
	v_mov_b32_e32 v86, v114
	s_or_b32 exec_lo, exec_lo, s38
	s_and_saveexec_b32 s38, s89
	s_cbranch_execnz .LBB1044_1226
.LBB1044_1705:
	s_or_b32 exec_lo, exec_lo, s38
	s_and_saveexec_b32 s38, s90
	s_cbranch_execz .LBB1044_1227
.LBB1044_1706:
	v_bfe_i32 v114, v82, 0, 16
	v_bfe_i32 v116, v83, 0, 16
	v_ashrrev_i32_e32 v115, 31, v114
	v_ashrrev_i32_e32 v117, 31, v116
	v_lshlrev_b64 v[114:115], 1, v[114:115]
	v_lshlrev_b64 v[116:117], 1, v[116:117]
	v_add_co_u32 v114, s35, v6, v114
	v_add_co_ci_u32_e64 v115, null, v7, v115, s35
	v_add_co_u32 v116, s35, v6, v116
	v_add_co_ci_u32_e64 v117, null, v7, v117, s35
	s_clause 0x1
	flat_load_ushort v114, v[114:115]
	flat_load_ushort v115, v[116:117]
	s_waitcnt vmcnt(0) lgkmcnt(0)
	v_cmp_lt_i16_e64 s35, v114, v115
	v_cndmask_b32_e64 v114, v82, v83, s35
	v_cndmask_b32_e64 v83, v83, v82, s35
	v_mov_b32_e32 v82, v114
	s_or_b32 exec_lo, exec_lo, s38
	s_and_saveexec_b32 s38, s91
	s_cbranch_execnz .LBB1044_1228
.LBB1044_1707:
	s_or_b32 exec_lo, exec_lo, s38
	s_and_saveexec_b32 s38, s92
	s_cbranch_execz .LBB1044_1229
.LBB1044_1708:
	v_bfe_i32 v114, v70, 0, 16
	v_bfe_i32 v116, v71, 0, 16
	v_ashrrev_i32_e32 v115, 31, v114
	v_ashrrev_i32_e32 v117, 31, v116
	v_lshlrev_b64 v[114:115], 1, v[114:115]
	v_lshlrev_b64 v[116:117], 1, v[116:117]
	v_add_co_u32 v114, s35, v6, v114
	v_add_co_ci_u32_e64 v115, null, v7, v115, s35
	v_add_co_u32 v116, s35, v6, v116
	v_add_co_ci_u32_e64 v117, null, v7, v117, s35
	s_clause 0x1
	flat_load_ushort v114, v[114:115]
	flat_load_ushort v115, v[116:117]
	s_waitcnt vmcnt(0) lgkmcnt(0)
	v_cmp_lt_i16_e64 s35, v114, v115
	v_cndmask_b32_e64 v114, v70, v71, s35
	v_cndmask_b32_e64 v71, v71, v70, s35
	v_mov_b32_e32 v70, v114
	s_or_b32 exec_lo, exec_lo, s38
	s_and_saveexec_b32 s38, s93
	s_cbranch_execnz .LBB1044_1230
.LBB1044_1709:
	s_or_b32 exec_lo, exec_lo, s38
	s_and_saveexec_b32 s38, s94
	s_cbranch_execz .LBB1044_1231
.LBB1044_1710:
	v_bfe_i32 v114, v66, 0, 16
	v_bfe_i32 v116, v67, 0, 16
	v_ashrrev_i32_e32 v115, 31, v114
	v_ashrrev_i32_e32 v117, 31, v116
	v_lshlrev_b64 v[114:115], 1, v[114:115]
	v_lshlrev_b64 v[116:117], 1, v[116:117]
	v_add_co_u32 v114, s35, v6, v114
	v_add_co_ci_u32_e64 v115, null, v7, v115, s35
	v_add_co_u32 v116, s35, v6, v116
	v_add_co_ci_u32_e64 v117, null, v7, v117, s35
	s_clause 0x1
	flat_load_ushort v114, v[114:115]
	flat_load_ushort v115, v[116:117]
	s_waitcnt vmcnt(0) lgkmcnt(0)
	v_cmp_lt_i16_e64 s35, v114, v115
	v_cndmask_b32_e64 v114, v66, v67, s35
	v_cndmask_b32_e64 v67, v67, v66, s35
	v_mov_b32_e32 v66, v114
	s_or_b32 exec_lo, exec_lo, s38
	s_and_saveexec_b32 s38, s95
	s_cbranch_execnz .LBB1044_1232
.LBB1044_1711:
	s_or_b32 exec_lo, exec_lo, s38
	s_and_saveexec_b32 s38, vcc_hi
	s_cbranch_execz .LBB1044_1233
.LBB1044_1712:
	v_bfe_i32 v114, v53, 0, 16
	v_bfe_i32 v116, v54, 0, 16
	v_ashrrev_i32_e32 v115, 31, v114
	v_ashrrev_i32_e32 v117, 31, v116
	v_lshlrev_b64 v[114:115], 1, v[114:115]
	v_lshlrev_b64 v[116:117], 1, v[116:117]
	v_add_co_u32 v114, s35, v6, v114
	v_add_co_ci_u32_e64 v115, null, v7, v115, s35
	v_add_co_u32 v116, s35, v6, v116
	v_add_co_ci_u32_e64 v117, null, v7, v117, s35
	s_clause 0x1
	flat_load_ushort v114, v[114:115]
	flat_load_ushort v115, v[116:117]
	s_waitcnt vmcnt(0) lgkmcnt(0)
	v_cmp_lt_i16_e64 s35, v114, v115
	v_cndmask_b32_e64 v114, v53, v54, s35
	v_cndmask_b32_e64 v54, v54, v53, s35
	v_mov_b32_e32 v53, v114
	s_or_b32 exec_lo, exec_lo, s38
	s_and_saveexec_b32 s38, s30
	s_cbranch_execnz .LBB1044_1234
.LBB1044_1713:
	s_or_b32 exec_lo, exec_lo, s38
	s_and_saveexec_b32 s38, s31
	s_cbranch_execz .LBB1044_1235
.LBB1044_1714:
	v_bfe_i32 v114, v50, 0, 16
	v_bfe_i32 v116, v51, 0, 16
	v_ashrrev_i32_e32 v115, 31, v114
	v_ashrrev_i32_e32 v117, 31, v116
	v_lshlrev_b64 v[114:115], 1, v[114:115]
	v_lshlrev_b64 v[116:117], 1, v[116:117]
	v_add_co_u32 v114, s35, v6, v114
	v_add_co_ci_u32_e64 v115, null, v7, v115, s35
	v_add_co_u32 v116, s35, v6, v116
	v_add_co_ci_u32_e64 v117, null, v7, v117, s35
	s_clause 0x1
	flat_load_ushort v114, v[114:115]
	flat_load_ushort v115, v[116:117]
	s_waitcnt vmcnt(0) lgkmcnt(0)
	v_cmp_lt_i16_e64 s35, v114, v115
	v_cndmask_b32_e64 v114, v51, v50, s35
	v_cndmask_b32_e64 v50, v50, v51, s35
	v_mov_b32_e32 v51, v114
	s_or_b32 exec_lo, exec_lo, s38
	s_and_saveexec_b32 s38, s34
	s_cbranch_execnz .LBB1044_1236
.LBB1044_1715:
	s_or_b32 exec_lo, exec_lo, s38
	s_and_saveexec_b32 s35, s8
	s_cbranch_execz .LBB1044_1237
.LBB1044_1716:
	v_bfe_i32 v114, v102, 0, 16
	v_bfe_i32 v116, v99, 0, 16
	v_ashrrev_i32_e32 v115, 31, v114
	v_ashrrev_i32_e32 v117, 31, v116
	v_lshlrev_b64 v[114:115], 1, v[114:115]
	v_lshlrev_b64 v[116:117], 1, v[116:117]
	v_add_co_u32 v114, s8, v6, v114
	v_add_co_ci_u32_e64 v115, null, v7, v115, s8
	v_add_co_u32 v116, s8, v6, v116
	v_add_co_ci_u32_e64 v117, null, v7, v117, s8
	s_clause 0x1
	flat_load_ushort v114, v[114:115]
	flat_load_ushort v115, v[116:117]
	s_waitcnt vmcnt(0) lgkmcnt(0)
	v_cmp_lt_i16_e64 s8, v114, v115
	v_cndmask_b32_e64 v114, v102, v99, s8
	v_cndmask_b32_e64 v99, v99, v102, s8
	v_mov_b32_e32 v102, v114
	s_or_b32 exec_lo, exec_lo, s35
	s_and_saveexec_b32 s35, s9
	s_cbranch_execnz .LBB1044_1238
.LBB1044_1717:
	s_or_b32 exec_lo, exec_lo, s35
	s_and_saveexec_b32 s9, s12
	s_cbranch_execz .LBB1044_1239
.LBB1044_1718:
	v_bfe_i32 v114, v97, 0, 16
	v_bfe_i32 v116, v98, 0, 16
	v_ashrrev_i32_e32 v115, 31, v114
	v_ashrrev_i32_e32 v117, 31, v116
	v_lshlrev_b64 v[114:115], 1, v[114:115]
	v_lshlrev_b64 v[116:117], 1, v[116:117]
	v_add_co_u32 v114, s8, v6, v114
	v_add_co_ci_u32_e64 v115, null, v7, v115, s8
	v_add_co_u32 v116, s8, v6, v116
	v_add_co_ci_u32_e64 v117, null, v7, v117, s8
	s_clause 0x1
	flat_load_ushort v114, v[114:115]
	flat_load_ushort v115, v[116:117]
	s_waitcnt vmcnt(0) lgkmcnt(0)
	v_cmp_lt_i16_e64 s8, v114, v115
	v_cndmask_b32_e64 v114, v97, v98, s8
	v_cndmask_b32_e64 v98, v98, v97, s8
	v_mov_b32_e32 v97, v114
	s_or_b32 exec_lo, exec_lo, s9
	s_and_saveexec_b32 s9, s13
	s_cbranch_execnz .LBB1044_1240
.LBB1044_1719:
	s_or_b32 exec_lo, exec_lo, s9
	s_and_saveexec_b32 s9, s57
	s_cbranch_execz .LBB1044_1241
.LBB1044_1720:
	v_bfe_i32 v114, v85, 0, 16
	v_bfe_i32 v116, v86, 0, 16
	v_ashrrev_i32_e32 v115, 31, v114
	v_ashrrev_i32_e32 v117, 31, v116
	v_lshlrev_b64 v[114:115], 1, v[114:115]
	v_lshlrev_b64 v[116:117], 1, v[116:117]
	v_add_co_u32 v114, s8, v6, v114
	v_add_co_ci_u32_e64 v115, null, v7, v115, s8
	v_add_co_u32 v116, s8, v6, v116
	v_add_co_ci_u32_e64 v117, null, v7, v117, s8
	s_clause 0x1
	flat_load_ushort v114, v[114:115]
	flat_load_ushort v115, v[116:117]
	s_waitcnt vmcnt(0) lgkmcnt(0)
	v_cmp_lt_i16_e64 s8, v114, v115
	v_cndmask_b32_e64 v114, v85, v86, s8
	v_cndmask_b32_e64 v86, v86, v85, s8
	v_mov_b32_e32 v85, v114
	s_or_b32 exec_lo, exec_lo, s9
	s_and_saveexec_b32 s9, s58
	s_cbranch_execnz .LBB1044_1242
.LBB1044_1721:
	s_or_b32 exec_lo, exec_lo, s9
	s_and_saveexec_b32 s9, s59
	s_cbranch_execz .LBB1044_1243
.LBB1044_1722:
	v_bfe_i32 v114, v81, 0, 16
	v_bfe_i32 v116, v82, 0, 16
	v_ashrrev_i32_e32 v115, 31, v114
	v_ashrrev_i32_e32 v117, 31, v116
	v_lshlrev_b64 v[114:115], 1, v[114:115]
	v_lshlrev_b64 v[116:117], 1, v[116:117]
	v_add_co_u32 v114, s8, v6, v114
	v_add_co_ci_u32_e64 v115, null, v7, v115, s8
	v_add_co_u32 v116, s8, v6, v116
	v_add_co_ci_u32_e64 v117, null, v7, v117, s8
	s_clause 0x1
	flat_load_ushort v114, v[114:115]
	flat_load_ushort v115, v[116:117]
	s_waitcnt vmcnt(0) lgkmcnt(0)
	v_cmp_lt_i16_e64 s8, v114, v115
	v_cndmask_b32_e64 v114, v81, v82, s8
	v_cndmask_b32_e64 v82, v82, v81, s8
	v_mov_b32_e32 v81, v114
	s_or_b32 exec_lo, exec_lo, s9
	s_and_saveexec_b32 s9, s60
	s_cbranch_execnz .LBB1044_1244
.LBB1044_1723:
	s_or_b32 exec_lo, exec_lo, s9
	s_and_saveexec_b32 s9, s61
	s_cbranch_execz .LBB1044_1245
.LBB1044_1724:
	v_bfe_i32 v114, v69, 0, 16
	v_bfe_i32 v116, v70, 0, 16
	v_ashrrev_i32_e32 v115, 31, v114
	v_ashrrev_i32_e32 v117, 31, v116
	v_lshlrev_b64 v[114:115], 1, v[114:115]
	v_lshlrev_b64 v[116:117], 1, v[116:117]
	v_add_co_u32 v114, s8, v6, v114
	v_add_co_ci_u32_e64 v115, null, v7, v115, s8
	v_add_co_u32 v116, s8, v6, v116
	v_add_co_ci_u32_e64 v117, null, v7, v117, s8
	s_clause 0x1
	flat_load_ushort v114, v[114:115]
	flat_load_ushort v115, v[116:117]
	s_waitcnt vmcnt(0) lgkmcnt(0)
	v_cmp_lt_i16_e64 s8, v114, v115
	v_cndmask_b32_e64 v114, v69, v70, s8
	v_cndmask_b32_e64 v70, v70, v69, s8
	v_mov_b32_e32 v69, v114
	s_or_b32 exec_lo, exec_lo, s9
	s_and_saveexec_b32 s9, s62
	s_cbranch_execnz .LBB1044_1246
.LBB1044_1725:
	s_or_b32 exec_lo, exec_lo, s9
	s_and_saveexec_b32 s9, s63
	s_cbranch_execz .LBB1044_1247
.LBB1044_1726:
	v_bfe_i32 v114, v65, 0, 16
	v_bfe_i32 v116, v66, 0, 16
	v_ashrrev_i32_e32 v115, 31, v114
	v_ashrrev_i32_e32 v117, 31, v116
	v_lshlrev_b64 v[114:115], 1, v[114:115]
	v_lshlrev_b64 v[116:117], 1, v[116:117]
	v_add_co_u32 v114, s8, v6, v114
	v_add_co_ci_u32_e64 v115, null, v7, v115, s8
	v_add_co_u32 v116, s8, v6, v116
	v_add_co_ci_u32_e64 v117, null, v7, v117, s8
	s_clause 0x1
	flat_load_ushort v114, v[114:115]
	flat_load_ushort v115, v[116:117]
	s_waitcnt vmcnt(0) lgkmcnt(0)
	v_cmp_lt_i16_e64 s8, v114, v115
	v_cndmask_b32_e64 v114, v65, v66, s8
	v_cndmask_b32_e64 v66, v66, v65, s8
	v_mov_b32_e32 v65, v114
	s_or_b32 exec_lo, exec_lo, s9
	s_and_saveexec_b32 s9, s72
	s_cbranch_execnz .LBB1044_1248
.LBB1044_1727:
	s_or_b32 exec_lo, exec_lo, s9
	s_and_saveexec_b32 s9, s73
	s_cbranch_execz .LBB1044_1249
.LBB1044_1728:
	v_bfe_i32 v114, v64, 0, 16
	v_bfe_i32 v116, v53, 0, 16
	v_ashrrev_i32_e32 v115, 31, v114
	v_ashrrev_i32_e32 v117, 31, v116
	v_lshlrev_b64 v[114:115], 1, v[114:115]
	v_lshlrev_b64 v[116:117], 1, v[116:117]
	v_add_co_u32 v114, s8, v6, v114
	v_add_co_ci_u32_e64 v115, null, v7, v115, s8
	v_add_co_u32 v116, s8, v6, v116
	v_add_co_ci_u32_e64 v117, null, v7, v117, s8
	s_clause 0x1
	flat_load_ushort v114, v[114:115]
	flat_load_ushort v115, v[116:117]
	s_waitcnt vmcnt(0) lgkmcnt(0)
	v_cmp_lt_i16_e64 s8, v114, v115
	v_cndmask_b32_e64 v114, v64, v53, s8
	v_cndmask_b32_e64 v53, v53, v64, s8
	v_mov_b32_e32 v64, v114
	s_or_b32 exec_lo, exec_lo, s9
	s_and_saveexec_b32 s9, s74
	s_cbranch_execnz .LBB1044_1250
.LBB1044_1729:
	s_or_b32 exec_lo, exec_lo, s9
	s_and_saveexec_b32 s9, s75
	s_cbranch_execz .LBB1044_1251
.LBB1044_1730:
	v_bfe_i32 v114, v49, 0, 16
	v_bfe_i32 v116, v50, 0, 16
	v_ashrrev_i32_e32 v115, 31, v114
	v_ashrrev_i32_e32 v117, 31, v116
	v_lshlrev_b64 v[114:115], 1, v[114:115]
	v_lshlrev_b64 v[116:117], 1, v[116:117]
	v_add_co_u32 v114, s8, v6, v114
	v_add_co_ci_u32_e64 v115, null, v7, v115, s8
	v_add_co_u32 v116, s8, v6, v116
	v_add_co_ci_u32_e64 v117, null, v7, v117, s8
	s_clause 0x1
	flat_load_ushort v114, v[114:115]
	flat_load_ushort v115, v[116:117]
	s_waitcnt vmcnt(0) lgkmcnt(0)
	v_cmp_lt_i16_e64 s8, v114, v115
	v_cndmask_b32_e64 v114, v50, v49, s8
	v_cndmask_b32_e64 v49, v49, v50, s8
	v_mov_b32_e32 v50, v114
	s_or_b32 exec_lo, exec_lo, s9
	s_and_saveexec_b32 s9, s76
	s_cbranch_execnz .LBB1044_1252
.LBB1044_1731:
	s_or_b32 exec_lo, exec_lo, s9
	s_and_saveexec_b32 s9, s77
	s_cbranch_execz .LBB1044_1253
.LBB1044_1732:
	v_bfe_i32 v114, v101, 0, 16
	v_bfe_i32 v116, v102, 0, 16
	v_ashrrev_i32_e32 v115, 31, v114
	v_ashrrev_i32_e32 v117, 31, v116
	v_lshlrev_b64 v[114:115], 1, v[114:115]
	v_lshlrev_b64 v[116:117], 1, v[116:117]
	v_add_co_u32 v114, s8, v6, v114
	v_add_co_ci_u32_e64 v115, null, v7, v115, s8
	v_add_co_u32 v116, s8, v6, v116
	v_add_co_ci_u32_e64 v117, null, v7, v117, s8
	s_clause 0x1
	flat_load_ushort v114, v[114:115]
	flat_load_ushort v115, v[116:117]
	s_waitcnt vmcnt(0) lgkmcnt(0)
	v_cmp_lt_i16_e64 s8, v114, v115
	v_cndmask_b32_e64 v114, v101, v102, s8
	v_cndmask_b32_e64 v102, v102, v101, s8
	v_mov_b32_e32 v101, v114
	s_or_b32 exec_lo, exec_lo, s9
	s_and_saveexec_b32 s9, s78
	s_cbranch_execnz .LBB1044_1254
.LBB1044_1733:
	s_or_b32 exec_lo, exec_lo, s9
	s_and_saveexec_b32 s9, s79
	s_cbranch_execz .LBB1044_1255
.LBB1044_1734:
	v_bfe_i32 v114, v96, 0, 16
	v_bfe_i32 v116, v97, 0, 16
	v_ashrrev_i32_e32 v115, 31, v114
	v_ashrrev_i32_e32 v117, 31, v116
	v_lshlrev_b64 v[114:115], 1, v[114:115]
	v_lshlrev_b64 v[116:117], 1, v[116:117]
	v_add_co_u32 v114, s8, v6, v114
	v_add_co_ci_u32_e64 v115, null, v7, v115, s8
	v_add_co_u32 v116, s8, v6, v116
	v_add_co_ci_u32_e64 v117, null, v7, v117, s8
	s_clause 0x1
	flat_load_ushort v114, v[114:115]
	flat_load_ushort v115, v[116:117]
	s_waitcnt vmcnt(0) lgkmcnt(0)
	v_cmp_lt_i16_e64 s8, v114, v115
	v_cndmask_b32_e64 v114, v96, v97, s8
	v_cndmask_b32_e64 v97, v97, v96, s8
	v_mov_b32_e32 v96, v114
	s_or_b32 exec_lo, exec_lo, s9
	s_and_saveexec_b32 s9, s88
	s_cbranch_execnz .LBB1044_1256
.LBB1044_1735:
	s_or_b32 exec_lo, exec_lo, s9
	s_and_saveexec_b32 s9, s89
	s_cbranch_execz .LBB1044_1257
.LBB1044_1736:
	v_bfe_i32 v114, v84, 0, 16
	v_bfe_i32 v116, v85, 0, 16
	v_ashrrev_i32_e32 v115, 31, v114
	v_ashrrev_i32_e32 v117, 31, v116
	v_lshlrev_b64 v[114:115], 1, v[114:115]
	v_lshlrev_b64 v[116:117], 1, v[116:117]
	v_add_co_u32 v114, s8, v6, v114
	v_add_co_ci_u32_e64 v115, null, v7, v115, s8
	v_add_co_u32 v116, s8, v6, v116
	v_add_co_ci_u32_e64 v117, null, v7, v117, s8
	s_clause 0x1
	flat_load_ushort v114, v[114:115]
	flat_load_ushort v115, v[116:117]
	s_waitcnt vmcnt(0) lgkmcnt(0)
	v_cmp_lt_i16_e64 s8, v114, v115
	v_cndmask_b32_e64 v114, v84, v85, s8
	v_cndmask_b32_e64 v85, v85, v84, s8
	v_mov_b32_e32 v84, v114
	s_or_b32 exec_lo, exec_lo, s9
	s_and_saveexec_b32 s9, s90
	s_cbranch_execnz .LBB1044_1258
.LBB1044_1737:
	s_or_b32 exec_lo, exec_lo, s9
	s_and_saveexec_b32 s9, s91
	s_cbranch_execz .LBB1044_1259
.LBB1044_1738:
	v_bfe_i32 v114, v80, 0, 16
	v_bfe_i32 v116, v81, 0, 16
	v_ashrrev_i32_e32 v115, 31, v114
	v_ashrrev_i32_e32 v117, 31, v116
	v_lshlrev_b64 v[114:115], 1, v[114:115]
	v_lshlrev_b64 v[116:117], 1, v[116:117]
	v_add_co_u32 v114, s8, v6, v114
	v_add_co_ci_u32_e64 v115, null, v7, v115, s8
	v_add_co_u32 v116, s8, v6, v116
	v_add_co_ci_u32_e64 v117, null, v7, v117, s8
	s_clause 0x1
	flat_load_ushort v114, v[114:115]
	flat_load_ushort v115, v[116:117]
	s_waitcnt vmcnt(0) lgkmcnt(0)
	v_cmp_lt_i16_e64 s8, v114, v115
	v_cndmask_b32_e64 v114, v80, v81, s8
	v_cndmask_b32_e64 v81, v81, v80, s8
	v_mov_b32_e32 v80, v114
	s_or_b32 exec_lo, exec_lo, s9
	s_and_saveexec_b32 s9, s92
	s_cbranch_execnz .LBB1044_1260
.LBB1044_1739:
	s_or_b32 exec_lo, exec_lo, s9
	s_and_saveexec_b32 s9, s93
	s_cbranch_execz .LBB1044_1261
.LBB1044_1740:
	v_bfe_i32 v114, v68, 0, 16
	v_bfe_i32 v116, v69, 0, 16
	v_ashrrev_i32_e32 v115, 31, v114
	v_ashrrev_i32_e32 v117, 31, v116
	v_lshlrev_b64 v[114:115], 1, v[114:115]
	v_lshlrev_b64 v[116:117], 1, v[116:117]
	v_add_co_u32 v114, s8, v6, v114
	v_add_co_ci_u32_e64 v115, null, v7, v115, s8
	v_add_co_u32 v116, s8, v6, v116
	v_add_co_ci_u32_e64 v117, null, v7, v117, s8
	s_clause 0x1
	flat_load_ushort v114, v[114:115]
	flat_load_ushort v115, v[116:117]
	s_waitcnt vmcnt(0) lgkmcnt(0)
	v_cmp_lt_i16_e64 s8, v114, v115
	v_cndmask_b32_e64 v114, v68, v69, s8
	v_cndmask_b32_e64 v69, v69, v68, s8
	v_mov_b32_e32 v68, v114
	s_or_b32 exec_lo, exec_lo, s9
	s_and_saveexec_b32 s9, s94
	s_cbranch_execnz .LBB1044_1262
.LBB1044_1741:
	s_or_b32 exec_lo, exec_lo, s9
	s_and_saveexec_b32 s9, s95
	s_cbranch_execz .LBB1044_1263
.LBB1044_1742:
	v_bfe_i32 v114, v55, 0, 16
	v_bfe_i32 v116, v65, 0, 16
	v_ashrrev_i32_e32 v115, 31, v114
	v_ashrrev_i32_e32 v117, 31, v116
	v_lshlrev_b64 v[114:115], 1, v[114:115]
	v_lshlrev_b64 v[116:117], 1, v[116:117]
	v_add_co_u32 v114, s8, v6, v114
	v_add_co_ci_u32_e64 v115, null, v7, v115, s8
	v_add_co_u32 v116, s8, v6, v116
	v_add_co_ci_u32_e64 v117, null, v7, v117, s8
	s_clause 0x1
	flat_load_ushort v114, v[114:115]
	flat_load_ushort v115, v[116:117]
	s_waitcnt vmcnt(0) lgkmcnt(0)
	v_cmp_lt_i16_e64 s8, v114, v115
	v_cndmask_b32_e64 v114, v55, v65, s8
	v_cndmask_b32_e64 v65, v65, v55, s8
	v_mov_b32_e32 v55, v114
	s_or_b32 exec_lo, exec_lo, s9
	s_and_saveexec_b32 s9, vcc_hi
	s_cbranch_execnz .LBB1044_1264
.LBB1044_1743:
	s_or_b32 exec_lo, exec_lo, s9
	s_and_saveexec_b32 s9, s30
	s_cbranch_execz .LBB1044_1265
.LBB1044_1744:
	v_bfe_i32 v114, v52, 0, 16
	v_bfe_i32 v116, v64, 0, 16
	v_ashrrev_i32_e32 v115, 31, v114
	v_ashrrev_i32_e32 v117, 31, v116
	v_lshlrev_b64 v[114:115], 1, v[114:115]
	v_lshlrev_b64 v[116:117], 1, v[116:117]
	v_add_co_u32 v114, s8, v6, v114
	v_add_co_ci_u32_e64 v115, null, v7, v115, s8
	v_add_co_u32 v116, s8, v6, v116
	v_add_co_ci_u32_e64 v117, null, v7, v117, s8
	s_clause 0x1
	flat_load_ushort v114, v[114:115]
	flat_load_ushort v115, v[116:117]
	s_waitcnt vmcnt(0) lgkmcnt(0)
	v_cmp_lt_i16_e64 s8, v114, v115
	v_cndmask_b32_e64 v114, v64, v52, s8
	v_cndmask_b32_e64 v52, v52, v64, s8
	v_mov_b32_e32 v64, v114
	s_or_b32 exec_lo, exec_lo, s9
	s_and_saveexec_b32 s9, s31
	s_cbranch_execnz .LBB1044_1266
.LBB1044_1745:
	s_or_b32 exec_lo, exec_lo, s9
	s_and_saveexec_b32 s9, s34
	s_cbranch_execz .LBB1044_1747
.LBB1044_1746:
	v_bfe_i32 v114, v103, 0, 16
	v_bfe_i32 v116, v49, 0, 16
	v_ashrrev_i32_e32 v115, 31, v114
	v_ashrrev_i32_e32 v117, 31, v116
	v_lshlrev_b64 v[114:115], 1, v[114:115]
	v_lshlrev_b64 v[116:117], 1, v[116:117]
	v_add_co_u32 v114, s8, v6, v114
	v_add_co_ci_u32_e64 v115, null, v7, v115, s8
	v_add_co_u32 v116, s8, v6, v116
	v_add_co_ci_u32_e64 v117, null, v7, v117, s8
	s_clause 0x1
	flat_load_ushort v114, v[114:115]
	flat_load_ushort v115, v[116:117]
	s_waitcnt vmcnt(0) lgkmcnt(0)
	v_cmp_lt_i16_e64 s8, v114, v115
	v_cndmask_b32_e64 v114, v49, v103, s8
	v_cndmask_b32_e64 v103, v103, v49, s8
	v_mov_b32_e32 v49, v114
.LBB1044_1747:
	s_or_b32 exec_lo, exec_lo, s9
	v_and_b32_e32 v113, 0xfffffc00, v113
	v_mov_b32_e32 v114, 0
	s_mov_b32 s9, 0
	s_mov_b32 s12, exec_lo
	v_sub_nc_u32_e64 v179, v0, v113 clamp
	v_lshlrev_b64 v[114:115], 1, v[113:114]
	v_mbcnt_lo_u32_b32 v115, -1, 0
	v_lshlrev_b32_e32 v180, 5, v115
	v_add_co_u32 v178, null, 0, v114
	v_or_b32_e32 v113, 32, v180
	v_and_b32_e32 v114, 32, v180
	v_and_b32_e32 v245, 0x3c0, v180
	v_lshl_add_u32 v181, v115, 6, v178
	ds_write_b16 v181, v99
	ds_write_b16 v181, v102 offset:2
	ds_write_b16 v181, v101 offset:4
	;; [unrolled: 1-line block ×13, first 2 shown]
	v_min_u32_e32 v243, v179, v113
	v_min_u32_e32 v246, v179, v114
	ds_write_b16 v181, v80 offset:28
	ds_write_b16 v181, v71 offset:30
	;; [unrolled: 1-line block ×9, first 2 shown]
	v_add_nc_u32_e32 v113, 32, v243
	v_sub_nc_u32_e32 v114, v243, v245
	ds_write_b16 v181, v54 offset:46
	ds_write_b16 v181, v53 offset:48
	;; [unrolled: 1-line block ×9, first 2 shown]
	v_min_u32_e32 v244, v179, v113
	; wave barrier
	v_sub_nc_u32_e32 v113, v244, v243
	v_sub_nc_u32_e64 v247, v246, v113 clamp
	v_min_u32_e32 v113, v246, v114
	v_cmpx_lt_u32_e64 v247, v113
	s_cbranch_execz .LBB1044_1751
; %bb.1748:
	v_lshlrev_b32_e32 v114, 1, v245
	v_lshlrev_b32_e32 v115, 1, v243
	v_add_co_u32 v114, null, v178, v114
	v_add_co_u32 v115, null, v178, v115
	s_inst_prefetch 0x1
	.p2align	6
.LBB1044_1749:                          ; =>This Inner Loop Header: Depth=1
	v_add_nc_u32_e32 v116, v113, v247
	v_lshrrev_b32_e32 v128, 1, v116
	v_and_b32_e32 v116, -2, v116
	v_xad_u32 v117, v128, -1, v246
	v_add_nc_u32_e32 v116, v114, v116
	v_lshl_add_u32 v117, v117, 1, v115
	ds_read_u16 v116, v116
	ds_read_u16 v117, v117
	s_waitcnt lgkmcnt(1)
	v_bfe_i32 v116, v116, 0, 16
	s_waitcnt lgkmcnt(0)
	v_bfe_i32 v118, v117, 0, 16
	v_ashrrev_i32_e32 v117, 31, v116
	v_ashrrev_i32_e32 v119, 31, v118
	v_lshlrev_b64 v[116:117], 1, v[116:117]
	v_lshlrev_b64 v[118:119], 1, v[118:119]
	v_add_co_u32 v116, s8, v6, v116
	v_add_co_ci_u32_e64 v117, null, v7, v117, s8
	v_add_co_u32 v118, s8, v6, v118
	v_add_co_ci_u32_e64 v119, null, v7, v119, s8
	s_clause 0x1
	flat_load_ushort v118, v[118:119]
	flat_load_ushort v116, v[116:117]
	v_add_nc_u32_e32 v117, 1, v128
	s_waitcnt vmcnt(0) lgkmcnt(0)
	v_cmp_lt_i16_e64 s8, v118, v116
	v_cndmask_b32_e64 v113, v113, v128, s8
	v_cndmask_b32_e64 v247, v117, v247, s8
	v_cmp_ge_u32_e64 s8, v247, v113
	s_or_b32 s9, s8, s9
	s_andn2_b32 exec_lo, exec_lo, s9
	s_cbranch_execnz .LBB1044_1749
; %bb.1750:
	s_inst_prefetch 0x2
	s_or_b32 exec_lo, exec_lo, s9
.LBB1044_1751:
	s_or_b32 exec_lo, exec_lo, s12
	v_add_nc_u32_e32 v246, v243, v246
	v_add_nc_u32_e32 v245, v247, v245
	;; [unrolled: 1-line block ×5, first 2 shown]
	v_sub_nc_u32_e32 v246, v246, v247
	v_cmp_le_u32_e64 s8, v245, v243
	v_or_b32_e32 v115, 2, v39
	v_add_nc_u32_e32 v116, 4, v39
	v_add_nc_u32_e32 v117, 6, v39
	v_cmp_le_u32_e64 s9, v246, v244
	v_add_nc_u32_e32 v118, 8, v39
	v_add_nc_u32_e32 v119, 10, v39
	;; [unrolled: 1-line block ×59, first 2 shown]
	s_or_b32 s8, s8, s9
	s_and_saveexec_b32 s12, s8
	s_cbranch_execz .LBB1044_1883
; %bb.1752:
	v_cmp_ge_u32_e64 s8, v245, v243
	s_mov_b32 s13, exec_lo
                                        ; implicit-def: $vgpr99
	v_cmpx_lt_u32_e64 v245, v243
; %bb.1753:
	v_lshl_add_u32 v48, v245, 1, v178
	ds_read_u16 v99, v48
; %bb.1754:
	s_or_b32 exec_lo, exec_lo, s13
	v_cmp_ge_u32_e64 s13, v246, v244
	s_mov_b32 s57, exec_lo
                                        ; implicit-def: $vgpr103
	v_cmpx_lt_u32_e64 v246, v244
; %bb.1755:
	v_lshl_add_u32 v48, v246, 1, v178
	ds_read_u16 v103, v48
; %bb.1756:
	s_or_b32 exec_lo, exec_lo, s57
	s_nor_b32 s8, s8, s13
	s_and_saveexec_b32 s9, s8
	s_cbranch_execz .LBB1044_1758
; %bb.1757:
	s_waitcnt lgkmcnt(0)
	v_bfe_i32 v48, v103, 0, 16
	v_bfe_i32 v50, v99, 0, 16
	s_andn2_b32 s13, s13, exec_lo
	v_ashrrev_i32_e32 v49, 31, v48
	v_ashrrev_i32_e32 v51, 31, v50
	v_lshlrev_b64 v[48:49], 1, v[48:49]
	v_lshlrev_b64 v[50:51], 1, v[50:51]
	v_add_co_u32 v48, s8, v6, v48
	v_add_co_ci_u32_e64 v49, null, v7, v49, s8
	v_add_co_u32 v50, s8, v6, v50
	v_add_co_ci_u32_e64 v51, null, v7, v51, s8
	s_clause 0x1
	flat_load_ushort v48, v[48:49]
	flat_load_ushort v49, v[50:51]
	s_waitcnt vmcnt(0) lgkmcnt(0)
	v_cmp_ge_i16_e64 s8, v48, v49
	s_and_b32 s8, s8, exec_lo
	s_or_b32 s13, s13, s8
.LBB1044_1758:
	s_or_b32 exec_lo, exec_lo, s9
	v_cndmask_b32_e64 v48, v246, v245, s13
	v_cndmask_b32_e64 v49, v244, v243, s13
	s_mov_b32 s57, -1
	s_mov_b32 s9, -1
	s_mov_b32 s58, exec_lo
	v_add_nc_u32_e32 v50, 1, v48
	v_add_nc_u32_e32 v48, -1, v49
	v_cndmask_b32_e64 v49, v245, v50, s13
	v_min_u32_e32 v48, v50, v48
	v_lshl_add_u32 v48, v48, 1, v178
	ds_read_u16 v51, v48
	v_cndmask_b32_e64 v48, v50, v246, s13
	s_waitcnt lgkmcnt(0)
	v_cndmask_b32_e64 v102, v51, v103, s13
	v_cndmask_b32_e64 v245, v99, v51, s13
	v_cmpx_lt_u32_e64 v48, v244
	s_cbranch_execz .LBB1044_1762
; %bb.1759:
	s_mov_b32 s59, 0
	s_mov_b32 s9, exec_lo
	v_cmpx_lt_u32_e64 v49, v243
	s_cbranch_execz .LBB1044_1761
; %bb.1760:
	v_bfe_i32 v50, v102, 0, 16
	v_bfe_i32 v52, v245, 0, 16
	v_ashrrev_i32_e32 v51, 31, v50
	v_ashrrev_i32_e32 v53, 31, v52
	v_lshlrev_b64 v[50:51], 1, v[50:51]
	v_lshlrev_b64 v[52:53], 1, v[52:53]
	v_add_co_u32 v50, s8, v6, v50
	v_add_co_ci_u32_e64 v51, null, v7, v51, s8
	v_add_co_u32 v52, s8, v6, v52
	v_add_co_ci_u32_e64 v53, null, v7, v53, s8
	s_clause 0x1
	flat_load_ushort v50, v[50:51]
	flat_load_ushort v51, v[52:53]
	s_waitcnt vmcnt(0) lgkmcnt(0)
	v_cmp_ge_i16_e64 s8, v50, v51
	s_and_b32 s59, s8, exec_lo
.LBB1044_1761:
	s_or_b32 exec_lo, exec_lo, s9
	s_orn2_b32 s9, s59, exec_lo
.LBB1044_1762:
	s_or_b32 exec_lo, exec_lo, s58
	v_cndmask_b32_e64 v50, v48, v49, s9
	v_cndmask_b32_e64 v51, v244, v243, s9
	s_mov_b32 s58, exec_lo
	v_add_nc_u32_e32 v50, 1, v50
	v_add_nc_u32_e32 v51, -1, v51
	v_cndmask_b32_e64 v48, v50, v48, s9
	v_min_u32_e32 v51, v50, v51
	v_cndmask_b32_e64 v49, v49, v50, s9
	v_lshl_add_u32 v51, v51, 1, v178
	ds_read_u16 v51, v51
	s_waitcnt lgkmcnt(0)
	v_cndmask_b32_e64 v101, v51, v102, s9
	v_cndmask_b32_e64 v246, v245, v51, s9
	v_cmpx_lt_u32_e64 v48, v244
	s_cbranch_execz .LBB1044_1766
; %bb.1763:
	s_mov_b32 s59, 0
	s_mov_b32 s57, exec_lo
	v_cmpx_lt_u32_e64 v49, v243
	s_cbranch_execz .LBB1044_1765
; %bb.1764:
	v_bfe_i32 v50, v101, 0, 16
	v_bfe_i32 v52, v246, 0, 16
	v_ashrrev_i32_e32 v51, 31, v50
	v_ashrrev_i32_e32 v53, 31, v52
	v_lshlrev_b64 v[50:51], 1, v[50:51]
	v_lshlrev_b64 v[52:53], 1, v[52:53]
	v_add_co_u32 v50, s8, v6, v50
	v_add_co_ci_u32_e64 v51, null, v7, v51, s8
	v_add_co_u32 v52, s8, v6, v52
	v_add_co_ci_u32_e64 v53, null, v7, v53, s8
	s_clause 0x1
	flat_load_ushort v50, v[50:51]
	flat_load_ushort v51, v[52:53]
	s_waitcnt vmcnt(0) lgkmcnt(0)
	v_cmp_ge_i16_e64 s8, v50, v51
	s_and_b32 s59, s8, exec_lo
.LBB1044_1765:
	s_or_b32 exec_lo, exec_lo, s57
	s_orn2_b32 s57, s59, exec_lo
.LBB1044_1766:
	s_or_b32 exec_lo, exec_lo, s58
	v_cndmask_b32_e64 v50, v48, v49, s57
	v_cndmask_b32_e64 v51, v244, v243, s57
	s_mov_b32 s59, -1
	s_mov_b32 s58, -1
	s_mov_b32 s60, exec_lo
	v_add_nc_u32_e32 v50, 1, v50
	v_add_nc_u32_e32 v51, -1, v51
	v_cndmask_b32_e64 v48, v50, v48, s57
	v_min_u32_e32 v51, v50, v51
	v_cndmask_b32_e64 v49, v49, v50, s57
	v_lshl_add_u32 v51, v51, 1, v178
	ds_read_u16 v51, v51
	s_waitcnt lgkmcnt(0)
	v_cndmask_b32_e64 v100, v51, v101, s57
	v_cndmask_b32_e64 v247, v246, v51, s57
	v_cmpx_lt_u32_e64 v48, v244
	s_cbranch_execz .LBB1044_1770
; %bb.1767:
	s_mov_b32 s61, 0
	s_mov_b32 s58, exec_lo
	v_cmpx_lt_u32_e64 v49, v243
	s_cbranch_execz .LBB1044_1769
; %bb.1768:
	v_bfe_i32 v50, v100, 0, 16
	v_bfe_i32 v52, v247, 0, 16
	v_ashrrev_i32_e32 v51, 31, v50
	v_ashrrev_i32_e32 v53, 31, v52
	v_lshlrev_b64 v[50:51], 1, v[50:51]
	v_lshlrev_b64 v[52:53], 1, v[52:53]
	v_add_co_u32 v50, s8, v6, v50
	v_add_co_ci_u32_e64 v51, null, v7, v51, s8
	v_add_co_u32 v52, s8, v6, v52
	v_add_co_ci_u32_e64 v53, null, v7, v53, s8
	s_clause 0x1
	flat_load_ushort v50, v[50:51]
	flat_load_ushort v51, v[52:53]
	s_waitcnt vmcnt(0) lgkmcnt(0)
	v_cmp_ge_i16_e64 s8, v50, v51
	s_and_b32 s61, s8, exec_lo
.LBB1044_1769:
	s_or_b32 exec_lo, exec_lo, s58
	s_orn2_b32 s58, s61, exec_lo
.LBB1044_1770:
	s_or_b32 exec_lo, exec_lo, s60
	v_cndmask_b32_e64 v50, v48, v49, s58
	v_cndmask_b32_e64 v51, v244, v243, s58
	s_mov_b32 s60, exec_lo
	v_add_nc_u32_e32 v50, 1, v50
	v_add_nc_u32_e32 v51, -1, v51
	v_cndmask_b32_e64 v48, v50, v48, s58
	v_min_u32_e32 v51, v50, v51
	v_cndmask_b32_e64 v49, v49, v50, s58
	v_lshl_add_u32 v51, v51, 1, v178
	ds_read_u16 v51, v51
	s_waitcnt lgkmcnt(0)
	v_cndmask_b32_e64 v98, v51, v100, s58
	v_cndmask_b32_e64 v40, v247, v51, s58
	v_cmpx_lt_u32_e64 v48, v244
	s_cbranch_execz .LBB1044_1774
; %bb.1771:
	s_mov_b32 s61, 0
	s_mov_b32 s59, exec_lo
	v_cmpx_lt_u32_e64 v49, v243
	s_cbranch_execz .LBB1044_1773
; %bb.1772:
	v_bfe_i32 v50, v98, 0, 16
	v_bfe_i32 v52, v40, 0, 16
	v_ashrrev_i32_e32 v51, 31, v50
	v_ashrrev_i32_e32 v53, 31, v52
	v_lshlrev_b64 v[50:51], 1, v[50:51]
	v_lshlrev_b64 v[52:53], 1, v[52:53]
	v_add_co_u32 v50, s8, v6, v50
	v_add_co_ci_u32_e64 v51, null, v7, v51, s8
	v_add_co_u32 v52, s8, v6, v52
	v_add_co_ci_u32_e64 v53, null, v7, v53, s8
	s_clause 0x1
	flat_load_ushort v50, v[50:51]
	flat_load_ushort v51, v[52:53]
	s_waitcnt vmcnt(0) lgkmcnt(0)
	v_cmp_ge_i16_e64 s8, v50, v51
	s_and_b32 s61, s8, exec_lo
.LBB1044_1773:
	s_or_b32 exec_lo, exec_lo, s59
	s_orn2_b32 s59, s61, exec_lo
.LBB1044_1774:
	s_or_b32 exec_lo, exec_lo, s60
	v_cndmask_b32_e64 v50, v48, v49, s59
	v_cndmask_b32_e64 v51, v244, v243, s59
	s_mov_b32 s61, -1
	s_mov_b32 s60, -1
	s_mov_b32 s62, exec_lo
	v_add_nc_u32_e32 v50, 1, v50
	v_add_nc_u32_e32 v51, -1, v51
	v_cndmask_b32_e64 v48, v50, v48, s59
	v_min_u32_e32 v51, v50, v51
	v_cndmask_b32_e64 v49, v49, v50, s59
	v_lshl_add_u32 v51, v51, 1, v178
	ds_read_u16 v51, v51
	s_waitcnt lgkmcnt(0)
	v_cndmask_b32_e64 v97, v51, v98, s59
	v_cndmask_b32_e64 v41, v40, v51, s59
	v_cmpx_lt_u32_e64 v48, v244
	s_cbranch_execz .LBB1044_1778
; %bb.1775:
	s_mov_b32 s63, 0
	s_mov_b32 s60, exec_lo
	v_cmpx_lt_u32_e64 v49, v243
	s_cbranch_execz .LBB1044_1777
; %bb.1776:
	v_bfe_i32 v50, v97, 0, 16
	v_bfe_i32 v52, v41, 0, 16
	v_ashrrev_i32_e32 v51, 31, v50
	v_ashrrev_i32_e32 v53, 31, v52
	v_lshlrev_b64 v[50:51], 1, v[50:51]
	v_lshlrev_b64 v[52:53], 1, v[52:53]
	v_add_co_u32 v50, s8, v6, v50
	v_add_co_ci_u32_e64 v51, null, v7, v51, s8
	v_add_co_u32 v52, s8, v6, v52
	v_add_co_ci_u32_e64 v53, null, v7, v53, s8
	s_clause 0x1
	flat_load_ushort v50, v[50:51]
	flat_load_ushort v51, v[52:53]
	s_waitcnt vmcnt(0) lgkmcnt(0)
	v_cmp_ge_i16_e64 s8, v50, v51
	s_and_b32 s63, s8, exec_lo
.LBB1044_1777:
	s_or_b32 exec_lo, exec_lo, s60
	s_orn2_b32 s60, s63, exec_lo
.LBB1044_1778:
	s_or_b32 exec_lo, exec_lo, s62
	v_cndmask_b32_e64 v50, v48, v49, s60
	v_cndmask_b32_e64 v51, v244, v243, s60
	s_mov_b32 s62, exec_lo
	v_add_nc_u32_e32 v50, 1, v50
	v_add_nc_u32_e32 v51, -1, v51
	v_cndmask_b32_e64 v48, v50, v48, s60
	v_min_u32_e32 v51, v50, v51
	v_cndmask_b32_e64 v49, v49, v50, s60
	v_lshl_add_u32 v51, v51, 1, v178
	ds_read_u16 v51, v51
	s_waitcnt lgkmcnt(0)
	v_cndmask_b32_e64 v96, v51, v97, s60
	v_cndmask_b32_e64 v42, v41, v51, s60
	v_cmpx_lt_u32_e64 v48, v244
	s_cbranch_execz .LBB1044_1782
; %bb.1779:
	s_mov_b32 s63, 0
	s_mov_b32 s61, exec_lo
	v_cmpx_lt_u32_e64 v49, v243
	s_cbranch_execz .LBB1044_1781
; %bb.1780:
	v_bfe_i32 v50, v96, 0, 16
	v_bfe_i32 v52, v42, 0, 16
	v_ashrrev_i32_e32 v51, 31, v50
	v_ashrrev_i32_e32 v53, 31, v52
	v_lshlrev_b64 v[50:51], 1, v[50:51]
	v_lshlrev_b64 v[52:53], 1, v[52:53]
	v_add_co_u32 v50, s8, v6, v50
	v_add_co_ci_u32_e64 v51, null, v7, v51, s8
	v_add_co_u32 v52, s8, v6, v52
	v_add_co_ci_u32_e64 v53, null, v7, v53, s8
	s_clause 0x1
	flat_load_ushort v50, v[50:51]
	flat_load_ushort v51, v[52:53]
	s_waitcnt vmcnt(0) lgkmcnt(0)
	v_cmp_ge_i16_e64 s8, v50, v51
	s_and_b32 s63, s8, exec_lo
.LBB1044_1781:
	s_or_b32 exec_lo, exec_lo, s61
	s_orn2_b32 s61, s63, exec_lo
.LBB1044_1782:
	s_or_b32 exec_lo, exec_lo, s62
	v_cndmask_b32_e64 v50, v48, v49, s61
	v_cndmask_b32_e64 v51, v244, v243, s61
	s_mov_b32 s63, -1
	s_mov_b32 s62, -1
	s_mov_b32 s72, exec_lo
	v_add_nc_u32_e32 v50, 1, v50
	v_add_nc_u32_e32 v51, -1, v51
	v_cndmask_b32_e64 v48, v50, v48, s61
	v_min_u32_e32 v51, v50, v51
	v_cndmask_b32_e64 v49, v49, v50, s61
	v_lshl_add_u32 v51, v51, 1, v178
	ds_read_u16 v51, v51
	s_waitcnt lgkmcnt(0)
	v_cndmask_b32_e64 v87, v51, v96, s61
	v_cndmask_b32_e64 v43, v42, v51, s61
	v_cmpx_lt_u32_e64 v48, v244
	s_cbranch_execz .LBB1044_1786
; %bb.1783:
	s_mov_b32 s73, 0
	s_mov_b32 s62, exec_lo
	v_cmpx_lt_u32_e64 v49, v243
	s_cbranch_execz .LBB1044_1785
; %bb.1784:
	v_bfe_i32 v50, v87, 0, 16
	v_bfe_i32 v52, v43, 0, 16
	v_ashrrev_i32_e32 v51, 31, v50
	v_ashrrev_i32_e32 v53, 31, v52
	v_lshlrev_b64 v[50:51], 1, v[50:51]
	v_lshlrev_b64 v[52:53], 1, v[52:53]
	v_add_co_u32 v50, s8, v6, v50
	v_add_co_ci_u32_e64 v51, null, v7, v51, s8
	v_add_co_u32 v52, s8, v6, v52
	v_add_co_ci_u32_e64 v53, null, v7, v53, s8
	s_clause 0x1
	flat_load_ushort v50, v[50:51]
	flat_load_ushort v51, v[52:53]
	s_waitcnt vmcnt(0) lgkmcnt(0)
	v_cmp_ge_i16_e64 s8, v50, v51
	s_and_b32 s73, s8, exec_lo
.LBB1044_1785:
	s_or_b32 exec_lo, exec_lo, s62
	s_orn2_b32 s62, s73, exec_lo
.LBB1044_1786:
	s_or_b32 exec_lo, exec_lo, s72
	v_cndmask_b32_e64 v50, v48, v49, s62
	v_cndmask_b32_e64 v51, v244, v243, s62
	s_mov_b32 s72, exec_lo
	v_add_nc_u32_e32 v50, 1, v50
	v_add_nc_u32_e32 v51, -1, v51
	v_cndmask_b32_e64 v48, v50, v48, s62
	v_min_u32_e32 v51, v50, v51
	v_cndmask_b32_e64 v49, v49, v50, s62
	v_lshl_add_u32 v51, v51, 1, v178
	ds_read_u16 v51, v51
	s_waitcnt lgkmcnt(0)
	v_cndmask_b32_e64 v86, v51, v87, s62
	v_cndmask_b32_e64 v44, v43, v51, s62
	v_cmpx_lt_u32_e64 v48, v244
	s_cbranch_execz .LBB1044_1790
; %bb.1787:
	s_mov_b32 s73, 0
	s_mov_b32 s63, exec_lo
	v_cmpx_lt_u32_e64 v49, v243
	s_cbranch_execz .LBB1044_1789
; %bb.1788:
	v_bfe_i32 v50, v86, 0, 16
	v_bfe_i32 v52, v44, 0, 16
	v_ashrrev_i32_e32 v51, 31, v50
	v_ashrrev_i32_e32 v53, 31, v52
	v_lshlrev_b64 v[50:51], 1, v[50:51]
	v_lshlrev_b64 v[52:53], 1, v[52:53]
	v_add_co_u32 v50, s8, v6, v50
	v_add_co_ci_u32_e64 v51, null, v7, v51, s8
	v_add_co_u32 v52, s8, v6, v52
	v_add_co_ci_u32_e64 v53, null, v7, v53, s8
	s_clause 0x1
	flat_load_ushort v50, v[50:51]
	flat_load_ushort v51, v[52:53]
	s_waitcnt vmcnt(0) lgkmcnt(0)
	v_cmp_ge_i16_e64 s8, v50, v51
	s_and_b32 s73, s8, exec_lo
.LBB1044_1789:
	s_or_b32 exec_lo, exec_lo, s63
	s_orn2_b32 s63, s73, exec_lo
.LBB1044_1790:
	s_or_b32 exec_lo, exec_lo, s72
	v_cndmask_b32_e64 v50, v48, v49, s63
	v_cndmask_b32_e64 v51, v244, v243, s63
	s_mov_b32 s73, -1
	s_mov_b32 s72, -1
	s_mov_b32 s74, exec_lo
	v_add_nc_u32_e32 v50, 1, v50
	v_add_nc_u32_e32 v51, -1, v51
	v_cndmask_b32_e64 v48, v50, v48, s63
	v_min_u32_e32 v51, v50, v51
	v_cndmask_b32_e64 v49, v49, v50, s63
	v_lshl_add_u32 v51, v51, 1, v178
	ds_read_u16 v51, v51
	s_waitcnt lgkmcnt(0)
	v_cndmask_b32_e64 v85, v51, v86, s63
	v_cndmask_b32_e64 v45, v44, v51, s63
	v_cmpx_lt_u32_e64 v48, v244
	s_cbranch_execz .LBB1044_1794
; %bb.1791:
	s_mov_b32 s75, 0
	s_mov_b32 s72, exec_lo
	v_cmpx_lt_u32_e64 v49, v243
	s_cbranch_execz .LBB1044_1793
; %bb.1792:
	v_bfe_i32 v50, v85, 0, 16
	v_bfe_i32 v52, v45, 0, 16
	v_ashrrev_i32_e32 v51, 31, v50
	v_ashrrev_i32_e32 v53, 31, v52
	v_lshlrev_b64 v[50:51], 1, v[50:51]
	v_lshlrev_b64 v[52:53], 1, v[52:53]
	v_add_co_u32 v50, s8, v6, v50
	v_add_co_ci_u32_e64 v51, null, v7, v51, s8
	v_add_co_u32 v52, s8, v6, v52
	v_add_co_ci_u32_e64 v53, null, v7, v53, s8
	s_clause 0x1
	flat_load_ushort v50, v[50:51]
	flat_load_ushort v51, v[52:53]
	s_waitcnt vmcnt(0) lgkmcnt(0)
	v_cmp_ge_i16_e64 s8, v50, v51
	s_and_b32 s75, s8, exec_lo
.LBB1044_1793:
	s_or_b32 exec_lo, exec_lo, s72
	s_orn2_b32 s72, s75, exec_lo
.LBB1044_1794:
	s_or_b32 exec_lo, exec_lo, s74
	v_cndmask_b32_e64 v50, v48, v49, s72
	v_cndmask_b32_e64 v51, v244, v243, s72
	s_mov_b32 s74, exec_lo
	v_add_nc_u32_e32 v50, 1, v50
	v_add_nc_u32_e32 v51, -1, v51
	v_cndmask_b32_e64 v48, v50, v48, s72
	v_min_u32_e32 v51, v50, v51
	v_cndmask_b32_e64 v49, v49, v50, s72
	v_lshl_add_u32 v51, v51, 1, v178
	ds_read_u16 v51, v51
	s_waitcnt lgkmcnt(0)
	v_cndmask_b32_e64 v84, v51, v85, s72
	v_cndmask_b32_e64 v46, v45, v51, s72
	v_cmpx_lt_u32_e64 v48, v244
	s_cbranch_execz .LBB1044_1798
; %bb.1795:
	s_mov_b32 s75, 0
	s_mov_b32 s73, exec_lo
	v_cmpx_lt_u32_e64 v49, v243
	s_cbranch_execz .LBB1044_1797
; %bb.1796:
	v_bfe_i32 v50, v84, 0, 16
	v_bfe_i32 v52, v46, 0, 16
	v_ashrrev_i32_e32 v51, 31, v50
	v_ashrrev_i32_e32 v53, 31, v52
	v_lshlrev_b64 v[50:51], 1, v[50:51]
	v_lshlrev_b64 v[52:53], 1, v[52:53]
	v_add_co_u32 v50, s8, v6, v50
	v_add_co_ci_u32_e64 v51, null, v7, v51, s8
	v_add_co_u32 v52, s8, v6, v52
	v_add_co_ci_u32_e64 v53, null, v7, v53, s8
	s_clause 0x1
	flat_load_ushort v50, v[50:51]
	flat_load_ushort v51, v[52:53]
	s_waitcnt vmcnt(0) lgkmcnt(0)
	v_cmp_ge_i16_e64 s8, v50, v51
	s_and_b32 s75, s8, exec_lo
.LBB1044_1797:
	s_or_b32 exec_lo, exec_lo, s73
	s_orn2_b32 s73, s75, exec_lo
.LBB1044_1798:
	s_or_b32 exec_lo, exec_lo, s74
	v_cndmask_b32_e64 v50, v48, v49, s73
	v_cndmask_b32_e64 v51, v244, v243, s73
	s_mov_b32 s75, -1
	s_mov_b32 s74, -1
	s_mov_b32 s76, exec_lo
	v_add_nc_u32_e32 v50, 1, v50
	v_add_nc_u32_e32 v51, -1, v51
	v_cndmask_b32_e64 v48, v50, v48, s73
	v_min_u32_e32 v51, v50, v51
	v_cndmask_b32_e64 v49, v49, v50, s73
	v_lshl_add_u32 v51, v51, 1, v178
	ds_read_u16 v51, v51
	s_waitcnt lgkmcnt(0)
	v_cndmask_b32_e64 v83, v51, v84, s73
	v_cndmask_b32_e64 v47, v46, v51, s73
	v_cmpx_lt_u32_e64 v48, v244
	s_cbranch_execz .LBB1044_1802
; %bb.1799:
	s_mov_b32 s77, 0
	s_mov_b32 s74, exec_lo
	v_cmpx_lt_u32_e64 v49, v243
	s_cbranch_execz .LBB1044_1801
; %bb.1800:
	v_bfe_i32 v50, v83, 0, 16
	v_bfe_i32 v52, v47, 0, 16
	v_ashrrev_i32_e32 v51, 31, v50
	v_ashrrev_i32_e32 v53, 31, v52
	v_lshlrev_b64 v[50:51], 1, v[50:51]
	v_lshlrev_b64 v[52:53], 1, v[52:53]
	v_add_co_u32 v50, s8, v6, v50
	v_add_co_ci_u32_e64 v51, null, v7, v51, s8
	v_add_co_u32 v52, s8, v6, v52
	v_add_co_ci_u32_e64 v53, null, v7, v53, s8
	s_clause 0x1
	flat_load_ushort v50, v[50:51]
	flat_load_ushort v51, v[52:53]
	s_waitcnt vmcnt(0) lgkmcnt(0)
	v_cmp_ge_i16_e64 s8, v50, v51
	s_and_b32 s77, s8, exec_lo
.LBB1044_1801:
	s_or_b32 exec_lo, exec_lo, s74
	s_orn2_b32 s74, s77, exec_lo
.LBB1044_1802:
	s_or_b32 exec_lo, exec_lo, s76
	v_cndmask_b32_e64 v50, v48, v49, s74
	v_cndmask_b32_e64 v51, v244, v243, s74
	s_mov_b32 s76, exec_lo
	v_add_nc_u32_e32 v50, 1, v50
	v_add_nc_u32_e32 v51, -1, v51
	v_cndmask_b32_e64 v48, v50, v48, s74
	v_min_u32_e32 v51, v50, v51
	v_cndmask_b32_e64 v49, v49, v50, s74
	v_lshl_add_u32 v51, v51, 1, v178
	ds_read_u16 v51, v51
	s_waitcnt lgkmcnt(0)
	v_cndmask_b32_e64 v82, v51, v83, s74
	v_cndmask_b32_e64 v56, v47, v51, s74
	v_cmpx_lt_u32_e64 v48, v244
	s_cbranch_execz .LBB1044_1806
; %bb.1803:
	s_mov_b32 s77, 0
	s_mov_b32 s75, exec_lo
	v_cmpx_lt_u32_e64 v49, v243
	s_cbranch_execz .LBB1044_1805
; %bb.1804:
	v_bfe_i32 v50, v82, 0, 16
	v_bfe_i32 v52, v56, 0, 16
	v_ashrrev_i32_e32 v51, 31, v50
	v_ashrrev_i32_e32 v53, 31, v52
	v_lshlrev_b64 v[50:51], 1, v[50:51]
	v_lshlrev_b64 v[52:53], 1, v[52:53]
	v_add_co_u32 v50, s8, v6, v50
	v_add_co_ci_u32_e64 v51, null, v7, v51, s8
	v_add_co_u32 v52, s8, v6, v52
	v_add_co_ci_u32_e64 v53, null, v7, v53, s8
	s_clause 0x1
	flat_load_ushort v50, v[50:51]
	flat_load_ushort v51, v[52:53]
	s_waitcnt vmcnt(0) lgkmcnt(0)
	v_cmp_ge_i16_e64 s8, v50, v51
	s_and_b32 s77, s8, exec_lo
.LBB1044_1805:
	s_or_b32 exec_lo, exec_lo, s75
	s_orn2_b32 s75, s77, exec_lo
.LBB1044_1806:
	s_or_b32 exec_lo, exec_lo, s76
	v_cndmask_b32_e64 v50, v48, v49, s75
	v_cndmask_b32_e64 v51, v244, v243, s75
	s_mov_b32 s77, -1
	s_mov_b32 s76, -1
	s_mov_b32 s78, exec_lo
	v_add_nc_u32_e32 v50, 1, v50
	v_add_nc_u32_e32 v51, -1, v51
	v_cndmask_b32_e64 v48, v50, v48, s75
	v_min_u32_e32 v51, v50, v51
	v_cndmask_b32_e64 v49, v49, v50, s75
	v_lshl_add_u32 v51, v51, 1, v178
	ds_read_u16 v51, v51
	s_waitcnt lgkmcnt(0)
	v_cndmask_b32_e64 v81, v51, v82, s75
	v_cndmask_b32_e64 v57, v56, v51, s75
	v_cmpx_lt_u32_e64 v48, v244
	s_cbranch_execz .LBB1044_1810
; %bb.1807:
	s_mov_b32 s79, 0
	s_mov_b32 s76, exec_lo
	v_cmpx_lt_u32_e64 v49, v243
	s_cbranch_execz .LBB1044_1809
; %bb.1808:
	v_bfe_i32 v50, v81, 0, 16
	v_bfe_i32 v52, v57, 0, 16
	v_ashrrev_i32_e32 v51, 31, v50
	v_ashrrev_i32_e32 v53, 31, v52
	v_lshlrev_b64 v[50:51], 1, v[50:51]
	v_lshlrev_b64 v[52:53], 1, v[52:53]
	v_add_co_u32 v50, s8, v6, v50
	v_add_co_ci_u32_e64 v51, null, v7, v51, s8
	v_add_co_u32 v52, s8, v6, v52
	v_add_co_ci_u32_e64 v53, null, v7, v53, s8
	s_clause 0x1
	flat_load_ushort v50, v[50:51]
	flat_load_ushort v51, v[52:53]
	s_waitcnt vmcnt(0) lgkmcnt(0)
	v_cmp_ge_i16_e64 s8, v50, v51
	s_and_b32 s79, s8, exec_lo
.LBB1044_1809:
	s_or_b32 exec_lo, exec_lo, s76
	s_orn2_b32 s76, s79, exec_lo
.LBB1044_1810:
	s_or_b32 exec_lo, exec_lo, s78
	v_cndmask_b32_e64 v50, v48, v49, s76
	v_cndmask_b32_e64 v51, v244, v243, s76
	s_mov_b32 s78, exec_lo
	v_add_nc_u32_e32 v50, 1, v50
	v_add_nc_u32_e32 v51, -1, v51
	v_cndmask_b32_e64 v48, v50, v48, s76
	v_min_u32_e32 v51, v50, v51
	v_cndmask_b32_e64 v49, v49, v50, s76
	v_lshl_add_u32 v51, v51, 1, v178
	ds_read_u16 v51, v51
	s_waitcnt lgkmcnt(0)
	v_cndmask_b32_e64 v80, v51, v81, s76
	v_cndmask_b32_e64 v58, v57, v51, s76
	v_cmpx_lt_u32_e64 v48, v244
	s_cbranch_execz .LBB1044_1814
; %bb.1811:
	s_mov_b32 s79, 0
	s_mov_b32 s77, exec_lo
	v_cmpx_lt_u32_e64 v49, v243
	s_cbranch_execz .LBB1044_1813
; %bb.1812:
	v_bfe_i32 v50, v80, 0, 16
	v_bfe_i32 v52, v58, 0, 16
	v_ashrrev_i32_e32 v51, 31, v50
	v_ashrrev_i32_e32 v53, 31, v52
	v_lshlrev_b64 v[50:51], 1, v[50:51]
	v_lshlrev_b64 v[52:53], 1, v[52:53]
	v_add_co_u32 v50, s8, v6, v50
	v_add_co_ci_u32_e64 v51, null, v7, v51, s8
	v_add_co_u32 v52, s8, v6, v52
	v_add_co_ci_u32_e64 v53, null, v7, v53, s8
	s_clause 0x1
	flat_load_ushort v50, v[50:51]
	flat_load_ushort v51, v[52:53]
	s_waitcnt vmcnt(0) lgkmcnt(0)
	v_cmp_ge_i16_e64 s8, v50, v51
	s_and_b32 s79, s8, exec_lo
.LBB1044_1813:
	s_or_b32 exec_lo, exec_lo, s77
	s_orn2_b32 s77, s79, exec_lo
.LBB1044_1814:
	s_or_b32 exec_lo, exec_lo, s78
	v_cndmask_b32_e64 v50, v48, v49, s77
	v_cndmask_b32_e64 v51, v244, v243, s77
	s_mov_b32 s79, -1
	s_mov_b32 s78, -1
	s_mov_b32 s88, exec_lo
	v_add_nc_u32_e32 v50, 1, v50
	v_add_nc_u32_e32 v51, -1, v51
	v_cndmask_b32_e64 v48, v50, v48, s77
	v_min_u32_e32 v51, v50, v51
	v_cndmask_b32_e64 v49, v49, v50, s77
	v_lshl_add_u32 v51, v51, 1, v178
	ds_read_u16 v51, v51
	s_waitcnt lgkmcnt(0)
	v_cndmask_b32_e64 v71, v51, v80, s77
	v_cndmask_b32_e64 v59, v58, v51, s77
	v_cmpx_lt_u32_e64 v48, v244
	s_cbranch_execz .LBB1044_1818
; %bb.1815:
	s_mov_b32 s89, 0
	s_mov_b32 s78, exec_lo
	v_cmpx_lt_u32_e64 v49, v243
	s_cbranch_execz .LBB1044_1817
; %bb.1816:
	v_bfe_i32 v50, v71, 0, 16
	v_bfe_i32 v52, v59, 0, 16
	v_ashrrev_i32_e32 v51, 31, v50
	v_ashrrev_i32_e32 v53, 31, v52
	v_lshlrev_b64 v[50:51], 1, v[50:51]
	v_lshlrev_b64 v[52:53], 1, v[52:53]
	v_add_co_u32 v50, s8, v6, v50
	v_add_co_ci_u32_e64 v51, null, v7, v51, s8
	v_add_co_u32 v52, s8, v6, v52
	v_add_co_ci_u32_e64 v53, null, v7, v53, s8
	s_clause 0x1
	flat_load_ushort v50, v[50:51]
	flat_load_ushort v51, v[52:53]
	s_waitcnt vmcnt(0) lgkmcnt(0)
	v_cmp_ge_i16_e64 s8, v50, v51
	s_and_b32 s89, s8, exec_lo
.LBB1044_1817:
	s_or_b32 exec_lo, exec_lo, s78
	s_orn2_b32 s78, s89, exec_lo
.LBB1044_1818:
	s_or_b32 exec_lo, exec_lo, s88
	v_cndmask_b32_e64 v50, v48, v49, s78
	v_cndmask_b32_e64 v51, v244, v243, s78
	s_mov_b32 s88, exec_lo
	v_add_nc_u32_e32 v50, 1, v50
	v_add_nc_u32_e32 v51, -1, v51
	v_cndmask_b32_e64 v48, v50, v48, s78
	v_min_u32_e32 v51, v50, v51
	v_cndmask_b32_e64 v49, v49, v50, s78
	v_lshl_add_u32 v51, v51, 1, v178
	ds_read_u16 v51, v51
	s_waitcnt lgkmcnt(0)
	v_cndmask_b32_e64 v70, v51, v71, s78
	v_cndmask_b32_e64 v60, v59, v51, s78
	v_cmpx_lt_u32_e64 v48, v244
	s_cbranch_execz .LBB1044_1822
; %bb.1819:
	s_mov_b32 s89, 0
	s_mov_b32 s79, exec_lo
	v_cmpx_lt_u32_e64 v49, v243
	s_cbranch_execz .LBB1044_1821
; %bb.1820:
	v_bfe_i32 v50, v70, 0, 16
	v_bfe_i32 v52, v60, 0, 16
	v_ashrrev_i32_e32 v51, 31, v50
	v_ashrrev_i32_e32 v53, 31, v52
	v_lshlrev_b64 v[50:51], 1, v[50:51]
	v_lshlrev_b64 v[52:53], 1, v[52:53]
	v_add_co_u32 v50, s8, v6, v50
	v_add_co_ci_u32_e64 v51, null, v7, v51, s8
	v_add_co_u32 v52, s8, v6, v52
	v_add_co_ci_u32_e64 v53, null, v7, v53, s8
	s_clause 0x1
	flat_load_ushort v50, v[50:51]
	flat_load_ushort v51, v[52:53]
	s_waitcnt vmcnt(0) lgkmcnt(0)
	v_cmp_ge_i16_e64 s8, v50, v51
	s_and_b32 s89, s8, exec_lo
.LBB1044_1821:
	s_or_b32 exec_lo, exec_lo, s79
	s_orn2_b32 s79, s89, exec_lo
.LBB1044_1822:
	s_or_b32 exec_lo, exec_lo, s88
	v_cndmask_b32_e64 v50, v48, v49, s79
	v_cndmask_b32_e64 v51, v244, v243, s79
	s_mov_b32 s89, -1
	s_mov_b32 s88, -1
	s_mov_b32 s90, exec_lo
	v_add_nc_u32_e32 v50, 1, v50
	v_add_nc_u32_e32 v51, -1, v51
	v_cndmask_b32_e64 v48, v50, v48, s79
	v_min_u32_e32 v51, v50, v51
	v_cndmask_b32_e64 v49, v49, v50, s79
	v_lshl_add_u32 v51, v51, 1, v178
	ds_read_u16 v51, v51
	s_waitcnt lgkmcnt(0)
	v_cndmask_b32_e64 v69, v51, v70, s79
	v_cndmask_b32_e64 v61, v60, v51, s79
	v_cmpx_lt_u32_e64 v48, v244
	s_cbranch_execz .LBB1044_1826
; %bb.1823:
	s_mov_b32 s91, 0
	s_mov_b32 s88, exec_lo
	v_cmpx_lt_u32_e64 v49, v243
	s_cbranch_execz .LBB1044_1825
; %bb.1824:
	v_bfe_i32 v50, v69, 0, 16
	v_bfe_i32 v52, v61, 0, 16
	v_ashrrev_i32_e32 v51, 31, v50
	v_ashrrev_i32_e32 v53, 31, v52
	v_lshlrev_b64 v[50:51], 1, v[50:51]
	v_lshlrev_b64 v[52:53], 1, v[52:53]
	v_add_co_u32 v50, s8, v6, v50
	v_add_co_ci_u32_e64 v51, null, v7, v51, s8
	v_add_co_u32 v52, s8, v6, v52
	v_add_co_ci_u32_e64 v53, null, v7, v53, s8
	s_clause 0x1
	flat_load_ushort v50, v[50:51]
	flat_load_ushort v51, v[52:53]
	s_waitcnt vmcnt(0) lgkmcnt(0)
	v_cmp_ge_i16_e64 s8, v50, v51
	s_and_b32 s91, s8, exec_lo
.LBB1044_1825:
	s_or_b32 exec_lo, exec_lo, s88
	s_orn2_b32 s88, s91, exec_lo
.LBB1044_1826:
	s_or_b32 exec_lo, exec_lo, s90
	v_cndmask_b32_e64 v50, v48, v49, s88
	v_cndmask_b32_e64 v51, v244, v243, s88
	s_mov_b32 s90, exec_lo
	v_add_nc_u32_e32 v50, 1, v50
	v_add_nc_u32_e32 v51, -1, v51
	v_cndmask_b32_e64 v48, v50, v48, s88
	v_min_u32_e32 v51, v50, v51
	v_cndmask_b32_e64 v49, v49, v50, s88
	v_lshl_add_u32 v51, v51, 1, v178
	ds_read_u16 v51, v51
	s_waitcnt lgkmcnt(0)
	v_cndmask_b32_e64 v68, v51, v69, s88
	v_cndmask_b32_e64 v62, v61, v51, s88
	v_cmpx_lt_u32_e64 v48, v244
	s_cbranch_execz .LBB1044_1830
; %bb.1827:
	s_mov_b32 s91, 0
	s_mov_b32 s89, exec_lo
	v_cmpx_lt_u32_e64 v49, v243
	s_cbranch_execz .LBB1044_1829
; %bb.1828:
	v_bfe_i32 v50, v68, 0, 16
	v_bfe_i32 v52, v62, 0, 16
	v_ashrrev_i32_e32 v51, 31, v50
	v_ashrrev_i32_e32 v53, 31, v52
	v_lshlrev_b64 v[50:51], 1, v[50:51]
	v_lshlrev_b64 v[52:53], 1, v[52:53]
	v_add_co_u32 v50, s8, v6, v50
	v_add_co_ci_u32_e64 v51, null, v7, v51, s8
	v_add_co_u32 v52, s8, v6, v52
	v_add_co_ci_u32_e64 v53, null, v7, v53, s8
	s_clause 0x1
	flat_load_ushort v50, v[50:51]
	flat_load_ushort v51, v[52:53]
	s_waitcnt vmcnt(0) lgkmcnt(0)
	v_cmp_ge_i16_e64 s8, v50, v51
	s_and_b32 s91, s8, exec_lo
.LBB1044_1829:
	s_or_b32 exec_lo, exec_lo, s89
	s_orn2_b32 s89, s91, exec_lo
.LBB1044_1830:
	s_or_b32 exec_lo, exec_lo, s90
	v_cndmask_b32_e64 v50, v48, v49, s89
	v_cndmask_b32_e64 v51, v244, v243, s89
	s_mov_b32 s91, -1
	s_mov_b32 s90, -1
	s_mov_b32 s92, exec_lo
	v_add_nc_u32_e32 v50, 1, v50
	v_add_nc_u32_e32 v51, -1, v51
	v_cndmask_b32_e64 v48, v50, v48, s89
	v_min_u32_e32 v51, v50, v51
	v_cndmask_b32_e64 v49, v49, v50, s89
	v_lshl_add_u32 v51, v51, 1, v178
	ds_read_u16 v51, v51
	s_waitcnt lgkmcnt(0)
	v_cndmask_b32_e64 v67, v51, v68, s89
	v_cndmask_b32_e64 v63, v62, v51, s89
	v_cmpx_lt_u32_e64 v48, v244
	s_cbranch_execz .LBB1044_1834
; %bb.1831:
	s_mov_b32 s93, 0
	s_mov_b32 s90, exec_lo
	v_cmpx_lt_u32_e64 v49, v243
	s_cbranch_execz .LBB1044_1833
; %bb.1832:
	v_bfe_i32 v50, v67, 0, 16
	v_bfe_i32 v52, v63, 0, 16
	v_ashrrev_i32_e32 v51, 31, v50
	v_ashrrev_i32_e32 v53, 31, v52
	v_lshlrev_b64 v[50:51], 1, v[50:51]
	v_lshlrev_b64 v[52:53], 1, v[52:53]
	v_add_co_u32 v50, s8, v6, v50
	v_add_co_ci_u32_e64 v51, null, v7, v51, s8
	v_add_co_u32 v52, s8, v6, v52
	v_add_co_ci_u32_e64 v53, null, v7, v53, s8
	s_clause 0x1
	flat_load_ushort v50, v[50:51]
	flat_load_ushort v51, v[52:53]
	s_waitcnt vmcnt(0) lgkmcnt(0)
	v_cmp_ge_i16_e64 s8, v50, v51
	s_and_b32 s93, s8, exec_lo
.LBB1044_1833:
	s_or_b32 exec_lo, exec_lo, s90
	s_orn2_b32 s90, s93, exec_lo
.LBB1044_1834:
	s_or_b32 exec_lo, exec_lo, s92
	v_cndmask_b32_e64 v50, v48, v49, s90
	v_cndmask_b32_e64 v51, v244, v243, s90
	s_mov_b32 s92, exec_lo
	v_add_nc_u32_e32 v50, 1, v50
	v_add_nc_u32_e32 v51, -1, v51
	v_cndmask_b32_e64 v48, v50, v48, s90
	v_min_u32_e32 v51, v50, v51
	v_cndmask_b32_e64 v49, v49, v50, s90
	v_lshl_add_u32 v51, v51, 1, v178
	ds_read_u16 v51, v51
	s_waitcnt lgkmcnt(0)
	v_cndmask_b32_e64 v66, v51, v67, s90
	v_cndmask_b32_e64 v72, v63, v51, s90
	v_cmpx_lt_u32_e64 v48, v244
	s_cbranch_execz .LBB1044_1838
; %bb.1835:
	s_mov_b32 s93, 0
	s_mov_b32 s91, exec_lo
	v_cmpx_lt_u32_e64 v49, v243
	s_cbranch_execz .LBB1044_1837
; %bb.1836:
	v_bfe_i32 v50, v66, 0, 16
	v_bfe_i32 v52, v72, 0, 16
	v_ashrrev_i32_e32 v51, 31, v50
	v_ashrrev_i32_e32 v53, 31, v52
	v_lshlrev_b64 v[50:51], 1, v[50:51]
	v_lshlrev_b64 v[52:53], 1, v[52:53]
	v_add_co_u32 v50, s8, v6, v50
	v_add_co_ci_u32_e64 v51, null, v7, v51, s8
	v_add_co_u32 v52, s8, v6, v52
	v_add_co_ci_u32_e64 v53, null, v7, v53, s8
	s_clause 0x1
	flat_load_ushort v50, v[50:51]
	flat_load_ushort v51, v[52:53]
	s_waitcnt vmcnt(0) lgkmcnt(0)
	v_cmp_ge_i16_e64 s8, v50, v51
	s_and_b32 s93, s8, exec_lo
.LBB1044_1837:
	s_or_b32 exec_lo, exec_lo, s91
	s_orn2_b32 s91, s93, exec_lo
.LBB1044_1838:
	s_or_b32 exec_lo, exec_lo, s92
	v_cndmask_b32_e64 v50, v48, v49, s91
	v_cndmask_b32_e64 v51, v244, v243, s91
	s_mov_b32 s93, -1
	s_mov_b32 s92, -1
	s_mov_b32 s94, exec_lo
	v_add_nc_u32_e32 v50, 1, v50
	v_add_nc_u32_e32 v51, -1, v51
	v_cndmask_b32_e64 v48, v50, v48, s91
	v_min_u32_e32 v51, v50, v51
	v_cndmask_b32_e64 v49, v49, v50, s91
	v_lshl_add_u32 v51, v51, 1, v178
	ds_read_u16 v51, v51
	s_waitcnt lgkmcnt(0)
	v_cndmask_b32_e64 v65, v51, v66, s91
	v_cndmask_b32_e64 v73, v72, v51, s91
	v_cmpx_lt_u32_e64 v48, v244
	s_cbranch_execz .LBB1044_1842
; %bb.1839:
	s_mov_b32 s95, 0
	s_mov_b32 s92, exec_lo
	v_cmpx_lt_u32_e64 v49, v243
	s_cbranch_execz .LBB1044_1841
; %bb.1840:
	v_bfe_i32 v50, v65, 0, 16
	v_bfe_i32 v52, v73, 0, 16
	v_ashrrev_i32_e32 v51, 31, v50
	v_ashrrev_i32_e32 v53, 31, v52
	v_lshlrev_b64 v[50:51], 1, v[50:51]
	v_lshlrev_b64 v[52:53], 1, v[52:53]
	v_add_co_u32 v50, s8, v6, v50
	v_add_co_ci_u32_e64 v51, null, v7, v51, s8
	v_add_co_u32 v52, s8, v6, v52
	v_add_co_ci_u32_e64 v53, null, v7, v53, s8
	s_clause 0x1
	flat_load_ushort v50, v[50:51]
	flat_load_ushort v51, v[52:53]
	s_waitcnt vmcnt(0) lgkmcnt(0)
	v_cmp_ge_i16_e64 s8, v50, v51
	s_and_b32 s95, s8, exec_lo
.LBB1044_1841:
	s_or_b32 exec_lo, exec_lo, s92
	s_orn2_b32 s92, s95, exec_lo
.LBB1044_1842:
	s_or_b32 exec_lo, exec_lo, s94
	v_cndmask_b32_e64 v50, v48, v49, s92
	v_cndmask_b32_e64 v51, v244, v243, s92
	s_mov_b32 s94, exec_lo
	v_add_nc_u32_e32 v50, 1, v50
	v_add_nc_u32_e32 v51, -1, v51
	v_cndmask_b32_e64 v48, v50, v48, s92
	v_min_u32_e32 v51, v50, v51
	v_cndmask_b32_e64 v49, v49, v50, s92
	v_lshl_add_u32 v51, v51, 1, v178
	ds_read_u16 v51, v51
	s_waitcnt lgkmcnt(0)
	v_cndmask_b32_e64 v55, v51, v65, s92
	v_cndmask_b32_e64 v74, v73, v51, s92
	v_cmpx_lt_u32_e64 v48, v244
	s_cbranch_execz .LBB1044_1846
; %bb.1843:
	s_mov_b32 s95, 0
	s_mov_b32 s93, exec_lo
	v_cmpx_lt_u32_e64 v49, v243
	s_cbranch_execz .LBB1044_1845
; %bb.1844:
	v_bfe_i32 v50, v55, 0, 16
	v_bfe_i32 v52, v74, 0, 16
	v_ashrrev_i32_e32 v51, 31, v50
	v_ashrrev_i32_e32 v53, 31, v52
	v_lshlrev_b64 v[50:51], 1, v[50:51]
	v_lshlrev_b64 v[52:53], 1, v[52:53]
	v_add_co_u32 v50, s8, v6, v50
	v_add_co_ci_u32_e64 v51, null, v7, v51, s8
	v_add_co_u32 v52, s8, v6, v52
	v_add_co_ci_u32_e64 v53, null, v7, v53, s8
	s_clause 0x1
	flat_load_ushort v50, v[50:51]
	flat_load_ushort v51, v[52:53]
	s_waitcnt vmcnt(0) lgkmcnt(0)
	v_cmp_ge_i16_e64 s8, v50, v51
	s_and_b32 s95, s8, exec_lo
.LBB1044_1845:
	s_or_b32 exec_lo, exec_lo, s93
	s_orn2_b32 s93, s95, exec_lo
.LBB1044_1846:
	s_or_b32 exec_lo, exec_lo, s94
	v_cndmask_b32_e64 v50, v48, v49, s93
	v_cndmask_b32_e64 v51, v244, v243, s93
	s_mov_b32 s95, -1
	s_mov_b32 s94, -1
	s_mov_b32 vcc_hi, exec_lo
	v_add_nc_u32_e32 v50, 1, v50
	v_add_nc_u32_e32 v51, -1, v51
	v_cndmask_b32_e64 v48, v50, v48, s93
	v_min_u32_e32 v51, v50, v51
	v_cndmask_b32_e64 v49, v49, v50, s93
	v_lshl_add_u32 v51, v51, 1, v178
	ds_read_u16 v51, v51
	s_waitcnt lgkmcnt(0)
	v_cndmask_b32_e64 v54, v51, v55, s93
	v_cndmask_b32_e64 v75, v74, v51, s93
	v_cmpx_lt_u32_e64 v48, v244
	s_cbranch_execz .LBB1044_1850
; %bb.1847:
	s_mov_b32 s30, 0
	s_mov_b32 s94, exec_lo
	v_cmpx_lt_u32_e64 v49, v243
	s_cbranch_execz .LBB1044_1849
; %bb.1848:
	v_bfe_i32 v50, v54, 0, 16
	v_bfe_i32 v52, v75, 0, 16
	v_ashrrev_i32_e32 v51, 31, v50
	v_ashrrev_i32_e32 v53, 31, v52
	v_lshlrev_b64 v[50:51], 1, v[50:51]
	v_lshlrev_b64 v[52:53], 1, v[52:53]
	v_add_co_u32 v50, s8, v6, v50
	v_add_co_ci_u32_e64 v51, null, v7, v51, s8
	v_add_co_u32 v52, s8, v6, v52
	v_add_co_ci_u32_e64 v53, null, v7, v53, s8
	s_clause 0x1
	flat_load_ushort v50, v[50:51]
	flat_load_ushort v51, v[52:53]
	s_waitcnt vmcnt(0) lgkmcnt(0)
	v_cmp_ge_i16_e64 s8, v50, v51
	s_and_b32 s30, s8, exec_lo
.LBB1044_1849:
	s_or_b32 exec_lo, exec_lo, s94
	s_orn2_b32 s94, s30, exec_lo
.LBB1044_1850:
	s_or_b32 exec_lo, exec_lo, vcc_hi
	v_cndmask_b32_e64 v50, v48, v49, s94
	v_cndmask_b32_e64 v51, v244, v243, s94
	s_mov_b32 vcc_hi, exec_lo
	v_add_nc_u32_e32 v50, 1, v50
	v_add_nc_u32_e32 v51, -1, v51
	v_cndmask_b32_e64 v48, v50, v48, s94
	v_min_u32_e32 v51, v50, v51
	v_cndmask_b32_e64 v49, v49, v50, s94
	v_lshl_add_u32 v51, v51, 1, v178
	ds_read_u16 v51, v51
	s_waitcnt lgkmcnt(0)
	v_cndmask_b32_e64 v53, v51, v54, s94
	v_cndmask_b32_e64 v76, v75, v51, s94
	v_cmpx_lt_u32_e64 v48, v244
	s_cbranch_execz .LBB1044_1854
; %bb.1851:
	s_mov_b32 s30, 0
	s_mov_b32 s95, exec_lo
	v_cmpx_lt_u32_e64 v49, v243
	s_cbranch_execz .LBB1044_1853
; %bb.1852:
	v_bfe_i32 v50, v53, 0, 16
	v_bfe_i32 v77, v76, 0, 16
	v_ashrrev_i32_e32 v51, 31, v50
	v_ashrrev_i32_e32 v78, 31, v77
	v_lshlrev_b64 v[50:51], 1, v[50:51]
	v_lshlrev_b64 v[77:78], 1, v[77:78]
	v_add_co_u32 v50, s8, v6, v50
	v_add_co_ci_u32_e64 v51, null, v7, v51, s8
	v_add_co_u32 v77, s8, v6, v77
	v_add_co_ci_u32_e64 v78, null, v7, v78, s8
	s_clause 0x1
	flat_load_ushort v50, v[50:51]
	flat_load_ushort v51, v[77:78]
	s_waitcnt vmcnt(0) lgkmcnt(0)
	v_cmp_ge_i16_e64 s8, v50, v51
	s_and_b32 s30, s8, exec_lo
.LBB1044_1853:
	s_or_b32 exec_lo, exec_lo, s95
	s_orn2_b32 s95, s30, exec_lo
.LBB1044_1854:
	s_or_b32 exec_lo, exec_lo, vcc_hi
	v_cndmask_b32_e64 v50, v48, v49, s95
	v_cndmask_b32_e64 v51, v244, v243, s95
	s_mov_b32 s30, -1
	s_mov_b32 vcc_hi, -1
	s_mov_b32 s31, exec_lo
	v_add_nc_u32_e32 v50, 1, v50
	v_add_nc_u32_e32 v51, -1, v51
	v_cndmask_b32_e64 v48, v50, v48, s95
	v_min_u32_e32 v51, v50, v51
	v_cndmask_b32_e64 v49, v49, v50, s95
	v_lshl_add_u32 v51, v51, 1, v178
	ds_read_u16 v51, v51
	s_waitcnt lgkmcnt(0)
	v_cndmask_b32_e64 v64, v51, v53, s95
	v_cndmask_b32_e64 v77, v76, v51, s95
	v_cmpx_lt_u32_e64 v48, v244
	s_cbranch_execz .LBB1044_1858
; %bb.1855:
	s_mov_b32 s34, 0
	s_mov_b32 vcc_hi, exec_lo
	v_cmpx_lt_u32_e64 v49, v243
	s_cbranch_execz .LBB1044_1857
; %bb.1856:
	v_bfe_i32 v50, v64, 0, 16
	v_bfe_i32 v78, v77, 0, 16
	v_ashrrev_i32_e32 v51, 31, v50
	v_ashrrev_i32_e32 v79, 31, v78
	v_lshlrev_b64 v[50:51], 1, v[50:51]
	v_lshlrev_b64 v[78:79], 1, v[78:79]
	v_add_co_u32 v50, s8, v6, v50
	v_add_co_ci_u32_e64 v51, null, v7, v51, s8
	v_add_co_u32 v78, s8, v6, v78
	v_add_co_ci_u32_e64 v79, null, v7, v79, s8
	s_clause 0x1
	flat_load_ushort v50, v[50:51]
	flat_load_ushort v51, v[78:79]
	s_waitcnt vmcnt(0) lgkmcnt(0)
	v_cmp_ge_i16_e64 s8, v50, v51
	s_and_b32 s34, s8, exec_lo
.LBB1044_1857:
	s_or_b32 exec_lo, exec_lo, vcc_hi
	s_orn2_b32 vcc_hi, s34, exec_lo
.LBB1044_1858:
	s_or_b32 exec_lo, exec_lo, s31
	v_cndmask_b32_e64 v50, v48, v49, vcc_hi
	v_cndmask_b32_e64 v51, v244, v243, vcc_hi
	s_mov_b32 s31, exec_lo
	v_add_nc_u32_e32 v50, 1, v50
	v_add_nc_u32_e32 v51, -1, v51
	v_cndmask_b32_e64 v48, v50, v48, vcc_hi
	v_min_u32_e32 v51, v50, v51
	v_cndmask_b32_e64 v49, v49, v50, vcc_hi
	v_lshl_add_u32 v51, v51, 1, v178
	ds_read_u16 v51, v51
	s_waitcnt lgkmcnt(0)
	v_cndmask_b32_e64 v52, v51, v64, vcc_hi
	v_cndmask_b32_e64 v78, v77, v51, vcc_hi
	v_cmpx_lt_u32_e64 v48, v244
	s_cbranch_execz .LBB1044_1862
; %bb.1859:
	s_mov_b32 s34, 0
	s_mov_b32 s30, exec_lo
	v_cmpx_lt_u32_e64 v49, v243
	s_cbranch_execz .LBB1044_1861
; %bb.1860:
	v_bfe_i32 v50, v52, 0, 16
	v_bfe_i32 v88, v78, 0, 16
	v_ashrrev_i32_e32 v51, 31, v50
	v_ashrrev_i32_e32 v89, 31, v88
	v_lshlrev_b64 v[50:51], 1, v[50:51]
	v_lshlrev_b64 v[88:89], 1, v[88:89]
	v_add_co_u32 v50, s8, v6, v50
	v_add_co_ci_u32_e64 v51, null, v7, v51, s8
	v_add_co_u32 v88, s8, v6, v88
	v_add_co_ci_u32_e64 v89, null, v7, v89, s8
	s_clause 0x1
	flat_load_ushort v50, v[50:51]
	flat_load_ushort v51, v[88:89]
	s_waitcnt vmcnt(0) lgkmcnt(0)
	v_cmp_ge_i16_e64 s8, v50, v51
	s_and_b32 s34, s8, exec_lo
.LBB1044_1861:
	s_or_b32 exec_lo, exec_lo, s30
	s_orn2_b32 s30, s34, exec_lo
.LBB1044_1862:
	s_or_b32 exec_lo, exec_lo, s31
	v_cndmask_b32_e64 v50, v48, v49, s30
	v_cndmask_b32_e64 v51, v244, v243, s30
	s_mov_b32 s34, -1
	s_mov_b32 s31, -1
	s_mov_b32 s35, exec_lo
	v_add_nc_u32_e32 v50, 1, v50
	v_add_nc_u32_e32 v51, -1, v51
	v_cndmask_b32_e64 v48, v50, v48, s30
	v_min_u32_e32 v51, v50, v51
	v_cndmask_b32_e64 v49, v49, v50, s30
	v_lshl_add_u32 v51, v51, 1, v178
	ds_read_u16 v79, v51
	s_waitcnt lgkmcnt(0)
	v_cndmask_b32_e64 v51, v79, v52, s30
	v_cndmask_b32_e64 v79, v78, v79, s30
	v_cmpx_lt_u32_e64 v48, v244
	s_cbranch_execz .LBB1044_1866
; %bb.1863:
	s_mov_b32 s38, 0
	s_mov_b32 s31, exec_lo
	v_cmpx_lt_u32_e64 v49, v243
	s_cbranch_execz .LBB1044_1865
; %bb.1864:
	v_bfe_i32 v88, v51, 0, 16
	v_bfe_i32 v90, v79, 0, 16
	v_ashrrev_i32_e32 v89, 31, v88
	v_ashrrev_i32_e32 v91, 31, v90
	v_lshlrev_b64 v[88:89], 1, v[88:89]
	v_lshlrev_b64 v[90:91], 1, v[90:91]
	v_add_co_u32 v88, s8, v6, v88
	v_add_co_ci_u32_e64 v89, null, v7, v89, s8
	v_add_co_u32 v90, s8, v6, v90
	v_add_co_ci_u32_e64 v91, null, v7, v91, s8
	s_clause 0x1
	flat_load_ushort v50, v[88:89]
	flat_load_ushort v88, v[90:91]
	s_waitcnt vmcnt(0) lgkmcnt(0)
	v_cmp_ge_i16_e64 s8, v50, v88
	s_and_b32 s38, s8, exec_lo
.LBB1044_1865:
	s_or_b32 exec_lo, exec_lo, s31
	s_orn2_b32 s31, s38, exec_lo
.LBB1044_1866:
	s_or_b32 exec_lo, exec_lo, s35
	v_cndmask_b32_e64 v50, v48, v49, s31
	v_cndmask_b32_e64 v88, v244, v243, s31
	s_mov_b32 s35, exec_lo
	v_add_nc_u32_e32 v50, 1, v50
	v_add_nc_u32_e32 v88, -1, v88
	v_cndmask_b32_e64 v48, v50, v48, s31
	v_min_u32_e32 v88, v50, v88
	v_cndmask_b32_e64 v49, v49, v50, s31
	v_lshl_add_u32 v88, v88, 1, v178
	ds_read_u16 v88, v88
	s_waitcnt lgkmcnt(0)
	v_cndmask_b32_e64 v50, v88, v51, s31
	v_cndmask_b32_e64 v88, v79, v88, s31
	v_cmpx_lt_u32_e64 v48, v244
	s_cbranch_execz .LBB1044_1870
; %bb.1867:
	s_mov_b32 s38, 0
	s_mov_b32 s34, exec_lo
	v_cmpx_lt_u32_e64 v49, v243
	s_cbranch_execz .LBB1044_1869
; %bb.1868:
	v_bfe_i32 v89, v50, 0, 16
	v_bfe_i32 v91, v88, 0, 16
	v_ashrrev_i32_e32 v90, 31, v89
	v_ashrrev_i32_e32 v92, 31, v91
	v_lshlrev_b64 v[89:90], 1, v[89:90]
	v_lshlrev_b64 v[91:92], 1, v[91:92]
	v_add_co_u32 v89, s8, v6, v89
	v_add_co_ci_u32_e64 v90, null, v7, v90, s8
	v_add_co_u32 v91, s8, v6, v91
	v_add_co_ci_u32_e64 v92, null, v7, v92, s8
	s_clause 0x1
	flat_load_ushort v89, v[89:90]
	flat_load_ushort v90, v[91:92]
	s_waitcnt vmcnt(0) lgkmcnt(0)
	v_cmp_ge_i16_e64 s8, v89, v90
	s_and_b32 s38, s8, exec_lo
.LBB1044_1869:
	s_or_b32 exec_lo, exec_lo, s34
	s_orn2_b32 s34, s38, exec_lo
.LBB1044_1870:
	s_or_b32 exec_lo, exec_lo, s35
	v_cndmask_b32_e64 v89, v48, v49, s34
	v_cndmask_b32_e64 v90, v244, v243, s34
	s_mov_b32 s35, -1
	s_mov_b32 s38, -1
	s_mov_b32 s39, exec_lo
	v_add_nc_u32_e32 v89, 1, v89
	v_add_nc_u32_e32 v90, -1, v90
	v_cndmask_b32_e64 v48, v89, v48, s34
	v_min_u32_e32 v90, v89, v90
	v_lshl_add_u32 v90, v90, 1, v178
	ds_read_u16 v91, v90
	v_cndmask_b32_e64 v90, v49, v89, s34
	s_waitcnt lgkmcnt(0)
	v_cndmask_b32_e64 v49, v91, v50, s34
	v_cndmask_b32_e64 v89, v88, v91, s34
	v_cmpx_lt_u32_e64 v48, v244
	s_cbranch_execz .LBB1044_1874
; %bb.1871:
	s_mov_b32 s48, 0
	s_mov_b32 s38, exec_lo
	v_cmpx_lt_u32_e64 v90, v243
	s_cbranch_execz .LBB1044_1873
; %bb.1872:
	v_bfe_i32 v91, v49, 0, 16
	v_bfe_i32 v93, v89, 0, 16
	v_ashrrev_i32_e32 v92, 31, v91
	v_ashrrev_i32_e32 v94, 31, v93
	v_lshlrev_b64 v[91:92], 1, v[91:92]
	v_lshlrev_b64 v[93:94], 1, v[93:94]
	v_add_co_u32 v91, s8, v6, v91
	v_add_co_ci_u32_e64 v92, null, v7, v92, s8
	v_add_co_u32 v93, s8, v6, v93
	v_add_co_ci_u32_e64 v94, null, v7, v94, s8
	s_clause 0x1
	flat_load_ushort v91, v[91:92]
	flat_load_ushort v92, v[93:94]
	s_waitcnt vmcnt(0) lgkmcnt(0)
	v_cmp_ge_i16_e64 s8, v91, v92
	s_and_b32 s48, s8, exec_lo
.LBB1044_1873:
	s_or_b32 exec_lo, exec_lo, s38
	s_orn2_b32 s38, s48, exec_lo
.LBB1044_1874:
	s_or_b32 exec_lo, exec_lo, s39
	v_cndmask_b32_e64 v91, v48, v90, s38
	v_cndmask_b32_e64 v92, v244, v243, s38
	s_mov_b32 s39, exec_lo
	v_add_nc_u32_e32 v91, 1, v91
	v_add_nc_u32_e32 v92, -1, v92
	v_cndmask_b32_e64 v48, v91, v48, s38
	v_min_u32_e32 v92, v91, v92
	v_lshl_add_u32 v92, v92, 1, v178
	ds_read_u16 v93, v92
	v_cndmask_b32_e64 v92, v90, v91, s38
	s_waitcnt lgkmcnt(0)
	v_cndmask_b32_e64 v90, v93, v49, s38
	v_cndmask_b32_e64 v91, v89, v93, s38
	v_cmpx_lt_u32_e64 v48, v244
	s_cbranch_execz .LBB1044_1878
; %bb.1875:
	s_mov_b32 s48, 0
	s_mov_b32 s35, exec_lo
	v_cmpx_lt_u32_e64 v92, v243
	s_cbranch_execz .LBB1044_1877
; %bb.1876:
	v_bfe_i32 v93, v90, 0, 16
	v_bfe_i32 v104, v91, 0, 16
	v_ashrrev_i32_e32 v94, 31, v93
	v_ashrrev_i32_e32 v105, 31, v104
	v_lshlrev_b64 v[93:94], 1, v[93:94]
	v_lshlrev_b64 v[104:105], 1, v[104:105]
	v_add_co_u32 v93, s8, v6, v93
	v_add_co_ci_u32_e64 v94, null, v7, v94, s8
	v_add_co_u32 v104, s8, v6, v104
	v_add_co_ci_u32_e64 v105, null, v7, v105, s8
	s_clause 0x1
	flat_load_ushort v93, v[93:94]
	flat_load_ushort v94, v[104:105]
	s_waitcnt vmcnt(0) lgkmcnt(0)
	v_cmp_ge_i16_e64 s8, v93, v94
	s_and_b32 s48, s8, exec_lo
.LBB1044_1877:
	s_or_b32 exec_lo, exec_lo, s35
	s_orn2_b32 s35, s48, exec_lo
.LBB1044_1878:
	s_or_b32 exec_lo, exec_lo, s39
	v_cndmask_b32_e64 v93, v48, v92, s35
	v_cndmask_b32_e64 v94, v244, v243, s35
	s_mov_b32 s39, exec_lo
	v_add_nc_u32_e32 v93, 1, v93
	v_add_nc_u32_e32 v94, -1, v94
	v_cndmask_b32_e64 v95, v93, v48, s35
	v_min_u32_e32 v94, v93, v94
	v_lshl_add_u32 v94, v94, 1, v178
	ds_read_u16 v94, v94
	s_waitcnt lgkmcnt(0)
	v_cndmask_b32_e64 v48, v91, v94, s35
	v_cmpx_lt_u32_e64 v95, v244
	s_cbranch_execz .LBB1044_1882
; %bb.1879:
	v_cndmask_b32_e64 v92, v92, v93, s35
	v_cndmask_b32_e64 v244, v94, v90, s35
	s_mov_b32 s48, exec_lo
	v_cmpx_lt_u32_e64 v92, v243
	s_cbranch_execz .LBB1044_1881
; %bb.1880:
	v_bfe_i32 v92, v244, 0, 16
	v_bfe_i32 v94, v48, 0, 16
	v_ashrrev_i32_e32 v93, 31, v92
	v_ashrrev_i32_e32 v95, 31, v94
	v_lshlrev_b64 v[92:93], 1, v[92:93]
	v_lshlrev_b64 v[94:95], 1, v[94:95]
	v_add_co_u32 v92, s8, v6, v92
	v_add_co_ci_u32_e64 v93, null, v7, v93, s8
	v_add_co_u32 v94, s8, v6, v94
	v_add_co_ci_u32_e64 v95, null, v7, v95, s8
	s_clause 0x1
	flat_load_ushort v243, v[92:93]
	flat_load_ushort v92, v[94:95]
	s_waitcnt vmcnt(0) lgkmcnt(0)
	v_cmp_lt_i16_e64 s8, v243, v92
	v_cndmask_b32_e64 v244, v48, v244, s8
.LBB1044_1881:
	s_or_b32 exec_lo, exec_lo, s48
	v_mov_b32_e32 v48, v244
.LBB1044_1882:
	s_or_b32 exec_lo, exec_lo, s39
	v_cndmask_b32_e64 v49, v49, v89, s38
	v_cndmask_b32_e64 v50, v50, v88, s34
	;; [unrolled: 1-line block ×4, first 2 shown]
	v_cndmask_b32_e64 v64, v64, v77, vcc_hi
	v_cndmask_b32_e64 v53, v53, v76, s95
	v_cndmask_b32_e64 v54, v54, v75, s94
	;; [unrolled: 1-line block ×26, first 2 shown]
.LBB1044_1883:
	s_or_b32 exec_lo, exec_lo, s12
	v_and_b32_e32 v245, 0x380, v180
	v_and_b32_e32 v246, 0x60, v180
	s_mov_b32 s9, exec_lo
	; wave barrier
	v_or_b32_e32 v243, 64, v245
	v_min_u32_e32 v246, v179, v246
	ds_write_b16 v181, v99
	ds_write_b16 v231, v102
	;; [unrolled: 1-line block ×13, first 2 shown]
	v_min_u32_e32 v243, v179, v243
	ds_write_b16 v211, v81
	ds_write_b16 v212, v80
	;; [unrolled: 1-line block ×13, first 2 shown]
	v_add_nc_u32_e32 v244, 64, v243
	v_sub_nc_u32_e32 v40, v243, v245
	ds_write_b16 v182, v52
	ds_write_b16 v183, v51
	;; [unrolled: 1-line block ×6, first 2 shown]
	; wave barrier
	v_min_u32_e32 v244, v179, v244
	v_min_u32_e32 v40, v246, v40
	v_sub_nc_u32_e32 v247, v244, v243
	v_sub_nc_u32_e64 v247, v246, v247 clamp
	v_cmpx_lt_u32_e64 v247, v40
	s_cbranch_execz .LBB1044_1887
; %bb.1884:
	v_lshlrev_b32_e32 v41, 1, v245
	v_lshlrev_b32_e32 v42, 1, v243
	s_mov_b32 s12, 0
	v_add_co_u32 v41, null, v178, v41
	v_add_co_u32 v42, null, v178, v42
	s_inst_prefetch 0x1
	.p2align	6
.LBB1044_1885:                          ; =>This Inner Loop Header: Depth=1
	v_add_nc_u32_e32 v43, v40, v247
	v_lshrrev_b32_e32 v47, 1, v43
	v_and_b32_e32 v43, -2, v43
	v_xad_u32 v44, v47, -1, v246
	v_add_nc_u32_e32 v43, v41, v43
	v_lshl_add_u32 v44, v44, 1, v42
	ds_read_u16 v43, v43
	ds_read_u16 v44, v44
	s_waitcnt lgkmcnt(1)
	v_bfe_i32 v43, v43, 0, 16
	s_waitcnt lgkmcnt(0)
	v_bfe_i32 v45, v44, 0, 16
	v_ashrrev_i32_e32 v44, 31, v43
	v_ashrrev_i32_e32 v46, 31, v45
	v_lshlrev_b64 v[43:44], 1, v[43:44]
	v_lshlrev_b64 v[45:46], 1, v[45:46]
	v_add_co_u32 v43, s8, v6, v43
	v_add_co_ci_u32_e64 v44, null, v7, v44, s8
	v_add_co_u32 v45, s8, v6, v45
	v_add_co_ci_u32_e64 v46, null, v7, v46, s8
	s_clause 0x1
	flat_load_ushort v45, v[45:46]
	flat_load_ushort v43, v[43:44]
	v_add_nc_u32_e32 v44, 1, v47
	s_waitcnt vmcnt(0) lgkmcnt(0)
	v_cmp_lt_i16_e64 s8, v45, v43
	v_cndmask_b32_e64 v40, v40, v47, s8
	v_cndmask_b32_e64 v247, v44, v247, s8
	v_cmp_ge_u32_e64 s8, v247, v40
	s_or_b32 s12, s8, s12
	s_andn2_b32 exec_lo, exec_lo, s12
	s_cbranch_execnz .LBB1044_1885
; %bb.1886:
	s_inst_prefetch 0x2
	s_or_b32 exec_lo, exec_lo, s12
.LBB1044_1887:
	s_or_b32 exec_lo, exec_lo, s9
	v_add_nc_u32_e32 v246, v243, v246
	v_add_nc_u32_e32 v245, v247, v245
	v_sub_nc_u32_e32 v246, v246, v247
	v_cmp_le_u32_e64 s8, v245, v243
	v_cmp_le_u32_e64 s9, v246, v244
	s_or_b32 s8, s8, s9
	s_and_saveexec_b32 s12, s8
	s_cbranch_execz .LBB1044_2019
; %bb.1888:
	v_cmp_ge_u32_e64 s8, v245, v243
	s_mov_b32 s13, exec_lo
                                        ; implicit-def: $vgpr99
	v_cmpx_lt_u32_e64 v245, v243
; %bb.1889:
	v_lshl_add_u32 v48, v245, 1, v178
	ds_read_u16 v99, v48
; %bb.1890:
	s_or_b32 exec_lo, exec_lo, s13
	v_cmp_ge_u32_e64 s13, v246, v244
	s_mov_b32 s57, exec_lo
                                        ; implicit-def: $vgpr103
	v_cmpx_lt_u32_e64 v246, v244
; %bb.1891:
	v_lshl_add_u32 v48, v246, 1, v178
	ds_read_u16 v103, v48
; %bb.1892:
	s_or_b32 exec_lo, exec_lo, s57
	s_nor_b32 s8, s8, s13
	s_and_saveexec_b32 s9, s8
	s_cbranch_execz .LBB1044_1894
; %bb.1893:
	s_waitcnt lgkmcnt(0)
	v_bfe_i32 v48, v103, 0, 16
	v_bfe_i32 v50, v99, 0, 16
	s_andn2_b32 s13, s13, exec_lo
	v_ashrrev_i32_e32 v49, 31, v48
	v_ashrrev_i32_e32 v51, 31, v50
	v_lshlrev_b64 v[48:49], 1, v[48:49]
	v_lshlrev_b64 v[50:51], 1, v[50:51]
	v_add_co_u32 v48, s8, v6, v48
	v_add_co_ci_u32_e64 v49, null, v7, v49, s8
	v_add_co_u32 v50, s8, v6, v50
	v_add_co_ci_u32_e64 v51, null, v7, v51, s8
	s_clause 0x1
	flat_load_ushort v48, v[48:49]
	flat_load_ushort v49, v[50:51]
	s_waitcnt vmcnt(0) lgkmcnt(0)
	v_cmp_ge_i16_e64 s8, v48, v49
	s_and_b32 s8, s8, exec_lo
	s_or_b32 s13, s13, s8
.LBB1044_1894:
	s_or_b32 exec_lo, exec_lo, s9
	v_cndmask_b32_e64 v48, v246, v245, s13
	v_cndmask_b32_e64 v49, v244, v243, s13
	s_mov_b32 s57, -1
	s_mov_b32 s9, -1
	s_mov_b32 s58, exec_lo
	v_add_nc_u32_e32 v50, 1, v48
	v_add_nc_u32_e32 v48, -1, v49
	v_cndmask_b32_e64 v49, v245, v50, s13
	v_min_u32_e32 v48, v50, v48
	v_lshl_add_u32 v48, v48, 1, v178
	ds_read_u16 v51, v48
	v_cndmask_b32_e64 v48, v50, v246, s13
	s_waitcnt lgkmcnt(0)
	v_cndmask_b32_e64 v102, v51, v103, s13
	v_cndmask_b32_e64 v245, v99, v51, s13
	v_cmpx_lt_u32_e64 v48, v244
	s_cbranch_execz .LBB1044_1898
; %bb.1895:
	s_mov_b32 s59, 0
	s_mov_b32 s9, exec_lo
	v_cmpx_lt_u32_e64 v49, v243
	s_cbranch_execz .LBB1044_1897
; %bb.1896:
	v_bfe_i32 v50, v102, 0, 16
	v_bfe_i32 v52, v245, 0, 16
	v_ashrrev_i32_e32 v51, 31, v50
	v_ashrrev_i32_e32 v53, 31, v52
	v_lshlrev_b64 v[50:51], 1, v[50:51]
	v_lshlrev_b64 v[52:53], 1, v[52:53]
	v_add_co_u32 v50, s8, v6, v50
	v_add_co_ci_u32_e64 v51, null, v7, v51, s8
	v_add_co_u32 v52, s8, v6, v52
	v_add_co_ci_u32_e64 v53, null, v7, v53, s8
	s_clause 0x1
	flat_load_ushort v50, v[50:51]
	flat_load_ushort v51, v[52:53]
	s_waitcnt vmcnt(0) lgkmcnt(0)
	v_cmp_ge_i16_e64 s8, v50, v51
	s_and_b32 s59, s8, exec_lo
.LBB1044_1897:
	s_or_b32 exec_lo, exec_lo, s9
	s_orn2_b32 s9, s59, exec_lo
.LBB1044_1898:
	s_or_b32 exec_lo, exec_lo, s58
	v_cndmask_b32_e64 v50, v48, v49, s9
	v_cndmask_b32_e64 v51, v244, v243, s9
	s_mov_b32 s58, exec_lo
	v_add_nc_u32_e32 v50, 1, v50
	v_add_nc_u32_e32 v51, -1, v51
	v_cndmask_b32_e64 v48, v50, v48, s9
	v_min_u32_e32 v51, v50, v51
	v_cndmask_b32_e64 v49, v49, v50, s9
	v_lshl_add_u32 v51, v51, 1, v178
	ds_read_u16 v51, v51
	s_waitcnt lgkmcnt(0)
	v_cndmask_b32_e64 v101, v51, v102, s9
	v_cndmask_b32_e64 v246, v245, v51, s9
	v_cmpx_lt_u32_e64 v48, v244
	s_cbranch_execz .LBB1044_1902
; %bb.1899:
	s_mov_b32 s59, 0
	s_mov_b32 s57, exec_lo
	v_cmpx_lt_u32_e64 v49, v243
	s_cbranch_execz .LBB1044_1901
; %bb.1900:
	v_bfe_i32 v50, v101, 0, 16
	v_bfe_i32 v52, v246, 0, 16
	v_ashrrev_i32_e32 v51, 31, v50
	v_ashrrev_i32_e32 v53, 31, v52
	v_lshlrev_b64 v[50:51], 1, v[50:51]
	v_lshlrev_b64 v[52:53], 1, v[52:53]
	v_add_co_u32 v50, s8, v6, v50
	v_add_co_ci_u32_e64 v51, null, v7, v51, s8
	v_add_co_u32 v52, s8, v6, v52
	v_add_co_ci_u32_e64 v53, null, v7, v53, s8
	s_clause 0x1
	flat_load_ushort v50, v[50:51]
	flat_load_ushort v51, v[52:53]
	s_waitcnt vmcnt(0) lgkmcnt(0)
	v_cmp_ge_i16_e64 s8, v50, v51
	s_and_b32 s59, s8, exec_lo
.LBB1044_1901:
	s_or_b32 exec_lo, exec_lo, s57
	s_orn2_b32 s57, s59, exec_lo
.LBB1044_1902:
	s_or_b32 exec_lo, exec_lo, s58
	v_cndmask_b32_e64 v50, v48, v49, s57
	v_cndmask_b32_e64 v51, v244, v243, s57
	s_mov_b32 s59, -1
	s_mov_b32 s58, -1
	s_mov_b32 s60, exec_lo
	v_add_nc_u32_e32 v50, 1, v50
	v_add_nc_u32_e32 v51, -1, v51
	v_cndmask_b32_e64 v48, v50, v48, s57
	v_min_u32_e32 v51, v50, v51
	v_cndmask_b32_e64 v49, v49, v50, s57
	v_lshl_add_u32 v51, v51, 1, v178
	ds_read_u16 v51, v51
	s_waitcnt lgkmcnt(0)
	v_cndmask_b32_e64 v100, v51, v101, s57
	v_cndmask_b32_e64 v247, v246, v51, s57
	v_cmpx_lt_u32_e64 v48, v244
	s_cbranch_execz .LBB1044_1906
; %bb.1903:
	s_mov_b32 s61, 0
	s_mov_b32 s58, exec_lo
	v_cmpx_lt_u32_e64 v49, v243
	s_cbranch_execz .LBB1044_1905
; %bb.1904:
	v_bfe_i32 v50, v100, 0, 16
	v_bfe_i32 v52, v247, 0, 16
	v_ashrrev_i32_e32 v51, 31, v50
	v_ashrrev_i32_e32 v53, 31, v52
	v_lshlrev_b64 v[50:51], 1, v[50:51]
	v_lshlrev_b64 v[52:53], 1, v[52:53]
	v_add_co_u32 v50, s8, v6, v50
	v_add_co_ci_u32_e64 v51, null, v7, v51, s8
	v_add_co_u32 v52, s8, v6, v52
	v_add_co_ci_u32_e64 v53, null, v7, v53, s8
	s_clause 0x1
	flat_load_ushort v50, v[50:51]
	flat_load_ushort v51, v[52:53]
	s_waitcnt vmcnt(0) lgkmcnt(0)
	v_cmp_ge_i16_e64 s8, v50, v51
	s_and_b32 s61, s8, exec_lo
.LBB1044_1905:
	s_or_b32 exec_lo, exec_lo, s58
	s_orn2_b32 s58, s61, exec_lo
.LBB1044_1906:
	s_or_b32 exec_lo, exec_lo, s60
	v_cndmask_b32_e64 v50, v48, v49, s58
	v_cndmask_b32_e64 v51, v244, v243, s58
	s_mov_b32 s60, exec_lo
	v_add_nc_u32_e32 v50, 1, v50
	v_add_nc_u32_e32 v51, -1, v51
	v_cndmask_b32_e64 v48, v50, v48, s58
	v_min_u32_e32 v51, v50, v51
	v_cndmask_b32_e64 v49, v49, v50, s58
	v_lshl_add_u32 v51, v51, 1, v178
	ds_read_u16 v51, v51
	s_waitcnt lgkmcnt(0)
	v_cndmask_b32_e64 v98, v51, v100, s58
	v_cndmask_b32_e64 v40, v247, v51, s58
	v_cmpx_lt_u32_e64 v48, v244
	s_cbranch_execz .LBB1044_1910
; %bb.1907:
	s_mov_b32 s61, 0
	s_mov_b32 s59, exec_lo
	v_cmpx_lt_u32_e64 v49, v243
	s_cbranch_execz .LBB1044_1909
; %bb.1908:
	v_bfe_i32 v50, v98, 0, 16
	v_bfe_i32 v52, v40, 0, 16
	v_ashrrev_i32_e32 v51, 31, v50
	v_ashrrev_i32_e32 v53, 31, v52
	v_lshlrev_b64 v[50:51], 1, v[50:51]
	v_lshlrev_b64 v[52:53], 1, v[52:53]
	v_add_co_u32 v50, s8, v6, v50
	v_add_co_ci_u32_e64 v51, null, v7, v51, s8
	v_add_co_u32 v52, s8, v6, v52
	v_add_co_ci_u32_e64 v53, null, v7, v53, s8
	s_clause 0x1
	flat_load_ushort v50, v[50:51]
	flat_load_ushort v51, v[52:53]
	s_waitcnt vmcnt(0) lgkmcnt(0)
	v_cmp_ge_i16_e64 s8, v50, v51
	s_and_b32 s61, s8, exec_lo
.LBB1044_1909:
	s_or_b32 exec_lo, exec_lo, s59
	s_orn2_b32 s59, s61, exec_lo
.LBB1044_1910:
	s_or_b32 exec_lo, exec_lo, s60
	v_cndmask_b32_e64 v50, v48, v49, s59
	v_cndmask_b32_e64 v51, v244, v243, s59
	s_mov_b32 s61, -1
	s_mov_b32 s60, -1
	s_mov_b32 s62, exec_lo
	v_add_nc_u32_e32 v50, 1, v50
	v_add_nc_u32_e32 v51, -1, v51
	v_cndmask_b32_e64 v48, v50, v48, s59
	v_min_u32_e32 v51, v50, v51
	v_cndmask_b32_e64 v49, v49, v50, s59
	v_lshl_add_u32 v51, v51, 1, v178
	ds_read_u16 v51, v51
	s_waitcnt lgkmcnt(0)
	v_cndmask_b32_e64 v97, v51, v98, s59
	v_cndmask_b32_e64 v41, v40, v51, s59
	v_cmpx_lt_u32_e64 v48, v244
	s_cbranch_execz .LBB1044_1914
; %bb.1911:
	s_mov_b32 s63, 0
	s_mov_b32 s60, exec_lo
	v_cmpx_lt_u32_e64 v49, v243
	s_cbranch_execz .LBB1044_1913
; %bb.1912:
	v_bfe_i32 v50, v97, 0, 16
	v_bfe_i32 v52, v41, 0, 16
	v_ashrrev_i32_e32 v51, 31, v50
	v_ashrrev_i32_e32 v53, 31, v52
	v_lshlrev_b64 v[50:51], 1, v[50:51]
	v_lshlrev_b64 v[52:53], 1, v[52:53]
	v_add_co_u32 v50, s8, v6, v50
	v_add_co_ci_u32_e64 v51, null, v7, v51, s8
	v_add_co_u32 v52, s8, v6, v52
	v_add_co_ci_u32_e64 v53, null, v7, v53, s8
	s_clause 0x1
	flat_load_ushort v50, v[50:51]
	flat_load_ushort v51, v[52:53]
	s_waitcnt vmcnt(0) lgkmcnt(0)
	v_cmp_ge_i16_e64 s8, v50, v51
	s_and_b32 s63, s8, exec_lo
.LBB1044_1913:
	s_or_b32 exec_lo, exec_lo, s60
	s_orn2_b32 s60, s63, exec_lo
.LBB1044_1914:
	s_or_b32 exec_lo, exec_lo, s62
	v_cndmask_b32_e64 v50, v48, v49, s60
	v_cndmask_b32_e64 v51, v244, v243, s60
	s_mov_b32 s62, exec_lo
	v_add_nc_u32_e32 v50, 1, v50
	v_add_nc_u32_e32 v51, -1, v51
	v_cndmask_b32_e64 v48, v50, v48, s60
	v_min_u32_e32 v51, v50, v51
	v_cndmask_b32_e64 v49, v49, v50, s60
	v_lshl_add_u32 v51, v51, 1, v178
	ds_read_u16 v51, v51
	s_waitcnt lgkmcnt(0)
	v_cndmask_b32_e64 v96, v51, v97, s60
	v_cndmask_b32_e64 v42, v41, v51, s60
	v_cmpx_lt_u32_e64 v48, v244
	s_cbranch_execz .LBB1044_1918
; %bb.1915:
	s_mov_b32 s63, 0
	s_mov_b32 s61, exec_lo
	v_cmpx_lt_u32_e64 v49, v243
	s_cbranch_execz .LBB1044_1917
; %bb.1916:
	v_bfe_i32 v50, v96, 0, 16
	v_bfe_i32 v52, v42, 0, 16
	v_ashrrev_i32_e32 v51, 31, v50
	v_ashrrev_i32_e32 v53, 31, v52
	v_lshlrev_b64 v[50:51], 1, v[50:51]
	v_lshlrev_b64 v[52:53], 1, v[52:53]
	v_add_co_u32 v50, s8, v6, v50
	v_add_co_ci_u32_e64 v51, null, v7, v51, s8
	v_add_co_u32 v52, s8, v6, v52
	v_add_co_ci_u32_e64 v53, null, v7, v53, s8
	s_clause 0x1
	flat_load_ushort v50, v[50:51]
	flat_load_ushort v51, v[52:53]
	s_waitcnt vmcnt(0) lgkmcnt(0)
	v_cmp_ge_i16_e64 s8, v50, v51
	s_and_b32 s63, s8, exec_lo
.LBB1044_1917:
	s_or_b32 exec_lo, exec_lo, s61
	s_orn2_b32 s61, s63, exec_lo
.LBB1044_1918:
	s_or_b32 exec_lo, exec_lo, s62
	v_cndmask_b32_e64 v50, v48, v49, s61
	v_cndmask_b32_e64 v51, v244, v243, s61
	s_mov_b32 s63, -1
	s_mov_b32 s62, -1
	s_mov_b32 s72, exec_lo
	v_add_nc_u32_e32 v50, 1, v50
	v_add_nc_u32_e32 v51, -1, v51
	v_cndmask_b32_e64 v48, v50, v48, s61
	v_min_u32_e32 v51, v50, v51
	v_cndmask_b32_e64 v49, v49, v50, s61
	v_lshl_add_u32 v51, v51, 1, v178
	ds_read_u16 v51, v51
	s_waitcnt lgkmcnt(0)
	v_cndmask_b32_e64 v87, v51, v96, s61
	v_cndmask_b32_e64 v43, v42, v51, s61
	v_cmpx_lt_u32_e64 v48, v244
	s_cbranch_execz .LBB1044_1922
; %bb.1919:
	s_mov_b32 s73, 0
	s_mov_b32 s62, exec_lo
	v_cmpx_lt_u32_e64 v49, v243
	s_cbranch_execz .LBB1044_1921
; %bb.1920:
	v_bfe_i32 v50, v87, 0, 16
	v_bfe_i32 v52, v43, 0, 16
	v_ashrrev_i32_e32 v51, 31, v50
	v_ashrrev_i32_e32 v53, 31, v52
	v_lshlrev_b64 v[50:51], 1, v[50:51]
	v_lshlrev_b64 v[52:53], 1, v[52:53]
	v_add_co_u32 v50, s8, v6, v50
	v_add_co_ci_u32_e64 v51, null, v7, v51, s8
	v_add_co_u32 v52, s8, v6, v52
	v_add_co_ci_u32_e64 v53, null, v7, v53, s8
	s_clause 0x1
	flat_load_ushort v50, v[50:51]
	flat_load_ushort v51, v[52:53]
	s_waitcnt vmcnt(0) lgkmcnt(0)
	v_cmp_ge_i16_e64 s8, v50, v51
	s_and_b32 s73, s8, exec_lo
.LBB1044_1921:
	s_or_b32 exec_lo, exec_lo, s62
	s_orn2_b32 s62, s73, exec_lo
.LBB1044_1922:
	s_or_b32 exec_lo, exec_lo, s72
	v_cndmask_b32_e64 v50, v48, v49, s62
	v_cndmask_b32_e64 v51, v244, v243, s62
	s_mov_b32 s72, exec_lo
	v_add_nc_u32_e32 v50, 1, v50
	v_add_nc_u32_e32 v51, -1, v51
	v_cndmask_b32_e64 v48, v50, v48, s62
	v_min_u32_e32 v51, v50, v51
	v_cndmask_b32_e64 v49, v49, v50, s62
	v_lshl_add_u32 v51, v51, 1, v178
	ds_read_u16 v51, v51
	s_waitcnt lgkmcnt(0)
	v_cndmask_b32_e64 v86, v51, v87, s62
	v_cndmask_b32_e64 v44, v43, v51, s62
	v_cmpx_lt_u32_e64 v48, v244
	s_cbranch_execz .LBB1044_1926
; %bb.1923:
	s_mov_b32 s73, 0
	s_mov_b32 s63, exec_lo
	v_cmpx_lt_u32_e64 v49, v243
	s_cbranch_execz .LBB1044_1925
; %bb.1924:
	v_bfe_i32 v50, v86, 0, 16
	v_bfe_i32 v52, v44, 0, 16
	v_ashrrev_i32_e32 v51, 31, v50
	v_ashrrev_i32_e32 v53, 31, v52
	v_lshlrev_b64 v[50:51], 1, v[50:51]
	v_lshlrev_b64 v[52:53], 1, v[52:53]
	v_add_co_u32 v50, s8, v6, v50
	v_add_co_ci_u32_e64 v51, null, v7, v51, s8
	v_add_co_u32 v52, s8, v6, v52
	v_add_co_ci_u32_e64 v53, null, v7, v53, s8
	s_clause 0x1
	flat_load_ushort v50, v[50:51]
	flat_load_ushort v51, v[52:53]
	s_waitcnt vmcnt(0) lgkmcnt(0)
	v_cmp_ge_i16_e64 s8, v50, v51
	s_and_b32 s73, s8, exec_lo
.LBB1044_1925:
	s_or_b32 exec_lo, exec_lo, s63
	s_orn2_b32 s63, s73, exec_lo
.LBB1044_1926:
	s_or_b32 exec_lo, exec_lo, s72
	v_cndmask_b32_e64 v50, v48, v49, s63
	v_cndmask_b32_e64 v51, v244, v243, s63
	s_mov_b32 s73, -1
	s_mov_b32 s72, -1
	s_mov_b32 s74, exec_lo
	v_add_nc_u32_e32 v50, 1, v50
	v_add_nc_u32_e32 v51, -1, v51
	v_cndmask_b32_e64 v48, v50, v48, s63
	v_min_u32_e32 v51, v50, v51
	v_cndmask_b32_e64 v49, v49, v50, s63
	v_lshl_add_u32 v51, v51, 1, v178
	ds_read_u16 v51, v51
	s_waitcnt lgkmcnt(0)
	v_cndmask_b32_e64 v85, v51, v86, s63
	v_cndmask_b32_e64 v45, v44, v51, s63
	v_cmpx_lt_u32_e64 v48, v244
	s_cbranch_execz .LBB1044_1930
; %bb.1927:
	s_mov_b32 s75, 0
	s_mov_b32 s72, exec_lo
	v_cmpx_lt_u32_e64 v49, v243
	s_cbranch_execz .LBB1044_1929
; %bb.1928:
	v_bfe_i32 v50, v85, 0, 16
	v_bfe_i32 v52, v45, 0, 16
	v_ashrrev_i32_e32 v51, 31, v50
	v_ashrrev_i32_e32 v53, 31, v52
	v_lshlrev_b64 v[50:51], 1, v[50:51]
	v_lshlrev_b64 v[52:53], 1, v[52:53]
	v_add_co_u32 v50, s8, v6, v50
	v_add_co_ci_u32_e64 v51, null, v7, v51, s8
	v_add_co_u32 v52, s8, v6, v52
	v_add_co_ci_u32_e64 v53, null, v7, v53, s8
	s_clause 0x1
	flat_load_ushort v50, v[50:51]
	flat_load_ushort v51, v[52:53]
	s_waitcnt vmcnt(0) lgkmcnt(0)
	v_cmp_ge_i16_e64 s8, v50, v51
	s_and_b32 s75, s8, exec_lo
.LBB1044_1929:
	s_or_b32 exec_lo, exec_lo, s72
	s_orn2_b32 s72, s75, exec_lo
.LBB1044_1930:
	s_or_b32 exec_lo, exec_lo, s74
	v_cndmask_b32_e64 v50, v48, v49, s72
	v_cndmask_b32_e64 v51, v244, v243, s72
	s_mov_b32 s74, exec_lo
	v_add_nc_u32_e32 v50, 1, v50
	v_add_nc_u32_e32 v51, -1, v51
	v_cndmask_b32_e64 v48, v50, v48, s72
	v_min_u32_e32 v51, v50, v51
	v_cndmask_b32_e64 v49, v49, v50, s72
	v_lshl_add_u32 v51, v51, 1, v178
	ds_read_u16 v51, v51
	s_waitcnt lgkmcnt(0)
	v_cndmask_b32_e64 v84, v51, v85, s72
	v_cndmask_b32_e64 v46, v45, v51, s72
	v_cmpx_lt_u32_e64 v48, v244
	s_cbranch_execz .LBB1044_1934
; %bb.1931:
	s_mov_b32 s75, 0
	s_mov_b32 s73, exec_lo
	v_cmpx_lt_u32_e64 v49, v243
	s_cbranch_execz .LBB1044_1933
; %bb.1932:
	v_bfe_i32 v50, v84, 0, 16
	v_bfe_i32 v52, v46, 0, 16
	v_ashrrev_i32_e32 v51, 31, v50
	v_ashrrev_i32_e32 v53, 31, v52
	v_lshlrev_b64 v[50:51], 1, v[50:51]
	v_lshlrev_b64 v[52:53], 1, v[52:53]
	v_add_co_u32 v50, s8, v6, v50
	v_add_co_ci_u32_e64 v51, null, v7, v51, s8
	v_add_co_u32 v52, s8, v6, v52
	v_add_co_ci_u32_e64 v53, null, v7, v53, s8
	s_clause 0x1
	flat_load_ushort v50, v[50:51]
	flat_load_ushort v51, v[52:53]
	s_waitcnt vmcnt(0) lgkmcnt(0)
	v_cmp_ge_i16_e64 s8, v50, v51
	s_and_b32 s75, s8, exec_lo
.LBB1044_1933:
	s_or_b32 exec_lo, exec_lo, s73
	s_orn2_b32 s73, s75, exec_lo
.LBB1044_1934:
	s_or_b32 exec_lo, exec_lo, s74
	v_cndmask_b32_e64 v50, v48, v49, s73
	v_cndmask_b32_e64 v51, v244, v243, s73
	s_mov_b32 s75, -1
	s_mov_b32 s74, -1
	s_mov_b32 s76, exec_lo
	v_add_nc_u32_e32 v50, 1, v50
	v_add_nc_u32_e32 v51, -1, v51
	v_cndmask_b32_e64 v48, v50, v48, s73
	v_min_u32_e32 v51, v50, v51
	v_cndmask_b32_e64 v49, v49, v50, s73
	v_lshl_add_u32 v51, v51, 1, v178
	ds_read_u16 v51, v51
	s_waitcnt lgkmcnt(0)
	v_cndmask_b32_e64 v83, v51, v84, s73
	v_cndmask_b32_e64 v47, v46, v51, s73
	v_cmpx_lt_u32_e64 v48, v244
	s_cbranch_execz .LBB1044_1938
; %bb.1935:
	s_mov_b32 s77, 0
	s_mov_b32 s74, exec_lo
	v_cmpx_lt_u32_e64 v49, v243
	s_cbranch_execz .LBB1044_1937
; %bb.1936:
	v_bfe_i32 v50, v83, 0, 16
	v_bfe_i32 v52, v47, 0, 16
	v_ashrrev_i32_e32 v51, 31, v50
	v_ashrrev_i32_e32 v53, 31, v52
	v_lshlrev_b64 v[50:51], 1, v[50:51]
	v_lshlrev_b64 v[52:53], 1, v[52:53]
	v_add_co_u32 v50, s8, v6, v50
	v_add_co_ci_u32_e64 v51, null, v7, v51, s8
	v_add_co_u32 v52, s8, v6, v52
	v_add_co_ci_u32_e64 v53, null, v7, v53, s8
	s_clause 0x1
	flat_load_ushort v50, v[50:51]
	flat_load_ushort v51, v[52:53]
	s_waitcnt vmcnt(0) lgkmcnt(0)
	v_cmp_ge_i16_e64 s8, v50, v51
	s_and_b32 s77, s8, exec_lo
.LBB1044_1937:
	s_or_b32 exec_lo, exec_lo, s74
	s_orn2_b32 s74, s77, exec_lo
.LBB1044_1938:
	s_or_b32 exec_lo, exec_lo, s76
	v_cndmask_b32_e64 v50, v48, v49, s74
	v_cndmask_b32_e64 v51, v244, v243, s74
	s_mov_b32 s76, exec_lo
	v_add_nc_u32_e32 v50, 1, v50
	v_add_nc_u32_e32 v51, -1, v51
	v_cndmask_b32_e64 v48, v50, v48, s74
	v_min_u32_e32 v51, v50, v51
	v_cndmask_b32_e64 v49, v49, v50, s74
	v_lshl_add_u32 v51, v51, 1, v178
	ds_read_u16 v51, v51
	s_waitcnt lgkmcnt(0)
	v_cndmask_b32_e64 v82, v51, v83, s74
	v_cndmask_b32_e64 v56, v47, v51, s74
	v_cmpx_lt_u32_e64 v48, v244
	s_cbranch_execz .LBB1044_1942
; %bb.1939:
	s_mov_b32 s77, 0
	s_mov_b32 s75, exec_lo
	v_cmpx_lt_u32_e64 v49, v243
	s_cbranch_execz .LBB1044_1941
; %bb.1940:
	v_bfe_i32 v50, v82, 0, 16
	v_bfe_i32 v52, v56, 0, 16
	v_ashrrev_i32_e32 v51, 31, v50
	v_ashrrev_i32_e32 v53, 31, v52
	v_lshlrev_b64 v[50:51], 1, v[50:51]
	v_lshlrev_b64 v[52:53], 1, v[52:53]
	v_add_co_u32 v50, s8, v6, v50
	v_add_co_ci_u32_e64 v51, null, v7, v51, s8
	v_add_co_u32 v52, s8, v6, v52
	v_add_co_ci_u32_e64 v53, null, v7, v53, s8
	s_clause 0x1
	flat_load_ushort v50, v[50:51]
	flat_load_ushort v51, v[52:53]
	s_waitcnt vmcnt(0) lgkmcnt(0)
	v_cmp_ge_i16_e64 s8, v50, v51
	s_and_b32 s77, s8, exec_lo
.LBB1044_1941:
	s_or_b32 exec_lo, exec_lo, s75
	s_orn2_b32 s75, s77, exec_lo
.LBB1044_1942:
	s_or_b32 exec_lo, exec_lo, s76
	v_cndmask_b32_e64 v50, v48, v49, s75
	v_cndmask_b32_e64 v51, v244, v243, s75
	s_mov_b32 s77, -1
	s_mov_b32 s76, -1
	s_mov_b32 s78, exec_lo
	v_add_nc_u32_e32 v50, 1, v50
	v_add_nc_u32_e32 v51, -1, v51
	v_cndmask_b32_e64 v48, v50, v48, s75
	v_min_u32_e32 v51, v50, v51
	v_cndmask_b32_e64 v49, v49, v50, s75
	v_lshl_add_u32 v51, v51, 1, v178
	ds_read_u16 v51, v51
	s_waitcnt lgkmcnt(0)
	v_cndmask_b32_e64 v81, v51, v82, s75
	v_cndmask_b32_e64 v57, v56, v51, s75
	v_cmpx_lt_u32_e64 v48, v244
	s_cbranch_execz .LBB1044_1946
; %bb.1943:
	s_mov_b32 s79, 0
	s_mov_b32 s76, exec_lo
	v_cmpx_lt_u32_e64 v49, v243
	s_cbranch_execz .LBB1044_1945
; %bb.1944:
	v_bfe_i32 v50, v81, 0, 16
	v_bfe_i32 v52, v57, 0, 16
	v_ashrrev_i32_e32 v51, 31, v50
	v_ashrrev_i32_e32 v53, 31, v52
	v_lshlrev_b64 v[50:51], 1, v[50:51]
	v_lshlrev_b64 v[52:53], 1, v[52:53]
	v_add_co_u32 v50, s8, v6, v50
	v_add_co_ci_u32_e64 v51, null, v7, v51, s8
	v_add_co_u32 v52, s8, v6, v52
	v_add_co_ci_u32_e64 v53, null, v7, v53, s8
	s_clause 0x1
	flat_load_ushort v50, v[50:51]
	flat_load_ushort v51, v[52:53]
	s_waitcnt vmcnt(0) lgkmcnt(0)
	v_cmp_ge_i16_e64 s8, v50, v51
	s_and_b32 s79, s8, exec_lo
.LBB1044_1945:
	s_or_b32 exec_lo, exec_lo, s76
	s_orn2_b32 s76, s79, exec_lo
.LBB1044_1946:
	s_or_b32 exec_lo, exec_lo, s78
	v_cndmask_b32_e64 v50, v48, v49, s76
	v_cndmask_b32_e64 v51, v244, v243, s76
	s_mov_b32 s78, exec_lo
	v_add_nc_u32_e32 v50, 1, v50
	v_add_nc_u32_e32 v51, -1, v51
	v_cndmask_b32_e64 v48, v50, v48, s76
	v_min_u32_e32 v51, v50, v51
	v_cndmask_b32_e64 v49, v49, v50, s76
	v_lshl_add_u32 v51, v51, 1, v178
	ds_read_u16 v51, v51
	s_waitcnt lgkmcnt(0)
	v_cndmask_b32_e64 v80, v51, v81, s76
	v_cndmask_b32_e64 v58, v57, v51, s76
	v_cmpx_lt_u32_e64 v48, v244
	s_cbranch_execz .LBB1044_1950
; %bb.1947:
	s_mov_b32 s79, 0
	s_mov_b32 s77, exec_lo
	v_cmpx_lt_u32_e64 v49, v243
	s_cbranch_execz .LBB1044_1949
; %bb.1948:
	v_bfe_i32 v50, v80, 0, 16
	v_bfe_i32 v52, v58, 0, 16
	v_ashrrev_i32_e32 v51, 31, v50
	v_ashrrev_i32_e32 v53, 31, v52
	v_lshlrev_b64 v[50:51], 1, v[50:51]
	v_lshlrev_b64 v[52:53], 1, v[52:53]
	v_add_co_u32 v50, s8, v6, v50
	v_add_co_ci_u32_e64 v51, null, v7, v51, s8
	v_add_co_u32 v52, s8, v6, v52
	v_add_co_ci_u32_e64 v53, null, v7, v53, s8
	s_clause 0x1
	flat_load_ushort v50, v[50:51]
	flat_load_ushort v51, v[52:53]
	s_waitcnt vmcnt(0) lgkmcnt(0)
	v_cmp_ge_i16_e64 s8, v50, v51
	s_and_b32 s79, s8, exec_lo
.LBB1044_1949:
	s_or_b32 exec_lo, exec_lo, s77
	s_orn2_b32 s77, s79, exec_lo
.LBB1044_1950:
	s_or_b32 exec_lo, exec_lo, s78
	v_cndmask_b32_e64 v50, v48, v49, s77
	v_cndmask_b32_e64 v51, v244, v243, s77
	s_mov_b32 s79, -1
	s_mov_b32 s78, -1
	s_mov_b32 s88, exec_lo
	v_add_nc_u32_e32 v50, 1, v50
	v_add_nc_u32_e32 v51, -1, v51
	v_cndmask_b32_e64 v48, v50, v48, s77
	v_min_u32_e32 v51, v50, v51
	v_cndmask_b32_e64 v49, v49, v50, s77
	v_lshl_add_u32 v51, v51, 1, v178
	ds_read_u16 v51, v51
	s_waitcnt lgkmcnt(0)
	v_cndmask_b32_e64 v71, v51, v80, s77
	v_cndmask_b32_e64 v59, v58, v51, s77
	v_cmpx_lt_u32_e64 v48, v244
	s_cbranch_execz .LBB1044_1954
; %bb.1951:
	s_mov_b32 s89, 0
	s_mov_b32 s78, exec_lo
	v_cmpx_lt_u32_e64 v49, v243
	s_cbranch_execz .LBB1044_1953
; %bb.1952:
	v_bfe_i32 v50, v71, 0, 16
	v_bfe_i32 v52, v59, 0, 16
	v_ashrrev_i32_e32 v51, 31, v50
	v_ashrrev_i32_e32 v53, 31, v52
	v_lshlrev_b64 v[50:51], 1, v[50:51]
	v_lshlrev_b64 v[52:53], 1, v[52:53]
	v_add_co_u32 v50, s8, v6, v50
	v_add_co_ci_u32_e64 v51, null, v7, v51, s8
	v_add_co_u32 v52, s8, v6, v52
	v_add_co_ci_u32_e64 v53, null, v7, v53, s8
	s_clause 0x1
	flat_load_ushort v50, v[50:51]
	flat_load_ushort v51, v[52:53]
	s_waitcnt vmcnt(0) lgkmcnt(0)
	v_cmp_ge_i16_e64 s8, v50, v51
	s_and_b32 s89, s8, exec_lo
.LBB1044_1953:
	s_or_b32 exec_lo, exec_lo, s78
	s_orn2_b32 s78, s89, exec_lo
.LBB1044_1954:
	s_or_b32 exec_lo, exec_lo, s88
	v_cndmask_b32_e64 v50, v48, v49, s78
	v_cndmask_b32_e64 v51, v244, v243, s78
	s_mov_b32 s88, exec_lo
	v_add_nc_u32_e32 v50, 1, v50
	v_add_nc_u32_e32 v51, -1, v51
	v_cndmask_b32_e64 v48, v50, v48, s78
	v_min_u32_e32 v51, v50, v51
	v_cndmask_b32_e64 v49, v49, v50, s78
	v_lshl_add_u32 v51, v51, 1, v178
	ds_read_u16 v51, v51
	s_waitcnt lgkmcnt(0)
	v_cndmask_b32_e64 v70, v51, v71, s78
	v_cndmask_b32_e64 v60, v59, v51, s78
	v_cmpx_lt_u32_e64 v48, v244
	s_cbranch_execz .LBB1044_1958
; %bb.1955:
	s_mov_b32 s89, 0
	s_mov_b32 s79, exec_lo
	v_cmpx_lt_u32_e64 v49, v243
	s_cbranch_execz .LBB1044_1957
; %bb.1956:
	v_bfe_i32 v50, v70, 0, 16
	v_bfe_i32 v52, v60, 0, 16
	v_ashrrev_i32_e32 v51, 31, v50
	v_ashrrev_i32_e32 v53, 31, v52
	v_lshlrev_b64 v[50:51], 1, v[50:51]
	v_lshlrev_b64 v[52:53], 1, v[52:53]
	v_add_co_u32 v50, s8, v6, v50
	v_add_co_ci_u32_e64 v51, null, v7, v51, s8
	v_add_co_u32 v52, s8, v6, v52
	v_add_co_ci_u32_e64 v53, null, v7, v53, s8
	s_clause 0x1
	flat_load_ushort v50, v[50:51]
	flat_load_ushort v51, v[52:53]
	s_waitcnt vmcnt(0) lgkmcnt(0)
	v_cmp_ge_i16_e64 s8, v50, v51
	s_and_b32 s89, s8, exec_lo
.LBB1044_1957:
	s_or_b32 exec_lo, exec_lo, s79
	s_orn2_b32 s79, s89, exec_lo
.LBB1044_1958:
	s_or_b32 exec_lo, exec_lo, s88
	v_cndmask_b32_e64 v50, v48, v49, s79
	v_cndmask_b32_e64 v51, v244, v243, s79
	s_mov_b32 s89, -1
	s_mov_b32 s88, -1
	s_mov_b32 s90, exec_lo
	v_add_nc_u32_e32 v50, 1, v50
	v_add_nc_u32_e32 v51, -1, v51
	v_cndmask_b32_e64 v48, v50, v48, s79
	v_min_u32_e32 v51, v50, v51
	v_cndmask_b32_e64 v49, v49, v50, s79
	v_lshl_add_u32 v51, v51, 1, v178
	ds_read_u16 v51, v51
	s_waitcnt lgkmcnt(0)
	v_cndmask_b32_e64 v69, v51, v70, s79
	v_cndmask_b32_e64 v61, v60, v51, s79
	v_cmpx_lt_u32_e64 v48, v244
	s_cbranch_execz .LBB1044_1962
; %bb.1959:
	s_mov_b32 s91, 0
	s_mov_b32 s88, exec_lo
	v_cmpx_lt_u32_e64 v49, v243
	s_cbranch_execz .LBB1044_1961
; %bb.1960:
	v_bfe_i32 v50, v69, 0, 16
	v_bfe_i32 v52, v61, 0, 16
	v_ashrrev_i32_e32 v51, 31, v50
	v_ashrrev_i32_e32 v53, 31, v52
	v_lshlrev_b64 v[50:51], 1, v[50:51]
	v_lshlrev_b64 v[52:53], 1, v[52:53]
	v_add_co_u32 v50, s8, v6, v50
	v_add_co_ci_u32_e64 v51, null, v7, v51, s8
	v_add_co_u32 v52, s8, v6, v52
	v_add_co_ci_u32_e64 v53, null, v7, v53, s8
	s_clause 0x1
	flat_load_ushort v50, v[50:51]
	flat_load_ushort v51, v[52:53]
	s_waitcnt vmcnt(0) lgkmcnt(0)
	v_cmp_ge_i16_e64 s8, v50, v51
	s_and_b32 s91, s8, exec_lo
.LBB1044_1961:
	s_or_b32 exec_lo, exec_lo, s88
	s_orn2_b32 s88, s91, exec_lo
.LBB1044_1962:
	s_or_b32 exec_lo, exec_lo, s90
	v_cndmask_b32_e64 v50, v48, v49, s88
	v_cndmask_b32_e64 v51, v244, v243, s88
	s_mov_b32 s90, exec_lo
	v_add_nc_u32_e32 v50, 1, v50
	v_add_nc_u32_e32 v51, -1, v51
	v_cndmask_b32_e64 v48, v50, v48, s88
	v_min_u32_e32 v51, v50, v51
	v_cndmask_b32_e64 v49, v49, v50, s88
	v_lshl_add_u32 v51, v51, 1, v178
	ds_read_u16 v51, v51
	s_waitcnt lgkmcnt(0)
	v_cndmask_b32_e64 v68, v51, v69, s88
	v_cndmask_b32_e64 v62, v61, v51, s88
	v_cmpx_lt_u32_e64 v48, v244
	s_cbranch_execz .LBB1044_1966
; %bb.1963:
	s_mov_b32 s91, 0
	s_mov_b32 s89, exec_lo
	v_cmpx_lt_u32_e64 v49, v243
	s_cbranch_execz .LBB1044_1965
; %bb.1964:
	v_bfe_i32 v50, v68, 0, 16
	v_bfe_i32 v52, v62, 0, 16
	v_ashrrev_i32_e32 v51, 31, v50
	v_ashrrev_i32_e32 v53, 31, v52
	v_lshlrev_b64 v[50:51], 1, v[50:51]
	v_lshlrev_b64 v[52:53], 1, v[52:53]
	v_add_co_u32 v50, s8, v6, v50
	v_add_co_ci_u32_e64 v51, null, v7, v51, s8
	v_add_co_u32 v52, s8, v6, v52
	v_add_co_ci_u32_e64 v53, null, v7, v53, s8
	s_clause 0x1
	flat_load_ushort v50, v[50:51]
	flat_load_ushort v51, v[52:53]
	s_waitcnt vmcnt(0) lgkmcnt(0)
	v_cmp_ge_i16_e64 s8, v50, v51
	s_and_b32 s91, s8, exec_lo
.LBB1044_1965:
	s_or_b32 exec_lo, exec_lo, s89
	s_orn2_b32 s89, s91, exec_lo
.LBB1044_1966:
	s_or_b32 exec_lo, exec_lo, s90
	v_cndmask_b32_e64 v50, v48, v49, s89
	v_cndmask_b32_e64 v51, v244, v243, s89
	s_mov_b32 s91, -1
	s_mov_b32 s90, -1
	s_mov_b32 s92, exec_lo
	v_add_nc_u32_e32 v50, 1, v50
	v_add_nc_u32_e32 v51, -1, v51
	v_cndmask_b32_e64 v48, v50, v48, s89
	v_min_u32_e32 v51, v50, v51
	v_cndmask_b32_e64 v49, v49, v50, s89
	v_lshl_add_u32 v51, v51, 1, v178
	ds_read_u16 v51, v51
	s_waitcnt lgkmcnt(0)
	v_cndmask_b32_e64 v67, v51, v68, s89
	v_cndmask_b32_e64 v63, v62, v51, s89
	v_cmpx_lt_u32_e64 v48, v244
	s_cbranch_execz .LBB1044_1970
; %bb.1967:
	s_mov_b32 s93, 0
	s_mov_b32 s90, exec_lo
	v_cmpx_lt_u32_e64 v49, v243
	s_cbranch_execz .LBB1044_1969
; %bb.1968:
	v_bfe_i32 v50, v67, 0, 16
	v_bfe_i32 v52, v63, 0, 16
	v_ashrrev_i32_e32 v51, 31, v50
	v_ashrrev_i32_e32 v53, 31, v52
	v_lshlrev_b64 v[50:51], 1, v[50:51]
	v_lshlrev_b64 v[52:53], 1, v[52:53]
	v_add_co_u32 v50, s8, v6, v50
	v_add_co_ci_u32_e64 v51, null, v7, v51, s8
	v_add_co_u32 v52, s8, v6, v52
	v_add_co_ci_u32_e64 v53, null, v7, v53, s8
	s_clause 0x1
	flat_load_ushort v50, v[50:51]
	flat_load_ushort v51, v[52:53]
	s_waitcnt vmcnt(0) lgkmcnt(0)
	v_cmp_ge_i16_e64 s8, v50, v51
	s_and_b32 s93, s8, exec_lo
.LBB1044_1969:
	s_or_b32 exec_lo, exec_lo, s90
	s_orn2_b32 s90, s93, exec_lo
.LBB1044_1970:
	s_or_b32 exec_lo, exec_lo, s92
	v_cndmask_b32_e64 v50, v48, v49, s90
	v_cndmask_b32_e64 v51, v244, v243, s90
	s_mov_b32 s92, exec_lo
	v_add_nc_u32_e32 v50, 1, v50
	v_add_nc_u32_e32 v51, -1, v51
	v_cndmask_b32_e64 v48, v50, v48, s90
	v_min_u32_e32 v51, v50, v51
	v_cndmask_b32_e64 v49, v49, v50, s90
	v_lshl_add_u32 v51, v51, 1, v178
	ds_read_u16 v51, v51
	s_waitcnt lgkmcnt(0)
	v_cndmask_b32_e64 v66, v51, v67, s90
	v_cndmask_b32_e64 v72, v63, v51, s90
	v_cmpx_lt_u32_e64 v48, v244
	s_cbranch_execz .LBB1044_1974
; %bb.1971:
	s_mov_b32 s93, 0
	s_mov_b32 s91, exec_lo
	v_cmpx_lt_u32_e64 v49, v243
	s_cbranch_execz .LBB1044_1973
; %bb.1972:
	v_bfe_i32 v50, v66, 0, 16
	v_bfe_i32 v52, v72, 0, 16
	v_ashrrev_i32_e32 v51, 31, v50
	v_ashrrev_i32_e32 v53, 31, v52
	v_lshlrev_b64 v[50:51], 1, v[50:51]
	v_lshlrev_b64 v[52:53], 1, v[52:53]
	v_add_co_u32 v50, s8, v6, v50
	v_add_co_ci_u32_e64 v51, null, v7, v51, s8
	v_add_co_u32 v52, s8, v6, v52
	v_add_co_ci_u32_e64 v53, null, v7, v53, s8
	s_clause 0x1
	flat_load_ushort v50, v[50:51]
	flat_load_ushort v51, v[52:53]
	s_waitcnt vmcnt(0) lgkmcnt(0)
	v_cmp_ge_i16_e64 s8, v50, v51
	s_and_b32 s93, s8, exec_lo
.LBB1044_1973:
	s_or_b32 exec_lo, exec_lo, s91
	s_orn2_b32 s91, s93, exec_lo
.LBB1044_1974:
	s_or_b32 exec_lo, exec_lo, s92
	v_cndmask_b32_e64 v50, v48, v49, s91
	v_cndmask_b32_e64 v51, v244, v243, s91
	s_mov_b32 s93, -1
	s_mov_b32 s92, -1
	s_mov_b32 s94, exec_lo
	v_add_nc_u32_e32 v50, 1, v50
	v_add_nc_u32_e32 v51, -1, v51
	v_cndmask_b32_e64 v48, v50, v48, s91
	v_min_u32_e32 v51, v50, v51
	v_cndmask_b32_e64 v49, v49, v50, s91
	v_lshl_add_u32 v51, v51, 1, v178
	ds_read_u16 v51, v51
	s_waitcnt lgkmcnt(0)
	v_cndmask_b32_e64 v65, v51, v66, s91
	v_cndmask_b32_e64 v73, v72, v51, s91
	v_cmpx_lt_u32_e64 v48, v244
	s_cbranch_execz .LBB1044_1978
; %bb.1975:
	s_mov_b32 s95, 0
	s_mov_b32 s92, exec_lo
	v_cmpx_lt_u32_e64 v49, v243
	s_cbranch_execz .LBB1044_1977
; %bb.1976:
	v_bfe_i32 v50, v65, 0, 16
	v_bfe_i32 v52, v73, 0, 16
	v_ashrrev_i32_e32 v51, 31, v50
	v_ashrrev_i32_e32 v53, 31, v52
	v_lshlrev_b64 v[50:51], 1, v[50:51]
	v_lshlrev_b64 v[52:53], 1, v[52:53]
	v_add_co_u32 v50, s8, v6, v50
	v_add_co_ci_u32_e64 v51, null, v7, v51, s8
	v_add_co_u32 v52, s8, v6, v52
	v_add_co_ci_u32_e64 v53, null, v7, v53, s8
	s_clause 0x1
	flat_load_ushort v50, v[50:51]
	flat_load_ushort v51, v[52:53]
	s_waitcnt vmcnt(0) lgkmcnt(0)
	v_cmp_ge_i16_e64 s8, v50, v51
	s_and_b32 s95, s8, exec_lo
.LBB1044_1977:
	s_or_b32 exec_lo, exec_lo, s92
	s_orn2_b32 s92, s95, exec_lo
.LBB1044_1978:
	s_or_b32 exec_lo, exec_lo, s94
	v_cndmask_b32_e64 v50, v48, v49, s92
	v_cndmask_b32_e64 v51, v244, v243, s92
	s_mov_b32 s94, exec_lo
	v_add_nc_u32_e32 v50, 1, v50
	v_add_nc_u32_e32 v51, -1, v51
	v_cndmask_b32_e64 v48, v50, v48, s92
	v_min_u32_e32 v51, v50, v51
	v_cndmask_b32_e64 v49, v49, v50, s92
	v_lshl_add_u32 v51, v51, 1, v178
	ds_read_u16 v51, v51
	s_waitcnt lgkmcnt(0)
	v_cndmask_b32_e64 v55, v51, v65, s92
	v_cndmask_b32_e64 v74, v73, v51, s92
	v_cmpx_lt_u32_e64 v48, v244
	s_cbranch_execz .LBB1044_1982
; %bb.1979:
	s_mov_b32 s95, 0
	s_mov_b32 s93, exec_lo
	v_cmpx_lt_u32_e64 v49, v243
	s_cbranch_execz .LBB1044_1981
; %bb.1980:
	v_bfe_i32 v50, v55, 0, 16
	v_bfe_i32 v52, v74, 0, 16
	v_ashrrev_i32_e32 v51, 31, v50
	v_ashrrev_i32_e32 v53, 31, v52
	v_lshlrev_b64 v[50:51], 1, v[50:51]
	v_lshlrev_b64 v[52:53], 1, v[52:53]
	v_add_co_u32 v50, s8, v6, v50
	v_add_co_ci_u32_e64 v51, null, v7, v51, s8
	v_add_co_u32 v52, s8, v6, v52
	v_add_co_ci_u32_e64 v53, null, v7, v53, s8
	s_clause 0x1
	flat_load_ushort v50, v[50:51]
	flat_load_ushort v51, v[52:53]
	s_waitcnt vmcnt(0) lgkmcnt(0)
	v_cmp_ge_i16_e64 s8, v50, v51
	s_and_b32 s95, s8, exec_lo
.LBB1044_1981:
	s_or_b32 exec_lo, exec_lo, s93
	s_orn2_b32 s93, s95, exec_lo
.LBB1044_1982:
	s_or_b32 exec_lo, exec_lo, s94
	v_cndmask_b32_e64 v50, v48, v49, s93
	v_cndmask_b32_e64 v51, v244, v243, s93
	s_mov_b32 s95, -1
	s_mov_b32 s94, -1
	s_mov_b32 vcc_hi, exec_lo
	v_add_nc_u32_e32 v50, 1, v50
	v_add_nc_u32_e32 v51, -1, v51
	v_cndmask_b32_e64 v48, v50, v48, s93
	v_min_u32_e32 v51, v50, v51
	v_cndmask_b32_e64 v49, v49, v50, s93
	v_lshl_add_u32 v51, v51, 1, v178
	ds_read_u16 v51, v51
	s_waitcnt lgkmcnt(0)
	v_cndmask_b32_e64 v54, v51, v55, s93
	v_cndmask_b32_e64 v75, v74, v51, s93
	v_cmpx_lt_u32_e64 v48, v244
	s_cbranch_execz .LBB1044_1986
; %bb.1983:
	s_mov_b32 s30, 0
	s_mov_b32 s94, exec_lo
	v_cmpx_lt_u32_e64 v49, v243
	s_cbranch_execz .LBB1044_1985
; %bb.1984:
	v_bfe_i32 v50, v54, 0, 16
	v_bfe_i32 v52, v75, 0, 16
	v_ashrrev_i32_e32 v51, 31, v50
	v_ashrrev_i32_e32 v53, 31, v52
	v_lshlrev_b64 v[50:51], 1, v[50:51]
	v_lshlrev_b64 v[52:53], 1, v[52:53]
	v_add_co_u32 v50, s8, v6, v50
	v_add_co_ci_u32_e64 v51, null, v7, v51, s8
	v_add_co_u32 v52, s8, v6, v52
	v_add_co_ci_u32_e64 v53, null, v7, v53, s8
	s_clause 0x1
	flat_load_ushort v50, v[50:51]
	flat_load_ushort v51, v[52:53]
	s_waitcnt vmcnt(0) lgkmcnt(0)
	v_cmp_ge_i16_e64 s8, v50, v51
	s_and_b32 s30, s8, exec_lo
.LBB1044_1985:
	s_or_b32 exec_lo, exec_lo, s94
	s_orn2_b32 s94, s30, exec_lo
.LBB1044_1986:
	s_or_b32 exec_lo, exec_lo, vcc_hi
	v_cndmask_b32_e64 v50, v48, v49, s94
	v_cndmask_b32_e64 v51, v244, v243, s94
	s_mov_b32 vcc_hi, exec_lo
	v_add_nc_u32_e32 v50, 1, v50
	v_add_nc_u32_e32 v51, -1, v51
	v_cndmask_b32_e64 v48, v50, v48, s94
	v_min_u32_e32 v51, v50, v51
	v_cndmask_b32_e64 v49, v49, v50, s94
	v_lshl_add_u32 v51, v51, 1, v178
	ds_read_u16 v51, v51
	s_waitcnt lgkmcnt(0)
	v_cndmask_b32_e64 v53, v51, v54, s94
	v_cndmask_b32_e64 v76, v75, v51, s94
	v_cmpx_lt_u32_e64 v48, v244
	s_cbranch_execz .LBB1044_1990
; %bb.1987:
	s_mov_b32 s30, 0
	s_mov_b32 s95, exec_lo
	v_cmpx_lt_u32_e64 v49, v243
	s_cbranch_execz .LBB1044_1989
; %bb.1988:
	v_bfe_i32 v50, v53, 0, 16
	v_bfe_i32 v77, v76, 0, 16
	v_ashrrev_i32_e32 v51, 31, v50
	v_ashrrev_i32_e32 v78, 31, v77
	v_lshlrev_b64 v[50:51], 1, v[50:51]
	v_lshlrev_b64 v[77:78], 1, v[77:78]
	v_add_co_u32 v50, s8, v6, v50
	v_add_co_ci_u32_e64 v51, null, v7, v51, s8
	v_add_co_u32 v77, s8, v6, v77
	v_add_co_ci_u32_e64 v78, null, v7, v78, s8
	s_clause 0x1
	flat_load_ushort v50, v[50:51]
	flat_load_ushort v51, v[77:78]
	s_waitcnt vmcnt(0) lgkmcnt(0)
	v_cmp_ge_i16_e64 s8, v50, v51
	s_and_b32 s30, s8, exec_lo
.LBB1044_1989:
	s_or_b32 exec_lo, exec_lo, s95
	s_orn2_b32 s95, s30, exec_lo
.LBB1044_1990:
	s_or_b32 exec_lo, exec_lo, vcc_hi
	v_cndmask_b32_e64 v50, v48, v49, s95
	v_cndmask_b32_e64 v51, v244, v243, s95
	s_mov_b32 s30, -1
	s_mov_b32 vcc_hi, -1
	s_mov_b32 s31, exec_lo
	v_add_nc_u32_e32 v50, 1, v50
	v_add_nc_u32_e32 v51, -1, v51
	v_cndmask_b32_e64 v48, v50, v48, s95
	v_min_u32_e32 v51, v50, v51
	v_cndmask_b32_e64 v49, v49, v50, s95
	v_lshl_add_u32 v51, v51, 1, v178
	ds_read_u16 v51, v51
	s_waitcnt lgkmcnt(0)
	v_cndmask_b32_e64 v64, v51, v53, s95
	v_cndmask_b32_e64 v77, v76, v51, s95
	v_cmpx_lt_u32_e64 v48, v244
	s_cbranch_execz .LBB1044_1994
; %bb.1991:
	s_mov_b32 s34, 0
	s_mov_b32 vcc_hi, exec_lo
	v_cmpx_lt_u32_e64 v49, v243
	s_cbranch_execz .LBB1044_1993
; %bb.1992:
	v_bfe_i32 v50, v64, 0, 16
	v_bfe_i32 v78, v77, 0, 16
	v_ashrrev_i32_e32 v51, 31, v50
	v_ashrrev_i32_e32 v79, 31, v78
	v_lshlrev_b64 v[50:51], 1, v[50:51]
	v_lshlrev_b64 v[78:79], 1, v[78:79]
	v_add_co_u32 v50, s8, v6, v50
	v_add_co_ci_u32_e64 v51, null, v7, v51, s8
	v_add_co_u32 v78, s8, v6, v78
	v_add_co_ci_u32_e64 v79, null, v7, v79, s8
	s_clause 0x1
	flat_load_ushort v50, v[50:51]
	flat_load_ushort v51, v[78:79]
	s_waitcnt vmcnt(0) lgkmcnt(0)
	v_cmp_ge_i16_e64 s8, v50, v51
	s_and_b32 s34, s8, exec_lo
.LBB1044_1993:
	s_or_b32 exec_lo, exec_lo, vcc_hi
	s_orn2_b32 vcc_hi, s34, exec_lo
.LBB1044_1994:
	s_or_b32 exec_lo, exec_lo, s31
	v_cndmask_b32_e64 v50, v48, v49, vcc_hi
	v_cndmask_b32_e64 v51, v244, v243, vcc_hi
	s_mov_b32 s31, exec_lo
	v_add_nc_u32_e32 v50, 1, v50
	v_add_nc_u32_e32 v51, -1, v51
	v_cndmask_b32_e64 v48, v50, v48, vcc_hi
	v_min_u32_e32 v51, v50, v51
	v_cndmask_b32_e64 v49, v49, v50, vcc_hi
	v_lshl_add_u32 v51, v51, 1, v178
	ds_read_u16 v51, v51
	s_waitcnt lgkmcnt(0)
	v_cndmask_b32_e64 v52, v51, v64, vcc_hi
	v_cndmask_b32_e64 v78, v77, v51, vcc_hi
	v_cmpx_lt_u32_e64 v48, v244
	s_cbranch_execz .LBB1044_1998
; %bb.1995:
	s_mov_b32 s34, 0
	s_mov_b32 s30, exec_lo
	v_cmpx_lt_u32_e64 v49, v243
	s_cbranch_execz .LBB1044_1997
; %bb.1996:
	v_bfe_i32 v50, v52, 0, 16
	v_bfe_i32 v88, v78, 0, 16
	v_ashrrev_i32_e32 v51, 31, v50
	v_ashrrev_i32_e32 v89, 31, v88
	v_lshlrev_b64 v[50:51], 1, v[50:51]
	v_lshlrev_b64 v[88:89], 1, v[88:89]
	v_add_co_u32 v50, s8, v6, v50
	v_add_co_ci_u32_e64 v51, null, v7, v51, s8
	v_add_co_u32 v88, s8, v6, v88
	v_add_co_ci_u32_e64 v89, null, v7, v89, s8
	s_clause 0x1
	flat_load_ushort v50, v[50:51]
	flat_load_ushort v51, v[88:89]
	s_waitcnt vmcnt(0) lgkmcnt(0)
	v_cmp_ge_i16_e64 s8, v50, v51
	s_and_b32 s34, s8, exec_lo
.LBB1044_1997:
	s_or_b32 exec_lo, exec_lo, s30
	s_orn2_b32 s30, s34, exec_lo
.LBB1044_1998:
	s_or_b32 exec_lo, exec_lo, s31
	v_cndmask_b32_e64 v50, v48, v49, s30
	v_cndmask_b32_e64 v51, v244, v243, s30
	s_mov_b32 s34, -1
	s_mov_b32 s31, -1
	s_mov_b32 s35, exec_lo
	v_add_nc_u32_e32 v50, 1, v50
	v_add_nc_u32_e32 v51, -1, v51
	v_cndmask_b32_e64 v48, v50, v48, s30
	v_min_u32_e32 v51, v50, v51
	v_cndmask_b32_e64 v49, v49, v50, s30
	v_lshl_add_u32 v51, v51, 1, v178
	ds_read_u16 v79, v51
	s_waitcnt lgkmcnt(0)
	v_cndmask_b32_e64 v51, v79, v52, s30
	v_cndmask_b32_e64 v79, v78, v79, s30
	v_cmpx_lt_u32_e64 v48, v244
	s_cbranch_execz .LBB1044_2002
; %bb.1999:
	s_mov_b32 s38, 0
	s_mov_b32 s31, exec_lo
	v_cmpx_lt_u32_e64 v49, v243
	s_cbranch_execz .LBB1044_2001
; %bb.2000:
	v_bfe_i32 v88, v51, 0, 16
	v_bfe_i32 v90, v79, 0, 16
	v_ashrrev_i32_e32 v89, 31, v88
	v_ashrrev_i32_e32 v91, 31, v90
	v_lshlrev_b64 v[88:89], 1, v[88:89]
	v_lshlrev_b64 v[90:91], 1, v[90:91]
	v_add_co_u32 v88, s8, v6, v88
	v_add_co_ci_u32_e64 v89, null, v7, v89, s8
	v_add_co_u32 v90, s8, v6, v90
	v_add_co_ci_u32_e64 v91, null, v7, v91, s8
	s_clause 0x1
	flat_load_ushort v50, v[88:89]
	flat_load_ushort v88, v[90:91]
	s_waitcnt vmcnt(0) lgkmcnt(0)
	v_cmp_ge_i16_e64 s8, v50, v88
	s_and_b32 s38, s8, exec_lo
.LBB1044_2001:
	s_or_b32 exec_lo, exec_lo, s31
	s_orn2_b32 s31, s38, exec_lo
.LBB1044_2002:
	s_or_b32 exec_lo, exec_lo, s35
	v_cndmask_b32_e64 v50, v48, v49, s31
	v_cndmask_b32_e64 v88, v244, v243, s31
	s_mov_b32 s35, exec_lo
	v_add_nc_u32_e32 v50, 1, v50
	v_add_nc_u32_e32 v88, -1, v88
	v_cndmask_b32_e64 v48, v50, v48, s31
	v_min_u32_e32 v88, v50, v88
	v_cndmask_b32_e64 v49, v49, v50, s31
	v_lshl_add_u32 v88, v88, 1, v178
	ds_read_u16 v88, v88
	s_waitcnt lgkmcnt(0)
	v_cndmask_b32_e64 v50, v88, v51, s31
	v_cndmask_b32_e64 v88, v79, v88, s31
	v_cmpx_lt_u32_e64 v48, v244
	s_cbranch_execz .LBB1044_2006
; %bb.2003:
	s_mov_b32 s38, 0
	s_mov_b32 s34, exec_lo
	v_cmpx_lt_u32_e64 v49, v243
	s_cbranch_execz .LBB1044_2005
; %bb.2004:
	v_bfe_i32 v89, v50, 0, 16
	v_bfe_i32 v91, v88, 0, 16
	v_ashrrev_i32_e32 v90, 31, v89
	v_ashrrev_i32_e32 v92, 31, v91
	v_lshlrev_b64 v[89:90], 1, v[89:90]
	v_lshlrev_b64 v[91:92], 1, v[91:92]
	v_add_co_u32 v89, s8, v6, v89
	v_add_co_ci_u32_e64 v90, null, v7, v90, s8
	v_add_co_u32 v91, s8, v6, v91
	v_add_co_ci_u32_e64 v92, null, v7, v92, s8
	s_clause 0x1
	flat_load_ushort v89, v[89:90]
	flat_load_ushort v90, v[91:92]
	s_waitcnt vmcnt(0) lgkmcnt(0)
	v_cmp_ge_i16_e64 s8, v89, v90
	s_and_b32 s38, s8, exec_lo
.LBB1044_2005:
	s_or_b32 exec_lo, exec_lo, s34
	s_orn2_b32 s34, s38, exec_lo
.LBB1044_2006:
	s_or_b32 exec_lo, exec_lo, s35
	v_cndmask_b32_e64 v89, v48, v49, s34
	v_cndmask_b32_e64 v90, v244, v243, s34
	s_mov_b32 s35, -1
	s_mov_b32 s38, -1
	s_mov_b32 s39, exec_lo
	v_add_nc_u32_e32 v89, 1, v89
	v_add_nc_u32_e32 v90, -1, v90
	v_cndmask_b32_e64 v48, v89, v48, s34
	v_min_u32_e32 v90, v89, v90
	v_lshl_add_u32 v90, v90, 1, v178
	ds_read_u16 v91, v90
	v_cndmask_b32_e64 v90, v49, v89, s34
	s_waitcnt lgkmcnt(0)
	v_cndmask_b32_e64 v49, v91, v50, s34
	v_cndmask_b32_e64 v89, v88, v91, s34
	v_cmpx_lt_u32_e64 v48, v244
	s_cbranch_execz .LBB1044_2010
; %bb.2007:
	s_mov_b32 s48, 0
	s_mov_b32 s38, exec_lo
	v_cmpx_lt_u32_e64 v90, v243
	s_cbranch_execz .LBB1044_2009
; %bb.2008:
	v_bfe_i32 v91, v49, 0, 16
	v_bfe_i32 v93, v89, 0, 16
	v_ashrrev_i32_e32 v92, 31, v91
	v_ashrrev_i32_e32 v94, 31, v93
	v_lshlrev_b64 v[91:92], 1, v[91:92]
	v_lshlrev_b64 v[93:94], 1, v[93:94]
	v_add_co_u32 v91, s8, v6, v91
	v_add_co_ci_u32_e64 v92, null, v7, v92, s8
	v_add_co_u32 v93, s8, v6, v93
	v_add_co_ci_u32_e64 v94, null, v7, v94, s8
	s_clause 0x1
	flat_load_ushort v91, v[91:92]
	flat_load_ushort v92, v[93:94]
	s_waitcnt vmcnt(0) lgkmcnt(0)
	v_cmp_ge_i16_e64 s8, v91, v92
	s_and_b32 s48, s8, exec_lo
.LBB1044_2009:
	s_or_b32 exec_lo, exec_lo, s38
	s_orn2_b32 s38, s48, exec_lo
.LBB1044_2010:
	s_or_b32 exec_lo, exec_lo, s39
	v_cndmask_b32_e64 v91, v48, v90, s38
	v_cndmask_b32_e64 v92, v244, v243, s38
	s_mov_b32 s39, exec_lo
	v_add_nc_u32_e32 v91, 1, v91
	v_add_nc_u32_e32 v92, -1, v92
	v_cndmask_b32_e64 v48, v91, v48, s38
	v_min_u32_e32 v92, v91, v92
	v_lshl_add_u32 v92, v92, 1, v178
	ds_read_u16 v93, v92
	v_cndmask_b32_e64 v92, v90, v91, s38
	s_waitcnt lgkmcnt(0)
	v_cndmask_b32_e64 v90, v93, v49, s38
	v_cndmask_b32_e64 v91, v89, v93, s38
	v_cmpx_lt_u32_e64 v48, v244
	s_cbranch_execz .LBB1044_2014
; %bb.2011:
	s_mov_b32 s48, 0
	s_mov_b32 s35, exec_lo
	v_cmpx_lt_u32_e64 v92, v243
	s_cbranch_execz .LBB1044_2013
; %bb.2012:
	v_bfe_i32 v93, v90, 0, 16
	v_bfe_i32 v104, v91, 0, 16
	v_ashrrev_i32_e32 v94, 31, v93
	v_ashrrev_i32_e32 v105, 31, v104
	v_lshlrev_b64 v[93:94], 1, v[93:94]
	v_lshlrev_b64 v[104:105], 1, v[104:105]
	v_add_co_u32 v93, s8, v6, v93
	v_add_co_ci_u32_e64 v94, null, v7, v94, s8
	v_add_co_u32 v104, s8, v6, v104
	v_add_co_ci_u32_e64 v105, null, v7, v105, s8
	s_clause 0x1
	flat_load_ushort v93, v[93:94]
	flat_load_ushort v94, v[104:105]
	s_waitcnt vmcnt(0) lgkmcnt(0)
	v_cmp_ge_i16_e64 s8, v93, v94
	s_and_b32 s48, s8, exec_lo
.LBB1044_2013:
	s_or_b32 exec_lo, exec_lo, s35
	s_orn2_b32 s35, s48, exec_lo
.LBB1044_2014:
	s_or_b32 exec_lo, exec_lo, s39
	v_cndmask_b32_e64 v93, v48, v92, s35
	v_cndmask_b32_e64 v94, v244, v243, s35
	s_mov_b32 s39, exec_lo
	v_add_nc_u32_e32 v93, 1, v93
	v_add_nc_u32_e32 v94, -1, v94
	v_cndmask_b32_e64 v95, v93, v48, s35
	v_min_u32_e32 v94, v93, v94
	v_lshl_add_u32 v94, v94, 1, v178
	ds_read_u16 v94, v94
	s_waitcnt lgkmcnt(0)
	v_cndmask_b32_e64 v48, v91, v94, s35
	v_cmpx_lt_u32_e64 v95, v244
	s_cbranch_execz .LBB1044_2018
; %bb.2015:
	v_cndmask_b32_e64 v92, v92, v93, s35
	v_cndmask_b32_e64 v244, v94, v90, s35
	s_mov_b32 s48, exec_lo
	v_cmpx_lt_u32_e64 v92, v243
	s_cbranch_execz .LBB1044_2017
; %bb.2016:
	v_bfe_i32 v92, v244, 0, 16
	v_bfe_i32 v94, v48, 0, 16
	v_ashrrev_i32_e32 v93, 31, v92
	v_ashrrev_i32_e32 v95, 31, v94
	v_lshlrev_b64 v[92:93], 1, v[92:93]
	v_lshlrev_b64 v[94:95], 1, v[94:95]
	v_add_co_u32 v92, s8, v6, v92
	v_add_co_ci_u32_e64 v93, null, v7, v93, s8
	v_add_co_u32 v94, s8, v6, v94
	v_add_co_ci_u32_e64 v95, null, v7, v95, s8
	s_clause 0x1
	flat_load_ushort v243, v[92:93]
	flat_load_ushort v92, v[94:95]
	s_waitcnt vmcnt(0) lgkmcnt(0)
	v_cmp_lt_i16_e64 s8, v243, v92
	v_cndmask_b32_e64 v244, v48, v244, s8
.LBB1044_2017:
	s_or_b32 exec_lo, exec_lo, s48
	v_mov_b32_e32 v48, v244
.LBB1044_2018:
	s_or_b32 exec_lo, exec_lo, s39
	v_cndmask_b32_e64 v49, v49, v89, s38
	v_cndmask_b32_e64 v50, v50, v88, s34
	;; [unrolled: 1-line block ×4, first 2 shown]
	v_cndmask_b32_e64 v64, v64, v77, vcc_hi
	v_cndmask_b32_e64 v53, v53, v76, s95
	v_cndmask_b32_e64 v54, v54, v75, s94
	;; [unrolled: 1-line block ×26, first 2 shown]
.LBB1044_2019:
	s_or_b32 exec_lo, exec_lo, s12
	v_and_b32_e32 v245, 0x300, v180
	v_and_b32_e32 v246, 0xe0, v180
	s_mov_b32 s9, exec_lo
	; wave barrier
	v_or_b32_e32 v243, 0x80, v245
	v_min_u32_e32 v246, v179, v246
	ds_write_b16 v181, v99
	ds_write_b16 v231, v102
	;; [unrolled: 1-line block ×13, first 2 shown]
	v_min_u32_e32 v243, v179, v243
	ds_write_b16 v211, v81
	ds_write_b16 v212, v80
	ds_write_b16 v213, v71
	ds_write_b16 v214, v70
	ds_write_b16 v208, v69
	ds_write_b16 v209, v68
	ds_write_b16 v210, v67
	ds_write_b16 v197, v66
	ds_write_b16 v198, v65
	ds_write_b16 v199, v55
	ds_write_b16 v194, v54
	ds_write_b16 v195, v53
	ds_write_b16 v196, v64
	v_add_nc_u32_e32 v244, 0x80, v243
	v_sub_nc_u32_e32 v40, v243, v245
	ds_write_b16 v182, v52
	ds_write_b16 v183, v51
	;; [unrolled: 1-line block ×6, first 2 shown]
	; wave barrier
	v_min_u32_e32 v244, v179, v244
	v_min_u32_e32 v40, v246, v40
	v_sub_nc_u32_e32 v247, v244, v243
	v_sub_nc_u32_e64 v247, v246, v247 clamp
	v_cmpx_lt_u32_e64 v247, v40
	s_cbranch_execz .LBB1044_2023
; %bb.2020:
	v_lshlrev_b32_e32 v41, 1, v245
	v_lshlrev_b32_e32 v42, 1, v243
	s_mov_b32 s12, 0
	v_add_co_u32 v41, null, v178, v41
	v_add_co_u32 v42, null, v178, v42
	s_inst_prefetch 0x1
	.p2align	6
.LBB1044_2021:                          ; =>This Inner Loop Header: Depth=1
	v_add_nc_u32_e32 v43, v40, v247
	v_lshrrev_b32_e32 v47, 1, v43
	v_and_b32_e32 v43, -2, v43
	v_xad_u32 v44, v47, -1, v246
	v_add_nc_u32_e32 v43, v41, v43
	v_lshl_add_u32 v44, v44, 1, v42
	ds_read_u16 v43, v43
	ds_read_u16 v44, v44
	s_waitcnt lgkmcnt(1)
	v_bfe_i32 v43, v43, 0, 16
	s_waitcnt lgkmcnt(0)
	v_bfe_i32 v45, v44, 0, 16
	v_ashrrev_i32_e32 v44, 31, v43
	v_ashrrev_i32_e32 v46, 31, v45
	v_lshlrev_b64 v[43:44], 1, v[43:44]
	v_lshlrev_b64 v[45:46], 1, v[45:46]
	v_add_co_u32 v43, s8, v6, v43
	v_add_co_ci_u32_e64 v44, null, v7, v44, s8
	v_add_co_u32 v45, s8, v6, v45
	v_add_co_ci_u32_e64 v46, null, v7, v46, s8
	s_clause 0x1
	flat_load_ushort v45, v[45:46]
	flat_load_ushort v43, v[43:44]
	v_add_nc_u32_e32 v44, 1, v47
	s_waitcnt vmcnt(0) lgkmcnt(0)
	v_cmp_lt_i16_e64 s8, v45, v43
	v_cndmask_b32_e64 v40, v40, v47, s8
	v_cndmask_b32_e64 v247, v44, v247, s8
	v_cmp_ge_u32_e64 s8, v247, v40
	s_or_b32 s12, s8, s12
	s_andn2_b32 exec_lo, exec_lo, s12
	s_cbranch_execnz .LBB1044_2021
; %bb.2022:
	s_inst_prefetch 0x2
	s_or_b32 exec_lo, exec_lo, s12
.LBB1044_2023:
	s_or_b32 exec_lo, exec_lo, s9
	v_add_nc_u32_e32 v246, v243, v246
	v_add_nc_u32_e32 v245, v247, v245
	v_sub_nc_u32_e32 v246, v246, v247
	v_cmp_le_u32_e64 s8, v245, v243
	v_cmp_le_u32_e64 s9, v246, v244
	s_or_b32 s8, s8, s9
	s_and_saveexec_b32 s12, s8
	s_cbranch_execz .LBB1044_2155
; %bb.2024:
	v_cmp_ge_u32_e64 s8, v245, v243
	s_mov_b32 s13, exec_lo
                                        ; implicit-def: $vgpr99
	v_cmpx_lt_u32_e64 v245, v243
; %bb.2025:
	v_lshl_add_u32 v48, v245, 1, v178
	ds_read_u16 v99, v48
; %bb.2026:
	s_or_b32 exec_lo, exec_lo, s13
	v_cmp_ge_u32_e64 s13, v246, v244
	s_mov_b32 s57, exec_lo
                                        ; implicit-def: $vgpr103
	v_cmpx_lt_u32_e64 v246, v244
; %bb.2027:
	v_lshl_add_u32 v48, v246, 1, v178
	ds_read_u16 v103, v48
; %bb.2028:
	s_or_b32 exec_lo, exec_lo, s57
	s_nor_b32 s8, s8, s13
	s_and_saveexec_b32 s9, s8
	s_cbranch_execz .LBB1044_2030
; %bb.2029:
	s_waitcnt lgkmcnt(0)
	v_bfe_i32 v48, v103, 0, 16
	v_bfe_i32 v50, v99, 0, 16
	s_andn2_b32 s13, s13, exec_lo
	v_ashrrev_i32_e32 v49, 31, v48
	v_ashrrev_i32_e32 v51, 31, v50
	v_lshlrev_b64 v[48:49], 1, v[48:49]
	v_lshlrev_b64 v[50:51], 1, v[50:51]
	v_add_co_u32 v48, s8, v6, v48
	v_add_co_ci_u32_e64 v49, null, v7, v49, s8
	v_add_co_u32 v50, s8, v6, v50
	v_add_co_ci_u32_e64 v51, null, v7, v51, s8
	s_clause 0x1
	flat_load_ushort v48, v[48:49]
	flat_load_ushort v49, v[50:51]
	s_waitcnt vmcnt(0) lgkmcnt(0)
	v_cmp_ge_i16_e64 s8, v48, v49
	s_and_b32 s8, s8, exec_lo
	s_or_b32 s13, s13, s8
.LBB1044_2030:
	s_or_b32 exec_lo, exec_lo, s9
	v_cndmask_b32_e64 v48, v246, v245, s13
	v_cndmask_b32_e64 v49, v244, v243, s13
	s_mov_b32 s57, -1
	s_mov_b32 s9, -1
	s_mov_b32 s58, exec_lo
	v_add_nc_u32_e32 v50, 1, v48
	v_add_nc_u32_e32 v48, -1, v49
	v_cndmask_b32_e64 v49, v245, v50, s13
	v_min_u32_e32 v48, v50, v48
	v_lshl_add_u32 v48, v48, 1, v178
	ds_read_u16 v51, v48
	v_cndmask_b32_e64 v48, v50, v246, s13
	s_waitcnt lgkmcnt(0)
	v_cndmask_b32_e64 v102, v51, v103, s13
	v_cndmask_b32_e64 v245, v99, v51, s13
	v_cmpx_lt_u32_e64 v48, v244
	s_cbranch_execz .LBB1044_2034
; %bb.2031:
	s_mov_b32 s59, 0
	s_mov_b32 s9, exec_lo
	v_cmpx_lt_u32_e64 v49, v243
	s_cbranch_execz .LBB1044_2033
; %bb.2032:
	v_bfe_i32 v50, v102, 0, 16
	v_bfe_i32 v52, v245, 0, 16
	v_ashrrev_i32_e32 v51, 31, v50
	v_ashrrev_i32_e32 v53, 31, v52
	v_lshlrev_b64 v[50:51], 1, v[50:51]
	v_lshlrev_b64 v[52:53], 1, v[52:53]
	v_add_co_u32 v50, s8, v6, v50
	v_add_co_ci_u32_e64 v51, null, v7, v51, s8
	v_add_co_u32 v52, s8, v6, v52
	v_add_co_ci_u32_e64 v53, null, v7, v53, s8
	s_clause 0x1
	flat_load_ushort v50, v[50:51]
	flat_load_ushort v51, v[52:53]
	s_waitcnt vmcnt(0) lgkmcnt(0)
	v_cmp_ge_i16_e64 s8, v50, v51
	s_and_b32 s59, s8, exec_lo
.LBB1044_2033:
	s_or_b32 exec_lo, exec_lo, s9
	s_orn2_b32 s9, s59, exec_lo
.LBB1044_2034:
	s_or_b32 exec_lo, exec_lo, s58
	v_cndmask_b32_e64 v50, v48, v49, s9
	v_cndmask_b32_e64 v51, v244, v243, s9
	s_mov_b32 s58, exec_lo
	v_add_nc_u32_e32 v50, 1, v50
	v_add_nc_u32_e32 v51, -1, v51
	v_cndmask_b32_e64 v48, v50, v48, s9
	v_min_u32_e32 v51, v50, v51
	v_cndmask_b32_e64 v49, v49, v50, s9
	v_lshl_add_u32 v51, v51, 1, v178
	ds_read_u16 v51, v51
	s_waitcnt lgkmcnt(0)
	v_cndmask_b32_e64 v101, v51, v102, s9
	v_cndmask_b32_e64 v246, v245, v51, s9
	v_cmpx_lt_u32_e64 v48, v244
	s_cbranch_execz .LBB1044_2038
; %bb.2035:
	s_mov_b32 s59, 0
	s_mov_b32 s57, exec_lo
	v_cmpx_lt_u32_e64 v49, v243
	s_cbranch_execz .LBB1044_2037
; %bb.2036:
	v_bfe_i32 v50, v101, 0, 16
	v_bfe_i32 v52, v246, 0, 16
	v_ashrrev_i32_e32 v51, 31, v50
	v_ashrrev_i32_e32 v53, 31, v52
	v_lshlrev_b64 v[50:51], 1, v[50:51]
	v_lshlrev_b64 v[52:53], 1, v[52:53]
	v_add_co_u32 v50, s8, v6, v50
	v_add_co_ci_u32_e64 v51, null, v7, v51, s8
	v_add_co_u32 v52, s8, v6, v52
	v_add_co_ci_u32_e64 v53, null, v7, v53, s8
	s_clause 0x1
	flat_load_ushort v50, v[50:51]
	flat_load_ushort v51, v[52:53]
	s_waitcnt vmcnt(0) lgkmcnt(0)
	v_cmp_ge_i16_e64 s8, v50, v51
	s_and_b32 s59, s8, exec_lo
.LBB1044_2037:
	s_or_b32 exec_lo, exec_lo, s57
	s_orn2_b32 s57, s59, exec_lo
.LBB1044_2038:
	s_or_b32 exec_lo, exec_lo, s58
	v_cndmask_b32_e64 v50, v48, v49, s57
	v_cndmask_b32_e64 v51, v244, v243, s57
	s_mov_b32 s59, -1
	s_mov_b32 s58, -1
	s_mov_b32 s60, exec_lo
	v_add_nc_u32_e32 v50, 1, v50
	v_add_nc_u32_e32 v51, -1, v51
	v_cndmask_b32_e64 v48, v50, v48, s57
	v_min_u32_e32 v51, v50, v51
	v_cndmask_b32_e64 v49, v49, v50, s57
	v_lshl_add_u32 v51, v51, 1, v178
	ds_read_u16 v51, v51
	s_waitcnt lgkmcnt(0)
	v_cndmask_b32_e64 v100, v51, v101, s57
	v_cndmask_b32_e64 v247, v246, v51, s57
	v_cmpx_lt_u32_e64 v48, v244
	s_cbranch_execz .LBB1044_2042
; %bb.2039:
	s_mov_b32 s61, 0
	s_mov_b32 s58, exec_lo
	v_cmpx_lt_u32_e64 v49, v243
	s_cbranch_execz .LBB1044_2041
; %bb.2040:
	v_bfe_i32 v50, v100, 0, 16
	v_bfe_i32 v52, v247, 0, 16
	v_ashrrev_i32_e32 v51, 31, v50
	v_ashrrev_i32_e32 v53, 31, v52
	v_lshlrev_b64 v[50:51], 1, v[50:51]
	v_lshlrev_b64 v[52:53], 1, v[52:53]
	v_add_co_u32 v50, s8, v6, v50
	v_add_co_ci_u32_e64 v51, null, v7, v51, s8
	v_add_co_u32 v52, s8, v6, v52
	v_add_co_ci_u32_e64 v53, null, v7, v53, s8
	s_clause 0x1
	flat_load_ushort v50, v[50:51]
	flat_load_ushort v51, v[52:53]
	s_waitcnt vmcnt(0) lgkmcnt(0)
	v_cmp_ge_i16_e64 s8, v50, v51
	s_and_b32 s61, s8, exec_lo
.LBB1044_2041:
	s_or_b32 exec_lo, exec_lo, s58
	s_orn2_b32 s58, s61, exec_lo
.LBB1044_2042:
	s_or_b32 exec_lo, exec_lo, s60
	v_cndmask_b32_e64 v50, v48, v49, s58
	v_cndmask_b32_e64 v51, v244, v243, s58
	s_mov_b32 s60, exec_lo
	v_add_nc_u32_e32 v50, 1, v50
	v_add_nc_u32_e32 v51, -1, v51
	v_cndmask_b32_e64 v48, v50, v48, s58
	v_min_u32_e32 v51, v50, v51
	v_cndmask_b32_e64 v49, v49, v50, s58
	v_lshl_add_u32 v51, v51, 1, v178
	ds_read_u16 v51, v51
	s_waitcnt lgkmcnt(0)
	v_cndmask_b32_e64 v98, v51, v100, s58
	v_cndmask_b32_e64 v40, v247, v51, s58
	v_cmpx_lt_u32_e64 v48, v244
	s_cbranch_execz .LBB1044_2046
; %bb.2043:
	s_mov_b32 s61, 0
	s_mov_b32 s59, exec_lo
	v_cmpx_lt_u32_e64 v49, v243
	s_cbranch_execz .LBB1044_2045
; %bb.2044:
	v_bfe_i32 v50, v98, 0, 16
	v_bfe_i32 v52, v40, 0, 16
	v_ashrrev_i32_e32 v51, 31, v50
	v_ashrrev_i32_e32 v53, 31, v52
	v_lshlrev_b64 v[50:51], 1, v[50:51]
	v_lshlrev_b64 v[52:53], 1, v[52:53]
	v_add_co_u32 v50, s8, v6, v50
	v_add_co_ci_u32_e64 v51, null, v7, v51, s8
	v_add_co_u32 v52, s8, v6, v52
	v_add_co_ci_u32_e64 v53, null, v7, v53, s8
	s_clause 0x1
	flat_load_ushort v50, v[50:51]
	flat_load_ushort v51, v[52:53]
	s_waitcnt vmcnt(0) lgkmcnt(0)
	v_cmp_ge_i16_e64 s8, v50, v51
	s_and_b32 s61, s8, exec_lo
.LBB1044_2045:
	s_or_b32 exec_lo, exec_lo, s59
	s_orn2_b32 s59, s61, exec_lo
.LBB1044_2046:
	s_or_b32 exec_lo, exec_lo, s60
	v_cndmask_b32_e64 v50, v48, v49, s59
	v_cndmask_b32_e64 v51, v244, v243, s59
	s_mov_b32 s61, -1
	s_mov_b32 s60, -1
	s_mov_b32 s62, exec_lo
	v_add_nc_u32_e32 v50, 1, v50
	v_add_nc_u32_e32 v51, -1, v51
	v_cndmask_b32_e64 v48, v50, v48, s59
	v_min_u32_e32 v51, v50, v51
	v_cndmask_b32_e64 v49, v49, v50, s59
	v_lshl_add_u32 v51, v51, 1, v178
	ds_read_u16 v51, v51
	s_waitcnt lgkmcnt(0)
	v_cndmask_b32_e64 v97, v51, v98, s59
	v_cndmask_b32_e64 v41, v40, v51, s59
	v_cmpx_lt_u32_e64 v48, v244
	s_cbranch_execz .LBB1044_2050
; %bb.2047:
	s_mov_b32 s63, 0
	s_mov_b32 s60, exec_lo
	v_cmpx_lt_u32_e64 v49, v243
	s_cbranch_execz .LBB1044_2049
; %bb.2048:
	v_bfe_i32 v50, v97, 0, 16
	v_bfe_i32 v52, v41, 0, 16
	v_ashrrev_i32_e32 v51, 31, v50
	v_ashrrev_i32_e32 v53, 31, v52
	v_lshlrev_b64 v[50:51], 1, v[50:51]
	v_lshlrev_b64 v[52:53], 1, v[52:53]
	v_add_co_u32 v50, s8, v6, v50
	v_add_co_ci_u32_e64 v51, null, v7, v51, s8
	v_add_co_u32 v52, s8, v6, v52
	v_add_co_ci_u32_e64 v53, null, v7, v53, s8
	s_clause 0x1
	flat_load_ushort v50, v[50:51]
	flat_load_ushort v51, v[52:53]
	s_waitcnt vmcnt(0) lgkmcnt(0)
	v_cmp_ge_i16_e64 s8, v50, v51
	s_and_b32 s63, s8, exec_lo
.LBB1044_2049:
	s_or_b32 exec_lo, exec_lo, s60
	s_orn2_b32 s60, s63, exec_lo
.LBB1044_2050:
	s_or_b32 exec_lo, exec_lo, s62
	v_cndmask_b32_e64 v50, v48, v49, s60
	v_cndmask_b32_e64 v51, v244, v243, s60
	s_mov_b32 s62, exec_lo
	v_add_nc_u32_e32 v50, 1, v50
	v_add_nc_u32_e32 v51, -1, v51
	v_cndmask_b32_e64 v48, v50, v48, s60
	v_min_u32_e32 v51, v50, v51
	v_cndmask_b32_e64 v49, v49, v50, s60
	v_lshl_add_u32 v51, v51, 1, v178
	ds_read_u16 v51, v51
	s_waitcnt lgkmcnt(0)
	v_cndmask_b32_e64 v96, v51, v97, s60
	v_cndmask_b32_e64 v42, v41, v51, s60
	v_cmpx_lt_u32_e64 v48, v244
	s_cbranch_execz .LBB1044_2054
; %bb.2051:
	s_mov_b32 s63, 0
	s_mov_b32 s61, exec_lo
	v_cmpx_lt_u32_e64 v49, v243
	s_cbranch_execz .LBB1044_2053
; %bb.2052:
	v_bfe_i32 v50, v96, 0, 16
	v_bfe_i32 v52, v42, 0, 16
	v_ashrrev_i32_e32 v51, 31, v50
	v_ashrrev_i32_e32 v53, 31, v52
	v_lshlrev_b64 v[50:51], 1, v[50:51]
	v_lshlrev_b64 v[52:53], 1, v[52:53]
	v_add_co_u32 v50, s8, v6, v50
	v_add_co_ci_u32_e64 v51, null, v7, v51, s8
	v_add_co_u32 v52, s8, v6, v52
	v_add_co_ci_u32_e64 v53, null, v7, v53, s8
	s_clause 0x1
	flat_load_ushort v50, v[50:51]
	flat_load_ushort v51, v[52:53]
	s_waitcnt vmcnt(0) lgkmcnt(0)
	v_cmp_ge_i16_e64 s8, v50, v51
	s_and_b32 s63, s8, exec_lo
.LBB1044_2053:
	s_or_b32 exec_lo, exec_lo, s61
	s_orn2_b32 s61, s63, exec_lo
.LBB1044_2054:
	s_or_b32 exec_lo, exec_lo, s62
	v_cndmask_b32_e64 v50, v48, v49, s61
	v_cndmask_b32_e64 v51, v244, v243, s61
	s_mov_b32 s63, -1
	s_mov_b32 s62, -1
	s_mov_b32 s72, exec_lo
	v_add_nc_u32_e32 v50, 1, v50
	v_add_nc_u32_e32 v51, -1, v51
	v_cndmask_b32_e64 v48, v50, v48, s61
	v_min_u32_e32 v51, v50, v51
	v_cndmask_b32_e64 v49, v49, v50, s61
	v_lshl_add_u32 v51, v51, 1, v178
	ds_read_u16 v51, v51
	s_waitcnt lgkmcnt(0)
	v_cndmask_b32_e64 v87, v51, v96, s61
	v_cndmask_b32_e64 v43, v42, v51, s61
	v_cmpx_lt_u32_e64 v48, v244
	s_cbranch_execz .LBB1044_2058
; %bb.2055:
	s_mov_b32 s73, 0
	s_mov_b32 s62, exec_lo
	v_cmpx_lt_u32_e64 v49, v243
	s_cbranch_execz .LBB1044_2057
; %bb.2056:
	v_bfe_i32 v50, v87, 0, 16
	v_bfe_i32 v52, v43, 0, 16
	v_ashrrev_i32_e32 v51, 31, v50
	v_ashrrev_i32_e32 v53, 31, v52
	v_lshlrev_b64 v[50:51], 1, v[50:51]
	v_lshlrev_b64 v[52:53], 1, v[52:53]
	v_add_co_u32 v50, s8, v6, v50
	v_add_co_ci_u32_e64 v51, null, v7, v51, s8
	v_add_co_u32 v52, s8, v6, v52
	v_add_co_ci_u32_e64 v53, null, v7, v53, s8
	s_clause 0x1
	flat_load_ushort v50, v[50:51]
	flat_load_ushort v51, v[52:53]
	s_waitcnt vmcnt(0) lgkmcnt(0)
	v_cmp_ge_i16_e64 s8, v50, v51
	s_and_b32 s73, s8, exec_lo
.LBB1044_2057:
	s_or_b32 exec_lo, exec_lo, s62
	s_orn2_b32 s62, s73, exec_lo
.LBB1044_2058:
	s_or_b32 exec_lo, exec_lo, s72
	v_cndmask_b32_e64 v50, v48, v49, s62
	v_cndmask_b32_e64 v51, v244, v243, s62
	s_mov_b32 s72, exec_lo
	v_add_nc_u32_e32 v50, 1, v50
	v_add_nc_u32_e32 v51, -1, v51
	v_cndmask_b32_e64 v48, v50, v48, s62
	v_min_u32_e32 v51, v50, v51
	v_cndmask_b32_e64 v49, v49, v50, s62
	v_lshl_add_u32 v51, v51, 1, v178
	ds_read_u16 v51, v51
	s_waitcnt lgkmcnt(0)
	v_cndmask_b32_e64 v86, v51, v87, s62
	v_cndmask_b32_e64 v44, v43, v51, s62
	v_cmpx_lt_u32_e64 v48, v244
	s_cbranch_execz .LBB1044_2062
; %bb.2059:
	s_mov_b32 s73, 0
	s_mov_b32 s63, exec_lo
	v_cmpx_lt_u32_e64 v49, v243
	s_cbranch_execz .LBB1044_2061
; %bb.2060:
	v_bfe_i32 v50, v86, 0, 16
	v_bfe_i32 v52, v44, 0, 16
	v_ashrrev_i32_e32 v51, 31, v50
	v_ashrrev_i32_e32 v53, 31, v52
	v_lshlrev_b64 v[50:51], 1, v[50:51]
	v_lshlrev_b64 v[52:53], 1, v[52:53]
	v_add_co_u32 v50, s8, v6, v50
	v_add_co_ci_u32_e64 v51, null, v7, v51, s8
	v_add_co_u32 v52, s8, v6, v52
	v_add_co_ci_u32_e64 v53, null, v7, v53, s8
	s_clause 0x1
	flat_load_ushort v50, v[50:51]
	flat_load_ushort v51, v[52:53]
	s_waitcnt vmcnt(0) lgkmcnt(0)
	v_cmp_ge_i16_e64 s8, v50, v51
	s_and_b32 s73, s8, exec_lo
.LBB1044_2061:
	s_or_b32 exec_lo, exec_lo, s63
	s_orn2_b32 s63, s73, exec_lo
.LBB1044_2062:
	s_or_b32 exec_lo, exec_lo, s72
	v_cndmask_b32_e64 v50, v48, v49, s63
	v_cndmask_b32_e64 v51, v244, v243, s63
	s_mov_b32 s73, -1
	s_mov_b32 s72, -1
	s_mov_b32 s74, exec_lo
	v_add_nc_u32_e32 v50, 1, v50
	v_add_nc_u32_e32 v51, -1, v51
	v_cndmask_b32_e64 v48, v50, v48, s63
	v_min_u32_e32 v51, v50, v51
	v_cndmask_b32_e64 v49, v49, v50, s63
	v_lshl_add_u32 v51, v51, 1, v178
	ds_read_u16 v51, v51
	s_waitcnt lgkmcnt(0)
	v_cndmask_b32_e64 v85, v51, v86, s63
	v_cndmask_b32_e64 v45, v44, v51, s63
	v_cmpx_lt_u32_e64 v48, v244
	s_cbranch_execz .LBB1044_2066
; %bb.2063:
	s_mov_b32 s75, 0
	s_mov_b32 s72, exec_lo
	v_cmpx_lt_u32_e64 v49, v243
	s_cbranch_execz .LBB1044_2065
; %bb.2064:
	v_bfe_i32 v50, v85, 0, 16
	v_bfe_i32 v52, v45, 0, 16
	v_ashrrev_i32_e32 v51, 31, v50
	v_ashrrev_i32_e32 v53, 31, v52
	v_lshlrev_b64 v[50:51], 1, v[50:51]
	v_lshlrev_b64 v[52:53], 1, v[52:53]
	v_add_co_u32 v50, s8, v6, v50
	v_add_co_ci_u32_e64 v51, null, v7, v51, s8
	v_add_co_u32 v52, s8, v6, v52
	v_add_co_ci_u32_e64 v53, null, v7, v53, s8
	s_clause 0x1
	flat_load_ushort v50, v[50:51]
	flat_load_ushort v51, v[52:53]
	s_waitcnt vmcnt(0) lgkmcnt(0)
	v_cmp_ge_i16_e64 s8, v50, v51
	s_and_b32 s75, s8, exec_lo
.LBB1044_2065:
	s_or_b32 exec_lo, exec_lo, s72
	s_orn2_b32 s72, s75, exec_lo
.LBB1044_2066:
	s_or_b32 exec_lo, exec_lo, s74
	v_cndmask_b32_e64 v50, v48, v49, s72
	v_cndmask_b32_e64 v51, v244, v243, s72
	s_mov_b32 s74, exec_lo
	v_add_nc_u32_e32 v50, 1, v50
	v_add_nc_u32_e32 v51, -1, v51
	v_cndmask_b32_e64 v48, v50, v48, s72
	v_min_u32_e32 v51, v50, v51
	v_cndmask_b32_e64 v49, v49, v50, s72
	v_lshl_add_u32 v51, v51, 1, v178
	ds_read_u16 v51, v51
	s_waitcnt lgkmcnt(0)
	v_cndmask_b32_e64 v84, v51, v85, s72
	v_cndmask_b32_e64 v46, v45, v51, s72
	v_cmpx_lt_u32_e64 v48, v244
	s_cbranch_execz .LBB1044_2070
; %bb.2067:
	s_mov_b32 s75, 0
	s_mov_b32 s73, exec_lo
	v_cmpx_lt_u32_e64 v49, v243
	s_cbranch_execz .LBB1044_2069
; %bb.2068:
	v_bfe_i32 v50, v84, 0, 16
	v_bfe_i32 v52, v46, 0, 16
	v_ashrrev_i32_e32 v51, 31, v50
	v_ashrrev_i32_e32 v53, 31, v52
	v_lshlrev_b64 v[50:51], 1, v[50:51]
	v_lshlrev_b64 v[52:53], 1, v[52:53]
	v_add_co_u32 v50, s8, v6, v50
	v_add_co_ci_u32_e64 v51, null, v7, v51, s8
	v_add_co_u32 v52, s8, v6, v52
	v_add_co_ci_u32_e64 v53, null, v7, v53, s8
	s_clause 0x1
	flat_load_ushort v50, v[50:51]
	flat_load_ushort v51, v[52:53]
	s_waitcnt vmcnt(0) lgkmcnt(0)
	v_cmp_ge_i16_e64 s8, v50, v51
	s_and_b32 s75, s8, exec_lo
.LBB1044_2069:
	s_or_b32 exec_lo, exec_lo, s73
	s_orn2_b32 s73, s75, exec_lo
.LBB1044_2070:
	s_or_b32 exec_lo, exec_lo, s74
	v_cndmask_b32_e64 v50, v48, v49, s73
	v_cndmask_b32_e64 v51, v244, v243, s73
	s_mov_b32 s75, -1
	s_mov_b32 s74, -1
	s_mov_b32 s76, exec_lo
	v_add_nc_u32_e32 v50, 1, v50
	v_add_nc_u32_e32 v51, -1, v51
	v_cndmask_b32_e64 v48, v50, v48, s73
	v_min_u32_e32 v51, v50, v51
	v_cndmask_b32_e64 v49, v49, v50, s73
	v_lshl_add_u32 v51, v51, 1, v178
	ds_read_u16 v51, v51
	s_waitcnt lgkmcnt(0)
	v_cndmask_b32_e64 v83, v51, v84, s73
	v_cndmask_b32_e64 v47, v46, v51, s73
	v_cmpx_lt_u32_e64 v48, v244
	s_cbranch_execz .LBB1044_2074
; %bb.2071:
	s_mov_b32 s77, 0
	s_mov_b32 s74, exec_lo
	v_cmpx_lt_u32_e64 v49, v243
	s_cbranch_execz .LBB1044_2073
; %bb.2072:
	v_bfe_i32 v50, v83, 0, 16
	v_bfe_i32 v52, v47, 0, 16
	v_ashrrev_i32_e32 v51, 31, v50
	v_ashrrev_i32_e32 v53, 31, v52
	v_lshlrev_b64 v[50:51], 1, v[50:51]
	v_lshlrev_b64 v[52:53], 1, v[52:53]
	v_add_co_u32 v50, s8, v6, v50
	v_add_co_ci_u32_e64 v51, null, v7, v51, s8
	v_add_co_u32 v52, s8, v6, v52
	v_add_co_ci_u32_e64 v53, null, v7, v53, s8
	s_clause 0x1
	flat_load_ushort v50, v[50:51]
	flat_load_ushort v51, v[52:53]
	s_waitcnt vmcnt(0) lgkmcnt(0)
	v_cmp_ge_i16_e64 s8, v50, v51
	s_and_b32 s77, s8, exec_lo
.LBB1044_2073:
	s_or_b32 exec_lo, exec_lo, s74
	s_orn2_b32 s74, s77, exec_lo
.LBB1044_2074:
	s_or_b32 exec_lo, exec_lo, s76
	v_cndmask_b32_e64 v50, v48, v49, s74
	v_cndmask_b32_e64 v51, v244, v243, s74
	s_mov_b32 s76, exec_lo
	v_add_nc_u32_e32 v50, 1, v50
	v_add_nc_u32_e32 v51, -1, v51
	v_cndmask_b32_e64 v48, v50, v48, s74
	v_min_u32_e32 v51, v50, v51
	v_cndmask_b32_e64 v49, v49, v50, s74
	v_lshl_add_u32 v51, v51, 1, v178
	ds_read_u16 v51, v51
	s_waitcnt lgkmcnt(0)
	v_cndmask_b32_e64 v82, v51, v83, s74
	v_cndmask_b32_e64 v56, v47, v51, s74
	v_cmpx_lt_u32_e64 v48, v244
	s_cbranch_execz .LBB1044_2078
; %bb.2075:
	s_mov_b32 s77, 0
	s_mov_b32 s75, exec_lo
	v_cmpx_lt_u32_e64 v49, v243
	s_cbranch_execz .LBB1044_2077
; %bb.2076:
	v_bfe_i32 v50, v82, 0, 16
	v_bfe_i32 v52, v56, 0, 16
	v_ashrrev_i32_e32 v51, 31, v50
	v_ashrrev_i32_e32 v53, 31, v52
	v_lshlrev_b64 v[50:51], 1, v[50:51]
	v_lshlrev_b64 v[52:53], 1, v[52:53]
	v_add_co_u32 v50, s8, v6, v50
	v_add_co_ci_u32_e64 v51, null, v7, v51, s8
	v_add_co_u32 v52, s8, v6, v52
	v_add_co_ci_u32_e64 v53, null, v7, v53, s8
	s_clause 0x1
	flat_load_ushort v50, v[50:51]
	flat_load_ushort v51, v[52:53]
	s_waitcnt vmcnt(0) lgkmcnt(0)
	v_cmp_ge_i16_e64 s8, v50, v51
	s_and_b32 s77, s8, exec_lo
.LBB1044_2077:
	s_or_b32 exec_lo, exec_lo, s75
	s_orn2_b32 s75, s77, exec_lo
.LBB1044_2078:
	s_or_b32 exec_lo, exec_lo, s76
	v_cndmask_b32_e64 v50, v48, v49, s75
	v_cndmask_b32_e64 v51, v244, v243, s75
	s_mov_b32 s77, -1
	s_mov_b32 s76, -1
	s_mov_b32 s78, exec_lo
	v_add_nc_u32_e32 v50, 1, v50
	v_add_nc_u32_e32 v51, -1, v51
	v_cndmask_b32_e64 v48, v50, v48, s75
	v_min_u32_e32 v51, v50, v51
	v_cndmask_b32_e64 v49, v49, v50, s75
	v_lshl_add_u32 v51, v51, 1, v178
	ds_read_u16 v51, v51
	s_waitcnt lgkmcnt(0)
	v_cndmask_b32_e64 v81, v51, v82, s75
	v_cndmask_b32_e64 v57, v56, v51, s75
	v_cmpx_lt_u32_e64 v48, v244
	s_cbranch_execz .LBB1044_2082
; %bb.2079:
	s_mov_b32 s79, 0
	s_mov_b32 s76, exec_lo
	v_cmpx_lt_u32_e64 v49, v243
	s_cbranch_execz .LBB1044_2081
; %bb.2080:
	v_bfe_i32 v50, v81, 0, 16
	v_bfe_i32 v52, v57, 0, 16
	v_ashrrev_i32_e32 v51, 31, v50
	v_ashrrev_i32_e32 v53, 31, v52
	v_lshlrev_b64 v[50:51], 1, v[50:51]
	v_lshlrev_b64 v[52:53], 1, v[52:53]
	v_add_co_u32 v50, s8, v6, v50
	v_add_co_ci_u32_e64 v51, null, v7, v51, s8
	v_add_co_u32 v52, s8, v6, v52
	v_add_co_ci_u32_e64 v53, null, v7, v53, s8
	s_clause 0x1
	flat_load_ushort v50, v[50:51]
	flat_load_ushort v51, v[52:53]
	s_waitcnt vmcnt(0) lgkmcnt(0)
	v_cmp_ge_i16_e64 s8, v50, v51
	s_and_b32 s79, s8, exec_lo
.LBB1044_2081:
	s_or_b32 exec_lo, exec_lo, s76
	s_orn2_b32 s76, s79, exec_lo
.LBB1044_2082:
	s_or_b32 exec_lo, exec_lo, s78
	v_cndmask_b32_e64 v50, v48, v49, s76
	v_cndmask_b32_e64 v51, v244, v243, s76
	s_mov_b32 s78, exec_lo
	v_add_nc_u32_e32 v50, 1, v50
	v_add_nc_u32_e32 v51, -1, v51
	v_cndmask_b32_e64 v48, v50, v48, s76
	v_min_u32_e32 v51, v50, v51
	v_cndmask_b32_e64 v49, v49, v50, s76
	v_lshl_add_u32 v51, v51, 1, v178
	ds_read_u16 v51, v51
	s_waitcnt lgkmcnt(0)
	v_cndmask_b32_e64 v80, v51, v81, s76
	v_cndmask_b32_e64 v58, v57, v51, s76
	v_cmpx_lt_u32_e64 v48, v244
	s_cbranch_execz .LBB1044_2086
; %bb.2083:
	s_mov_b32 s79, 0
	s_mov_b32 s77, exec_lo
	v_cmpx_lt_u32_e64 v49, v243
	s_cbranch_execz .LBB1044_2085
; %bb.2084:
	v_bfe_i32 v50, v80, 0, 16
	v_bfe_i32 v52, v58, 0, 16
	v_ashrrev_i32_e32 v51, 31, v50
	v_ashrrev_i32_e32 v53, 31, v52
	v_lshlrev_b64 v[50:51], 1, v[50:51]
	v_lshlrev_b64 v[52:53], 1, v[52:53]
	v_add_co_u32 v50, s8, v6, v50
	v_add_co_ci_u32_e64 v51, null, v7, v51, s8
	v_add_co_u32 v52, s8, v6, v52
	v_add_co_ci_u32_e64 v53, null, v7, v53, s8
	s_clause 0x1
	flat_load_ushort v50, v[50:51]
	flat_load_ushort v51, v[52:53]
	s_waitcnt vmcnt(0) lgkmcnt(0)
	v_cmp_ge_i16_e64 s8, v50, v51
	s_and_b32 s79, s8, exec_lo
.LBB1044_2085:
	s_or_b32 exec_lo, exec_lo, s77
	s_orn2_b32 s77, s79, exec_lo
.LBB1044_2086:
	s_or_b32 exec_lo, exec_lo, s78
	v_cndmask_b32_e64 v50, v48, v49, s77
	v_cndmask_b32_e64 v51, v244, v243, s77
	s_mov_b32 s79, -1
	s_mov_b32 s78, -1
	s_mov_b32 s88, exec_lo
	v_add_nc_u32_e32 v50, 1, v50
	v_add_nc_u32_e32 v51, -1, v51
	v_cndmask_b32_e64 v48, v50, v48, s77
	v_min_u32_e32 v51, v50, v51
	v_cndmask_b32_e64 v49, v49, v50, s77
	v_lshl_add_u32 v51, v51, 1, v178
	ds_read_u16 v51, v51
	s_waitcnt lgkmcnt(0)
	v_cndmask_b32_e64 v71, v51, v80, s77
	v_cndmask_b32_e64 v59, v58, v51, s77
	v_cmpx_lt_u32_e64 v48, v244
	s_cbranch_execz .LBB1044_2090
; %bb.2087:
	s_mov_b32 s89, 0
	s_mov_b32 s78, exec_lo
	v_cmpx_lt_u32_e64 v49, v243
	s_cbranch_execz .LBB1044_2089
; %bb.2088:
	v_bfe_i32 v50, v71, 0, 16
	v_bfe_i32 v52, v59, 0, 16
	v_ashrrev_i32_e32 v51, 31, v50
	v_ashrrev_i32_e32 v53, 31, v52
	v_lshlrev_b64 v[50:51], 1, v[50:51]
	v_lshlrev_b64 v[52:53], 1, v[52:53]
	v_add_co_u32 v50, s8, v6, v50
	v_add_co_ci_u32_e64 v51, null, v7, v51, s8
	v_add_co_u32 v52, s8, v6, v52
	v_add_co_ci_u32_e64 v53, null, v7, v53, s8
	s_clause 0x1
	flat_load_ushort v50, v[50:51]
	flat_load_ushort v51, v[52:53]
	s_waitcnt vmcnt(0) lgkmcnt(0)
	v_cmp_ge_i16_e64 s8, v50, v51
	s_and_b32 s89, s8, exec_lo
.LBB1044_2089:
	s_or_b32 exec_lo, exec_lo, s78
	s_orn2_b32 s78, s89, exec_lo
.LBB1044_2090:
	s_or_b32 exec_lo, exec_lo, s88
	v_cndmask_b32_e64 v50, v48, v49, s78
	v_cndmask_b32_e64 v51, v244, v243, s78
	s_mov_b32 s88, exec_lo
	v_add_nc_u32_e32 v50, 1, v50
	v_add_nc_u32_e32 v51, -1, v51
	v_cndmask_b32_e64 v48, v50, v48, s78
	v_min_u32_e32 v51, v50, v51
	v_cndmask_b32_e64 v49, v49, v50, s78
	v_lshl_add_u32 v51, v51, 1, v178
	ds_read_u16 v51, v51
	s_waitcnt lgkmcnt(0)
	v_cndmask_b32_e64 v70, v51, v71, s78
	v_cndmask_b32_e64 v60, v59, v51, s78
	v_cmpx_lt_u32_e64 v48, v244
	s_cbranch_execz .LBB1044_2094
; %bb.2091:
	s_mov_b32 s89, 0
	s_mov_b32 s79, exec_lo
	v_cmpx_lt_u32_e64 v49, v243
	s_cbranch_execz .LBB1044_2093
; %bb.2092:
	v_bfe_i32 v50, v70, 0, 16
	v_bfe_i32 v52, v60, 0, 16
	v_ashrrev_i32_e32 v51, 31, v50
	v_ashrrev_i32_e32 v53, 31, v52
	v_lshlrev_b64 v[50:51], 1, v[50:51]
	v_lshlrev_b64 v[52:53], 1, v[52:53]
	v_add_co_u32 v50, s8, v6, v50
	v_add_co_ci_u32_e64 v51, null, v7, v51, s8
	v_add_co_u32 v52, s8, v6, v52
	v_add_co_ci_u32_e64 v53, null, v7, v53, s8
	s_clause 0x1
	flat_load_ushort v50, v[50:51]
	flat_load_ushort v51, v[52:53]
	s_waitcnt vmcnt(0) lgkmcnt(0)
	v_cmp_ge_i16_e64 s8, v50, v51
	s_and_b32 s89, s8, exec_lo
.LBB1044_2093:
	s_or_b32 exec_lo, exec_lo, s79
	s_orn2_b32 s79, s89, exec_lo
.LBB1044_2094:
	s_or_b32 exec_lo, exec_lo, s88
	v_cndmask_b32_e64 v50, v48, v49, s79
	v_cndmask_b32_e64 v51, v244, v243, s79
	s_mov_b32 s89, -1
	s_mov_b32 s88, -1
	s_mov_b32 s90, exec_lo
	v_add_nc_u32_e32 v50, 1, v50
	v_add_nc_u32_e32 v51, -1, v51
	v_cndmask_b32_e64 v48, v50, v48, s79
	v_min_u32_e32 v51, v50, v51
	v_cndmask_b32_e64 v49, v49, v50, s79
	v_lshl_add_u32 v51, v51, 1, v178
	ds_read_u16 v51, v51
	s_waitcnt lgkmcnt(0)
	v_cndmask_b32_e64 v69, v51, v70, s79
	v_cndmask_b32_e64 v61, v60, v51, s79
	v_cmpx_lt_u32_e64 v48, v244
	s_cbranch_execz .LBB1044_2098
; %bb.2095:
	s_mov_b32 s91, 0
	s_mov_b32 s88, exec_lo
	v_cmpx_lt_u32_e64 v49, v243
	s_cbranch_execz .LBB1044_2097
; %bb.2096:
	v_bfe_i32 v50, v69, 0, 16
	v_bfe_i32 v52, v61, 0, 16
	v_ashrrev_i32_e32 v51, 31, v50
	v_ashrrev_i32_e32 v53, 31, v52
	v_lshlrev_b64 v[50:51], 1, v[50:51]
	v_lshlrev_b64 v[52:53], 1, v[52:53]
	v_add_co_u32 v50, s8, v6, v50
	v_add_co_ci_u32_e64 v51, null, v7, v51, s8
	v_add_co_u32 v52, s8, v6, v52
	v_add_co_ci_u32_e64 v53, null, v7, v53, s8
	s_clause 0x1
	flat_load_ushort v50, v[50:51]
	flat_load_ushort v51, v[52:53]
	s_waitcnt vmcnt(0) lgkmcnt(0)
	v_cmp_ge_i16_e64 s8, v50, v51
	s_and_b32 s91, s8, exec_lo
.LBB1044_2097:
	s_or_b32 exec_lo, exec_lo, s88
	s_orn2_b32 s88, s91, exec_lo
.LBB1044_2098:
	s_or_b32 exec_lo, exec_lo, s90
	v_cndmask_b32_e64 v50, v48, v49, s88
	v_cndmask_b32_e64 v51, v244, v243, s88
	s_mov_b32 s90, exec_lo
	v_add_nc_u32_e32 v50, 1, v50
	v_add_nc_u32_e32 v51, -1, v51
	v_cndmask_b32_e64 v48, v50, v48, s88
	v_min_u32_e32 v51, v50, v51
	v_cndmask_b32_e64 v49, v49, v50, s88
	v_lshl_add_u32 v51, v51, 1, v178
	ds_read_u16 v51, v51
	s_waitcnt lgkmcnt(0)
	v_cndmask_b32_e64 v68, v51, v69, s88
	v_cndmask_b32_e64 v62, v61, v51, s88
	v_cmpx_lt_u32_e64 v48, v244
	s_cbranch_execz .LBB1044_2102
; %bb.2099:
	s_mov_b32 s91, 0
	s_mov_b32 s89, exec_lo
	v_cmpx_lt_u32_e64 v49, v243
	s_cbranch_execz .LBB1044_2101
; %bb.2100:
	v_bfe_i32 v50, v68, 0, 16
	v_bfe_i32 v52, v62, 0, 16
	v_ashrrev_i32_e32 v51, 31, v50
	v_ashrrev_i32_e32 v53, 31, v52
	v_lshlrev_b64 v[50:51], 1, v[50:51]
	v_lshlrev_b64 v[52:53], 1, v[52:53]
	v_add_co_u32 v50, s8, v6, v50
	v_add_co_ci_u32_e64 v51, null, v7, v51, s8
	v_add_co_u32 v52, s8, v6, v52
	v_add_co_ci_u32_e64 v53, null, v7, v53, s8
	s_clause 0x1
	flat_load_ushort v50, v[50:51]
	flat_load_ushort v51, v[52:53]
	s_waitcnt vmcnt(0) lgkmcnt(0)
	v_cmp_ge_i16_e64 s8, v50, v51
	s_and_b32 s91, s8, exec_lo
.LBB1044_2101:
	s_or_b32 exec_lo, exec_lo, s89
	s_orn2_b32 s89, s91, exec_lo
.LBB1044_2102:
	s_or_b32 exec_lo, exec_lo, s90
	v_cndmask_b32_e64 v50, v48, v49, s89
	v_cndmask_b32_e64 v51, v244, v243, s89
	s_mov_b32 s91, -1
	s_mov_b32 s90, -1
	s_mov_b32 s92, exec_lo
	v_add_nc_u32_e32 v50, 1, v50
	v_add_nc_u32_e32 v51, -1, v51
	v_cndmask_b32_e64 v48, v50, v48, s89
	v_min_u32_e32 v51, v50, v51
	v_cndmask_b32_e64 v49, v49, v50, s89
	v_lshl_add_u32 v51, v51, 1, v178
	ds_read_u16 v51, v51
	s_waitcnt lgkmcnt(0)
	v_cndmask_b32_e64 v67, v51, v68, s89
	v_cndmask_b32_e64 v63, v62, v51, s89
	v_cmpx_lt_u32_e64 v48, v244
	s_cbranch_execz .LBB1044_2106
; %bb.2103:
	s_mov_b32 s93, 0
	s_mov_b32 s90, exec_lo
	v_cmpx_lt_u32_e64 v49, v243
	s_cbranch_execz .LBB1044_2105
; %bb.2104:
	v_bfe_i32 v50, v67, 0, 16
	v_bfe_i32 v52, v63, 0, 16
	v_ashrrev_i32_e32 v51, 31, v50
	v_ashrrev_i32_e32 v53, 31, v52
	v_lshlrev_b64 v[50:51], 1, v[50:51]
	v_lshlrev_b64 v[52:53], 1, v[52:53]
	v_add_co_u32 v50, s8, v6, v50
	v_add_co_ci_u32_e64 v51, null, v7, v51, s8
	v_add_co_u32 v52, s8, v6, v52
	v_add_co_ci_u32_e64 v53, null, v7, v53, s8
	s_clause 0x1
	flat_load_ushort v50, v[50:51]
	flat_load_ushort v51, v[52:53]
	s_waitcnt vmcnt(0) lgkmcnt(0)
	v_cmp_ge_i16_e64 s8, v50, v51
	s_and_b32 s93, s8, exec_lo
.LBB1044_2105:
	s_or_b32 exec_lo, exec_lo, s90
	s_orn2_b32 s90, s93, exec_lo
.LBB1044_2106:
	s_or_b32 exec_lo, exec_lo, s92
	v_cndmask_b32_e64 v50, v48, v49, s90
	v_cndmask_b32_e64 v51, v244, v243, s90
	s_mov_b32 s92, exec_lo
	v_add_nc_u32_e32 v50, 1, v50
	v_add_nc_u32_e32 v51, -1, v51
	v_cndmask_b32_e64 v48, v50, v48, s90
	v_min_u32_e32 v51, v50, v51
	v_cndmask_b32_e64 v49, v49, v50, s90
	v_lshl_add_u32 v51, v51, 1, v178
	ds_read_u16 v51, v51
	s_waitcnt lgkmcnt(0)
	v_cndmask_b32_e64 v66, v51, v67, s90
	v_cndmask_b32_e64 v72, v63, v51, s90
	v_cmpx_lt_u32_e64 v48, v244
	s_cbranch_execz .LBB1044_2110
; %bb.2107:
	s_mov_b32 s93, 0
	s_mov_b32 s91, exec_lo
	v_cmpx_lt_u32_e64 v49, v243
	s_cbranch_execz .LBB1044_2109
; %bb.2108:
	v_bfe_i32 v50, v66, 0, 16
	v_bfe_i32 v52, v72, 0, 16
	v_ashrrev_i32_e32 v51, 31, v50
	v_ashrrev_i32_e32 v53, 31, v52
	v_lshlrev_b64 v[50:51], 1, v[50:51]
	v_lshlrev_b64 v[52:53], 1, v[52:53]
	v_add_co_u32 v50, s8, v6, v50
	v_add_co_ci_u32_e64 v51, null, v7, v51, s8
	v_add_co_u32 v52, s8, v6, v52
	v_add_co_ci_u32_e64 v53, null, v7, v53, s8
	s_clause 0x1
	flat_load_ushort v50, v[50:51]
	flat_load_ushort v51, v[52:53]
	s_waitcnt vmcnt(0) lgkmcnt(0)
	v_cmp_ge_i16_e64 s8, v50, v51
	s_and_b32 s93, s8, exec_lo
.LBB1044_2109:
	s_or_b32 exec_lo, exec_lo, s91
	s_orn2_b32 s91, s93, exec_lo
.LBB1044_2110:
	s_or_b32 exec_lo, exec_lo, s92
	v_cndmask_b32_e64 v50, v48, v49, s91
	v_cndmask_b32_e64 v51, v244, v243, s91
	s_mov_b32 s93, -1
	s_mov_b32 s92, -1
	s_mov_b32 s94, exec_lo
	v_add_nc_u32_e32 v50, 1, v50
	v_add_nc_u32_e32 v51, -1, v51
	v_cndmask_b32_e64 v48, v50, v48, s91
	v_min_u32_e32 v51, v50, v51
	v_cndmask_b32_e64 v49, v49, v50, s91
	v_lshl_add_u32 v51, v51, 1, v178
	ds_read_u16 v51, v51
	s_waitcnt lgkmcnt(0)
	v_cndmask_b32_e64 v65, v51, v66, s91
	v_cndmask_b32_e64 v73, v72, v51, s91
	v_cmpx_lt_u32_e64 v48, v244
	s_cbranch_execz .LBB1044_2114
; %bb.2111:
	s_mov_b32 s95, 0
	s_mov_b32 s92, exec_lo
	v_cmpx_lt_u32_e64 v49, v243
	s_cbranch_execz .LBB1044_2113
; %bb.2112:
	v_bfe_i32 v50, v65, 0, 16
	v_bfe_i32 v52, v73, 0, 16
	v_ashrrev_i32_e32 v51, 31, v50
	v_ashrrev_i32_e32 v53, 31, v52
	v_lshlrev_b64 v[50:51], 1, v[50:51]
	v_lshlrev_b64 v[52:53], 1, v[52:53]
	v_add_co_u32 v50, s8, v6, v50
	v_add_co_ci_u32_e64 v51, null, v7, v51, s8
	v_add_co_u32 v52, s8, v6, v52
	v_add_co_ci_u32_e64 v53, null, v7, v53, s8
	s_clause 0x1
	flat_load_ushort v50, v[50:51]
	flat_load_ushort v51, v[52:53]
	s_waitcnt vmcnt(0) lgkmcnt(0)
	v_cmp_ge_i16_e64 s8, v50, v51
	s_and_b32 s95, s8, exec_lo
.LBB1044_2113:
	s_or_b32 exec_lo, exec_lo, s92
	s_orn2_b32 s92, s95, exec_lo
.LBB1044_2114:
	s_or_b32 exec_lo, exec_lo, s94
	v_cndmask_b32_e64 v50, v48, v49, s92
	v_cndmask_b32_e64 v51, v244, v243, s92
	s_mov_b32 s94, exec_lo
	v_add_nc_u32_e32 v50, 1, v50
	v_add_nc_u32_e32 v51, -1, v51
	v_cndmask_b32_e64 v48, v50, v48, s92
	v_min_u32_e32 v51, v50, v51
	v_cndmask_b32_e64 v49, v49, v50, s92
	v_lshl_add_u32 v51, v51, 1, v178
	ds_read_u16 v51, v51
	s_waitcnt lgkmcnt(0)
	v_cndmask_b32_e64 v55, v51, v65, s92
	v_cndmask_b32_e64 v74, v73, v51, s92
	v_cmpx_lt_u32_e64 v48, v244
	s_cbranch_execz .LBB1044_2118
; %bb.2115:
	s_mov_b32 s95, 0
	s_mov_b32 s93, exec_lo
	v_cmpx_lt_u32_e64 v49, v243
	s_cbranch_execz .LBB1044_2117
; %bb.2116:
	v_bfe_i32 v50, v55, 0, 16
	v_bfe_i32 v52, v74, 0, 16
	v_ashrrev_i32_e32 v51, 31, v50
	v_ashrrev_i32_e32 v53, 31, v52
	v_lshlrev_b64 v[50:51], 1, v[50:51]
	v_lshlrev_b64 v[52:53], 1, v[52:53]
	v_add_co_u32 v50, s8, v6, v50
	v_add_co_ci_u32_e64 v51, null, v7, v51, s8
	v_add_co_u32 v52, s8, v6, v52
	v_add_co_ci_u32_e64 v53, null, v7, v53, s8
	s_clause 0x1
	flat_load_ushort v50, v[50:51]
	flat_load_ushort v51, v[52:53]
	s_waitcnt vmcnt(0) lgkmcnt(0)
	v_cmp_ge_i16_e64 s8, v50, v51
	s_and_b32 s95, s8, exec_lo
.LBB1044_2117:
	s_or_b32 exec_lo, exec_lo, s93
	s_orn2_b32 s93, s95, exec_lo
.LBB1044_2118:
	s_or_b32 exec_lo, exec_lo, s94
	v_cndmask_b32_e64 v50, v48, v49, s93
	v_cndmask_b32_e64 v51, v244, v243, s93
	s_mov_b32 s95, -1
	s_mov_b32 s94, -1
	s_mov_b32 vcc_hi, exec_lo
	v_add_nc_u32_e32 v50, 1, v50
	v_add_nc_u32_e32 v51, -1, v51
	v_cndmask_b32_e64 v48, v50, v48, s93
	v_min_u32_e32 v51, v50, v51
	v_cndmask_b32_e64 v49, v49, v50, s93
	v_lshl_add_u32 v51, v51, 1, v178
	ds_read_u16 v51, v51
	s_waitcnt lgkmcnt(0)
	v_cndmask_b32_e64 v54, v51, v55, s93
	v_cndmask_b32_e64 v75, v74, v51, s93
	v_cmpx_lt_u32_e64 v48, v244
	s_cbranch_execz .LBB1044_2122
; %bb.2119:
	s_mov_b32 s30, 0
	s_mov_b32 s94, exec_lo
	v_cmpx_lt_u32_e64 v49, v243
	s_cbranch_execz .LBB1044_2121
; %bb.2120:
	v_bfe_i32 v50, v54, 0, 16
	v_bfe_i32 v52, v75, 0, 16
	v_ashrrev_i32_e32 v51, 31, v50
	v_ashrrev_i32_e32 v53, 31, v52
	v_lshlrev_b64 v[50:51], 1, v[50:51]
	v_lshlrev_b64 v[52:53], 1, v[52:53]
	v_add_co_u32 v50, s8, v6, v50
	v_add_co_ci_u32_e64 v51, null, v7, v51, s8
	v_add_co_u32 v52, s8, v6, v52
	v_add_co_ci_u32_e64 v53, null, v7, v53, s8
	s_clause 0x1
	flat_load_ushort v50, v[50:51]
	flat_load_ushort v51, v[52:53]
	s_waitcnt vmcnt(0) lgkmcnt(0)
	v_cmp_ge_i16_e64 s8, v50, v51
	s_and_b32 s30, s8, exec_lo
.LBB1044_2121:
	s_or_b32 exec_lo, exec_lo, s94
	s_orn2_b32 s94, s30, exec_lo
.LBB1044_2122:
	s_or_b32 exec_lo, exec_lo, vcc_hi
	v_cndmask_b32_e64 v50, v48, v49, s94
	v_cndmask_b32_e64 v51, v244, v243, s94
	s_mov_b32 vcc_hi, exec_lo
	v_add_nc_u32_e32 v50, 1, v50
	v_add_nc_u32_e32 v51, -1, v51
	v_cndmask_b32_e64 v48, v50, v48, s94
	v_min_u32_e32 v51, v50, v51
	v_cndmask_b32_e64 v49, v49, v50, s94
	v_lshl_add_u32 v51, v51, 1, v178
	ds_read_u16 v51, v51
	s_waitcnt lgkmcnt(0)
	v_cndmask_b32_e64 v53, v51, v54, s94
	v_cndmask_b32_e64 v76, v75, v51, s94
	v_cmpx_lt_u32_e64 v48, v244
	s_cbranch_execz .LBB1044_2126
; %bb.2123:
	s_mov_b32 s30, 0
	s_mov_b32 s95, exec_lo
	v_cmpx_lt_u32_e64 v49, v243
	s_cbranch_execz .LBB1044_2125
; %bb.2124:
	v_bfe_i32 v50, v53, 0, 16
	v_bfe_i32 v77, v76, 0, 16
	v_ashrrev_i32_e32 v51, 31, v50
	v_ashrrev_i32_e32 v78, 31, v77
	v_lshlrev_b64 v[50:51], 1, v[50:51]
	v_lshlrev_b64 v[77:78], 1, v[77:78]
	v_add_co_u32 v50, s8, v6, v50
	v_add_co_ci_u32_e64 v51, null, v7, v51, s8
	v_add_co_u32 v77, s8, v6, v77
	v_add_co_ci_u32_e64 v78, null, v7, v78, s8
	s_clause 0x1
	flat_load_ushort v50, v[50:51]
	flat_load_ushort v51, v[77:78]
	s_waitcnt vmcnt(0) lgkmcnt(0)
	v_cmp_ge_i16_e64 s8, v50, v51
	s_and_b32 s30, s8, exec_lo
.LBB1044_2125:
	s_or_b32 exec_lo, exec_lo, s95
	s_orn2_b32 s95, s30, exec_lo
.LBB1044_2126:
	s_or_b32 exec_lo, exec_lo, vcc_hi
	v_cndmask_b32_e64 v50, v48, v49, s95
	v_cndmask_b32_e64 v51, v244, v243, s95
	s_mov_b32 s30, -1
	s_mov_b32 vcc_hi, -1
	s_mov_b32 s31, exec_lo
	v_add_nc_u32_e32 v50, 1, v50
	v_add_nc_u32_e32 v51, -1, v51
	v_cndmask_b32_e64 v48, v50, v48, s95
	v_min_u32_e32 v51, v50, v51
	v_cndmask_b32_e64 v49, v49, v50, s95
	v_lshl_add_u32 v51, v51, 1, v178
	ds_read_u16 v51, v51
	s_waitcnt lgkmcnt(0)
	v_cndmask_b32_e64 v64, v51, v53, s95
	v_cndmask_b32_e64 v77, v76, v51, s95
	v_cmpx_lt_u32_e64 v48, v244
	s_cbranch_execz .LBB1044_2130
; %bb.2127:
	s_mov_b32 s34, 0
	s_mov_b32 vcc_hi, exec_lo
	v_cmpx_lt_u32_e64 v49, v243
	s_cbranch_execz .LBB1044_2129
; %bb.2128:
	v_bfe_i32 v50, v64, 0, 16
	v_bfe_i32 v78, v77, 0, 16
	v_ashrrev_i32_e32 v51, 31, v50
	v_ashrrev_i32_e32 v79, 31, v78
	v_lshlrev_b64 v[50:51], 1, v[50:51]
	v_lshlrev_b64 v[78:79], 1, v[78:79]
	v_add_co_u32 v50, s8, v6, v50
	v_add_co_ci_u32_e64 v51, null, v7, v51, s8
	v_add_co_u32 v78, s8, v6, v78
	v_add_co_ci_u32_e64 v79, null, v7, v79, s8
	s_clause 0x1
	flat_load_ushort v50, v[50:51]
	flat_load_ushort v51, v[78:79]
	s_waitcnt vmcnt(0) lgkmcnt(0)
	v_cmp_ge_i16_e64 s8, v50, v51
	s_and_b32 s34, s8, exec_lo
.LBB1044_2129:
	s_or_b32 exec_lo, exec_lo, vcc_hi
	s_orn2_b32 vcc_hi, s34, exec_lo
.LBB1044_2130:
	s_or_b32 exec_lo, exec_lo, s31
	v_cndmask_b32_e64 v50, v48, v49, vcc_hi
	v_cndmask_b32_e64 v51, v244, v243, vcc_hi
	s_mov_b32 s31, exec_lo
	v_add_nc_u32_e32 v50, 1, v50
	v_add_nc_u32_e32 v51, -1, v51
	v_cndmask_b32_e64 v48, v50, v48, vcc_hi
	v_min_u32_e32 v51, v50, v51
	v_cndmask_b32_e64 v49, v49, v50, vcc_hi
	v_lshl_add_u32 v51, v51, 1, v178
	ds_read_u16 v51, v51
	s_waitcnt lgkmcnt(0)
	v_cndmask_b32_e64 v52, v51, v64, vcc_hi
	v_cndmask_b32_e64 v78, v77, v51, vcc_hi
	v_cmpx_lt_u32_e64 v48, v244
	s_cbranch_execz .LBB1044_2134
; %bb.2131:
	s_mov_b32 s34, 0
	s_mov_b32 s30, exec_lo
	v_cmpx_lt_u32_e64 v49, v243
	s_cbranch_execz .LBB1044_2133
; %bb.2132:
	v_bfe_i32 v50, v52, 0, 16
	v_bfe_i32 v88, v78, 0, 16
	v_ashrrev_i32_e32 v51, 31, v50
	v_ashrrev_i32_e32 v89, 31, v88
	v_lshlrev_b64 v[50:51], 1, v[50:51]
	v_lshlrev_b64 v[88:89], 1, v[88:89]
	v_add_co_u32 v50, s8, v6, v50
	v_add_co_ci_u32_e64 v51, null, v7, v51, s8
	v_add_co_u32 v88, s8, v6, v88
	v_add_co_ci_u32_e64 v89, null, v7, v89, s8
	s_clause 0x1
	flat_load_ushort v50, v[50:51]
	flat_load_ushort v51, v[88:89]
	s_waitcnt vmcnt(0) lgkmcnt(0)
	v_cmp_ge_i16_e64 s8, v50, v51
	s_and_b32 s34, s8, exec_lo
.LBB1044_2133:
	s_or_b32 exec_lo, exec_lo, s30
	s_orn2_b32 s30, s34, exec_lo
.LBB1044_2134:
	s_or_b32 exec_lo, exec_lo, s31
	v_cndmask_b32_e64 v50, v48, v49, s30
	v_cndmask_b32_e64 v51, v244, v243, s30
	s_mov_b32 s34, -1
	s_mov_b32 s31, -1
	s_mov_b32 s35, exec_lo
	v_add_nc_u32_e32 v50, 1, v50
	v_add_nc_u32_e32 v51, -1, v51
	v_cndmask_b32_e64 v48, v50, v48, s30
	v_min_u32_e32 v51, v50, v51
	v_cndmask_b32_e64 v49, v49, v50, s30
	v_lshl_add_u32 v51, v51, 1, v178
	ds_read_u16 v79, v51
	s_waitcnt lgkmcnt(0)
	v_cndmask_b32_e64 v51, v79, v52, s30
	v_cndmask_b32_e64 v79, v78, v79, s30
	v_cmpx_lt_u32_e64 v48, v244
	s_cbranch_execz .LBB1044_2138
; %bb.2135:
	s_mov_b32 s38, 0
	s_mov_b32 s31, exec_lo
	v_cmpx_lt_u32_e64 v49, v243
	s_cbranch_execz .LBB1044_2137
; %bb.2136:
	v_bfe_i32 v88, v51, 0, 16
	v_bfe_i32 v90, v79, 0, 16
	v_ashrrev_i32_e32 v89, 31, v88
	v_ashrrev_i32_e32 v91, 31, v90
	v_lshlrev_b64 v[88:89], 1, v[88:89]
	v_lshlrev_b64 v[90:91], 1, v[90:91]
	v_add_co_u32 v88, s8, v6, v88
	v_add_co_ci_u32_e64 v89, null, v7, v89, s8
	v_add_co_u32 v90, s8, v6, v90
	v_add_co_ci_u32_e64 v91, null, v7, v91, s8
	s_clause 0x1
	flat_load_ushort v50, v[88:89]
	flat_load_ushort v88, v[90:91]
	s_waitcnt vmcnt(0) lgkmcnt(0)
	v_cmp_ge_i16_e64 s8, v50, v88
	s_and_b32 s38, s8, exec_lo
.LBB1044_2137:
	s_or_b32 exec_lo, exec_lo, s31
	s_orn2_b32 s31, s38, exec_lo
.LBB1044_2138:
	s_or_b32 exec_lo, exec_lo, s35
	v_cndmask_b32_e64 v50, v48, v49, s31
	v_cndmask_b32_e64 v88, v244, v243, s31
	s_mov_b32 s35, exec_lo
	v_add_nc_u32_e32 v50, 1, v50
	v_add_nc_u32_e32 v88, -1, v88
	v_cndmask_b32_e64 v48, v50, v48, s31
	v_min_u32_e32 v88, v50, v88
	v_cndmask_b32_e64 v49, v49, v50, s31
	v_lshl_add_u32 v88, v88, 1, v178
	ds_read_u16 v88, v88
	s_waitcnt lgkmcnt(0)
	v_cndmask_b32_e64 v50, v88, v51, s31
	v_cndmask_b32_e64 v88, v79, v88, s31
	v_cmpx_lt_u32_e64 v48, v244
	s_cbranch_execz .LBB1044_2142
; %bb.2139:
	s_mov_b32 s38, 0
	s_mov_b32 s34, exec_lo
	v_cmpx_lt_u32_e64 v49, v243
	s_cbranch_execz .LBB1044_2141
; %bb.2140:
	v_bfe_i32 v89, v50, 0, 16
	v_bfe_i32 v91, v88, 0, 16
	v_ashrrev_i32_e32 v90, 31, v89
	v_ashrrev_i32_e32 v92, 31, v91
	v_lshlrev_b64 v[89:90], 1, v[89:90]
	v_lshlrev_b64 v[91:92], 1, v[91:92]
	v_add_co_u32 v89, s8, v6, v89
	v_add_co_ci_u32_e64 v90, null, v7, v90, s8
	v_add_co_u32 v91, s8, v6, v91
	v_add_co_ci_u32_e64 v92, null, v7, v92, s8
	s_clause 0x1
	flat_load_ushort v89, v[89:90]
	flat_load_ushort v90, v[91:92]
	s_waitcnt vmcnt(0) lgkmcnt(0)
	v_cmp_ge_i16_e64 s8, v89, v90
	s_and_b32 s38, s8, exec_lo
.LBB1044_2141:
	s_or_b32 exec_lo, exec_lo, s34
	s_orn2_b32 s34, s38, exec_lo
.LBB1044_2142:
	s_or_b32 exec_lo, exec_lo, s35
	v_cndmask_b32_e64 v89, v48, v49, s34
	v_cndmask_b32_e64 v90, v244, v243, s34
	s_mov_b32 s35, -1
	s_mov_b32 s38, -1
	s_mov_b32 s39, exec_lo
	v_add_nc_u32_e32 v89, 1, v89
	v_add_nc_u32_e32 v90, -1, v90
	v_cndmask_b32_e64 v48, v89, v48, s34
	v_min_u32_e32 v90, v89, v90
	v_lshl_add_u32 v90, v90, 1, v178
	ds_read_u16 v91, v90
	v_cndmask_b32_e64 v90, v49, v89, s34
	s_waitcnt lgkmcnt(0)
	v_cndmask_b32_e64 v49, v91, v50, s34
	v_cndmask_b32_e64 v89, v88, v91, s34
	v_cmpx_lt_u32_e64 v48, v244
	s_cbranch_execz .LBB1044_2146
; %bb.2143:
	s_mov_b32 s48, 0
	s_mov_b32 s38, exec_lo
	v_cmpx_lt_u32_e64 v90, v243
	s_cbranch_execz .LBB1044_2145
; %bb.2144:
	v_bfe_i32 v91, v49, 0, 16
	v_bfe_i32 v93, v89, 0, 16
	v_ashrrev_i32_e32 v92, 31, v91
	v_ashrrev_i32_e32 v94, 31, v93
	v_lshlrev_b64 v[91:92], 1, v[91:92]
	v_lshlrev_b64 v[93:94], 1, v[93:94]
	v_add_co_u32 v91, s8, v6, v91
	v_add_co_ci_u32_e64 v92, null, v7, v92, s8
	v_add_co_u32 v93, s8, v6, v93
	v_add_co_ci_u32_e64 v94, null, v7, v94, s8
	s_clause 0x1
	flat_load_ushort v91, v[91:92]
	flat_load_ushort v92, v[93:94]
	s_waitcnt vmcnt(0) lgkmcnt(0)
	v_cmp_ge_i16_e64 s8, v91, v92
	s_and_b32 s48, s8, exec_lo
.LBB1044_2145:
	s_or_b32 exec_lo, exec_lo, s38
	s_orn2_b32 s38, s48, exec_lo
.LBB1044_2146:
	s_or_b32 exec_lo, exec_lo, s39
	v_cndmask_b32_e64 v91, v48, v90, s38
	v_cndmask_b32_e64 v92, v244, v243, s38
	s_mov_b32 s39, exec_lo
	v_add_nc_u32_e32 v91, 1, v91
	v_add_nc_u32_e32 v92, -1, v92
	v_cndmask_b32_e64 v48, v91, v48, s38
	v_min_u32_e32 v92, v91, v92
	v_lshl_add_u32 v92, v92, 1, v178
	ds_read_u16 v93, v92
	v_cndmask_b32_e64 v92, v90, v91, s38
	s_waitcnt lgkmcnt(0)
	v_cndmask_b32_e64 v90, v93, v49, s38
	v_cndmask_b32_e64 v91, v89, v93, s38
	v_cmpx_lt_u32_e64 v48, v244
	s_cbranch_execz .LBB1044_2150
; %bb.2147:
	s_mov_b32 s48, 0
	s_mov_b32 s35, exec_lo
	v_cmpx_lt_u32_e64 v92, v243
	s_cbranch_execz .LBB1044_2149
; %bb.2148:
	v_bfe_i32 v93, v90, 0, 16
	v_bfe_i32 v104, v91, 0, 16
	v_ashrrev_i32_e32 v94, 31, v93
	v_ashrrev_i32_e32 v105, 31, v104
	v_lshlrev_b64 v[93:94], 1, v[93:94]
	v_lshlrev_b64 v[104:105], 1, v[104:105]
	v_add_co_u32 v93, s8, v6, v93
	v_add_co_ci_u32_e64 v94, null, v7, v94, s8
	v_add_co_u32 v104, s8, v6, v104
	v_add_co_ci_u32_e64 v105, null, v7, v105, s8
	s_clause 0x1
	flat_load_ushort v93, v[93:94]
	flat_load_ushort v94, v[104:105]
	s_waitcnt vmcnt(0) lgkmcnt(0)
	v_cmp_ge_i16_e64 s8, v93, v94
	s_and_b32 s48, s8, exec_lo
.LBB1044_2149:
	s_or_b32 exec_lo, exec_lo, s35
	s_orn2_b32 s35, s48, exec_lo
.LBB1044_2150:
	s_or_b32 exec_lo, exec_lo, s39
	v_cndmask_b32_e64 v93, v48, v92, s35
	v_cndmask_b32_e64 v94, v244, v243, s35
	s_mov_b32 s39, exec_lo
	v_add_nc_u32_e32 v93, 1, v93
	v_add_nc_u32_e32 v94, -1, v94
	v_cndmask_b32_e64 v95, v93, v48, s35
	v_min_u32_e32 v94, v93, v94
	v_lshl_add_u32 v94, v94, 1, v178
	ds_read_u16 v94, v94
	s_waitcnt lgkmcnt(0)
	v_cndmask_b32_e64 v48, v91, v94, s35
	v_cmpx_lt_u32_e64 v95, v244
	s_cbranch_execz .LBB1044_2154
; %bb.2151:
	v_cndmask_b32_e64 v92, v92, v93, s35
	v_cndmask_b32_e64 v244, v94, v90, s35
	s_mov_b32 s48, exec_lo
	v_cmpx_lt_u32_e64 v92, v243
	s_cbranch_execz .LBB1044_2153
; %bb.2152:
	v_bfe_i32 v92, v244, 0, 16
	v_bfe_i32 v94, v48, 0, 16
	v_ashrrev_i32_e32 v93, 31, v92
	v_ashrrev_i32_e32 v95, 31, v94
	v_lshlrev_b64 v[92:93], 1, v[92:93]
	v_lshlrev_b64 v[94:95], 1, v[94:95]
	v_add_co_u32 v92, s8, v6, v92
	v_add_co_ci_u32_e64 v93, null, v7, v93, s8
	v_add_co_u32 v94, s8, v6, v94
	v_add_co_ci_u32_e64 v95, null, v7, v95, s8
	s_clause 0x1
	flat_load_ushort v243, v[92:93]
	flat_load_ushort v92, v[94:95]
	s_waitcnt vmcnt(0) lgkmcnt(0)
	v_cmp_lt_i16_e64 s8, v243, v92
	v_cndmask_b32_e64 v244, v48, v244, s8
.LBB1044_2153:
	s_or_b32 exec_lo, exec_lo, s48
	v_mov_b32_e32 v48, v244
.LBB1044_2154:
	s_or_b32 exec_lo, exec_lo, s39
	v_cndmask_b32_e64 v49, v49, v89, s38
	v_cndmask_b32_e64 v50, v50, v88, s34
	;; [unrolled: 1-line block ×4, first 2 shown]
	v_cndmask_b32_e64 v64, v64, v77, vcc_hi
	v_cndmask_b32_e64 v53, v53, v76, s95
	v_cndmask_b32_e64 v54, v54, v75, s94
	;; [unrolled: 1-line block ×26, first 2 shown]
.LBB1044_2155:
	s_or_b32 exec_lo, exec_lo, s12
	; wave barrier
	ds_write_b16 v181, v99
	ds_write_b16 v231, v102
	;; [unrolled: 1-line block ×5, first 2 shown]
	v_and_b32_e32 v231, 0x200, v180
	ds_write_b16 v227, v97
	ds_write_b16 v228, v96
	;; [unrolled: 1-line block ×15, first 2 shown]
	v_or_b32_e32 v181, 0x100, v231
	v_and_b32_e32 v208, 0x1e0, v180
	ds_write_b16 v197, v66
	ds_write_b16 v198, v65
	ds_write_b16 v199, v55
	ds_write_b16 v194, v54
	ds_write_b16 v195, v53
	ds_write_b16 v196, v64
	s_mov_b32 s9, exec_lo
	v_min_u32_e32 v181, v179, v181
	ds_write_b16 v182, v52
	ds_write_b16 v183, v51
	;; [unrolled: 1-line block ×6, first 2 shown]
	; wave barrier
	v_add_nc_u32_e32 v211, 0x100, v181
	v_sub_nc_u32_e32 v198, v181, v231
	v_min_u32_e32 v180, v179, v211
	v_min_u32_e32 v179, v179, v208
	v_sub_nc_u32_e32 v197, v180, v181
	v_min_u32_e32 v195, v179, v198
	v_sub_nc_u32_e64 v194, v179, v197 clamp
	v_cmpx_lt_u32_e64 v194, v195
	s_cbranch_execz .LBB1044_2159
; %bb.2156:
	v_lshlrev_b32_e32 v1, 1, v231
	v_lshlrev_b32_e32 v2, 1, v181
	s_mov_b32 s12, 0
	v_add_co_u32 v1, null, v178, v1
	v_add_co_u32 v2, null, v178, v2
	s_inst_prefetch 0x1
	.p2align	6
.LBB1044_2157:                          ; =>This Inner Loop Header: Depth=1
	v_add_nc_u32_e32 v182, v195, v194
	v_lshrrev_b32_e32 v196, 1, v182
	v_and_b32_e32 v182, -2, v182
	v_xad_u32 v183, v196, -1, v179
	v_add_nc_u32_e32 v182, v1, v182
	v_lshl_add_u32 v183, v183, 1, v2
	ds_read_u16 v182, v182
	ds_read_u16 v183, v183
	s_waitcnt lgkmcnt(1)
	v_bfe_i32 v182, v182, 0, 16
	s_waitcnt lgkmcnt(0)
	v_bfe_i32 v192, v183, 0, 16
	v_ashrrev_i32_e32 v183, 31, v182
	v_ashrrev_i32_e32 v193, 31, v192
	v_lshlrev_b64 v[182:183], 1, v[182:183]
	v_lshlrev_b64 v[192:193], 1, v[192:193]
	v_add_co_u32 v182, s8, v6, v182
	v_add_co_ci_u32_e64 v183, null, v7, v183, s8
	v_add_co_u32 v192, s8, v6, v192
	v_add_co_ci_u32_e64 v193, null, v7, v193, s8
	s_clause 0x1
	flat_load_ushort v192, v[192:193]
	flat_load_ushort v182, v[182:183]
	v_add_nc_u32_e32 v183, 1, v196
	s_waitcnt vmcnt(0) lgkmcnt(0)
	v_cmp_lt_i16_e64 s8, v192, v182
	v_cndmask_b32_e64 v195, v195, v196, s8
	v_cndmask_b32_e64 v194, v183, v194, s8
	v_cmp_ge_u32_e64 s8, v194, v195
	s_or_b32 s12, s8, s12
	s_andn2_b32 exec_lo, exec_lo, s12
	s_cbranch_execnz .LBB1044_2157
; %bb.2158:
	s_inst_prefetch 0x2
	s_or_b32 exec_lo, exec_lo, s12
.LBB1044_2159:
	s_or_b32 exec_lo, exec_lo, s9
	v_add_nc_u32_e32 v1, v181, v179
	v_add_nc_u32_e32 v179, v194, v231
	v_sub_nc_u32_e32 v182, v1, v194
	v_cmp_le_u32_e64 s8, v179, v181
	v_cmp_le_u32_e64 s9, v182, v180
	s_or_b32 s8, s8, s9
	s_and_saveexec_b32 s12, s8
	s_cbranch_execz .LBB1044_2291
; %bb.2160:
	v_cmp_ge_u32_e64 s8, v179, v181
	s_mov_b32 s13, exec_lo
                                        ; implicit-def: $vgpr1
	v_cmpx_lt_u32_e64 v179, v181
; %bb.2161:
	v_lshl_add_u32 v1, v179, 1, v178
	ds_read_u16 v1, v1
; %bb.2162:
	s_or_b32 exec_lo, exec_lo, s13
	v_cmp_ge_u32_e64 s13, v182, v180
	s_mov_b32 s57, exec_lo
                                        ; implicit-def: $vgpr2
	v_cmpx_lt_u32_e64 v182, v180
; %bb.2163:
	v_lshl_add_u32 v2, v182, 1, v178
	ds_read_u16 v2, v2
; %bb.2164:
	s_or_b32 exec_lo, exec_lo, s57
	s_nor_b32 s8, s8, s13
	s_and_saveexec_b32 s9, s8
	s_cbranch_execz .LBB1044_2166
; %bb.2165:
	s_waitcnt lgkmcnt(0)
	v_bfe_i32 v48, v2, 0, 16
	v_bfe_i32 v50, v1, 0, 16
	s_andn2_b32 s13, s13, exec_lo
	v_ashrrev_i32_e32 v49, 31, v48
	v_ashrrev_i32_e32 v51, 31, v50
	v_lshlrev_b64 v[48:49], 1, v[48:49]
	v_lshlrev_b64 v[50:51], 1, v[50:51]
	v_add_co_u32 v48, s8, v6, v48
	v_add_co_ci_u32_e64 v49, null, v7, v49, s8
	v_add_co_u32 v50, s8, v6, v50
	v_add_co_ci_u32_e64 v51, null, v7, v51, s8
	s_clause 0x1
	flat_load_ushort v48, v[48:49]
	flat_load_ushort v49, v[50:51]
	s_waitcnt vmcnt(0) lgkmcnt(0)
	v_cmp_ge_i16_e64 s8, v48, v49
	s_and_b32 s8, s8, exec_lo
	s_or_b32 s13, s13, s8
.LBB1044_2166:
	s_or_b32 exec_lo, exec_lo, s9
	v_cndmask_b32_e64 v48, v182, v179, s13
	v_cndmask_b32_e64 v49, v180, v181, s13
	s_mov_b32 s57, -1
	s_mov_b32 s9, -1
	s_mov_b32 s58, exec_lo
	v_add_nc_u32_e32 v50, 1, v48
	v_add_nc_u32_e32 v48, -1, v49
	v_cndmask_b32_e64 v49, v179, v50, s13
	v_min_u32_e32 v48, v50, v48
	v_lshl_add_u32 v48, v48, 1, v178
	ds_read_u16 v51, v48
	v_cndmask_b32_e64 v48, v50, v182, s13
	s_waitcnt lgkmcnt(0)
	v_cndmask_b32_e64 v99, v51, v2, s13
	v_cndmask_b32_e64 v102, v1, v51, s13
	v_cmpx_lt_u32_e64 v48, v180
	s_cbranch_execz .LBB1044_2170
; %bb.2167:
	s_mov_b32 s59, 0
	s_mov_b32 s9, exec_lo
	v_cmpx_lt_u32_e64 v49, v181
	s_cbranch_execz .LBB1044_2169
; %bb.2168:
	v_bfe_i32 v50, v99, 0, 16
	v_bfe_i32 v52, v102, 0, 16
	v_ashrrev_i32_e32 v51, 31, v50
	v_ashrrev_i32_e32 v53, 31, v52
	v_lshlrev_b64 v[50:51], 1, v[50:51]
	v_lshlrev_b64 v[52:53], 1, v[52:53]
	v_add_co_u32 v50, s8, v6, v50
	v_add_co_ci_u32_e64 v51, null, v7, v51, s8
	v_add_co_u32 v52, s8, v6, v52
	v_add_co_ci_u32_e64 v53, null, v7, v53, s8
	s_clause 0x1
	flat_load_ushort v50, v[50:51]
	flat_load_ushort v51, v[52:53]
	s_waitcnt vmcnt(0) lgkmcnt(0)
	v_cmp_ge_i16_e64 s8, v50, v51
	s_and_b32 s59, s8, exec_lo
.LBB1044_2169:
	s_or_b32 exec_lo, exec_lo, s9
	s_orn2_b32 s9, s59, exec_lo
.LBB1044_2170:
	s_or_b32 exec_lo, exec_lo, s58
	v_cndmask_b32_e64 v50, v48, v49, s9
	v_cndmask_b32_e64 v51, v180, v181, s9
	s_mov_b32 s58, exec_lo
	v_add_nc_u32_e32 v50, 1, v50
	v_add_nc_u32_e32 v51, -1, v51
	v_cndmask_b32_e64 v48, v50, v48, s9
	v_min_u32_e32 v51, v50, v51
	v_cndmask_b32_e64 v49, v49, v50, s9
	v_lshl_add_u32 v51, v51, 1, v178
	ds_read_u16 v51, v51
	s_waitcnt lgkmcnt(0)
	v_cndmask_b32_e64 v101, v51, v99, s9
	v_cndmask_b32_e64 v103, v102, v51, s9
	v_cmpx_lt_u32_e64 v48, v180
	s_cbranch_execz .LBB1044_2174
; %bb.2171:
	s_mov_b32 s59, 0
	s_mov_b32 s57, exec_lo
	v_cmpx_lt_u32_e64 v49, v181
	s_cbranch_execz .LBB1044_2173
; %bb.2172:
	v_bfe_i32 v50, v101, 0, 16
	v_bfe_i32 v52, v103, 0, 16
	v_ashrrev_i32_e32 v51, 31, v50
	v_ashrrev_i32_e32 v53, 31, v52
	v_lshlrev_b64 v[50:51], 1, v[50:51]
	v_lshlrev_b64 v[52:53], 1, v[52:53]
	v_add_co_u32 v50, s8, v6, v50
	v_add_co_ci_u32_e64 v51, null, v7, v51, s8
	v_add_co_u32 v52, s8, v6, v52
	v_add_co_ci_u32_e64 v53, null, v7, v53, s8
	s_clause 0x1
	flat_load_ushort v50, v[50:51]
	flat_load_ushort v51, v[52:53]
	s_waitcnt vmcnt(0) lgkmcnt(0)
	v_cmp_ge_i16_e64 s8, v50, v51
	s_and_b32 s59, s8, exec_lo
.LBB1044_2173:
	s_or_b32 exec_lo, exec_lo, s57
	s_orn2_b32 s57, s59, exec_lo
.LBB1044_2174:
	s_or_b32 exec_lo, exec_lo, s58
	v_cndmask_b32_e64 v50, v48, v49, s57
	v_cndmask_b32_e64 v51, v180, v181, s57
	s_mov_b32 s59, -1
	s_mov_b32 s58, -1
	s_mov_b32 s60, exec_lo
	v_add_nc_u32_e32 v50, 1, v50
	v_add_nc_u32_e32 v51, -1, v51
	v_cndmask_b32_e64 v48, v50, v48, s57
	v_min_u32_e32 v51, v50, v51
	v_cndmask_b32_e64 v49, v49, v50, s57
	v_lshl_add_u32 v51, v51, 1, v178
	ds_read_u16 v51, v51
	s_waitcnt lgkmcnt(0)
	v_cndmask_b32_e64 v100, v51, v101, s57
	v_cndmask_b32_e64 v179, v103, v51, s57
	v_cmpx_lt_u32_e64 v48, v180
	s_cbranch_execz .LBB1044_2178
; %bb.2175:
	s_mov_b32 s61, 0
	s_mov_b32 s58, exec_lo
	v_cmpx_lt_u32_e64 v49, v181
	s_cbranch_execz .LBB1044_2177
; %bb.2176:
	v_bfe_i32 v50, v100, 0, 16
	v_bfe_i32 v52, v179, 0, 16
	v_ashrrev_i32_e32 v51, 31, v50
	v_ashrrev_i32_e32 v53, 31, v52
	v_lshlrev_b64 v[50:51], 1, v[50:51]
	v_lshlrev_b64 v[52:53], 1, v[52:53]
	v_add_co_u32 v50, s8, v6, v50
	v_add_co_ci_u32_e64 v51, null, v7, v51, s8
	v_add_co_u32 v52, s8, v6, v52
	v_add_co_ci_u32_e64 v53, null, v7, v53, s8
	s_clause 0x1
	flat_load_ushort v50, v[50:51]
	flat_load_ushort v51, v[52:53]
	s_waitcnt vmcnt(0) lgkmcnt(0)
	v_cmp_ge_i16_e64 s8, v50, v51
	s_and_b32 s61, s8, exec_lo
.LBB1044_2177:
	s_or_b32 exec_lo, exec_lo, s58
	s_orn2_b32 s58, s61, exec_lo
.LBB1044_2178:
	s_or_b32 exec_lo, exec_lo, s60
	v_cndmask_b32_e64 v50, v48, v49, s58
	v_cndmask_b32_e64 v51, v180, v181, s58
	s_mov_b32 s60, exec_lo
	v_add_nc_u32_e32 v50, 1, v50
	v_add_nc_u32_e32 v51, -1, v51
	v_cndmask_b32_e64 v48, v50, v48, s58
	v_min_u32_e32 v51, v50, v51
	v_cndmask_b32_e64 v49, v49, v50, s58
	v_lshl_add_u32 v51, v51, 1, v178
	ds_read_u16 v51, v51
	s_waitcnt lgkmcnt(0)
	v_cndmask_b32_e64 v98, v51, v100, s58
	v_cndmask_b32_e64 v182, v179, v51, s58
	v_cmpx_lt_u32_e64 v48, v180
	s_cbranch_execz .LBB1044_2182
; %bb.2179:
	s_mov_b32 s61, 0
	s_mov_b32 s59, exec_lo
	v_cmpx_lt_u32_e64 v49, v181
	s_cbranch_execz .LBB1044_2181
; %bb.2180:
	v_bfe_i32 v50, v98, 0, 16
	v_bfe_i32 v52, v182, 0, 16
	v_ashrrev_i32_e32 v51, 31, v50
	v_ashrrev_i32_e32 v53, 31, v52
	v_lshlrev_b64 v[50:51], 1, v[50:51]
	v_lshlrev_b64 v[52:53], 1, v[52:53]
	v_add_co_u32 v50, s8, v6, v50
	v_add_co_ci_u32_e64 v51, null, v7, v51, s8
	v_add_co_u32 v52, s8, v6, v52
	v_add_co_ci_u32_e64 v53, null, v7, v53, s8
	s_clause 0x1
	flat_load_ushort v50, v[50:51]
	flat_load_ushort v51, v[52:53]
	s_waitcnt vmcnt(0) lgkmcnt(0)
	v_cmp_ge_i16_e64 s8, v50, v51
	s_and_b32 s61, s8, exec_lo
.LBB1044_2181:
	s_or_b32 exec_lo, exec_lo, s59
	s_orn2_b32 s59, s61, exec_lo
.LBB1044_2182:
	s_or_b32 exec_lo, exec_lo, s60
	v_cndmask_b32_e64 v50, v48, v49, s59
	v_cndmask_b32_e64 v51, v180, v181, s59
	s_mov_b32 s61, -1
	s_mov_b32 s60, -1
	s_mov_b32 s62, exec_lo
	v_add_nc_u32_e32 v50, 1, v50
	v_add_nc_u32_e32 v51, -1, v51
	v_cndmask_b32_e64 v48, v50, v48, s59
	v_min_u32_e32 v51, v50, v51
	v_cndmask_b32_e64 v49, v49, v50, s59
	v_lshl_add_u32 v51, v51, 1, v178
	ds_read_u16 v51, v51
	s_waitcnt lgkmcnt(0)
	v_cndmask_b32_e64 v97, v51, v98, s59
	v_cndmask_b32_e64 v183, v182, v51, s59
	v_cmpx_lt_u32_e64 v48, v180
	s_cbranch_execz .LBB1044_2186
; %bb.2183:
	s_mov_b32 s63, 0
	s_mov_b32 s60, exec_lo
	v_cmpx_lt_u32_e64 v49, v181
	s_cbranch_execz .LBB1044_2185
; %bb.2184:
	v_bfe_i32 v50, v97, 0, 16
	v_bfe_i32 v52, v183, 0, 16
	v_ashrrev_i32_e32 v51, 31, v50
	v_ashrrev_i32_e32 v53, 31, v52
	v_lshlrev_b64 v[50:51], 1, v[50:51]
	v_lshlrev_b64 v[52:53], 1, v[52:53]
	v_add_co_u32 v50, s8, v6, v50
	v_add_co_ci_u32_e64 v51, null, v7, v51, s8
	v_add_co_u32 v52, s8, v6, v52
	v_add_co_ci_u32_e64 v53, null, v7, v53, s8
	s_clause 0x1
	flat_load_ushort v50, v[50:51]
	flat_load_ushort v51, v[52:53]
	s_waitcnt vmcnt(0) lgkmcnt(0)
	v_cmp_ge_i16_e64 s8, v50, v51
	s_and_b32 s63, s8, exec_lo
.LBB1044_2185:
	s_or_b32 exec_lo, exec_lo, s60
	s_orn2_b32 s60, s63, exec_lo
.LBB1044_2186:
	s_or_b32 exec_lo, exec_lo, s62
	v_cndmask_b32_e64 v50, v48, v49, s60
	v_cndmask_b32_e64 v51, v180, v181, s60
	s_mov_b32 s62, exec_lo
	v_add_nc_u32_e32 v50, 1, v50
	v_add_nc_u32_e32 v51, -1, v51
	v_cndmask_b32_e64 v48, v50, v48, s60
	v_min_u32_e32 v51, v50, v51
	v_cndmask_b32_e64 v49, v49, v50, s60
	v_lshl_add_u32 v51, v51, 1, v178
	ds_read_u16 v51, v51
	s_waitcnt lgkmcnt(0)
	v_cndmask_b32_e64 v96, v51, v97, s60
	v_cndmask_b32_e64 v192, v183, v51, s60
	v_cmpx_lt_u32_e64 v48, v180
	s_cbranch_execz .LBB1044_2190
; %bb.2187:
	s_mov_b32 s63, 0
	s_mov_b32 s61, exec_lo
	v_cmpx_lt_u32_e64 v49, v181
	s_cbranch_execz .LBB1044_2189
; %bb.2188:
	v_bfe_i32 v50, v96, 0, 16
	v_bfe_i32 v52, v192, 0, 16
	v_ashrrev_i32_e32 v51, 31, v50
	v_ashrrev_i32_e32 v53, 31, v52
	v_lshlrev_b64 v[50:51], 1, v[50:51]
	v_lshlrev_b64 v[52:53], 1, v[52:53]
	v_add_co_u32 v50, s8, v6, v50
	v_add_co_ci_u32_e64 v51, null, v7, v51, s8
	v_add_co_u32 v52, s8, v6, v52
	v_add_co_ci_u32_e64 v53, null, v7, v53, s8
	s_clause 0x1
	flat_load_ushort v50, v[50:51]
	flat_load_ushort v51, v[52:53]
	s_waitcnt vmcnt(0) lgkmcnt(0)
	v_cmp_ge_i16_e64 s8, v50, v51
	s_and_b32 s63, s8, exec_lo
.LBB1044_2189:
	s_or_b32 exec_lo, exec_lo, s61
	s_orn2_b32 s61, s63, exec_lo
.LBB1044_2190:
	s_or_b32 exec_lo, exec_lo, s62
	v_cndmask_b32_e64 v50, v48, v49, s61
	v_cndmask_b32_e64 v51, v180, v181, s61
	s_mov_b32 s63, -1
	s_mov_b32 s62, -1
	s_mov_b32 s72, exec_lo
	v_add_nc_u32_e32 v50, 1, v50
	v_add_nc_u32_e32 v51, -1, v51
	v_cndmask_b32_e64 v48, v50, v48, s61
	v_min_u32_e32 v51, v50, v51
	v_cndmask_b32_e64 v49, v49, v50, s61
	v_lshl_add_u32 v51, v51, 1, v178
	ds_read_u16 v51, v51
	s_waitcnt lgkmcnt(0)
	v_cndmask_b32_e64 v87, v51, v96, s61
	v_cndmask_b32_e64 v193, v192, v51, s61
	v_cmpx_lt_u32_e64 v48, v180
	s_cbranch_execz .LBB1044_2194
; %bb.2191:
	s_mov_b32 s73, 0
	s_mov_b32 s62, exec_lo
	v_cmpx_lt_u32_e64 v49, v181
	s_cbranch_execz .LBB1044_2193
; %bb.2192:
	v_bfe_i32 v50, v87, 0, 16
	v_bfe_i32 v52, v193, 0, 16
	v_ashrrev_i32_e32 v51, 31, v50
	v_ashrrev_i32_e32 v53, 31, v52
	v_lshlrev_b64 v[50:51], 1, v[50:51]
	v_lshlrev_b64 v[52:53], 1, v[52:53]
	v_add_co_u32 v50, s8, v6, v50
	v_add_co_ci_u32_e64 v51, null, v7, v51, s8
	v_add_co_u32 v52, s8, v6, v52
	v_add_co_ci_u32_e64 v53, null, v7, v53, s8
	s_clause 0x1
	flat_load_ushort v50, v[50:51]
	flat_load_ushort v51, v[52:53]
	s_waitcnt vmcnt(0) lgkmcnt(0)
	v_cmp_ge_i16_e64 s8, v50, v51
	s_and_b32 s73, s8, exec_lo
.LBB1044_2193:
	s_or_b32 exec_lo, exec_lo, s62
	s_orn2_b32 s62, s73, exec_lo
.LBB1044_2194:
	s_or_b32 exec_lo, exec_lo, s72
	v_cndmask_b32_e64 v50, v48, v49, s62
	v_cndmask_b32_e64 v51, v180, v181, s62
	s_mov_b32 s72, exec_lo
	v_add_nc_u32_e32 v50, 1, v50
	v_add_nc_u32_e32 v51, -1, v51
	v_cndmask_b32_e64 v48, v50, v48, s62
	v_min_u32_e32 v51, v50, v51
	v_cndmask_b32_e64 v49, v49, v50, s62
	v_lshl_add_u32 v51, v51, 1, v178
	ds_read_u16 v51, v51
	s_waitcnt lgkmcnt(0)
	v_cndmask_b32_e64 v86, v51, v87, s62
	v_cndmask_b32_e64 v194, v193, v51, s62
	v_cmpx_lt_u32_e64 v48, v180
	s_cbranch_execz .LBB1044_2198
; %bb.2195:
	s_mov_b32 s73, 0
	s_mov_b32 s63, exec_lo
	v_cmpx_lt_u32_e64 v49, v181
	s_cbranch_execz .LBB1044_2197
; %bb.2196:
	v_bfe_i32 v50, v86, 0, 16
	v_bfe_i32 v52, v194, 0, 16
	v_ashrrev_i32_e32 v51, 31, v50
	v_ashrrev_i32_e32 v53, 31, v52
	v_lshlrev_b64 v[50:51], 1, v[50:51]
	v_lshlrev_b64 v[52:53], 1, v[52:53]
	v_add_co_u32 v50, s8, v6, v50
	v_add_co_ci_u32_e64 v51, null, v7, v51, s8
	v_add_co_u32 v52, s8, v6, v52
	v_add_co_ci_u32_e64 v53, null, v7, v53, s8
	s_clause 0x1
	flat_load_ushort v50, v[50:51]
	flat_load_ushort v51, v[52:53]
	s_waitcnt vmcnt(0) lgkmcnt(0)
	v_cmp_ge_i16_e64 s8, v50, v51
	s_and_b32 s73, s8, exec_lo
.LBB1044_2197:
	s_or_b32 exec_lo, exec_lo, s63
	s_orn2_b32 s63, s73, exec_lo
.LBB1044_2198:
	s_or_b32 exec_lo, exec_lo, s72
	v_cndmask_b32_e64 v50, v48, v49, s63
	v_cndmask_b32_e64 v51, v180, v181, s63
	s_mov_b32 s73, -1
	s_mov_b32 s72, -1
	s_mov_b32 s74, exec_lo
	v_add_nc_u32_e32 v50, 1, v50
	v_add_nc_u32_e32 v51, -1, v51
	v_cndmask_b32_e64 v48, v50, v48, s63
	v_min_u32_e32 v51, v50, v51
	v_cndmask_b32_e64 v49, v49, v50, s63
	v_lshl_add_u32 v51, v51, 1, v178
	ds_read_u16 v51, v51
	s_waitcnt lgkmcnt(0)
	v_cndmask_b32_e64 v85, v51, v86, s63
	v_cndmask_b32_e64 v195, v194, v51, s63
	v_cmpx_lt_u32_e64 v48, v180
	s_cbranch_execz .LBB1044_2202
; %bb.2199:
	s_mov_b32 s75, 0
	s_mov_b32 s72, exec_lo
	v_cmpx_lt_u32_e64 v49, v181
	s_cbranch_execz .LBB1044_2201
; %bb.2200:
	v_bfe_i32 v50, v85, 0, 16
	v_bfe_i32 v52, v195, 0, 16
	v_ashrrev_i32_e32 v51, 31, v50
	v_ashrrev_i32_e32 v53, 31, v52
	v_lshlrev_b64 v[50:51], 1, v[50:51]
	v_lshlrev_b64 v[52:53], 1, v[52:53]
	v_add_co_u32 v50, s8, v6, v50
	v_add_co_ci_u32_e64 v51, null, v7, v51, s8
	v_add_co_u32 v52, s8, v6, v52
	v_add_co_ci_u32_e64 v53, null, v7, v53, s8
	s_clause 0x1
	flat_load_ushort v50, v[50:51]
	flat_load_ushort v51, v[52:53]
	s_waitcnt vmcnt(0) lgkmcnt(0)
	v_cmp_ge_i16_e64 s8, v50, v51
	s_and_b32 s75, s8, exec_lo
.LBB1044_2201:
	s_or_b32 exec_lo, exec_lo, s72
	s_orn2_b32 s72, s75, exec_lo
.LBB1044_2202:
	s_or_b32 exec_lo, exec_lo, s74
	v_cndmask_b32_e64 v50, v48, v49, s72
	v_cndmask_b32_e64 v51, v180, v181, s72
	s_mov_b32 s74, exec_lo
	v_add_nc_u32_e32 v50, 1, v50
	v_add_nc_u32_e32 v51, -1, v51
	v_cndmask_b32_e64 v48, v50, v48, s72
	v_min_u32_e32 v51, v50, v51
	v_cndmask_b32_e64 v49, v49, v50, s72
	v_lshl_add_u32 v51, v51, 1, v178
	ds_read_u16 v51, v51
	s_waitcnt lgkmcnt(0)
	v_cndmask_b32_e64 v84, v51, v85, s72
	v_cndmask_b32_e64 v196, v195, v51, s72
	v_cmpx_lt_u32_e64 v48, v180
	s_cbranch_execz .LBB1044_2206
; %bb.2203:
	s_mov_b32 s75, 0
	s_mov_b32 s73, exec_lo
	v_cmpx_lt_u32_e64 v49, v181
	s_cbranch_execz .LBB1044_2205
; %bb.2204:
	v_bfe_i32 v50, v84, 0, 16
	v_bfe_i32 v52, v196, 0, 16
	v_ashrrev_i32_e32 v51, 31, v50
	v_ashrrev_i32_e32 v53, 31, v52
	v_lshlrev_b64 v[50:51], 1, v[50:51]
	v_lshlrev_b64 v[52:53], 1, v[52:53]
	v_add_co_u32 v50, s8, v6, v50
	v_add_co_ci_u32_e64 v51, null, v7, v51, s8
	v_add_co_u32 v52, s8, v6, v52
	v_add_co_ci_u32_e64 v53, null, v7, v53, s8
	s_clause 0x1
	flat_load_ushort v50, v[50:51]
	flat_load_ushort v51, v[52:53]
	s_waitcnt vmcnt(0) lgkmcnt(0)
	v_cmp_ge_i16_e64 s8, v50, v51
	s_and_b32 s75, s8, exec_lo
.LBB1044_2205:
	s_or_b32 exec_lo, exec_lo, s73
	s_orn2_b32 s73, s75, exec_lo
.LBB1044_2206:
	s_or_b32 exec_lo, exec_lo, s74
	v_cndmask_b32_e64 v50, v48, v49, s73
	v_cndmask_b32_e64 v51, v180, v181, s73
	s_mov_b32 s75, -1
	s_mov_b32 s74, -1
	s_mov_b32 s76, exec_lo
	v_add_nc_u32_e32 v50, 1, v50
	v_add_nc_u32_e32 v51, -1, v51
	v_cndmask_b32_e64 v48, v50, v48, s73
	v_min_u32_e32 v51, v50, v51
	v_cndmask_b32_e64 v49, v49, v50, s73
	v_lshl_add_u32 v51, v51, 1, v178
	ds_read_u16 v51, v51
	s_waitcnt lgkmcnt(0)
	v_cndmask_b32_e64 v83, v51, v84, s73
	v_cndmask_b32_e64 v197, v196, v51, s73
	v_cmpx_lt_u32_e64 v48, v180
	s_cbranch_execz .LBB1044_2210
; %bb.2207:
	s_mov_b32 s77, 0
	s_mov_b32 s74, exec_lo
	v_cmpx_lt_u32_e64 v49, v181
	s_cbranch_execz .LBB1044_2209
; %bb.2208:
	v_bfe_i32 v50, v83, 0, 16
	v_bfe_i32 v52, v197, 0, 16
	v_ashrrev_i32_e32 v51, 31, v50
	v_ashrrev_i32_e32 v53, 31, v52
	v_lshlrev_b64 v[50:51], 1, v[50:51]
	v_lshlrev_b64 v[52:53], 1, v[52:53]
	v_add_co_u32 v50, s8, v6, v50
	v_add_co_ci_u32_e64 v51, null, v7, v51, s8
	v_add_co_u32 v52, s8, v6, v52
	v_add_co_ci_u32_e64 v53, null, v7, v53, s8
	s_clause 0x1
	flat_load_ushort v50, v[50:51]
	flat_load_ushort v51, v[52:53]
	s_waitcnt vmcnt(0) lgkmcnt(0)
	v_cmp_ge_i16_e64 s8, v50, v51
	s_and_b32 s77, s8, exec_lo
.LBB1044_2209:
	s_or_b32 exec_lo, exec_lo, s74
	s_orn2_b32 s74, s77, exec_lo
.LBB1044_2210:
	s_or_b32 exec_lo, exec_lo, s76
	v_cndmask_b32_e64 v50, v48, v49, s74
	v_cndmask_b32_e64 v51, v180, v181, s74
	s_mov_b32 s76, exec_lo
	v_add_nc_u32_e32 v50, 1, v50
	v_add_nc_u32_e32 v51, -1, v51
	v_cndmask_b32_e64 v48, v50, v48, s74
	v_min_u32_e32 v51, v50, v51
	v_cndmask_b32_e64 v49, v49, v50, s74
	v_lshl_add_u32 v51, v51, 1, v178
	ds_read_u16 v51, v51
	s_waitcnt lgkmcnt(0)
	v_cndmask_b32_e64 v82, v51, v83, s74
	v_cndmask_b32_e64 v198, v197, v51, s74
	v_cmpx_lt_u32_e64 v48, v180
	s_cbranch_execz .LBB1044_2214
; %bb.2211:
	s_mov_b32 s77, 0
	s_mov_b32 s75, exec_lo
	v_cmpx_lt_u32_e64 v49, v181
	s_cbranch_execz .LBB1044_2213
; %bb.2212:
	v_bfe_i32 v50, v82, 0, 16
	v_bfe_i32 v52, v198, 0, 16
	v_ashrrev_i32_e32 v51, 31, v50
	v_ashrrev_i32_e32 v53, 31, v52
	v_lshlrev_b64 v[50:51], 1, v[50:51]
	v_lshlrev_b64 v[52:53], 1, v[52:53]
	v_add_co_u32 v50, s8, v6, v50
	v_add_co_ci_u32_e64 v51, null, v7, v51, s8
	v_add_co_u32 v52, s8, v6, v52
	v_add_co_ci_u32_e64 v53, null, v7, v53, s8
	s_clause 0x1
	flat_load_ushort v50, v[50:51]
	flat_load_ushort v51, v[52:53]
	s_waitcnt vmcnt(0) lgkmcnt(0)
	v_cmp_ge_i16_e64 s8, v50, v51
	s_and_b32 s77, s8, exec_lo
.LBB1044_2213:
	s_or_b32 exec_lo, exec_lo, s75
	s_orn2_b32 s75, s77, exec_lo
.LBB1044_2214:
	s_or_b32 exec_lo, exec_lo, s76
	v_cndmask_b32_e64 v50, v48, v49, s75
	v_cndmask_b32_e64 v51, v180, v181, s75
	s_mov_b32 s77, -1
	s_mov_b32 s76, -1
	s_mov_b32 s78, exec_lo
	v_add_nc_u32_e32 v50, 1, v50
	v_add_nc_u32_e32 v51, -1, v51
	v_cndmask_b32_e64 v48, v50, v48, s75
	v_min_u32_e32 v51, v50, v51
	v_cndmask_b32_e64 v49, v49, v50, s75
	v_lshl_add_u32 v51, v51, 1, v178
	ds_read_u16 v51, v51
	s_waitcnt lgkmcnt(0)
	v_cndmask_b32_e64 v81, v51, v82, s75
	v_cndmask_b32_e64 v199, v198, v51, s75
	v_cmpx_lt_u32_e64 v48, v180
	s_cbranch_execz .LBB1044_2218
; %bb.2215:
	s_mov_b32 s79, 0
	s_mov_b32 s76, exec_lo
	v_cmpx_lt_u32_e64 v49, v181
	s_cbranch_execz .LBB1044_2217
; %bb.2216:
	v_bfe_i32 v50, v81, 0, 16
	v_bfe_i32 v52, v199, 0, 16
	v_ashrrev_i32_e32 v51, 31, v50
	v_ashrrev_i32_e32 v53, 31, v52
	v_lshlrev_b64 v[50:51], 1, v[50:51]
	v_lshlrev_b64 v[52:53], 1, v[52:53]
	v_add_co_u32 v50, s8, v6, v50
	v_add_co_ci_u32_e64 v51, null, v7, v51, s8
	v_add_co_u32 v52, s8, v6, v52
	v_add_co_ci_u32_e64 v53, null, v7, v53, s8
	s_clause 0x1
	flat_load_ushort v50, v[50:51]
	flat_load_ushort v51, v[52:53]
	s_waitcnt vmcnt(0) lgkmcnt(0)
	v_cmp_ge_i16_e64 s8, v50, v51
	s_and_b32 s79, s8, exec_lo
.LBB1044_2217:
	s_or_b32 exec_lo, exec_lo, s76
	s_orn2_b32 s76, s79, exec_lo
.LBB1044_2218:
	s_or_b32 exec_lo, exec_lo, s78
	v_cndmask_b32_e64 v50, v48, v49, s76
	v_cndmask_b32_e64 v51, v180, v181, s76
	s_mov_b32 s78, exec_lo
	v_add_nc_u32_e32 v50, 1, v50
	v_add_nc_u32_e32 v51, -1, v51
	v_cndmask_b32_e64 v48, v50, v48, s76
	v_min_u32_e32 v51, v50, v51
	v_cndmask_b32_e64 v49, v49, v50, s76
	v_lshl_add_u32 v51, v51, 1, v178
	ds_read_u16 v51, v51
	s_waitcnt lgkmcnt(0)
	v_cndmask_b32_e64 v80, v51, v81, s76
	v_cndmask_b32_e64 v208, v199, v51, s76
	v_cmpx_lt_u32_e64 v48, v180
	s_cbranch_execz .LBB1044_2222
; %bb.2219:
	s_mov_b32 s79, 0
	s_mov_b32 s77, exec_lo
	v_cmpx_lt_u32_e64 v49, v181
	s_cbranch_execz .LBB1044_2221
; %bb.2220:
	v_bfe_i32 v50, v80, 0, 16
	v_bfe_i32 v52, v208, 0, 16
	v_ashrrev_i32_e32 v51, 31, v50
	v_ashrrev_i32_e32 v53, 31, v52
	v_lshlrev_b64 v[50:51], 1, v[50:51]
	v_lshlrev_b64 v[52:53], 1, v[52:53]
	v_add_co_u32 v50, s8, v6, v50
	v_add_co_ci_u32_e64 v51, null, v7, v51, s8
	v_add_co_u32 v52, s8, v6, v52
	v_add_co_ci_u32_e64 v53, null, v7, v53, s8
	s_clause 0x1
	flat_load_ushort v50, v[50:51]
	flat_load_ushort v51, v[52:53]
	s_waitcnt vmcnt(0) lgkmcnt(0)
	v_cmp_ge_i16_e64 s8, v50, v51
	s_and_b32 s79, s8, exec_lo
.LBB1044_2221:
	s_or_b32 exec_lo, exec_lo, s77
	s_orn2_b32 s77, s79, exec_lo
.LBB1044_2222:
	s_or_b32 exec_lo, exec_lo, s78
	v_cndmask_b32_e64 v50, v48, v49, s77
	v_cndmask_b32_e64 v51, v180, v181, s77
	s_mov_b32 s79, -1
	s_mov_b32 s78, -1
	s_mov_b32 s88, exec_lo
	v_add_nc_u32_e32 v50, 1, v50
	v_add_nc_u32_e32 v51, -1, v51
	v_cndmask_b32_e64 v48, v50, v48, s77
	v_min_u32_e32 v51, v50, v51
	v_cndmask_b32_e64 v49, v49, v50, s77
	v_lshl_add_u32 v51, v51, 1, v178
	ds_read_u16 v51, v51
	s_waitcnt lgkmcnt(0)
	v_cndmask_b32_e64 v71, v51, v80, s77
	v_cndmask_b32_e64 v209, v208, v51, s77
	v_cmpx_lt_u32_e64 v48, v180
	s_cbranch_execz .LBB1044_2226
; %bb.2223:
	s_mov_b32 s89, 0
	s_mov_b32 s78, exec_lo
	v_cmpx_lt_u32_e64 v49, v181
	s_cbranch_execz .LBB1044_2225
; %bb.2224:
	v_bfe_i32 v50, v71, 0, 16
	v_bfe_i32 v52, v209, 0, 16
	v_ashrrev_i32_e32 v51, 31, v50
	v_ashrrev_i32_e32 v53, 31, v52
	v_lshlrev_b64 v[50:51], 1, v[50:51]
	v_lshlrev_b64 v[52:53], 1, v[52:53]
	v_add_co_u32 v50, s8, v6, v50
	v_add_co_ci_u32_e64 v51, null, v7, v51, s8
	v_add_co_u32 v52, s8, v6, v52
	v_add_co_ci_u32_e64 v53, null, v7, v53, s8
	s_clause 0x1
	flat_load_ushort v50, v[50:51]
	flat_load_ushort v51, v[52:53]
	s_waitcnt vmcnt(0) lgkmcnt(0)
	v_cmp_ge_i16_e64 s8, v50, v51
	s_and_b32 s89, s8, exec_lo
.LBB1044_2225:
	s_or_b32 exec_lo, exec_lo, s78
	s_orn2_b32 s78, s89, exec_lo
.LBB1044_2226:
	s_or_b32 exec_lo, exec_lo, s88
	v_cndmask_b32_e64 v50, v48, v49, s78
	v_cndmask_b32_e64 v51, v180, v181, s78
	s_mov_b32 s88, exec_lo
	v_add_nc_u32_e32 v50, 1, v50
	v_add_nc_u32_e32 v51, -1, v51
	v_cndmask_b32_e64 v48, v50, v48, s78
	v_min_u32_e32 v51, v50, v51
	v_cndmask_b32_e64 v49, v49, v50, s78
	v_lshl_add_u32 v51, v51, 1, v178
	ds_read_u16 v51, v51
	s_waitcnt lgkmcnt(0)
	v_cndmask_b32_e64 v70, v51, v71, s78
	v_cndmask_b32_e64 v210, v209, v51, s78
	v_cmpx_lt_u32_e64 v48, v180
	s_cbranch_execz .LBB1044_2230
; %bb.2227:
	s_mov_b32 s89, 0
	s_mov_b32 s79, exec_lo
	v_cmpx_lt_u32_e64 v49, v181
	s_cbranch_execz .LBB1044_2229
; %bb.2228:
	v_bfe_i32 v50, v70, 0, 16
	v_bfe_i32 v52, v210, 0, 16
	v_ashrrev_i32_e32 v51, 31, v50
	v_ashrrev_i32_e32 v53, 31, v52
	v_lshlrev_b64 v[50:51], 1, v[50:51]
	v_lshlrev_b64 v[52:53], 1, v[52:53]
	v_add_co_u32 v50, s8, v6, v50
	v_add_co_ci_u32_e64 v51, null, v7, v51, s8
	v_add_co_u32 v52, s8, v6, v52
	v_add_co_ci_u32_e64 v53, null, v7, v53, s8
	s_clause 0x1
	flat_load_ushort v50, v[50:51]
	flat_load_ushort v51, v[52:53]
	s_waitcnt vmcnt(0) lgkmcnt(0)
	v_cmp_ge_i16_e64 s8, v50, v51
	s_and_b32 s89, s8, exec_lo
.LBB1044_2229:
	s_or_b32 exec_lo, exec_lo, s79
	s_orn2_b32 s79, s89, exec_lo
.LBB1044_2230:
	s_or_b32 exec_lo, exec_lo, s88
	v_cndmask_b32_e64 v50, v48, v49, s79
	v_cndmask_b32_e64 v51, v180, v181, s79
	s_mov_b32 s89, -1
	s_mov_b32 s88, -1
	s_mov_b32 s90, exec_lo
	v_add_nc_u32_e32 v50, 1, v50
	v_add_nc_u32_e32 v51, -1, v51
	v_cndmask_b32_e64 v48, v50, v48, s79
	v_min_u32_e32 v51, v50, v51
	v_cndmask_b32_e64 v49, v49, v50, s79
	v_lshl_add_u32 v51, v51, 1, v178
	ds_read_u16 v51, v51
	s_waitcnt lgkmcnt(0)
	v_cndmask_b32_e64 v69, v51, v70, s79
	v_cndmask_b32_e64 v211, v210, v51, s79
	v_cmpx_lt_u32_e64 v48, v180
	s_cbranch_execz .LBB1044_2234
; %bb.2231:
	s_mov_b32 s91, 0
	s_mov_b32 s88, exec_lo
	v_cmpx_lt_u32_e64 v49, v181
	s_cbranch_execz .LBB1044_2233
; %bb.2232:
	v_bfe_i32 v50, v69, 0, 16
	v_bfe_i32 v52, v211, 0, 16
	v_ashrrev_i32_e32 v51, 31, v50
	v_ashrrev_i32_e32 v53, 31, v52
	v_lshlrev_b64 v[50:51], 1, v[50:51]
	v_lshlrev_b64 v[52:53], 1, v[52:53]
	v_add_co_u32 v50, s8, v6, v50
	v_add_co_ci_u32_e64 v51, null, v7, v51, s8
	v_add_co_u32 v52, s8, v6, v52
	v_add_co_ci_u32_e64 v53, null, v7, v53, s8
	s_clause 0x1
	flat_load_ushort v50, v[50:51]
	flat_load_ushort v51, v[52:53]
	s_waitcnt vmcnt(0) lgkmcnt(0)
	v_cmp_ge_i16_e64 s8, v50, v51
	s_and_b32 s91, s8, exec_lo
.LBB1044_2233:
	s_or_b32 exec_lo, exec_lo, s88
	s_orn2_b32 s88, s91, exec_lo
.LBB1044_2234:
	s_or_b32 exec_lo, exec_lo, s90
	v_cndmask_b32_e64 v50, v48, v49, s88
	v_cndmask_b32_e64 v51, v180, v181, s88
	s_mov_b32 s90, exec_lo
	v_add_nc_u32_e32 v50, 1, v50
	v_add_nc_u32_e32 v51, -1, v51
	v_cndmask_b32_e64 v48, v50, v48, s88
	v_min_u32_e32 v51, v50, v51
	v_cndmask_b32_e64 v49, v49, v50, s88
	v_lshl_add_u32 v51, v51, 1, v178
	ds_read_u16 v51, v51
	s_waitcnt lgkmcnt(0)
	v_cndmask_b32_e64 v68, v51, v69, s88
	v_cndmask_b32_e64 v212, v211, v51, s88
	v_cmpx_lt_u32_e64 v48, v180
	s_cbranch_execz .LBB1044_2238
; %bb.2235:
	s_mov_b32 s91, 0
	s_mov_b32 s89, exec_lo
	v_cmpx_lt_u32_e64 v49, v181
	s_cbranch_execz .LBB1044_2237
; %bb.2236:
	v_bfe_i32 v50, v68, 0, 16
	v_bfe_i32 v52, v212, 0, 16
	v_ashrrev_i32_e32 v51, 31, v50
	v_ashrrev_i32_e32 v53, 31, v52
	v_lshlrev_b64 v[50:51], 1, v[50:51]
	v_lshlrev_b64 v[52:53], 1, v[52:53]
	v_add_co_u32 v50, s8, v6, v50
	v_add_co_ci_u32_e64 v51, null, v7, v51, s8
	v_add_co_u32 v52, s8, v6, v52
	v_add_co_ci_u32_e64 v53, null, v7, v53, s8
	s_clause 0x1
	flat_load_ushort v50, v[50:51]
	flat_load_ushort v51, v[52:53]
	s_waitcnt vmcnt(0) lgkmcnt(0)
	v_cmp_ge_i16_e64 s8, v50, v51
	s_and_b32 s91, s8, exec_lo
.LBB1044_2237:
	s_or_b32 exec_lo, exec_lo, s89
	s_orn2_b32 s89, s91, exec_lo
.LBB1044_2238:
	s_or_b32 exec_lo, exec_lo, s90
	v_cndmask_b32_e64 v50, v48, v49, s89
	v_cndmask_b32_e64 v51, v180, v181, s89
	s_mov_b32 s91, -1
	s_mov_b32 s90, -1
	s_mov_b32 s92, exec_lo
	v_add_nc_u32_e32 v50, 1, v50
	v_add_nc_u32_e32 v51, -1, v51
	v_cndmask_b32_e64 v48, v50, v48, s89
	v_min_u32_e32 v51, v50, v51
	v_cndmask_b32_e64 v49, v49, v50, s89
	v_lshl_add_u32 v51, v51, 1, v178
	ds_read_u16 v51, v51
	s_waitcnt lgkmcnt(0)
	v_cndmask_b32_e64 v67, v51, v68, s89
	v_cndmask_b32_e64 v213, v212, v51, s89
	v_cmpx_lt_u32_e64 v48, v180
	s_cbranch_execz .LBB1044_2242
; %bb.2239:
	s_mov_b32 s93, 0
	s_mov_b32 s90, exec_lo
	v_cmpx_lt_u32_e64 v49, v181
	s_cbranch_execz .LBB1044_2241
; %bb.2240:
	v_bfe_i32 v50, v67, 0, 16
	v_bfe_i32 v52, v213, 0, 16
	v_ashrrev_i32_e32 v51, 31, v50
	v_ashrrev_i32_e32 v53, 31, v52
	v_lshlrev_b64 v[50:51], 1, v[50:51]
	v_lshlrev_b64 v[52:53], 1, v[52:53]
	v_add_co_u32 v50, s8, v6, v50
	v_add_co_ci_u32_e64 v51, null, v7, v51, s8
	v_add_co_u32 v52, s8, v6, v52
	v_add_co_ci_u32_e64 v53, null, v7, v53, s8
	s_clause 0x1
	flat_load_ushort v50, v[50:51]
	flat_load_ushort v51, v[52:53]
	s_waitcnt vmcnt(0) lgkmcnt(0)
	v_cmp_ge_i16_e64 s8, v50, v51
	s_and_b32 s93, s8, exec_lo
.LBB1044_2241:
	s_or_b32 exec_lo, exec_lo, s90
	s_orn2_b32 s90, s93, exec_lo
.LBB1044_2242:
	s_or_b32 exec_lo, exec_lo, s92
	v_cndmask_b32_e64 v50, v48, v49, s90
	v_cndmask_b32_e64 v51, v180, v181, s90
	s_mov_b32 s92, exec_lo
	v_add_nc_u32_e32 v50, 1, v50
	v_add_nc_u32_e32 v51, -1, v51
	v_cndmask_b32_e64 v48, v50, v48, s90
	v_min_u32_e32 v51, v50, v51
	v_cndmask_b32_e64 v49, v49, v50, s90
	v_lshl_add_u32 v51, v51, 1, v178
	ds_read_u16 v51, v51
	s_waitcnt lgkmcnt(0)
	v_cndmask_b32_e64 v66, v51, v67, s90
	v_cndmask_b32_e64 v214, v213, v51, s90
	v_cmpx_lt_u32_e64 v48, v180
	s_cbranch_execz .LBB1044_2246
; %bb.2243:
	s_mov_b32 s93, 0
	s_mov_b32 s91, exec_lo
	v_cmpx_lt_u32_e64 v49, v181
	s_cbranch_execz .LBB1044_2245
; %bb.2244:
	v_bfe_i32 v50, v66, 0, 16
	v_bfe_i32 v52, v214, 0, 16
	v_ashrrev_i32_e32 v51, 31, v50
	v_ashrrev_i32_e32 v53, 31, v52
	v_lshlrev_b64 v[50:51], 1, v[50:51]
	v_lshlrev_b64 v[52:53], 1, v[52:53]
	v_add_co_u32 v50, s8, v6, v50
	v_add_co_ci_u32_e64 v51, null, v7, v51, s8
	v_add_co_u32 v52, s8, v6, v52
	v_add_co_ci_u32_e64 v53, null, v7, v53, s8
	s_clause 0x1
	flat_load_ushort v50, v[50:51]
	flat_load_ushort v51, v[52:53]
	s_waitcnt vmcnt(0) lgkmcnt(0)
	v_cmp_ge_i16_e64 s8, v50, v51
	s_and_b32 s93, s8, exec_lo
.LBB1044_2245:
	s_or_b32 exec_lo, exec_lo, s91
	s_orn2_b32 s91, s93, exec_lo
.LBB1044_2246:
	s_or_b32 exec_lo, exec_lo, s92
	v_cndmask_b32_e64 v50, v48, v49, s91
	v_cndmask_b32_e64 v51, v180, v181, s91
	s_mov_b32 s93, -1
	s_mov_b32 s92, -1
	s_mov_b32 s94, exec_lo
	v_add_nc_u32_e32 v50, 1, v50
	v_add_nc_u32_e32 v51, -1, v51
	v_cndmask_b32_e64 v48, v50, v48, s91
	v_min_u32_e32 v51, v50, v51
	v_cndmask_b32_e64 v49, v49, v50, s91
	v_lshl_add_u32 v51, v51, 1, v178
	ds_read_u16 v51, v51
	s_waitcnt lgkmcnt(0)
	v_cndmask_b32_e64 v65, v51, v66, s91
	v_cndmask_b32_e64 v215, v214, v51, s91
	v_cmpx_lt_u32_e64 v48, v180
	s_cbranch_execz .LBB1044_2250
; %bb.2247:
	s_mov_b32 s95, 0
	s_mov_b32 s92, exec_lo
	v_cmpx_lt_u32_e64 v49, v181
	s_cbranch_execz .LBB1044_2249
; %bb.2248:
	v_bfe_i32 v50, v65, 0, 16
	v_bfe_i32 v52, v215, 0, 16
	v_ashrrev_i32_e32 v51, 31, v50
	v_ashrrev_i32_e32 v53, 31, v52
	v_lshlrev_b64 v[50:51], 1, v[50:51]
	v_lshlrev_b64 v[52:53], 1, v[52:53]
	v_add_co_u32 v50, s8, v6, v50
	v_add_co_ci_u32_e64 v51, null, v7, v51, s8
	v_add_co_u32 v52, s8, v6, v52
	v_add_co_ci_u32_e64 v53, null, v7, v53, s8
	s_clause 0x1
	flat_load_ushort v50, v[50:51]
	flat_load_ushort v51, v[52:53]
	s_waitcnt vmcnt(0) lgkmcnt(0)
	v_cmp_ge_i16_e64 s8, v50, v51
	s_and_b32 s95, s8, exec_lo
.LBB1044_2249:
	s_or_b32 exec_lo, exec_lo, s92
	s_orn2_b32 s92, s95, exec_lo
.LBB1044_2250:
	s_or_b32 exec_lo, exec_lo, s94
	v_cndmask_b32_e64 v50, v48, v49, s92
	v_cndmask_b32_e64 v51, v180, v181, s92
	s_mov_b32 s94, exec_lo
	v_add_nc_u32_e32 v50, 1, v50
	v_add_nc_u32_e32 v51, -1, v51
	v_cndmask_b32_e64 v48, v50, v48, s92
	v_min_u32_e32 v51, v50, v51
	v_cndmask_b32_e64 v49, v49, v50, s92
	v_lshl_add_u32 v51, v51, 1, v178
	ds_read_u16 v51, v51
	s_waitcnt lgkmcnt(0)
	v_cndmask_b32_e64 v55, v51, v65, s92
	v_cndmask_b32_e64 v224, v215, v51, s92
	v_cmpx_lt_u32_e64 v48, v180
	s_cbranch_execz .LBB1044_2254
; %bb.2251:
	s_mov_b32 s95, 0
	s_mov_b32 s93, exec_lo
	v_cmpx_lt_u32_e64 v49, v181
	s_cbranch_execz .LBB1044_2253
; %bb.2252:
	v_bfe_i32 v50, v55, 0, 16
	v_bfe_i32 v52, v224, 0, 16
	v_ashrrev_i32_e32 v51, 31, v50
	v_ashrrev_i32_e32 v53, 31, v52
	v_lshlrev_b64 v[50:51], 1, v[50:51]
	v_lshlrev_b64 v[52:53], 1, v[52:53]
	v_add_co_u32 v50, s8, v6, v50
	v_add_co_ci_u32_e64 v51, null, v7, v51, s8
	v_add_co_u32 v52, s8, v6, v52
	v_add_co_ci_u32_e64 v53, null, v7, v53, s8
	s_clause 0x1
	flat_load_ushort v50, v[50:51]
	flat_load_ushort v51, v[52:53]
	s_waitcnt vmcnt(0) lgkmcnt(0)
	v_cmp_ge_i16_e64 s8, v50, v51
	s_and_b32 s95, s8, exec_lo
.LBB1044_2253:
	s_or_b32 exec_lo, exec_lo, s93
	s_orn2_b32 s93, s95, exec_lo
.LBB1044_2254:
	s_or_b32 exec_lo, exec_lo, s94
	v_cndmask_b32_e64 v50, v48, v49, s93
	v_cndmask_b32_e64 v51, v180, v181, s93
	s_mov_b32 s95, -1
	s_mov_b32 s94, -1
	s_mov_b32 vcc_hi, exec_lo
	v_add_nc_u32_e32 v50, 1, v50
	v_add_nc_u32_e32 v51, -1, v51
	v_cndmask_b32_e64 v48, v50, v48, s93
	v_min_u32_e32 v51, v50, v51
	v_cndmask_b32_e64 v49, v49, v50, s93
	v_lshl_add_u32 v51, v51, 1, v178
	ds_read_u16 v51, v51
	s_waitcnt lgkmcnt(0)
	v_cndmask_b32_e64 v54, v51, v55, s93
	v_cndmask_b32_e64 v225, v224, v51, s93
	v_cmpx_lt_u32_e64 v48, v180
	s_cbranch_execz .LBB1044_2258
; %bb.2255:
	s_mov_b32 s30, 0
	s_mov_b32 s94, exec_lo
	v_cmpx_lt_u32_e64 v49, v181
	s_cbranch_execz .LBB1044_2257
; %bb.2256:
	v_bfe_i32 v50, v54, 0, 16
	v_bfe_i32 v52, v225, 0, 16
	v_ashrrev_i32_e32 v51, 31, v50
	v_ashrrev_i32_e32 v53, 31, v52
	v_lshlrev_b64 v[50:51], 1, v[50:51]
	v_lshlrev_b64 v[52:53], 1, v[52:53]
	v_add_co_u32 v50, s8, v6, v50
	v_add_co_ci_u32_e64 v51, null, v7, v51, s8
	v_add_co_u32 v52, s8, v6, v52
	v_add_co_ci_u32_e64 v53, null, v7, v53, s8
	s_clause 0x1
	flat_load_ushort v50, v[50:51]
	flat_load_ushort v51, v[52:53]
	s_waitcnt vmcnt(0) lgkmcnt(0)
	v_cmp_ge_i16_e64 s8, v50, v51
	s_and_b32 s30, s8, exec_lo
.LBB1044_2257:
	s_or_b32 exec_lo, exec_lo, s94
	s_orn2_b32 s94, s30, exec_lo
.LBB1044_2258:
	s_or_b32 exec_lo, exec_lo, vcc_hi
	v_cndmask_b32_e64 v50, v48, v49, s94
	v_cndmask_b32_e64 v51, v180, v181, s94
	s_mov_b32 vcc_hi, exec_lo
	v_add_nc_u32_e32 v50, 1, v50
	v_add_nc_u32_e32 v51, -1, v51
	v_cndmask_b32_e64 v48, v50, v48, s94
	v_min_u32_e32 v51, v50, v51
	v_cndmask_b32_e64 v49, v49, v50, s94
	v_lshl_add_u32 v51, v51, 1, v178
	ds_read_u16 v51, v51
	s_waitcnt lgkmcnt(0)
	v_cndmask_b32_e64 v53, v51, v54, s94
	v_cndmask_b32_e64 v226, v225, v51, s94
	v_cmpx_lt_u32_e64 v48, v180
	s_cbranch_execz .LBB1044_2262
; %bb.2259:
	s_mov_b32 s30, 0
	s_mov_b32 s95, exec_lo
	v_cmpx_lt_u32_e64 v49, v181
	s_cbranch_execz .LBB1044_2261
; %bb.2260:
	v_bfe_i32 v50, v53, 0, 16
	v_bfe_i32 v227, v226, 0, 16
	v_ashrrev_i32_e32 v51, 31, v50
	v_ashrrev_i32_e32 v228, 31, v227
	v_lshlrev_b64 v[50:51], 1, v[50:51]
	v_lshlrev_b64 v[227:228], 1, v[227:228]
	v_add_co_u32 v50, s8, v6, v50
	v_add_co_ci_u32_e64 v51, null, v7, v51, s8
	v_add_co_u32 v227, s8, v6, v227
	v_add_co_ci_u32_e64 v228, null, v7, v228, s8
	s_clause 0x1
	flat_load_ushort v50, v[50:51]
	flat_load_ushort v51, v[227:228]
	s_waitcnt vmcnt(0) lgkmcnt(0)
	v_cmp_ge_i16_e64 s8, v50, v51
	s_and_b32 s30, s8, exec_lo
.LBB1044_2261:
	s_or_b32 exec_lo, exec_lo, s95
	s_orn2_b32 s95, s30, exec_lo
.LBB1044_2262:
	s_or_b32 exec_lo, exec_lo, vcc_hi
	v_cndmask_b32_e64 v50, v48, v49, s95
	v_cndmask_b32_e64 v51, v180, v181, s95
	s_mov_b32 s30, -1
	s_mov_b32 vcc_hi, -1
	s_mov_b32 s31, exec_lo
	v_add_nc_u32_e32 v50, 1, v50
	v_add_nc_u32_e32 v51, -1, v51
	v_cndmask_b32_e64 v48, v50, v48, s95
	v_min_u32_e32 v51, v50, v51
	v_cndmask_b32_e64 v49, v49, v50, s95
	v_lshl_add_u32 v51, v51, 1, v178
	ds_read_u16 v51, v51
	s_waitcnt lgkmcnt(0)
	v_cndmask_b32_e64 v64, v51, v53, s95
	v_cndmask_b32_e64 v227, v226, v51, s95
	v_cmpx_lt_u32_e64 v48, v180
	s_cbranch_execz .LBB1044_2266
; %bb.2263:
	s_mov_b32 s34, 0
	s_mov_b32 vcc_hi, exec_lo
	v_cmpx_lt_u32_e64 v49, v181
	s_cbranch_execz .LBB1044_2265
; %bb.2264:
	v_bfe_i32 v50, v64, 0, 16
	v_bfe_i32 v228, v227, 0, 16
	v_ashrrev_i32_e32 v51, 31, v50
	v_ashrrev_i32_e32 v229, 31, v228
	v_lshlrev_b64 v[50:51], 1, v[50:51]
	v_lshlrev_b64 v[228:229], 1, v[228:229]
	v_add_co_u32 v50, s8, v6, v50
	v_add_co_ci_u32_e64 v51, null, v7, v51, s8
	v_add_co_u32 v228, s8, v6, v228
	v_add_co_ci_u32_e64 v229, null, v7, v229, s8
	s_clause 0x1
	flat_load_ushort v50, v[50:51]
	flat_load_ushort v51, v[228:229]
	s_waitcnt vmcnt(0) lgkmcnt(0)
	v_cmp_ge_i16_e64 s8, v50, v51
	s_and_b32 s34, s8, exec_lo
.LBB1044_2265:
	s_or_b32 exec_lo, exec_lo, vcc_hi
	s_orn2_b32 vcc_hi, s34, exec_lo
.LBB1044_2266:
	s_or_b32 exec_lo, exec_lo, s31
	v_cndmask_b32_e64 v50, v48, v49, vcc_hi
	v_cndmask_b32_e64 v51, v180, v181, vcc_hi
	s_mov_b32 s31, exec_lo
	v_add_nc_u32_e32 v50, 1, v50
	v_add_nc_u32_e32 v51, -1, v51
	v_cndmask_b32_e64 v48, v50, v48, vcc_hi
	v_min_u32_e32 v51, v50, v51
	v_cndmask_b32_e64 v49, v49, v50, vcc_hi
	v_lshl_add_u32 v51, v51, 1, v178
	ds_read_u16 v51, v51
	s_waitcnt lgkmcnt(0)
	v_cndmask_b32_e64 v52, v51, v64, vcc_hi
	v_cndmask_b32_e64 v228, v227, v51, vcc_hi
	v_cmpx_lt_u32_e64 v48, v180
	s_cbranch_execz .LBB1044_2270
; %bb.2267:
	s_mov_b32 s34, 0
	s_mov_b32 s30, exec_lo
	v_cmpx_lt_u32_e64 v49, v181
	s_cbranch_execz .LBB1044_2269
; %bb.2268:
	v_bfe_i32 v50, v52, 0, 16
	v_bfe_i32 v229, v228, 0, 16
	v_ashrrev_i32_e32 v51, 31, v50
	v_ashrrev_i32_e32 v230, 31, v229
	v_lshlrev_b64 v[50:51], 1, v[50:51]
	v_lshlrev_b64 v[229:230], 1, v[229:230]
	v_add_co_u32 v50, s8, v6, v50
	v_add_co_ci_u32_e64 v51, null, v7, v51, s8
	v_add_co_u32 v229, s8, v6, v229
	v_add_co_ci_u32_e64 v230, null, v7, v230, s8
	s_clause 0x1
	flat_load_ushort v50, v[50:51]
	flat_load_ushort v51, v[229:230]
	s_waitcnt vmcnt(0) lgkmcnt(0)
	v_cmp_ge_i16_e64 s8, v50, v51
	s_and_b32 s34, s8, exec_lo
.LBB1044_2269:
	s_or_b32 exec_lo, exec_lo, s30
	s_orn2_b32 s30, s34, exec_lo
.LBB1044_2270:
	s_or_b32 exec_lo, exec_lo, s31
	v_cndmask_b32_e64 v50, v48, v49, s30
	v_cndmask_b32_e64 v51, v180, v181, s30
	s_mov_b32 s34, -1
	s_mov_b32 s31, -1
	s_mov_b32 s35, exec_lo
	v_add_nc_u32_e32 v50, 1, v50
	v_add_nc_u32_e32 v51, -1, v51
	v_cndmask_b32_e64 v48, v50, v48, s30
	v_min_u32_e32 v51, v50, v51
	v_cndmask_b32_e64 v49, v49, v50, s30
	v_lshl_add_u32 v51, v51, 1, v178
	ds_read_u16 v229, v51
	s_waitcnt lgkmcnt(0)
	v_cndmask_b32_e64 v51, v229, v52, s30
	v_cndmask_b32_e64 v229, v228, v229, s30
	v_cmpx_lt_u32_e64 v48, v180
	s_cbranch_execz .LBB1044_2274
; %bb.2271:
	s_mov_b32 s38, 0
	s_mov_b32 s31, exec_lo
	v_cmpx_lt_u32_e64 v49, v181
	s_cbranch_execz .LBB1044_2273
; %bb.2272:
	v_bfe_i32 v230, v51, 0, 16
	v_bfe_i32 v240, v229, 0, 16
	v_ashrrev_i32_e32 v231, 31, v230
	v_ashrrev_i32_e32 v241, 31, v240
	v_lshlrev_b64 v[230:231], 1, v[230:231]
	v_lshlrev_b64 v[240:241], 1, v[240:241]
	v_add_co_u32 v230, s8, v6, v230
	v_add_co_ci_u32_e64 v231, null, v7, v231, s8
	v_add_co_u32 v240, s8, v6, v240
	v_add_co_ci_u32_e64 v241, null, v7, v241, s8
	s_clause 0x1
	flat_load_ushort v50, v[230:231]
	flat_load_ushort v230, v[240:241]
	s_waitcnt vmcnt(0) lgkmcnt(0)
	v_cmp_ge_i16_e64 s8, v50, v230
	s_and_b32 s38, s8, exec_lo
.LBB1044_2273:
	s_or_b32 exec_lo, exec_lo, s31
	s_orn2_b32 s31, s38, exec_lo
.LBB1044_2274:
	s_or_b32 exec_lo, exec_lo, s35
	v_cndmask_b32_e64 v50, v48, v49, s31
	v_cndmask_b32_e64 v230, v180, v181, s31
	s_mov_b32 s35, exec_lo
	v_add_nc_u32_e32 v50, 1, v50
	v_add_nc_u32_e32 v230, -1, v230
	v_cndmask_b32_e64 v48, v50, v48, s31
	v_min_u32_e32 v230, v50, v230
	v_cndmask_b32_e64 v49, v49, v50, s31
	v_lshl_add_u32 v230, v230, 1, v178
	ds_read_u16 v230, v230
	s_waitcnt lgkmcnt(0)
	v_cndmask_b32_e64 v50, v230, v51, s31
	v_cndmask_b32_e64 v230, v229, v230, s31
	v_cmpx_lt_u32_e64 v48, v180
	s_cbranch_execz .LBB1044_2278
; %bb.2275:
	s_mov_b32 s38, 0
	s_mov_b32 s34, exec_lo
	v_cmpx_lt_u32_e64 v49, v181
	s_cbranch_execz .LBB1044_2277
; %bb.2276:
	v_bfe_i32 v240, v50, 0, 16
	v_bfe_i32 v242, v230, 0, 16
	v_ashrrev_i32_e32 v241, 31, v240
	v_ashrrev_i32_e32 v243, 31, v242
	v_lshlrev_b64 v[240:241], 1, v[240:241]
	v_lshlrev_b64 v[242:243], 1, v[242:243]
	v_add_co_u32 v240, s8, v6, v240
	v_add_co_ci_u32_e64 v241, null, v7, v241, s8
	v_add_co_u32 v242, s8, v6, v242
	v_add_co_ci_u32_e64 v243, null, v7, v243, s8
	s_clause 0x1
	flat_load_ushort v231, v[240:241]
	flat_load_ushort v240, v[242:243]
	s_waitcnt vmcnt(0) lgkmcnt(0)
	v_cmp_ge_i16_e64 s8, v231, v240
	s_and_b32 s38, s8, exec_lo
.LBB1044_2277:
	s_or_b32 exec_lo, exec_lo, s34
	s_orn2_b32 s34, s38, exec_lo
.LBB1044_2278:
	s_or_b32 exec_lo, exec_lo, s35
	v_cndmask_b32_e64 v231, v48, v49, s34
	v_cndmask_b32_e64 v240, v180, v181, s34
	s_mov_b32 s35, -1
	s_mov_b32 s38, -1
	s_mov_b32 s39, exec_lo
	v_add_nc_u32_e32 v231, 1, v231
	v_add_nc_u32_e32 v240, -1, v240
	v_cndmask_b32_e64 v48, v231, v48, s34
	v_min_u32_e32 v240, v231, v240
	v_lshl_add_u32 v240, v240, 1, v178
	ds_read_u16 v241, v240
	v_cndmask_b32_e64 v240, v49, v231, s34
	s_waitcnt lgkmcnt(0)
	v_cndmask_b32_e64 v49, v241, v50, s34
	v_cndmask_b32_e64 v231, v230, v241, s34
	v_cmpx_lt_u32_e64 v48, v180
	s_cbranch_execz .LBB1044_2282
; %bb.2279:
	s_mov_b32 s48, 0
	s_mov_b32 s38, exec_lo
	v_cmpx_lt_u32_e64 v240, v181
	s_cbranch_execz .LBB1044_2281
; %bb.2280:
	v_bfe_i32 v241, v49, 0, 16
	v_bfe_i32 v243, v231, 0, 16
	v_ashrrev_i32_e32 v242, 31, v241
	v_ashrrev_i32_e32 v244, 31, v243
	v_lshlrev_b64 v[241:242], 1, v[241:242]
	v_lshlrev_b64 v[243:244], 1, v[243:244]
	v_add_co_u32 v241, s8, v6, v241
	v_add_co_ci_u32_e64 v242, null, v7, v242, s8
	v_add_co_u32 v243, s8, v6, v243
	v_add_co_ci_u32_e64 v244, null, v7, v244, s8
	s_clause 0x1
	flat_load_ushort v241, v[241:242]
	flat_load_ushort v242, v[243:244]
	s_waitcnt vmcnt(0) lgkmcnt(0)
	v_cmp_ge_i16_e64 s8, v241, v242
	s_and_b32 s48, s8, exec_lo
.LBB1044_2281:
	s_or_b32 exec_lo, exec_lo, s38
	s_orn2_b32 s38, s48, exec_lo
.LBB1044_2282:
	s_or_b32 exec_lo, exec_lo, s39
	v_cndmask_b32_e64 v241, v48, v240, s38
	v_cndmask_b32_e64 v242, v180, v181, s38
	s_mov_b32 s39, exec_lo
	v_add_nc_u32_e32 v241, 1, v241
	v_add_nc_u32_e32 v242, -1, v242
	v_cndmask_b32_e64 v48, v241, v48, s38
	v_min_u32_e32 v242, v241, v242
	v_lshl_add_u32 v242, v242, 1, v178
	ds_read_u16 v243, v242
	v_cndmask_b32_e64 v242, v240, v241, s38
	s_waitcnt lgkmcnt(0)
	v_cndmask_b32_e64 v240, v243, v49, s38
	v_cndmask_b32_e64 v241, v231, v243, s38
	v_cmpx_lt_u32_e64 v48, v180
	s_cbranch_execz .LBB1044_2286
; %bb.2283:
	s_mov_b32 s48, 0
	s_mov_b32 s35, exec_lo
	v_cmpx_lt_u32_e64 v242, v181
	s_cbranch_execz .LBB1044_2285
; %bb.2284:
	v_bfe_i32 v243, v240, 0, 16
	v_bfe_i32 v245, v241, 0, 16
	v_ashrrev_i32_e32 v244, 31, v243
	v_ashrrev_i32_e32 v246, 31, v245
	v_lshlrev_b64 v[243:244], 1, v[243:244]
	v_lshlrev_b64 v[245:246], 1, v[245:246]
	v_add_co_u32 v243, s8, v6, v243
	v_add_co_ci_u32_e64 v244, null, v7, v244, s8
	v_add_co_u32 v245, s8, v6, v245
	v_add_co_ci_u32_e64 v246, null, v7, v246, s8
	s_clause 0x1
	flat_load_ushort v243, v[243:244]
	flat_load_ushort v244, v[245:246]
	s_waitcnt vmcnt(0) lgkmcnt(0)
	v_cmp_ge_i16_e64 s8, v243, v244
	s_and_b32 s48, s8, exec_lo
.LBB1044_2285:
	s_or_b32 exec_lo, exec_lo, s35
	s_orn2_b32 s35, s48, exec_lo
.LBB1044_2286:
	s_or_b32 exec_lo, exec_lo, s39
	v_cndmask_b32_e64 v243, v48, v242, s35
	v_cndmask_b32_e64 v244, v180, v181, s35
	s_mov_b32 s39, exec_lo
	v_add_nc_u32_e32 v243, 1, v243
	v_add_nc_u32_e32 v244, -1, v244
	v_min_u32_e32 v244, v243, v244
	v_lshl_add_u32 v178, v244, 1, v178
	v_cndmask_b32_e64 v244, v243, v48, s35
	ds_read_u16 v178, v178
	s_waitcnt lgkmcnt(0)
	v_cndmask_b32_e64 v48, v241, v178, s35
	v_cmpx_lt_u32_e64 v244, v180
	s_cbranch_execz .LBB1044_2290
; %bb.2287:
	v_cndmask_b32_e64 v180, v242, v243, s35
	v_cndmask_b32_e64 v178, v178, v240, s35
	s_mov_b32 s48, exec_lo
	v_cmpx_lt_u32_e64 v180, v181
	s_cbranch_execz .LBB1044_2289
; %bb.2288:
	v_bfe_i32 v180, v178, 0, 16
	v_bfe_i32 v242, v48, 0, 16
	v_ashrrev_i32_e32 v181, 31, v180
	v_ashrrev_i32_e32 v243, 31, v242
	v_lshlrev_b64 v[180:181], 1, v[180:181]
	v_lshlrev_b64 v[242:243], 1, v[242:243]
	v_add_co_u32 v180, s8, v6, v180
	v_add_co_ci_u32_e64 v181, null, v7, v181, s8
	v_add_co_u32 v242, s8, v6, v242
	v_add_co_ci_u32_e64 v243, null, v7, v243, s8
	s_clause 0x1
	flat_load_ushort v180, v[180:181]
	flat_load_ushort v181, v[242:243]
	s_waitcnt vmcnt(0) lgkmcnt(0)
	v_cmp_lt_i16_e64 s8, v180, v181
	v_cndmask_b32_e64 v178, v48, v178, s8
.LBB1044_2289:
	s_or_b32 exec_lo, exec_lo, s48
	v_mov_b32_e32 v48, v178
.LBB1044_2290:
	s_or_b32 exec_lo, exec_lo, s39
	v_cndmask_b32_e64 v49, v49, v231, s38
	v_cndmask_b32_e64 v50, v50, v230, s34
	v_cndmask_b32_e64 v51, v51, v229, s31
	v_cndmask_b32_e64 v52, v52, v228, s30
	v_cndmask_b32_e64 v64, v64, v227, vcc_hi
	v_cndmask_b32_e64 v53, v53, v226, s95
	v_cndmask_b32_e64 v54, v54, v225, s94
	;; [unrolled: 1-line block ×26, first 2 shown]
.LBB1044_2291:
	s_or_b32 exec_lo, exec_lo, s12
	s_movk_i32 s13, 0x200
	s_mov_b32 s12, exec_lo
	; wave barrier
	s_waitcnt lgkmcnt(0)
	s_barrier
	buffer_gl0_inv
	v_cmpx_lt_u32_e32 0x200, v0
	s_cbranch_execz .LBB1044_2431
; %bb.2292:
	v_lshlrev_b32_e32 v178, 1, v11
	v_mov_b32_e32 v2, 0
	s_mov_b32 s57, 0
	v_add_nc_u32_e32 v179, 2, v178
	v_add_nc_u32_e32 v180, 4, v178
	;; [unrolled: 1-line block ×31, first 2 shown]
	s_branch .LBB1044_2296
.LBB1044_2293:                          ;   in Loop: Header=BB1044_2296 Depth=1
	s_or_b32 exec_lo, exec_lo, s51
	v_mov_b32_e32 v48, v242
.LBB1044_2294:                          ;   in Loop: Header=BB1044_2296 Depth=1
	s_or_b32 exec_lo, exec_lo, s50
	v_cndmask_b32_e64 v49, v49, v79, s49
	v_cndmask_b32_e64 v50, v50, v78, s39
	;; [unrolled: 1-line block ×7, first 2 shown]
	v_cndmask_b32_e64 v55, v55, v72, vcc_hi
	v_cndmask_b32_e64 v65, v65, v63, s95
	v_cndmask_b32_e64 v66, v66, v62, s94
	;; [unrolled: 1-line block ×23, first 2 shown]
.LBB1044_2295:                          ;   in Loop: Header=BB1044_2296 Depth=1
	s_or_b32 exec_lo, exec_lo, s58
	v_cmp_ge_u32_e64 s8, s13, v0
	s_barrier
	buffer_gl0_inv
	s_or_b32 s57, s8, s57
	s_andn2_b32 exec_lo, exec_lo, s57
	s_cbranch_execz .LBB1044_2430
.LBB1044_2296:                          ; =>This Loop Header: Depth=1
                                        ;     Child Loop BB1044_2298 Depth 2
	s_mov_b32 s8, s13
	s_lshl_b32 s13, s13, 1
	ds_write_b16 v178, v99
	ds_write_b16 v179, v102
	ds_write_b16 v180, v101
	ds_write_b16 v181, v100
	s_sub_i32 s9, 0, s13
	ds_write_b16 v182, v98
	v_and_b32_e32 v243, s9, v11
	s_mov_b32 s9, exec_lo
	ds_write_b16 v183, v97
	ds_write_b16 v192, v96
	;; [unrolled: 1-line block ×6, first 2 shown]
	v_add_nc_u32_e32 v1, s8, v243
	ds_write_b16 v197, v83
	ds_write_b16 v198, v82
	;; [unrolled: 1-line block ×10, first 2 shown]
	v_min_u32_e32 v1, v1, v0
	ds_write_b16 v215, v65
	ds_write_b16 v224, v55
	;; [unrolled: 1-line block ×11, first 2 shown]
	s_waitcnt lgkmcnt(0)
	v_add_nc_u32_e32 v242, s8, v1
	s_add_i32 s8, s13, -1
	v_sub_nc_u32_e32 v246, v1, v243
	v_and_b32_e32 v244, s8, v11
	s_barrier
	v_min_u32_e32 v242, v242, v0
	buffer_gl0_inv
	v_min_u32_e32 v244, v244, v0
	v_sub_nc_u32_e32 v245, v242, v1
	v_min_u32_e32 v246, v244, v246
	v_sub_nc_u32_e64 v245, v244, v245 clamp
	v_cmpx_lt_u32_e64 v245, v246
	s_cbranch_execz .LBB1044_2300
; %bb.2297:                             ;   in Loop: Header=BB1044_2296 Depth=1
	v_lshlrev_b64 v[40:41], 1, v[1:2]
	v_lshlrev_b32_e32 v247, 1, v243
	s_mov_b32 s58, 0
	v_add_co_u32 v40, null, 0, v40
	s_inst_prefetch 0x1
	.p2align	6
.LBB1044_2298:                          ;   Parent Loop BB1044_2296 Depth=1
                                        ; =>  This Inner Loop Header: Depth=2
	v_add_nc_u32_e32 v41, v246, v245
	v_lshrrev_b32_e32 v45, 1, v41
	v_and_b32_e32 v41, -2, v41
	v_xad_u32 v42, v45, -1, v244
	v_add_nc_u32_e32 v41, v247, v41
	v_lshl_add_u32 v42, v42, 1, v40
	ds_read_u16 v41, v41
	ds_read_u16 v42, v42
	s_waitcnt lgkmcnt(1)
	v_bfe_i32 v41, v41, 0, 16
	s_waitcnt lgkmcnt(0)
	v_bfe_i32 v43, v42, 0, 16
	v_ashrrev_i32_e32 v42, 31, v41
	v_ashrrev_i32_e32 v44, 31, v43
	v_lshlrev_b64 v[41:42], 1, v[41:42]
	v_lshlrev_b64 v[43:44], 1, v[43:44]
	v_add_co_u32 v41, s8, v6, v41
	v_add_co_ci_u32_e64 v42, null, v7, v42, s8
	v_add_co_u32 v43, s8, v6, v43
	v_add_co_ci_u32_e64 v44, null, v7, v44, s8
	s_clause 0x1
	flat_load_ushort v43, v[43:44]
	flat_load_ushort v41, v[41:42]
	v_add_nc_u32_e32 v42, 1, v45
	s_waitcnt vmcnt(0) lgkmcnt(0)
	v_cmp_lt_i16_e64 s8, v43, v41
	v_cndmask_b32_e64 v246, v246, v45, s8
	v_cndmask_b32_e64 v245, v42, v245, s8
	v_cmp_ge_u32_e64 s8, v245, v246
	s_or_b32 s58, s8, s58
	s_andn2_b32 exec_lo, exec_lo, s58
	s_cbranch_execnz .LBB1044_2298
; %bb.2299:                             ;   in Loop: Header=BB1044_2296 Depth=1
	s_inst_prefetch 0x2
	s_or_b32 exec_lo, exec_lo, s58
.LBB1044_2300:                          ;   in Loop: Header=BB1044_2296 Depth=1
	s_or_b32 exec_lo, exec_lo, s9
	v_sub_nc_u32_e32 v244, v244, v245
	v_add_nc_u32_e32 v243, v245, v243
	v_add_nc_u32_e32 v244, v244, v1
	v_cmp_le_u32_e64 s8, v243, v1
	v_cmp_le_u32_e64 s9, v244, v242
	s_or_b32 s8, s8, s9
	s_and_saveexec_b32 s58, s8
	s_cbranch_execz .LBB1044_2295
; %bb.2301:                             ;   in Loop: Header=BB1044_2296 Depth=1
	v_cmp_ge_u32_e64 s8, v243, v1
	s_mov_b32 s59, exec_lo
                                        ; implicit-def: $vgpr99
	v_cmpx_lt_u32_e64 v243, v1
; %bb.2302:                             ;   in Loop: Header=BB1044_2296 Depth=1
	v_lshlrev_b32_e32 v48, 1, v243
	ds_read_u16 v99, v48
; %bb.2303:                             ;   in Loop: Header=BB1044_2296 Depth=1
	s_or_b32 exec_lo, exec_lo, s59
	v_cmp_ge_u32_e64 s59, v244, v242
	s_mov_b32 s60, exec_lo
                                        ; implicit-def: $vgpr103
	v_cmpx_lt_u32_e64 v244, v242
; %bb.2304:                             ;   in Loop: Header=BB1044_2296 Depth=1
	v_lshlrev_b32_e32 v48, 1, v244
	ds_read_u16 v103, v48
; %bb.2305:                             ;   in Loop: Header=BB1044_2296 Depth=1
	s_or_b32 exec_lo, exec_lo, s60
	s_nor_b32 s8, s8, s59
	s_and_saveexec_b32 s9, s8
	s_cbranch_execz .LBB1044_2307
; %bb.2306:                             ;   in Loop: Header=BB1044_2296 Depth=1
	s_waitcnt lgkmcnt(0)
	v_bfe_i32 v48, v103, 0, 16
	v_bfe_i32 v50, v99, 0, 16
	s_andn2_b32 s59, s59, exec_lo
	v_ashrrev_i32_e32 v49, 31, v48
	v_ashrrev_i32_e32 v51, 31, v50
	v_lshlrev_b64 v[48:49], 1, v[48:49]
	v_lshlrev_b64 v[50:51], 1, v[50:51]
	v_add_co_u32 v48, s8, v6, v48
	v_add_co_ci_u32_e64 v49, null, v7, v49, s8
	v_add_co_u32 v50, s8, v6, v50
	v_add_co_ci_u32_e64 v51, null, v7, v51, s8
	s_clause 0x1
	flat_load_ushort v48, v[48:49]
	flat_load_ushort v49, v[50:51]
	s_waitcnt vmcnt(0) lgkmcnt(0)
	v_cmp_ge_i16_e64 s8, v48, v49
	s_and_b32 s8, s8, exec_lo
	s_or_b32 s59, s59, s8
.LBB1044_2307:                          ;   in Loop: Header=BB1044_2296 Depth=1
	s_or_b32 exec_lo, exec_lo, s9
	v_cndmask_b32_e64 v48, v244, v243, s59
	v_cndmask_b32_e64 v49, v242, v1, s59
	s_mov_b32 s60, -1
	s_mov_b32 s9, -1
	s_mov_b32 s61, exec_lo
	v_add_nc_u32_e32 v50, 1, v48
	v_add_nc_u32_e32 v48, -1, v49
	v_cndmask_b32_e64 v49, v243, v50, s59
	v_min_u32_e32 v48, v50, v48
	v_lshlrev_b32_e32 v48, 1, v48
	ds_read_u16 v51, v48
	v_cndmask_b32_e64 v48, v50, v244, s59
	s_waitcnt lgkmcnt(0)
	v_cndmask_b32_e64 v102, v51, v103, s59
	v_cndmask_b32_e64 v243, v99, v51, s59
	v_cmpx_lt_u32_e64 v48, v242
	s_cbranch_execz .LBB1044_2311
; %bb.2308:                             ;   in Loop: Header=BB1044_2296 Depth=1
	s_mov_b32 s62, 0
	s_mov_b32 s9, exec_lo
	v_cmpx_lt_u32_e64 v49, v1
	s_cbranch_execz .LBB1044_2310
; %bb.2309:                             ;   in Loop: Header=BB1044_2296 Depth=1
	v_bfe_i32 v50, v102, 0, 16
	v_bfe_i32 v52, v243, 0, 16
	v_ashrrev_i32_e32 v51, 31, v50
	v_ashrrev_i32_e32 v53, 31, v52
	v_lshlrev_b64 v[50:51], 1, v[50:51]
	v_lshlrev_b64 v[52:53], 1, v[52:53]
	v_add_co_u32 v50, s8, v6, v50
	v_add_co_ci_u32_e64 v51, null, v7, v51, s8
	v_add_co_u32 v52, s8, v6, v52
	v_add_co_ci_u32_e64 v53, null, v7, v53, s8
	s_clause 0x1
	flat_load_ushort v50, v[50:51]
	flat_load_ushort v51, v[52:53]
	s_waitcnt vmcnt(0) lgkmcnt(0)
	v_cmp_ge_i16_e64 s8, v50, v51
	s_and_b32 s62, s8, exec_lo
.LBB1044_2310:                          ;   in Loop: Header=BB1044_2296 Depth=1
	s_or_b32 exec_lo, exec_lo, s9
	s_orn2_b32 s9, s62, exec_lo
.LBB1044_2311:                          ;   in Loop: Header=BB1044_2296 Depth=1
	s_or_b32 exec_lo, exec_lo, s61
	v_cndmask_b32_e64 v50, v48, v49, s9
	v_cndmask_b32_e64 v51, v242, v1, s9
	s_mov_b32 s61, exec_lo
	v_add_nc_u32_e32 v50, 1, v50
	v_add_nc_u32_e32 v51, -1, v51
	v_cndmask_b32_e64 v48, v50, v48, s9
	v_min_u32_e32 v51, v50, v51
	v_cndmask_b32_e64 v49, v49, v50, s9
	v_lshlrev_b32_e32 v51, 1, v51
	ds_read_u16 v51, v51
	s_waitcnt lgkmcnt(0)
	v_cndmask_b32_e64 v101, v51, v102, s9
	v_cndmask_b32_e64 v244, v243, v51, s9
	v_cmpx_lt_u32_e64 v48, v242
	s_cbranch_execz .LBB1044_2315
; %bb.2312:                             ;   in Loop: Header=BB1044_2296 Depth=1
	s_mov_b32 s62, 0
	s_mov_b32 s60, exec_lo
	v_cmpx_lt_u32_e64 v49, v1
	s_cbranch_execz .LBB1044_2314
; %bb.2313:                             ;   in Loop: Header=BB1044_2296 Depth=1
	v_bfe_i32 v50, v101, 0, 16
	v_bfe_i32 v52, v244, 0, 16
	v_ashrrev_i32_e32 v51, 31, v50
	v_ashrrev_i32_e32 v53, 31, v52
	v_lshlrev_b64 v[50:51], 1, v[50:51]
	v_lshlrev_b64 v[52:53], 1, v[52:53]
	v_add_co_u32 v50, s8, v6, v50
	v_add_co_ci_u32_e64 v51, null, v7, v51, s8
	v_add_co_u32 v52, s8, v6, v52
	v_add_co_ci_u32_e64 v53, null, v7, v53, s8
	s_clause 0x1
	flat_load_ushort v50, v[50:51]
	flat_load_ushort v51, v[52:53]
	s_waitcnt vmcnt(0) lgkmcnt(0)
	v_cmp_ge_i16_e64 s8, v50, v51
	s_and_b32 s62, s8, exec_lo
.LBB1044_2314:                          ;   in Loop: Header=BB1044_2296 Depth=1
	s_or_b32 exec_lo, exec_lo, s60
	s_orn2_b32 s60, s62, exec_lo
.LBB1044_2315:                          ;   in Loop: Header=BB1044_2296 Depth=1
	s_or_b32 exec_lo, exec_lo, s61
	v_cndmask_b32_e64 v50, v48, v49, s60
	v_cndmask_b32_e64 v51, v242, v1, s60
	s_mov_b32 s62, -1
	s_mov_b32 s61, -1
	s_mov_b32 s63, exec_lo
	v_add_nc_u32_e32 v50, 1, v50
	v_add_nc_u32_e32 v51, -1, v51
	v_cndmask_b32_e64 v48, v50, v48, s60
	v_min_u32_e32 v51, v50, v51
	v_cndmask_b32_e64 v49, v49, v50, s60
	v_lshlrev_b32_e32 v51, 1, v51
	ds_read_u16 v51, v51
	s_waitcnt lgkmcnt(0)
	v_cndmask_b32_e64 v100, v51, v101, s60
	v_cndmask_b32_e64 v245, v244, v51, s60
	v_cmpx_lt_u32_e64 v48, v242
	s_cbranch_execz .LBB1044_2319
; %bb.2316:                             ;   in Loop: Header=BB1044_2296 Depth=1
	s_mov_b32 s72, 0
	s_mov_b32 s61, exec_lo
	v_cmpx_lt_u32_e64 v49, v1
	s_cbranch_execz .LBB1044_2318
; %bb.2317:                             ;   in Loop: Header=BB1044_2296 Depth=1
	v_bfe_i32 v50, v100, 0, 16
	v_bfe_i32 v52, v245, 0, 16
	v_ashrrev_i32_e32 v51, 31, v50
	v_ashrrev_i32_e32 v53, 31, v52
	v_lshlrev_b64 v[50:51], 1, v[50:51]
	v_lshlrev_b64 v[52:53], 1, v[52:53]
	v_add_co_u32 v50, s8, v6, v50
	v_add_co_ci_u32_e64 v51, null, v7, v51, s8
	v_add_co_u32 v52, s8, v6, v52
	v_add_co_ci_u32_e64 v53, null, v7, v53, s8
	s_clause 0x1
	flat_load_ushort v50, v[50:51]
	flat_load_ushort v51, v[52:53]
	s_waitcnt vmcnt(0) lgkmcnt(0)
	v_cmp_ge_i16_e64 s8, v50, v51
	s_and_b32 s72, s8, exec_lo
.LBB1044_2318:                          ;   in Loop: Header=BB1044_2296 Depth=1
	s_or_b32 exec_lo, exec_lo, s61
	s_orn2_b32 s61, s72, exec_lo
.LBB1044_2319:                          ;   in Loop: Header=BB1044_2296 Depth=1
	s_or_b32 exec_lo, exec_lo, s63
	v_cndmask_b32_e64 v50, v48, v49, s61
	v_cndmask_b32_e64 v51, v242, v1, s61
	s_mov_b32 s63, exec_lo
	v_add_nc_u32_e32 v50, 1, v50
	v_add_nc_u32_e32 v51, -1, v51
	v_cndmask_b32_e64 v48, v50, v48, s61
	v_min_u32_e32 v51, v50, v51
	v_cndmask_b32_e64 v49, v49, v50, s61
	v_lshlrev_b32_e32 v51, 1, v51
	ds_read_u16 v51, v51
	s_waitcnt lgkmcnt(0)
	v_cndmask_b32_e64 v98, v51, v100, s61
	v_cndmask_b32_e64 v246, v245, v51, s61
	v_cmpx_lt_u32_e64 v48, v242
	s_cbranch_execz .LBB1044_2323
; %bb.2320:                             ;   in Loop: Header=BB1044_2296 Depth=1
	s_mov_b32 s72, 0
	s_mov_b32 s62, exec_lo
	v_cmpx_lt_u32_e64 v49, v1
	s_cbranch_execz .LBB1044_2322
; %bb.2321:                             ;   in Loop: Header=BB1044_2296 Depth=1
	v_bfe_i32 v50, v98, 0, 16
	v_bfe_i32 v52, v246, 0, 16
	v_ashrrev_i32_e32 v51, 31, v50
	v_ashrrev_i32_e32 v53, 31, v52
	v_lshlrev_b64 v[50:51], 1, v[50:51]
	v_lshlrev_b64 v[52:53], 1, v[52:53]
	v_add_co_u32 v50, s8, v6, v50
	v_add_co_ci_u32_e64 v51, null, v7, v51, s8
	v_add_co_u32 v52, s8, v6, v52
	v_add_co_ci_u32_e64 v53, null, v7, v53, s8
	s_clause 0x1
	flat_load_ushort v50, v[50:51]
	flat_load_ushort v51, v[52:53]
	s_waitcnt vmcnt(0) lgkmcnt(0)
	v_cmp_ge_i16_e64 s8, v50, v51
	s_and_b32 s72, s8, exec_lo
.LBB1044_2322:                          ;   in Loop: Header=BB1044_2296 Depth=1
	s_or_b32 exec_lo, exec_lo, s62
	s_orn2_b32 s62, s72, exec_lo
.LBB1044_2323:                          ;   in Loop: Header=BB1044_2296 Depth=1
	s_or_b32 exec_lo, exec_lo, s63
	v_cndmask_b32_e64 v50, v48, v49, s62
	v_cndmask_b32_e64 v51, v242, v1, s62
	s_mov_b32 s72, -1
	s_mov_b32 s63, -1
	s_mov_b32 s73, exec_lo
	v_add_nc_u32_e32 v50, 1, v50
	v_add_nc_u32_e32 v51, -1, v51
	v_cndmask_b32_e64 v48, v50, v48, s62
	v_min_u32_e32 v51, v50, v51
	v_cndmask_b32_e64 v49, v49, v50, s62
	v_lshlrev_b32_e32 v51, 1, v51
	ds_read_u16 v51, v51
	s_waitcnt lgkmcnt(0)
	v_cndmask_b32_e64 v97, v51, v98, s62
	v_cndmask_b32_e64 v247, v246, v51, s62
	v_cmpx_lt_u32_e64 v48, v242
	s_cbranch_execz .LBB1044_2327
; %bb.2324:                             ;   in Loop: Header=BB1044_2296 Depth=1
	s_mov_b32 s74, 0
	s_mov_b32 s63, exec_lo
	v_cmpx_lt_u32_e64 v49, v1
	s_cbranch_execz .LBB1044_2326
; %bb.2325:                             ;   in Loop: Header=BB1044_2296 Depth=1
	v_bfe_i32 v50, v97, 0, 16
	v_bfe_i32 v52, v247, 0, 16
	v_ashrrev_i32_e32 v51, 31, v50
	v_ashrrev_i32_e32 v53, 31, v52
	v_lshlrev_b64 v[50:51], 1, v[50:51]
	v_lshlrev_b64 v[52:53], 1, v[52:53]
	v_add_co_u32 v50, s8, v6, v50
	v_add_co_ci_u32_e64 v51, null, v7, v51, s8
	v_add_co_u32 v52, s8, v6, v52
	v_add_co_ci_u32_e64 v53, null, v7, v53, s8
	s_clause 0x1
	flat_load_ushort v50, v[50:51]
	flat_load_ushort v51, v[52:53]
	s_waitcnt vmcnt(0) lgkmcnt(0)
	v_cmp_ge_i16_e64 s8, v50, v51
	s_and_b32 s74, s8, exec_lo
.LBB1044_2326:                          ;   in Loop: Header=BB1044_2296 Depth=1
	s_or_b32 exec_lo, exec_lo, s63
	s_orn2_b32 s63, s74, exec_lo
.LBB1044_2327:                          ;   in Loop: Header=BB1044_2296 Depth=1
	s_or_b32 exec_lo, exec_lo, s73
	v_cndmask_b32_e64 v50, v48, v49, s63
	v_cndmask_b32_e64 v51, v242, v1, s63
	s_mov_b32 s73, exec_lo
	v_add_nc_u32_e32 v50, 1, v50
	v_add_nc_u32_e32 v51, -1, v51
	v_cndmask_b32_e64 v48, v50, v48, s63
	v_min_u32_e32 v51, v50, v51
	v_cndmask_b32_e64 v49, v49, v50, s63
	v_lshlrev_b32_e32 v51, 1, v51
	ds_read_u16 v51, v51
	s_waitcnt lgkmcnt(0)
	v_cndmask_b32_e64 v96, v51, v97, s63
	v_cndmask_b32_e64 v40, v247, v51, s63
	v_cmpx_lt_u32_e64 v48, v242
	s_cbranch_execz .LBB1044_2331
; %bb.2328:                             ;   in Loop: Header=BB1044_2296 Depth=1
	s_mov_b32 s74, 0
	s_mov_b32 s72, exec_lo
	v_cmpx_lt_u32_e64 v49, v1
	s_cbranch_execz .LBB1044_2330
; %bb.2329:                             ;   in Loop: Header=BB1044_2296 Depth=1
	v_bfe_i32 v50, v96, 0, 16
	v_bfe_i32 v52, v40, 0, 16
	v_ashrrev_i32_e32 v51, 31, v50
	v_ashrrev_i32_e32 v53, 31, v52
	v_lshlrev_b64 v[50:51], 1, v[50:51]
	v_lshlrev_b64 v[52:53], 1, v[52:53]
	v_add_co_u32 v50, s8, v6, v50
	v_add_co_ci_u32_e64 v51, null, v7, v51, s8
	v_add_co_u32 v52, s8, v6, v52
	v_add_co_ci_u32_e64 v53, null, v7, v53, s8
	s_clause 0x1
	flat_load_ushort v50, v[50:51]
	flat_load_ushort v51, v[52:53]
	s_waitcnt vmcnt(0) lgkmcnt(0)
	v_cmp_ge_i16_e64 s8, v50, v51
	s_and_b32 s74, s8, exec_lo
.LBB1044_2330:                          ;   in Loop: Header=BB1044_2296 Depth=1
	s_or_b32 exec_lo, exec_lo, s72
	s_orn2_b32 s72, s74, exec_lo
.LBB1044_2331:                          ;   in Loop: Header=BB1044_2296 Depth=1
	s_or_b32 exec_lo, exec_lo, s73
	v_cndmask_b32_e64 v50, v48, v49, s72
	v_cndmask_b32_e64 v51, v242, v1, s72
	s_mov_b32 s74, -1
	s_mov_b32 s73, -1
	s_mov_b32 s75, exec_lo
	v_add_nc_u32_e32 v50, 1, v50
	v_add_nc_u32_e32 v51, -1, v51
	v_cndmask_b32_e64 v48, v50, v48, s72
	v_min_u32_e32 v51, v50, v51
	v_cndmask_b32_e64 v49, v49, v50, s72
	v_lshlrev_b32_e32 v51, 1, v51
	ds_read_u16 v51, v51
	s_waitcnt lgkmcnt(0)
	v_cndmask_b32_e64 v87, v51, v96, s72
	v_cndmask_b32_e64 v41, v40, v51, s72
	v_cmpx_lt_u32_e64 v48, v242
	s_cbranch_execz .LBB1044_2335
; %bb.2332:                             ;   in Loop: Header=BB1044_2296 Depth=1
	s_mov_b32 s76, 0
	s_mov_b32 s73, exec_lo
	v_cmpx_lt_u32_e64 v49, v1
	s_cbranch_execz .LBB1044_2334
; %bb.2333:                             ;   in Loop: Header=BB1044_2296 Depth=1
	v_bfe_i32 v50, v87, 0, 16
	v_bfe_i32 v52, v41, 0, 16
	v_ashrrev_i32_e32 v51, 31, v50
	v_ashrrev_i32_e32 v53, 31, v52
	v_lshlrev_b64 v[50:51], 1, v[50:51]
	v_lshlrev_b64 v[52:53], 1, v[52:53]
	v_add_co_u32 v50, s8, v6, v50
	v_add_co_ci_u32_e64 v51, null, v7, v51, s8
	v_add_co_u32 v52, s8, v6, v52
	v_add_co_ci_u32_e64 v53, null, v7, v53, s8
	s_clause 0x1
	flat_load_ushort v50, v[50:51]
	flat_load_ushort v51, v[52:53]
	s_waitcnt vmcnt(0) lgkmcnt(0)
	v_cmp_ge_i16_e64 s8, v50, v51
	s_and_b32 s76, s8, exec_lo
.LBB1044_2334:                          ;   in Loop: Header=BB1044_2296 Depth=1
	s_or_b32 exec_lo, exec_lo, s73
	s_orn2_b32 s73, s76, exec_lo
.LBB1044_2335:                          ;   in Loop: Header=BB1044_2296 Depth=1
	s_or_b32 exec_lo, exec_lo, s75
	v_cndmask_b32_e64 v50, v48, v49, s73
	v_cndmask_b32_e64 v51, v242, v1, s73
	s_mov_b32 s75, exec_lo
	v_add_nc_u32_e32 v50, 1, v50
	v_add_nc_u32_e32 v51, -1, v51
	v_cndmask_b32_e64 v48, v50, v48, s73
	v_min_u32_e32 v51, v50, v51
	v_cndmask_b32_e64 v49, v49, v50, s73
	v_lshlrev_b32_e32 v51, 1, v51
	ds_read_u16 v51, v51
	s_waitcnt lgkmcnt(0)
	v_cndmask_b32_e64 v86, v51, v87, s73
	v_cndmask_b32_e64 v42, v41, v51, s73
	v_cmpx_lt_u32_e64 v48, v242
	s_cbranch_execz .LBB1044_2339
; %bb.2336:                             ;   in Loop: Header=BB1044_2296 Depth=1
	s_mov_b32 s76, 0
	s_mov_b32 s74, exec_lo
	v_cmpx_lt_u32_e64 v49, v1
	s_cbranch_execz .LBB1044_2338
; %bb.2337:                             ;   in Loop: Header=BB1044_2296 Depth=1
	v_bfe_i32 v50, v86, 0, 16
	v_bfe_i32 v52, v42, 0, 16
	v_ashrrev_i32_e32 v51, 31, v50
	v_ashrrev_i32_e32 v53, 31, v52
	v_lshlrev_b64 v[50:51], 1, v[50:51]
	v_lshlrev_b64 v[52:53], 1, v[52:53]
	v_add_co_u32 v50, s8, v6, v50
	v_add_co_ci_u32_e64 v51, null, v7, v51, s8
	v_add_co_u32 v52, s8, v6, v52
	v_add_co_ci_u32_e64 v53, null, v7, v53, s8
	s_clause 0x1
	flat_load_ushort v50, v[50:51]
	flat_load_ushort v51, v[52:53]
	s_waitcnt vmcnt(0) lgkmcnt(0)
	v_cmp_ge_i16_e64 s8, v50, v51
	s_and_b32 s76, s8, exec_lo
.LBB1044_2338:                          ;   in Loop: Header=BB1044_2296 Depth=1
	s_or_b32 exec_lo, exec_lo, s74
	s_orn2_b32 s74, s76, exec_lo
.LBB1044_2339:                          ;   in Loop: Header=BB1044_2296 Depth=1
	s_or_b32 exec_lo, exec_lo, s75
	v_cndmask_b32_e64 v50, v48, v49, s74
	v_cndmask_b32_e64 v51, v242, v1, s74
	s_mov_b32 s76, -1
	s_mov_b32 s75, -1
	s_mov_b32 s77, exec_lo
	v_add_nc_u32_e32 v50, 1, v50
	v_add_nc_u32_e32 v51, -1, v51
	v_cndmask_b32_e64 v48, v50, v48, s74
	v_min_u32_e32 v51, v50, v51
	v_cndmask_b32_e64 v49, v49, v50, s74
	v_lshlrev_b32_e32 v51, 1, v51
	ds_read_u16 v51, v51
	s_waitcnt lgkmcnt(0)
	v_cndmask_b32_e64 v85, v51, v86, s74
	v_cndmask_b32_e64 v43, v42, v51, s74
	v_cmpx_lt_u32_e64 v48, v242
	s_cbranch_execz .LBB1044_2343
; %bb.2340:                             ;   in Loop: Header=BB1044_2296 Depth=1
	s_mov_b32 s78, 0
	s_mov_b32 s75, exec_lo
	v_cmpx_lt_u32_e64 v49, v1
	s_cbranch_execz .LBB1044_2342
; %bb.2341:                             ;   in Loop: Header=BB1044_2296 Depth=1
	v_bfe_i32 v50, v85, 0, 16
	v_bfe_i32 v52, v43, 0, 16
	v_ashrrev_i32_e32 v51, 31, v50
	v_ashrrev_i32_e32 v53, 31, v52
	v_lshlrev_b64 v[50:51], 1, v[50:51]
	v_lshlrev_b64 v[52:53], 1, v[52:53]
	v_add_co_u32 v50, s8, v6, v50
	v_add_co_ci_u32_e64 v51, null, v7, v51, s8
	v_add_co_u32 v52, s8, v6, v52
	v_add_co_ci_u32_e64 v53, null, v7, v53, s8
	s_clause 0x1
	flat_load_ushort v50, v[50:51]
	flat_load_ushort v51, v[52:53]
	s_waitcnt vmcnt(0) lgkmcnt(0)
	v_cmp_ge_i16_e64 s8, v50, v51
	s_and_b32 s78, s8, exec_lo
.LBB1044_2342:                          ;   in Loop: Header=BB1044_2296 Depth=1
	s_or_b32 exec_lo, exec_lo, s75
	s_orn2_b32 s75, s78, exec_lo
.LBB1044_2343:                          ;   in Loop: Header=BB1044_2296 Depth=1
	s_or_b32 exec_lo, exec_lo, s77
	v_cndmask_b32_e64 v50, v48, v49, s75
	v_cndmask_b32_e64 v51, v242, v1, s75
	s_mov_b32 s77, exec_lo
	v_add_nc_u32_e32 v50, 1, v50
	v_add_nc_u32_e32 v51, -1, v51
	v_cndmask_b32_e64 v48, v50, v48, s75
	v_min_u32_e32 v51, v50, v51
	v_cndmask_b32_e64 v49, v49, v50, s75
	v_lshlrev_b32_e32 v51, 1, v51
	ds_read_u16 v51, v51
	s_waitcnt lgkmcnt(0)
	v_cndmask_b32_e64 v84, v51, v85, s75
	v_cndmask_b32_e64 v44, v43, v51, s75
	v_cmpx_lt_u32_e64 v48, v242
	s_cbranch_execz .LBB1044_2347
; %bb.2344:                             ;   in Loop: Header=BB1044_2296 Depth=1
	s_mov_b32 s78, 0
	s_mov_b32 s76, exec_lo
	v_cmpx_lt_u32_e64 v49, v1
	s_cbranch_execz .LBB1044_2346
; %bb.2345:                             ;   in Loop: Header=BB1044_2296 Depth=1
	v_bfe_i32 v50, v84, 0, 16
	v_bfe_i32 v52, v44, 0, 16
	v_ashrrev_i32_e32 v51, 31, v50
	v_ashrrev_i32_e32 v53, 31, v52
	v_lshlrev_b64 v[50:51], 1, v[50:51]
	v_lshlrev_b64 v[52:53], 1, v[52:53]
	v_add_co_u32 v50, s8, v6, v50
	v_add_co_ci_u32_e64 v51, null, v7, v51, s8
	v_add_co_u32 v52, s8, v6, v52
	v_add_co_ci_u32_e64 v53, null, v7, v53, s8
	s_clause 0x1
	flat_load_ushort v50, v[50:51]
	flat_load_ushort v51, v[52:53]
	s_waitcnt vmcnt(0) lgkmcnt(0)
	v_cmp_ge_i16_e64 s8, v50, v51
	s_and_b32 s78, s8, exec_lo
.LBB1044_2346:                          ;   in Loop: Header=BB1044_2296 Depth=1
	s_or_b32 exec_lo, exec_lo, s76
	s_orn2_b32 s76, s78, exec_lo
.LBB1044_2347:                          ;   in Loop: Header=BB1044_2296 Depth=1
	s_or_b32 exec_lo, exec_lo, s77
	v_cndmask_b32_e64 v50, v48, v49, s76
	v_cndmask_b32_e64 v51, v242, v1, s76
	s_mov_b32 s78, -1
	s_mov_b32 s77, -1
	s_mov_b32 s79, exec_lo
	v_add_nc_u32_e32 v50, 1, v50
	v_add_nc_u32_e32 v51, -1, v51
	v_cndmask_b32_e64 v48, v50, v48, s76
	v_min_u32_e32 v51, v50, v51
	v_cndmask_b32_e64 v49, v49, v50, s76
	v_lshlrev_b32_e32 v51, 1, v51
	ds_read_u16 v51, v51
	s_waitcnt lgkmcnt(0)
	v_cndmask_b32_e64 v83, v51, v84, s76
	v_cndmask_b32_e64 v45, v44, v51, s76
	v_cmpx_lt_u32_e64 v48, v242
	s_cbranch_execz .LBB1044_2351
; %bb.2348:                             ;   in Loop: Header=BB1044_2296 Depth=1
	s_mov_b32 s88, 0
	s_mov_b32 s77, exec_lo
	v_cmpx_lt_u32_e64 v49, v1
	s_cbranch_execz .LBB1044_2350
; %bb.2349:                             ;   in Loop: Header=BB1044_2296 Depth=1
	v_bfe_i32 v50, v83, 0, 16
	v_bfe_i32 v52, v45, 0, 16
	v_ashrrev_i32_e32 v51, 31, v50
	v_ashrrev_i32_e32 v53, 31, v52
	v_lshlrev_b64 v[50:51], 1, v[50:51]
	v_lshlrev_b64 v[52:53], 1, v[52:53]
	v_add_co_u32 v50, s8, v6, v50
	v_add_co_ci_u32_e64 v51, null, v7, v51, s8
	v_add_co_u32 v52, s8, v6, v52
	v_add_co_ci_u32_e64 v53, null, v7, v53, s8
	s_clause 0x1
	flat_load_ushort v50, v[50:51]
	flat_load_ushort v51, v[52:53]
	s_waitcnt vmcnt(0) lgkmcnt(0)
	v_cmp_ge_i16_e64 s8, v50, v51
	s_and_b32 s88, s8, exec_lo
.LBB1044_2350:                          ;   in Loop: Header=BB1044_2296 Depth=1
	s_or_b32 exec_lo, exec_lo, s77
	s_orn2_b32 s77, s88, exec_lo
.LBB1044_2351:                          ;   in Loop: Header=BB1044_2296 Depth=1
	s_or_b32 exec_lo, exec_lo, s79
	v_cndmask_b32_e64 v50, v48, v49, s77
	v_cndmask_b32_e64 v51, v242, v1, s77
	s_mov_b32 s79, exec_lo
	v_add_nc_u32_e32 v50, 1, v50
	v_add_nc_u32_e32 v51, -1, v51
	v_cndmask_b32_e64 v48, v50, v48, s77
	v_min_u32_e32 v51, v50, v51
	v_cndmask_b32_e64 v49, v49, v50, s77
	v_lshlrev_b32_e32 v51, 1, v51
	ds_read_u16 v51, v51
	s_waitcnt lgkmcnt(0)
	v_cndmask_b32_e64 v82, v51, v83, s77
	v_cndmask_b32_e64 v46, v45, v51, s77
	v_cmpx_lt_u32_e64 v48, v242
	s_cbranch_execz .LBB1044_2355
; %bb.2352:                             ;   in Loop: Header=BB1044_2296 Depth=1
	s_mov_b32 s88, 0
	s_mov_b32 s78, exec_lo
	v_cmpx_lt_u32_e64 v49, v1
	s_cbranch_execz .LBB1044_2354
; %bb.2353:                             ;   in Loop: Header=BB1044_2296 Depth=1
	v_bfe_i32 v50, v82, 0, 16
	v_bfe_i32 v52, v46, 0, 16
	v_ashrrev_i32_e32 v51, 31, v50
	v_ashrrev_i32_e32 v53, 31, v52
	v_lshlrev_b64 v[50:51], 1, v[50:51]
	v_lshlrev_b64 v[52:53], 1, v[52:53]
	v_add_co_u32 v50, s8, v6, v50
	v_add_co_ci_u32_e64 v51, null, v7, v51, s8
	v_add_co_u32 v52, s8, v6, v52
	v_add_co_ci_u32_e64 v53, null, v7, v53, s8
	s_clause 0x1
	flat_load_ushort v50, v[50:51]
	flat_load_ushort v51, v[52:53]
	s_waitcnt vmcnt(0) lgkmcnt(0)
	v_cmp_ge_i16_e64 s8, v50, v51
	s_and_b32 s88, s8, exec_lo
.LBB1044_2354:                          ;   in Loop: Header=BB1044_2296 Depth=1
	s_or_b32 exec_lo, exec_lo, s78
	s_orn2_b32 s78, s88, exec_lo
.LBB1044_2355:                          ;   in Loop: Header=BB1044_2296 Depth=1
	s_or_b32 exec_lo, exec_lo, s79
	v_cndmask_b32_e64 v50, v48, v49, s78
	v_cndmask_b32_e64 v51, v242, v1, s78
	s_mov_b32 s88, -1
	s_mov_b32 s79, -1
	s_mov_b32 s89, exec_lo
	v_add_nc_u32_e32 v50, 1, v50
	v_add_nc_u32_e32 v51, -1, v51
	v_cndmask_b32_e64 v48, v50, v48, s78
	v_min_u32_e32 v51, v50, v51
	v_cndmask_b32_e64 v49, v49, v50, s78
	v_lshlrev_b32_e32 v51, 1, v51
	ds_read_u16 v51, v51
	s_waitcnt lgkmcnt(0)
	v_cndmask_b32_e64 v81, v51, v82, s78
	v_cndmask_b32_e64 v47, v46, v51, s78
	v_cmpx_lt_u32_e64 v48, v242
	s_cbranch_execz .LBB1044_2359
; %bb.2356:                             ;   in Loop: Header=BB1044_2296 Depth=1
	s_mov_b32 s90, 0
	s_mov_b32 s79, exec_lo
	v_cmpx_lt_u32_e64 v49, v1
	s_cbranch_execz .LBB1044_2358
; %bb.2357:                             ;   in Loop: Header=BB1044_2296 Depth=1
	v_bfe_i32 v50, v81, 0, 16
	v_bfe_i32 v52, v47, 0, 16
	v_ashrrev_i32_e32 v51, 31, v50
	v_ashrrev_i32_e32 v53, 31, v52
	v_lshlrev_b64 v[50:51], 1, v[50:51]
	v_lshlrev_b64 v[52:53], 1, v[52:53]
	v_add_co_u32 v50, s8, v6, v50
	v_add_co_ci_u32_e64 v51, null, v7, v51, s8
	v_add_co_u32 v52, s8, v6, v52
	v_add_co_ci_u32_e64 v53, null, v7, v53, s8
	s_clause 0x1
	flat_load_ushort v50, v[50:51]
	flat_load_ushort v51, v[52:53]
	s_waitcnt vmcnt(0) lgkmcnt(0)
	v_cmp_ge_i16_e64 s8, v50, v51
	s_and_b32 s90, s8, exec_lo
.LBB1044_2358:                          ;   in Loop: Header=BB1044_2296 Depth=1
	s_or_b32 exec_lo, exec_lo, s79
	s_orn2_b32 s79, s90, exec_lo
.LBB1044_2359:                          ;   in Loop: Header=BB1044_2296 Depth=1
	s_or_b32 exec_lo, exec_lo, s89
	v_cndmask_b32_e64 v50, v48, v49, s79
	v_cndmask_b32_e64 v51, v242, v1, s79
	s_mov_b32 s89, exec_lo
	v_add_nc_u32_e32 v50, 1, v50
	v_add_nc_u32_e32 v51, -1, v51
	v_cndmask_b32_e64 v48, v50, v48, s79
	v_min_u32_e32 v51, v50, v51
	v_cndmask_b32_e64 v49, v49, v50, s79
	v_lshlrev_b32_e32 v51, 1, v51
	ds_read_u16 v51, v51
	s_waitcnt lgkmcnt(0)
	v_cndmask_b32_e64 v80, v51, v81, s79
	v_cndmask_b32_e64 v56, v47, v51, s79
	v_cmpx_lt_u32_e64 v48, v242
	s_cbranch_execz .LBB1044_2363
; %bb.2360:                             ;   in Loop: Header=BB1044_2296 Depth=1
	s_mov_b32 s90, 0
	s_mov_b32 s88, exec_lo
	v_cmpx_lt_u32_e64 v49, v1
	s_cbranch_execz .LBB1044_2362
; %bb.2361:                             ;   in Loop: Header=BB1044_2296 Depth=1
	v_bfe_i32 v50, v80, 0, 16
	v_bfe_i32 v52, v56, 0, 16
	v_ashrrev_i32_e32 v51, 31, v50
	v_ashrrev_i32_e32 v53, 31, v52
	v_lshlrev_b64 v[50:51], 1, v[50:51]
	v_lshlrev_b64 v[52:53], 1, v[52:53]
	v_add_co_u32 v50, s8, v6, v50
	v_add_co_ci_u32_e64 v51, null, v7, v51, s8
	v_add_co_u32 v52, s8, v6, v52
	v_add_co_ci_u32_e64 v53, null, v7, v53, s8
	s_clause 0x1
	flat_load_ushort v50, v[50:51]
	flat_load_ushort v51, v[52:53]
	s_waitcnt vmcnt(0) lgkmcnt(0)
	v_cmp_ge_i16_e64 s8, v50, v51
	s_and_b32 s90, s8, exec_lo
.LBB1044_2362:                          ;   in Loop: Header=BB1044_2296 Depth=1
	s_or_b32 exec_lo, exec_lo, s88
	s_orn2_b32 s88, s90, exec_lo
.LBB1044_2363:                          ;   in Loop: Header=BB1044_2296 Depth=1
	s_or_b32 exec_lo, exec_lo, s89
	v_cndmask_b32_e64 v50, v48, v49, s88
	v_cndmask_b32_e64 v51, v242, v1, s88
	s_mov_b32 s90, -1
	s_mov_b32 s89, -1
	s_mov_b32 s91, exec_lo
	v_add_nc_u32_e32 v50, 1, v50
	v_add_nc_u32_e32 v51, -1, v51
	v_cndmask_b32_e64 v48, v50, v48, s88
	v_min_u32_e32 v51, v50, v51
	v_cndmask_b32_e64 v49, v49, v50, s88
	v_lshlrev_b32_e32 v51, 1, v51
	ds_read_u16 v51, v51
	s_waitcnt lgkmcnt(0)
	v_cndmask_b32_e64 v71, v51, v80, s88
	v_cndmask_b32_e64 v57, v56, v51, s88
	v_cmpx_lt_u32_e64 v48, v242
	s_cbranch_execz .LBB1044_2367
; %bb.2364:                             ;   in Loop: Header=BB1044_2296 Depth=1
	s_mov_b32 s92, 0
	s_mov_b32 s89, exec_lo
	v_cmpx_lt_u32_e64 v49, v1
	s_cbranch_execz .LBB1044_2366
; %bb.2365:                             ;   in Loop: Header=BB1044_2296 Depth=1
	v_bfe_i32 v50, v71, 0, 16
	v_bfe_i32 v52, v57, 0, 16
	v_ashrrev_i32_e32 v51, 31, v50
	v_ashrrev_i32_e32 v53, 31, v52
	v_lshlrev_b64 v[50:51], 1, v[50:51]
	v_lshlrev_b64 v[52:53], 1, v[52:53]
	v_add_co_u32 v50, s8, v6, v50
	v_add_co_ci_u32_e64 v51, null, v7, v51, s8
	v_add_co_u32 v52, s8, v6, v52
	v_add_co_ci_u32_e64 v53, null, v7, v53, s8
	s_clause 0x1
	flat_load_ushort v50, v[50:51]
	flat_load_ushort v51, v[52:53]
	s_waitcnt vmcnt(0) lgkmcnt(0)
	v_cmp_ge_i16_e64 s8, v50, v51
	s_and_b32 s92, s8, exec_lo
.LBB1044_2366:                          ;   in Loop: Header=BB1044_2296 Depth=1
	s_or_b32 exec_lo, exec_lo, s89
	s_orn2_b32 s89, s92, exec_lo
.LBB1044_2367:                          ;   in Loop: Header=BB1044_2296 Depth=1
	s_or_b32 exec_lo, exec_lo, s91
	v_cndmask_b32_e64 v50, v48, v49, s89
	v_cndmask_b32_e64 v51, v242, v1, s89
	s_mov_b32 s91, exec_lo
	v_add_nc_u32_e32 v50, 1, v50
	v_add_nc_u32_e32 v51, -1, v51
	v_cndmask_b32_e64 v48, v50, v48, s89
	v_min_u32_e32 v51, v50, v51
	v_cndmask_b32_e64 v49, v49, v50, s89
	v_lshlrev_b32_e32 v51, 1, v51
	ds_read_u16 v51, v51
	s_waitcnt lgkmcnt(0)
	v_cndmask_b32_e64 v70, v51, v71, s89
	v_cndmask_b32_e64 v58, v57, v51, s89
	v_cmpx_lt_u32_e64 v48, v242
	s_cbranch_execz .LBB1044_2371
; %bb.2368:                             ;   in Loop: Header=BB1044_2296 Depth=1
	s_mov_b32 s92, 0
	s_mov_b32 s90, exec_lo
	v_cmpx_lt_u32_e64 v49, v1
	s_cbranch_execz .LBB1044_2370
; %bb.2369:                             ;   in Loop: Header=BB1044_2296 Depth=1
	v_bfe_i32 v50, v70, 0, 16
	v_bfe_i32 v52, v58, 0, 16
	v_ashrrev_i32_e32 v51, 31, v50
	v_ashrrev_i32_e32 v53, 31, v52
	v_lshlrev_b64 v[50:51], 1, v[50:51]
	v_lshlrev_b64 v[52:53], 1, v[52:53]
	v_add_co_u32 v50, s8, v6, v50
	v_add_co_ci_u32_e64 v51, null, v7, v51, s8
	v_add_co_u32 v52, s8, v6, v52
	v_add_co_ci_u32_e64 v53, null, v7, v53, s8
	s_clause 0x1
	flat_load_ushort v50, v[50:51]
	flat_load_ushort v51, v[52:53]
	s_waitcnt vmcnt(0) lgkmcnt(0)
	v_cmp_ge_i16_e64 s8, v50, v51
	s_and_b32 s92, s8, exec_lo
.LBB1044_2370:                          ;   in Loop: Header=BB1044_2296 Depth=1
	s_or_b32 exec_lo, exec_lo, s90
	s_orn2_b32 s90, s92, exec_lo
.LBB1044_2371:                          ;   in Loop: Header=BB1044_2296 Depth=1
	s_or_b32 exec_lo, exec_lo, s91
	v_cndmask_b32_e64 v50, v48, v49, s90
	v_cndmask_b32_e64 v51, v242, v1, s90
	s_mov_b32 s92, -1
	s_mov_b32 s91, -1
	s_mov_b32 s93, exec_lo
	v_add_nc_u32_e32 v50, 1, v50
	v_add_nc_u32_e32 v51, -1, v51
	v_cndmask_b32_e64 v48, v50, v48, s90
	v_min_u32_e32 v51, v50, v51
	v_cndmask_b32_e64 v49, v49, v50, s90
	v_lshlrev_b32_e32 v51, 1, v51
	ds_read_u16 v51, v51
	s_waitcnt lgkmcnt(0)
	v_cndmask_b32_e64 v69, v51, v70, s90
	v_cndmask_b32_e64 v59, v58, v51, s90
	v_cmpx_lt_u32_e64 v48, v242
	s_cbranch_execz .LBB1044_2375
; %bb.2372:                             ;   in Loop: Header=BB1044_2296 Depth=1
	s_mov_b32 s94, 0
	s_mov_b32 s91, exec_lo
	v_cmpx_lt_u32_e64 v49, v1
	s_cbranch_execz .LBB1044_2374
; %bb.2373:                             ;   in Loop: Header=BB1044_2296 Depth=1
	v_bfe_i32 v50, v69, 0, 16
	v_bfe_i32 v52, v59, 0, 16
	v_ashrrev_i32_e32 v51, 31, v50
	v_ashrrev_i32_e32 v53, 31, v52
	v_lshlrev_b64 v[50:51], 1, v[50:51]
	v_lshlrev_b64 v[52:53], 1, v[52:53]
	v_add_co_u32 v50, s8, v6, v50
	v_add_co_ci_u32_e64 v51, null, v7, v51, s8
	v_add_co_u32 v52, s8, v6, v52
	v_add_co_ci_u32_e64 v53, null, v7, v53, s8
	s_clause 0x1
	flat_load_ushort v50, v[50:51]
	flat_load_ushort v51, v[52:53]
	s_waitcnt vmcnt(0) lgkmcnt(0)
	v_cmp_ge_i16_e64 s8, v50, v51
	s_and_b32 s94, s8, exec_lo
.LBB1044_2374:                          ;   in Loop: Header=BB1044_2296 Depth=1
	s_or_b32 exec_lo, exec_lo, s91
	s_orn2_b32 s91, s94, exec_lo
.LBB1044_2375:                          ;   in Loop: Header=BB1044_2296 Depth=1
	s_or_b32 exec_lo, exec_lo, s93
	v_cndmask_b32_e64 v50, v48, v49, s91
	v_cndmask_b32_e64 v51, v242, v1, s91
	s_mov_b32 s93, exec_lo
	v_add_nc_u32_e32 v50, 1, v50
	v_add_nc_u32_e32 v51, -1, v51
	v_cndmask_b32_e64 v48, v50, v48, s91
	v_min_u32_e32 v51, v50, v51
	v_cndmask_b32_e64 v49, v49, v50, s91
	v_lshlrev_b32_e32 v51, 1, v51
	ds_read_u16 v51, v51
	s_waitcnt lgkmcnt(0)
	v_cndmask_b32_e64 v68, v51, v69, s91
	v_cndmask_b32_e64 v60, v59, v51, s91
	v_cmpx_lt_u32_e64 v48, v242
	s_cbranch_execz .LBB1044_2379
; %bb.2376:                             ;   in Loop: Header=BB1044_2296 Depth=1
	s_mov_b32 s94, 0
	s_mov_b32 s92, exec_lo
	v_cmpx_lt_u32_e64 v49, v1
	s_cbranch_execz .LBB1044_2378
; %bb.2377:                             ;   in Loop: Header=BB1044_2296 Depth=1
	v_bfe_i32 v50, v68, 0, 16
	v_bfe_i32 v52, v60, 0, 16
	v_ashrrev_i32_e32 v51, 31, v50
	v_ashrrev_i32_e32 v53, 31, v52
	v_lshlrev_b64 v[50:51], 1, v[50:51]
	v_lshlrev_b64 v[52:53], 1, v[52:53]
	v_add_co_u32 v50, s8, v6, v50
	v_add_co_ci_u32_e64 v51, null, v7, v51, s8
	v_add_co_u32 v52, s8, v6, v52
	v_add_co_ci_u32_e64 v53, null, v7, v53, s8
	s_clause 0x1
	flat_load_ushort v50, v[50:51]
	flat_load_ushort v51, v[52:53]
	s_waitcnt vmcnt(0) lgkmcnt(0)
	v_cmp_ge_i16_e64 s8, v50, v51
	s_and_b32 s94, s8, exec_lo
.LBB1044_2378:                          ;   in Loop: Header=BB1044_2296 Depth=1
	s_or_b32 exec_lo, exec_lo, s92
	s_orn2_b32 s92, s94, exec_lo
.LBB1044_2379:                          ;   in Loop: Header=BB1044_2296 Depth=1
	s_or_b32 exec_lo, exec_lo, s93
	v_cndmask_b32_e64 v50, v48, v49, s92
	v_cndmask_b32_e64 v51, v242, v1, s92
	s_mov_b32 s94, -1
	s_mov_b32 s93, -1
	s_mov_b32 s95, exec_lo
	v_add_nc_u32_e32 v50, 1, v50
	v_add_nc_u32_e32 v51, -1, v51
	v_cndmask_b32_e64 v48, v50, v48, s92
	v_min_u32_e32 v51, v50, v51
	v_cndmask_b32_e64 v49, v49, v50, s92
	v_lshlrev_b32_e32 v51, 1, v51
	ds_read_u16 v51, v51
	s_waitcnt lgkmcnt(0)
	v_cndmask_b32_e64 v67, v51, v68, s92
	v_cndmask_b32_e64 v61, v60, v51, s92
	v_cmpx_lt_u32_e64 v48, v242
	s_cbranch_execz .LBB1044_2383
; %bb.2380:                             ;   in Loop: Header=BB1044_2296 Depth=1
	s_mov_b32 vcc_hi, 0
	s_mov_b32 s93, exec_lo
	v_cmpx_lt_u32_e64 v49, v1
	s_cbranch_execz .LBB1044_2382
; %bb.2381:                             ;   in Loop: Header=BB1044_2296 Depth=1
	v_bfe_i32 v50, v67, 0, 16
	v_bfe_i32 v52, v61, 0, 16
	v_ashrrev_i32_e32 v51, 31, v50
	v_ashrrev_i32_e32 v53, 31, v52
	v_lshlrev_b64 v[50:51], 1, v[50:51]
	v_lshlrev_b64 v[52:53], 1, v[52:53]
	v_add_co_u32 v50, s8, v6, v50
	v_add_co_ci_u32_e64 v51, null, v7, v51, s8
	v_add_co_u32 v52, s8, v6, v52
	v_add_co_ci_u32_e64 v53, null, v7, v53, s8
	s_clause 0x1
	flat_load_ushort v50, v[50:51]
	flat_load_ushort v51, v[52:53]
	s_waitcnt vmcnt(0) lgkmcnt(0)
	v_cmp_ge_i16_e64 s8, v50, v51
	s_and_b32 vcc_hi, s8, exec_lo
.LBB1044_2382:                          ;   in Loop: Header=BB1044_2296 Depth=1
	s_or_b32 exec_lo, exec_lo, s93
	s_orn2_b32 s93, vcc_hi, exec_lo
.LBB1044_2383:                          ;   in Loop: Header=BB1044_2296 Depth=1
	s_or_b32 exec_lo, exec_lo, s95
	v_cndmask_b32_e64 v50, v48, v49, s93
	v_cndmask_b32_e64 v51, v242, v1, s93
	s_mov_b32 s95, exec_lo
	v_add_nc_u32_e32 v50, 1, v50
	v_add_nc_u32_e32 v51, -1, v51
	v_cndmask_b32_e64 v48, v50, v48, s93
	v_min_u32_e32 v51, v50, v51
	v_cndmask_b32_e64 v49, v49, v50, s93
	v_lshlrev_b32_e32 v51, 1, v51
	ds_read_u16 v51, v51
	s_waitcnt lgkmcnt(0)
	v_cndmask_b32_e64 v66, v51, v67, s93
	v_cndmask_b32_e64 v62, v61, v51, s93
	v_cmpx_lt_u32_e64 v48, v242
	s_cbranch_execz .LBB1044_2387
; %bb.2384:                             ;   in Loop: Header=BB1044_2296 Depth=1
	s_mov_b32 vcc_hi, 0
	s_mov_b32 s94, exec_lo
	v_cmpx_lt_u32_e64 v49, v1
	s_cbranch_execz .LBB1044_2386
; %bb.2385:                             ;   in Loop: Header=BB1044_2296 Depth=1
	v_bfe_i32 v50, v66, 0, 16
	v_bfe_i32 v52, v62, 0, 16
	v_ashrrev_i32_e32 v51, 31, v50
	v_ashrrev_i32_e32 v53, 31, v52
	v_lshlrev_b64 v[50:51], 1, v[50:51]
	v_lshlrev_b64 v[52:53], 1, v[52:53]
	v_add_co_u32 v50, s8, v6, v50
	v_add_co_ci_u32_e64 v51, null, v7, v51, s8
	v_add_co_u32 v52, s8, v6, v52
	v_add_co_ci_u32_e64 v53, null, v7, v53, s8
	s_clause 0x1
	flat_load_ushort v50, v[50:51]
	flat_load_ushort v51, v[52:53]
	s_waitcnt vmcnt(0) lgkmcnt(0)
	v_cmp_ge_i16_e64 s8, v50, v51
	s_and_b32 vcc_hi, s8, exec_lo
.LBB1044_2386:                          ;   in Loop: Header=BB1044_2296 Depth=1
	s_or_b32 exec_lo, exec_lo, s94
	s_orn2_b32 s94, vcc_hi, exec_lo
.LBB1044_2387:                          ;   in Loop: Header=BB1044_2296 Depth=1
	s_or_b32 exec_lo, exec_lo, s95
	v_cndmask_b32_e64 v50, v48, v49, s94
	v_cndmask_b32_e64 v51, v242, v1, s94
	s_mov_b32 vcc_hi, -1
	s_mov_b32 s95, -1
	s_mov_b32 s30, exec_lo
	v_add_nc_u32_e32 v50, 1, v50
	v_add_nc_u32_e32 v51, -1, v51
	v_cndmask_b32_e64 v48, v50, v48, s94
	v_min_u32_e32 v51, v50, v51
	v_cndmask_b32_e64 v49, v49, v50, s94
	v_lshlrev_b32_e32 v51, 1, v51
	ds_read_u16 v51, v51
	s_waitcnt lgkmcnt(0)
	v_cndmask_b32_e64 v65, v51, v66, s94
	v_cndmask_b32_e64 v63, v62, v51, s94
	v_cmpx_lt_u32_e64 v48, v242
	s_cbranch_execz .LBB1044_2391
; %bb.2388:                             ;   in Loop: Header=BB1044_2296 Depth=1
	s_mov_b32 s31, 0
	s_mov_b32 s95, exec_lo
	v_cmpx_lt_u32_e64 v49, v1
	s_cbranch_execz .LBB1044_2390
; %bb.2389:                             ;   in Loop: Header=BB1044_2296 Depth=1
	v_bfe_i32 v50, v65, 0, 16
	v_bfe_i32 v52, v63, 0, 16
	v_ashrrev_i32_e32 v51, 31, v50
	v_ashrrev_i32_e32 v53, 31, v52
	v_lshlrev_b64 v[50:51], 1, v[50:51]
	v_lshlrev_b64 v[52:53], 1, v[52:53]
	v_add_co_u32 v50, s8, v6, v50
	v_add_co_ci_u32_e64 v51, null, v7, v51, s8
	v_add_co_u32 v52, s8, v6, v52
	v_add_co_ci_u32_e64 v53, null, v7, v53, s8
	s_clause 0x1
	flat_load_ushort v50, v[50:51]
	flat_load_ushort v51, v[52:53]
	s_waitcnt vmcnt(0) lgkmcnt(0)
	v_cmp_ge_i16_e64 s8, v50, v51
	s_and_b32 s31, s8, exec_lo
.LBB1044_2390:                          ;   in Loop: Header=BB1044_2296 Depth=1
	s_or_b32 exec_lo, exec_lo, s95
	s_orn2_b32 s95, s31, exec_lo
.LBB1044_2391:                          ;   in Loop: Header=BB1044_2296 Depth=1
	s_or_b32 exec_lo, exec_lo, s30
	v_cndmask_b32_e64 v50, v48, v49, s95
	v_cndmask_b32_e64 v51, v242, v1, s95
	s_mov_b32 s30, exec_lo
	v_add_nc_u32_e32 v50, 1, v50
	v_add_nc_u32_e32 v51, -1, v51
	v_cndmask_b32_e64 v48, v50, v48, s95
	v_min_u32_e32 v51, v50, v51
	v_cndmask_b32_e64 v49, v49, v50, s95
	v_lshlrev_b32_e32 v51, 1, v51
	ds_read_u16 v51, v51
	s_waitcnt lgkmcnt(0)
	v_cndmask_b32_e64 v55, v51, v65, s95
	v_cndmask_b32_e64 v72, v63, v51, s95
	v_cmpx_lt_u32_e64 v48, v242
	s_cbranch_execz .LBB1044_2395
; %bb.2392:                             ;   in Loop: Header=BB1044_2296 Depth=1
	s_mov_b32 s31, 0
	s_mov_b32 vcc_hi, exec_lo
	v_cmpx_lt_u32_e64 v49, v1
	s_cbranch_execz .LBB1044_2394
; %bb.2393:                             ;   in Loop: Header=BB1044_2296 Depth=1
	v_bfe_i32 v50, v55, 0, 16
	v_bfe_i32 v52, v72, 0, 16
	v_ashrrev_i32_e32 v51, 31, v50
	v_ashrrev_i32_e32 v53, 31, v52
	v_lshlrev_b64 v[50:51], 1, v[50:51]
	v_lshlrev_b64 v[52:53], 1, v[52:53]
	v_add_co_u32 v50, s8, v6, v50
	v_add_co_ci_u32_e64 v51, null, v7, v51, s8
	v_add_co_u32 v52, s8, v6, v52
	v_add_co_ci_u32_e64 v53, null, v7, v53, s8
	s_clause 0x1
	flat_load_ushort v50, v[50:51]
	flat_load_ushort v51, v[52:53]
	s_waitcnt vmcnt(0) lgkmcnt(0)
	v_cmp_ge_i16_e64 s8, v50, v51
	s_and_b32 s31, s8, exec_lo
.LBB1044_2394:                          ;   in Loop: Header=BB1044_2296 Depth=1
	s_or_b32 exec_lo, exec_lo, vcc_hi
	s_orn2_b32 vcc_hi, s31, exec_lo
.LBB1044_2395:                          ;   in Loop: Header=BB1044_2296 Depth=1
	s_or_b32 exec_lo, exec_lo, s30
	v_cndmask_b32_e64 v50, v48, v49, vcc_hi
	v_cndmask_b32_e64 v51, v242, v1, vcc_hi
	s_mov_b32 s31, -1
	s_mov_b32 s30, -1
	s_mov_b32 s34, exec_lo
	v_add_nc_u32_e32 v50, 1, v50
	v_add_nc_u32_e32 v51, -1, v51
	v_cndmask_b32_e64 v48, v50, v48, vcc_hi
	v_min_u32_e32 v51, v50, v51
	v_cndmask_b32_e64 v49, v49, v50, vcc_hi
	v_lshlrev_b32_e32 v51, 1, v51
	ds_read_u16 v51, v51
	s_waitcnt lgkmcnt(0)
	v_cndmask_b32_e64 v54, v51, v55, vcc_hi
	v_cndmask_b32_e64 v73, v72, v51, vcc_hi
	v_cmpx_lt_u32_e64 v48, v242
	s_cbranch_execz .LBB1044_2399
; %bb.2396:                             ;   in Loop: Header=BB1044_2296 Depth=1
	s_mov_b32 s35, 0
	s_mov_b32 s30, exec_lo
	v_cmpx_lt_u32_e64 v49, v1
	s_cbranch_execz .LBB1044_2398
; %bb.2397:                             ;   in Loop: Header=BB1044_2296 Depth=1
	v_bfe_i32 v50, v54, 0, 16
	v_bfe_i32 v52, v73, 0, 16
	v_ashrrev_i32_e32 v51, 31, v50
	v_ashrrev_i32_e32 v53, 31, v52
	v_lshlrev_b64 v[50:51], 1, v[50:51]
	v_lshlrev_b64 v[52:53], 1, v[52:53]
	v_add_co_u32 v50, s8, v6, v50
	v_add_co_ci_u32_e64 v51, null, v7, v51, s8
	v_add_co_u32 v52, s8, v6, v52
	v_add_co_ci_u32_e64 v53, null, v7, v53, s8
	s_clause 0x1
	flat_load_ushort v50, v[50:51]
	flat_load_ushort v51, v[52:53]
	s_waitcnt vmcnt(0) lgkmcnt(0)
	v_cmp_ge_i16_e64 s8, v50, v51
	s_and_b32 s35, s8, exec_lo
.LBB1044_2398:                          ;   in Loop: Header=BB1044_2296 Depth=1
	s_or_b32 exec_lo, exec_lo, s30
	s_orn2_b32 s30, s35, exec_lo
.LBB1044_2399:                          ;   in Loop: Header=BB1044_2296 Depth=1
	s_or_b32 exec_lo, exec_lo, s34
	v_cndmask_b32_e64 v50, v48, v49, s30
	v_cndmask_b32_e64 v51, v242, v1, s30
	s_mov_b32 s34, exec_lo
	v_add_nc_u32_e32 v50, 1, v50
	v_add_nc_u32_e32 v51, -1, v51
	v_cndmask_b32_e64 v48, v50, v48, s30
	v_min_u32_e32 v51, v50, v51
	v_cndmask_b32_e64 v49, v49, v50, s30
	v_lshlrev_b32_e32 v51, 1, v51
	ds_read_u16 v51, v51
	s_waitcnt lgkmcnt(0)
	v_cndmask_b32_e64 v53, v51, v54, s30
	v_cndmask_b32_e64 v74, v73, v51, s30
	v_cmpx_lt_u32_e64 v48, v242
	s_cbranch_execz .LBB1044_2403
; %bb.2400:                             ;   in Loop: Header=BB1044_2296 Depth=1
	s_mov_b32 s35, 0
	s_mov_b32 s31, exec_lo
	v_cmpx_lt_u32_e64 v49, v1
	s_cbranch_execz .LBB1044_2402
; %bb.2401:                             ;   in Loop: Header=BB1044_2296 Depth=1
	v_bfe_i32 v50, v53, 0, 16
	v_bfe_i32 v75, v74, 0, 16
	v_ashrrev_i32_e32 v51, 31, v50
	v_ashrrev_i32_e32 v76, 31, v75
	v_lshlrev_b64 v[50:51], 1, v[50:51]
	v_lshlrev_b64 v[75:76], 1, v[75:76]
	v_add_co_u32 v50, s8, v6, v50
	v_add_co_ci_u32_e64 v51, null, v7, v51, s8
	v_add_co_u32 v75, s8, v6, v75
	v_add_co_ci_u32_e64 v76, null, v7, v76, s8
	s_clause 0x1
	flat_load_ushort v50, v[50:51]
	flat_load_ushort v51, v[75:76]
	s_waitcnt vmcnt(0) lgkmcnt(0)
	v_cmp_ge_i16_e64 s8, v50, v51
	s_and_b32 s35, s8, exec_lo
.LBB1044_2402:                          ;   in Loop: Header=BB1044_2296 Depth=1
	s_or_b32 exec_lo, exec_lo, s31
	s_orn2_b32 s31, s35, exec_lo
.LBB1044_2403:                          ;   in Loop: Header=BB1044_2296 Depth=1
	s_or_b32 exec_lo, exec_lo, s34
	v_cndmask_b32_e64 v50, v48, v49, s31
	v_cndmask_b32_e64 v51, v242, v1, s31
	s_mov_b32 s35, -1
	s_mov_b32 s34, -1
	s_mov_b32 s38, exec_lo
	v_add_nc_u32_e32 v50, 1, v50
	v_add_nc_u32_e32 v51, -1, v51
	v_cndmask_b32_e64 v48, v50, v48, s31
	v_min_u32_e32 v51, v50, v51
	v_cndmask_b32_e64 v49, v49, v50, s31
	v_lshlrev_b32_e32 v51, 1, v51
	ds_read_u16 v51, v51
	s_waitcnt lgkmcnt(0)
	v_cndmask_b32_e64 v64, v51, v53, s31
	v_cndmask_b32_e64 v75, v74, v51, s31
	v_cmpx_lt_u32_e64 v48, v242
	s_cbranch_execz .LBB1044_2407
; %bb.2404:                             ;   in Loop: Header=BB1044_2296 Depth=1
	s_mov_b32 s39, 0
	s_mov_b32 s34, exec_lo
	v_cmpx_lt_u32_e64 v49, v1
	s_cbranch_execz .LBB1044_2406
; %bb.2405:                             ;   in Loop: Header=BB1044_2296 Depth=1
	v_bfe_i32 v50, v64, 0, 16
	v_bfe_i32 v76, v75, 0, 16
	v_ashrrev_i32_e32 v51, 31, v50
	v_ashrrev_i32_e32 v77, 31, v76
	v_lshlrev_b64 v[50:51], 1, v[50:51]
	v_lshlrev_b64 v[76:77], 1, v[76:77]
	v_add_co_u32 v50, s8, v6, v50
	v_add_co_ci_u32_e64 v51, null, v7, v51, s8
	v_add_co_u32 v76, s8, v6, v76
	v_add_co_ci_u32_e64 v77, null, v7, v77, s8
	s_clause 0x1
	flat_load_ushort v50, v[50:51]
	flat_load_ushort v51, v[76:77]
	s_waitcnt vmcnt(0) lgkmcnt(0)
	v_cmp_ge_i16_e64 s8, v50, v51
	s_and_b32 s39, s8, exec_lo
.LBB1044_2406:                          ;   in Loop: Header=BB1044_2296 Depth=1
	s_or_b32 exec_lo, exec_lo, s34
	s_orn2_b32 s34, s39, exec_lo
.LBB1044_2407:                          ;   in Loop: Header=BB1044_2296 Depth=1
	s_or_b32 exec_lo, exec_lo, s38
	v_cndmask_b32_e64 v50, v48, v49, s34
	v_cndmask_b32_e64 v51, v242, v1, s34
	s_mov_b32 s38, exec_lo
	v_add_nc_u32_e32 v50, 1, v50
	v_add_nc_u32_e32 v51, -1, v51
	v_cndmask_b32_e64 v48, v50, v48, s34
	v_min_u32_e32 v51, v50, v51
	v_cndmask_b32_e64 v49, v49, v50, s34
	v_lshlrev_b32_e32 v51, 1, v51
	ds_read_u16 v51, v51
	s_waitcnt lgkmcnt(0)
	v_cndmask_b32_e64 v52, v51, v64, s34
	v_cndmask_b32_e64 v76, v75, v51, s34
	v_cmpx_lt_u32_e64 v48, v242
	s_cbranch_execz .LBB1044_2411
; %bb.2408:                             ;   in Loop: Header=BB1044_2296 Depth=1
	s_mov_b32 s39, 0
	s_mov_b32 s35, exec_lo
	v_cmpx_lt_u32_e64 v49, v1
	s_cbranch_execz .LBB1044_2410
; %bb.2409:                             ;   in Loop: Header=BB1044_2296 Depth=1
	v_bfe_i32 v50, v52, 0, 16
	v_bfe_i32 v77, v76, 0, 16
	v_ashrrev_i32_e32 v51, 31, v50
	v_ashrrev_i32_e32 v78, 31, v77
	v_lshlrev_b64 v[50:51], 1, v[50:51]
	v_lshlrev_b64 v[77:78], 1, v[77:78]
	v_add_co_u32 v50, s8, v6, v50
	v_add_co_ci_u32_e64 v51, null, v7, v51, s8
	v_add_co_u32 v77, s8, v6, v77
	v_add_co_ci_u32_e64 v78, null, v7, v78, s8
	s_clause 0x1
	flat_load_ushort v50, v[50:51]
	flat_load_ushort v51, v[77:78]
	s_waitcnt vmcnt(0) lgkmcnt(0)
	v_cmp_ge_i16_e64 s8, v50, v51
	s_and_b32 s39, s8, exec_lo
.LBB1044_2410:                          ;   in Loop: Header=BB1044_2296 Depth=1
	s_or_b32 exec_lo, exec_lo, s35
	s_orn2_b32 s35, s39, exec_lo
.LBB1044_2411:                          ;   in Loop: Header=BB1044_2296 Depth=1
	s_or_b32 exec_lo, exec_lo, s38
	v_cndmask_b32_e64 v50, v48, v49, s35
	v_cndmask_b32_e64 v51, v242, v1, s35
	s_mov_b32 s39, -1
	s_mov_b32 s38, -1
	s_mov_b32 s48, exec_lo
	v_add_nc_u32_e32 v50, 1, v50
	v_add_nc_u32_e32 v51, -1, v51
	v_cndmask_b32_e64 v48, v50, v48, s35
	v_min_u32_e32 v51, v50, v51
	v_cndmask_b32_e64 v49, v49, v50, s35
	v_lshlrev_b32_e32 v51, 1, v51
	ds_read_u16 v77, v51
	s_waitcnt lgkmcnt(0)
	v_cndmask_b32_e64 v51, v77, v52, s35
	v_cndmask_b32_e64 v77, v76, v77, s35
	v_cmpx_lt_u32_e64 v48, v242
	s_cbranch_execz .LBB1044_2415
; %bb.2412:                             ;   in Loop: Header=BB1044_2296 Depth=1
	s_mov_b32 s49, 0
	s_mov_b32 s38, exec_lo
	v_cmpx_lt_u32_e64 v49, v1
	s_cbranch_execz .LBB1044_2414
; %bb.2413:                             ;   in Loop: Header=BB1044_2296 Depth=1
	v_bfe_i32 v78, v51, 0, 16
	v_bfe_i32 v88, v77, 0, 16
	v_ashrrev_i32_e32 v79, 31, v78
	v_ashrrev_i32_e32 v89, 31, v88
	v_lshlrev_b64 v[78:79], 1, v[78:79]
	v_lshlrev_b64 v[88:89], 1, v[88:89]
	v_add_co_u32 v78, s8, v6, v78
	v_add_co_ci_u32_e64 v79, null, v7, v79, s8
	v_add_co_u32 v88, s8, v6, v88
	v_add_co_ci_u32_e64 v89, null, v7, v89, s8
	s_clause 0x1
	flat_load_ushort v50, v[78:79]
	flat_load_ushort v78, v[88:89]
	s_waitcnt vmcnt(0) lgkmcnt(0)
	v_cmp_ge_i16_e64 s8, v50, v78
	s_and_b32 s49, s8, exec_lo
.LBB1044_2414:                          ;   in Loop: Header=BB1044_2296 Depth=1
	s_or_b32 exec_lo, exec_lo, s38
	s_orn2_b32 s38, s49, exec_lo
.LBB1044_2415:                          ;   in Loop: Header=BB1044_2296 Depth=1
	s_or_b32 exec_lo, exec_lo, s48
	v_cndmask_b32_e64 v50, v48, v49, s38
	v_cndmask_b32_e64 v78, v242, v1, s38
	s_mov_b32 s48, exec_lo
	v_add_nc_u32_e32 v50, 1, v50
	v_add_nc_u32_e32 v78, -1, v78
	v_cndmask_b32_e64 v48, v50, v48, s38
	v_min_u32_e32 v78, v50, v78
	v_cndmask_b32_e64 v49, v49, v50, s38
	v_lshlrev_b32_e32 v78, 1, v78
	ds_read_u16 v78, v78
	s_waitcnt lgkmcnt(0)
	v_cndmask_b32_e64 v50, v78, v51, s38
	v_cndmask_b32_e64 v78, v77, v78, s38
	v_cmpx_lt_u32_e64 v48, v242
	s_cbranch_execz .LBB1044_2419
; %bb.2416:                             ;   in Loop: Header=BB1044_2296 Depth=1
	s_mov_b32 s49, 0
	s_mov_b32 s39, exec_lo
	v_cmpx_lt_u32_e64 v49, v1
	s_cbranch_execz .LBB1044_2418
; %bb.2417:                             ;   in Loop: Header=BB1044_2296 Depth=1
	v_bfe_i32 v88, v50, 0, 16
	v_bfe_i32 v90, v78, 0, 16
	v_ashrrev_i32_e32 v89, 31, v88
	v_ashrrev_i32_e32 v91, 31, v90
	v_lshlrev_b64 v[88:89], 1, v[88:89]
	v_lshlrev_b64 v[90:91], 1, v[90:91]
	v_add_co_u32 v88, s8, v6, v88
	v_add_co_ci_u32_e64 v89, null, v7, v89, s8
	v_add_co_u32 v90, s8, v6, v90
	v_add_co_ci_u32_e64 v91, null, v7, v91, s8
	s_clause 0x1
	flat_load_ushort v79, v[88:89]
	flat_load_ushort v88, v[90:91]
	s_waitcnt vmcnt(0) lgkmcnt(0)
	v_cmp_ge_i16_e64 s8, v79, v88
	s_and_b32 s49, s8, exec_lo
.LBB1044_2418:                          ;   in Loop: Header=BB1044_2296 Depth=1
	s_or_b32 exec_lo, exec_lo, s39
	s_orn2_b32 s39, s49, exec_lo
.LBB1044_2419:                          ;   in Loop: Header=BB1044_2296 Depth=1
	s_or_b32 exec_lo, exec_lo, s48
	v_cndmask_b32_e64 v79, v48, v49, s39
	v_cndmask_b32_e64 v88, v242, v1, s39
	s_mov_b32 s48, -1
	s_mov_b32 s49, -1
	s_mov_b32 s50, exec_lo
	v_add_nc_u32_e32 v79, 1, v79
	v_add_nc_u32_e32 v88, -1, v88
	v_cndmask_b32_e64 v48, v79, v48, s39
	v_min_u32_e32 v88, v79, v88
	v_lshlrev_b32_e32 v88, 1, v88
	ds_read_u16 v89, v88
	v_cndmask_b32_e64 v88, v49, v79, s39
	s_waitcnt lgkmcnt(0)
	v_cndmask_b32_e64 v49, v89, v50, s39
	v_cndmask_b32_e64 v79, v78, v89, s39
	v_cmpx_lt_u32_e64 v48, v242
	s_cbranch_execz .LBB1044_2423
; %bb.2420:                             ;   in Loop: Header=BB1044_2296 Depth=1
	s_mov_b32 s51, 0
	s_mov_b32 s49, exec_lo
	v_cmpx_lt_u32_e64 v88, v1
	s_cbranch_execz .LBB1044_2422
; %bb.2421:                             ;   in Loop: Header=BB1044_2296 Depth=1
	v_bfe_i32 v89, v49, 0, 16
	v_bfe_i32 v91, v79, 0, 16
	v_ashrrev_i32_e32 v90, 31, v89
	v_ashrrev_i32_e32 v92, 31, v91
	v_lshlrev_b64 v[89:90], 1, v[89:90]
	v_lshlrev_b64 v[91:92], 1, v[91:92]
	v_add_co_u32 v89, s8, v6, v89
	v_add_co_ci_u32_e64 v90, null, v7, v90, s8
	v_add_co_u32 v91, s8, v6, v91
	v_add_co_ci_u32_e64 v92, null, v7, v92, s8
	s_clause 0x1
	flat_load_ushort v89, v[89:90]
	flat_load_ushort v90, v[91:92]
	s_waitcnt vmcnt(0) lgkmcnt(0)
	v_cmp_ge_i16_e64 s8, v89, v90
	s_and_b32 s51, s8, exec_lo
.LBB1044_2422:                          ;   in Loop: Header=BB1044_2296 Depth=1
	s_or_b32 exec_lo, exec_lo, s49
	s_orn2_b32 s49, s51, exec_lo
.LBB1044_2423:                          ;   in Loop: Header=BB1044_2296 Depth=1
	s_or_b32 exec_lo, exec_lo, s50
	v_cndmask_b32_e64 v89, v48, v88, s49
	v_cndmask_b32_e64 v90, v242, v1, s49
	s_mov_b32 s50, exec_lo
	v_add_nc_u32_e32 v89, 1, v89
	v_add_nc_u32_e32 v90, -1, v90
	v_cndmask_b32_e64 v48, v89, v48, s49
	v_min_u32_e32 v90, v89, v90
	v_lshlrev_b32_e32 v90, 1, v90
	ds_read_u16 v91, v90
	v_cndmask_b32_e64 v90, v88, v89, s49
	s_waitcnt lgkmcnt(0)
	v_cndmask_b32_e64 v88, v91, v49, s49
	v_cndmask_b32_e64 v89, v79, v91, s49
	v_cmpx_lt_u32_e64 v48, v242
	s_cbranch_execz .LBB1044_2427
; %bb.2424:                             ;   in Loop: Header=BB1044_2296 Depth=1
	s_mov_b32 s51, 0
	s_mov_b32 s48, exec_lo
	v_cmpx_lt_u32_e64 v90, v1
	s_cbranch_execz .LBB1044_2426
; %bb.2425:                             ;   in Loop: Header=BB1044_2296 Depth=1
	v_bfe_i32 v91, v88, 0, 16
	v_bfe_i32 v93, v89, 0, 16
	v_ashrrev_i32_e32 v92, 31, v91
	v_ashrrev_i32_e32 v94, 31, v93
	v_lshlrev_b64 v[91:92], 1, v[91:92]
	v_lshlrev_b64 v[93:94], 1, v[93:94]
	v_add_co_u32 v91, s8, v6, v91
	v_add_co_ci_u32_e64 v92, null, v7, v92, s8
	v_add_co_u32 v93, s8, v6, v93
	v_add_co_ci_u32_e64 v94, null, v7, v94, s8
	s_clause 0x1
	flat_load_ushort v91, v[91:92]
	flat_load_ushort v92, v[93:94]
	s_waitcnt vmcnt(0) lgkmcnt(0)
	v_cmp_ge_i16_e64 s8, v91, v92
	s_and_b32 s51, s8, exec_lo
.LBB1044_2426:                          ;   in Loop: Header=BB1044_2296 Depth=1
	s_or_b32 exec_lo, exec_lo, s48
	s_orn2_b32 s48, s51, exec_lo
.LBB1044_2427:                          ;   in Loop: Header=BB1044_2296 Depth=1
	s_or_b32 exec_lo, exec_lo, s50
	v_cndmask_b32_e64 v91, v48, v90, s48
	v_cndmask_b32_e64 v92, v242, v1, s48
	s_mov_b32 s50, exec_lo
	v_add_nc_u32_e32 v91, 1, v91
	v_add_nc_u32_e32 v92, -1, v92
	v_cndmask_b32_e64 v93, v91, v48, s48
	v_min_u32_e32 v92, v91, v92
	v_lshlrev_b32_e32 v92, 1, v92
	ds_read_u16 v92, v92
	s_waitcnt lgkmcnt(0)
	v_cndmask_b32_e64 v48, v89, v92, s48
	v_cmpx_lt_u32_e64 v93, v242
	s_cbranch_execz .LBB1044_2294
; %bb.2428:                             ;   in Loop: Header=BB1044_2296 Depth=1
	v_cndmask_b32_e64 v90, v90, v91, s48
	v_cndmask_b32_e64 v242, v92, v88, s48
	s_mov_b32 s51, exec_lo
	v_cmpx_lt_u32_e64 v90, v1
	s_cbranch_execz .LBB1044_2293
; %bb.2429:                             ;   in Loop: Header=BB1044_2296 Depth=1
	v_bfe_i32 v90, v242, 0, 16
	v_bfe_i32 v92, v48, 0, 16
	v_ashrrev_i32_e32 v91, 31, v90
	v_ashrrev_i32_e32 v93, 31, v92
	v_lshlrev_b64 v[90:91], 1, v[90:91]
	v_lshlrev_b64 v[92:93], 1, v[92:93]
	v_add_co_u32 v90, s8, v6, v90
	v_add_co_ci_u32_e64 v91, null, v7, v91, s8
	v_add_co_u32 v92, s8, v6, v92
	v_add_co_ci_u32_e64 v93, null, v7, v93, s8
	s_clause 0x1
	flat_load_ushort v1, v[90:91]
	flat_load_ushort v90, v[92:93]
	s_waitcnt vmcnt(0) lgkmcnt(0)
	v_cmp_lt_i16_e64 s8, v1, v90
	v_cndmask_b32_e64 v242, v48, v242, s8
	s_branch .LBB1044_2293
.LBB1044_2430:
	s_or_b32 exec_lo, exec_lo, s57
.LBB1044_2431:
	s_or_b32 exec_lo, exec_lo, s12
	s_barrier
	buffer_gl0_inv
	ds_write_b16 v39, v99
	ds_write_b16 v115, v102
	;; [unrolled: 1-line block ×32, first 2 shown]
	s_waitcnt lgkmcnt(0)
	s_barrier
	buffer_gl0_inv
	ds_read_u16 v70, v113
	ds_read_u16 v69, v114
	;; [unrolled: 1-line block ×31, first 2 shown]
	v_add_co_u32 v0, s8, v4, v10
	v_mov_b32_e32 v9, 0
	v_add_co_ci_u32_e64 v1, null, 0, v5, s8
	s_and_saveexec_b32 s8, vcc_lo
	s_cbranch_execz .LBB1044_2464
; %bb.2432:
	ds_read_u16 v3, v3
	s_waitcnt lgkmcnt(0)
	flat_store_short v[0:1], v3
	s_or_b32 exec_lo, exec_lo, s8
	s_and_saveexec_b32 s8, s4
	s_cbranch_execnz .LBB1044_2465
.LBB1044_2433:
	s_or_b32 exec_lo, exec_lo, s8
	s_and_saveexec_b32 s4, s5
	s_cbranch_execz .LBB1044_2466
.LBB1044_2434:
	s_waitcnt lgkmcnt(29)
	flat_store_short v[0:1], v69 offset:1024
	s_or_b32 exec_lo, exec_lo, s4
	s_and_saveexec_b32 s4, s6
	s_cbranch_execnz .LBB1044_2467
.LBB1044_2435:
	s_or_b32 exec_lo, exec_lo, s4
	s_and_saveexec_b32 s4, s7
	s_cbranch_execz .LBB1044_2468
.LBB1044_2436:
	v_add_co_u32 v23, vcc_lo, 0x800, v0
	v_add_co_ci_u32_e64 v24, null, 0, v1, vcc_lo
	s_waitcnt lgkmcnt(27)
	flat_store_short v[23:24], v67
	s_or_b32 exec_lo, exec_lo, s4
	s_and_saveexec_b32 s4, s10
	s_cbranch_execnz .LBB1044_2469
.LBB1044_2437:
	s_or_b32 exec_lo, exec_lo, s4
	s_and_saveexec_b32 s4, s11
	s_cbranch_execz .LBB1044_2470
.LBB1044_2438:
	v_add_co_u32 v23, vcc_lo, 0x800, v0
	v_add_co_ci_u32_e64 v24, null, 0, v1, vcc_lo
	s_waitcnt lgkmcnt(25)
	flat_store_short v[23:24], v65 offset:1024
	s_or_b32 exec_lo, exec_lo, s4
	s_and_saveexec_b32 s4, s47
	s_cbranch_execnz .LBB1044_2471
.LBB1044_2439:
	s_or_b32 exec_lo, exec_lo, s4
	s_and_saveexec_b32 s4, s56
	s_cbranch_execz .LBB1044_2472
.LBB1044_2440:
	v_add_co_u32 v23, vcc_lo, 0x1000, v0
	v_add_co_ci_u32_e64 v24, null, 0, v1, vcc_lo
	s_waitcnt lgkmcnt(23)
	flat_store_short v[23:24], v55
	s_or_b32 exec_lo, exec_lo, s4
	s_and_saveexec_b32 s4, s14
	s_cbranch_execnz .LBB1044_2473
.LBB1044_2441:
	s_or_b32 exec_lo, exec_lo, s4
	s_and_saveexec_b32 s4, s15
	s_cbranch_execz .LBB1044_2474
.LBB1044_2442:
	v_add_co_u32 v23, vcc_lo, 0x1000, v0
	v_add_co_ci_u32_e64 v24, null, 0, v1, vcc_lo
	s_waitcnt lgkmcnt(21)
	flat_store_short v[23:24], v53 offset:1024
	s_or_b32 exec_lo, exec_lo, s4
	s_and_saveexec_b32 s4, s16
	s_cbranch_execnz .LBB1044_2475
.LBB1044_2443:
	s_or_b32 exec_lo, exec_lo, s4
	s_and_saveexec_b32 s4, s17
	s_cbranch_execz .LBB1044_2476
.LBB1044_2444:
	v_add_co_u32 v23, vcc_lo, 0x1800, v0
	v_add_co_ci_u32_e64 v24, null, 0, v1, vcc_lo
	s_waitcnt lgkmcnt(19)
	flat_store_short v[23:24], v50
	s_or_b32 exec_lo, exec_lo, s4
	s_and_saveexec_b32 s4, s18
	s_cbranch_execnz .LBB1044_2477
.LBB1044_2445:
	s_or_b32 exec_lo, exec_lo, s4
	s_and_saveexec_b32 s4, s19
	s_cbranch_execz .LBB1044_2478
.LBB1044_2446:
	v_add_co_u32 v23, vcc_lo, 0x1800, v0
	v_add_co_ci_u32_e64 v24, null, 0, v1, vcc_lo
	s_waitcnt lgkmcnt(17)
	flat_store_short v[23:24], v48 offset:1024
	s_or_b32 exec_lo, exec_lo, s4
	s_and_saveexec_b32 s4, s20
	s_cbranch_execnz .LBB1044_2479
.LBB1044_2447:
	s_or_b32 exec_lo, exec_lo, s4
	s_and_saveexec_b32 s4, s21
	s_cbranch_execz .LBB1044_2480
.LBB1044_2448:
	v_add_co_u32 v23, vcc_lo, 0x2000, v0
	v_add_co_ci_u32_e64 v24, null, 0, v1, vcc_lo
	s_waitcnt lgkmcnt(15)
	flat_store_short v[23:24], v22
	s_or_b32 exec_lo, exec_lo, s4
	s_and_saveexec_b32 s4, s22
	s_cbranch_execnz .LBB1044_2481
.LBB1044_2449:
	s_or_b32 exec_lo, exec_lo, s4
	s_and_saveexec_b32 s4, s23
	s_cbranch_execz .LBB1044_2482
.LBB1044_2450:
	s_waitcnt lgkmcnt(14)
	v_add_co_u32 v21, vcc_lo, 0x2000, v0
	v_add_co_ci_u32_e64 v22, null, 0, v1, vcc_lo
	s_waitcnt lgkmcnt(13)
	flat_store_short v[21:22], v20 offset:1024
	s_or_b32 exec_lo, exec_lo, s4
	s_and_saveexec_b32 s4, s24
	s_cbranch_execnz .LBB1044_2483
.LBB1044_2451:
	s_or_b32 exec_lo, exec_lo, s4
	s_and_saveexec_b32 s4, s25
	s_cbranch_execz .LBB1044_2484
.LBB1044_2452:
	s_waitcnt lgkmcnt(12)
	v_add_co_u32 v19, vcc_lo, 0x2800, v0
	v_add_co_ci_u32_e64 v20, null, 0, v1, vcc_lo
	s_waitcnt lgkmcnt(11)
	flat_store_short v[19:20], v18
	s_or_b32 exec_lo, exec_lo, s4
	s_and_saveexec_b32 s4, s26
	s_cbranch_execnz .LBB1044_2485
.LBB1044_2453:
	s_or_b32 exec_lo, exec_lo, s4
	s_and_saveexec_b32 s4, s27
	s_cbranch_execz .LBB1044_2486
.LBB1044_2454:
	s_waitcnt lgkmcnt(10)
	v_add_co_u32 v17, vcc_lo, 0x2800, v0
	v_add_co_ci_u32_e64 v18, null, 0, v1, vcc_lo
	s_waitcnt lgkmcnt(9)
	flat_store_short v[17:18], v16 offset:1024
	s_or_b32 exec_lo, exec_lo, s4
	s_and_saveexec_b32 s4, s28
	s_cbranch_execnz .LBB1044_2487
.LBB1044_2455:
	s_or_b32 exec_lo, exec_lo, s4
	s_and_saveexec_b32 s4, s29
	s_cbranch_execz .LBB1044_2488
.LBB1044_2456:
	s_waitcnt lgkmcnt(8)
	v_add_co_u32 v15, vcc_lo, 0x3000, v0
	v_add_co_ci_u32_e64 v16, null, 0, v1, vcc_lo
	s_waitcnt lgkmcnt(7)
	flat_store_short v[15:16], v14
	s_or_b32 exec_lo, exec_lo, s4
	s_and_saveexec_b32 s4, s40
	s_cbranch_execnz .LBB1044_2489
.LBB1044_2457:
	s_or_b32 exec_lo, exec_lo, s4
	s_and_saveexec_b32 s4, s41
	s_cbranch_execz .LBB1044_2490
.LBB1044_2458:
	s_waitcnt lgkmcnt(6)
	v_add_co_u32 v13, vcc_lo, 0x3000, v0
	v_add_co_ci_u32_e64 v14, null, 0, v1, vcc_lo
	s_waitcnt lgkmcnt(5)
	flat_store_short v[13:14], v12 offset:1024
	s_or_b32 exec_lo, exec_lo, s4
	s_and_saveexec_b32 s4, s42
	s_cbranch_execnz .LBB1044_2491
.LBB1044_2459:
	s_or_b32 exec_lo, exec_lo, s4
	s_and_saveexec_b32 s4, s43
	s_cbranch_execz .LBB1044_2492
.LBB1044_2460:
	v_add_co_u32 v10, vcc_lo, 0x3800, v0
	s_waitcnt lgkmcnt(4)
	v_add_co_ci_u32_e64 v11, null, 0, v1, vcc_lo
	s_waitcnt lgkmcnt(3)
	flat_store_short v[10:11], v7
	s_or_b32 exec_lo, exec_lo, s4
	s_and_saveexec_b32 s4, s44
	s_cbranch_execnz .LBB1044_2493
.LBB1044_2461:
	s_or_b32 exec_lo, exec_lo, s4
	s_and_saveexec_b32 s4, s45
	s_cbranch_execz .LBB1044_2463
.LBB1044_2462:
	v_add_co_u32 v0, vcc_lo, 0x3800, v0
	v_add_co_ci_u32_e64 v1, null, 0, v1, vcc_lo
	s_waitcnt lgkmcnt(1)
	flat_store_short v[0:1], v2 offset:1024
.LBB1044_2463:
	s_or_b32 exec_lo, exec_lo, s4
	s_andn2_b32 s4, s36, exec_lo
	s_and_b32 s5, s46, exec_lo
	s_or_b32 s36, s4, s5
	s_or_b32 exec_lo, exec_lo, s37
	s_and_saveexec_b32 s4, s36
	s_cbranch_execnz .LBB1044_769
	s_branch .LBB1044_770
.LBB1044_2464:
	s_or_b32 exec_lo, exec_lo, s8
	s_and_saveexec_b32 s8, s4
	s_cbranch_execz .LBB1044_2433
.LBB1044_2465:
	s_waitcnt lgkmcnt(30)
	flat_store_short v[0:1], v70 offset:512
	s_or_b32 exec_lo, exec_lo, s8
	s_and_saveexec_b32 s4, s5
	s_cbranch_execnz .LBB1044_2434
.LBB1044_2466:
	s_or_b32 exec_lo, exec_lo, s4
	s_and_saveexec_b32 s4, s6
	s_cbranch_execz .LBB1044_2435
.LBB1044_2467:
	s_waitcnt lgkmcnt(28)
	flat_store_short v[0:1], v68 offset:1536
	s_or_b32 exec_lo, exec_lo, s4
	s_and_saveexec_b32 s4, s7
	s_cbranch_execnz .LBB1044_2436
.LBB1044_2468:
	s_or_b32 exec_lo, exec_lo, s4
	s_and_saveexec_b32 s4, s10
	s_cbranch_execz .LBB1044_2437
.LBB1044_2469:
	v_add_co_u32 v23, vcc_lo, 0x800, v0
	v_add_co_ci_u32_e64 v24, null, 0, v1, vcc_lo
	s_waitcnt lgkmcnt(26)
	flat_store_short v[23:24], v66 offset:512
	s_or_b32 exec_lo, exec_lo, s4
	s_and_saveexec_b32 s4, s11
	s_cbranch_execnz .LBB1044_2438
.LBB1044_2470:
	s_or_b32 exec_lo, exec_lo, s4
	s_and_saveexec_b32 s4, s47
	s_cbranch_execz .LBB1044_2439
.LBB1044_2471:
	v_add_co_u32 v23, vcc_lo, 0x800, v0
	v_add_co_ci_u32_e64 v24, null, 0, v1, vcc_lo
	s_waitcnt lgkmcnt(24)
	flat_store_short v[23:24], v64 offset:1536
	s_or_b32 exec_lo, exec_lo, s4
	s_and_saveexec_b32 s4, s56
	s_cbranch_execnz .LBB1044_2440
.LBB1044_2472:
	s_or_b32 exec_lo, exec_lo, s4
	s_and_saveexec_b32 s4, s14
	s_cbranch_execz .LBB1044_2441
.LBB1044_2473:
	v_add_co_u32 v23, vcc_lo, 0x1000, v0
	v_add_co_ci_u32_e64 v24, null, 0, v1, vcc_lo
	s_waitcnt lgkmcnt(22)
	flat_store_short v[23:24], v54 offset:512
	s_or_b32 exec_lo, exec_lo, s4
	s_and_saveexec_b32 s4, s15
	s_cbranch_execnz .LBB1044_2442
.LBB1044_2474:
	s_or_b32 exec_lo, exec_lo, s4
	s_and_saveexec_b32 s4, s16
	s_cbranch_execz .LBB1044_2443
.LBB1044_2475:
	v_add_co_u32 v23, vcc_lo, 0x1000, v0
	v_add_co_ci_u32_e64 v24, null, 0, v1, vcc_lo
	s_waitcnt lgkmcnt(20)
	flat_store_short v[23:24], v51 offset:1536
	s_or_b32 exec_lo, exec_lo, s4
	s_and_saveexec_b32 s4, s17
	s_cbranch_execnz .LBB1044_2444
.LBB1044_2476:
	s_or_b32 exec_lo, exec_lo, s4
	s_and_saveexec_b32 s4, s18
	s_cbranch_execz .LBB1044_2445
.LBB1044_2477:
	v_add_co_u32 v23, vcc_lo, 0x1800, v0
	v_add_co_ci_u32_e64 v24, null, 0, v1, vcc_lo
	s_waitcnt lgkmcnt(18)
	flat_store_short v[23:24], v49 offset:512
	s_or_b32 exec_lo, exec_lo, s4
	s_and_saveexec_b32 s4, s19
	s_cbranch_execnz .LBB1044_2446
.LBB1044_2478:
	s_or_b32 exec_lo, exec_lo, s4
	s_and_saveexec_b32 s4, s20
	s_cbranch_execz .LBB1044_2447
.LBB1044_2479:
	v_add_co_u32 v23, vcc_lo, 0x1800, v0
	v_add_co_ci_u32_e64 v24, null, 0, v1, vcc_lo
	s_waitcnt lgkmcnt(16)
	flat_store_short v[23:24], v39 offset:1536
	s_or_b32 exec_lo, exec_lo, s4
	s_and_saveexec_b32 s4, s21
	s_cbranch_execnz .LBB1044_2448
.LBB1044_2480:
	s_or_b32 exec_lo, exec_lo, s4
	s_and_saveexec_b32 s4, s22
	s_cbranch_execz .LBB1044_2449
.LBB1044_2481:
	s_waitcnt lgkmcnt(15)
	v_add_co_u32 v22, vcc_lo, 0x2000, v0
	v_add_co_ci_u32_e64 v23, null, 0, v1, vcc_lo
	s_waitcnt lgkmcnt(14)
	flat_store_short v[22:23], v21 offset:512
	s_or_b32 exec_lo, exec_lo, s4
	s_and_saveexec_b32 s4, s23
	s_cbranch_execnz .LBB1044_2450
.LBB1044_2482:
	s_or_b32 exec_lo, exec_lo, s4
	s_and_saveexec_b32 s4, s24
	s_cbranch_execz .LBB1044_2451
.LBB1044_2483:
	s_waitcnt lgkmcnt(13)
	v_add_co_u32 v20, vcc_lo, 0x2000, v0
	v_add_co_ci_u32_e64 v21, null, 0, v1, vcc_lo
	s_waitcnt lgkmcnt(12)
	flat_store_short v[20:21], v19 offset:1536
	s_or_b32 exec_lo, exec_lo, s4
	s_and_saveexec_b32 s4, s25
	s_cbranch_execnz .LBB1044_2452
.LBB1044_2484:
	s_or_b32 exec_lo, exec_lo, s4
	s_and_saveexec_b32 s4, s26
	s_cbranch_execz .LBB1044_2453
.LBB1044_2485:
	s_waitcnt lgkmcnt(11)
	v_add_co_u32 v18, vcc_lo, 0x2800, v0
	v_add_co_ci_u32_e64 v19, null, 0, v1, vcc_lo
	s_waitcnt lgkmcnt(10)
	flat_store_short v[18:19], v17 offset:512
	s_or_b32 exec_lo, exec_lo, s4
	s_and_saveexec_b32 s4, s27
	s_cbranch_execnz .LBB1044_2454
.LBB1044_2486:
	s_or_b32 exec_lo, exec_lo, s4
	s_and_saveexec_b32 s4, s28
	s_cbranch_execz .LBB1044_2455
.LBB1044_2487:
	s_waitcnt lgkmcnt(9)
	v_add_co_u32 v16, vcc_lo, 0x2800, v0
	v_add_co_ci_u32_e64 v17, null, 0, v1, vcc_lo
	s_waitcnt lgkmcnt(8)
	flat_store_short v[16:17], v15 offset:1536
	s_or_b32 exec_lo, exec_lo, s4
	s_and_saveexec_b32 s4, s29
	s_cbranch_execnz .LBB1044_2456
.LBB1044_2488:
	s_or_b32 exec_lo, exec_lo, s4
	s_and_saveexec_b32 s4, s40
	s_cbranch_execz .LBB1044_2457
.LBB1044_2489:
	s_waitcnt lgkmcnt(7)
	v_add_co_u32 v14, vcc_lo, 0x3000, v0
	v_add_co_ci_u32_e64 v15, null, 0, v1, vcc_lo
	s_waitcnt lgkmcnt(6)
	flat_store_short v[14:15], v13 offset:512
	s_or_b32 exec_lo, exec_lo, s4
	s_and_saveexec_b32 s4, s41
	s_cbranch_execnz .LBB1044_2458
.LBB1044_2490:
	s_or_b32 exec_lo, exec_lo, s4
	s_and_saveexec_b32 s4, s42
	s_cbranch_execz .LBB1044_2459
.LBB1044_2491:
	s_waitcnt lgkmcnt(5)
	v_add_co_u32 v12, vcc_lo, 0x3000, v0
	v_add_co_ci_u32_e64 v13, null, 0, v1, vcc_lo
	s_waitcnt lgkmcnt(4)
	flat_store_short v[12:13], v11 offset:1536
	s_or_b32 exec_lo, exec_lo, s4
	s_and_saveexec_b32 s4, s43
	s_cbranch_execnz .LBB1044_2460
.LBB1044_2492:
	s_or_b32 exec_lo, exec_lo, s4
	s_and_saveexec_b32 s4, s44
	s_cbranch_execz .LBB1044_2461
.LBB1044_2493:
	v_add_co_u32 v10, vcc_lo, 0x3800, v0
	s_waitcnt lgkmcnt(4)
	v_add_co_ci_u32_e64 v11, null, 0, v1, vcc_lo
	s_waitcnt lgkmcnt(2)
	flat_store_short v[10:11], v6 offset:512
	s_or_b32 exec_lo, exec_lo, s4
	s_and_saveexec_b32 s4, s45
	s_cbranch_execnz .LBB1044_2462
	s_branch .LBB1044_2463
.Lfunc_end1044:
	.size	_ZN7rocprim17ROCPRIM_400000_NS6detail15block_sort_implIsNS0_10empty_typeELj256ELj32ELNS0_4arch9wavefront6targetE0EvE4sortIN6thrust23THRUST_200600_302600_NS6detail15normal_iteratorINSA_10device_ptrIsEEEESF_PS3_SG_9comp_mod3IsEEEvjbT_T0_T1_T2_T3_RNS7_12storage_typeE, .Lfunc_end1044-_ZN7rocprim17ROCPRIM_400000_NS6detail15block_sort_implIsNS0_10empty_typeELj256ELj32ELNS0_4arch9wavefront6targetE0EvE4sortIN6thrust23THRUST_200600_302600_NS6detail15normal_iteratorINSA_10device_ptrIsEEEESF_PS3_SG_9comp_mod3IsEEEvjbT_T0_T1_T2_T3_RNS7_12storage_typeE
                                        ; -- End function
	.set .L_ZN7rocprim17ROCPRIM_400000_NS6detail15block_sort_implIsNS0_10empty_typeELj256ELj32ELNS0_4arch9wavefront6targetE0EvE4sortIN6thrust23THRUST_200600_302600_NS6detail15normal_iteratorINSA_10device_ptrIsEEEESF_PS3_SG_9comp_mod3IsEEEvjbT_T0_T1_T2_T3_RNS7_12storage_typeE.num_vgpr, 248
	.set .L_ZN7rocprim17ROCPRIM_400000_NS6detail15block_sort_implIsNS0_10empty_typeELj256ELj32ELNS0_4arch9wavefront6targetE0EvE4sortIN6thrust23THRUST_200600_302600_NS6detail15normal_iteratorINSA_10device_ptrIsEEEESF_PS3_SG_9comp_mod3IsEEEvjbT_T0_T1_T2_T3_RNS7_12storage_typeE.num_agpr, 0
	.set .L_ZN7rocprim17ROCPRIM_400000_NS6detail15block_sort_implIsNS0_10empty_typeELj256ELj32ELNS0_4arch9wavefront6targetE0EvE4sortIN6thrust23THRUST_200600_302600_NS6detail15normal_iteratorINSA_10device_ptrIsEEEESF_PS3_SG_9comp_mod3IsEEEvjbT_T0_T1_T2_T3_RNS7_12storage_typeE.numbered_sgpr, 96
	.set .L_ZN7rocprim17ROCPRIM_400000_NS6detail15block_sort_implIsNS0_10empty_typeELj256ELj32ELNS0_4arch9wavefront6targetE0EvE4sortIN6thrust23THRUST_200600_302600_NS6detail15normal_iteratorINSA_10device_ptrIsEEEESF_PS3_SG_9comp_mod3IsEEEvjbT_T0_T1_T2_T3_RNS7_12storage_typeE.num_named_barrier, 0
	.set .L_ZN7rocprim17ROCPRIM_400000_NS6detail15block_sort_implIsNS0_10empty_typeELj256ELj32ELNS0_4arch9wavefront6targetE0EvE4sortIN6thrust23THRUST_200600_302600_NS6detail15normal_iteratorINSA_10device_ptrIsEEEESF_PS3_SG_9comp_mod3IsEEEvjbT_T0_T1_T2_T3_RNS7_12storage_typeE.private_seg_size, 144
	.set .L_ZN7rocprim17ROCPRIM_400000_NS6detail15block_sort_implIsNS0_10empty_typeELj256ELj32ELNS0_4arch9wavefront6targetE0EvE4sortIN6thrust23THRUST_200600_302600_NS6detail15normal_iteratorINSA_10device_ptrIsEEEESF_PS3_SG_9comp_mod3IsEEEvjbT_T0_T1_T2_T3_RNS7_12storage_typeE.uses_vcc, 1
	.set .L_ZN7rocprim17ROCPRIM_400000_NS6detail15block_sort_implIsNS0_10empty_typeELj256ELj32ELNS0_4arch9wavefront6targetE0EvE4sortIN6thrust23THRUST_200600_302600_NS6detail15normal_iteratorINSA_10device_ptrIsEEEESF_PS3_SG_9comp_mod3IsEEEvjbT_T0_T1_T2_T3_RNS7_12storage_typeE.uses_flat_scratch, 1
	.set .L_ZN7rocprim17ROCPRIM_400000_NS6detail15block_sort_implIsNS0_10empty_typeELj256ELj32ELNS0_4arch9wavefront6targetE0EvE4sortIN6thrust23THRUST_200600_302600_NS6detail15normal_iteratorINSA_10device_ptrIsEEEESF_PS3_SG_9comp_mod3IsEEEvjbT_T0_T1_T2_T3_RNS7_12storage_typeE.has_dyn_sized_stack, 0
	.set .L_ZN7rocprim17ROCPRIM_400000_NS6detail15block_sort_implIsNS0_10empty_typeELj256ELj32ELNS0_4arch9wavefront6targetE0EvE4sortIN6thrust23THRUST_200600_302600_NS6detail15normal_iteratorINSA_10device_ptrIsEEEESF_PS3_SG_9comp_mod3IsEEEvjbT_T0_T1_T2_T3_RNS7_12storage_typeE.has_recursion, 0
	.set .L_ZN7rocprim17ROCPRIM_400000_NS6detail15block_sort_implIsNS0_10empty_typeELj256ELj32ELNS0_4arch9wavefront6targetE0EvE4sortIN6thrust23THRUST_200600_302600_NS6detail15normal_iteratorINSA_10device_ptrIsEEEESF_PS3_SG_9comp_mod3IsEEEvjbT_T0_T1_T2_T3_RNS7_12storage_typeE.has_indirect_call, 0
	.section	.AMDGPU.csdata,"",@progbits
; Function info:
; codeLenInByte = 225548
; TotalNumSgprs: 98
; NumVgprs: 248
; ScratchSize: 144
; MemoryBound: 0
	.section	.text._ZN7rocprim17ROCPRIM_400000_NS6detail17trampoline_kernelINS0_14default_configENS1_37merge_sort_block_sort_config_selectorIsNS0_10empty_typeEEEZNS1_21merge_sort_block_sortIS3_N6thrust23THRUST_200600_302600_NS6detail15normal_iteratorINS9_10device_ptrIsEEEESE_PS5_SF_9comp_mod3IsEEE10hipError_tT0_T1_T2_T3_mRjT4_P12ihipStream_tbNS1_7vsmem_tEEUlT_E_NS1_11comp_targetILNS1_3genE8ELNS1_11target_archE1030ELNS1_3gpuE2ELNS1_3repE0EEENS1_30default_config_static_selectorELNS0_4arch9wavefront6targetE0EEEvSK_,"axG",@progbits,_ZN7rocprim17ROCPRIM_400000_NS6detail17trampoline_kernelINS0_14default_configENS1_37merge_sort_block_sort_config_selectorIsNS0_10empty_typeEEEZNS1_21merge_sort_block_sortIS3_N6thrust23THRUST_200600_302600_NS6detail15normal_iteratorINS9_10device_ptrIsEEEESE_PS5_SF_9comp_mod3IsEEE10hipError_tT0_T1_T2_T3_mRjT4_P12ihipStream_tbNS1_7vsmem_tEEUlT_E_NS1_11comp_targetILNS1_3genE8ELNS1_11target_archE1030ELNS1_3gpuE2ELNS1_3repE0EEENS1_30default_config_static_selectorELNS0_4arch9wavefront6targetE0EEEvSK_,comdat
	.protected	_ZN7rocprim17ROCPRIM_400000_NS6detail17trampoline_kernelINS0_14default_configENS1_37merge_sort_block_sort_config_selectorIsNS0_10empty_typeEEEZNS1_21merge_sort_block_sortIS3_N6thrust23THRUST_200600_302600_NS6detail15normal_iteratorINS9_10device_ptrIsEEEESE_PS5_SF_9comp_mod3IsEEE10hipError_tT0_T1_T2_T3_mRjT4_P12ihipStream_tbNS1_7vsmem_tEEUlT_E_NS1_11comp_targetILNS1_3genE8ELNS1_11target_archE1030ELNS1_3gpuE2ELNS1_3repE0EEENS1_30default_config_static_selectorELNS0_4arch9wavefront6targetE0EEEvSK_ ; -- Begin function _ZN7rocprim17ROCPRIM_400000_NS6detail17trampoline_kernelINS0_14default_configENS1_37merge_sort_block_sort_config_selectorIsNS0_10empty_typeEEEZNS1_21merge_sort_block_sortIS3_N6thrust23THRUST_200600_302600_NS6detail15normal_iteratorINS9_10device_ptrIsEEEESE_PS5_SF_9comp_mod3IsEEE10hipError_tT0_T1_T2_T3_mRjT4_P12ihipStream_tbNS1_7vsmem_tEEUlT_E_NS1_11comp_targetILNS1_3genE8ELNS1_11target_archE1030ELNS1_3gpuE2ELNS1_3repE0EEENS1_30default_config_static_selectorELNS0_4arch9wavefront6targetE0EEEvSK_
	.globl	_ZN7rocprim17ROCPRIM_400000_NS6detail17trampoline_kernelINS0_14default_configENS1_37merge_sort_block_sort_config_selectorIsNS0_10empty_typeEEEZNS1_21merge_sort_block_sortIS3_N6thrust23THRUST_200600_302600_NS6detail15normal_iteratorINS9_10device_ptrIsEEEESE_PS5_SF_9comp_mod3IsEEE10hipError_tT0_T1_T2_T3_mRjT4_P12ihipStream_tbNS1_7vsmem_tEEUlT_E_NS1_11comp_targetILNS1_3genE8ELNS1_11target_archE1030ELNS1_3gpuE2ELNS1_3repE0EEENS1_30default_config_static_selectorELNS0_4arch9wavefront6targetE0EEEvSK_
	.p2align	8
	.type	_ZN7rocprim17ROCPRIM_400000_NS6detail17trampoline_kernelINS0_14default_configENS1_37merge_sort_block_sort_config_selectorIsNS0_10empty_typeEEEZNS1_21merge_sort_block_sortIS3_N6thrust23THRUST_200600_302600_NS6detail15normal_iteratorINS9_10device_ptrIsEEEESE_PS5_SF_9comp_mod3IsEEE10hipError_tT0_T1_T2_T3_mRjT4_P12ihipStream_tbNS1_7vsmem_tEEUlT_E_NS1_11comp_targetILNS1_3genE8ELNS1_11target_archE1030ELNS1_3gpuE2ELNS1_3repE0EEENS1_30default_config_static_selectorELNS0_4arch9wavefront6targetE0EEEvSK_,@function
_ZN7rocprim17ROCPRIM_400000_NS6detail17trampoline_kernelINS0_14default_configENS1_37merge_sort_block_sort_config_selectorIsNS0_10empty_typeEEEZNS1_21merge_sort_block_sortIS3_N6thrust23THRUST_200600_302600_NS6detail15normal_iteratorINS9_10device_ptrIsEEEESE_PS5_SF_9comp_mod3IsEEE10hipError_tT0_T1_T2_T3_mRjT4_P12ihipStream_tbNS1_7vsmem_tEEUlT_E_NS1_11comp_targetILNS1_3genE8ELNS1_11target_archE1030ELNS1_3gpuE2ELNS1_3repE0EEENS1_30default_config_static_selectorELNS0_4arch9wavefront6targetE0EEEvSK_: ; @_ZN7rocprim17ROCPRIM_400000_NS6detail17trampoline_kernelINS0_14default_configENS1_37merge_sort_block_sort_config_selectorIsNS0_10empty_typeEEEZNS1_21merge_sort_block_sortIS3_N6thrust23THRUST_200600_302600_NS6detail15normal_iteratorINS9_10device_ptrIsEEEESE_PS5_SF_9comp_mod3IsEEE10hipError_tT0_T1_T2_T3_mRjT4_P12ihipStream_tbNS1_7vsmem_tEEUlT_E_NS1_11comp_targetILNS1_3genE8ELNS1_11target_archE1030ELNS1_3gpuE2ELNS1_3repE0EEENS1_30default_config_static_selectorELNS0_4arch9wavefront6targetE0EEEvSK_
; %bb.0:
	s_add_u32 s0, s0, s9
	s_clause 0x1
	s_load_dwordx2 s[10:11], s[4:5], 0x40
	s_load_dword s9, s[4:5], 0x0
	s_addc_u32 s1, s1, 0
	s_mov_b32 s32, 0
	s_waitcnt lgkmcnt(0)
	s_mul_i32 s8, s11, s8
	s_add_i32 s8, s8, s7
	s_mul_i32 s8, s8, s10
	s_add_i32 s8, s8, s6
	s_cmp_ge_u32 s8, s9
	s_cbranch_scc1 .LBB1045_2
; %bb.1:
	s_clause 0x2
	s_load_dwordx2 s[16:17], s[4:5], 0x8
	s_load_dwordx4 s[12:15], s[4:5], 0x18
	s_load_dwordx2 s[18:19], s[4:5], 0x38
	s_mov_b64 s[10:11], src_shared_base
	s_lshl_b32 s10, s8, 13
	s_mov_b32 s9, 0
	v_lshlrev_b32_e32 v2, 20, v2
	v_lshlrev_b32_e32 v1, 10, v1
	v_mov_b32_e32 v8, 0
	v_mov_b32_e32 v9, s11
	v_or3_b32 v31, v0, v1, v2
	s_waitcnt lgkmcnt(0)
	s_lshr_b64 s[20:21], s[16:17], 13
	s_sub_i32 s10, s16, s10
	s_cmp_eq_u64 s[20:21], s[8:9]
	v_mov_b32_e32 v6, s18
	s_cselect_b32 s16, -1, 0
	s_lshl_b64 s[8:9], s[8:9], 14
	v_cndmask_b32_e64 v1, 0, 1, s16
	s_add_u32 s12, s12, s8
	s_addc_u32 s13, s13, s9
	s_add_u32 s14, s14, s8
	s_addc_u32 s15, s15, s9
	v_mov_b32_e32 v7, s19
	v_mov_b32_e32 v0, s10
	;; [unrolled: 1-line block ×6, first 2 shown]
	s_add_u32 s8, s4, 64
	s_addc_u32 s9, s5, 0
	s_getpc_b64 s[4:5]
	s_add_u32 s4, s4, _ZN7rocprim17ROCPRIM_400000_NS6detail15block_sort_implIsNS0_10empty_typeELj256ELj32ELNS0_4arch9wavefront6targetE0EvE4sortIN6thrust23THRUST_200600_302600_NS6detail15normal_iteratorINSA_10device_ptrIsEEEESF_PS3_SG_9comp_mod3IsEEEvjbT_T0_T1_T2_T3_RNS7_12storage_typeE@rel32@lo+4
	s_addc_u32 s5, s5, _ZN7rocprim17ROCPRIM_400000_NS6detail15block_sort_implIsNS0_10empty_typeELj256ELj32ELNS0_4arch9wavefront6targetE0EvE4sortIN6thrust23THRUST_200600_302600_NS6detail15normal_iteratorINSA_10device_ptrIsEEEESF_PS3_SG_9comp_mod3IsEEEvjbT_T0_T1_T2_T3_RNS7_12storage_typeE@rel32@hi+12
	s_mov_b32 s12, s6
	s_mov_b32 s13, s7
	s_swappc_b64 s[30:31], s[4:5]
.LBB1045_2:
	s_endpgm
	.section	.rodata,"a",@progbits
	.p2align	6, 0x0
	.amdhsa_kernel _ZN7rocprim17ROCPRIM_400000_NS6detail17trampoline_kernelINS0_14default_configENS1_37merge_sort_block_sort_config_selectorIsNS0_10empty_typeEEEZNS1_21merge_sort_block_sortIS3_N6thrust23THRUST_200600_302600_NS6detail15normal_iteratorINS9_10device_ptrIsEEEESE_PS5_SF_9comp_mod3IsEEE10hipError_tT0_T1_T2_T3_mRjT4_P12ihipStream_tbNS1_7vsmem_tEEUlT_E_NS1_11comp_targetILNS1_3genE8ELNS1_11target_archE1030ELNS1_3gpuE2ELNS1_3repE0EEENS1_30default_config_static_selectorELNS0_4arch9wavefront6targetE0EEEvSK_
		.amdhsa_group_segment_fixed_size 16896
		.amdhsa_private_segment_fixed_size 144
		.amdhsa_kernarg_size 320
		.amdhsa_user_sgpr_count 6
		.amdhsa_user_sgpr_private_segment_buffer 1
		.amdhsa_user_sgpr_dispatch_ptr 0
		.amdhsa_user_sgpr_queue_ptr 0
		.amdhsa_user_sgpr_kernarg_segment_ptr 1
		.amdhsa_user_sgpr_dispatch_id 0
		.amdhsa_user_sgpr_flat_scratch_init 0
		.amdhsa_user_sgpr_private_segment_size 0
		.amdhsa_wavefront_size32 1
		.amdhsa_uses_dynamic_stack 0
		.amdhsa_system_sgpr_private_segment_wavefront_offset 1
		.amdhsa_system_sgpr_workgroup_id_x 1
		.amdhsa_system_sgpr_workgroup_id_y 1
		.amdhsa_system_sgpr_workgroup_id_z 1
		.amdhsa_system_sgpr_workgroup_info 0
		.amdhsa_system_vgpr_workitem_id 2
		.amdhsa_next_free_vgpr 248
		.amdhsa_next_free_sgpr 96
		.amdhsa_reserve_vcc 1
		.amdhsa_reserve_flat_scratch 1
		.amdhsa_float_round_mode_32 0
		.amdhsa_float_round_mode_16_64 0
		.amdhsa_float_denorm_mode_32 3
		.amdhsa_float_denorm_mode_16_64 3
		.amdhsa_dx10_clamp 1
		.amdhsa_ieee_mode 1
		.amdhsa_fp16_overflow 0
		.amdhsa_workgroup_processor_mode 1
		.amdhsa_memory_ordered 1
		.amdhsa_forward_progress 1
		.amdhsa_shared_vgpr_count 0
		.amdhsa_exception_fp_ieee_invalid_op 0
		.amdhsa_exception_fp_denorm_src 0
		.amdhsa_exception_fp_ieee_div_zero 0
		.amdhsa_exception_fp_ieee_overflow 0
		.amdhsa_exception_fp_ieee_underflow 0
		.amdhsa_exception_fp_ieee_inexact 0
		.amdhsa_exception_int_div_zero 0
	.end_amdhsa_kernel
	.section	.text._ZN7rocprim17ROCPRIM_400000_NS6detail17trampoline_kernelINS0_14default_configENS1_37merge_sort_block_sort_config_selectorIsNS0_10empty_typeEEEZNS1_21merge_sort_block_sortIS3_N6thrust23THRUST_200600_302600_NS6detail15normal_iteratorINS9_10device_ptrIsEEEESE_PS5_SF_9comp_mod3IsEEE10hipError_tT0_T1_T2_T3_mRjT4_P12ihipStream_tbNS1_7vsmem_tEEUlT_E_NS1_11comp_targetILNS1_3genE8ELNS1_11target_archE1030ELNS1_3gpuE2ELNS1_3repE0EEENS1_30default_config_static_selectorELNS0_4arch9wavefront6targetE0EEEvSK_,"axG",@progbits,_ZN7rocprim17ROCPRIM_400000_NS6detail17trampoline_kernelINS0_14default_configENS1_37merge_sort_block_sort_config_selectorIsNS0_10empty_typeEEEZNS1_21merge_sort_block_sortIS3_N6thrust23THRUST_200600_302600_NS6detail15normal_iteratorINS9_10device_ptrIsEEEESE_PS5_SF_9comp_mod3IsEEE10hipError_tT0_T1_T2_T3_mRjT4_P12ihipStream_tbNS1_7vsmem_tEEUlT_E_NS1_11comp_targetILNS1_3genE8ELNS1_11target_archE1030ELNS1_3gpuE2ELNS1_3repE0EEENS1_30default_config_static_selectorELNS0_4arch9wavefront6targetE0EEEvSK_,comdat
.Lfunc_end1045:
	.size	_ZN7rocprim17ROCPRIM_400000_NS6detail17trampoline_kernelINS0_14default_configENS1_37merge_sort_block_sort_config_selectorIsNS0_10empty_typeEEEZNS1_21merge_sort_block_sortIS3_N6thrust23THRUST_200600_302600_NS6detail15normal_iteratorINS9_10device_ptrIsEEEESE_PS5_SF_9comp_mod3IsEEE10hipError_tT0_T1_T2_T3_mRjT4_P12ihipStream_tbNS1_7vsmem_tEEUlT_E_NS1_11comp_targetILNS1_3genE8ELNS1_11target_archE1030ELNS1_3gpuE2ELNS1_3repE0EEENS1_30default_config_static_selectorELNS0_4arch9wavefront6targetE0EEEvSK_, .Lfunc_end1045-_ZN7rocprim17ROCPRIM_400000_NS6detail17trampoline_kernelINS0_14default_configENS1_37merge_sort_block_sort_config_selectorIsNS0_10empty_typeEEEZNS1_21merge_sort_block_sortIS3_N6thrust23THRUST_200600_302600_NS6detail15normal_iteratorINS9_10device_ptrIsEEEESE_PS5_SF_9comp_mod3IsEEE10hipError_tT0_T1_T2_T3_mRjT4_P12ihipStream_tbNS1_7vsmem_tEEUlT_E_NS1_11comp_targetILNS1_3genE8ELNS1_11target_archE1030ELNS1_3gpuE2ELNS1_3repE0EEENS1_30default_config_static_selectorELNS0_4arch9wavefront6targetE0EEEvSK_
                                        ; -- End function
	.set _ZN7rocprim17ROCPRIM_400000_NS6detail17trampoline_kernelINS0_14default_configENS1_37merge_sort_block_sort_config_selectorIsNS0_10empty_typeEEEZNS1_21merge_sort_block_sortIS3_N6thrust23THRUST_200600_302600_NS6detail15normal_iteratorINS9_10device_ptrIsEEEESE_PS5_SF_9comp_mod3IsEEE10hipError_tT0_T1_T2_T3_mRjT4_P12ihipStream_tbNS1_7vsmem_tEEUlT_E_NS1_11comp_targetILNS1_3genE8ELNS1_11target_archE1030ELNS1_3gpuE2ELNS1_3repE0EEENS1_30default_config_static_selectorELNS0_4arch9wavefront6targetE0EEEvSK_.num_vgpr, max(32, .L_ZN7rocprim17ROCPRIM_400000_NS6detail15block_sort_implIsNS0_10empty_typeELj256ELj32ELNS0_4arch9wavefront6targetE0EvE4sortIN6thrust23THRUST_200600_302600_NS6detail15normal_iteratorINSA_10device_ptrIsEEEESF_PS3_SG_9comp_mod3IsEEEvjbT_T0_T1_T2_T3_RNS7_12storage_typeE.num_vgpr)
	.set _ZN7rocprim17ROCPRIM_400000_NS6detail17trampoline_kernelINS0_14default_configENS1_37merge_sort_block_sort_config_selectorIsNS0_10empty_typeEEEZNS1_21merge_sort_block_sortIS3_N6thrust23THRUST_200600_302600_NS6detail15normal_iteratorINS9_10device_ptrIsEEEESE_PS5_SF_9comp_mod3IsEEE10hipError_tT0_T1_T2_T3_mRjT4_P12ihipStream_tbNS1_7vsmem_tEEUlT_E_NS1_11comp_targetILNS1_3genE8ELNS1_11target_archE1030ELNS1_3gpuE2ELNS1_3repE0EEENS1_30default_config_static_selectorELNS0_4arch9wavefront6targetE0EEEvSK_.num_agpr, max(0, .L_ZN7rocprim17ROCPRIM_400000_NS6detail15block_sort_implIsNS0_10empty_typeELj256ELj32ELNS0_4arch9wavefront6targetE0EvE4sortIN6thrust23THRUST_200600_302600_NS6detail15normal_iteratorINSA_10device_ptrIsEEEESF_PS3_SG_9comp_mod3IsEEEvjbT_T0_T1_T2_T3_RNS7_12storage_typeE.num_agpr)
	.set _ZN7rocprim17ROCPRIM_400000_NS6detail17trampoline_kernelINS0_14default_configENS1_37merge_sort_block_sort_config_selectorIsNS0_10empty_typeEEEZNS1_21merge_sort_block_sortIS3_N6thrust23THRUST_200600_302600_NS6detail15normal_iteratorINS9_10device_ptrIsEEEESE_PS5_SF_9comp_mod3IsEEE10hipError_tT0_T1_T2_T3_mRjT4_P12ihipStream_tbNS1_7vsmem_tEEUlT_E_NS1_11comp_targetILNS1_3genE8ELNS1_11target_archE1030ELNS1_3gpuE2ELNS1_3repE0EEENS1_30default_config_static_selectorELNS0_4arch9wavefront6targetE0EEEvSK_.numbered_sgpr, max(33, .L_ZN7rocprim17ROCPRIM_400000_NS6detail15block_sort_implIsNS0_10empty_typeELj256ELj32ELNS0_4arch9wavefront6targetE0EvE4sortIN6thrust23THRUST_200600_302600_NS6detail15normal_iteratorINSA_10device_ptrIsEEEESF_PS3_SG_9comp_mod3IsEEEvjbT_T0_T1_T2_T3_RNS7_12storage_typeE.numbered_sgpr)
	.set _ZN7rocprim17ROCPRIM_400000_NS6detail17trampoline_kernelINS0_14default_configENS1_37merge_sort_block_sort_config_selectorIsNS0_10empty_typeEEEZNS1_21merge_sort_block_sortIS3_N6thrust23THRUST_200600_302600_NS6detail15normal_iteratorINS9_10device_ptrIsEEEESE_PS5_SF_9comp_mod3IsEEE10hipError_tT0_T1_T2_T3_mRjT4_P12ihipStream_tbNS1_7vsmem_tEEUlT_E_NS1_11comp_targetILNS1_3genE8ELNS1_11target_archE1030ELNS1_3gpuE2ELNS1_3repE0EEENS1_30default_config_static_selectorELNS0_4arch9wavefront6targetE0EEEvSK_.num_named_barrier, max(0, .L_ZN7rocprim17ROCPRIM_400000_NS6detail15block_sort_implIsNS0_10empty_typeELj256ELj32ELNS0_4arch9wavefront6targetE0EvE4sortIN6thrust23THRUST_200600_302600_NS6detail15normal_iteratorINSA_10device_ptrIsEEEESF_PS3_SG_9comp_mod3IsEEEvjbT_T0_T1_T2_T3_RNS7_12storage_typeE.num_named_barrier)
	.set _ZN7rocprim17ROCPRIM_400000_NS6detail17trampoline_kernelINS0_14default_configENS1_37merge_sort_block_sort_config_selectorIsNS0_10empty_typeEEEZNS1_21merge_sort_block_sortIS3_N6thrust23THRUST_200600_302600_NS6detail15normal_iteratorINS9_10device_ptrIsEEEESE_PS5_SF_9comp_mod3IsEEE10hipError_tT0_T1_T2_T3_mRjT4_P12ihipStream_tbNS1_7vsmem_tEEUlT_E_NS1_11comp_targetILNS1_3genE8ELNS1_11target_archE1030ELNS1_3gpuE2ELNS1_3repE0EEENS1_30default_config_static_selectorELNS0_4arch9wavefront6targetE0EEEvSK_.private_seg_size, 0+max(.L_ZN7rocprim17ROCPRIM_400000_NS6detail15block_sort_implIsNS0_10empty_typeELj256ELj32ELNS0_4arch9wavefront6targetE0EvE4sortIN6thrust23THRUST_200600_302600_NS6detail15normal_iteratorINSA_10device_ptrIsEEEESF_PS3_SG_9comp_mod3IsEEEvjbT_T0_T1_T2_T3_RNS7_12storage_typeE.private_seg_size)
	.set _ZN7rocprim17ROCPRIM_400000_NS6detail17trampoline_kernelINS0_14default_configENS1_37merge_sort_block_sort_config_selectorIsNS0_10empty_typeEEEZNS1_21merge_sort_block_sortIS3_N6thrust23THRUST_200600_302600_NS6detail15normal_iteratorINS9_10device_ptrIsEEEESE_PS5_SF_9comp_mod3IsEEE10hipError_tT0_T1_T2_T3_mRjT4_P12ihipStream_tbNS1_7vsmem_tEEUlT_E_NS1_11comp_targetILNS1_3genE8ELNS1_11target_archE1030ELNS1_3gpuE2ELNS1_3repE0EEENS1_30default_config_static_selectorELNS0_4arch9wavefront6targetE0EEEvSK_.uses_vcc, or(1, .L_ZN7rocprim17ROCPRIM_400000_NS6detail15block_sort_implIsNS0_10empty_typeELj256ELj32ELNS0_4arch9wavefront6targetE0EvE4sortIN6thrust23THRUST_200600_302600_NS6detail15normal_iteratorINSA_10device_ptrIsEEEESF_PS3_SG_9comp_mod3IsEEEvjbT_T0_T1_T2_T3_RNS7_12storage_typeE.uses_vcc)
	.set _ZN7rocprim17ROCPRIM_400000_NS6detail17trampoline_kernelINS0_14default_configENS1_37merge_sort_block_sort_config_selectorIsNS0_10empty_typeEEEZNS1_21merge_sort_block_sortIS3_N6thrust23THRUST_200600_302600_NS6detail15normal_iteratorINS9_10device_ptrIsEEEESE_PS5_SF_9comp_mod3IsEEE10hipError_tT0_T1_T2_T3_mRjT4_P12ihipStream_tbNS1_7vsmem_tEEUlT_E_NS1_11comp_targetILNS1_3genE8ELNS1_11target_archE1030ELNS1_3gpuE2ELNS1_3repE0EEENS1_30default_config_static_selectorELNS0_4arch9wavefront6targetE0EEEvSK_.uses_flat_scratch, or(0, .L_ZN7rocprim17ROCPRIM_400000_NS6detail15block_sort_implIsNS0_10empty_typeELj256ELj32ELNS0_4arch9wavefront6targetE0EvE4sortIN6thrust23THRUST_200600_302600_NS6detail15normal_iteratorINSA_10device_ptrIsEEEESF_PS3_SG_9comp_mod3IsEEEvjbT_T0_T1_T2_T3_RNS7_12storage_typeE.uses_flat_scratch)
	.set _ZN7rocprim17ROCPRIM_400000_NS6detail17trampoline_kernelINS0_14default_configENS1_37merge_sort_block_sort_config_selectorIsNS0_10empty_typeEEEZNS1_21merge_sort_block_sortIS3_N6thrust23THRUST_200600_302600_NS6detail15normal_iteratorINS9_10device_ptrIsEEEESE_PS5_SF_9comp_mod3IsEEE10hipError_tT0_T1_T2_T3_mRjT4_P12ihipStream_tbNS1_7vsmem_tEEUlT_E_NS1_11comp_targetILNS1_3genE8ELNS1_11target_archE1030ELNS1_3gpuE2ELNS1_3repE0EEENS1_30default_config_static_selectorELNS0_4arch9wavefront6targetE0EEEvSK_.has_dyn_sized_stack, or(0, .L_ZN7rocprim17ROCPRIM_400000_NS6detail15block_sort_implIsNS0_10empty_typeELj256ELj32ELNS0_4arch9wavefront6targetE0EvE4sortIN6thrust23THRUST_200600_302600_NS6detail15normal_iteratorINSA_10device_ptrIsEEEESF_PS3_SG_9comp_mod3IsEEEvjbT_T0_T1_T2_T3_RNS7_12storage_typeE.has_dyn_sized_stack)
	.set _ZN7rocprim17ROCPRIM_400000_NS6detail17trampoline_kernelINS0_14default_configENS1_37merge_sort_block_sort_config_selectorIsNS0_10empty_typeEEEZNS1_21merge_sort_block_sortIS3_N6thrust23THRUST_200600_302600_NS6detail15normal_iteratorINS9_10device_ptrIsEEEESE_PS5_SF_9comp_mod3IsEEE10hipError_tT0_T1_T2_T3_mRjT4_P12ihipStream_tbNS1_7vsmem_tEEUlT_E_NS1_11comp_targetILNS1_3genE8ELNS1_11target_archE1030ELNS1_3gpuE2ELNS1_3repE0EEENS1_30default_config_static_selectorELNS0_4arch9wavefront6targetE0EEEvSK_.has_recursion, or(0, .L_ZN7rocprim17ROCPRIM_400000_NS6detail15block_sort_implIsNS0_10empty_typeELj256ELj32ELNS0_4arch9wavefront6targetE0EvE4sortIN6thrust23THRUST_200600_302600_NS6detail15normal_iteratorINSA_10device_ptrIsEEEESF_PS3_SG_9comp_mod3IsEEEvjbT_T0_T1_T2_T3_RNS7_12storage_typeE.has_recursion)
	.set _ZN7rocprim17ROCPRIM_400000_NS6detail17trampoline_kernelINS0_14default_configENS1_37merge_sort_block_sort_config_selectorIsNS0_10empty_typeEEEZNS1_21merge_sort_block_sortIS3_N6thrust23THRUST_200600_302600_NS6detail15normal_iteratorINS9_10device_ptrIsEEEESE_PS5_SF_9comp_mod3IsEEE10hipError_tT0_T1_T2_T3_mRjT4_P12ihipStream_tbNS1_7vsmem_tEEUlT_E_NS1_11comp_targetILNS1_3genE8ELNS1_11target_archE1030ELNS1_3gpuE2ELNS1_3repE0EEENS1_30default_config_static_selectorELNS0_4arch9wavefront6targetE0EEEvSK_.has_indirect_call, or(0, .L_ZN7rocprim17ROCPRIM_400000_NS6detail15block_sort_implIsNS0_10empty_typeELj256ELj32ELNS0_4arch9wavefront6targetE0EvE4sortIN6thrust23THRUST_200600_302600_NS6detail15normal_iteratorINSA_10device_ptrIsEEEESF_PS3_SG_9comp_mod3IsEEEvjbT_T0_T1_T2_T3_RNS7_12storage_typeE.has_indirect_call)
	.section	.AMDGPU.csdata,"",@progbits
; Kernel info:
; codeLenInByte = 244
; TotalNumSgprs: 98
; NumVgprs: 248
; ScratchSize: 144
; MemoryBound: 0
; FloatMode: 240
; IeeeMode: 1
; LDSByteSize: 16896 bytes/workgroup (compile time only)
; SGPRBlocks: 0
; VGPRBlocks: 30
; NumSGPRsForWavesPerEU: 98
; NumVGPRsForWavesPerEU: 248
; Occupancy: 4
; WaveLimiterHint : 1
; COMPUTE_PGM_RSRC2:SCRATCH_EN: 1
; COMPUTE_PGM_RSRC2:USER_SGPR: 6
; COMPUTE_PGM_RSRC2:TRAP_HANDLER: 0
; COMPUTE_PGM_RSRC2:TGID_X_EN: 1
; COMPUTE_PGM_RSRC2:TGID_Y_EN: 1
; COMPUTE_PGM_RSRC2:TGID_Z_EN: 1
; COMPUTE_PGM_RSRC2:TIDIG_COMP_CNT: 2
	.section	.text._ZN7rocprim17ROCPRIM_400000_NS6detail17trampoline_kernelINS0_14default_configENS1_38merge_sort_block_merge_config_selectorIsNS0_10empty_typeEEEZZNS1_27merge_sort_block_merge_implIS3_N6thrust23THRUST_200600_302600_NS6detail15normal_iteratorINS9_10device_ptrIsEEEEPS5_m9comp_mod3IsEEE10hipError_tT0_T1_T2_jT3_P12ihipStream_tbPNSt15iterator_traitsISJ_E10value_typeEPNSP_ISK_E10value_typeEPSL_NS1_7vsmem_tEENKUlT_SJ_SK_SL_E_clIPsSE_SF_SF_EESI_SY_SJ_SK_SL_EUlSY_E_NS1_11comp_targetILNS1_3genE0ELNS1_11target_archE4294967295ELNS1_3gpuE0ELNS1_3repE0EEENS1_48merge_mergepath_partition_config_static_selectorELNS0_4arch9wavefront6targetE0EEEvSK_,"axG",@progbits,_ZN7rocprim17ROCPRIM_400000_NS6detail17trampoline_kernelINS0_14default_configENS1_38merge_sort_block_merge_config_selectorIsNS0_10empty_typeEEEZZNS1_27merge_sort_block_merge_implIS3_N6thrust23THRUST_200600_302600_NS6detail15normal_iteratorINS9_10device_ptrIsEEEEPS5_m9comp_mod3IsEEE10hipError_tT0_T1_T2_jT3_P12ihipStream_tbPNSt15iterator_traitsISJ_E10value_typeEPNSP_ISK_E10value_typeEPSL_NS1_7vsmem_tEENKUlT_SJ_SK_SL_E_clIPsSE_SF_SF_EESI_SY_SJ_SK_SL_EUlSY_E_NS1_11comp_targetILNS1_3genE0ELNS1_11target_archE4294967295ELNS1_3gpuE0ELNS1_3repE0EEENS1_48merge_mergepath_partition_config_static_selectorELNS0_4arch9wavefront6targetE0EEEvSK_,comdat
	.protected	_ZN7rocprim17ROCPRIM_400000_NS6detail17trampoline_kernelINS0_14default_configENS1_38merge_sort_block_merge_config_selectorIsNS0_10empty_typeEEEZZNS1_27merge_sort_block_merge_implIS3_N6thrust23THRUST_200600_302600_NS6detail15normal_iteratorINS9_10device_ptrIsEEEEPS5_m9comp_mod3IsEEE10hipError_tT0_T1_T2_jT3_P12ihipStream_tbPNSt15iterator_traitsISJ_E10value_typeEPNSP_ISK_E10value_typeEPSL_NS1_7vsmem_tEENKUlT_SJ_SK_SL_E_clIPsSE_SF_SF_EESI_SY_SJ_SK_SL_EUlSY_E_NS1_11comp_targetILNS1_3genE0ELNS1_11target_archE4294967295ELNS1_3gpuE0ELNS1_3repE0EEENS1_48merge_mergepath_partition_config_static_selectorELNS0_4arch9wavefront6targetE0EEEvSK_ ; -- Begin function _ZN7rocprim17ROCPRIM_400000_NS6detail17trampoline_kernelINS0_14default_configENS1_38merge_sort_block_merge_config_selectorIsNS0_10empty_typeEEEZZNS1_27merge_sort_block_merge_implIS3_N6thrust23THRUST_200600_302600_NS6detail15normal_iteratorINS9_10device_ptrIsEEEEPS5_m9comp_mod3IsEEE10hipError_tT0_T1_T2_jT3_P12ihipStream_tbPNSt15iterator_traitsISJ_E10value_typeEPNSP_ISK_E10value_typeEPSL_NS1_7vsmem_tEENKUlT_SJ_SK_SL_E_clIPsSE_SF_SF_EESI_SY_SJ_SK_SL_EUlSY_E_NS1_11comp_targetILNS1_3genE0ELNS1_11target_archE4294967295ELNS1_3gpuE0ELNS1_3repE0EEENS1_48merge_mergepath_partition_config_static_selectorELNS0_4arch9wavefront6targetE0EEEvSK_
	.globl	_ZN7rocprim17ROCPRIM_400000_NS6detail17trampoline_kernelINS0_14default_configENS1_38merge_sort_block_merge_config_selectorIsNS0_10empty_typeEEEZZNS1_27merge_sort_block_merge_implIS3_N6thrust23THRUST_200600_302600_NS6detail15normal_iteratorINS9_10device_ptrIsEEEEPS5_m9comp_mod3IsEEE10hipError_tT0_T1_T2_jT3_P12ihipStream_tbPNSt15iterator_traitsISJ_E10value_typeEPNSP_ISK_E10value_typeEPSL_NS1_7vsmem_tEENKUlT_SJ_SK_SL_E_clIPsSE_SF_SF_EESI_SY_SJ_SK_SL_EUlSY_E_NS1_11comp_targetILNS1_3genE0ELNS1_11target_archE4294967295ELNS1_3gpuE0ELNS1_3repE0EEENS1_48merge_mergepath_partition_config_static_selectorELNS0_4arch9wavefront6targetE0EEEvSK_
	.p2align	8
	.type	_ZN7rocprim17ROCPRIM_400000_NS6detail17trampoline_kernelINS0_14default_configENS1_38merge_sort_block_merge_config_selectorIsNS0_10empty_typeEEEZZNS1_27merge_sort_block_merge_implIS3_N6thrust23THRUST_200600_302600_NS6detail15normal_iteratorINS9_10device_ptrIsEEEEPS5_m9comp_mod3IsEEE10hipError_tT0_T1_T2_jT3_P12ihipStream_tbPNSt15iterator_traitsISJ_E10value_typeEPNSP_ISK_E10value_typeEPSL_NS1_7vsmem_tEENKUlT_SJ_SK_SL_E_clIPsSE_SF_SF_EESI_SY_SJ_SK_SL_EUlSY_E_NS1_11comp_targetILNS1_3genE0ELNS1_11target_archE4294967295ELNS1_3gpuE0ELNS1_3repE0EEENS1_48merge_mergepath_partition_config_static_selectorELNS0_4arch9wavefront6targetE0EEEvSK_,@function
_ZN7rocprim17ROCPRIM_400000_NS6detail17trampoline_kernelINS0_14default_configENS1_38merge_sort_block_merge_config_selectorIsNS0_10empty_typeEEEZZNS1_27merge_sort_block_merge_implIS3_N6thrust23THRUST_200600_302600_NS6detail15normal_iteratorINS9_10device_ptrIsEEEEPS5_m9comp_mod3IsEEE10hipError_tT0_T1_T2_jT3_P12ihipStream_tbPNSt15iterator_traitsISJ_E10value_typeEPNSP_ISK_E10value_typeEPSL_NS1_7vsmem_tEENKUlT_SJ_SK_SL_E_clIPsSE_SF_SF_EESI_SY_SJ_SK_SL_EUlSY_E_NS1_11comp_targetILNS1_3genE0ELNS1_11target_archE4294967295ELNS1_3gpuE0ELNS1_3repE0EEENS1_48merge_mergepath_partition_config_static_selectorELNS0_4arch9wavefront6targetE0EEEvSK_: ; @_ZN7rocprim17ROCPRIM_400000_NS6detail17trampoline_kernelINS0_14default_configENS1_38merge_sort_block_merge_config_selectorIsNS0_10empty_typeEEEZZNS1_27merge_sort_block_merge_implIS3_N6thrust23THRUST_200600_302600_NS6detail15normal_iteratorINS9_10device_ptrIsEEEEPS5_m9comp_mod3IsEEE10hipError_tT0_T1_T2_jT3_P12ihipStream_tbPNSt15iterator_traitsISJ_E10value_typeEPNSP_ISK_E10value_typeEPSL_NS1_7vsmem_tEENKUlT_SJ_SK_SL_E_clIPsSE_SF_SF_EESI_SY_SJ_SK_SL_EUlSY_E_NS1_11comp_targetILNS1_3genE0ELNS1_11target_archE4294967295ELNS1_3gpuE0ELNS1_3repE0EEENS1_48merge_mergepath_partition_config_static_selectorELNS0_4arch9wavefront6targetE0EEEvSK_
; %bb.0:
	.section	.rodata,"a",@progbits
	.p2align	6, 0x0
	.amdhsa_kernel _ZN7rocprim17ROCPRIM_400000_NS6detail17trampoline_kernelINS0_14default_configENS1_38merge_sort_block_merge_config_selectorIsNS0_10empty_typeEEEZZNS1_27merge_sort_block_merge_implIS3_N6thrust23THRUST_200600_302600_NS6detail15normal_iteratorINS9_10device_ptrIsEEEEPS5_m9comp_mod3IsEEE10hipError_tT0_T1_T2_jT3_P12ihipStream_tbPNSt15iterator_traitsISJ_E10value_typeEPNSP_ISK_E10value_typeEPSL_NS1_7vsmem_tEENKUlT_SJ_SK_SL_E_clIPsSE_SF_SF_EESI_SY_SJ_SK_SL_EUlSY_E_NS1_11comp_targetILNS1_3genE0ELNS1_11target_archE4294967295ELNS1_3gpuE0ELNS1_3repE0EEENS1_48merge_mergepath_partition_config_static_selectorELNS0_4arch9wavefront6targetE0EEEvSK_
		.amdhsa_group_segment_fixed_size 0
		.amdhsa_private_segment_fixed_size 0
		.amdhsa_kernarg_size 48
		.amdhsa_user_sgpr_count 6
		.amdhsa_user_sgpr_private_segment_buffer 1
		.amdhsa_user_sgpr_dispatch_ptr 0
		.amdhsa_user_sgpr_queue_ptr 0
		.amdhsa_user_sgpr_kernarg_segment_ptr 1
		.amdhsa_user_sgpr_dispatch_id 0
		.amdhsa_user_sgpr_flat_scratch_init 0
		.amdhsa_user_sgpr_private_segment_size 0
		.amdhsa_wavefront_size32 1
		.amdhsa_uses_dynamic_stack 0
		.amdhsa_system_sgpr_private_segment_wavefront_offset 0
		.amdhsa_system_sgpr_workgroup_id_x 1
		.amdhsa_system_sgpr_workgroup_id_y 0
		.amdhsa_system_sgpr_workgroup_id_z 0
		.amdhsa_system_sgpr_workgroup_info 0
		.amdhsa_system_vgpr_workitem_id 0
		.amdhsa_next_free_vgpr 1
		.amdhsa_next_free_sgpr 1
		.amdhsa_reserve_vcc 0
		.amdhsa_reserve_flat_scratch 0
		.amdhsa_float_round_mode_32 0
		.amdhsa_float_round_mode_16_64 0
		.amdhsa_float_denorm_mode_32 3
		.amdhsa_float_denorm_mode_16_64 3
		.amdhsa_dx10_clamp 1
		.amdhsa_ieee_mode 1
		.amdhsa_fp16_overflow 0
		.amdhsa_workgroup_processor_mode 1
		.amdhsa_memory_ordered 1
		.amdhsa_forward_progress 1
		.amdhsa_shared_vgpr_count 0
		.amdhsa_exception_fp_ieee_invalid_op 0
		.amdhsa_exception_fp_denorm_src 0
		.amdhsa_exception_fp_ieee_div_zero 0
		.amdhsa_exception_fp_ieee_overflow 0
		.amdhsa_exception_fp_ieee_underflow 0
		.amdhsa_exception_fp_ieee_inexact 0
		.amdhsa_exception_int_div_zero 0
	.end_amdhsa_kernel
	.section	.text._ZN7rocprim17ROCPRIM_400000_NS6detail17trampoline_kernelINS0_14default_configENS1_38merge_sort_block_merge_config_selectorIsNS0_10empty_typeEEEZZNS1_27merge_sort_block_merge_implIS3_N6thrust23THRUST_200600_302600_NS6detail15normal_iteratorINS9_10device_ptrIsEEEEPS5_m9comp_mod3IsEEE10hipError_tT0_T1_T2_jT3_P12ihipStream_tbPNSt15iterator_traitsISJ_E10value_typeEPNSP_ISK_E10value_typeEPSL_NS1_7vsmem_tEENKUlT_SJ_SK_SL_E_clIPsSE_SF_SF_EESI_SY_SJ_SK_SL_EUlSY_E_NS1_11comp_targetILNS1_3genE0ELNS1_11target_archE4294967295ELNS1_3gpuE0ELNS1_3repE0EEENS1_48merge_mergepath_partition_config_static_selectorELNS0_4arch9wavefront6targetE0EEEvSK_,"axG",@progbits,_ZN7rocprim17ROCPRIM_400000_NS6detail17trampoline_kernelINS0_14default_configENS1_38merge_sort_block_merge_config_selectorIsNS0_10empty_typeEEEZZNS1_27merge_sort_block_merge_implIS3_N6thrust23THRUST_200600_302600_NS6detail15normal_iteratorINS9_10device_ptrIsEEEEPS5_m9comp_mod3IsEEE10hipError_tT0_T1_T2_jT3_P12ihipStream_tbPNSt15iterator_traitsISJ_E10value_typeEPNSP_ISK_E10value_typeEPSL_NS1_7vsmem_tEENKUlT_SJ_SK_SL_E_clIPsSE_SF_SF_EESI_SY_SJ_SK_SL_EUlSY_E_NS1_11comp_targetILNS1_3genE0ELNS1_11target_archE4294967295ELNS1_3gpuE0ELNS1_3repE0EEENS1_48merge_mergepath_partition_config_static_selectorELNS0_4arch9wavefront6targetE0EEEvSK_,comdat
.Lfunc_end1046:
	.size	_ZN7rocprim17ROCPRIM_400000_NS6detail17trampoline_kernelINS0_14default_configENS1_38merge_sort_block_merge_config_selectorIsNS0_10empty_typeEEEZZNS1_27merge_sort_block_merge_implIS3_N6thrust23THRUST_200600_302600_NS6detail15normal_iteratorINS9_10device_ptrIsEEEEPS5_m9comp_mod3IsEEE10hipError_tT0_T1_T2_jT3_P12ihipStream_tbPNSt15iterator_traitsISJ_E10value_typeEPNSP_ISK_E10value_typeEPSL_NS1_7vsmem_tEENKUlT_SJ_SK_SL_E_clIPsSE_SF_SF_EESI_SY_SJ_SK_SL_EUlSY_E_NS1_11comp_targetILNS1_3genE0ELNS1_11target_archE4294967295ELNS1_3gpuE0ELNS1_3repE0EEENS1_48merge_mergepath_partition_config_static_selectorELNS0_4arch9wavefront6targetE0EEEvSK_, .Lfunc_end1046-_ZN7rocprim17ROCPRIM_400000_NS6detail17trampoline_kernelINS0_14default_configENS1_38merge_sort_block_merge_config_selectorIsNS0_10empty_typeEEEZZNS1_27merge_sort_block_merge_implIS3_N6thrust23THRUST_200600_302600_NS6detail15normal_iteratorINS9_10device_ptrIsEEEEPS5_m9comp_mod3IsEEE10hipError_tT0_T1_T2_jT3_P12ihipStream_tbPNSt15iterator_traitsISJ_E10value_typeEPNSP_ISK_E10value_typeEPSL_NS1_7vsmem_tEENKUlT_SJ_SK_SL_E_clIPsSE_SF_SF_EESI_SY_SJ_SK_SL_EUlSY_E_NS1_11comp_targetILNS1_3genE0ELNS1_11target_archE4294967295ELNS1_3gpuE0ELNS1_3repE0EEENS1_48merge_mergepath_partition_config_static_selectorELNS0_4arch9wavefront6targetE0EEEvSK_
                                        ; -- End function
	.set _ZN7rocprim17ROCPRIM_400000_NS6detail17trampoline_kernelINS0_14default_configENS1_38merge_sort_block_merge_config_selectorIsNS0_10empty_typeEEEZZNS1_27merge_sort_block_merge_implIS3_N6thrust23THRUST_200600_302600_NS6detail15normal_iteratorINS9_10device_ptrIsEEEEPS5_m9comp_mod3IsEEE10hipError_tT0_T1_T2_jT3_P12ihipStream_tbPNSt15iterator_traitsISJ_E10value_typeEPNSP_ISK_E10value_typeEPSL_NS1_7vsmem_tEENKUlT_SJ_SK_SL_E_clIPsSE_SF_SF_EESI_SY_SJ_SK_SL_EUlSY_E_NS1_11comp_targetILNS1_3genE0ELNS1_11target_archE4294967295ELNS1_3gpuE0ELNS1_3repE0EEENS1_48merge_mergepath_partition_config_static_selectorELNS0_4arch9wavefront6targetE0EEEvSK_.num_vgpr, 0
	.set _ZN7rocprim17ROCPRIM_400000_NS6detail17trampoline_kernelINS0_14default_configENS1_38merge_sort_block_merge_config_selectorIsNS0_10empty_typeEEEZZNS1_27merge_sort_block_merge_implIS3_N6thrust23THRUST_200600_302600_NS6detail15normal_iteratorINS9_10device_ptrIsEEEEPS5_m9comp_mod3IsEEE10hipError_tT0_T1_T2_jT3_P12ihipStream_tbPNSt15iterator_traitsISJ_E10value_typeEPNSP_ISK_E10value_typeEPSL_NS1_7vsmem_tEENKUlT_SJ_SK_SL_E_clIPsSE_SF_SF_EESI_SY_SJ_SK_SL_EUlSY_E_NS1_11comp_targetILNS1_3genE0ELNS1_11target_archE4294967295ELNS1_3gpuE0ELNS1_3repE0EEENS1_48merge_mergepath_partition_config_static_selectorELNS0_4arch9wavefront6targetE0EEEvSK_.num_agpr, 0
	.set _ZN7rocprim17ROCPRIM_400000_NS6detail17trampoline_kernelINS0_14default_configENS1_38merge_sort_block_merge_config_selectorIsNS0_10empty_typeEEEZZNS1_27merge_sort_block_merge_implIS3_N6thrust23THRUST_200600_302600_NS6detail15normal_iteratorINS9_10device_ptrIsEEEEPS5_m9comp_mod3IsEEE10hipError_tT0_T1_T2_jT3_P12ihipStream_tbPNSt15iterator_traitsISJ_E10value_typeEPNSP_ISK_E10value_typeEPSL_NS1_7vsmem_tEENKUlT_SJ_SK_SL_E_clIPsSE_SF_SF_EESI_SY_SJ_SK_SL_EUlSY_E_NS1_11comp_targetILNS1_3genE0ELNS1_11target_archE4294967295ELNS1_3gpuE0ELNS1_3repE0EEENS1_48merge_mergepath_partition_config_static_selectorELNS0_4arch9wavefront6targetE0EEEvSK_.numbered_sgpr, 0
	.set _ZN7rocprim17ROCPRIM_400000_NS6detail17trampoline_kernelINS0_14default_configENS1_38merge_sort_block_merge_config_selectorIsNS0_10empty_typeEEEZZNS1_27merge_sort_block_merge_implIS3_N6thrust23THRUST_200600_302600_NS6detail15normal_iteratorINS9_10device_ptrIsEEEEPS5_m9comp_mod3IsEEE10hipError_tT0_T1_T2_jT3_P12ihipStream_tbPNSt15iterator_traitsISJ_E10value_typeEPNSP_ISK_E10value_typeEPSL_NS1_7vsmem_tEENKUlT_SJ_SK_SL_E_clIPsSE_SF_SF_EESI_SY_SJ_SK_SL_EUlSY_E_NS1_11comp_targetILNS1_3genE0ELNS1_11target_archE4294967295ELNS1_3gpuE0ELNS1_3repE0EEENS1_48merge_mergepath_partition_config_static_selectorELNS0_4arch9wavefront6targetE0EEEvSK_.num_named_barrier, 0
	.set _ZN7rocprim17ROCPRIM_400000_NS6detail17trampoline_kernelINS0_14default_configENS1_38merge_sort_block_merge_config_selectorIsNS0_10empty_typeEEEZZNS1_27merge_sort_block_merge_implIS3_N6thrust23THRUST_200600_302600_NS6detail15normal_iteratorINS9_10device_ptrIsEEEEPS5_m9comp_mod3IsEEE10hipError_tT0_T1_T2_jT3_P12ihipStream_tbPNSt15iterator_traitsISJ_E10value_typeEPNSP_ISK_E10value_typeEPSL_NS1_7vsmem_tEENKUlT_SJ_SK_SL_E_clIPsSE_SF_SF_EESI_SY_SJ_SK_SL_EUlSY_E_NS1_11comp_targetILNS1_3genE0ELNS1_11target_archE4294967295ELNS1_3gpuE0ELNS1_3repE0EEENS1_48merge_mergepath_partition_config_static_selectorELNS0_4arch9wavefront6targetE0EEEvSK_.private_seg_size, 0
	.set _ZN7rocprim17ROCPRIM_400000_NS6detail17trampoline_kernelINS0_14default_configENS1_38merge_sort_block_merge_config_selectorIsNS0_10empty_typeEEEZZNS1_27merge_sort_block_merge_implIS3_N6thrust23THRUST_200600_302600_NS6detail15normal_iteratorINS9_10device_ptrIsEEEEPS5_m9comp_mod3IsEEE10hipError_tT0_T1_T2_jT3_P12ihipStream_tbPNSt15iterator_traitsISJ_E10value_typeEPNSP_ISK_E10value_typeEPSL_NS1_7vsmem_tEENKUlT_SJ_SK_SL_E_clIPsSE_SF_SF_EESI_SY_SJ_SK_SL_EUlSY_E_NS1_11comp_targetILNS1_3genE0ELNS1_11target_archE4294967295ELNS1_3gpuE0ELNS1_3repE0EEENS1_48merge_mergepath_partition_config_static_selectorELNS0_4arch9wavefront6targetE0EEEvSK_.uses_vcc, 0
	.set _ZN7rocprim17ROCPRIM_400000_NS6detail17trampoline_kernelINS0_14default_configENS1_38merge_sort_block_merge_config_selectorIsNS0_10empty_typeEEEZZNS1_27merge_sort_block_merge_implIS3_N6thrust23THRUST_200600_302600_NS6detail15normal_iteratorINS9_10device_ptrIsEEEEPS5_m9comp_mod3IsEEE10hipError_tT0_T1_T2_jT3_P12ihipStream_tbPNSt15iterator_traitsISJ_E10value_typeEPNSP_ISK_E10value_typeEPSL_NS1_7vsmem_tEENKUlT_SJ_SK_SL_E_clIPsSE_SF_SF_EESI_SY_SJ_SK_SL_EUlSY_E_NS1_11comp_targetILNS1_3genE0ELNS1_11target_archE4294967295ELNS1_3gpuE0ELNS1_3repE0EEENS1_48merge_mergepath_partition_config_static_selectorELNS0_4arch9wavefront6targetE0EEEvSK_.uses_flat_scratch, 0
	.set _ZN7rocprim17ROCPRIM_400000_NS6detail17trampoline_kernelINS0_14default_configENS1_38merge_sort_block_merge_config_selectorIsNS0_10empty_typeEEEZZNS1_27merge_sort_block_merge_implIS3_N6thrust23THRUST_200600_302600_NS6detail15normal_iteratorINS9_10device_ptrIsEEEEPS5_m9comp_mod3IsEEE10hipError_tT0_T1_T2_jT3_P12ihipStream_tbPNSt15iterator_traitsISJ_E10value_typeEPNSP_ISK_E10value_typeEPSL_NS1_7vsmem_tEENKUlT_SJ_SK_SL_E_clIPsSE_SF_SF_EESI_SY_SJ_SK_SL_EUlSY_E_NS1_11comp_targetILNS1_3genE0ELNS1_11target_archE4294967295ELNS1_3gpuE0ELNS1_3repE0EEENS1_48merge_mergepath_partition_config_static_selectorELNS0_4arch9wavefront6targetE0EEEvSK_.has_dyn_sized_stack, 0
	.set _ZN7rocprim17ROCPRIM_400000_NS6detail17trampoline_kernelINS0_14default_configENS1_38merge_sort_block_merge_config_selectorIsNS0_10empty_typeEEEZZNS1_27merge_sort_block_merge_implIS3_N6thrust23THRUST_200600_302600_NS6detail15normal_iteratorINS9_10device_ptrIsEEEEPS5_m9comp_mod3IsEEE10hipError_tT0_T1_T2_jT3_P12ihipStream_tbPNSt15iterator_traitsISJ_E10value_typeEPNSP_ISK_E10value_typeEPSL_NS1_7vsmem_tEENKUlT_SJ_SK_SL_E_clIPsSE_SF_SF_EESI_SY_SJ_SK_SL_EUlSY_E_NS1_11comp_targetILNS1_3genE0ELNS1_11target_archE4294967295ELNS1_3gpuE0ELNS1_3repE0EEENS1_48merge_mergepath_partition_config_static_selectorELNS0_4arch9wavefront6targetE0EEEvSK_.has_recursion, 0
	.set _ZN7rocprim17ROCPRIM_400000_NS6detail17trampoline_kernelINS0_14default_configENS1_38merge_sort_block_merge_config_selectorIsNS0_10empty_typeEEEZZNS1_27merge_sort_block_merge_implIS3_N6thrust23THRUST_200600_302600_NS6detail15normal_iteratorINS9_10device_ptrIsEEEEPS5_m9comp_mod3IsEEE10hipError_tT0_T1_T2_jT3_P12ihipStream_tbPNSt15iterator_traitsISJ_E10value_typeEPNSP_ISK_E10value_typeEPSL_NS1_7vsmem_tEENKUlT_SJ_SK_SL_E_clIPsSE_SF_SF_EESI_SY_SJ_SK_SL_EUlSY_E_NS1_11comp_targetILNS1_3genE0ELNS1_11target_archE4294967295ELNS1_3gpuE0ELNS1_3repE0EEENS1_48merge_mergepath_partition_config_static_selectorELNS0_4arch9wavefront6targetE0EEEvSK_.has_indirect_call, 0
	.section	.AMDGPU.csdata,"",@progbits
; Kernel info:
; codeLenInByte = 0
; TotalNumSgprs: 0
; NumVgprs: 0
; ScratchSize: 0
; MemoryBound: 0
; FloatMode: 240
; IeeeMode: 1
; LDSByteSize: 0 bytes/workgroup (compile time only)
; SGPRBlocks: 0
; VGPRBlocks: 0
; NumSGPRsForWavesPerEU: 1
; NumVGPRsForWavesPerEU: 1
; Occupancy: 16
; WaveLimiterHint : 0
; COMPUTE_PGM_RSRC2:SCRATCH_EN: 0
; COMPUTE_PGM_RSRC2:USER_SGPR: 6
; COMPUTE_PGM_RSRC2:TRAP_HANDLER: 0
; COMPUTE_PGM_RSRC2:TGID_X_EN: 1
; COMPUTE_PGM_RSRC2:TGID_Y_EN: 0
; COMPUTE_PGM_RSRC2:TGID_Z_EN: 0
; COMPUTE_PGM_RSRC2:TIDIG_COMP_CNT: 0
	.section	.text._ZN7rocprim17ROCPRIM_400000_NS6detail17trampoline_kernelINS0_14default_configENS1_38merge_sort_block_merge_config_selectorIsNS0_10empty_typeEEEZZNS1_27merge_sort_block_merge_implIS3_N6thrust23THRUST_200600_302600_NS6detail15normal_iteratorINS9_10device_ptrIsEEEEPS5_m9comp_mod3IsEEE10hipError_tT0_T1_T2_jT3_P12ihipStream_tbPNSt15iterator_traitsISJ_E10value_typeEPNSP_ISK_E10value_typeEPSL_NS1_7vsmem_tEENKUlT_SJ_SK_SL_E_clIPsSE_SF_SF_EESI_SY_SJ_SK_SL_EUlSY_E_NS1_11comp_targetILNS1_3genE10ELNS1_11target_archE1201ELNS1_3gpuE5ELNS1_3repE0EEENS1_48merge_mergepath_partition_config_static_selectorELNS0_4arch9wavefront6targetE0EEEvSK_,"axG",@progbits,_ZN7rocprim17ROCPRIM_400000_NS6detail17trampoline_kernelINS0_14default_configENS1_38merge_sort_block_merge_config_selectorIsNS0_10empty_typeEEEZZNS1_27merge_sort_block_merge_implIS3_N6thrust23THRUST_200600_302600_NS6detail15normal_iteratorINS9_10device_ptrIsEEEEPS5_m9comp_mod3IsEEE10hipError_tT0_T1_T2_jT3_P12ihipStream_tbPNSt15iterator_traitsISJ_E10value_typeEPNSP_ISK_E10value_typeEPSL_NS1_7vsmem_tEENKUlT_SJ_SK_SL_E_clIPsSE_SF_SF_EESI_SY_SJ_SK_SL_EUlSY_E_NS1_11comp_targetILNS1_3genE10ELNS1_11target_archE1201ELNS1_3gpuE5ELNS1_3repE0EEENS1_48merge_mergepath_partition_config_static_selectorELNS0_4arch9wavefront6targetE0EEEvSK_,comdat
	.protected	_ZN7rocprim17ROCPRIM_400000_NS6detail17trampoline_kernelINS0_14default_configENS1_38merge_sort_block_merge_config_selectorIsNS0_10empty_typeEEEZZNS1_27merge_sort_block_merge_implIS3_N6thrust23THRUST_200600_302600_NS6detail15normal_iteratorINS9_10device_ptrIsEEEEPS5_m9comp_mod3IsEEE10hipError_tT0_T1_T2_jT3_P12ihipStream_tbPNSt15iterator_traitsISJ_E10value_typeEPNSP_ISK_E10value_typeEPSL_NS1_7vsmem_tEENKUlT_SJ_SK_SL_E_clIPsSE_SF_SF_EESI_SY_SJ_SK_SL_EUlSY_E_NS1_11comp_targetILNS1_3genE10ELNS1_11target_archE1201ELNS1_3gpuE5ELNS1_3repE0EEENS1_48merge_mergepath_partition_config_static_selectorELNS0_4arch9wavefront6targetE0EEEvSK_ ; -- Begin function _ZN7rocprim17ROCPRIM_400000_NS6detail17trampoline_kernelINS0_14default_configENS1_38merge_sort_block_merge_config_selectorIsNS0_10empty_typeEEEZZNS1_27merge_sort_block_merge_implIS3_N6thrust23THRUST_200600_302600_NS6detail15normal_iteratorINS9_10device_ptrIsEEEEPS5_m9comp_mod3IsEEE10hipError_tT0_T1_T2_jT3_P12ihipStream_tbPNSt15iterator_traitsISJ_E10value_typeEPNSP_ISK_E10value_typeEPSL_NS1_7vsmem_tEENKUlT_SJ_SK_SL_E_clIPsSE_SF_SF_EESI_SY_SJ_SK_SL_EUlSY_E_NS1_11comp_targetILNS1_3genE10ELNS1_11target_archE1201ELNS1_3gpuE5ELNS1_3repE0EEENS1_48merge_mergepath_partition_config_static_selectorELNS0_4arch9wavefront6targetE0EEEvSK_
	.globl	_ZN7rocprim17ROCPRIM_400000_NS6detail17trampoline_kernelINS0_14default_configENS1_38merge_sort_block_merge_config_selectorIsNS0_10empty_typeEEEZZNS1_27merge_sort_block_merge_implIS3_N6thrust23THRUST_200600_302600_NS6detail15normal_iteratorINS9_10device_ptrIsEEEEPS5_m9comp_mod3IsEEE10hipError_tT0_T1_T2_jT3_P12ihipStream_tbPNSt15iterator_traitsISJ_E10value_typeEPNSP_ISK_E10value_typeEPSL_NS1_7vsmem_tEENKUlT_SJ_SK_SL_E_clIPsSE_SF_SF_EESI_SY_SJ_SK_SL_EUlSY_E_NS1_11comp_targetILNS1_3genE10ELNS1_11target_archE1201ELNS1_3gpuE5ELNS1_3repE0EEENS1_48merge_mergepath_partition_config_static_selectorELNS0_4arch9wavefront6targetE0EEEvSK_
	.p2align	8
	.type	_ZN7rocprim17ROCPRIM_400000_NS6detail17trampoline_kernelINS0_14default_configENS1_38merge_sort_block_merge_config_selectorIsNS0_10empty_typeEEEZZNS1_27merge_sort_block_merge_implIS3_N6thrust23THRUST_200600_302600_NS6detail15normal_iteratorINS9_10device_ptrIsEEEEPS5_m9comp_mod3IsEEE10hipError_tT0_T1_T2_jT3_P12ihipStream_tbPNSt15iterator_traitsISJ_E10value_typeEPNSP_ISK_E10value_typeEPSL_NS1_7vsmem_tEENKUlT_SJ_SK_SL_E_clIPsSE_SF_SF_EESI_SY_SJ_SK_SL_EUlSY_E_NS1_11comp_targetILNS1_3genE10ELNS1_11target_archE1201ELNS1_3gpuE5ELNS1_3repE0EEENS1_48merge_mergepath_partition_config_static_selectorELNS0_4arch9wavefront6targetE0EEEvSK_,@function
_ZN7rocprim17ROCPRIM_400000_NS6detail17trampoline_kernelINS0_14default_configENS1_38merge_sort_block_merge_config_selectorIsNS0_10empty_typeEEEZZNS1_27merge_sort_block_merge_implIS3_N6thrust23THRUST_200600_302600_NS6detail15normal_iteratorINS9_10device_ptrIsEEEEPS5_m9comp_mod3IsEEE10hipError_tT0_T1_T2_jT3_P12ihipStream_tbPNSt15iterator_traitsISJ_E10value_typeEPNSP_ISK_E10value_typeEPSL_NS1_7vsmem_tEENKUlT_SJ_SK_SL_E_clIPsSE_SF_SF_EESI_SY_SJ_SK_SL_EUlSY_E_NS1_11comp_targetILNS1_3genE10ELNS1_11target_archE1201ELNS1_3gpuE5ELNS1_3repE0EEENS1_48merge_mergepath_partition_config_static_selectorELNS0_4arch9wavefront6targetE0EEEvSK_: ; @_ZN7rocprim17ROCPRIM_400000_NS6detail17trampoline_kernelINS0_14default_configENS1_38merge_sort_block_merge_config_selectorIsNS0_10empty_typeEEEZZNS1_27merge_sort_block_merge_implIS3_N6thrust23THRUST_200600_302600_NS6detail15normal_iteratorINS9_10device_ptrIsEEEEPS5_m9comp_mod3IsEEE10hipError_tT0_T1_T2_jT3_P12ihipStream_tbPNSt15iterator_traitsISJ_E10value_typeEPNSP_ISK_E10value_typeEPSL_NS1_7vsmem_tEENKUlT_SJ_SK_SL_E_clIPsSE_SF_SF_EESI_SY_SJ_SK_SL_EUlSY_E_NS1_11comp_targetILNS1_3genE10ELNS1_11target_archE1201ELNS1_3gpuE5ELNS1_3repE0EEENS1_48merge_mergepath_partition_config_static_selectorELNS0_4arch9wavefront6targetE0EEEvSK_
; %bb.0:
	.section	.rodata,"a",@progbits
	.p2align	6, 0x0
	.amdhsa_kernel _ZN7rocprim17ROCPRIM_400000_NS6detail17trampoline_kernelINS0_14default_configENS1_38merge_sort_block_merge_config_selectorIsNS0_10empty_typeEEEZZNS1_27merge_sort_block_merge_implIS3_N6thrust23THRUST_200600_302600_NS6detail15normal_iteratorINS9_10device_ptrIsEEEEPS5_m9comp_mod3IsEEE10hipError_tT0_T1_T2_jT3_P12ihipStream_tbPNSt15iterator_traitsISJ_E10value_typeEPNSP_ISK_E10value_typeEPSL_NS1_7vsmem_tEENKUlT_SJ_SK_SL_E_clIPsSE_SF_SF_EESI_SY_SJ_SK_SL_EUlSY_E_NS1_11comp_targetILNS1_3genE10ELNS1_11target_archE1201ELNS1_3gpuE5ELNS1_3repE0EEENS1_48merge_mergepath_partition_config_static_selectorELNS0_4arch9wavefront6targetE0EEEvSK_
		.amdhsa_group_segment_fixed_size 0
		.amdhsa_private_segment_fixed_size 0
		.amdhsa_kernarg_size 48
		.amdhsa_user_sgpr_count 6
		.amdhsa_user_sgpr_private_segment_buffer 1
		.amdhsa_user_sgpr_dispatch_ptr 0
		.amdhsa_user_sgpr_queue_ptr 0
		.amdhsa_user_sgpr_kernarg_segment_ptr 1
		.amdhsa_user_sgpr_dispatch_id 0
		.amdhsa_user_sgpr_flat_scratch_init 0
		.amdhsa_user_sgpr_private_segment_size 0
		.amdhsa_wavefront_size32 1
		.amdhsa_uses_dynamic_stack 0
		.amdhsa_system_sgpr_private_segment_wavefront_offset 0
		.amdhsa_system_sgpr_workgroup_id_x 1
		.amdhsa_system_sgpr_workgroup_id_y 0
		.amdhsa_system_sgpr_workgroup_id_z 0
		.amdhsa_system_sgpr_workgroup_info 0
		.amdhsa_system_vgpr_workitem_id 0
		.amdhsa_next_free_vgpr 1
		.amdhsa_next_free_sgpr 1
		.amdhsa_reserve_vcc 0
		.amdhsa_reserve_flat_scratch 0
		.amdhsa_float_round_mode_32 0
		.amdhsa_float_round_mode_16_64 0
		.amdhsa_float_denorm_mode_32 3
		.amdhsa_float_denorm_mode_16_64 3
		.amdhsa_dx10_clamp 1
		.amdhsa_ieee_mode 1
		.amdhsa_fp16_overflow 0
		.amdhsa_workgroup_processor_mode 1
		.amdhsa_memory_ordered 1
		.amdhsa_forward_progress 1
		.amdhsa_shared_vgpr_count 0
		.amdhsa_exception_fp_ieee_invalid_op 0
		.amdhsa_exception_fp_denorm_src 0
		.amdhsa_exception_fp_ieee_div_zero 0
		.amdhsa_exception_fp_ieee_overflow 0
		.amdhsa_exception_fp_ieee_underflow 0
		.amdhsa_exception_fp_ieee_inexact 0
		.amdhsa_exception_int_div_zero 0
	.end_amdhsa_kernel
	.section	.text._ZN7rocprim17ROCPRIM_400000_NS6detail17trampoline_kernelINS0_14default_configENS1_38merge_sort_block_merge_config_selectorIsNS0_10empty_typeEEEZZNS1_27merge_sort_block_merge_implIS3_N6thrust23THRUST_200600_302600_NS6detail15normal_iteratorINS9_10device_ptrIsEEEEPS5_m9comp_mod3IsEEE10hipError_tT0_T1_T2_jT3_P12ihipStream_tbPNSt15iterator_traitsISJ_E10value_typeEPNSP_ISK_E10value_typeEPSL_NS1_7vsmem_tEENKUlT_SJ_SK_SL_E_clIPsSE_SF_SF_EESI_SY_SJ_SK_SL_EUlSY_E_NS1_11comp_targetILNS1_3genE10ELNS1_11target_archE1201ELNS1_3gpuE5ELNS1_3repE0EEENS1_48merge_mergepath_partition_config_static_selectorELNS0_4arch9wavefront6targetE0EEEvSK_,"axG",@progbits,_ZN7rocprim17ROCPRIM_400000_NS6detail17trampoline_kernelINS0_14default_configENS1_38merge_sort_block_merge_config_selectorIsNS0_10empty_typeEEEZZNS1_27merge_sort_block_merge_implIS3_N6thrust23THRUST_200600_302600_NS6detail15normal_iteratorINS9_10device_ptrIsEEEEPS5_m9comp_mod3IsEEE10hipError_tT0_T1_T2_jT3_P12ihipStream_tbPNSt15iterator_traitsISJ_E10value_typeEPNSP_ISK_E10value_typeEPSL_NS1_7vsmem_tEENKUlT_SJ_SK_SL_E_clIPsSE_SF_SF_EESI_SY_SJ_SK_SL_EUlSY_E_NS1_11comp_targetILNS1_3genE10ELNS1_11target_archE1201ELNS1_3gpuE5ELNS1_3repE0EEENS1_48merge_mergepath_partition_config_static_selectorELNS0_4arch9wavefront6targetE0EEEvSK_,comdat
.Lfunc_end1047:
	.size	_ZN7rocprim17ROCPRIM_400000_NS6detail17trampoline_kernelINS0_14default_configENS1_38merge_sort_block_merge_config_selectorIsNS0_10empty_typeEEEZZNS1_27merge_sort_block_merge_implIS3_N6thrust23THRUST_200600_302600_NS6detail15normal_iteratorINS9_10device_ptrIsEEEEPS5_m9comp_mod3IsEEE10hipError_tT0_T1_T2_jT3_P12ihipStream_tbPNSt15iterator_traitsISJ_E10value_typeEPNSP_ISK_E10value_typeEPSL_NS1_7vsmem_tEENKUlT_SJ_SK_SL_E_clIPsSE_SF_SF_EESI_SY_SJ_SK_SL_EUlSY_E_NS1_11comp_targetILNS1_3genE10ELNS1_11target_archE1201ELNS1_3gpuE5ELNS1_3repE0EEENS1_48merge_mergepath_partition_config_static_selectorELNS0_4arch9wavefront6targetE0EEEvSK_, .Lfunc_end1047-_ZN7rocprim17ROCPRIM_400000_NS6detail17trampoline_kernelINS0_14default_configENS1_38merge_sort_block_merge_config_selectorIsNS0_10empty_typeEEEZZNS1_27merge_sort_block_merge_implIS3_N6thrust23THRUST_200600_302600_NS6detail15normal_iteratorINS9_10device_ptrIsEEEEPS5_m9comp_mod3IsEEE10hipError_tT0_T1_T2_jT3_P12ihipStream_tbPNSt15iterator_traitsISJ_E10value_typeEPNSP_ISK_E10value_typeEPSL_NS1_7vsmem_tEENKUlT_SJ_SK_SL_E_clIPsSE_SF_SF_EESI_SY_SJ_SK_SL_EUlSY_E_NS1_11comp_targetILNS1_3genE10ELNS1_11target_archE1201ELNS1_3gpuE5ELNS1_3repE0EEENS1_48merge_mergepath_partition_config_static_selectorELNS0_4arch9wavefront6targetE0EEEvSK_
                                        ; -- End function
	.set _ZN7rocprim17ROCPRIM_400000_NS6detail17trampoline_kernelINS0_14default_configENS1_38merge_sort_block_merge_config_selectorIsNS0_10empty_typeEEEZZNS1_27merge_sort_block_merge_implIS3_N6thrust23THRUST_200600_302600_NS6detail15normal_iteratorINS9_10device_ptrIsEEEEPS5_m9comp_mod3IsEEE10hipError_tT0_T1_T2_jT3_P12ihipStream_tbPNSt15iterator_traitsISJ_E10value_typeEPNSP_ISK_E10value_typeEPSL_NS1_7vsmem_tEENKUlT_SJ_SK_SL_E_clIPsSE_SF_SF_EESI_SY_SJ_SK_SL_EUlSY_E_NS1_11comp_targetILNS1_3genE10ELNS1_11target_archE1201ELNS1_3gpuE5ELNS1_3repE0EEENS1_48merge_mergepath_partition_config_static_selectorELNS0_4arch9wavefront6targetE0EEEvSK_.num_vgpr, 0
	.set _ZN7rocprim17ROCPRIM_400000_NS6detail17trampoline_kernelINS0_14default_configENS1_38merge_sort_block_merge_config_selectorIsNS0_10empty_typeEEEZZNS1_27merge_sort_block_merge_implIS3_N6thrust23THRUST_200600_302600_NS6detail15normal_iteratorINS9_10device_ptrIsEEEEPS5_m9comp_mod3IsEEE10hipError_tT0_T1_T2_jT3_P12ihipStream_tbPNSt15iterator_traitsISJ_E10value_typeEPNSP_ISK_E10value_typeEPSL_NS1_7vsmem_tEENKUlT_SJ_SK_SL_E_clIPsSE_SF_SF_EESI_SY_SJ_SK_SL_EUlSY_E_NS1_11comp_targetILNS1_3genE10ELNS1_11target_archE1201ELNS1_3gpuE5ELNS1_3repE0EEENS1_48merge_mergepath_partition_config_static_selectorELNS0_4arch9wavefront6targetE0EEEvSK_.num_agpr, 0
	.set _ZN7rocprim17ROCPRIM_400000_NS6detail17trampoline_kernelINS0_14default_configENS1_38merge_sort_block_merge_config_selectorIsNS0_10empty_typeEEEZZNS1_27merge_sort_block_merge_implIS3_N6thrust23THRUST_200600_302600_NS6detail15normal_iteratorINS9_10device_ptrIsEEEEPS5_m9comp_mod3IsEEE10hipError_tT0_T1_T2_jT3_P12ihipStream_tbPNSt15iterator_traitsISJ_E10value_typeEPNSP_ISK_E10value_typeEPSL_NS1_7vsmem_tEENKUlT_SJ_SK_SL_E_clIPsSE_SF_SF_EESI_SY_SJ_SK_SL_EUlSY_E_NS1_11comp_targetILNS1_3genE10ELNS1_11target_archE1201ELNS1_3gpuE5ELNS1_3repE0EEENS1_48merge_mergepath_partition_config_static_selectorELNS0_4arch9wavefront6targetE0EEEvSK_.numbered_sgpr, 0
	.set _ZN7rocprim17ROCPRIM_400000_NS6detail17trampoline_kernelINS0_14default_configENS1_38merge_sort_block_merge_config_selectorIsNS0_10empty_typeEEEZZNS1_27merge_sort_block_merge_implIS3_N6thrust23THRUST_200600_302600_NS6detail15normal_iteratorINS9_10device_ptrIsEEEEPS5_m9comp_mod3IsEEE10hipError_tT0_T1_T2_jT3_P12ihipStream_tbPNSt15iterator_traitsISJ_E10value_typeEPNSP_ISK_E10value_typeEPSL_NS1_7vsmem_tEENKUlT_SJ_SK_SL_E_clIPsSE_SF_SF_EESI_SY_SJ_SK_SL_EUlSY_E_NS1_11comp_targetILNS1_3genE10ELNS1_11target_archE1201ELNS1_3gpuE5ELNS1_3repE0EEENS1_48merge_mergepath_partition_config_static_selectorELNS0_4arch9wavefront6targetE0EEEvSK_.num_named_barrier, 0
	.set _ZN7rocprim17ROCPRIM_400000_NS6detail17trampoline_kernelINS0_14default_configENS1_38merge_sort_block_merge_config_selectorIsNS0_10empty_typeEEEZZNS1_27merge_sort_block_merge_implIS3_N6thrust23THRUST_200600_302600_NS6detail15normal_iteratorINS9_10device_ptrIsEEEEPS5_m9comp_mod3IsEEE10hipError_tT0_T1_T2_jT3_P12ihipStream_tbPNSt15iterator_traitsISJ_E10value_typeEPNSP_ISK_E10value_typeEPSL_NS1_7vsmem_tEENKUlT_SJ_SK_SL_E_clIPsSE_SF_SF_EESI_SY_SJ_SK_SL_EUlSY_E_NS1_11comp_targetILNS1_3genE10ELNS1_11target_archE1201ELNS1_3gpuE5ELNS1_3repE0EEENS1_48merge_mergepath_partition_config_static_selectorELNS0_4arch9wavefront6targetE0EEEvSK_.private_seg_size, 0
	.set _ZN7rocprim17ROCPRIM_400000_NS6detail17trampoline_kernelINS0_14default_configENS1_38merge_sort_block_merge_config_selectorIsNS0_10empty_typeEEEZZNS1_27merge_sort_block_merge_implIS3_N6thrust23THRUST_200600_302600_NS6detail15normal_iteratorINS9_10device_ptrIsEEEEPS5_m9comp_mod3IsEEE10hipError_tT0_T1_T2_jT3_P12ihipStream_tbPNSt15iterator_traitsISJ_E10value_typeEPNSP_ISK_E10value_typeEPSL_NS1_7vsmem_tEENKUlT_SJ_SK_SL_E_clIPsSE_SF_SF_EESI_SY_SJ_SK_SL_EUlSY_E_NS1_11comp_targetILNS1_3genE10ELNS1_11target_archE1201ELNS1_3gpuE5ELNS1_3repE0EEENS1_48merge_mergepath_partition_config_static_selectorELNS0_4arch9wavefront6targetE0EEEvSK_.uses_vcc, 0
	.set _ZN7rocprim17ROCPRIM_400000_NS6detail17trampoline_kernelINS0_14default_configENS1_38merge_sort_block_merge_config_selectorIsNS0_10empty_typeEEEZZNS1_27merge_sort_block_merge_implIS3_N6thrust23THRUST_200600_302600_NS6detail15normal_iteratorINS9_10device_ptrIsEEEEPS5_m9comp_mod3IsEEE10hipError_tT0_T1_T2_jT3_P12ihipStream_tbPNSt15iterator_traitsISJ_E10value_typeEPNSP_ISK_E10value_typeEPSL_NS1_7vsmem_tEENKUlT_SJ_SK_SL_E_clIPsSE_SF_SF_EESI_SY_SJ_SK_SL_EUlSY_E_NS1_11comp_targetILNS1_3genE10ELNS1_11target_archE1201ELNS1_3gpuE5ELNS1_3repE0EEENS1_48merge_mergepath_partition_config_static_selectorELNS0_4arch9wavefront6targetE0EEEvSK_.uses_flat_scratch, 0
	.set _ZN7rocprim17ROCPRIM_400000_NS6detail17trampoline_kernelINS0_14default_configENS1_38merge_sort_block_merge_config_selectorIsNS0_10empty_typeEEEZZNS1_27merge_sort_block_merge_implIS3_N6thrust23THRUST_200600_302600_NS6detail15normal_iteratorINS9_10device_ptrIsEEEEPS5_m9comp_mod3IsEEE10hipError_tT0_T1_T2_jT3_P12ihipStream_tbPNSt15iterator_traitsISJ_E10value_typeEPNSP_ISK_E10value_typeEPSL_NS1_7vsmem_tEENKUlT_SJ_SK_SL_E_clIPsSE_SF_SF_EESI_SY_SJ_SK_SL_EUlSY_E_NS1_11comp_targetILNS1_3genE10ELNS1_11target_archE1201ELNS1_3gpuE5ELNS1_3repE0EEENS1_48merge_mergepath_partition_config_static_selectorELNS0_4arch9wavefront6targetE0EEEvSK_.has_dyn_sized_stack, 0
	.set _ZN7rocprim17ROCPRIM_400000_NS6detail17trampoline_kernelINS0_14default_configENS1_38merge_sort_block_merge_config_selectorIsNS0_10empty_typeEEEZZNS1_27merge_sort_block_merge_implIS3_N6thrust23THRUST_200600_302600_NS6detail15normal_iteratorINS9_10device_ptrIsEEEEPS5_m9comp_mod3IsEEE10hipError_tT0_T1_T2_jT3_P12ihipStream_tbPNSt15iterator_traitsISJ_E10value_typeEPNSP_ISK_E10value_typeEPSL_NS1_7vsmem_tEENKUlT_SJ_SK_SL_E_clIPsSE_SF_SF_EESI_SY_SJ_SK_SL_EUlSY_E_NS1_11comp_targetILNS1_3genE10ELNS1_11target_archE1201ELNS1_3gpuE5ELNS1_3repE0EEENS1_48merge_mergepath_partition_config_static_selectorELNS0_4arch9wavefront6targetE0EEEvSK_.has_recursion, 0
	.set _ZN7rocprim17ROCPRIM_400000_NS6detail17trampoline_kernelINS0_14default_configENS1_38merge_sort_block_merge_config_selectorIsNS0_10empty_typeEEEZZNS1_27merge_sort_block_merge_implIS3_N6thrust23THRUST_200600_302600_NS6detail15normal_iteratorINS9_10device_ptrIsEEEEPS5_m9comp_mod3IsEEE10hipError_tT0_T1_T2_jT3_P12ihipStream_tbPNSt15iterator_traitsISJ_E10value_typeEPNSP_ISK_E10value_typeEPSL_NS1_7vsmem_tEENKUlT_SJ_SK_SL_E_clIPsSE_SF_SF_EESI_SY_SJ_SK_SL_EUlSY_E_NS1_11comp_targetILNS1_3genE10ELNS1_11target_archE1201ELNS1_3gpuE5ELNS1_3repE0EEENS1_48merge_mergepath_partition_config_static_selectorELNS0_4arch9wavefront6targetE0EEEvSK_.has_indirect_call, 0
	.section	.AMDGPU.csdata,"",@progbits
; Kernel info:
; codeLenInByte = 0
; TotalNumSgprs: 0
; NumVgprs: 0
; ScratchSize: 0
; MemoryBound: 0
; FloatMode: 240
; IeeeMode: 1
; LDSByteSize: 0 bytes/workgroup (compile time only)
; SGPRBlocks: 0
; VGPRBlocks: 0
; NumSGPRsForWavesPerEU: 1
; NumVGPRsForWavesPerEU: 1
; Occupancy: 16
; WaveLimiterHint : 0
; COMPUTE_PGM_RSRC2:SCRATCH_EN: 0
; COMPUTE_PGM_RSRC2:USER_SGPR: 6
; COMPUTE_PGM_RSRC2:TRAP_HANDLER: 0
; COMPUTE_PGM_RSRC2:TGID_X_EN: 1
; COMPUTE_PGM_RSRC2:TGID_Y_EN: 0
; COMPUTE_PGM_RSRC2:TGID_Z_EN: 0
; COMPUTE_PGM_RSRC2:TIDIG_COMP_CNT: 0
	.section	.text._ZN7rocprim17ROCPRIM_400000_NS6detail17trampoline_kernelINS0_14default_configENS1_38merge_sort_block_merge_config_selectorIsNS0_10empty_typeEEEZZNS1_27merge_sort_block_merge_implIS3_N6thrust23THRUST_200600_302600_NS6detail15normal_iteratorINS9_10device_ptrIsEEEEPS5_m9comp_mod3IsEEE10hipError_tT0_T1_T2_jT3_P12ihipStream_tbPNSt15iterator_traitsISJ_E10value_typeEPNSP_ISK_E10value_typeEPSL_NS1_7vsmem_tEENKUlT_SJ_SK_SL_E_clIPsSE_SF_SF_EESI_SY_SJ_SK_SL_EUlSY_E_NS1_11comp_targetILNS1_3genE5ELNS1_11target_archE942ELNS1_3gpuE9ELNS1_3repE0EEENS1_48merge_mergepath_partition_config_static_selectorELNS0_4arch9wavefront6targetE0EEEvSK_,"axG",@progbits,_ZN7rocprim17ROCPRIM_400000_NS6detail17trampoline_kernelINS0_14default_configENS1_38merge_sort_block_merge_config_selectorIsNS0_10empty_typeEEEZZNS1_27merge_sort_block_merge_implIS3_N6thrust23THRUST_200600_302600_NS6detail15normal_iteratorINS9_10device_ptrIsEEEEPS5_m9comp_mod3IsEEE10hipError_tT0_T1_T2_jT3_P12ihipStream_tbPNSt15iterator_traitsISJ_E10value_typeEPNSP_ISK_E10value_typeEPSL_NS1_7vsmem_tEENKUlT_SJ_SK_SL_E_clIPsSE_SF_SF_EESI_SY_SJ_SK_SL_EUlSY_E_NS1_11comp_targetILNS1_3genE5ELNS1_11target_archE942ELNS1_3gpuE9ELNS1_3repE0EEENS1_48merge_mergepath_partition_config_static_selectorELNS0_4arch9wavefront6targetE0EEEvSK_,comdat
	.protected	_ZN7rocprim17ROCPRIM_400000_NS6detail17trampoline_kernelINS0_14default_configENS1_38merge_sort_block_merge_config_selectorIsNS0_10empty_typeEEEZZNS1_27merge_sort_block_merge_implIS3_N6thrust23THRUST_200600_302600_NS6detail15normal_iteratorINS9_10device_ptrIsEEEEPS5_m9comp_mod3IsEEE10hipError_tT0_T1_T2_jT3_P12ihipStream_tbPNSt15iterator_traitsISJ_E10value_typeEPNSP_ISK_E10value_typeEPSL_NS1_7vsmem_tEENKUlT_SJ_SK_SL_E_clIPsSE_SF_SF_EESI_SY_SJ_SK_SL_EUlSY_E_NS1_11comp_targetILNS1_3genE5ELNS1_11target_archE942ELNS1_3gpuE9ELNS1_3repE0EEENS1_48merge_mergepath_partition_config_static_selectorELNS0_4arch9wavefront6targetE0EEEvSK_ ; -- Begin function _ZN7rocprim17ROCPRIM_400000_NS6detail17trampoline_kernelINS0_14default_configENS1_38merge_sort_block_merge_config_selectorIsNS0_10empty_typeEEEZZNS1_27merge_sort_block_merge_implIS3_N6thrust23THRUST_200600_302600_NS6detail15normal_iteratorINS9_10device_ptrIsEEEEPS5_m9comp_mod3IsEEE10hipError_tT0_T1_T2_jT3_P12ihipStream_tbPNSt15iterator_traitsISJ_E10value_typeEPNSP_ISK_E10value_typeEPSL_NS1_7vsmem_tEENKUlT_SJ_SK_SL_E_clIPsSE_SF_SF_EESI_SY_SJ_SK_SL_EUlSY_E_NS1_11comp_targetILNS1_3genE5ELNS1_11target_archE942ELNS1_3gpuE9ELNS1_3repE0EEENS1_48merge_mergepath_partition_config_static_selectorELNS0_4arch9wavefront6targetE0EEEvSK_
	.globl	_ZN7rocprim17ROCPRIM_400000_NS6detail17trampoline_kernelINS0_14default_configENS1_38merge_sort_block_merge_config_selectorIsNS0_10empty_typeEEEZZNS1_27merge_sort_block_merge_implIS3_N6thrust23THRUST_200600_302600_NS6detail15normal_iteratorINS9_10device_ptrIsEEEEPS5_m9comp_mod3IsEEE10hipError_tT0_T1_T2_jT3_P12ihipStream_tbPNSt15iterator_traitsISJ_E10value_typeEPNSP_ISK_E10value_typeEPSL_NS1_7vsmem_tEENKUlT_SJ_SK_SL_E_clIPsSE_SF_SF_EESI_SY_SJ_SK_SL_EUlSY_E_NS1_11comp_targetILNS1_3genE5ELNS1_11target_archE942ELNS1_3gpuE9ELNS1_3repE0EEENS1_48merge_mergepath_partition_config_static_selectorELNS0_4arch9wavefront6targetE0EEEvSK_
	.p2align	8
	.type	_ZN7rocprim17ROCPRIM_400000_NS6detail17trampoline_kernelINS0_14default_configENS1_38merge_sort_block_merge_config_selectorIsNS0_10empty_typeEEEZZNS1_27merge_sort_block_merge_implIS3_N6thrust23THRUST_200600_302600_NS6detail15normal_iteratorINS9_10device_ptrIsEEEEPS5_m9comp_mod3IsEEE10hipError_tT0_T1_T2_jT3_P12ihipStream_tbPNSt15iterator_traitsISJ_E10value_typeEPNSP_ISK_E10value_typeEPSL_NS1_7vsmem_tEENKUlT_SJ_SK_SL_E_clIPsSE_SF_SF_EESI_SY_SJ_SK_SL_EUlSY_E_NS1_11comp_targetILNS1_3genE5ELNS1_11target_archE942ELNS1_3gpuE9ELNS1_3repE0EEENS1_48merge_mergepath_partition_config_static_selectorELNS0_4arch9wavefront6targetE0EEEvSK_,@function
_ZN7rocprim17ROCPRIM_400000_NS6detail17trampoline_kernelINS0_14default_configENS1_38merge_sort_block_merge_config_selectorIsNS0_10empty_typeEEEZZNS1_27merge_sort_block_merge_implIS3_N6thrust23THRUST_200600_302600_NS6detail15normal_iteratorINS9_10device_ptrIsEEEEPS5_m9comp_mod3IsEEE10hipError_tT0_T1_T2_jT3_P12ihipStream_tbPNSt15iterator_traitsISJ_E10value_typeEPNSP_ISK_E10value_typeEPSL_NS1_7vsmem_tEENKUlT_SJ_SK_SL_E_clIPsSE_SF_SF_EESI_SY_SJ_SK_SL_EUlSY_E_NS1_11comp_targetILNS1_3genE5ELNS1_11target_archE942ELNS1_3gpuE9ELNS1_3repE0EEENS1_48merge_mergepath_partition_config_static_selectorELNS0_4arch9wavefront6targetE0EEEvSK_: ; @_ZN7rocprim17ROCPRIM_400000_NS6detail17trampoline_kernelINS0_14default_configENS1_38merge_sort_block_merge_config_selectorIsNS0_10empty_typeEEEZZNS1_27merge_sort_block_merge_implIS3_N6thrust23THRUST_200600_302600_NS6detail15normal_iteratorINS9_10device_ptrIsEEEEPS5_m9comp_mod3IsEEE10hipError_tT0_T1_T2_jT3_P12ihipStream_tbPNSt15iterator_traitsISJ_E10value_typeEPNSP_ISK_E10value_typeEPSL_NS1_7vsmem_tEENKUlT_SJ_SK_SL_E_clIPsSE_SF_SF_EESI_SY_SJ_SK_SL_EUlSY_E_NS1_11comp_targetILNS1_3genE5ELNS1_11target_archE942ELNS1_3gpuE9ELNS1_3repE0EEENS1_48merge_mergepath_partition_config_static_selectorELNS0_4arch9wavefront6targetE0EEEvSK_
; %bb.0:
	.section	.rodata,"a",@progbits
	.p2align	6, 0x0
	.amdhsa_kernel _ZN7rocprim17ROCPRIM_400000_NS6detail17trampoline_kernelINS0_14default_configENS1_38merge_sort_block_merge_config_selectorIsNS0_10empty_typeEEEZZNS1_27merge_sort_block_merge_implIS3_N6thrust23THRUST_200600_302600_NS6detail15normal_iteratorINS9_10device_ptrIsEEEEPS5_m9comp_mod3IsEEE10hipError_tT0_T1_T2_jT3_P12ihipStream_tbPNSt15iterator_traitsISJ_E10value_typeEPNSP_ISK_E10value_typeEPSL_NS1_7vsmem_tEENKUlT_SJ_SK_SL_E_clIPsSE_SF_SF_EESI_SY_SJ_SK_SL_EUlSY_E_NS1_11comp_targetILNS1_3genE5ELNS1_11target_archE942ELNS1_3gpuE9ELNS1_3repE0EEENS1_48merge_mergepath_partition_config_static_selectorELNS0_4arch9wavefront6targetE0EEEvSK_
		.amdhsa_group_segment_fixed_size 0
		.amdhsa_private_segment_fixed_size 0
		.amdhsa_kernarg_size 48
		.amdhsa_user_sgpr_count 6
		.amdhsa_user_sgpr_private_segment_buffer 1
		.amdhsa_user_sgpr_dispatch_ptr 0
		.amdhsa_user_sgpr_queue_ptr 0
		.amdhsa_user_sgpr_kernarg_segment_ptr 1
		.amdhsa_user_sgpr_dispatch_id 0
		.amdhsa_user_sgpr_flat_scratch_init 0
		.amdhsa_user_sgpr_private_segment_size 0
		.amdhsa_wavefront_size32 1
		.amdhsa_uses_dynamic_stack 0
		.amdhsa_system_sgpr_private_segment_wavefront_offset 0
		.amdhsa_system_sgpr_workgroup_id_x 1
		.amdhsa_system_sgpr_workgroup_id_y 0
		.amdhsa_system_sgpr_workgroup_id_z 0
		.amdhsa_system_sgpr_workgroup_info 0
		.amdhsa_system_vgpr_workitem_id 0
		.amdhsa_next_free_vgpr 1
		.amdhsa_next_free_sgpr 1
		.amdhsa_reserve_vcc 0
		.amdhsa_reserve_flat_scratch 0
		.amdhsa_float_round_mode_32 0
		.amdhsa_float_round_mode_16_64 0
		.amdhsa_float_denorm_mode_32 3
		.amdhsa_float_denorm_mode_16_64 3
		.amdhsa_dx10_clamp 1
		.amdhsa_ieee_mode 1
		.amdhsa_fp16_overflow 0
		.amdhsa_workgroup_processor_mode 1
		.amdhsa_memory_ordered 1
		.amdhsa_forward_progress 1
		.amdhsa_shared_vgpr_count 0
		.amdhsa_exception_fp_ieee_invalid_op 0
		.amdhsa_exception_fp_denorm_src 0
		.amdhsa_exception_fp_ieee_div_zero 0
		.amdhsa_exception_fp_ieee_overflow 0
		.amdhsa_exception_fp_ieee_underflow 0
		.amdhsa_exception_fp_ieee_inexact 0
		.amdhsa_exception_int_div_zero 0
	.end_amdhsa_kernel
	.section	.text._ZN7rocprim17ROCPRIM_400000_NS6detail17trampoline_kernelINS0_14default_configENS1_38merge_sort_block_merge_config_selectorIsNS0_10empty_typeEEEZZNS1_27merge_sort_block_merge_implIS3_N6thrust23THRUST_200600_302600_NS6detail15normal_iteratorINS9_10device_ptrIsEEEEPS5_m9comp_mod3IsEEE10hipError_tT0_T1_T2_jT3_P12ihipStream_tbPNSt15iterator_traitsISJ_E10value_typeEPNSP_ISK_E10value_typeEPSL_NS1_7vsmem_tEENKUlT_SJ_SK_SL_E_clIPsSE_SF_SF_EESI_SY_SJ_SK_SL_EUlSY_E_NS1_11comp_targetILNS1_3genE5ELNS1_11target_archE942ELNS1_3gpuE9ELNS1_3repE0EEENS1_48merge_mergepath_partition_config_static_selectorELNS0_4arch9wavefront6targetE0EEEvSK_,"axG",@progbits,_ZN7rocprim17ROCPRIM_400000_NS6detail17trampoline_kernelINS0_14default_configENS1_38merge_sort_block_merge_config_selectorIsNS0_10empty_typeEEEZZNS1_27merge_sort_block_merge_implIS3_N6thrust23THRUST_200600_302600_NS6detail15normal_iteratorINS9_10device_ptrIsEEEEPS5_m9comp_mod3IsEEE10hipError_tT0_T1_T2_jT3_P12ihipStream_tbPNSt15iterator_traitsISJ_E10value_typeEPNSP_ISK_E10value_typeEPSL_NS1_7vsmem_tEENKUlT_SJ_SK_SL_E_clIPsSE_SF_SF_EESI_SY_SJ_SK_SL_EUlSY_E_NS1_11comp_targetILNS1_3genE5ELNS1_11target_archE942ELNS1_3gpuE9ELNS1_3repE0EEENS1_48merge_mergepath_partition_config_static_selectorELNS0_4arch9wavefront6targetE0EEEvSK_,comdat
.Lfunc_end1048:
	.size	_ZN7rocprim17ROCPRIM_400000_NS6detail17trampoline_kernelINS0_14default_configENS1_38merge_sort_block_merge_config_selectorIsNS0_10empty_typeEEEZZNS1_27merge_sort_block_merge_implIS3_N6thrust23THRUST_200600_302600_NS6detail15normal_iteratorINS9_10device_ptrIsEEEEPS5_m9comp_mod3IsEEE10hipError_tT0_T1_T2_jT3_P12ihipStream_tbPNSt15iterator_traitsISJ_E10value_typeEPNSP_ISK_E10value_typeEPSL_NS1_7vsmem_tEENKUlT_SJ_SK_SL_E_clIPsSE_SF_SF_EESI_SY_SJ_SK_SL_EUlSY_E_NS1_11comp_targetILNS1_3genE5ELNS1_11target_archE942ELNS1_3gpuE9ELNS1_3repE0EEENS1_48merge_mergepath_partition_config_static_selectorELNS0_4arch9wavefront6targetE0EEEvSK_, .Lfunc_end1048-_ZN7rocprim17ROCPRIM_400000_NS6detail17trampoline_kernelINS0_14default_configENS1_38merge_sort_block_merge_config_selectorIsNS0_10empty_typeEEEZZNS1_27merge_sort_block_merge_implIS3_N6thrust23THRUST_200600_302600_NS6detail15normal_iteratorINS9_10device_ptrIsEEEEPS5_m9comp_mod3IsEEE10hipError_tT0_T1_T2_jT3_P12ihipStream_tbPNSt15iterator_traitsISJ_E10value_typeEPNSP_ISK_E10value_typeEPSL_NS1_7vsmem_tEENKUlT_SJ_SK_SL_E_clIPsSE_SF_SF_EESI_SY_SJ_SK_SL_EUlSY_E_NS1_11comp_targetILNS1_3genE5ELNS1_11target_archE942ELNS1_3gpuE9ELNS1_3repE0EEENS1_48merge_mergepath_partition_config_static_selectorELNS0_4arch9wavefront6targetE0EEEvSK_
                                        ; -- End function
	.set _ZN7rocprim17ROCPRIM_400000_NS6detail17trampoline_kernelINS0_14default_configENS1_38merge_sort_block_merge_config_selectorIsNS0_10empty_typeEEEZZNS1_27merge_sort_block_merge_implIS3_N6thrust23THRUST_200600_302600_NS6detail15normal_iteratorINS9_10device_ptrIsEEEEPS5_m9comp_mod3IsEEE10hipError_tT0_T1_T2_jT3_P12ihipStream_tbPNSt15iterator_traitsISJ_E10value_typeEPNSP_ISK_E10value_typeEPSL_NS1_7vsmem_tEENKUlT_SJ_SK_SL_E_clIPsSE_SF_SF_EESI_SY_SJ_SK_SL_EUlSY_E_NS1_11comp_targetILNS1_3genE5ELNS1_11target_archE942ELNS1_3gpuE9ELNS1_3repE0EEENS1_48merge_mergepath_partition_config_static_selectorELNS0_4arch9wavefront6targetE0EEEvSK_.num_vgpr, 0
	.set _ZN7rocprim17ROCPRIM_400000_NS6detail17trampoline_kernelINS0_14default_configENS1_38merge_sort_block_merge_config_selectorIsNS0_10empty_typeEEEZZNS1_27merge_sort_block_merge_implIS3_N6thrust23THRUST_200600_302600_NS6detail15normal_iteratorINS9_10device_ptrIsEEEEPS5_m9comp_mod3IsEEE10hipError_tT0_T1_T2_jT3_P12ihipStream_tbPNSt15iterator_traitsISJ_E10value_typeEPNSP_ISK_E10value_typeEPSL_NS1_7vsmem_tEENKUlT_SJ_SK_SL_E_clIPsSE_SF_SF_EESI_SY_SJ_SK_SL_EUlSY_E_NS1_11comp_targetILNS1_3genE5ELNS1_11target_archE942ELNS1_3gpuE9ELNS1_3repE0EEENS1_48merge_mergepath_partition_config_static_selectorELNS0_4arch9wavefront6targetE0EEEvSK_.num_agpr, 0
	.set _ZN7rocprim17ROCPRIM_400000_NS6detail17trampoline_kernelINS0_14default_configENS1_38merge_sort_block_merge_config_selectorIsNS0_10empty_typeEEEZZNS1_27merge_sort_block_merge_implIS3_N6thrust23THRUST_200600_302600_NS6detail15normal_iteratorINS9_10device_ptrIsEEEEPS5_m9comp_mod3IsEEE10hipError_tT0_T1_T2_jT3_P12ihipStream_tbPNSt15iterator_traitsISJ_E10value_typeEPNSP_ISK_E10value_typeEPSL_NS1_7vsmem_tEENKUlT_SJ_SK_SL_E_clIPsSE_SF_SF_EESI_SY_SJ_SK_SL_EUlSY_E_NS1_11comp_targetILNS1_3genE5ELNS1_11target_archE942ELNS1_3gpuE9ELNS1_3repE0EEENS1_48merge_mergepath_partition_config_static_selectorELNS0_4arch9wavefront6targetE0EEEvSK_.numbered_sgpr, 0
	.set _ZN7rocprim17ROCPRIM_400000_NS6detail17trampoline_kernelINS0_14default_configENS1_38merge_sort_block_merge_config_selectorIsNS0_10empty_typeEEEZZNS1_27merge_sort_block_merge_implIS3_N6thrust23THRUST_200600_302600_NS6detail15normal_iteratorINS9_10device_ptrIsEEEEPS5_m9comp_mod3IsEEE10hipError_tT0_T1_T2_jT3_P12ihipStream_tbPNSt15iterator_traitsISJ_E10value_typeEPNSP_ISK_E10value_typeEPSL_NS1_7vsmem_tEENKUlT_SJ_SK_SL_E_clIPsSE_SF_SF_EESI_SY_SJ_SK_SL_EUlSY_E_NS1_11comp_targetILNS1_3genE5ELNS1_11target_archE942ELNS1_3gpuE9ELNS1_3repE0EEENS1_48merge_mergepath_partition_config_static_selectorELNS0_4arch9wavefront6targetE0EEEvSK_.num_named_barrier, 0
	.set _ZN7rocprim17ROCPRIM_400000_NS6detail17trampoline_kernelINS0_14default_configENS1_38merge_sort_block_merge_config_selectorIsNS0_10empty_typeEEEZZNS1_27merge_sort_block_merge_implIS3_N6thrust23THRUST_200600_302600_NS6detail15normal_iteratorINS9_10device_ptrIsEEEEPS5_m9comp_mod3IsEEE10hipError_tT0_T1_T2_jT3_P12ihipStream_tbPNSt15iterator_traitsISJ_E10value_typeEPNSP_ISK_E10value_typeEPSL_NS1_7vsmem_tEENKUlT_SJ_SK_SL_E_clIPsSE_SF_SF_EESI_SY_SJ_SK_SL_EUlSY_E_NS1_11comp_targetILNS1_3genE5ELNS1_11target_archE942ELNS1_3gpuE9ELNS1_3repE0EEENS1_48merge_mergepath_partition_config_static_selectorELNS0_4arch9wavefront6targetE0EEEvSK_.private_seg_size, 0
	.set _ZN7rocprim17ROCPRIM_400000_NS6detail17trampoline_kernelINS0_14default_configENS1_38merge_sort_block_merge_config_selectorIsNS0_10empty_typeEEEZZNS1_27merge_sort_block_merge_implIS3_N6thrust23THRUST_200600_302600_NS6detail15normal_iteratorINS9_10device_ptrIsEEEEPS5_m9comp_mod3IsEEE10hipError_tT0_T1_T2_jT3_P12ihipStream_tbPNSt15iterator_traitsISJ_E10value_typeEPNSP_ISK_E10value_typeEPSL_NS1_7vsmem_tEENKUlT_SJ_SK_SL_E_clIPsSE_SF_SF_EESI_SY_SJ_SK_SL_EUlSY_E_NS1_11comp_targetILNS1_3genE5ELNS1_11target_archE942ELNS1_3gpuE9ELNS1_3repE0EEENS1_48merge_mergepath_partition_config_static_selectorELNS0_4arch9wavefront6targetE0EEEvSK_.uses_vcc, 0
	.set _ZN7rocprim17ROCPRIM_400000_NS6detail17trampoline_kernelINS0_14default_configENS1_38merge_sort_block_merge_config_selectorIsNS0_10empty_typeEEEZZNS1_27merge_sort_block_merge_implIS3_N6thrust23THRUST_200600_302600_NS6detail15normal_iteratorINS9_10device_ptrIsEEEEPS5_m9comp_mod3IsEEE10hipError_tT0_T1_T2_jT3_P12ihipStream_tbPNSt15iterator_traitsISJ_E10value_typeEPNSP_ISK_E10value_typeEPSL_NS1_7vsmem_tEENKUlT_SJ_SK_SL_E_clIPsSE_SF_SF_EESI_SY_SJ_SK_SL_EUlSY_E_NS1_11comp_targetILNS1_3genE5ELNS1_11target_archE942ELNS1_3gpuE9ELNS1_3repE0EEENS1_48merge_mergepath_partition_config_static_selectorELNS0_4arch9wavefront6targetE0EEEvSK_.uses_flat_scratch, 0
	.set _ZN7rocprim17ROCPRIM_400000_NS6detail17trampoline_kernelINS0_14default_configENS1_38merge_sort_block_merge_config_selectorIsNS0_10empty_typeEEEZZNS1_27merge_sort_block_merge_implIS3_N6thrust23THRUST_200600_302600_NS6detail15normal_iteratorINS9_10device_ptrIsEEEEPS5_m9comp_mod3IsEEE10hipError_tT0_T1_T2_jT3_P12ihipStream_tbPNSt15iterator_traitsISJ_E10value_typeEPNSP_ISK_E10value_typeEPSL_NS1_7vsmem_tEENKUlT_SJ_SK_SL_E_clIPsSE_SF_SF_EESI_SY_SJ_SK_SL_EUlSY_E_NS1_11comp_targetILNS1_3genE5ELNS1_11target_archE942ELNS1_3gpuE9ELNS1_3repE0EEENS1_48merge_mergepath_partition_config_static_selectorELNS0_4arch9wavefront6targetE0EEEvSK_.has_dyn_sized_stack, 0
	.set _ZN7rocprim17ROCPRIM_400000_NS6detail17trampoline_kernelINS0_14default_configENS1_38merge_sort_block_merge_config_selectorIsNS0_10empty_typeEEEZZNS1_27merge_sort_block_merge_implIS3_N6thrust23THRUST_200600_302600_NS6detail15normal_iteratorINS9_10device_ptrIsEEEEPS5_m9comp_mod3IsEEE10hipError_tT0_T1_T2_jT3_P12ihipStream_tbPNSt15iterator_traitsISJ_E10value_typeEPNSP_ISK_E10value_typeEPSL_NS1_7vsmem_tEENKUlT_SJ_SK_SL_E_clIPsSE_SF_SF_EESI_SY_SJ_SK_SL_EUlSY_E_NS1_11comp_targetILNS1_3genE5ELNS1_11target_archE942ELNS1_3gpuE9ELNS1_3repE0EEENS1_48merge_mergepath_partition_config_static_selectorELNS0_4arch9wavefront6targetE0EEEvSK_.has_recursion, 0
	.set _ZN7rocprim17ROCPRIM_400000_NS6detail17trampoline_kernelINS0_14default_configENS1_38merge_sort_block_merge_config_selectorIsNS0_10empty_typeEEEZZNS1_27merge_sort_block_merge_implIS3_N6thrust23THRUST_200600_302600_NS6detail15normal_iteratorINS9_10device_ptrIsEEEEPS5_m9comp_mod3IsEEE10hipError_tT0_T1_T2_jT3_P12ihipStream_tbPNSt15iterator_traitsISJ_E10value_typeEPNSP_ISK_E10value_typeEPSL_NS1_7vsmem_tEENKUlT_SJ_SK_SL_E_clIPsSE_SF_SF_EESI_SY_SJ_SK_SL_EUlSY_E_NS1_11comp_targetILNS1_3genE5ELNS1_11target_archE942ELNS1_3gpuE9ELNS1_3repE0EEENS1_48merge_mergepath_partition_config_static_selectorELNS0_4arch9wavefront6targetE0EEEvSK_.has_indirect_call, 0
	.section	.AMDGPU.csdata,"",@progbits
; Kernel info:
; codeLenInByte = 0
; TotalNumSgprs: 0
; NumVgprs: 0
; ScratchSize: 0
; MemoryBound: 0
; FloatMode: 240
; IeeeMode: 1
; LDSByteSize: 0 bytes/workgroup (compile time only)
; SGPRBlocks: 0
; VGPRBlocks: 0
; NumSGPRsForWavesPerEU: 1
; NumVGPRsForWavesPerEU: 1
; Occupancy: 16
; WaveLimiterHint : 0
; COMPUTE_PGM_RSRC2:SCRATCH_EN: 0
; COMPUTE_PGM_RSRC2:USER_SGPR: 6
; COMPUTE_PGM_RSRC2:TRAP_HANDLER: 0
; COMPUTE_PGM_RSRC2:TGID_X_EN: 1
; COMPUTE_PGM_RSRC2:TGID_Y_EN: 0
; COMPUTE_PGM_RSRC2:TGID_Z_EN: 0
; COMPUTE_PGM_RSRC2:TIDIG_COMP_CNT: 0
	.section	.text._ZN7rocprim17ROCPRIM_400000_NS6detail17trampoline_kernelINS0_14default_configENS1_38merge_sort_block_merge_config_selectorIsNS0_10empty_typeEEEZZNS1_27merge_sort_block_merge_implIS3_N6thrust23THRUST_200600_302600_NS6detail15normal_iteratorINS9_10device_ptrIsEEEEPS5_m9comp_mod3IsEEE10hipError_tT0_T1_T2_jT3_P12ihipStream_tbPNSt15iterator_traitsISJ_E10value_typeEPNSP_ISK_E10value_typeEPSL_NS1_7vsmem_tEENKUlT_SJ_SK_SL_E_clIPsSE_SF_SF_EESI_SY_SJ_SK_SL_EUlSY_E_NS1_11comp_targetILNS1_3genE4ELNS1_11target_archE910ELNS1_3gpuE8ELNS1_3repE0EEENS1_48merge_mergepath_partition_config_static_selectorELNS0_4arch9wavefront6targetE0EEEvSK_,"axG",@progbits,_ZN7rocprim17ROCPRIM_400000_NS6detail17trampoline_kernelINS0_14default_configENS1_38merge_sort_block_merge_config_selectorIsNS0_10empty_typeEEEZZNS1_27merge_sort_block_merge_implIS3_N6thrust23THRUST_200600_302600_NS6detail15normal_iteratorINS9_10device_ptrIsEEEEPS5_m9comp_mod3IsEEE10hipError_tT0_T1_T2_jT3_P12ihipStream_tbPNSt15iterator_traitsISJ_E10value_typeEPNSP_ISK_E10value_typeEPSL_NS1_7vsmem_tEENKUlT_SJ_SK_SL_E_clIPsSE_SF_SF_EESI_SY_SJ_SK_SL_EUlSY_E_NS1_11comp_targetILNS1_3genE4ELNS1_11target_archE910ELNS1_3gpuE8ELNS1_3repE0EEENS1_48merge_mergepath_partition_config_static_selectorELNS0_4arch9wavefront6targetE0EEEvSK_,comdat
	.protected	_ZN7rocprim17ROCPRIM_400000_NS6detail17trampoline_kernelINS0_14default_configENS1_38merge_sort_block_merge_config_selectorIsNS0_10empty_typeEEEZZNS1_27merge_sort_block_merge_implIS3_N6thrust23THRUST_200600_302600_NS6detail15normal_iteratorINS9_10device_ptrIsEEEEPS5_m9comp_mod3IsEEE10hipError_tT0_T1_T2_jT3_P12ihipStream_tbPNSt15iterator_traitsISJ_E10value_typeEPNSP_ISK_E10value_typeEPSL_NS1_7vsmem_tEENKUlT_SJ_SK_SL_E_clIPsSE_SF_SF_EESI_SY_SJ_SK_SL_EUlSY_E_NS1_11comp_targetILNS1_3genE4ELNS1_11target_archE910ELNS1_3gpuE8ELNS1_3repE0EEENS1_48merge_mergepath_partition_config_static_selectorELNS0_4arch9wavefront6targetE0EEEvSK_ ; -- Begin function _ZN7rocprim17ROCPRIM_400000_NS6detail17trampoline_kernelINS0_14default_configENS1_38merge_sort_block_merge_config_selectorIsNS0_10empty_typeEEEZZNS1_27merge_sort_block_merge_implIS3_N6thrust23THRUST_200600_302600_NS6detail15normal_iteratorINS9_10device_ptrIsEEEEPS5_m9comp_mod3IsEEE10hipError_tT0_T1_T2_jT3_P12ihipStream_tbPNSt15iterator_traitsISJ_E10value_typeEPNSP_ISK_E10value_typeEPSL_NS1_7vsmem_tEENKUlT_SJ_SK_SL_E_clIPsSE_SF_SF_EESI_SY_SJ_SK_SL_EUlSY_E_NS1_11comp_targetILNS1_3genE4ELNS1_11target_archE910ELNS1_3gpuE8ELNS1_3repE0EEENS1_48merge_mergepath_partition_config_static_selectorELNS0_4arch9wavefront6targetE0EEEvSK_
	.globl	_ZN7rocprim17ROCPRIM_400000_NS6detail17trampoline_kernelINS0_14default_configENS1_38merge_sort_block_merge_config_selectorIsNS0_10empty_typeEEEZZNS1_27merge_sort_block_merge_implIS3_N6thrust23THRUST_200600_302600_NS6detail15normal_iteratorINS9_10device_ptrIsEEEEPS5_m9comp_mod3IsEEE10hipError_tT0_T1_T2_jT3_P12ihipStream_tbPNSt15iterator_traitsISJ_E10value_typeEPNSP_ISK_E10value_typeEPSL_NS1_7vsmem_tEENKUlT_SJ_SK_SL_E_clIPsSE_SF_SF_EESI_SY_SJ_SK_SL_EUlSY_E_NS1_11comp_targetILNS1_3genE4ELNS1_11target_archE910ELNS1_3gpuE8ELNS1_3repE0EEENS1_48merge_mergepath_partition_config_static_selectorELNS0_4arch9wavefront6targetE0EEEvSK_
	.p2align	8
	.type	_ZN7rocprim17ROCPRIM_400000_NS6detail17trampoline_kernelINS0_14default_configENS1_38merge_sort_block_merge_config_selectorIsNS0_10empty_typeEEEZZNS1_27merge_sort_block_merge_implIS3_N6thrust23THRUST_200600_302600_NS6detail15normal_iteratorINS9_10device_ptrIsEEEEPS5_m9comp_mod3IsEEE10hipError_tT0_T1_T2_jT3_P12ihipStream_tbPNSt15iterator_traitsISJ_E10value_typeEPNSP_ISK_E10value_typeEPSL_NS1_7vsmem_tEENKUlT_SJ_SK_SL_E_clIPsSE_SF_SF_EESI_SY_SJ_SK_SL_EUlSY_E_NS1_11comp_targetILNS1_3genE4ELNS1_11target_archE910ELNS1_3gpuE8ELNS1_3repE0EEENS1_48merge_mergepath_partition_config_static_selectorELNS0_4arch9wavefront6targetE0EEEvSK_,@function
_ZN7rocprim17ROCPRIM_400000_NS6detail17trampoline_kernelINS0_14default_configENS1_38merge_sort_block_merge_config_selectorIsNS0_10empty_typeEEEZZNS1_27merge_sort_block_merge_implIS3_N6thrust23THRUST_200600_302600_NS6detail15normal_iteratorINS9_10device_ptrIsEEEEPS5_m9comp_mod3IsEEE10hipError_tT0_T1_T2_jT3_P12ihipStream_tbPNSt15iterator_traitsISJ_E10value_typeEPNSP_ISK_E10value_typeEPSL_NS1_7vsmem_tEENKUlT_SJ_SK_SL_E_clIPsSE_SF_SF_EESI_SY_SJ_SK_SL_EUlSY_E_NS1_11comp_targetILNS1_3genE4ELNS1_11target_archE910ELNS1_3gpuE8ELNS1_3repE0EEENS1_48merge_mergepath_partition_config_static_selectorELNS0_4arch9wavefront6targetE0EEEvSK_: ; @_ZN7rocprim17ROCPRIM_400000_NS6detail17trampoline_kernelINS0_14default_configENS1_38merge_sort_block_merge_config_selectorIsNS0_10empty_typeEEEZZNS1_27merge_sort_block_merge_implIS3_N6thrust23THRUST_200600_302600_NS6detail15normal_iteratorINS9_10device_ptrIsEEEEPS5_m9comp_mod3IsEEE10hipError_tT0_T1_T2_jT3_P12ihipStream_tbPNSt15iterator_traitsISJ_E10value_typeEPNSP_ISK_E10value_typeEPSL_NS1_7vsmem_tEENKUlT_SJ_SK_SL_E_clIPsSE_SF_SF_EESI_SY_SJ_SK_SL_EUlSY_E_NS1_11comp_targetILNS1_3genE4ELNS1_11target_archE910ELNS1_3gpuE8ELNS1_3repE0EEENS1_48merge_mergepath_partition_config_static_selectorELNS0_4arch9wavefront6targetE0EEEvSK_
; %bb.0:
	.section	.rodata,"a",@progbits
	.p2align	6, 0x0
	.amdhsa_kernel _ZN7rocprim17ROCPRIM_400000_NS6detail17trampoline_kernelINS0_14default_configENS1_38merge_sort_block_merge_config_selectorIsNS0_10empty_typeEEEZZNS1_27merge_sort_block_merge_implIS3_N6thrust23THRUST_200600_302600_NS6detail15normal_iteratorINS9_10device_ptrIsEEEEPS5_m9comp_mod3IsEEE10hipError_tT0_T1_T2_jT3_P12ihipStream_tbPNSt15iterator_traitsISJ_E10value_typeEPNSP_ISK_E10value_typeEPSL_NS1_7vsmem_tEENKUlT_SJ_SK_SL_E_clIPsSE_SF_SF_EESI_SY_SJ_SK_SL_EUlSY_E_NS1_11comp_targetILNS1_3genE4ELNS1_11target_archE910ELNS1_3gpuE8ELNS1_3repE0EEENS1_48merge_mergepath_partition_config_static_selectorELNS0_4arch9wavefront6targetE0EEEvSK_
		.amdhsa_group_segment_fixed_size 0
		.amdhsa_private_segment_fixed_size 0
		.amdhsa_kernarg_size 48
		.amdhsa_user_sgpr_count 6
		.amdhsa_user_sgpr_private_segment_buffer 1
		.amdhsa_user_sgpr_dispatch_ptr 0
		.amdhsa_user_sgpr_queue_ptr 0
		.amdhsa_user_sgpr_kernarg_segment_ptr 1
		.amdhsa_user_sgpr_dispatch_id 0
		.amdhsa_user_sgpr_flat_scratch_init 0
		.amdhsa_user_sgpr_private_segment_size 0
		.amdhsa_wavefront_size32 1
		.amdhsa_uses_dynamic_stack 0
		.amdhsa_system_sgpr_private_segment_wavefront_offset 0
		.amdhsa_system_sgpr_workgroup_id_x 1
		.amdhsa_system_sgpr_workgroup_id_y 0
		.amdhsa_system_sgpr_workgroup_id_z 0
		.amdhsa_system_sgpr_workgroup_info 0
		.amdhsa_system_vgpr_workitem_id 0
		.amdhsa_next_free_vgpr 1
		.amdhsa_next_free_sgpr 1
		.amdhsa_reserve_vcc 0
		.amdhsa_reserve_flat_scratch 0
		.amdhsa_float_round_mode_32 0
		.amdhsa_float_round_mode_16_64 0
		.amdhsa_float_denorm_mode_32 3
		.amdhsa_float_denorm_mode_16_64 3
		.amdhsa_dx10_clamp 1
		.amdhsa_ieee_mode 1
		.amdhsa_fp16_overflow 0
		.amdhsa_workgroup_processor_mode 1
		.amdhsa_memory_ordered 1
		.amdhsa_forward_progress 1
		.amdhsa_shared_vgpr_count 0
		.amdhsa_exception_fp_ieee_invalid_op 0
		.amdhsa_exception_fp_denorm_src 0
		.amdhsa_exception_fp_ieee_div_zero 0
		.amdhsa_exception_fp_ieee_overflow 0
		.amdhsa_exception_fp_ieee_underflow 0
		.amdhsa_exception_fp_ieee_inexact 0
		.amdhsa_exception_int_div_zero 0
	.end_amdhsa_kernel
	.section	.text._ZN7rocprim17ROCPRIM_400000_NS6detail17trampoline_kernelINS0_14default_configENS1_38merge_sort_block_merge_config_selectorIsNS0_10empty_typeEEEZZNS1_27merge_sort_block_merge_implIS3_N6thrust23THRUST_200600_302600_NS6detail15normal_iteratorINS9_10device_ptrIsEEEEPS5_m9comp_mod3IsEEE10hipError_tT0_T1_T2_jT3_P12ihipStream_tbPNSt15iterator_traitsISJ_E10value_typeEPNSP_ISK_E10value_typeEPSL_NS1_7vsmem_tEENKUlT_SJ_SK_SL_E_clIPsSE_SF_SF_EESI_SY_SJ_SK_SL_EUlSY_E_NS1_11comp_targetILNS1_3genE4ELNS1_11target_archE910ELNS1_3gpuE8ELNS1_3repE0EEENS1_48merge_mergepath_partition_config_static_selectorELNS0_4arch9wavefront6targetE0EEEvSK_,"axG",@progbits,_ZN7rocprim17ROCPRIM_400000_NS6detail17trampoline_kernelINS0_14default_configENS1_38merge_sort_block_merge_config_selectorIsNS0_10empty_typeEEEZZNS1_27merge_sort_block_merge_implIS3_N6thrust23THRUST_200600_302600_NS6detail15normal_iteratorINS9_10device_ptrIsEEEEPS5_m9comp_mod3IsEEE10hipError_tT0_T1_T2_jT3_P12ihipStream_tbPNSt15iterator_traitsISJ_E10value_typeEPNSP_ISK_E10value_typeEPSL_NS1_7vsmem_tEENKUlT_SJ_SK_SL_E_clIPsSE_SF_SF_EESI_SY_SJ_SK_SL_EUlSY_E_NS1_11comp_targetILNS1_3genE4ELNS1_11target_archE910ELNS1_3gpuE8ELNS1_3repE0EEENS1_48merge_mergepath_partition_config_static_selectorELNS0_4arch9wavefront6targetE0EEEvSK_,comdat
.Lfunc_end1049:
	.size	_ZN7rocprim17ROCPRIM_400000_NS6detail17trampoline_kernelINS0_14default_configENS1_38merge_sort_block_merge_config_selectorIsNS0_10empty_typeEEEZZNS1_27merge_sort_block_merge_implIS3_N6thrust23THRUST_200600_302600_NS6detail15normal_iteratorINS9_10device_ptrIsEEEEPS5_m9comp_mod3IsEEE10hipError_tT0_T1_T2_jT3_P12ihipStream_tbPNSt15iterator_traitsISJ_E10value_typeEPNSP_ISK_E10value_typeEPSL_NS1_7vsmem_tEENKUlT_SJ_SK_SL_E_clIPsSE_SF_SF_EESI_SY_SJ_SK_SL_EUlSY_E_NS1_11comp_targetILNS1_3genE4ELNS1_11target_archE910ELNS1_3gpuE8ELNS1_3repE0EEENS1_48merge_mergepath_partition_config_static_selectorELNS0_4arch9wavefront6targetE0EEEvSK_, .Lfunc_end1049-_ZN7rocprim17ROCPRIM_400000_NS6detail17trampoline_kernelINS0_14default_configENS1_38merge_sort_block_merge_config_selectorIsNS0_10empty_typeEEEZZNS1_27merge_sort_block_merge_implIS3_N6thrust23THRUST_200600_302600_NS6detail15normal_iteratorINS9_10device_ptrIsEEEEPS5_m9comp_mod3IsEEE10hipError_tT0_T1_T2_jT3_P12ihipStream_tbPNSt15iterator_traitsISJ_E10value_typeEPNSP_ISK_E10value_typeEPSL_NS1_7vsmem_tEENKUlT_SJ_SK_SL_E_clIPsSE_SF_SF_EESI_SY_SJ_SK_SL_EUlSY_E_NS1_11comp_targetILNS1_3genE4ELNS1_11target_archE910ELNS1_3gpuE8ELNS1_3repE0EEENS1_48merge_mergepath_partition_config_static_selectorELNS0_4arch9wavefront6targetE0EEEvSK_
                                        ; -- End function
	.set _ZN7rocprim17ROCPRIM_400000_NS6detail17trampoline_kernelINS0_14default_configENS1_38merge_sort_block_merge_config_selectorIsNS0_10empty_typeEEEZZNS1_27merge_sort_block_merge_implIS3_N6thrust23THRUST_200600_302600_NS6detail15normal_iteratorINS9_10device_ptrIsEEEEPS5_m9comp_mod3IsEEE10hipError_tT0_T1_T2_jT3_P12ihipStream_tbPNSt15iterator_traitsISJ_E10value_typeEPNSP_ISK_E10value_typeEPSL_NS1_7vsmem_tEENKUlT_SJ_SK_SL_E_clIPsSE_SF_SF_EESI_SY_SJ_SK_SL_EUlSY_E_NS1_11comp_targetILNS1_3genE4ELNS1_11target_archE910ELNS1_3gpuE8ELNS1_3repE0EEENS1_48merge_mergepath_partition_config_static_selectorELNS0_4arch9wavefront6targetE0EEEvSK_.num_vgpr, 0
	.set _ZN7rocprim17ROCPRIM_400000_NS6detail17trampoline_kernelINS0_14default_configENS1_38merge_sort_block_merge_config_selectorIsNS0_10empty_typeEEEZZNS1_27merge_sort_block_merge_implIS3_N6thrust23THRUST_200600_302600_NS6detail15normal_iteratorINS9_10device_ptrIsEEEEPS5_m9comp_mod3IsEEE10hipError_tT0_T1_T2_jT3_P12ihipStream_tbPNSt15iterator_traitsISJ_E10value_typeEPNSP_ISK_E10value_typeEPSL_NS1_7vsmem_tEENKUlT_SJ_SK_SL_E_clIPsSE_SF_SF_EESI_SY_SJ_SK_SL_EUlSY_E_NS1_11comp_targetILNS1_3genE4ELNS1_11target_archE910ELNS1_3gpuE8ELNS1_3repE0EEENS1_48merge_mergepath_partition_config_static_selectorELNS0_4arch9wavefront6targetE0EEEvSK_.num_agpr, 0
	.set _ZN7rocprim17ROCPRIM_400000_NS6detail17trampoline_kernelINS0_14default_configENS1_38merge_sort_block_merge_config_selectorIsNS0_10empty_typeEEEZZNS1_27merge_sort_block_merge_implIS3_N6thrust23THRUST_200600_302600_NS6detail15normal_iteratorINS9_10device_ptrIsEEEEPS5_m9comp_mod3IsEEE10hipError_tT0_T1_T2_jT3_P12ihipStream_tbPNSt15iterator_traitsISJ_E10value_typeEPNSP_ISK_E10value_typeEPSL_NS1_7vsmem_tEENKUlT_SJ_SK_SL_E_clIPsSE_SF_SF_EESI_SY_SJ_SK_SL_EUlSY_E_NS1_11comp_targetILNS1_3genE4ELNS1_11target_archE910ELNS1_3gpuE8ELNS1_3repE0EEENS1_48merge_mergepath_partition_config_static_selectorELNS0_4arch9wavefront6targetE0EEEvSK_.numbered_sgpr, 0
	.set _ZN7rocprim17ROCPRIM_400000_NS6detail17trampoline_kernelINS0_14default_configENS1_38merge_sort_block_merge_config_selectorIsNS0_10empty_typeEEEZZNS1_27merge_sort_block_merge_implIS3_N6thrust23THRUST_200600_302600_NS6detail15normal_iteratorINS9_10device_ptrIsEEEEPS5_m9comp_mod3IsEEE10hipError_tT0_T1_T2_jT3_P12ihipStream_tbPNSt15iterator_traitsISJ_E10value_typeEPNSP_ISK_E10value_typeEPSL_NS1_7vsmem_tEENKUlT_SJ_SK_SL_E_clIPsSE_SF_SF_EESI_SY_SJ_SK_SL_EUlSY_E_NS1_11comp_targetILNS1_3genE4ELNS1_11target_archE910ELNS1_3gpuE8ELNS1_3repE0EEENS1_48merge_mergepath_partition_config_static_selectorELNS0_4arch9wavefront6targetE0EEEvSK_.num_named_barrier, 0
	.set _ZN7rocprim17ROCPRIM_400000_NS6detail17trampoline_kernelINS0_14default_configENS1_38merge_sort_block_merge_config_selectorIsNS0_10empty_typeEEEZZNS1_27merge_sort_block_merge_implIS3_N6thrust23THRUST_200600_302600_NS6detail15normal_iteratorINS9_10device_ptrIsEEEEPS5_m9comp_mod3IsEEE10hipError_tT0_T1_T2_jT3_P12ihipStream_tbPNSt15iterator_traitsISJ_E10value_typeEPNSP_ISK_E10value_typeEPSL_NS1_7vsmem_tEENKUlT_SJ_SK_SL_E_clIPsSE_SF_SF_EESI_SY_SJ_SK_SL_EUlSY_E_NS1_11comp_targetILNS1_3genE4ELNS1_11target_archE910ELNS1_3gpuE8ELNS1_3repE0EEENS1_48merge_mergepath_partition_config_static_selectorELNS0_4arch9wavefront6targetE0EEEvSK_.private_seg_size, 0
	.set _ZN7rocprim17ROCPRIM_400000_NS6detail17trampoline_kernelINS0_14default_configENS1_38merge_sort_block_merge_config_selectorIsNS0_10empty_typeEEEZZNS1_27merge_sort_block_merge_implIS3_N6thrust23THRUST_200600_302600_NS6detail15normal_iteratorINS9_10device_ptrIsEEEEPS5_m9comp_mod3IsEEE10hipError_tT0_T1_T2_jT3_P12ihipStream_tbPNSt15iterator_traitsISJ_E10value_typeEPNSP_ISK_E10value_typeEPSL_NS1_7vsmem_tEENKUlT_SJ_SK_SL_E_clIPsSE_SF_SF_EESI_SY_SJ_SK_SL_EUlSY_E_NS1_11comp_targetILNS1_3genE4ELNS1_11target_archE910ELNS1_3gpuE8ELNS1_3repE0EEENS1_48merge_mergepath_partition_config_static_selectorELNS0_4arch9wavefront6targetE0EEEvSK_.uses_vcc, 0
	.set _ZN7rocprim17ROCPRIM_400000_NS6detail17trampoline_kernelINS0_14default_configENS1_38merge_sort_block_merge_config_selectorIsNS0_10empty_typeEEEZZNS1_27merge_sort_block_merge_implIS3_N6thrust23THRUST_200600_302600_NS6detail15normal_iteratorINS9_10device_ptrIsEEEEPS5_m9comp_mod3IsEEE10hipError_tT0_T1_T2_jT3_P12ihipStream_tbPNSt15iterator_traitsISJ_E10value_typeEPNSP_ISK_E10value_typeEPSL_NS1_7vsmem_tEENKUlT_SJ_SK_SL_E_clIPsSE_SF_SF_EESI_SY_SJ_SK_SL_EUlSY_E_NS1_11comp_targetILNS1_3genE4ELNS1_11target_archE910ELNS1_3gpuE8ELNS1_3repE0EEENS1_48merge_mergepath_partition_config_static_selectorELNS0_4arch9wavefront6targetE0EEEvSK_.uses_flat_scratch, 0
	.set _ZN7rocprim17ROCPRIM_400000_NS6detail17trampoline_kernelINS0_14default_configENS1_38merge_sort_block_merge_config_selectorIsNS0_10empty_typeEEEZZNS1_27merge_sort_block_merge_implIS3_N6thrust23THRUST_200600_302600_NS6detail15normal_iteratorINS9_10device_ptrIsEEEEPS5_m9comp_mod3IsEEE10hipError_tT0_T1_T2_jT3_P12ihipStream_tbPNSt15iterator_traitsISJ_E10value_typeEPNSP_ISK_E10value_typeEPSL_NS1_7vsmem_tEENKUlT_SJ_SK_SL_E_clIPsSE_SF_SF_EESI_SY_SJ_SK_SL_EUlSY_E_NS1_11comp_targetILNS1_3genE4ELNS1_11target_archE910ELNS1_3gpuE8ELNS1_3repE0EEENS1_48merge_mergepath_partition_config_static_selectorELNS0_4arch9wavefront6targetE0EEEvSK_.has_dyn_sized_stack, 0
	.set _ZN7rocprim17ROCPRIM_400000_NS6detail17trampoline_kernelINS0_14default_configENS1_38merge_sort_block_merge_config_selectorIsNS0_10empty_typeEEEZZNS1_27merge_sort_block_merge_implIS3_N6thrust23THRUST_200600_302600_NS6detail15normal_iteratorINS9_10device_ptrIsEEEEPS5_m9comp_mod3IsEEE10hipError_tT0_T1_T2_jT3_P12ihipStream_tbPNSt15iterator_traitsISJ_E10value_typeEPNSP_ISK_E10value_typeEPSL_NS1_7vsmem_tEENKUlT_SJ_SK_SL_E_clIPsSE_SF_SF_EESI_SY_SJ_SK_SL_EUlSY_E_NS1_11comp_targetILNS1_3genE4ELNS1_11target_archE910ELNS1_3gpuE8ELNS1_3repE0EEENS1_48merge_mergepath_partition_config_static_selectorELNS0_4arch9wavefront6targetE0EEEvSK_.has_recursion, 0
	.set _ZN7rocprim17ROCPRIM_400000_NS6detail17trampoline_kernelINS0_14default_configENS1_38merge_sort_block_merge_config_selectorIsNS0_10empty_typeEEEZZNS1_27merge_sort_block_merge_implIS3_N6thrust23THRUST_200600_302600_NS6detail15normal_iteratorINS9_10device_ptrIsEEEEPS5_m9comp_mod3IsEEE10hipError_tT0_T1_T2_jT3_P12ihipStream_tbPNSt15iterator_traitsISJ_E10value_typeEPNSP_ISK_E10value_typeEPSL_NS1_7vsmem_tEENKUlT_SJ_SK_SL_E_clIPsSE_SF_SF_EESI_SY_SJ_SK_SL_EUlSY_E_NS1_11comp_targetILNS1_3genE4ELNS1_11target_archE910ELNS1_3gpuE8ELNS1_3repE0EEENS1_48merge_mergepath_partition_config_static_selectorELNS0_4arch9wavefront6targetE0EEEvSK_.has_indirect_call, 0
	.section	.AMDGPU.csdata,"",@progbits
; Kernel info:
; codeLenInByte = 0
; TotalNumSgprs: 0
; NumVgprs: 0
; ScratchSize: 0
; MemoryBound: 0
; FloatMode: 240
; IeeeMode: 1
; LDSByteSize: 0 bytes/workgroup (compile time only)
; SGPRBlocks: 0
; VGPRBlocks: 0
; NumSGPRsForWavesPerEU: 1
; NumVGPRsForWavesPerEU: 1
; Occupancy: 16
; WaveLimiterHint : 0
; COMPUTE_PGM_RSRC2:SCRATCH_EN: 0
; COMPUTE_PGM_RSRC2:USER_SGPR: 6
; COMPUTE_PGM_RSRC2:TRAP_HANDLER: 0
; COMPUTE_PGM_RSRC2:TGID_X_EN: 1
; COMPUTE_PGM_RSRC2:TGID_Y_EN: 0
; COMPUTE_PGM_RSRC2:TGID_Z_EN: 0
; COMPUTE_PGM_RSRC2:TIDIG_COMP_CNT: 0
	.section	.text._ZN7rocprim17ROCPRIM_400000_NS6detail17trampoline_kernelINS0_14default_configENS1_38merge_sort_block_merge_config_selectorIsNS0_10empty_typeEEEZZNS1_27merge_sort_block_merge_implIS3_N6thrust23THRUST_200600_302600_NS6detail15normal_iteratorINS9_10device_ptrIsEEEEPS5_m9comp_mod3IsEEE10hipError_tT0_T1_T2_jT3_P12ihipStream_tbPNSt15iterator_traitsISJ_E10value_typeEPNSP_ISK_E10value_typeEPSL_NS1_7vsmem_tEENKUlT_SJ_SK_SL_E_clIPsSE_SF_SF_EESI_SY_SJ_SK_SL_EUlSY_E_NS1_11comp_targetILNS1_3genE3ELNS1_11target_archE908ELNS1_3gpuE7ELNS1_3repE0EEENS1_48merge_mergepath_partition_config_static_selectorELNS0_4arch9wavefront6targetE0EEEvSK_,"axG",@progbits,_ZN7rocprim17ROCPRIM_400000_NS6detail17trampoline_kernelINS0_14default_configENS1_38merge_sort_block_merge_config_selectorIsNS0_10empty_typeEEEZZNS1_27merge_sort_block_merge_implIS3_N6thrust23THRUST_200600_302600_NS6detail15normal_iteratorINS9_10device_ptrIsEEEEPS5_m9comp_mod3IsEEE10hipError_tT0_T1_T2_jT3_P12ihipStream_tbPNSt15iterator_traitsISJ_E10value_typeEPNSP_ISK_E10value_typeEPSL_NS1_7vsmem_tEENKUlT_SJ_SK_SL_E_clIPsSE_SF_SF_EESI_SY_SJ_SK_SL_EUlSY_E_NS1_11comp_targetILNS1_3genE3ELNS1_11target_archE908ELNS1_3gpuE7ELNS1_3repE0EEENS1_48merge_mergepath_partition_config_static_selectorELNS0_4arch9wavefront6targetE0EEEvSK_,comdat
	.protected	_ZN7rocprim17ROCPRIM_400000_NS6detail17trampoline_kernelINS0_14default_configENS1_38merge_sort_block_merge_config_selectorIsNS0_10empty_typeEEEZZNS1_27merge_sort_block_merge_implIS3_N6thrust23THRUST_200600_302600_NS6detail15normal_iteratorINS9_10device_ptrIsEEEEPS5_m9comp_mod3IsEEE10hipError_tT0_T1_T2_jT3_P12ihipStream_tbPNSt15iterator_traitsISJ_E10value_typeEPNSP_ISK_E10value_typeEPSL_NS1_7vsmem_tEENKUlT_SJ_SK_SL_E_clIPsSE_SF_SF_EESI_SY_SJ_SK_SL_EUlSY_E_NS1_11comp_targetILNS1_3genE3ELNS1_11target_archE908ELNS1_3gpuE7ELNS1_3repE0EEENS1_48merge_mergepath_partition_config_static_selectorELNS0_4arch9wavefront6targetE0EEEvSK_ ; -- Begin function _ZN7rocprim17ROCPRIM_400000_NS6detail17trampoline_kernelINS0_14default_configENS1_38merge_sort_block_merge_config_selectorIsNS0_10empty_typeEEEZZNS1_27merge_sort_block_merge_implIS3_N6thrust23THRUST_200600_302600_NS6detail15normal_iteratorINS9_10device_ptrIsEEEEPS5_m9comp_mod3IsEEE10hipError_tT0_T1_T2_jT3_P12ihipStream_tbPNSt15iterator_traitsISJ_E10value_typeEPNSP_ISK_E10value_typeEPSL_NS1_7vsmem_tEENKUlT_SJ_SK_SL_E_clIPsSE_SF_SF_EESI_SY_SJ_SK_SL_EUlSY_E_NS1_11comp_targetILNS1_3genE3ELNS1_11target_archE908ELNS1_3gpuE7ELNS1_3repE0EEENS1_48merge_mergepath_partition_config_static_selectorELNS0_4arch9wavefront6targetE0EEEvSK_
	.globl	_ZN7rocprim17ROCPRIM_400000_NS6detail17trampoline_kernelINS0_14default_configENS1_38merge_sort_block_merge_config_selectorIsNS0_10empty_typeEEEZZNS1_27merge_sort_block_merge_implIS3_N6thrust23THRUST_200600_302600_NS6detail15normal_iteratorINS9_10device_ptrIsEEEEPS5_m9comp_mod3IsEEE10hipError_tT0_T1_T2_jT3_P12ihipStream_tbPNSt15iterator_traitsISJ_E10value_typeEPNSP_ISK_E10value_typeEPSL_NS1_7vsmem_tEENKUlT_SJ_SK_SL_E_clIPsSE_SF_SF_EESI_SY_SJ_SK_SL_EUlSY_E_NS1_11comp_targetILNS1_3genE3ELNS1_11target_archE908ELNS1_3gpuE7ELNS1_3repE0EEENS1_48merge_mergepath_partition_config_static_selectorELNS0_4arch9wavefront6targetE0EEEvSK_
	.p2align	8
	.type	_ZN7rocprim17ROCPRIM_400000_NS6detail17trampoline_kernelINS0_14default_configENS1_38merge_sort_block_merge_config_selectorIsNS0_10empty_typeEEEZZNS1_27merge_sort_block_merge_implIS3_N6thrust23THRUST_200600_302600_NS6detail15normal_iteratorINS9_10device_ptrIsEEEEPS5_m9comp_mod3IsEEE10hipError_tT0_T1_T2_jT3_P12ihipStream_tbPNSt15iterator_traitsISJ_E10value_typeEPNSP_ISK_E10value_typeEPSL_NS1_7vsmem_tEENKUlT_SJ_SK_SL_E_clIPsSE_SF_SF_EESI_SY_SJ_SK_SL_EUlSY_E_NS1_11comp_targetILNS1_3genE3ELNS1_11target_archE908ELNS1_3gpuE7ELNS1_3repE0EEENS1_48merge_mergepath_partition_config_static_selectorELNS0_4arch9wavefront6targetE0EEEvSK_,@function
_ZN7rocprim17ROCPRIM_400000_NS6detail17trampoline_kernelINS0_14default_configENS1_38merge_sort_block_merge_config_selectorIsNS0_10empty_typeEEEZZNS1_27merge_sort_block_merge_implIS3_N6thrust23THRUST_200600_302600_NS6detail15normal_iteratorINS9_10device_ptrIsEEEEPS5_m9comp_mod3IsEEE10hipError_tT0_T1_T2_jT3_P12ihipStream_tbPNSt15iterator_traitsISJ_E10value_typeEPNSP_ISK_E10value_typeEPSL_NS1_7vsmem_tEENKUlT_SJ_SK_SL_E_clIPsSE_SF_SF_EESI_SY_SJ_SK_SL_EUlSY_E_NS1_11comp_targetILNS1_3genE3ELNS1_11target_archE908ELNS1_3gpuE7ELNS1_3repE0EEENS1_48merge_mergepath_partition_config_static_selectorELNS0_4arch9wavefront6targetE0EEEvSK_: ; @_ZN7rocprim17ROCPRIM_400000_NS6detail17trampoline_kernelINS0_14default_configENS1_38merge_sort_block_merge_config_selectorIsNS0_10empty_typeEEEZZNS1_27merge_sort_block_merge_implIS3_N6thrust23THRUST_200600_302600_NS6detail15normal_iteratorINS9_10device_ptrIsEEEEPS5_m9comp_mod3IsEEE10hipError_tT0_T1_T2_jT3_P12ihipStream_tbPNSt15iterator_traitsISJ_E10value_typeEPNSP_ISK_E10value_typeEPSL_NS1_7vsmem_tEENKUlT_SJ_SK_SL_E_clIPsSE_SF_SF_EESI_SY_SJ_SK_SL_EUlSY_E_NS1_11comp_targetILNS1_3genE3ELNS1_11target_archE908ELNS1_3gpuE7ELNS1_3repE0EEENS1_48merge_mergepath_partition_config_static_selectorELNS0_4arch9wavefront6targetE0EEEvSK_
; %bb.0:
	.section	.rodata,"a",@progbits
	.p2align	6, 0x0
	.amdhsa_kernel _ZN7rocprim17ROCPRIM_400000_NS6detail17trampoline_kernelINS0_14default_configENS1_38merge_sort_block_merge_config_selectorIsNS0_10empty_typeEEEZZNS1_27merge_sort_block_merge_implIS3_N6thrust23THRUST_200600_302600_NS6detail15normal_iteratorINS9_10device_ptrIsEEEEPS5_m9comp_mod3IsEEE10hipError_tT0_T1_T2_jT3_P12ihipStream_tbPNSt15iterator_traitsISJ_E10value_typeEPNSP_ISK_E10value_typeEPSL_NS1_7vsmem_tEENKUlT_SJ_SK_SL_E_clIPsSE_SF_SF_EESI_SY_SJ_SK_SL_EUlSY_E_NS1_11comp_targetILNS1_3genE3ELNS1_11target_archE908ELNS1_3gpuE7ELNS1_3repE0EEENS1_48merge_mergepath_partition_config_static_selectorELNS0_4arch9wavefront6targetE0EEEvSK_
		.amdhsa_group_segment_fixed_size 0
		.amdhsa_private_segment_fixed_size 0
		.amdhsa_kernarg_size 48
		.amdhsa_user_sgpr_count 6
		.amdhsa_user_sgpr_private_segment_buffer 1
		.amdhsa_user_sgpr_dispatch_ptr 0
		.amdhsa_user_sgpr_queue_ptr 0
		.amdhsa_user_sgpr_kernarg_segment_ptr 1
		.amdhsa_user_sgpr_dispatch_id 0
		.amdhsa_user_sgpr_flat_scratch_init 0
		.amdhsa_user_sgpr_private_segment_size 0
		.amdhsa_wavefront_size32 1
		.amdhsa_uses_dynamic_stack 0
		.amdhsa_system_sgpr_private_segment_wavefront_offset 0
		.amdhsa_system_sgpr_workgroup_id_x 1
		.amdhsa_system_sgpr_workgroup_id_y 0
		.amdhsa_system_sgpr_workgroup_id_z 0
		.amdhsa_system_sgpr_workgroup_info 0
		.amdhsa_system_vgpr_workitem_id 0
		.amdhsa_next_free_vgpr 1
		.amdhsa_next_free_sgpr 1
		.amdhsa_reserve_vcc 0
		.amdhsa_reserve_flat_scratch 0
		.amdhsa_float_round_mode_32 0
		.amdhsa_float_round_mode_16_64 0
		.amdhsa_float_denorm_mode_32 3
		.amdhsa_float_denorm_mode_16_64 3
		.amdhsa_dx10_clamp 1
		.amdhsa_ieee_mode 1
		.amdhsa_fp16_overflow 0
		.amdhsa_workgroup_processor_mode 1
		.amdhsa_memory_ordered 1
		.amdhsa_forward_progress 1
		.amdhsa_shared_vgpr_count 0
		.amdhsa_exception_fp_ieee_invalid_op 0
		.amdhsa_exception_fp_denorm_src 0
		.amdhsa_exception_fp_ieee_div_zero 0
		.amdhsa_exception_fp_ieee_overflow 0
		.amdhsa_exception_fp_ieee_underflow 0
		.amdhsa_exception_fp_ieee_inexact 0
		.amdhsa_exception_int_div_zero 0
	.end_amdhsa_kernel
	.section	.text._ZN7rocprim17ROCPRIM_400000_NS6detail17trampoline_kernelINS0_14default_configENS1_38merge_sort_block_merge_config_selectorIsNS0_10empty_typeEEEZZNS1_27merge_sort_block_merge_implIS3_N6thrust23THRUST_200600_302600_NS6detail15normal_iteratorINS9_10device_ptrIsEEEEPS5_m9comp_mod3IsEEE10hipError_tT0_T1_T2_jT3_P12ihipStream_tbPNSt15iterator_traitsISJ_E10value_typeEPNSP_ISK_E10value_typeEPSL_NS1_7vsmem_tEENKUlT_SJ_SK_SL_E_clIPsSE_SF_SF_EESI_SY_SJ_SK_SL_EUlSY_E_NS1_11comp_targetILNS1_3genE3ELNS1_11target_archE908ELNS1_3gpuE7ELNS1_3repE0EEENS1_48merge_mergepath_partition_config_static_selectorELNS0_4arch9wavefront6targetE0EEEvSK_,"axG",@progbits,_ZN7rocprim17ROCPRIM_400000_NS6detail17trampoline_kernelINS0_14default_configENS1_38merge_sort_block_merge_config_selectorIsNS0_10empty_typeEEEZZNS1_27merge_sort_block_merge_implIS3_N6thrust23THRUST_200600_302600_NS6detail15normal_iteratorINS9_10device_ptrIsEEEEPS5_m9comp_mod3IsEEE10hipError_tT0_T1_T2_jT3_P12ihipStream_tbPNSt15iterator_traitsISJ_E10value_typeEPNSP_ISK_E10value_typeEPSL_NS1_7vsmem_tEENKUlT_SJ_SK_SL_E_clIPsSE_SF_SF_EESI_SY_SJ_SK_SL_EUlSY_E_NS1_11comp_targetILNS1_3genE3ELNS1_11target_archE908ELNS1_3gpuE7ELNS1_3repE0EEENS1_48merge_mergepath_partition_config_static_selectorELNS0_4arch9wavefront6targetE0EEEvSK_,comdat
.Lfunc_end1050:
	.size	_ZN7rocprim17ROCPRIM_400000_NS6detail17trampoline_kernelINS0_14default_configENS1_38merge_sort_block_merge_config_selectorIsNS0_10empty_typeEEEZZNS1_27merge_sort_block_merge_implIS3_N6thrust23THRUST_200600_302600_NS6detail15normal_iteratorINS9_10device_ptrIsEEEEPS5_m9comp_mod3IsEEE10hipError_tT0_T1_T2_jT3_P12ihipStream_tbPNSt15iterator_traitsISJ_E10value_typeEPNSP_ISK_E10value_typeEPSL_NS1_7vsmem_tEENKUlT_SJ_SK_SL_E_clIPsSE_SF_SF_EESI_SY_SJ_SK_SL_EUlSY_E_NS1_11comp_targetILNS1_3genE3ELNS1_11target_archE908ELNS1_3gpuE7ELNS1_3repE0EEENS1_48merge_mergepath_partition_config_static_selectorELNS0_4arch9wavefront6targetE0EEEvSK_, .Lfunc_end1050-_ZN7rocprim17ROCPRIM_400000_NS6detail17trampoline_kernelINS0_14default_configENS1_38merge_sort_block_merge_config_selectorIsNS0_10empty_typeEEEZZNS1_27merge_sort_block_merge_implIS3_N6thrust23THRUST_200600_302600_NS6detail15normal_iteratorINS9_10device_ptrIsEEEEPS5_m9comp_mod3IsEEE10hipError_tT0_T1_T2_jT3_P12ihipStream_tbPNSt15iterator_traitsISJ_E10value_typeEPNSP_ISK_E10value_typeEPSL_NS1_7vsmem_tEENKUlT_SJ_SK_SL_E_clIPsSE_SF_SF_EESI_SY_SJ_SK_SL_EUlSY_E_NS1_11comp_targetILNS1_3genE3ELNS1_11target_archE908ELNS1_3gpuE7ELNS1_3repE0EEENS1_48merge_mergepath_partition_config_static_selectorELNS0_4arch9wavefront6targetE0EEEvSK_
                                        ; -- End function
	.set _ZN7rocprim17ROCPRIM_400000_NS6detail17trampoline_kernelINS0_14default_configENS1_38merge_sort_block_merge_config_selectorIsNS0_10empty_typeEEEZZNS1_27merge_sort_block_merge_implIS3_N6thrust23THRUST_200600_302600_NS6detail15normal_iteratorINS9_10device_ptrIsEEEEPS5_m9comp_mod3IsEEE10hipError_tT0_T1_T2_jT3_P12ihipStream_tbPNSt15iterator_traitsISJ_E10value_typeEPNSP_ISK_E10value_typeEPSL_NS1_7vsmem_tEENKUlT_SJ_SK_SL_E_clIPsSE_SF_SF_EESI_SY_SJ_SK_SL_EUlSY_E_NS1_11comp_targetILNS1_3genE3ELNS1_11target_archE908ELNS1_3gpuE7ELNS1_3repE0EEENS1_48merge_mergepath_partition_config_static_selectorELNS0_4arch9wavefront6targetE0EEEvSK_.num_vgpr, 0
	.set _ZN7rocprim17ROCPRIM_400000_NS6detail17trampoline_kernelINS0_14default_configENS1_38merge_sort_block_merge_config_selectorIsNS0_10empty_typeEEEZZNS1_27merge_sort_block_merge_implIS3_N6thrust23THRUST_200600_302600_NS6detail15normal_iteratorINS9_10device_ptrIsEEEEPS5_m9comp_mod3IsEEE10hipError_tT0_T1_T2_jT3_P12ihipStream_tbPNSt15iterator_traitsISJ_E10value_typeEPNSP_ISK_E10value_typeEPSL_NS1_7vsmem_tEENKUlT_SJ_SK_SL_E_clIPsSE_SF_SF_EESI_SY_SJ_SK_SL_EUlSY_E_NS1_11comp_targetILNS1_3genE3ELNS1_11target_archE908ELNS1_3gpuE7ELNS1_3repE0EEENS1_48merge_mergepath_partition_config_static_selectorELNS0_4arch9wavefront6targetE0EEEvSK_.num_agpr, 0
	.set _ZN7rocprim17ROCPRIM_400000_NS6detail17trampoline_kernelINS0_14default_configENS1_38merge_sort_block_merge_config_selectorIsNS0_10empty_typeEEEZZNS1_27merge_sort_block_merge_implIS3_N6thrust23THRUST_200600_302600_NS6detail15normal_iteratorINS9_10device_ptrIsEEEEPS5_m9comp_mod3IsEEE10hipError_tT0_T1_T2_jT3_P12ihipStream_tbPNSt15iterator_traitsISJ_E10value_typeEPNSP_ISK_E10value_typeEPSL_NS1_7vsmem_tEENKUlT_SJ_SK_SL_E_clIPsSE_SF_SF_EESI_SY_SJ_SK_SL_EUlSY_E_NS1_11comp_targetILNS1_3genE3ELNS1_11target_archE908ELNS1_3gpuE7ELNS1_3repE0EEENS1_48merge_mergepath_partition_config_static_selectorELNS0_4arch9wavefront6targetE0EEEvSK_.numbered_sgpr, 0
	.set _ZN7rocprim17ROCPRIM_400000_NS6detail17trampoline_kernelINS0_14default_configENS1_38merge_sort_block_merge_config_selectorIsNS0_10empty_typeEEEZZNS1_27merge_sort_block_merge_implIS3_N6thrust23THRUST_200600_302600_NS6detail15normal_iteratorINS9_10device_ptrIsEEEEPS5_m9comp_mod3IsEEE10hipError_tT0_T1_T2_jT3_P12ihipStream_tbPNSt15iterator_traitsISJ_E10value_typeEPNSP_ISK_E10value_typeEPSL_NS1_7vsmem_tEENKUlT_SJ_SK_SL_E_clIPsSE_SF_SF_EESI_SY_SJ_SK_SL_EUlSY_E_NS1_11comp_targetILNS1_3genE3ELNS1_11target_archE908ELNS1_3gpuE7ELNS1_3repE0EEENS1_48merge_mergepath_partition_config_static_selectorELNS0_4arch9wavefront6targetE0EEEvSK_.num_named_barrier, 0
	.set _ZN7rocprim17ROCPRIM_400000_NS6detail17trampoline_kernelINS0_14default_configENS1_38merge_sort_block_merge_config_selectorIsNS0_10empty_typeEEEZZNS1_27merge_sort_block_merge_implIS3_N6thrust23THRUST_200600_302600_NS6detail15normal_iteratorINS9_10device_ptrIsEEEEPS5_m9comp_mod3IsEEE10hipError_tT0_T1_T2_jT3_P12ihipStream_tbPNSt15iterator_traitsISJ_E10value_typeEPNSP_ISK_E10value_typeEPSL_NS1_7vsmem_tEENKUlT_SJ_SK_SL_E_clIPsSE_SF_SF_EESI_SY_SJ_SK_SL_EUlSY_E_NS1_11comp_targetILNS1_3genE3ELNS1_11target_archE908ELNS1_3gpuE7ELNS1_3repE0EEENS1_48merge_mergepath_partition_config_static_selectorELNS0_4arch9wavefront6targetE0EEEvSK_.private_seg_size, 0
	.set _ZN7rocprim17ROCPRIM_400000_NS6detail17trampoline_kernelINS0_14default_configENS1_38merge_sort_block_merge_config_selectorIsNS0_10empty_typeEEEZZNS1_27merge_sort_block_merge_implIS3_N6thrust23THRUST_200600_302600_NS6detail15normal_iteratorINS9_10device_ptrIsEEEEPS5_m9comp_mod3IsEEE10hipError_tT0_T1_T2_jT3_P12ihipStream_tbPNSt15iterator_traitsISJ_E10value_typeEPNSP_ISK_E10value_typeEPSL_NS1_7vsmem_tEENKUlT_SJ_SK_SL_E_clIPsSE_SF_SF_EESI_SY_SJ_SK_SL_EUlSY_E_NS1_11comp_targetILNS1_3genE3ELNS1_11target_archE908ELNS1_3gpuE7ELNS1_3repE0EEENS1_48merge_mergepath_partition_config_static_selectorELNS0_4arch9wavefront6targetE0EEEvSK_.uses_vcc, 0
	.set _ZN7rocprim17ROCPRIM_400000_NS6detail17trampoline_kernelINS0_14default_configENS1_38merge_sort_block_merge_config_selectorIsNS0_10empty_typeEEEZZNS1_27merge_sort_block_merge_implIS3_N6thrust23THRUST_200600_302600_NS6detail15normal_iteratorINS9_10device_ptrIsEEEEPS5_m9comp_mod3IsEEE10hipError_tT0_T1_T2_jT3_P12ihipStream_tbPNSt15iterator_traitsISJ_E10value_typeEPNSP_ISK_E10value_typeEPSL_NS1_7vsmem_tEENKUlT_SJ_SK_SL_E_clIPsSE_SF_SF_EESI_SY_SJ_SK_SL_EUlSY_E_NS1_11comp_targetILNS1_3genE3ELNS1_11target_archE908ELNS1_3gpuE7ELNS1_3repE0EEENS1_48merge_mergepath_partition_config_static_selectorELNS0_4arch9wavefront6targetE0EEEvSK_.uses_flat_scratch, 0
	.set _ZN7rocprim17ROCPRIM_400000_NS6detail17trampoline_kernelINS0_14default_configENS1_38merge_sort_block_merge_config_selectorIsNS0_10empty_typeEEEZZNS1_27merge_sort_block_merge_implIS3_N6thrust23THRUST_200600_302600_NS6detail15normal_iteratorINS9_10device_ptrIsEEEEPS5_m9comp_mod3IsEEE10hipError_tT0_T1_T2_jT3_P12ihipStream_tbPNSt15iterator_traitsISJ_E10value_typeEPNSP_ISK_E10value_typeEPSL_NS1_7vsmem_tEENKUlT_SJ_SK_SL_E_clIPsSE_SF_SF_EESI_SY_SJ_SK_SL_EUlSY_E_NS1_11comp_targetILNS1_3genE3ELNS1_11target_archE908ELNS1_3gpuE7ELNS1_3repE0EEENS1_48merge_mergepath_partition_config_static_selectorELNS0_4arch9wavefront6targetE0EEEvSK_.has_dyn_sized_stack, 0
	.set _ZN7rocprim17ROCPRIM_400000_NS6detail17trampoline_kernelINS0_14default_configENS1_38merge_sort_block_merge_config_selectorIsNS0_10empty_typeEEEZZNS1_27merge_sort_block_merge_implIS3_N6thrust23THRUST_200600_302600_NS6detail15normal_iteratorINS9_10device_ptrIsEEEEPS5_m9comp_mod3IsEEE10hipError_tT0_T1_T2_jT3_P12ihipStream_tbPNSt15iterator_traitsISJ_E10value_typeEPNSP_ISK_E10value_typeEPSL_NS1_7vsmem_tEENKUlT_SJ_SK_SL_E_clIPsSE_SF_SF_EESI_SY_SJ_SK_SL_EUlSY_E_NS1_11comp_targetILNS1_3genE3ELNS1_11target_archE908ELNS1_3gpuE7ELNS1_3repE0EEENS1_48merge_mergepath_partition_config_static_selectorELNS0_4arch9wavefront6targetE0EEEvSK_.has_recursion, 0
	.set _ZN7rocprim17ROCPRIM_400000_NS6detail17trampoline_kernelINS0_14default_configENS1_38merge_sort_block_merge_config_selectorIsNS0_10empty_typeEEEZZNS1_27merge_sort_block_merge_implIS3_N6thrust23THRUST_200600_302600_NS6detail15normal_iteratorINS9_10device_ptrIsEEEEPS5_m9comp_mod3IsEEE10hipError_tT0_T1_T2_jT3_P12ihipStream_tbPNSt15iterator_traitsISJ_E10value_typeEPNSP_ISK_E10value_typeEPSL_NS1_7vsmem_tEENKUlT_SJ_SK_SL_E_clIPsSE_SF_SF_EESI_SY_SJ_SK_SL_EUlSY_E_NS1_11comp_targetILNS1_3genE3ELNS1_11target_archE908ELNS1_3gpuE7ELNS1_3repE0EEENS1_48merge_mergepath_partition_config_static_selectorELNS0_4arch9wavefront6targetE0EEEvSK_.has_indirect_call, 0
	.section	.AMDGPU.csdata,"",@progbits
; Kernel info:
; codeLenInByte = 0
; TotalNumSgprs: 0
; NumVgprs: 0
; ScratchSize: 0
; MemoryBound: 0
; FloatMode: 240
; IeeeMode: 1
; LDSByteSize: 0 bytes/workgroup (compile time only)
; SGPRBlocks: 0
; VGPRBlocks: 0
; NumSGPRsForWavesPerEU: 1
; NumVGPRsForWavesPerEU: 1
; Occupancy: 16
; WaveLimiterHint : 0
; COMPUTE_PGM_RSRC2:SCRATCH_EN: 0
; COMPUTE_PGM_RSRC2:USER_SGPR: 6
; COMPUTE_PGM_RSRC2:TRAP_HANDLER: 0
; COMPUTE_PGM_RSRC2:TGID_X_EN: 1
; COMPUTE_PGM_RSRC2:TGID_Y_EN: 0
; COMPUTE_PGM_RSRC2:TGID_Z_EN: 0
; COMPUTE_PGM_RSRC2:TIDIG_COMP_CNT: 0
	.section	.text._ZN7rocprim17ROCPRIM_400000_NS6detail17trampoline_kernelINS0_14default_configENS1_38merge_sort_block_merge_config_selectorIsNS0_10empty_typeEEEZZNS1_27merge_sort_block_merge_implIS3_N6thrust23THRUST_200600_302600_NS6detail15normal_iteratorINS9_10device_ptrIsEEEEPS5_m9comp_mod3IsEEE10hipError_tT0_T1_T2_jT3_P12ihipStream_tbPNSt15iterator_traitsISJ_E10value_typeEPNSP_ISK_E10value_typeEPSL_NS1_7vsmem_tEENKUlT_SJ_SK_SL_E_clIPsSE_SF_SF_EESI_SY_SJ_SK_SL_EUlSY_E_NS1_11comp_targetILNS1_3genE2ELNS1_11target_archE906ELNS1_3gpuE6ELNS1_3repE0EEENS1_48merge_mergepath_partition_config_static_selectorELNS0_4arch9wavefront6targetE0EEEvSK_,"axG",@progbits,_ZN7rocprim17ROCPRIM_400000_NS6detail17trampoline_kernelINS0_14default_configENS1_38merge_sort_block_merge_config_selectorIsNS0_10empty_typeEEEZZNS1_27merge_sort_block_merge_implIS3_N6thrust23THRUST_200600_302600_NS6detail15normal_iteratorINS9_10device_ptrIsEEEEPS5_m9comp_mod3IsEEE10hipError_tT0_T1_T2_jT3_P12ihipStream_tbPNSt15iterator_traitsISJ_E10value_typeEPNSP_ISK_E10value_typeEPSL_NS1_7vsmem_tEENKUlT_SJ_SK_SL_E_clIPsSE_SF_SF_EESI_SY_SJ_SK_SL_EUlSY_E_NS1_11comp_targetILNS1_3genE2ELNS1_11target_archE906ELNS1_3gpuE6ELNS1_3repE0EEENS1_48merge_mergepath_partition_config_static_selectorELNS0_4arch9wavefront6targetE0EEEvSK_,comdat
	.protected	_ZN7rocprim17ROCPRIM_400000_NS6detail17trampoline_kernelINS0_14default_configENS1_38merge_sort_block_merge_config_selectorIsNS0_10empty_typeEEEZZNS1_27merge_sort_block_merge_implIS3_N6thrust23THRUST_200600_302600_NS6detail15normal_iteratorINS9_10device_ptrIsEEEEPS5_m9comp_mod3IsEEE10hipError_tT0_T1_T2_jT3_P12ihipStream_tbPNSt15iterator_traitsISJ_E10value_typeEPNSP_ISK_E10value_typeEPSL_NS1_7vsmem_tEENKUlT_SJ_SK_SL_E_clIPsSE_SF_SF_EESI_SY_SJ_SK_SL_EUlSY_E_NS1_11comp_targetILNS1_3genE2ELNS1_11target_archE906ELNS1_3gpuE6ELNS1_3repE0EEENS1_48merge_mergepath_partition_config_static_selectorELNS0_4arch9wavefront6targetE0EEEvSK_ ; -- Begin function _ZN7rocprim17ROCPRIM_400000_NS6detail17trampoline_kernelINS0_14default_configENS1_38merge_sort_block_merge_config_selectorIsNS0_10empty_typeEEEZZNS1_27merge_sort_block_merge_implIS3_N6thrust23THRUST_200600_302600_NS6detail15normal_iteratorINS9_10device_ptrIsEEEEPS5_m9comp_mod3IsEEE10hipError_tT0_T1_T2_jT3_P12ihipStream_tbPNSt15iterator_traitsISJ_E10value_typeEPNSP_ISK_E10value_typeEPSL_NS1_7vsmem_tEENKUlT_SJ_SK_SL_E_clIPsSE_SF_SF_EESI_SY_SJ_SK_SL_EUlSY_E_NS1_11comp_targetILNS1_3genE2ELNS1_11target_archE906ELNS1_3gpuE6ELNS1_3repE0EEENS1_48merge_mergepath_partition_config_static_selectorELNS0_4arch9wavefront6targetE0EEEvSK_
	.globl	_ZN7rocprim17ROCPRIM_400000_NS6detail17trampoline_kernelINS0_14default_configENS1_38merge_sort_block_merge_config_selectorIsNS0_10empty_typeEEEZZNS1_27merge_sort_block_merge_implIS3_N6thrust23THRUST_200600_302600_NS6detail15normal_iteratorINS9_10device_ptrIsEEEEPS5_m9comp_mod3IsEEE10hipError_tT0_T1_T2_jT3_P12ihipStream_tbPNSt15iterator_traitsISJ_E10value_typeEPNSP_ISK_E10value_typeEPSL_NS1_7vsmem_tEENKUlT_SJ_SK_SL_E_clIPsSE_SF_SF_EESI_SY_SJ_SK_SL_EUlSY_E_NS1_11comp_targetILNS1_3genE2ELNS1_11target_archE906ELNS1_3gpuE6ELNS1_3repE0EEENS1_48merge_mergepath_partition_config_static_selectorELNS0_4arch9wavefront6targetE0EEEvSK_
	.p2align	8
	.type	_ZN7rocprim17ROCPRIM_400000_NS6detail17trampoline_kernelINS0_14default_configENS1_38merge_sort_block_merge_config_selectorIsNS0_10empty_typeEEEZZNS1_27merge_sort_block_merge_implIS3_N6thrust23THRUST_200600_302600_NS6detail15normal_iteratorINS9_10device_ptrIsEEEEPS5_m9comp_mod3IsEEE10hipError_tT0_T1_T2_jT3_P12ihipStream_tbPNSt15iterator_traitsISJ_E10value_typeEPNSP_ISK_E10value_typeEPSL_NS1_7vsmem_tEENKUlT_SJ_SK_SL_E_clIPsSE_SF_SF_EESI_SY_SJ_SK_SL_EUlSY_E_NS1_11comp_targetILNS1_3genE2ELNS1_11target_archE906ELNS1_3gpuE6ELNS1_3repE0EEENS1_48merge_mergepath_partition_config_static_selectorELNS0_4arch9wavefront6targetE0EEEvSK_,@function
_ZN7rocprim17ROCPRIM_400000_NS6detail17trampoline_kernelINS0_14default_configENS1_38merge_sort_block_merge_config_selectorIsNS0_10empty_typeEEEZZNS1_27merge_sort_block_merge_implIS3_N6thrust23THRUST_200600_302600_NS6detail15normal_iteratorINS9_10device_ptrIsEEEEPS5_m9comp_mod3IsEEE10hipError_tT0_T1_T2_jT3_P12ihipStream_tbPNSt15iterator_traitsISJ_E10value_typeEPNSP_ISK_E10value_typeEPSL_NS1_7vsmem_tEENKUlT_SJ_SK_SL_E_clIPsSE_SF_SF_EESI_SY_SJ_SK_SL_EUlSY_E_NS1_11comp_targetILNS1_3genE2ELNS1_11target_archE906ELNS1_3gpuE6ELNS1_3repE0EEENS1_48merge_mergepath_partition_config_static_selectorELNS0_4arch9wavefront6targetE0EEEvSK_: ; @_ZN7rocprim17ROCPRIM_400000_NS6detail17trampoline_kernelINS0_14default_configENS1_38merge_sort_block_merge_config_selectorIsNS0_10empty_typeEEEZZNS1_27merge_sort_block_merge_implIS3_N6thrust23THRUST_200600_302600_NS6detail15normal_iteratorINS9_10device_ptrIsEEEEPS5_m9comp_mod3IsEEE10hipError_tT0_T1_T2_jT3_P12ihipStream_tbPNSt15iterator_traitsISJ_E10value_typeEPNSP_ISK_E10value_typeEPSL_NS1_7vsmem_tEENKUlT_SJ_SK_SL_E_clIPsSE_SF_SF_EESI_SY_SJ_SK_SL_EUlSY_E_NS1_11comp_targetILNS1_3genE2ELNS1_11target_archE906ELNS1_3gpuE6ELNS1_3repE0EEENS1_48merge_mergepath_partition_config_static_selectorELNS0_4arch9wavefront6targetE0EEEvSK_
; %bb.0:
	.section	.rodata,"a",@progbits
	.p2align	6, 0x0
	.amdhsa_kernel _ZN7rocprim17ROCPRIM_400000_NS6detail17trampoline_kernelINS0_14default_configENS1_38merge_sort_block_merge_config_selectorIsNS0_10empty_typeEEEZZNS1_27merge_sort_block_merge_implIS3_N6thrust23THRUST_200600_302600_NS6detail15normal_iteratorINS9_10device_ptrIsEEEEPS5_m9comp_mod3IsEEE10hipError_tT0_T1_T2_jT3_P12ihipStream_tbPNSt15iterator_traitsISJ_E10value_typeEPNSP_ISK_E10value_typeEPSL_NS1_7vsmem_tEENKUlT_SJ_SK_SL_E_clIPsSE_SF_SF_EESI_SY_SJ_SK_SL_EUlSY_E_NS1_11comp_targetILNS1_3genE2ELNS1_11target_archE906ELNS1_3gpuE6ELNS1_3repE0EEENS1_48merge_mergepath_partition_config_static_selectorELNS0_4arch9wavefront6targetE0EEEvSK_
		.amdhsa_group_segment_fixed_size 0
		.amdhsa_private_segment_fixed_size 0
		.amdhsa_kernarg_size 48
		.amdhsa_user_sgpr_count 6
		.amdhsa_user_sgpr_private_segment_buffer 1
		.amdhsa_user_sgpr_dispatch_ptr 0
		.amdhsa_user_sgpr_queue_ptr 0
		.amdhsa_user_sgpr_kernarg_segment_ptr 1
		.amdhsa_user_sgpr_dispatch_id 0
		.amdhsa_user_sgpr_flat_scratch_init 0
		.amdhsa_user_sgpr_private_segment_size 0
		.amdhsa_wavefront_size32 1
		.amdhsa_uses_dynamic_stack 0
		.amdhsa_system_sgpr_private_segment_wavefront_offset 0
		.amdhsa_system_sgpr_workgroup_id_x 1
		.amdhsa_system_sgpr_workgroup_id_y 0
		.amdhsa_system_sgpr_workgroup_id_z 0
		.amdhsa_system_sgpr_workgroup_info 0
		.amdhsa_system_vgpr_workitem_id 0
		.amdhsa_next_free_vgpr 1
		.amdhsa_next_free_sgpr 1
		.amdhsa_reserve_vcc 0
		.amdhsa_reserve_flat_scratch 0
		.amdhsa_float_round_mode_32 0
		.amdhsa_float_round_mode_16_64 0
		.amdhsa_float_denorm_mode_32 3
		.amdhsa_float_denorm_mode_16_64 3
		.amdhsa_dx10_clamp 1
		.amdhsa_ieee_mode 1
		.amdhsa_fp16_overflow 0
		.amdhsa_workgroup_processor_mode 1
		.amdhsa_memory_ordered 1
		.amdhsa_forward_progress 1
		.amdhsa_shared_vgpr_count 0
		.amdhsa_exception_fp_ieee_invalid_op 0
		.amdhsa_exception_fp_denorm_src 0
		.amdhsa_exception_fp_ieee_div_zero 0
		.amdhsa_exception_fp_ieee_overflow 0
		.amdhsa_exception_fp_ieee_underflow 0
		.amdhsa_exception_fp_ieee_inexact 0
		.amdhsa_exception_int_div_zero 0
	.end_amdhsa_kernel
	.section	.text._ZN7rocprim17ROCPRIM_400000_NS6detail17trampoline_kernelINS0_14default_configENS1_38merge_sort_block_merge_config_selectorIsNS0_10empty_typeEEEZZNS1_27merge_sort_block_merge_implIS3_N6thrust23THRUST_200600_302600_NS6detail15normal_iteratorINS9_10device_ptrIsEEEEPS5_m9comp_mod3IsEEE10hipError_tT0_T1_T2_jT3_P12ihipStream_tbPNSt15iterator_traitsISJ_E10value_typeEPNSP_ISK_E10value_typeEPSL_NS1_7vsmem_tEENKUlT_SJ_SK_SL_E_clIPsSE_SF_SF_EESI_SY_SJ_SK_SL_EUlSY_E_NS1_11comp_targetILNS1_3genE2ELNS1_11target_archE906ELNS1_3gpuE6ELNS1_3repE0EEENS1_48merge_mergepath_partition_config_static_selectorELNS0_4arch9wavefront6targetE0EEEvSK_,"axG",@progbits,_ZN7rocprim17ROCPRIM_400000_NS6detail17trampoline_kernelINS0_14default_configENS1_38merge_sort_block_merge_config_selectorIsNS0_10empty_typeEEEZZNS1_27merge_sort_block_merge_implIS3_N6thrust23THRUST_200600_302600_NS6detail15normal_iteratorINS9_10device_ptrIsEEEEPS5_m9comp_mod3IsEEE10hipError_tT0_T1_T2_jT3_P12ihipStream_tbPNSt15iterator_traitsISJ_E10value_typeEPNSP_ISK_E10value_typeEPSL_NS1_7vsmem_tEENKUlT_SJ_SK_SL_E_clIPsSE_SF_SF_EESI_SY_SJ_SK_SL_EUlSY_E_NS1_11comp_targetILNS1_3genE2ELNS1_11target_archE906ELNS1_3gpuE6ELNS1_3repE0EEENS1_48merge_mergepath_partition_config_static_selectorELNS0_4arch9wavefront6targetE0EEEvSK_,comdat
.Lfunc_end1051:
	.size	_ZN7rocprim17ROCPRIM_400000_NS6detail17trampoline_kernelINS0_14default_configENS1_38merge_sort_block_merge_config_selectorIsNS0_10empty_typeEEEZZNS1_27merge_sort_block_merge_implIS3_N6thrust23THRUST_200600_302600_NS6detail15normal_iteratorINS9_10device_ptrIsEEEEPS5_m9comp_mod3IsEEE10hipError_tT0_T1_T2_jT3_P12ihipStream_tbPNSt15iterator_traitsISJ_E10value_typeEPNSP_ISK_E10value_typeEPSL_NS1_7vsmem_tEENKUlT_SJ_SK_SL_E_clIPsSE_SF_SF_EESI_SY_SJ_SK_SL_EUlSY_E_NS1_11comp_targetILNS1_3genE2ELNS1_11target_archE906ELNS1_3gpuE6ELNS1_3repE0EEENS1_48merge_mergepath_partition_config_static_selectorELNS0_4arch9wavefront6targetE0EEEvSK_, .Lfunc_end1051-_ZN7rocprim17ROCPRIM_400000_NS6detail17trampoline_kernelINS0_14default_configENS1_38merge_sort_block_merge_config_selectorIsNS0_10empty_typeEEEZZNS1_27merge_sort_block_merge_implIS3_N6thrust23THRUST_200600_302600_NS6detail15normal_iteratorINS9_10device_ptrIsEEEEPS5_m9comp_mod3IsEEE10hipError_tT0_T1_T2_jT3_P12ihipStream_tbPNSt15iterator_traitsISJ_E10value_typeEPNSP_ISK_E10value_typeEPSL_NS1_7vsmem_tEENKUlT_SJ_SK_SL_E_clIPsSE_SF_SF_EESI_SY_SJ_SK_SL_EUlSY_E_NS1_11comp_targetILNS1_3genE2ELNS1_11target_archE906ELNS1_3gpuE6ELNS1_3repE0EEENS1_48merge_mergepath_partition_config_static_selectorELNS0_4arch9wavefront6targetE0EEEvSK_
                                        ; -- End function
	.set _ZN7rocprim17ROCPRIM_400000_NS6detail17trampoline_kernelINS0_14default_configENS1_38merge_sort_block_merge_config_selectorIsNS0_10empty_typeEEEZZNS1_27merge_sort_block_merge_implIS3_N6thrust23THRUST_200600_302600_NS6detail15normal_iteratorINS9_10device_ptrIsEEEEPS5_m9comp_mod3IsEEE10hipError_tT0_T1_T2_jT3_P12ihipStream_tbPNSt15iterator_traitsISJ_E10value_typeEPNSP_ISK_E10value_typeEPSL_NS1_7vsmem_tEENKUlT_SJ_SK_SL_E_clIPsSE_SF_SF_EESI_SY_SJ_SK_SL_EUlSY_E_NS1_11comp_targetILNS1_3genE2ELNS1_11target_archE906ELNS1_3gpuE6ELNS1_3repE0EEENS1_48merge_mergepath_partition_config_static_selectorELNS0_4arch9wavefront6targetE0EEEvSK_.num_vgpr, 0
	.set _ZN7rocprim17ROCPRIM_400000_NS6detail17trampoline_kernelINS0_14default_configENS1_38merge_sort_block_merge_config_selectorIsNS0_10empty_typeEEEZZNS1_27merge_sort_block_merge_implIS3_N6thrust23THRUST_200600_302600_NS6detail15normal_iteratorINS9_10device_ptrIsEEEEPS5_m9comp_mod3IsEEE10hipError_tT0_T1_T2_jT3_P12ihipStream_tbPNSt15iterator_traitsISJ_E10value_typeEPNSP_ISK_E10value_typeEPSL_NS1_7vsmem_tEENKUlT_SJ_SK_SL_E_clIPsSE_SF_SF_EESI_SY_SJ_SK_SL_EUlSY_E_NS1_11comp_targetILNS1_3genE2ELNS1_11target_archE906ELNS1_3gpuE6ELNS1_3repE0EEENS1_48merge_mergepath_partition_config_static_selectorELNS0_4arch9wavefront6targetE0EEEvSK_.num_agpr, 0
	.set _ZN7rocprim17ROCPRIM_400000_NS6detail17trampoline_kernelINS0_14default_configENS1_38merge_sort_block_merge_config_selectorIsNS0_10empty_typeEEEZZNS1_27merge_sort_block_merge_implIS3_N6thrust23THRUST_200600_302600_NS6detail15normal_iteratorINS9_10device_ptrIsEEEEPS5_m9comp_mod3IsEEE10hipError_tT0_T1_T2_jT3_P12ihipStream_tbPNSt15iterator_traitsISJ_E10value_typeEPNSP_ISK_E10value_typeEPSL_NS1_7vsmem_tEENKUlT_SJ_SK_SL_E_clIPsSE_SF_SF_EESI_SY_SJ_SK_SL_EUlSY_E_NS1_11comp_targetILNS1_3genE2ELNS1_11target_archE906ELNS1_3gpuE6ELNS1_3repE0EEENS1_48merge_mergepath_partition_config_static_selectorELNS0_4arch9wavefront6targetE0EEEvSK_.numbered_sgpr, 0
	.set _ZN7rocprim17ROCPRIM_400000_NS6detail17trampoline_kernelINS0_14default_configENS1_38merge_sort_block_merge_config_selectorIsNS0_10empty_typeEEEZZNS1_27merge_sort_block_merge_implIS3_N6thrust23THRUST_200600_302600_NS6detail15normal_iteratorINS9_10device_ptrIsEEEEPS5_m9comp_mod3IsEEE10hipError_tT0_T1_T2_jT3_P12ihipStream_tbPNSt15iterator_traitsISJ_E10value_typeEPNSP_ISK_E10value_typeEPSL_NS1_7vsmem_tEENKUlT_SJ_SK_SL_E_clIPsSE_SF_SF_EESI_SY_SJ_SK_SL_EUlSY_E_NS1_11comp_targetILNS1_3genE2ELNS1_11target_archE906ELNS1_3gpuE6ELNS1_3repE0EEENS1_48merge_mergepath_partition_config_static_selectorELNS0_4arch9wavefront6targetE0EEEvSK_.num_named_barrier, 0
	.set _ZN7rocprim17ROCPRIM_400000_NS6detail17trampoline_kernelINS0_14default_configENS1_38merge_sort_block_merge_config_selectorIsNS0_10empty_typeEEEZZNS1_27merge_sort_block_merge_implIS3_N6thrust23THRUST_200600_302600_NS6detail15normal_iteratorINS9_10device_ptrIsEEEEPS5_m9comp_mod3IsEEE10hipError_tT0_T1_T2_jT3_P12ihipStream_tbPNSt15iterator_traitsISJ_E10value_typeEPNSP_ISK_E10value_typeEPSL_NS1_7vsmem_tEENKUlT_SJ_SK_SL_E_clIPsSE_SF_SF_EESI_SY_SJ_SK_SL_EUlSY_E_NS1_11comp_targetILNS1_3genE2ELNS1_11target_archE906ELNS1_3gpuE6ELNS1_3repE0EEENS1_48merge_mergepath_partition_config_static_selectorELNS0_4arch9wavefront6targetE0EEEvSK_.private_seg_size, 0
	.set _ZN7rocprim17ROCPRIM_400000_NS6detail17trampoline_kernelINS0_14default_configENS1_38merge_sort_block_merge_config_selectorIsNS0_10empty_typeEEEZZNS1_27merge_sort_block_merge_implIS3_N6thrust23THRUST_200600_302600_NS6detail15normal_iteratorINS9_10device_ptrIsEEEEPS5_m9comp_mod3IsEEE10hipError_tT0_T1_T2_jT3_P12ihipStream_tbPNSt15iterator_traitsISJ_E10value_typeEPNSP_ISK_E10value_typeEPSL_NS1_7vsmem_tEENKUlT_SJ_SK_SL_E_clIPsSE_SF_SF_EESI_SY_SJ_SK_SL_EUlSY_E_NS1_11comp_targetILNS1_3genE2ELNS1_11target_archE906ELNS1_3gpuE6ELNS1_3repE0EEENS1_48merge_mergepath_partition_config_static_selectorELNS0_4arch9wavefront6targetE0EEEvSK_.uses_vcc, 0
	.set _ZN7rocprim17ROCPRIM_400000_NS6detail17trampoline_kernelINS0_14default_configENS1_38merge_sort_block_merge_config_selectorIsNS0_10empty_typeEEEZZNS1_27merge_sort_block_merge_implIS3_N6thrust23THRUST_200600_302600_NS6detail15normal_iteratorINS9_10device_ptrIsEEEEPS5_m9comp_mod3IsEEE10hipError_tT0_T1_T2_jT3_P12ihipStream_tbPNSt15iterator_traitsISJ_E10value_typeEPNSP_ISK_E10value_typeEPSL_NS1_7vsmem_tEENKUlT_SJ_SK_SL_E_clIPsSE_SF_SF_EESI_SY_SJ_SK_SL_EUlSY_E_NS1_11comp_targetILNS1_3genE2ELNS1_11target_archE906ELNS1_3gpuE6ELNS1_3repE0EEENS1_48merge_mergepath_partition_config_static_selectorELNS0_4arch9wavefront6targetE0EEEvSK_.uses_flat_scratch, 0
	.set _ZN7rocprim17ROCPRIM_400000_NS6detail17trampoline_kernelINS0_14default_configENS1_38merge_sort_block_merge_config_selectorIsNS0_10empty_typeEEEZZNS1_27merge_sort_block_merge_implIS3_N6thrust23THRUST_200600_302600_NS6detail15normal_iteratorINS9_10device_ptrIsEEEEPS5_m9comp_mod3IsEEE10hipError_tT0_T1_T2_jT3_P12ihipStream_tbPNSt15iterator_traitsISJ_E10value_typeEPNSP_ISK_E10value_typeEPSL_NS1_7vsmem_tEENKUlT_SJ_SK_SL_E_clIPsSE_SF_SF_EESI_SY_SJ_SK_SL_EUlSY_E_NS1_11comp_targetILNS1_3genE2ELNS1_11target_archE906ELNS1_3gpuE6ELNS1_3repE0EEENS1_48merge_mergepath_partition_config_static_selectorELNS0_4arch9wavefront6targetE0EEEvSK_.has_dyn_sized_stack, 0
	.set _ZN7rocprim17ROCPRIM_400000_NS6detail17trampoline_kernelINS0_14default_configENS1_38merge_sort_block_merge_config_selectorIsNS0_10empty_typeEEEZZNS1_27merge_sort_block_merge_implIS3_N6thrust23THRUST_200600_302600_NS6detail15normal_iteratorINS9_10device_ptrIsEEEEPS5_m9comp_mod3IsEEE10hipError_tT0_T1_T2_jT3_P12ihipStream_tbPNSt15iterator_traitsISJ_E10value_typeEPNSP_ISK_E10value_typeEPSL_NS1_7vsmem_tEENKUlT_SJ_SK_SL_E_clIPsSE_SF_SF_EESI_SY_SJ_SK_SL_EUlSY_E_NS1_11comp_targetILNS1_3genE2ELNS1_11target_archE906ELNS1_3gpuE6ELNS1_3repE0EEENS1_48merge_mergepath_partition_config_static_selectorELNS0_4arch9wavefront6targetE0EEEvSK_.has_recursion, 0
	.set _ZN7rocprim17ROCPRIM_400000_NS6detail17trampoline_kernelINS0_14default_configENS1_38merge_sort_block_merge_config_selectorIsNS0_10empty_typeEEEZZNS1_27merge_sort_block_merge_implIS3_N6thrust23THRUST_200600_302600_NS6detail15normal_iteratorINS9_10device_ptrIsEEEEPS5_m9comp_mod3IsEEE10hipError_tT0_T1_T2_jT3_P12ihipStream_tbPNSt15iterator_traitsISJ_E10value_typeEPNSP_ISK_E10value_typeEPSL_NS1_7vsmem_tEENKUlT_SJ_SK_SL_E_clIPsSE_SF_SF_EESI_SY_SJ_SK_SL_EUlSY_E_NS1_11comp_targetILNS1_3genE2ELNS1_11target_archE906ELNS1_3gpuE6ELNS1_3repE0EEENS1_48merge_mergepath_partition_config_static_selectorELNS0_4arch9wavefront6targetE0EEEvSK_.has_indirect_call, 0
	.section	.AMDGPU.csdata,"",@progbits
; Kernel info:
; codeLenInByte = 0
; TotalNumSgprs: 0
; NumVgprs: 0
; ScratchSize: 0
; MemoryBound: 0
; FloatMode: 240
; IeeeMode: 1
; LDSByteSize: 0 bytes/workgroup (compile time only)
; SGPRBlocks: 0
; VGPRBlocks: 0
; NumSGPRsForWavesPerEU: 1
; NumVGPRsForWavesPerEU: 1
; Occupancy: 16
; WaveLimiterHint : 0
; COMPUTE_PGM_RSRC2:SCRATCH_EN: 0
; COMPUTE_PGM_RSRC2:USER_SGPR: 6
; COMPUTE_PGM_RSRC2:TRAP_HANDLER: 0
; COMPUTE_PGM_RSRC2:TGID_X_EN: 1
; COMPUTE_PGM_RSRC2:TGID_Y_EN: 0
; COMPUTE_PGM_RSRC2:TGID_Z_EN: 0
; COMPUTE_PGM_RSRC2:TIDIG_COMP_CNT: 0
	.section	.text._ZN7rocprim17ROCPRIM_400000_NS6detail17trampoline_kernelINS0_14default_configENS1_38merge_sort_block_merge_config_selectorIsNS0_10empty_typeEEEZZNS1_27merge_sort_block_merge_implIS3_N6thrust23THRUST_200600_302600_NS6detail15normal_iteratorINS9_10device_ptrIsEEEEPS5_m9comp_mod3IsEEE10hipError_tT0_T1_T2_jT3_P12ihipStream_tbPNSt15iterator_traitsISJ_E10value_typeEPNSP_ISK_E10value_typeEPSL_NS1_7vsmem_tEENKUlT_SJ_SK_SL_E_clIPsSE_SF_SF_EESI_SY_SJ_SK_SL_EUlSY_E_NS1_11comp_targetILNS1_3genE9ELNS1_11target_archE1100ELNS1_3gpuE3ELNS1_3repE0EEENS1_48merge_mergepath_partition_config_static_selectorELNS0_4arch9wavefront6targetE0EEEvSK_,"axG",@progbits,_ZN7rocprim17ROCPRIM_400000_NS6detail17trampoline_kernelINS0_14default_configENS1_38merge_sort_block_merge_config_selectorIsNS0_10empty_typeEEEZZNS1_27merge_sort_block_merge_implIS3_N6thrust23THRUST_200600_302600_NS6detail15normal_iteratorINS9_10device_ptrIsEEEEPS5_m9comp_mod3IsEEE10hipError_tT0_T1_T2_jT3_P12ihipStream_tbPNSt15iterator_traitsISJ_E10value_typeEPNSP_ISK_E10value_typeEPSL_NS1_7vsmem_tEENKUlT_SJ_SK_SL_E_clIPsSE_SF_SF_EESI_SY_SJ_SK_SL_EUlSY_E_NS1_11comp_targetILNS1_3genE9ELNS1_11target_archE1100ELNS1_3gpuE3ELNS1_3repE0EEENS1_48merge_mergepath_partition_config_static_selectorELNS0_4arch9wavefront6targetE0EEEvSK_,comdat
	.protected	_ZN7rocprim17ROCPRIM_400000_NS6detail17trampoline_kernelINS0_14default_configENS1_38merge_sort_block_merge_config_selectorIsNS0_10empty_typeEEEZZNS1_27merge_sort_block_merge_implIS3_N6thrust23THRUST_200600_302600_NS6detail15normal_iteratorINS9_10device_ptrIsEEEEPS5_m9comp_mod3IsEEE10hipError_tT0_T1_T2_jT3_P12ihipStream_tbPNSt15iterator_traitsISJ_E10value_typeEPNSP_ISK_E10value_typeEPSL_NS1_7vsmem_tEENKUlT_SJ_SK_SL_E_clIPsSE_SF_SF_EESI_SY_SJ_SK_SL_EUlSY_E_NS1_11comp_targetILNS1_3genE9ELNS1_11target_archE1100ELNS1_3gpuE3ELNS1_3repE0EEENS1_48merge_mergepath_partition_config_static_selectorELNS0_4arch9wavefront6targetE0EEEvSK_ ; -- Begin function _ZN7rocprim17ROCPRIM_400000_NS6detail17trampoline_kernelINS0_14default_configENS1_38merge_sort_block_merge_config_selectorIsNS0_10empty_typeEEEZZNS1_27merge_sort_block_merge_implIS3_N6thrust23THRUST_200600_302600_NS6detail15normal_iteratorINS9_10device_ptrIsEEEEPS5_m9comp_mod3IsEEE10hipError_tT0_T1_T2_jT3_P12ihipStream_tbPNSt15iterator_traitsISJ_E10value_typeEPNSP_ISK_E10value_typeEPSL_NS1_7vsmem_tEENKUlT_SJ_SK_SL_E_clIPsSE_SF_SF_EESI_SY_SJ_SK_SL_EUlSY_E_NS1_11comp_targetILNS1_3genE9ELNS1_11target_archE1100ELNS1_3gpuE3ELNS1_3repE0EEENS1_48merge_mergepath_partition_config_static_selectorELNS0_4arch9wavefront6targetE0EEEvSK_
	.globl	_ZN7rocprim17ROCPRIM_400000_NS6detail17trampoline_kernelINS0_14default_configENS1_38merge_sort_block_merge_config_selectorIsNS0_10empty_typeEEEZZNS1_27merge_sort_block_merge_implIS3_N6thrust23THRUST_200600_302600_NS6detail15normal_iteratorINS9_10device_ptrIsEEEEPS5_m9comp_mod3IsEEE10hipError_tT0_T1_T2_jT3_P12ihipStream_tbPNSt15iterator_traitsISJ_E10value_typeEPNSP_ISK_E10value_typeEPSL_NS1_7vsmem_tEENKUlT_SJ_SK_SL_E_clIPsSE_SF_SF_EESI_SY_SJ_SK_SL_EUlSY_E_NS1_11comp_targetILNS1_3genE9ELNS1_11target_archE1100ELNS1_3gpuE3ELNS1_3repE0EEENS1_48merge_mergepath_partition_config_static_selectorELNS0_4arch9wavefront6targetE0EEEvSK_
	.p2align	8
	.type	_ZN7rocprim17ROCPRIM_400000_NS6detail17trampoline_kernelINS0_14default_configENS1_38merge_sort_block_merge_config_selectorIsNS0_10empty_typeEEEZZNS1_27merge_sort_block_merge_implIS3_N6thrust23THRUST_200600_302600_NS6detail15normal_iteratorINS9_10device_ptrIsEEEEPS5_m9comp_mod3IsEEE10hipError_tT0_T1_T2_jT3_P12ihipStream_tbPNSt15iterator_traitsISJ_E10value_typeEPNSP_ISK_E10value_typeEPSL_NS1_7vsmem_tEENKUlT_SJ_SK_SL_E_clIPsSE_SF_SF_EESI_SY_SJ_SK_SL_EUlSY_E_NS1_11comp_targetILNS1_3genE9ELNS1_11target_archE1100ELNS1_3gpuE3ELNS1_3repE0EEENS1_48merge_mergepath_partition_config_static_selectorELNS0_4arch9wavefront6targetE0EEEvSK_,@function
_ZN7rocprim17ROCPRIM_400000_NS6detail17trampoline_kernelINS0_14default_configENS1_38merge_sort_block_merge_config_selectorIsNS0_10empty_typeEEEZZNS1_27merge_sort_block_merge_implIS3_N6thrust23THRUST_200600_302600_NS6detail15normal_iteratorINS9_10device_ptrIsEEEEPS5_m9comp_mod3IsEEE10hipError_tT0_T1_T2_jT3_P12ihipStream_tbPNSt15iterator_traitsISJ_E10value_typeEPNSP_ISK_E10value_typeEPSL_NS1_7vsmem_tEENKUlT_SJ_SK_SL_E_clIPsSE_SF_SF_EESI_SY_SJ_SK_SL_EUlSY_E_NS1_11comp_targetILNS1_3genE9ELNS1_11target_archE1100ELNS1_3gpuE3ELNS1_3repE0EEENS1_48merge_mergepath_partition_config_static_selectorELNS0_4arch9wavefront6targetE0EEEvSK_: ; @_ZN7rocprim17ROCPRIM_400000_NS6detail17trampoline_kernelINS0_14default_configENS1_38merge_sort_block_merge_config_selectorIsNS0_10empty_typeEEEZZNS1_27merge_sort_block_merge_implIS3_N6thrust23THRUST_200600_302600_NS6detail15normal_iteratorINS9_10device_ptrIsEEEEPS5_m9comp_mod3IsEEE10hipError_tT0_T1_T2_jT3_P12ihipStream_tbPNSt15iterator_traitsISJ_E10value_typeEPNSP_ISK_E10value_typeEPSL_NS1_7vsmem_tEENKUlT_SJ_SK_SL_E_clIPsSE_SF_SF_EESI_SY_SJ_SK_SL_EUlSY_E_NS1_11comp_targetILNS1_3genE9ELNS1_11target_archE1100ELNS1_3gpuE3ELNS1_3repE0EEENS1_48merge_mergepath_partition_config_static_selectorELNS0_4arch9wavefront6targetE0EEEvSK_
; %bb.0:
	.section	.rodata,"a",@progbits
	.p2align	6, 0x0
	.amdhsa_kernel _ZN7rocprim17ROCPRIM_400000_NS6detail17trampoline_kernelINS0_14default_configENS1_38merge_sort_block_merge_config_selectorIsNS0_10empty_typeEEEZZNS1_27merge_sort_block_merge_implIS3_N6thrust23THRUST_200600_302600_NS6detail15normal_iteratorINS9_10device_ptrIsEEEEPS5_m9comp_mod3IsEEE10hipError_tT0_T1_T2_jT3_P12ihipStream_tbPNSt15iterator_traitsISJ_E10value_typeEPNSP_ISK_E10value_typeEPSL_NS1_7vsmem_tEENKUlT_SJ_SK_SL_E_clIPsSE_SF_SF_EESI_SY_SJ_SK_SL_EUlSY_E_NS1_11comp_targetILNS1_3genE9ELNS1_11target_archE1100ELNS1_3gpuE3ELNS1_3repE0EEENS1_48merge_mergepath_partition_config_static_selectorELNS0_4arch9wavefront6targetE0EEEvSK_
		.amdhsa_group_segment_fixed_size 0
		.amdhsa_private_segment_fixed_size 0
		.amdhsa_kernarg_size 48
		.amdhsa_user_sgpr_count 6
		.amdhsa_user_sgpr_private_segment_buffer 1
		.amdhsa_user_sgpr_dispatch_ptr 0
		.amdhsa_user_sgpr_queue_ptr 0
		.amdhsa_user_sgpr_kernarg_segment_ptr 1
		.amdhsa_user_sgpr_dispatch_id 0
		.amdhsa_user_sgpr_flat_scratch_init 0
		.amdhsa_user_sgpr_private_segment_size 0
		.amdhsa_wavefront_size32 1
		.amdhsa_uses_dynamic_stack 0
		.amdhsa_system_sgpr_private_segment_wavefront_offset 0
		.amdhsa_system_sgpr_workgroup_id_x 1
		.amdhsa_system_sgpr_workgroup_id_y 0
		.amdhsa_system_sgpr_workgroup_id_z 0
		.amdhsa_system_sgpr_workgroup_info 0
		.amdhsa_system_vgpr_workitem_id 0
		.amdhsa_next_free_vgpr 1
		.amdhsa_next_free_sgpr 1
		.amdhsa_reserve_vcc 0
		.amdhsa_reserve_flat_scratch 0
		.amdhsa_float_round_mode_32 0
		.amdhsa_float_round_mode_16_64 0
		.amdhsa_float_denorm_mode_32 3
		.amdhsa_float_denorm_mode_16_64 3
		.amdhsa_dx10_clamp 1
		.amdhsa_ieee_mode 1
		.amdhsa_fp16_overflow 0
		.amdhsa_workgroup_processor_mode 1
		.amdhsa_memory_ordered 1
		.amdhsa_forward_progress 1
		.amdhsa_shared_vgpr_count 0
		.amdhsa_exception_fp_ieee_invalid_op 0
		.amdhsa_exception_fp_denorm_src 0
		.amdhsa_exception_fp_ieee_div_zero 0
		.amdhsa_exception_fp_ieee_overflow 0
		.amdhsa_exception_fp_ieee_underflow 0
		.amdhsa_exception_fp_ieee_inexact 0
		.amdhsa_exception_int_div_zero 0
	.end_amdhsa_kernel
	.section	.text._ZN7rocprim17ROCPRIM_400000_NS6detail17trampoline_kernelINS0_14default_configENS1_38merge_sort_block_merge_config_selectorIsNS0_10empty_typeEEEZZNS1_27merge_sort_block_merge_implIS3_N6thrust23THRUST_200600_302600_NS6detail15normal_iteratorINS9_10device_ptrIsEEEEPS5_m9comp_mod3IsEEE10hipError_tT0_T1_T2_jT3_P12ihipStream_tbPNSt15iterator_traitsISJ_E10value_typeEPNSP_ISK_E10value_typeEPSL_NS1_7vsmem_tEENKUlT_SJ_SK_SL_E_clIPsSE_SF_SF_EESI_SY_SJ_SK_SL_EUlSY_E_NS1_11comp_targetILNS1_3genE9ELNS1_11target_archE1100ELNS1_3gpuE3ELNS1_3repE0EEENS1_48merge_mergepath_partition_config_static_selectorELNS0_4arch9wavefront6targetE0EEEvSK_,"axG",@progbits,_ZN7rocprim17ROCPRIM_400000_NS6detail17trampoline_kernelINS0_14default_configENS1_38merge_sort_block_merge_config_selectorIsNS0_10empty_typeEEEZZNS1_27merge_sort_block_merge_implIS3_N6thrust23THRUST_200600_302600_NS6detail15normal_iteratorINS9_10device_ptrIsEEEEPS5_m9comp_mod3IsEEE10hipError_tT0_T1_T2_jT3_P12ihipStream_tbPNSt15iterator_traitsISJ_E10value_typeEPNSP_ISK_E10value_typeEPSL_NS1_7vsmem_tEENKUlT_SJ_SK_SL_E_clIPsSE_SF_SF_EESI_SY_SJ_SK_SL_EUlSY_E_NS1_11comp_targetILNS1_3genE9ELNS1_11target_archE1100ELNS1_3gpuE3ELNS1_3repE0EEENS1_48merge_mergepath_partition_config_static_selectorELNS0_4arch9wavefront6targetE0EEEvSK_,comdat
.Lfunc_end1052:
	.size	_ZN7rocprim17ROCPRIM_400000_NS6detail17trampoline_kernelINS0_14default_configENS1_38merge_sort_block_merge_config_selectorIsNS0_10empty_typeEEEZZNS1_27merge_sort_block_merge_implIS3_N6thrust23THRUST_200600_302600_NS6detail15normal_iteratorINS9_10device_ptrIsEEEEPS5_m9comp_mod3IsEEE10hipError_tT0_T1_T2_jT3_P12ihipStream_tbPNSt15iterator_traitsISJ_E10value_typeEPNSP_ISK_E10value_typeEPSL_NS1_7vsmem_tEENKUlT_SJ_SK_SL_E_clIPsSE_SF_SF_EESI_SY_SJ_SK_SL_EUlSY_E_NS1_11comp_targetILNS1_3genE9ELNS1_11target_archE1100ELNS1_3gpuE3ELNS1_3repE0EEENS1_48merge_mergepath_partition_config_static_selectorELNS0_4arch9wavefront6targetE0EEEvSK_, .Lfunc_end1052-_ZN7rocprim17ROCPRIM_400000_NS6detail17trampoline_kernelINS0_14default_configENS1_38merge_sort_block_merge_config_selectorIsNS0_10empty_typeEEEZZNS1_27merge_sort_block_merge_implIS3_N6thrust23THRUST_200600_302600_NS6detail15normal_iteratorINS9_10device_ptrIsEEEEPS5_m9comp_mod3IsEEE10hipError_tT0_T1_T2_jT3_P12ihipStream_tbPNSt15iterator_traitsISJ_E10value_typeEPNSP_ISK_E10value_typeEPSL_NS1_7vsmem_tEENKUlT_SJ_SK_SL_E_clIPsSE_SF_SF_EESI_SY_SJ_SK_SL_EUlSY_E_NS1_11comp_targetILNS1_3genE9ELNS1_11target_archE1100ELNS1_3gpuE3ELNS1_3repE0EEENS1_48merge_mergepath_partition_config_static_selectorELNS0_4arch9wavefront6targetE0EEEvSK_
                                        ; -- End function
	.set _ZN7rocprim17ROCPRIM_400000_NS6detail17trampoline_kernelINS0_14default_configENS1_38merge_sort_block_merge_config_selectorIsNS0_10empty_typeEEEZZNS1_27merge_sort_block_merge_implIS3_N6thrust23THRUST_200600_302600_NS6detail15normal_iteratorINS9_10device_ptrIsEEEEPS5_m9comp_mod3IsEEE10hipError_tT0_T1_T2_jT3_P12ihipStream_tbPNSt15iterator_traitsISJ_E10value_typeEPNSP_ISK_E10value_typeEPSL_NS1_7vsmem_tEENKUlT_SJ_SK_SL_E_clIPsSE_SF_SF_EESI_SY_SJ_SK_SL_EUlSY_E_NS1_11comp_targetILNS1_3genE9ELNS1_11target_archE1100ELNS1_3gpuE3ELNS1_3repE0EEENS1_48merge_mergepath_partition_config_static_selectorELNS0_4arch9wavefront6targetE0EEEvSK_.num_vgpr, 0
	.set _ZN7rocprim17ROCPRIM_400000_NS6detail17trampoline_kernelINS0_14default_configENS1_38merge_sort_block_merge_config_selectorIsNS0_10empty_typeEEEZZNS1_27merge_sort_block_merge_implIS3_N6thrust23THRUST_200600_302600_NS6detail15normal_iteratorINS9_10device_ptrIsEEEEPS5_m9comp_mod3IsEEE10hipError_tT0_T1_T2_jT3_P12ihipStream_tbPNSt15iterator_traitsISJ_E10value_typeEPNSP_ISK_E10value_typeEPSL_NS1_7vsmem_tEENKUlT_SJ_SK_SL_E_clIPsSE_SF_SF_EESI_SY_SJ_SK_SL_EUlSY_E_NS1_11comp_targetILNS1_3genE9ELNS1_11target_archE1100ELNS1_3gpuE3ELNS1_3repE0EEENS1_48merge_mergepath_partition_config_static_selectorELNS0_4arch9wavefront6targetE0EEEvSK_.num_agpr, 0
	.set _ZN7rocprim17ROCPRIM_400000_NS6detail17trampoline_kernelINS0_14default_configENS1_38merge_sort_block_merge_config_selectorIsNS0_10empty_typeEEEZZNS1_27merge_sort_block_merge_implIS3_N6thrust23THRUST_200600_302600_NS6detail15normal_iteratorINS9_10device_ptrIsEEEEPS5_m9comp_mod3IsEEE10hipError_tT0_T1_T2_jT3_P12ihipStream_tbPNSt15iterator_traitsISJ_E10value_typeEPNSP_ISK_E10value_typeEPSL_NS1_7vsmem_tEENKUlT_SJ_SK_SL_E_clIPsSE_SF_SF_EESI_SY_SJ_SK_SL_EUlSY_E_NS1_11comp_targetILNS1_3genE9ELNS1_11target_archE1100ELNS1_3gpuE3ELNS1_3repE0EEENS1_48merge_mergepath_partition_config_static_selectorELNS0_4arch9wavefront6targetE0EEEvSK_.numbered_sgpr, 0
	.set _ZN7rocprim17ROCPRIM_400000_NS6detail17trampoline_kernelINS0_14default_configENS1_38merge_sort_block_merge_config_selectorIsNS0_10empty_typeEEEZZNS1_27merge_sort_block_merge_implIS3_N6thrust23THRUST_200600_302600_NS6detail15normal_iteratorINS9_10device_ptrIsEEEEPS5_m9comp_mod3IsEEE10hipError_tT0_T1_T2_jT3_P12ihipStream_tbPNSt15iterator_traitsISJ_E10value_typeEPNSP_ISK_E10value_typeEPSL_NS1_7vsmem_tEENKUlT_SJ_SK_SL_E_clIPsSE_SF_SF_EESI_SY_SJ_SK_SL_EUlSY_E_NS1_11comp_targetILNS1_3genE9ELNS1_11target_archE1100ELNS1_3gpuE3ELNS1_3repE0EEENS1_48merge_mergepath_partition_config_static_selectorELNS0_4arch9wavefront6targetE0EEEvSK_.num_named_barrier, 0
	.set _ZN7rocprim17ROCPRIM_400000_NS6detail17trampoline_kernelINS0_14default_configENS1_38merge_sort_block_merge_config_selectorIsNS0_10empty_typeEEEZZNS1_27merge_sort_block_merge_implIS3_N6thrust23THRUST_200600_302600_NS6detail15normal_iteratorINS9_10device_ptrIsEEEEPS5_m9comp_mod3IsEEE10hipError_tT0_T1_T2_jT3_P12ihipStream_tbPNSt15iterator_traitsISJ_E10value_typeEPNSP_ISK_E10value_typeEPSL_NS1_7vsmem_tEENKUlT_SJ_SK_SL_E_clIPsSE_SF_SF_EESI_SY_SJ_SK_SL_EUlSY_E_NS1_11comp_targetILNS1_3genE9ELNS1_11target_archE1100ELNS1_3gpuE3ELNS1_3repE0EEENS1_48merge_mergepath_partition_config_static_selectorELNS0_4arch9wavefront6targetE0EEEvSK_.private_seg_size, 0
	.set _ZN7rocprim17ROCPRIM_400000_NS6detail17trampoline_kernelINS0_14default_configENS1_38merge_sort_block_merge_config_selectorIsNS0_10empty_typeEEEZZNS1_27merge_sort_block_merge_implIS3_N6thrust23THRUST_200600_302600_NS6detail15normal_iteratorINS9_10device_ptrIsEEEEPS5_m9comp_mod3IsEEE10hipError_tT0_T1_T2_jT3_P12ihipStream_tbPNSt15iterator_traitsISJ_E10value_typeEPNSP_ISK_E10value_typeEPSL_NS1_7vsmem_tEENKUlT_SJ_SK_SL_E_clIPsSE_SF_SF_EESI_SY_SJ_SK_SL_EUlSY_E_NS1_11comp_targetILNS1_3genE9ELNS1_11target_archE1100ELNS1_3gpuE3ELNS1_3repE0EEENS1_48merge_mergepath_partition_config_static_selectorELNS0_4arch9wavefront6targetE0EEEvSK_.uses_vcc, 0
	.set _ZN7rocprim17ROCPRIM_400000_NS6detail17trampoline_kernelINS0_14default_configENS1_38merge_sort_block_merge_config_selectorIsNS0_10empty_typeEEEZZNS1_27merge_sort_block_merge_implIS3_N6thrust23THRUST_200600_302600_NS6detail15normal_iteratorINS9_10device_ptrIsEEEEPS5_m9comp_mod3IsEEE10hipError_tT0_T1_T2_jT3_P12ihipStream_tbPNSt15iterator_traitsISJ_E10value_typeEPNSP_ISK_E10value_typeEPSL_NS1_7vsmem_tEENKUlT_SJ_SK_SL_E_clIPsSE_SF_SF_EESI_SY_SJ_SK_SL_EUlSY_E_NS1_11comp_targetILNS1_3genE9ELNS1_11target_archE1100ELNS1_3gpuE3ELNS1_3repE0EEENS1_48merge_mergepath_partition_config_static_selectorELNS0_4arch9wavefront6targetE0EEEvSK_.uses_flat_scratch, 0
	.set _ZN7rocprim17ROCPRIM_400000_NS6detail17trampoline_kernelINS0_14default_configENS1_38merge_sort_block_merge_config_selectorIsNS0_10empty_typeEEEZZNS1_27merge_sort_block_merge_implIS3_N6thrust23THRUST_200600_302600_NS6detail15normal_iteratorINS9_10device_ptrIsEEEEPS5_m9comp_mod3IsEEE10hipError_tT0_T1_T2_jT3_P12ihipStream_tbPNSt15iterator_traitsISJ_E10value_typeEPNSP_ISK_E10value_typeEPSL_NS1_7vsmem_tEENKUlT_SJ_SK_SL_E_clIPsSE_SF_SF_EESI_SY_SJ_SK_SL_EUlSY_E_NS1_11comp_targetILNS1_3genE9ELNS1_11target_archE1100ELNS1_3gpuE3ELNS1_3repE0EEENS1_48merge_mergepath_partition_config_static_selectorELNS0_4arch9wavefront6targetE0EEEvSK_.has_dyn_sized_stack, 0
	.set _ZN7rocprim17ROCPRIM_400000_NS6detail17trampoline_kernelINS0_14default_configENS1_38merge_sort_block_merge_config_selectorIsNS0_10empty_typeEEEZZNS1_27merge_sort_block_merge_implIS3_N6thrust23THRUST_200600_302600_NS6detail15normal_iteratorINS9_10device_ptrIsEEEEPS5_m9comp_mod3IsEEE10hipError_tT0_T1_T2_jT3_P12ihipStream_tbPNSt15iterator_traitsISJ_E10value_typeEPNSP_ISK_E10value_typeEPSL_NS1_7vsmem_tEENKUlT_SJ_SK_SL_E_clIPsSE_SF_SF_EESI_SY_SJ_SK_SL_EUlSY_E_NS1_11comp_targetILNS1_3genE9ELNS1_11target_archE1100ELNS1_3gpuE3ELNS1_3repE0EEENS1_48merge_mergepath_partition_config_static_selectorELNS0_4arch9wavefront6targetE0EEEvSK_.has_recursion, 0
	.set _ZN7rocprim17ROCPRIM_400000_NS6detail17trampoline_kernelINS0_14default_configENS1_38merge_sort_block_merge_config_selectorIsNS0_10empty_typeEEEZZNS1_27merge_sort_block_merge_implIS3_N6thrust23THRUST_200600_302600_NS6detail15normal_iteratorINS9_10device_ptrIsEEEEPS5_m9comp_mod3IsEEE10hipError_tT0_T1_T2_jT3_P12ihipStream_tbPNSt15iterator_traitsISJ_E10value_typeEPNSP_ISK_E10value_typeEPSL_NS1_7vsmem_tEENKUlT_SJ_SK_SL_E_clIPsSE_SF_SF_EESI_SY_SJ_SK_SL_EUlSY_E_NS1_11comp_targetILNS1_3genE9ELNS1_11target_archE1100ELNS1_3gpuE3ELNS1_3repE0EEENS1_48merge_mergepath_partition_config_static_selectorELNS0_4arch9wavefront6targetE0EEEvSK_.has_indirect_call, 0
	.section	.AMDGPU.csdata,"",@progbits
; Kernel info:
; codeLenInByte = 0
; TotalNumSgprs: 0
; NumVgprs: 0
; ScratchSize: 0
; MemoryBound: 0
; FloatMode: 240
; IeeeMode: 1
; LDSByteSize: 0 bytes/workgroup (compile time only)
; SGPRBlocks: 0
; VGPRBlocks: 0
; NumSGPRsForWavesPerEU: 1
; NumVGPRsForWavesPerEU: 1
; Occupancy: 16
; WaveLimiterHint : 0
; COMPUTE_PGM_RSRC2:SCRATCH_EN: 0
; COMPUTE_PGM_RSRC2:USER_SGPR: 6
; COMPUTE_PGM_RSRC2:TRAP_HANDLER: 0
; COMPUTE_PGM_RSRC2:TGID_X_EN: 1
; COMPUTE_PGM_RSRC2:TGID_Y_EN: 0
; COMPUTE_PGM_RSRC2:TGID_Z_EN: 0
; COMPUTE_PGM_RSRC2:TIDIG_COMP_CNT: 0
	.section	.text._ZN7rocprim17ROCPRIM_400000_NS6detail17trampoline_kernelINS0_14default_configENS1_38merge_sort_block_merge_config_selectorIsNS0_10empty_typeEEEZZNS1_27merge_sort_block_merge_implIS3_N6thrust23THRUST_200600_302600_NS6detail15normal_iteratorINS9_10device_ptrIsEEEEPS5_m9comp_mod3IsEEE10hipError_tT0_T1_T2_jT3_P12ihipStream_tbPNSt15iterator_traitsISJ_E10value_typeEPNSP_ISK_E10value_typeEPSL_NS1_7vsmem_tEENKUlT_SJ_SK_SL_E_clIPsSE_SF_SF_EESI_SY_SJ_SK_SL_EUlSY_E_NS1_11comp_targetILNS1_3genE8ELNS1_11target_archE1030ELNS1_3gpuE2ELNS1_3repE0EEENS1_48merge_mergepath_partition_config_static_selectorELNS0_4arch9wavefront6targetE0EEEvSK_,"axG",@progbits,_ZN7rocprim17ROCPRIM_400000_NS6detail17trampoline_kernelINS0_14default_configENS1_38merge_sort_block_merge_config_selectorIsNS0_10empty_typeEEEZZNS1_27merge_sort_block_merge_implIS3_N6thrust23THRUST_200600_302600_NS6detail15normal_iteratorINS9_10device_ptrIsEEEEPS5_m9comp_mod3IsEEE10hipError_tT0_T1_T2_jT3_P12ihipStream_tbPNSt15iterator_traitsISJ_E10value_typeEPNSP_ISK_E10value_typeEPSL_NS1_7vsmem_tEENKUlT_SJ_SK_SL_E_clIPsSE_SF_SF_EESI_SY_SJ_SK_SL_EUlSY_E_NS1_11comp_targetILNS1_3genE8ELNS1_11target_archE1030ELNS1_3gpuE2ELNS1_3repE0EEENS1_48merge_mergepath_partition_config_static_selectorELNS0_4arch9wavefront6targetE0EEEvSK_,comdat
	.protected	_ZN7rocprim17ROCPRIM_400000_NS6detail17trampoline_kernelINS0_14default_configENS1_38merge_sort_block_merge_config_selectorIsNS0_10empty_typeEEEZZNS1_27merge_sort_block_merge_implIS3_N6thrust23THRUST_200600_302600_NS6detail15normal_iteratorINS9_10device_ptrIsEEEEPS5_m9comp_mod3IsEEE10hipError_tT0_T1_T2_jT3_P12ihipStream_tbPNSt15iterator_traitsISJ_E10value_typeEPNSP_ISK_E10value_typeEPSL_NS1_7vsmem_tEENKUlT_SJ_SK_SL_E_clIPsSE_SF_SF_EESI_SY_SJ_SK_SL_EUlSY_E_NS1_11comp_targetILNS1_3genE8ELNS1_11target_archE1030ELNS1_3gpuE2ELNS1_3repE0EEENS1_48merge_mergepath_partition_config_static_selectorELNS0_4arch9wavefront6targetE0EEEvSK_ ; -- Begin function _ZN7rocprim17ROCPRIM_400000_NS6detail17trampoline_kernelINS0_14default_configENS1_38merge_sort_block_merge_config_selectorIsNS0_10empty_typeEEEZZNS1_27merge_sort_block_merge_implIS3_N6thrust23THRUST_200600_302600_NS6detail15normal_iteratorINS9_10device_ptrIsEEEEPS5_m9comp_mod3IsEEE10hipError_tT0_T1_T2_jT3_P12ihipStream_tbPNSt15iterator_traitsISJ_E10value_typeEPNSP_ISK_E10value_typeEPSL_NS1_7vsmem_tEENKUlT_SJ_SK_SL_E_clIPsSE_SF_SF_EESI_SY_SJ_SK_SL_EUlSY_E_NS1_11comp_targetILNS1_3genE8ELNS1_11target_archE1030ELNS1_3gpuE2ELNS1_3repE0EEENS1_48merge_mergepath_partition_config_static_selectorELNS0_4arch9wavefront6targetE0EEEvSK_
	.globl	_ZN7rocprim17ROCPRIM_400000_NS6detail17trampoline_kernelINS0_14default_configENS1_38merge_sort_block_merge_config_selectorIsNS0_10empty_typeEEEZZNS1_27merge_sort_block_merge_implIS3_N6thrust23THRUST_200600_302600_NS6detail15normal_iteratorINS9_10device_ptrIsEEEEPS5_m9comp_mod3IsEEE10hipError_tT0_T1_T2_jT3_P12ihipStream_tbPNSt15iterator_traitsISJ_E10value_typeEPNSP_ISK_E10value_typeEPSL_NS1_7vsmem_tEENKUlT_SJ_SK_SL_E_clIPsSE_SF_SF_EESI_SY_SJ_SK_SL_EUlSY_E_NS1_11comp_targetILNS1_3genE8ELNS1_11target_archE1030ELNS1_3gpuE2ELNS1_3repE0EEENS1_48merge_mergepath_partition_config_static_selectorELNS0_4arch9wavefront6targetE0EEEvSK_
	.p2align	8
	.type	_ZN7rocprim17ROCPRIM_400000_NS6detail17trampoline_kernelINS0_14default_configENS1_38merge_sort_block_merge_config_selectorIsNS0_10empty_typeEEEZZNS1_27merge_sort_block_merge_implIS3_N6thrust23THRUST_200600_302600_NS6detail15normal_iteratorINS9_10device_ptrIsEEEEPS5_m9comp_mod3IsEEE10hipError_tT0_T1_T2_jT3_P12ihipStream_tbPNSt15iterator_traitsISJ_E10value_typeEPNSP_ISK_E10value_typeEPSL_NS1_7vsmem_tEENKUlT_SJ_SK_SL_E_clIPsSE_SF_SF_EESI_SY_SJ_SK_SL_EUlSY_E_NS1_11comp_targetILNS1_3genE8ELNS1_11target_archE1030ELNS1_3gpuE2ELNS1_3repE0EEENS1_48merge_mergepath_partition_config_static_selectorELNS0_4arch9wavefront6targetE0EEEvSK_,@function
_ZN7rocprim17ROCPRIM_400000_NS6detail17trampoline_kernelINS0_14default_configENS1_38merge_sort_block_merge_config_selectorIsNS0_10empty_typeEEEZZNS1_27merge_sort_block_merge_implIS3_N6thrust23THRUST_200600_302600_NS6detail15normal_iteratorINS9_10device_ptrIsEEEEPS5_m9comp_mod3IsEEE10hipError_tT0_T1_T2_jT3_P12ihipStream_tbPNSt15iterator_traitsISJ_E10value_typeEPNSP_ISK_E10value_typeEPSL_NS1_7vsmem_tEENKUlT_SJ_SK_SL_E_clIPsSE_SF_SF_EESI_SY_SJ_SK_SL_EUlSY_E_NS1_11comp_targetILNS1_3genE8ELNS1_11target_archE1030ELNS1_3gpuE2ELNS1_3repE0EEENS1_48merge_mergepath_partition_config_static_selectorELNS0_4arch9wavefront6targetE0EEEvSK_: ; @_ZN7rocprim17ROCPRIM_400000_NS6detail17trampoline_kernelINS0_14default_configENS1_38merge_sort_block_merge_config_selectorIsNS0_10empty_typeEEEZZNS1_27merge_sort_block_merge_implIS3_N6thrust23THRUST_200600_302600_NS6detail15normal_iteratorINS9_10device_ptrIsEEEEPS5_m9comp_mod3IsEEE10hipError_tT0_T1_T2_jT3_P12ihipStream_tbPNSt15iterator_traitsISJ_E10value_typeEPNSP_ISK_E10value_typeEPSL_NS1_7vsmem_tEENKUlT_SJ_SK_SL_E_clIPsSE_SF_SF_EESI_SY_SJ_SK_SL_EUlSY_E_NS1_11comp_targetILNS1_3genE8ELNS1_11target_archE1030ELNS1_3gpuE2ELNS1_3repE0EEENS1_48merge_mergepath_partition_config_static_selectorELNS0_4arch9wavefront6targetE0EEEvSK_
; %bb.0:
	s_load_dword s0, s[4:5], 0x0
	v_lshl_or_b32 v0, s6, 7, v0
	s_waitcnt lgkmcnt(0)
	v_cmp_gt_u32_e32 vcc_lo, s0, v0
	s_and_saveexec_b32 s0, vcc_lo
	s_cbranch_execz .LBB1053_6
; %bb.1:
	s_load_dwordx8 s[8:15], s[4:5], 0x8
	v_mov_b32_e32 v2, 0
	s_load_dwordx2 s[2:3], s[4:5], 0x28
	v_mov_b32_e32 v11, v2
	s_waitcnt lgkmcnt(0)
	s_lshr_b64 s[0:1], s[8:9], 9
	s_and_b32 s0, s0, -2
	s_sub_i32 s1, 0, s0
	v_and_b32_e32 v1, s1, v0
	s_add_i32 s1, s0, -1
	v_and_b32_e32 v10, s1, v0
	s_mov_b32 s1, 0
	v_lshlrev_b64 v[4:5], 10, v[1:2]
	v_add_co_u32 v6, vcc_lo, v4, s8
	v_add_co_ci_u32_e64 v7, null, s9, v5, vcc_lo
	v_cmp_lt_u64_e32 vcc_lo, s[10:11], v[6:7]
	v_cndmask_b32_e64 v8, v6, s10, vcc_lo
	v_cndmask_b32_e64 v9, v7, s11, vcc_lo
	v_add_co_u32 v6, vcc_lo, v8, s8
	v_add_co_ci_u32_e64 v7, null, s9, v9, vcc_lo
	v_cmp_lt_u64_e32 vcc_lo, s[10:11], v[4:5]
	v_cmp_lt_u64_e64 s0, s[10:11], v[6:7]
	v_cndmask_b32_e64 v2, v4, s10, vcc_lo
	v_cndmask_b32_e64 v3, v5, s11, vcc_lo
	v_lshlrev_b64 v[4:5], 10, v[10:11]
	v_cndmask_b32_e64 v12, v6, s10, s0
	v_cndmask_b32_e64 v1, v7, s11, s0
	v_sub_co_u32 v6, vcc_lo, v12, v2
	v_sub_co_ci_u32_e64 v7, null, v1, v3, vcc_lo
	v_cmp_lt_u64_e32 vcc_lo, v[6:7], v[4:5]
	v_cndmask_b32_e32 v11, v5, v7, vcc_lo
	v_cndmask_b32_e32 v10, v4, v6, vcc_lo
	v_sub_co_u32 v4, vcc_lo, v8, v12
	v_sub_co_ci_u32_e64 v1, null, v9, v1, vcc_lo
	v_add_co_u32 v4, vcc_lo, v10, v4
	v_add_co_ci_u32_e64 v5, null, v11, v1, vcc_lo
	v_sub_co_u32 v6, vcc_lo, v8, v2
	v_sub_co_ci_u32_e64 v7, null, v9, v3, vcc_lo
	v_cmp_gt_u64_e32 vcc_lo, v[4:5], v[10:11]
	v_cmp_lt_u64_e64 s0, v[10:11], v[6:7]
	v_cndmask_b32_e64 v5, v5, 0, vcc_lo
	v_cndmask_b32_e64 v4, v4, 0, vcc_lo
	v_cndmask_b32_e64 v7, v7, v11, s0
	v_cndmask_b32_e64 v6, v6, v10, s0
	s_mov_b32 s0, exec_lo
	v_cmpx_lt_u64_e64 v[4:5], v[6:7]
	s_cbranch_execz .LBB1053_5
; %bb.2:
	v_lshlrev_b64 v[8:9], 1, v[8:9]
	v_lshlrev_b64 v[12:13], 1, v[2:3]
	v_lshlrev_b64 v[10:11], 1, v[10:11]
	v_add_co_u32 v14, vcc_lo, s12, v8
	v_add_co_ci_u32_e64 v15, null, s13, v9, vcc_lo
	v_add_co_u32 v1, vcc_lo, s12, v12
	v_add_co_ci_u32_e64 v8, null, s13, v13, vcc_lo
	v_add_co_u32 v9, vcc_lo, v14, v10
	v_add_co_ci_u32_e64 v10, null, v15, v11, vcc_lo
.LBB1053_3:                             ; =>This Inner Loop Header: Depth=1
	v_add_co_u32 v11, vcc_lo, v6, v4
	v_add_co_ci_u32_e64 v12, null, v7, v5, vcc_lo
	v_and_b32_e32 v13, -2, v11
	v_xor_b32_e32 v16, -1, v12
	v_xor_b32_e32 v15, -2, v13
	v_add_co_u32 v13, vcc_lo, v1, v13
	v_add_co_ci_u32_e64 v14, null, v8, v12, vcc_lo
	v_add_co_u32 v15, vcc_lo, v9, v15
	v_add_co_ci_u32_e64 v16, null, v10, v16, vcc_lo
	v_lshrrev_b64 v[11:12], 1, v[11:12]
	s_clause 0x1
	global_load_ushort v13, v[13:14], off
	global_load_ushort v14, v[15:16], off
	s_waitcnt vmcnt(1)
	v_bfe_i32 v13, v13, 0, 16
	s_waitcnt vmcnt(0)
	v_bfe_i32 v15, v14, 0, 16
	v_ashrrev_i32_e32 v14, 31, v13
	v_ashrrev_i32_e32 v16, 31, v15
	v_lshlrev_b64 v[13:14], 1, v[13:14]
	v_lshlrev_b64 v[15:16], 1, v[15:16]
	v_add_co_u32 v13, vcc_lo, s14, v13
	v_add_co_ci_u32_e64 v14, null, s15, v14, vcc_lo
	v_add_co_u32 v15, vcc_lo, s14, v15
	v_add_co_ci_u32_e64 v16, null, s15, v16, vcc_lo
	s_clause 0x1
	global_load_ushort v15, v[15:16], off
	global_load_ushort v13, v[13:14], off
	v_add_co_u32 v14, vcc_lo, v11, 1
	v_add_co_ci_u32_e64 v16, null, 0, v12, vcc_lo
	s_waitcnt vmcnt(0)
	v_cmp_lt_i16_e32 vcc_lo, v15, v13
	v_cndmask_b32_e32 v7, v7, v12, vcc_lo
	v_cndmask_b32_e32 v6, v6, v11, vcc_lo
	;; [unrolled: 1-line block ×4, first 2 shown]
	v_cmp_ge_u64_e32 vcc_lo, v[4:5], v[6:7]
	s_or_b32 s1, vcc_lo, s1
	s_andn2_b32 exec_lo, exec_lo, s1
	s_cbranch_execnz .LBB1053_3
; %bb.4:
	s_or_b32 exec_lo, exec_lo, s1
.LBB1053_5:
	s_or_b32 exec_lo, exec_lo, s0
	v_mov_b32_e32 v1, 0
	v_add_co_u32 v2, vcc_lo, v4, v2
	v_add_co_ci_u32_e64 v3, null, v5, v3, vcc_lo
	v_lshlrev_b64 v[0:1], 3, v[0:1]
	v_add_co_u32 v0, vcc_lo, s2, v0
	v_add_co_ci_u32_e64 v1, null, s3, v1, vcc_lo
	global_store_dwordx2 v[0:1], v[2:3], off
.LBB1053_6:
	s_endpgm
	.section	.rodata,"a",@progbits
	.p2align	6, 0x0
	.amdhsa_kernel _ZN7rocprim17ROCPRIM_400000_NS6detail17trampoline_kernelINS0_14default_configENS1_38merge_sort_block_merge_config_selectorIsNS0_10empty_typeEEEZZNS1_27merge_sort_block_merge_implIS3_N6thrust23THRUST_200600_302600_NS6detail15normal_iteratorINS9_10device_ptrIsEEEEPS5_m9comp_mod3IsEEE10hipError_tT0_T1_T2_jT3_P12ihipStream_tbPNSt15iterator_traitsISJ_E10value_typeEPNSP_ISK_E10value_typeEPSL_NS1_7vsmem_tEENKUlT_SJ_SK_SL_E_clIPsSE_SF_SF_EESI_SY_SJ_SK_SL_EUlSY_E_NS1_11comp_targetILNS1_3genE8ELNS1_11target_archE1030ELNS1_3gpuE2ELNS1_3repE0EEENS1_48merge_mergepath_partition_config_static_selectorELNS0_4arch9wavefront6targetE0EEEvSK_
		.amdhsa_group_segment_fixed_size 0
		.amdhsa_private_segment_fixed_size 0
		.amdhsa_kernarg_size 48
		.amdhsa_user_sgpr_count 6
		.amdhsa_user_sgpr_private_segment_buffer 1
		.amdhsa_user_sgpr_dispatch_ptr 0
		.amdhsa_user_sgpr_queue_ptr 0
		.amdhsa_user_sgpr_kernarg_segment_ptr 1
		.amdhsa_user_sgpr_dispatch_id 0
		.amdhsa_user_sgpr_flat_scratch_init 0
		.amdhsa_user_sgpr_private_segment_size 0
		.amdhsa_wavefront_size32 1
		.amdhsa_uses_dynamic_stack 0
		.amdhsa_system_sgpr_private_segment_wavefront_offset 0
		.amdhsa_system_sgpr_workgroup_id_x 1
		.amdhsa_system_sgpr_workgroup_id_y 0
		.amdhsa_system_sgpr_workgroup_id_z 0
		.amdhsa_system_sgpr_workgroup_info 0
		.amdhsa_system_vgpr_workitem_id 0
		.amdhsa_next_free_vgpr 17
		.amdhsa_next_free_sgpr 16
		.amdhsa_reserve_vcc 1
		.amdhsa_reserve_flat_scratch 0
		.amdhsa_float_round_mode_32 0
		.amdhsa_float_round_mode_16_64 0
		.amdhsa_float_denorm_mode_32 3
		.amdhsa_float_denorm_mode_16_64 3
		.amdhsa_dx10_clamp 1
		.amdhsa_ieee_mode 1
		.amdhsa_fp16_overflow 0
		.amdhsa_workgroup_processor_mode 1
		.amdhsa_memory_ordered 1
		.amdhsa_forward_progress 1
		.amdhsa_shared_vgpr_count 0
		.amdhsa_exception_fp_ieee_invalid_op 0
		.amdhsa_exception_fp_denorm_src 0
		.amdhsa_exception_fp_ieee_div_zero 0
		.amdhsa_exception_fp_ieee_overflow 0
		.amdhsa_exception_fp_ieee_underflow 0
		.amdhsa_exception_fp_ieee_inexact 0
		.amdhsa_exception_int_div_zero 0
	.end_amdhsa_kernel
	.section	.text._ZN7rocprim17ROCPRIM_400000_NS6detail17trampoline_kernelINS0_14default_configENS1_38merge_sort_block_merge_config_selectorIsNS0_10empty_typeEEEZZNS1_27merge_sort_block_merge_implIS3_N6thrust23THRUST_200600_302600_NS6detail15normal_iteratorINS9_10device_ptrIsEEEEPS5_m9comp_mod3IsEEE10hipError_tT0_T1_T2_jT3_P12ihipStream_tbPNSt15iterator_traitsISJ_E10value_typeEPNSP_ISK_E10value_typeEPSL_NS1_7vsmem_tEENKUlT_SJ_SK_SL_E_clIPsSE_SF_SF_EESI_SY_SJ_SK_SL_EUlSY_E_NS1_11comp_targetILNS1_3genE8ELNS1_11target_archE1030ELNS1_3gpuE2ELNS1_3repE0EEENS1_48merge_mergepath_partition_config_static_selectorELNS0_4arch9wavefront6targetE0EEEvSK_,"axG",@progbits,_ZN7rocprim17ROCPRIM_400000_NS6detail17trampoline_kernelINS0_14default_configENS1_38merge_sort_block_merge_config_selectorIsNS0_10empty_typeEEEZZNS1_27merge_sort_block_merge_implIS3_N6thrust23THRUST_200600_302600_NS6detail15normal_iteratorINS9_10device_ptrIsEEEEPS5_m9comp_mod3IsEEE10hipError_tT0_T1_T2_jT3_P12ihipStream_tbPNSt15iterator_traitsISJ_E10value_typeEPNSP_ISK_E10value_typeEPSL_NS1_7vsmem_tEENKUlT_SJ_SK_SL_E_clIPsSE_SF_SF_EESI_SY_SJ_SK_SL_EUlSY_E_NS1_11comp_targetILNS1_3genE8ELNS1_11target_archE1030ELNS1_3gpuE2ELNS1_3repE0EEENS1_48merge_mergepath_partition_config_static_selectorELNS0_4arch9wavefront6targetE0EEEvSK_,comdat
.Lfunc_end1053:
	.size	_ZN7rocprim17ROCPRIM_400000_NS6detail17trampoline_kernelINS0_14default_configENS1_38merge_sort_block_merge_config_selectorIsNS0_10empty_typeEEEZZNS1_27merge_sort_block_merge_implIS3_N6thrust23THRUST_200600_302600_NS6detail15normal_iteratorINS9_10device_ptrIsEEEEPS5_m9comp_mod3IsEEE10hipError_tT0_T1_T2_jT3_P12ihipStream_tbPNSt15iterator_traitsISJ_E10value_typeEPNSP_ISK_E10value_typeEPSL_NS1_7vsmem_tEENKUlT_SJ_SK_SL_E_clIPsSE_SF_SF_EESI_SY_SJ_SK_SL_EUlSY_E_NS1_11comp_targetILNS1_3genE8ELNS1_11target_archE1030ELNS1_3gpuE2ELNS1_3repE0EEENS1_48merge_mergepath_partition_config_static_selectorELNS0_4arch9wavefront6targetE0EEEvSK_, .Lfunc_end1053-_ZN7rocprim17ROCPRIM_400000_NS6detail17trampoline_kernelINS0_14default_configENS1_38merge_sort_block_merge_config_selectorIsNS0_10empty_typeEEEZZNS1_27merge_sort_block_merge_implIS3_N6thrust23THRUST_200600_302600_NS6detail15normal_iteratorINS9_10device_ptrIsEEEEPS5_m9comp_mod3IsEEE10hipError_tT0_T1_T2_jT3_P12ihipStream_tbPNSt15iterator_traitsISJ_E10value_typeEPNSP_ISK_E10value_typeEPSL_NS1_7vsmem_tEENKUlT_SJ_SK_SL_E_clIPsSE_SF_SF_EESI_SY_SJ_SK_SL_EUlSY_E_NS1_11comp_targetILNS1_3genE8ELNS1_11target_archE1030ELNS1_3gpuE2ELNS1_3repE0EEENS1_48merge_mergepath_partition_config_static_selectorELNS0_4arch9wavefront6targetE0EEEvSK_
                                        ; -- End function
	.set _ZN7rocprim17ROCPRIM_400000_NS6detail17trampoline_kernelINS0_14default_configENS1_38merge_sort_block_merge_config_selectorIsNS0_10empty_typeEEEZZNS1_27merge_sort_block_merge_implIS3_N6thrust23THRUST_200600_302600_NS6detail15normal_iteratorINS9_10device_ptrIsEEEEPS5_m9comp_mod3IsEEE10hipError_tT0_T1_T2_jT3_P12ihipStream_tbPNSt15iterator_traitsISJ_E10value_typeEPNSP_ISK_E10value_typeEPSL_NS1_7vsmem_tEENKUlT_SJ_SK_SL_E_clIPsSE_SF_SF_EESI_SY_SJ_SK_SL_EUlSY_E_NS1_11comp_targetILNS1_3genE8ELNS1_11target_archE1030ELNS1_3gpuE2ELNS1_3repE0EEENS1_48merge_mergepath_partition_config_static_selectorELNS0_4arch9wavefront6targetE0EEEvSK_.num_vgpr, 17
	.set _ZN7rocprim17ROCPRIM_400000_NS6detail17trampoline_kernelINS0_14default_configENS1_38merge_sort_block_merge_config_selectorIsNS0_10empty_typeEEEZZNS1_27merge_sort_block_merge_implIS3_N6thrust23THRUST_200600_302600_NS6detail15normal_iteratorINS9_10device_ptrIsEEEEPS5_m9comp_mod3IsEEE10hipError_tT0_T1_T2_jT3_P12ihipStream_tbPNSt15iterator_traitsISJ_E10value_typeEPNSP_ISK_E10value_typeEPSL_NS1_7vsmem_tEENKUlT_SJ_SK_SL_E_clIPsSE_SF_SF_EESI_SY_SJ_SK_SL_EUlSY_E_NS1_11comp_targetILNS1_3genE8ELNS1_11target_archE1030ELNS1_3gpuE2ELNS1_3repE0EEENS1_48merge_mergepath_partition_config_static_selectorELNS0_4arch9wavefront6targetE0EEEvSK_.num_agpr, 0
	.set _ZN7rocprim17ROCPRIM_400000_NS6detail17trampoline_kernelINS0_14default_configENS1_38merge_sort_block_merge_config_selectorIsNS0_10empty_typeEEEZZNS1_27merge_sort_block_merge_implIS3_N6thrust23THRUST_200600_302600_NS6detail15normal_iteratorINS9_10device_ptrIsEEEEPS5_m9comp_mod3IsEEE10hipError_tT0_T1_T2_jT3_P12ihipStream_tbPNSt15iterator_traitsISJ_E10value_typeEPNSP_ISK_E10value_typeEPSL_NS1_7vsmem_tEENKUlT_SJ_SK_SL_E_clIPsSE_SF_SF_EESI_SY_SJ_SK_SL_EUlSY_E_NS1_11comp_targetILNS1_3genE8ELNS1_11target_archE1030ELNS1_3gpuE2ELNS1_3repE0EEENS1_48merge_mergepath_partition_config_static_selectorELNS0_4arch9wavefront6targetE0EEEvSK_.numbered_sgpr, 16
	.set _ZN7rocprim17ROCPRIM_400000_NS6detail17trampoline_kernelINS0_14default_configENS1_38merge_sort_block_merge_config_selectorIsNS0_10empty_typeEEEZZNS1_27merge_sort_block_merge_implIS3_N6thrust23THRUST_200600_302600_NS6detail15normal_iteratorINS9_10device_ptrIsEEEEPS5_m9comp_mod3IsEEE10hipError_tT0_T1_T2_jT3_P12ihipStream_tbPNSt15iterator_traitsISJ_E10value_typeEPNSP_ISK_E10value_typeEPSL_NS1_7vsmem_tEENKUlT_SJ_SK_SL_E_clIPsSE_SF_SF_EESI_SY_SJ_SK_SL_EUlSY_E_NS1_11comp_targetILNS1_3genE8ELNS1_11target_archE1030ELNS1_3gpuE2ELNS1_3repE0EEENS1_48merge_mergepath_partition_config_static_selectorELNS0_4arch9wavefront6targetE0EEEvSK_.num_named_barrier, 0
	.set _ZN7rocprim17ROCPRIM_400000_NS6detail17trampoline_kernelINS0_14default_configENS1_38merge_sort_block_merge_config_selectorIsNS0_10empty_typeEEEZZNS1_27merge_sort_block_merge_implIS3_N6thrust23THRUST_200600_302600_NS6detail15normal_iteratorINS9_10device_ptrIsEEEEPS5_m9comp_mod3IsEEE10hipError_tT0_T1_T2_jT3_P12ihipStream_tbPNSt15iterator_traitsISJ_E10value_typeEPNSP_ISK_E10value_typeEPSL_NS1_7vsmem_tEENKUlT_SJ_SK_SL_E_clIPsSE_SF_SF_EESI_SY_SJ_SK_SL_EUlSY_E_NS1_11comp_targetILNS1_3genE8ELNS1_11target_archE1030ELNS1_3gpuE2ELNS1_3repE0EEENS1_48merge_mergepath_partition_config_static_selectorELNS0_4arch9wavefront6targetE0EEEvSK_.private_seg_size, 0
	.set _ZN7rocprim17ROCPRIM_400000_NS6detail17trampoline_kernelINS0_14default_configENS1_38merge_sort_block_merge_config_selectorIsNS0_10empty_typeEEEZZNS1_27merge_sort_block_merge_implIS3_N6thrust23THRUST_200600_302600_NS6detail15normal_iteratorINS9_10device_ptrIsEEEEPS5_m9comp_mod3IsEEE10hipError_tT0_T1_T2_jT3_P12ihipStream_tbPNSt15iterator_traitsISJ_E10value_typeEPNSP_ISK_E10value_typeEPSL_NS1_7vsmem_tEENKUlT_SJ_SK_SL_E_clIPsSE_SF_SF_EESI_SY_SJ_SK_SL_EUlSY_E_NS1_11comp_targetILNS1_3genE8ELNS1_11target_archE1030ELNS1_3gpuE2ELNS1_3repE0EEENS1_48merge_mergepath_partition_config_static_selectorELNS0_4arch9wavefront6targetE0EEEvSK_.uses_vcc, 1
	.set _ZN7rocprim17ROCPRIM_400000_NS6detail17trampoline_kernelINS0_14default_configENS1_38merge_sort_block_merge_config_selectorIsNS0_10empty_typeEEEZZNS1_27merge_sort_block_merge_implIS3_N6thrust23THRUST_200600_302600_NS6detail15normal_iteratorINS9_10device_ptrIsEEEEPS5_m9comp_mod3IsEEE10hipError_tT0_T1_T2_jT3_P12ihipStream_tbPNSt15iterator_traitsISJ_E10value_typeEPNSP_ISK_E10value_typeEPSL_NS1_7vsmem_tEENKUlT_SJ_SK_SL_E_clIPsSE_SF_SF_EESI_SY_SJ_SK_SL_EUlSY_E_NS1_11comp_targetILNS1_3genE8ELNS1_11target_archE1030ELNS1_3gpuE2ELNS1_3repE0EEENS1_48merge_mergepath_partition_config_static_selectorELNS0_4arch9wavefront6targetE0EEEvSK_.uses_flat_scratch, 0
	.set _ZN7rocprim17ROCPRIM_400000_NS6detail17trampoline_kernelINS0_14default_configENS1_38merge_sort_block_merge_config_selectorIsNS0_10empty_typeEEEZZNS1_27merge_sort_block_merge_implIS3_N6thrust23THRUST_200600_302600_NS6detail15normal_iteratorINS9_10device_ptrIsEEEEPS5_m9comp_mod3IsEEE10hipError_tT0_T1_T2_jT3_P12ihipStream_tbPNSt15iterator_traitsISJ_E10value_typeEPNSP_ISK_E10value_typeEPSL_NS1_7vsmem_tEENKUlT_SJ_SK_SL_E_clIPsSE_SF_SF_EESI_SY_SJ_SK_SL_EUlSY_E_NS1_11comp_targetILNS1_3genE8ELNS1_11target_archE1030ELNS1_3gpuE2ELNS1_3repE0EEENS1_48merge_mergepath_partition_config_static_selectorELNS0_4arch9wavefront6targetE0EEEvSK_.has_dyn_sized_stack, 0
	.set _ZN7rocprim17ROCPRIM_400000_NS6detail17trampoline_kernelINS0_14default_configENS1_38merge_sort_block_merge_config_selectorIsNS0_10empty_typeEEEZZNS1_27merge_sort_block_merge_implIS3_N6thrust23THRUST_200600_302600_NS6detail15normal_iteratorINS9_10device_ptrIsEEEEPS5_m9comp_mod3IsEEE10hipError_tT0_T1_T2_jT3_P12ihipStream_tbPNSt15iterator_traitsISJ_E10value_typeEPNSP_ISK_E10value_typeEPSL_NS1_7vsmem_tEENKUlT_SJ_SK_SL_E_clIPsSE_SF_SF_EESI_SY_SJ_SK_SL_EUlSY_E_NS1_11comp_targetILNS1_3genE8ELNS1_11target_archE1030ELNS1_3gpuE2ELNS1_3repE0EEENS1_48merge_mergepath_partition_config_static_selectorELNS0_4arch9wavefront6targetE0EEEvSK_.has_recursion, 0
	.set _ZN7rocprim17ROCPRIM_400000_NS6detail17trampoline_kernelINS0_14default_configENS1_38merge_sort_block_merge_config_selectorIsNS0_10empty_typeEEEZZNS1_27merge_sort_block_merge_implIS3_N6thrust23THRUST_200600_302600_NS6detail15normal_iteratorINS9_10device_ptrIsEEEEPS5_m9comp_mod3IsEEE10hipError_tT0_T1_T2_jT3_P12ihipStream_tbPNSt15iterator_traitsISJ_E10value_typeEPNSP_ISK_E10value_typeEPSL_NS1_7vsmem_tEENKUlT_SJ_SK_SL_E_clIPsSE_SF_SF_EESI_SY_SJ_SK_SL_EUlSY_E_NS1_11comp_targetILNS1_3genE8ELNS1_11target_archE1030ELNS1_3gpuE2ELNS1_3repE0EEENS1_48merge_mergepath_partition_config_static_selectorELNS0_4arch9wavefront6targetE0EEEvSK_.has_indirect_call, 0
	.section	.AMDGPU.csdata,"",@progbits
; Kernel info:
; codeLenInByte = 716
; TotalNumSgprs: 18
; NumVgprs: 17
; ScratchSize: 0
; MemoryBound: 0
; FloatMode: 240
; IeeeMode: 1
; LDSByteSize: 0 bytes/workgroup (compile time only)
; SGPRBlocks: 0
; VGPRBlocks: 2
; NumSGPRsForWavesPerEU: 18
; NumVGPRsForWavesPerEU: 17
; Occupancy: 16
; WaveLimiterHint : 1
; COMPUTE_PGM_RSRC2:SCRATCH_EN: 0
; COMPUTE_PGM_RSRC2:USER_SGPR: 6
; COMPUTE_PGM_RSRC2:TRAP_HANDLER: 0
; COMPUTE_PGM_RSRC2:TGID_X_EN: 1
; COMPUTE_PGM_RSRC2:TGID_Y_EN: 0
; COMPUTE_PGM_RSRC2:TGID_Z_EN: 0
; COMPUTE_PGM_RSRC2:TIDIG_COMP_CNT: 0
	.section	.text._ZN7rocprim17ROCPRIM_400000_NS6detail17trampoline_kernelINS0_14default_configENS1_38merge_sort_block_merge_config_selectorIsNS0_10empty_typeEEEZZNS1_27merge_sort_block_merge_implIS3_N6thrust23THRUST_200600_302600_NS6detail15normal_iteratorINS9_10device_ptrIsEEEEPS5_m9comp_mod3IsEEE10hipError_tT0_T1_T2_jT3_P12ihipStream_tbPNSt15iterator_traitsISJ_E10value_typeEPNSP_ISK_E10value_typeEPSL_NS1_7vsmem_tEENKUlT_SJ_SK_SL_E_clIPsSE_SF_SF_EESI_SY_SJ_SK_SL_EUlSY_E0_NS1_11comp_targetILNS1_3genE0ELNS1_11target_archE4294967295ELNS1_3gpuE0ELNS1_3repE0EEENS1_38merge_mergepath_config_static_selectorELNS0_4arch9wavefront6targetE0EEEvSK_,"axG",@progbits,_ZN7rocprim17ROCPRIM_400000_NS6detail17trampoline_kernelINS0_14default_configENS1_38merge_sort_block_merge_config_selectorIsNS0_10empty_typeEEEZZNS1_27merge_sort_block_merge_implIS3_N6thrust23THRUST_200600_302600_NS6detail15normal_iteratorINS9_10device_ptrIsEEEEPS5_m9comp_mod3IsEEE10hipError_tT0_T1_T2_jT3_P12ihipStream_tbPNSt15iterator_traitsISJ_E10value_typeEPNSP_ISK_E10value_typeEPSL_NS1_7vsmem_tEENKUlT_SJ_SK_SL_E_clIPsSE_SF_SF_EESI_SY_SJ_SK_SL_EUlSY_E0_NS1_11comp_targetILNS1_3genE0ELNS1_11target_archE4294967295ELNS1_3gpuE0ELNS1_3repE0EEENS1_38merge_mergepath_config_static_selectorELNS0_4arch9wavefront6targetE0EEEvSK_,comdat
	.protected	_ZN7rocprim17ROCPRIM_400000_NS6detail17trampoline_kernelINS0_14default_configENS1_38merge_sort_block_merge_config_selectorIsNS0_10empty_typeEEEZZNS1_27merge_sort_block_merge_implIS3_N6thrust23THRUST_200600_302600_NS6detail15normal_iteratorINS9_10device_ptrIsEEEEPS5_m9comp_mod3IsEEE10hipError_tT0_T1_T2_jT3_P12ihipStream_tbPNSt15iterator_traitsISJ_E10value_typeEPNSP_ISK_E10value_typeEPSL_NS1_7vsmem_tEENKUlT_SJ_SK_SL_E_clIPsSE_SF_SF_EESI_SY_SJ_SK_SL_EUlSY_E0_NS1_11comp_targetILNS1_3genE0ELNS1_11target_archE4294967295ELNS1_3gpuE0ELNS1_3repE0EEENS1_38merge_mergepath_config_static_selectorELNS0_4arch9wavefront6targetE0EEEvSK_ ; -- Begin function _ZN7rocprim17ROCPRIM_400000_NS6detail17trampoline_kernelINS0_14default_configENS1_38merge_sort_block_merge_config_selectorIsNS0_10empty_typeEEEZZNS1_27merge_sort_block_merge_implIS3_N6thrust23THRUST_200600_302600_NS6detail15normal_iteratorINS9_10device_ptrIsEEEEPS5_m9comp_mod3IsEEE10hipError_tT0_T1_T2_jT3_P12ihipStream_tbPNSt15iterator_traitsISJ_E10value_typeEPNSP_ISK_E10value_typeEPSL_NS1_7vsmem_tEENKUlT_SJ_SK_SL_E_clIPsSE_SF_SF_EESI_SY_SJ_SK_SL_EUlSY_E0_NS1_11comp_targetILNS1_3genE0ELNS1_11target_archE4294967295ELNS1_3gpuE0ELNS1_3repE0EEENS1_38merge_mergepath_config_static_selectorELNS0_4arch9wavefront6targetE0EEEvSK_
	.globl	_ZN7rocprim17ROCPRIM_400000_NS6detail17trampoline_kernelINS0_14default_configENS1_38merge_sort_block_merge_config_selectorIsNS0_10empty_typeEEEZZNS1_27merge_sort_block_merge_implIS3_N6thrust23THRUST_200600_302600_NS6detail15normal_iteratorINS9_10device_ptrIsEEEEPS5_m9comp_mod3IsEEE10hipError_tT0_T1_T2_jT3_P12ihipStream_tbPNSt15iterator_traitsISJ_E10value_typeEPNSP_ISK_E10value_typeEPSL_NS1_7vsmem_tEENKUlT_SJ_SK_SL_E_clIPsSE_SF_SF_EESI_SY_SJ_SK_SL_EUlSY_E0_NS1_11comp_targetILNS1_3genE0ELNS1_11target_archE4294967295ELNS1_3gpuE0ELNS1_3repE0EEENS1_38merge_mergepath_config_static_selectorELNS0_4arch9wavefront6targetE0EEEvSK_
	.p2align	8
	.type	_ZN7rocprim17ROCPRIM_400000_NS6detail17trampoline_kernelINS0_14default_configENS1_38merge_sort_block_merge_config_selectorIsNS0_10empty_typeEEEZZNS1_27merge_sort_block_merge_implIS3_N6thrust23THRUST_200600_302600_NS6detail15normal_iteratorINS9_10device_ptrIsEEEEPS5_m9comp_mod3IsEEE10hipError_tT0_T1_T2_jT3_P12ihipStream_tbPNSt15iterator_traitsISJ_E10value_typeEPNSP_ISK_E10value_typeEPSL_NS1_7vsmem_tEENKUlT_SJ_SK_SL_E_clIPsSE_SF_SF_EESI_SY_SJ_SK_SL_EUlSY_E0_NS1_11comp_targetILNS1_3genE0ELNS1_11target_archE4294967295ELNS1_3gpuE0ELNS1_3repE0EEENS1_38merge_mergepath_config_static_selectorELNS0_4arch9wavefront6targetE0EEEvSK_,@function
_ZN7rocprim17ROCPRIM_400000_NS6detail17trampoline_kernelINS0_14default_configENS1_38merge_sort_block_merge_config_selectorIsNS0_10empty_typeEEEZZNS1_27merge_sort_block_merge_implIS3_N6thrust23THRUST_200600_302600_NS6detail15normal_iteratorINS9_10device_ptrIsEEEEPS5_m9comp_mod3IsEEE10hipError_tT0_T1_T2_jT3_P12ihipStream_tbPNSt15iterator_traitsISJ_E10value_typeEPNSP_ISK_E10value_typeEPSL_NS1_7vsmem_tEENKUlT_SJ_SK_SL_E_clIPsSE_SF_SF_EESI_SY_SJ_SK_SL_EUlSY_E0_NS1_11comp_targetILNS1_3genE0ELNS1_11target_archE4294967295ELNS1_3gpuE0ELNS1_3repE0EEENS1_38merge_mergepath_config_static_selectorELNS0_4arch9wavefront6targetE0EEEvSK_: ; @_ZN7rocprim17ROCPRIM_400000_NS6detail17trampoline_kernelINS0_14default_configENS1_38merge_sort_block_merge_config_selectorIsNS0_10empty_typeEEEZZNS1_27merge_sort_block_merge_implIS3_N6thrust23THRUST_200600_302600_NS6detail15normal_iteratorINS9_10device_ptrIsEEEEPS5_m9comp_mod3IsEEE10hipError_tT0_T1_T2_jT3_P12ihipStream_tbPNSt15iterator_traitsISJ_E10value_typeEPNSP_ISK_E10value_typeEPSL_NS1_7vsmem_tEENKUlT_SJ_SK_SL_E_clIPsSE_SF_SF_EESI_SY_SJ_SK_SL_EUlSY_E0_NS1_11comp_targetILNS1_3genE0ELNS1_11target_archE4294967295ELNS1_3gpuE0ELNS1_3repE0EEENS1_38merge_mergepath_config_static_selectorELNS0_4arch9wavefront6targetE0EEEvSK_
; %bb.0:
	.section	.rodata,"a",@progbits
	.p2align	6, 0x0
	.amdhsa_kernel _ZN7rocprim17ROCPRIM_400000_NS6detail17trampoline_kernelINS0_14default_configENS1_38merge_sort_block_merge_config_selectorIsNS0_10empty_typeEEEZZNS1_27merge_sort_block_merge_implIS3_N6thrust23THRUST_200600_302600_NS6detail15normal_iteratorINS9_10device_ptrIsEEEEPS5_m9comp_mod3IsEEE10hipError_tT0_T1_T2_jT3_P12ihipStream_tbPNSt15iterator_traitsISJ_E10value_typeEPNSP_ISK_E10value_typeEPSL_NS1_7vsmem_tEENKUlT_SJ_SK_SL_E_clIPsSE_SF_SF_EESI_SY_SJ_SK_SL_EUlSY_E0_NS1_11comp_targetILNS1_3genE0ELNS1_11target_archE4294967295ELNS1_3gpuE0ELNS1_3repE0EEENS1_38merge_mergepath_config_static_selectorELNS0_4arch9wavefront6targetE0EEEvSK_
		.amdhsa_group_segment_fixed_size 0
		.amdhsa_private_segment_fixed_size 0
		.amdhsa_kernarg_size 80
		.amdhsa_user_sgpr_count 6
		.amdhsa_user_sgpr_private_segment_buffer 1
		.amdhsa_user_sgpr_dispatch_ptr 0
		.amdhsa_user_sgpr_queue_ptr 0
		.amdhsa_user_sgpr_kernarg_segment_ptr 1
		.amdhsa_user_sgpr_dispatch_id 0
		.amdhsa_user_sgpr_flat_scratch_init 0
		.amdhsa_user_sgpr_private_segment_size 0
		.amdhsa_wavefront_size32 1
		.amdhsa_uses_dynamic_stack 0
		.amdhsa_system_sgpr_private_segment_wavefront_offset 0
		.amdhsa_system_sgpr_workgroup_id_x 1
		.amdhsa_system_sgpr_workgroup_id_y 0
		.amdhsa_system_sgpr_workgroup_id_z 0
		.amdhsa_system_sgpr_workgroup_info 0
		.amdhsa_system_vgpr_workitem_id 0
		.amdhsa_next_free_vgpr 1
		.amdhsa_next_free_sgpr 1
		.amdhsa_reserve_vcc 0
		.amdhsa_reserve_flat_scratch 0
		.amdhsa_float_round_mode_32 0
		.amdhsa_float_round_mode_16_64 0
		.amdhsa_float_denorm_mode_32 3
		.amdhsa_float_denorm_mode_16_64 3
		.amdhsa_dx10_clamp 1
		.amdhsa_ieee_mode 1
		.amdhsa_fp16_overflow 0
		.amdhsa_workgroup_processor_mode 1
		.amdhsa_memory_ordered 1
		.amdhsa_forward_progress 1
		.amdhsa_shared_vgpr_count 0
		.amdhsa_exception_fp_ieee_invalid_op 0
		.amdhsa_exception_fp_denorm_src 0
		.amdhsa_exception_fp_ieee_div_zero 0
		.amdhsa_exception_fp_ieee_overflow 0
		.amdhsa_exception_fp_ieee_underflow 0
		.amdhsa_exception_fp_ieee_inexact 0
		.amdhsa_exception_int_div_zero 0
	.end_amdhsa_kernel
	.section	.text._ZN7rocprim17ROCPRIM_400000_NS6detail17trampoline_kernelINS0_14default_configENS1_38merge_sort_block_merge_config_selectorIsNS0_10empty_typeEEEZZNS1_27merge_sort_block_merge_implIS3_N6thrust23THRUST_200600_302600_NS6detail15normal_iteratorINS9_10device_ptrIsEEEEPS5_m9comp_mod3IsEEE10hipError_tT0_T1_T2_jT3_P12ihipStream_tbPNSt15iterator_traitsISJ_E10value_typeEPNSP_ISK_E10value_typeEPSL_NS1_7vsmem_tEENKUlT_SJ_SK_SL_E_clIPsSE_SF_SF_EESI_SY_SJ_SK_SL_EUlSY_E0_NS1_11comp_targetILNS1_3genE0ELNS1_11target_archE4294967295ELNS1_3gpuE0ELNS1_3repE0EEENS1_38merge_mergepath_config_static_selectorELNS0_4arch9wavefront6targetE0EEEvSK_,"axG",@progbits,_ZN7rocprim17ROCPRIM_400000_NS6detail17trampoline_kernelINS0_14default_configENS1_38merge_sort_block_merge_config_selectorIsNS0_10empty_typeEEEZZNS1_27merge_sort_block_merge_implIS3_N6thrust23THRUST_200600_302600_NS6detail15normal_iteratorINS9_10device_ptrIsEEEEPS5_m9comp_mod3IsEEE10hipError_tT0_T1_T2_jT3_P12ihipStream_tbPNSt15iterator_traitsISJ_E10value_typeEPNSP_ISK_E10value_typeEPSL_NS1_7vsmem_tEENKUlT_SJ_SK_SL_E_clIPsSE_SF_SF_EESI_SY_SJ_SK_SL_EUlSY_E0_NS1_11comp_targetILNS1_3genE0ELNS1_11target_archE4294967295ELNS1_3gpuE0ELNS1_3repE0EEENS1_38merge_mergepath_config_static_selectorELNS0_4arch9wavefront6targetE0EEEvSK_,comdat
.Lfunc_end1054:
	.size	_ZN7rocprim17ROCPRIM_400000_NS6detail17trampoline_kernelINS0_14default_configENS1_38merge_sort_block_merge_config_selectorIsNS0_10empty_typeEEEZZNS1_27merge_sort_block_merge_implIS3_N6thrust23THRUST_200600_302600_NS6detail15normal_iteratorINS9_10device_ptrIsEEEEPS5_m9comp_mod3IsEEE10hipError_tT0_T1_T2_jT3_P12ihipStream_tbPNSt15iterator_traitsISJ_E10value_typeEPNSP_ISK_E10value_typeEPSL_NS1_7vsmem_tEENKUlT_SJ_SK_SL_E_clIPsSE_SF_SF_EESI_SY_SJ_SK_SL_EUlSY_E0_NS1_11comp_targetILNS1_3genE0ELNS1_11target_archE4294967295ELNS1_3gpuE0ELNS1_3repE0EEENS1_38merge_mergepath_config_static_selectorELNS0_4arch9wavefront6targetE0EEEvSK_, .Lfunc_end1054-_ZN7rocprim17ROCPRIM_400000_NS6detail17trampoline_kernelINS0_14default_configENS1_38merge_sort_block_merge_config_selectorIsNS0_10empty_typeEEEZZNS1_27merge_sort_block_merge_implIS3_N6thrust23THRUST_200600_302600_NS6detail15normal_iteratorINS9_10device_ptrIsEEEEPS5_m9comp_mod3IsEEE10hipError_tT0_T1_T2_jT3_P12ihipStream_tbPNSt15iterator_traitsISJ_E10value_typeEPNSP_ISK_E10value_typeEPSL_NS1_7vsmem_tEENKUlT_SJ_SK_SL_E_clIPsSE_SF_SF_EESI_SY_SJ_SK_SL_EUlSY_E0_NS1_11comp_targetILNS1_3genE0ELNS1_11target_archE4294967295ELNS1_3gpuE0ELNS1_3repE0EEENS1_38merge_mergepath_config_static_selectorELNS0_4arch9wavefront6targetE0EEEvSK_
                                        ; -- End function
	.set _ZN7rocprim17ROCPRIM_400000_NS6detail17trampoline_kernelINS0_14default_configENS1_38merge_sort_block_merge_config_selectorIsNS0_10empty_typeEEEZZNS1_27merge_sort_block_merge_implIS3_N6thrust23THRUST_200600_302600_NS6detail15normal_iteratorINS9_10device_ptrIsEEEEPS5_m9comp_mod3IsEEE10hipError_tT0_T1_T2_jT3_P12ihipStream_tbPNSt15iterator_traitsISJ_E10value_typeEPNSP_ISK_E10value_typeEPSL_NS1_7vsmem_tEENKUlT_SJ_SK_SL_E_clIPsSE_SF_SF_EESI_SY_SJ_SK_SL_EUlSY_E0_NS1_11comp_targetILNS1_3genE0ELNS1_11target_archE4294967295ELNS1_3gpuE0ELNS1_3repE0EEENS1_38merge_mergepath_config_static_selectorELNS0_4arch9wavefront6targetE0EEEvSK_.num_vgpr, 0
	.set _ZN7rocprim17ROCPRIM_400000_NS6detail17trampoline_kernelINS0_14default_configENS1_38merge_sort_block_merge_config_selectorIsNS0_10empty_typeEEEZZNS1_27merge_sort_block_merge_implIS3_N6thrust23THRUST_200600_302600_NS6detail15normal_iteratorINS9_10device_ptrIsEEEEPS5_m9comp_mod3IsEEE10hipError_tT0_T1_T2_jT3_P12ihipStream_tbPNSt15iterator_traitsISJ_E10value_typeEPNSP_ISK_E10value_typeEPSL_NS1_7vsmem_tEENKUlT_SJ_SK_SL_E_clIPsSE_SF_SF_EESI_SY_SJ_SK_SL_EUlSY_E0_NS1_11comp_targetILNS1_3genE0ELNS1_11target_archE4294967295ELNS1_3gpuE0ELNS1_3repE0EEENS1_38merge_mergepath_config_static_selectorELNS0_4arch9wavefront6targetE0EEEvSK_.num_agpr, 0
	.set _ZN7rocprim17ROCPRIM_400000_NS6detail17trampoline_kernelINS0_14default_configENS1_38merge_sort_block_merge_config_selectorIsNS0_10empty_typeEEEZZNS1_27merge_sort_block_merge_implIS3_N6thrust23THRUST_200600_302600_NS6detail15normal_iteratorINS9_10device_ptrIsEEEEPS5_m9comp_mod3IsEEE10hipError_tT0_T1_T2_jT3_P12ihipStream_tbPNSt15iterator_traitsISJ_E10value_typeEPNSP_ISK_E10value_typeEPSL_NS1_7vsmem_tEENKUlT_SJ_SK_SL_E_clIPsSE_SF_SF_EESI_SY_SJ_SK_SL_EUlSY_E0_NS1_11comp_targetILNS1_3genE0ELNS1_11target_archE4294967295ELNS1_3gpuE0ELNS1_3repE0EEENS1_38merge_mergepath_config_static_selectorELNS0_4arch9wavefront6targetE0EEEvSK_.numbered_sgpr, 0
	.set _ZN7rocprim17ROCPRIM_400000_NS6detail17trampoline_kernelINS0_14default_configENS1_38merge_sort_block_merge_config_selectorIsNS0_10empty_typeEEEZZNS1_27merge_sort_block_merge_implIS3_N6thrust23THRUST_200600_302600_NS6detail15normal_iteratorINS9_10device_ptrIsEEEEPS5_m9comp_mod3IsEEE10hipError_tT0_T1_T2_jT3_P12ihipStream_tbPNSt15iterator_traitsISJ_E10value_typeEPNSP_ISK_E10value_typeEPSL_NS1_7vsmem_tEENKUlT_SJ_SK_SL_E_clIPsSE_SF_SF_EESI_SY_SJ_SK_SL_EUlSY_E0_NS1_11comp_targetILNS1_3genE0ELNS1_11target_archE4294967295ELNS1_3gpuE0ELNS1_3repE0EEENS1_38merge_mergepath_config_static_selectorELNS0_4arch9wavefront6targetE0EEEvSK_.num_named_barrier, 0
	.set _ZN7rocprim17ROCPRIM_400000_NS6detail17trampoline_kernelINS0_14default_configENS1_38merge_sort_block_merge_config_selectorIsNS0_10empty_typeEEEZZNS1_27merge_sort_block_merge_implIS3_N6thrust23THRUST_200600_302600_NS6detail15normal_iteratorINS9_10device_ptrIsEEEEPS5_m9comp_mod3IsEEE10hipError_tT0_T1_T2_jT3_P12ihipStream_tbPNSt15iterator_traitsISJ_E10value_typeEPNSP_ISK_E10value_typeEPSL_NS1_7vsmem_tEENKUlT_SJ_SK_SL_E_clIPsSE_SF_SF_EESI_SY_SJ_SK_SL_EUlSY_E0_NS1_11comp_targetILNS1_3genE0ELNS1_11target_archE4294967295ELNS1_3gpuE0ELNS1_3repE0EEENS1_38merge_mergepath_config_static_selectorELNS0_4arch9wavefront6targetE0EEEvSK_.private_seg_size, 0
	.set _ZN7rocprim17ROCPRIM_400000_NS6detail17trampoline_kernelINS0_14default_configENS1_38merge_sort_block_merge_config_selectorIsNS0_10empty_typeEEEZZNS1_27merge_sort_block_merge_implIS3_N6thrust23THRUST_200600_302600_NS6detail15normal_iteratorINS9_10device_ptrIsEEEEPS5_m9comp_mod3IsEEE10hipError_tT0_T1_T2_jT3_P12ihipStream_tbPNSt15iterator_traitsISJ_E10value_typeEPNSP_ISK_E10value_typeEPSL_NS1_7vsmem_tEENKUlT_SJ_SK_SL_E_clIPsSE_SF_SF_EESI_SY_SJ_SK_SL_EUlSY_E0_NS1_11comp_targetILNS1_3genE0ELNS1_11target_archE4294967295ELNS1_3gpuE0ELNS1_3repE0EEENS1_38merge_mergepath_config_static_selectorELNS0_4arch9wavefront6targetE0EEEvSK_.uses_vcc, 0
	.set _ZN7rocprim17ROCPRIM_400000_NS6detail17trampoline_kernelINS0_14default_configENS1_38merge_sort_block_merge_config_selectorIsNS0_10empty_typeEEEZZNS1_27merge_sort_block_merge_implIS3_N6thrust23THRUST_200600_302600_NS6detail15normal_iteratorINS9_10device_ptrIsEEEEPS5_m9comp_mod3IsEEE10hipError_tT0_T1_T2_jT3_P12ihipStream_tbPNSt15iterator_traitsISJ_E10value_typeEPNSP_ISK_E10value_typeEPSL_NS1_7vsmem_tEENKUlT_SJ_SK_SL_E_clIPsSE_SF_SF_EESI_SY_SJ_SK_SL_EUlSY_E0_NS1_11comp_targetILNS1_3genE0ELNS1_11target_archE4294967295ELNS1_3gpuE0ELNS1_3repE0EEENS1_38merge_mergepath_config_static_selectorELNS0_4arch9wavefront6targetE0EEEvSK_.uses_flat_scratch, 0
	.set _ZN7rocprim17ROCPRIM_400000_NS6detail17trampoline_kernelINS0_14default_configENS1_38merge_sort_block_merge_config_selectorIsNS0_10empty_typeEEEZZNS1_27merge_sort_block_merge_implIS3_N6thrust23THRUST_200600_302600_NS6detail15normal_iteratorINS9_10device_ptrIsEEEEPS5_m9comp_mod3IsEEE10hipError_tT0_T1_T2_jT3_P12ihipStream_tbPNSt15iterator_traitsISJ_E10value_typeEPNSP_ISK_E10value_typeEPSL_NS1_7vsmem_tEENKUlT_SJ_SK_SL_E_clIPsSE_SF_SF_EESI_SY_SJ_SK_SL_EUlSY_E0_NS1_11comp_targetILNS1_3genE0ELNS1_11target_archE4294967295ELNS1_3gpuE0ELNS1_3repE0EEENS1_38merge_mergepath_config_static_selectorELNS0_4arch9wavefront6targetE0EEEvSK_.has_dyn_sized_stack, 0
	.set _ZN7rocprim17ROCPRIM_400000_NS6detail17trampoline_kernelINS0_14default_configENS1_38merge_sort_block_merge_config_selectorIsNS0_10empty_typeEEEZZNS1_27merge_sort_block_merge_implIS3_N6thrust23THRUST_200600_302600_NS6detail15normal_iteratorINS9_10device_ptrIsEEEEPS5_m9comp_mod3IsEEE10hipError_tT0_T1_T2_jT3_P12ihipStream_tbPNSt15iterator_traitsISJ_E10value_typeEPNSP_ISK_E10value_typeEPSL_NS1_7vsmem_tEENKUlT_SJ_SK_SL_E_clIPsSE_SF_SF_EESI_SY_SJ_SK_SL_EUlSY_E0_NS1_11comp_targetILNS1_3genE0ELNS1_11target_archE4294967295ELNS1_3gpuE0ELNS1_3repE0EEENS1_38merge_mergepath_config_static_selectorELNS0_4arch9wavefront6targetE0EEEvSK_.has_recursion, 0
	.set _ZN7rocprim17ROCPRIM_400000_NS6detail17trampoline_kernelINS0_14default_configENS1_38merge_sort_block_merge_config_selectorIsNS0_10empty_typeEEEZZNS1_27merge_sort_block_merge_implIS3_N6thrust23THRUST_200600_302600_NS6detail15normal_iteratorINS9_10device_ptrIsEEEEPS5_m9comp_mod3IsEEE10hipError_tT0_T1_T2_jT3_P12ihipStream_tbPNSt15iterator_traitsISJ_E10value_typeEPNSP_ISK_E10value_typeEPSL_NS1_7vsmem_tEENKUlT_SJ_SK_SL_E_clIPsSE_SF_SF_EESI_SY_SJ_SK_SL_EUlSY_E0_NS1_11comp_targetILNS1_3genE0ELNS1_11target_archE4294967295ELNS1_3gpuE0ELNS1_3repE0EEENS1_38merge_mergepath_config_static_selectorELNS0_4arch9wavefront6targetE0EEEvSK_.has_indirect_call, 0
	.section	.AMDGPU.csdata,"",@progbits
; Kernel info:
; codeLenInByte = 0
; TotalNumSgprs: 0
; NumVgprs: 0
; ScratchSize: 0
; MemoryBound: 0
; FloatMode: 240
; IeeeMode: 1
; LDSByteSize: 0 bytes/workgroup (compile time only)
; SGPRBlocks: 0
; VGPRBlocks: 0
; NumSGPRsForWavesPerEU: 1
; NumVGPRsForWavesPerEU: 1
; Occupancy: 16
; WaveLimiterHint : 0
; COMPUTE_PGM_RSRC2:SCRATCH_EN: 0
; COMPUTE_PGM_RSRC2:USER_SGPR: 6
; COMPUTE_PGM_RSRC2:TRAP_HANDLER: 0
; COMPUTE_PGM_RSRC2:TGID_X_EN: 1
; COMPUTE_PGM_RSRC2:TGID_Y_EN: 0
; COMPUTE_PGM_RSRC2:TGID_Z_EN: 0
; COMPUTE_PGM_RSRC2:TIDIG_COMP_CNT: 0
	.section	.text._ZN7rocprim17ROCPRIM_400000_NS6detail17trampoline_kernelINS0_14default_configENS1_38merge_sort_block_merge_config_selectorIsNS0_10empty_typeEEEZZNS1_27merge_sort_block_merge_implIS3_N6thrust23THRUST_200600_302600_NS6detail15normal_iteratorINS9_10device_ptrIsEEEEPS5_m9comp_mod3IsEEE10hipError_tT0_T1_T2_jT3_P12ihipStream_tbPNSt15iterator_traitsISJ_E10value_typeEPNSP_ISK_E10value_typeEPSL_NS1_7vsmem_tEENKUlT_SJ_SK_SL_E_clIPsSE_SF_SF_EESI_SY_SJ_SK_SL_EUlSY_E0_NS1_11comp_targetILNS1_3genE10ELNS1_11target_archE1201ELNS1_3gpuE5ELNS1_3repE0EEENS1_38merge_mergepath_config_static_selectorELNS0_4arch9wavefront6targetE0EEEvSK_,"axG",@progbits,_ZN7rocprim17ROCPRIM_400000_NS6detail17trampoline_kernelINS0_14default_configENS1_38merge_sort_block_merge_config_selectorIsNS0_10empty_typeEEEZZNS1_27merge_sort_block_merge_implIS3_N6thrust23THRUST_200600_302600_NS6detail15normal_iteratorINS9_10device_ptrIsEEEEPS5_m9comp_mod3IsEEE10hipError_tT0_T1_T2_jT3_P12ihipStream_tbPNSt15iterator_traitsISJ_E10value_typeEPNSP_ISK_E10value_typeEPSL_NS1_7vsmem_tEENKUlT_SJ_SK_SL_E_clIPsSE_SF_SF_EESI_SY_SJ_SK_SL_EUlSY_E0_NS1_11comp_targetILNS1_3genE10ELNS1_11target_archE1201ELNS1_3gpuE5ELNS1_3repE0EEENS1_38merge_mergepath_config_static_selectorELNS0_4arch9wavefront6targetE0EEEvSK_,comdat
	.protected	_ZN7rocprim17ROCPRIM_400000_NS6detail17trampoline_kernelINS0_14default_configENS1_38merge_sort_block_merge_config_selectorIsNS0_10empty_typeEEEZZNS1_27merge_sort_block_merge_implIS3_N6thrust23THRUST_200600_302600_NS6detail15normal_iteratorINS9_10device_ptrIsEEEEPS5_m9comp_mod3IsEEE10hipError_tT0_T1_T2_jT3_P12ihipStream_tbPNSt15iterator_traitsISJ_E10value_typeEPNSP_ISK_E10value_typeEPSL_NS1_7vsmem_tEENKUlT_SJ_SK_SL_E_clIPsSE_SF_SF_EESI_SY_SJ_SK_SL_EUlSY_E0_NS1_11comp_targetILNS1_3genE10ELNS1_11target_archE1201ELNS1_3gpuE5ELNS1_3repE0EEENS1_38merge_mergepath_config_static_selectorELNS0_4arch9wavefront6targetE0EEEvSK_ ; -- Begin function _ZN7rocprim17ROCPRIM_400000_NS6detail17trampoline_kernelINS0_14default_configENS1_38merge_sort_block_merge_config_selectorIsNS0_10empty_typeEEEZZNS1_27merge_sort_block_merge_implIS3_N6thrust23THRUST_200600_302600_NS6detail15normal_iteratorINS9_10device_ptrIsEEEEPS5_m9comp_mod3IsEEE10hipError_tT0_T1_T2_jT3_P12ihipStream_tbPNSt15iterator_traitsISJ_E10value_typeEPNSP_ISK_E10value_typeEPSL_NS1_7vsmem_tEENKUlT_SJ_SK_SL_E_clIPsSE_SF_SF_EESI_SY_SJ_SK_SL_EUlSY_E0_NS1_11comp_targetILNS1_3genE10ELNS1_11target_archE1201ELNS1_3gpuE5ELNS1_3repE0EEENS1_38merge_mergepath_config_static_selectorELNS0_4arch9wavefront6targetE0EEEvSK_
	.globl	_ZN7rocprim17ROCPRIM_400000_NS6detail17trampoline_kernelINS0_14default_configENS1_38merge_sort_block_merge_config_selectorIsNS0_10empty_typeEEEZZNS1_27merge_sort_block_merge_implIS3_N6thrust23THRUST_200600_302600_NS6detail15normal_iteratorINS9_10device_ptrIsEEEEPS5_m9comp_mod3IsEEE10hipError_tT0_T1_T2_jT3_P12ihipStream_tbPNSt15iterator_traitsISJ_E10value_typeEPNSP_ISK_E10value_typeEPSL_NS1_7vsmem_tEENKUlT_SJ_SK_SL_E_clIPsSE_SF_SF_EESI_SY_SJ_SK_SL_EUlSY_E0_NS1_11comp_targetILNS1_3genE10ELNS1_11target_archE1201ELNS1_3gpuE5ELNS1_3repE0EEENS1_38merge_mergepath_config_static_selectorELNS0_4arch9wavefront6targetE0EEEvSK_
	.p2align	8
	.type	_ZN7rocprim17ROCPRIM_400000_NS6detail17trampoline_kernelINS0_14default_configENS1_38merge_sort_block_merge_config_selectorIsNS0_10empty_typeEEEZZNS1_27merge_sort_block_merge_implIS3_N6thrust23THRUST_200600_302600_NS6detail15normal_iteratorINS9_10device_ptrIsEEEEPS5_m9comp_mod3IsEEE10hipError_tT0_T1_T2_jT3_P12ihipStream_tbPNSt15iterator_traitsISJ_E10value_typeEPNSP_ISK_E10value_typeEPSL_NS1_7vsmem_tEENKUlT_SJ_SK_SL_E_clIPsSE_SF_SF_EESI_SY_SJ_SK_SL_EUlSY_E0_NS1_11comp_targetILNS1_3genE10ELNS1_11target_archE1201ELNS1_3gpuE5ELNS1_3repE0EEENS1_38merge_mergepath_config_static_selectorELNS0_4arch9wavefront6targetE0EEEvSK_,@function
_ZN7rocprim17ROCPRIM_400000_NS6detail17trampoline_kernelINS0_14default_configENS1_38merge_sort_block_merge_config_selectorIsNS0_10empty_typeEEEZZNS1_27merge_sort_block_merge_implIS3_N6thrust23THRUST_200600_302600_NS6detail15normal_iteratorINS9_10device_ptrIsEEEEPS5_m9comp_mod3IsEEE10hipError_tT0_T1_T2_jT3_P12ihipStream_tbPNSt15iterator_traitsISJ_E10value_typeEPNSP_ISK_E10value_typeEPSL_NS1_7vsmem_tEENKUlT_SJ_SK_SL_E_clIPsSE_SF_SF_EESI_SY_SJ_SK_SL_EUlSY_E0_NS1_11comp_targetILNS1_3genE10ELNS1_11target_archE1201ELNS1_3gpuE5ELNS1_3repE0EEENS1_38merge_mergepath_config_static_selectorELNS0_4arch9wavefront6targetE0EEEvSK_: ; @_ZN7rocprim17ROCPRIM_400000_NS6detail17trampoline_kernelINS0_14default_configENS1_38merge_sort_block_merge_config_selectorIsNS0_10empty_typeEEEZZNS1_27merge_sort_block_merge_implIS3_N6thrust23THRUST_200600_302600_NS6detail15normal_iteratorINS9_10device_ptrIsEEEEPS5_m9comp_mod3IsEEE10hipError_tT0_T1_T2_jT3_P12ihipStream_tbPNSt15iterator_traitsISJ_E10value_typeEPNSP_ISK_E10value_typeEPSL_NS1_7vsmem_tEENKUlT_SJ_SK_SL_E_clIPsSE_SF_SF_EESI_SY_SJ_SK_SL_EUlSY_E0_NS1_11comp_targetILNS1_3genE10ELNS1_11target_archE1201ELNS1_3gpuE5ELNS1_3repE0EEENS1_38merge_mergepath_config_static_selectorELNS0_4arch9wavefront6targetE0EEEvSK_
; %bb.0:
	.section	.rodata,"a",@progbits
	.p2align	6, 0x0
	.amdhsa_kernel _ZN7rocprim17ROCPRIM_400000_NS6detail17trampoline_kernelINS0_14default_configENS1_38merge_sort_block_merge_config_selectorIsNS0_10empty_typeEEEZZNS1_27merge_sort_block_merge_implIS3_N6thrust23THRUST_200600_302600_NS6detail15normal_iteratorINS9_10device_ptrIsEEEEPS5_m9comp_mod3IsEEE10hipError_tT0_T1_T2_jT3_P12ihipStream_tbPNSt15iterator_traitsISJ_E10value_typeEPNSP_ISK_E10value_typeEPSL_NS1_7vsmem_tEENKUlT_SJ_SK_SL_E_clIPsSE_SF_SF_EESI_SY_SJ_SK_SL_EUlSY_E0_NS1_11comp_targetILNS1_3genE10ELNS1_11target_archE1201ELNS1_3gpuE5ELNS1_3repE0EEENS1_38merge_mergepath_config_static_selectorELNS0_4arch9wavefront6targetE0EEEvSK_
		.amdhsa_group_segment_fixed_size 0
		.amdhsa_private_segment_fixed_size 0
		.amdhsa_kernarg_size 80
		.amdhsa_user_sgpr_count 6
		.amdhsa_user_sgpr_private_segment_buffer 1
		.amdhsa_user_sgpr_dispatch_ptr 0
		.amdhsa_user_sgpr_queue_ptr 0
		.amdhsa_user_sgpr_kernarg_segment_ptr 1
		.amdhsa_user_sgpr_dispatch_id 0
		.amdhsa_user_sgpr_flat_scratch_init 0
		.amdhsa_user_sgpr_private_segment_size 0
		.amdhsa_wavefront_size32 1
		.amdhsa_uses_dynamic_stack 0
		.amdhsa_system_sgpr_private_segment_wavefront_offset 0
		.amdhsa_system_sgpr_workgroup_id_x 1
		.amdhsa_system_sgpr_workgroup_id_y 0
		.amdhsa_system_sgpr_workgroup_id_z 0
		.amdhsa_system_sgpr_workgroup_info 0
		.amdhsa_system_vgpr_workitem_id 0
		.amdhsa_next_free_vgpr 1
		.amdhsa_next_free_sgpr 1
		.amdhsa_reserve_vcc 0
		.amdhsa_reserve_flat_scratch 0
		.amdhsa_float_round_mode_32 0
		.amdhsa_float_round_mode_16_64 0
		.amdhsa_float_denorm_mode_32 3
		.amdhsa_float_denorm_mode_16_64 3
		.amdhsa_dx10_clamp 1
		.amdhsa_ieee_mode 1
		.amdhsa_fp16_overflow 0
		.amdhsa_workgroup_processor_mode 1
		.amdhsa_memory_ordered 1
		.amdhsa_forward_progress 1
		.amdhsa_shared_vgpr_count 0
		.amdhsa_exception_fp_ieee_invalid_op 0
		.amdhsa_exception_fp_denorm_src 0
		.amdhsa_exception_fp_ieee_div_zero 0
		.amdhsa_exception_fp_ieee_overflow 0
		.amdhsa_exception_fp_ieee_underflow 0
		.amdhsa_exception_fp_ieee_inexact 0
		.amdhsa_exception_int_div_zero 0
	.end_amdhsa_kernel
	.section	.text._ZN7rocprim17ROCPRIM_400000_NS6detail17trampoline_kernelINS0_14default_configENS1_38merge_sort_block_merge_config_selectorIsNS0_10empty_typeEEEZZNS1_27merge_sort_block_merge_implIS3_N6thrust23THRUST_200600_302600_NS6detail15normal_iteratorINS9_10device_ptrIsEEEEPS5_m9comp_mod3IsEEE10hipError_tT0_T1_T2_jT3_P12ihipStream_tbPNSt15iterator_traitsISJ_E10value_typeEPNSP_ISK_E10value_typeEPSL_NS1_7vsmem_tEENKUlT_SJ_SK_SL_E_clIPsSE_SF_SF_EESI_SY_SJ_SK_SL_EUlSY_E0_NS1_11comp_targetILNS1_3genE10ELNS1_11target_archE1201ELNS1_3gpuE5ELNS1_3repE0EEENS1_38merge_mergepath_config_static_selectorELNS0_4arch9wavefront6targetE0EEEvSK_,"axG",@progbits,_ZN7rocprim17ROCPRIM_400000_NS6detail17trampoline_kernelINS0_14default_configENS1_38merge_sort_block_merge_config_selectorIsNS0_10empty_typeEEEZZNS1_27merge_sort_block_merge_implIS3_N6thrust23THRUST_200600_302600_NS6detail15normal_iteratorINS9_10device_ptrIsEEEEPS5_m9comp_mod3IsEEE10hipError_tT0_T1_T2_jT3_P12ihipStream_tbPNSt15iterator_traitsISJ_E10value_typeEPNSP_ISK_E10value_typeEPSL_NS1_7vsmem_tEENKUlT_SJ_SK_SL_E_clIPsSE_SF_SF_EESI_SY_SJ_SK_SL_EUlSY_E0_NS1_11comp_targetILNS1_3genE10ELNS1_11target_archE1201ELNS1_3gpuE5ELNS1_3repE0EEENS1_38merge_mergepath_config_static_selectorELNS0_4arch9wavefront6targetE0EEEvSK_,comdat
.Lfunc_end1055:
	.size	_ZN7rocprim17ROCPRIM_400000_NS6detail17trampoline_kernelINS0_14default_configENS1_38merge_sort_block_merge_config_selectorIsNS0_10empty_typeEEEZZNS1_27merge_sort_block_merge_implIS3_N6thrust23THRUST_200600_302600_NS6detail15normal_iteratorINS9_10device_ptrIsEEEEPS5_m9comp_mod3IsEEE10hipError_tT0_T1_T2_jT3_P12ihipStream_tbPNSt15iterator_traitsISJ_E10value_typeEPNSP_ISK_E10value_typeEPSL_NS1_7vsmem_tEENKUlT_SJ_SK_SL_E_clIPsSE_SF_SF_EESI_SY_SJ_SK_SL_EUlSY_E0_NS1_11comp_targetILNS1_3genE10ELNS1_11target_archE1201ELNS1_3gpuE5ELNS1_3repE0EEENS1_38merge_mergepath_config_static_selectorELNS0_4arch9wavefront6targetE0EEEvSK_, .Lfunc_end1055-_ZN7rocprim17ROCPRIM_400000_NS6detail17trampoline_kernelINS0_14default_configENS1_38merge_sort_block_merge_config_selectorIsNS0_10empty_typeEEEZZNS1_27merge_sort_block_merge_implIS3_N6thrust23THRUST_200600_302600_NS6detail15normal_iteratorINS9_10device_ptrIsEEEEPS5_m9comp_mod3IsEEE10hipError_tT0_T1_T2_jT3_P12ihipStream_tbPNSt15iterator_traitsISJ_E10value_typeEPNSP_ISK_E10value_typeEPSL_NS1_7vsmem_tEENKUlT_SJ_SK_SL_E_clIPsSE_SF_SF_EESI_SY_SJ_SK_SL_EUlSY_E0_NS1_11comp_targetILNS1_3genE10ELNS1_11target_archE1201ELNS1_3gpuE5ELNS1_3repE0EEENS1_38merge_mergepath_config_static_selectorELNS0_4arch9wavefront6targetE0EEEvSK_
                                        ; -- End function
	.set _ZN7rocprim17ROCPRIM_400000_NS6detail17trampoline_kernelINS0_14default_configENS1_38merge_sort_block_merge_config_selectorIsNS0_10empty_typeEEEZZNS1_27merge_sort_block_merge_implIS3_N6thrust23THRUST_200600_302600_NS6detail15normal_iteratorINS9_10device_ptrIsEEEEPS5_m9comp_mod3IsEEE10hipError_tT0_T1_T2_jT3_P12ihipStream_tbPNSt15iterator_traitsISJ_E10value_typeEPNSP_ISK_E10value_typeEPSL_NS1_7vsmem_tEENKUlT_SJ_SK_SL_E_clIPsSE_SF_SF_EESI_SY_SJ_SK_SL_EUlSY_E0_NS1_11comp_targetILNS1_3genE10ELNS1_11target_archE1201ELNS1_3gpuE5ELNS1_3repE0EEENS1_38merge_mergepath_config_static_selectorELNS0_4arch9wavefront6targetE0EEEvSK_.num_vgpr, 0
	.set _ZN7rocprim17ROCPRIM_400000_NS6detail17trampoline_kernelINS0_14default_configENS1_38merge_sort_block_merge_config_selectorIsNS0_10empty_typeEEEZZNS1_27merge_sort_block_merge_implIS3_N6thrust23THRUST_200600_302600_NS6detail15normal_iteratorINS9_10device_ptrIsEEEEPS5_m9comp_mod3IsEEE10hipError_tT0_T1_T2_jT3_P12ihipStream_tbPNSt15iterator_traitsISJ_E10value_typeEPNSP_ISK_E10value_typeEPSL_NS1_7vsmem_tEENKUlT_SJ_SK_SL_E_clIPsSE_SF_SF_EESI_SY_SJ_SK_SL_EUlSY_E0_NS1_11comp_targetILNS1_3genE10ELNS1_11target_archE1201ELNS1_3gpuE5ELNS1_3repE0EEENS1_38merge_mergepath_config_static_selectorELNS0_4arch9wavefront6targetE0EEEvSK_.num_agpr, 0
	.set _ZN7rocprim17ROCPRIM_400000_NS6detail17trampoline_kernelINS0_14default_configENS1_38merge_sort_block_merge_config_selectorIsNS0_10empty_typeEEEZZNS1_27merge_sort_block_merge_implIS3_N6thrust23THRUST_200600_302600_NS6detail15normal_iteratorINS9_10device_ptrIsEEEEPS5_m9comp_mod3IsEEE10hipError_tT0_T1_T2_jT3_P12ihipStream_tbPNSt15iterator_traitsISJ_E10value_typeEPNSP_ISK_E10value_typeEPSL_NS1_7vsmem_tEENKUlT_SJ_SK_SL_E_clIPsSE_SF_SF_EESI_SY_SJ_SK_SL_EUlSY_E0_NS1_11comp_targetILNS1_3genE10ELNS1_11target_archE1201ELNS1_3gpuE5ELNS1_3repE0EEENS1_38merge_mergepath_config_static_selectorELNS0_4arch9wavefront6targetE0EEEvSK_.numbered_sgpr, 0
	.set _ZN7rocprim17ROCPRIM_400000_NS6detail17trampoline_kernelINS0_14default_configENS1_38merge_sort_block_merge_config_selectorIsNS0_10empty_typeEEEZZNS1_27merge_sort_block_merge_implIS3_N6thrust23THRUST_200600_302600_NS6detail15normal_iteratorINS9_10device_ptrIsEEEEPS5_m9comp_mod3IsEEE10hipError_tT0_T1_T2_jT3_P12ihipStream_tbPNSt15iterator_traitsISJ_E10value_typeEPNSP_ISK_E10value_typeEPSL_NS1_7vsmem_tEENKUlT_SJ_SK_SL_E_clIPsSE_SF_SF_EESI_SY_SJ_SK_SL_EUlSY_E0_NS1_11comp_targetILNS1_3genE10ELNS1_11target_archE1201ELNS1_3gpuE5ELNS1_3repE0EEENS1_38merge_mergepath_config_static_selectorELNS0_4arch9wavefront6targetE0EEEvSK_.num_named_barrier, 0
	.set _ZN7rocprim17ROCPRIM_400000_NS6detail17trampoline_kernelINS0_14default_configENS1_38merge_sort_block_merge_config_selectorIsNS0_10empty_typeEEEZZNS1_27merge_sort_block_merge_implIS3_N6thrust23THRUST_200600_302600_NS6detail15normal_iteratorINS9_10device_ptrIsEEEEPS5_m9comp_mod3IsEEE10hipError_tT0_T1_T2_jT3_P12ihipStream_tbPNSt15iterator_traitsISJ_E10value_typeEPNSP_ISK_E10value_typeEPSL_NS1_7vsmem_tEENKUlT_SJ_SK_SL_E_clIPsSE_SF_SF_EESI_SY_SJ_SK_SL_EUlSY_E0_NS1_11comp_targetILNS1_3genE10ELNS1_11target_archE1201ELNS1_3gpuE5ELNS1_3repE0EEENS1_38merge_mergepath_config_static_selectorELNS0_4arch9wavefront6targetE0EEEvSK_.private_seg_size, 0
	.set _ZN7rocprim17ROCPRIM_400000_NS6detail17trampoline_kernelINS0_14default_configENS1_38merge_sort_block_merge_config_selectorIsNS0_10empty_typeEEEZZNS1_27merge_sort_block_merge_implIS3_N6thrust23THRUST_200600_302600_NS6detail15normal_iteratorINS9_10device_ptrIsEEEEPS5_m9comp_mod3IsEEE10hipError_tT0_T1_T2_jT3_P12ihipStream_tbPNSt15iterator_traitsISJ_E10value_typeEPNSP_ISK_E10value_typeEPSL_NS1_7vsmem_tEENKUlT_SJ_SK_SL_E_clIPsSE_SF_SF_EESI_SY_SJ_SK_SL_EUlSY_E0_NS1_11comp_targetILNS1_3genE10ELNS1_11target_archE1201ELNS1_3gpuE5ELNS1_3repE0EEENS1_38merge_mergepath_config_static_selectorELNS0_4arch9wavefront6targetE0EEEvSK_.uses_vcc, 0
	.set _ZN7rocprim17ROCPRIM_400000_NS6detail17trampoline_kernelINS0_14default_configENS1_38merge_sort_block_merge_config_selectorIsNS0_10empty_typeEEEZZNS1_27merge_sort_block_merge_implIS3_N6thrust23THRUST_200600_302600_NS6detail15normal_iteratorINS9_10device_ptrIsEEEEPS5_m9comp_mod3IsEEE10hipError_tT0_T1_T2_jT3_P12ihipStream_tbPNSt15iterator_traitsISJ_E10value_typeEPNSP_ISK_E10value_typeEPSL_NS1_7vsmem_tEENKUlT_SJ_SK_SL_E_clIPsSE_SF_SF_EESI_SY_SJ_SK_SL_EUlSY_E0_NS1_11comp_targetILNS1_3genE10ELNS1_11target_archE1201ELNS1_3gpuE5ELNS1_3repE0EEENS1_38merge_mergepath_config_static_selectorELNS0_4arch9wavefront6targetE0EEEvSK_.uses_flat_scratch, 0
	.set _ZN7rocprim17ROCPRIM_400000_NS6detail17trampoline_kernelINS0_14default_configENS1_38merge_sort_block_merge_config_selectorIsNS0_10empty_typeEEEZZNS1_27merge_sort_block_merge_implIS3_N6thrust23THRUST_200600_302600_NS6detail15normal_iteratorINS9_10device_ptrIsEEEEPS5_m9comp_mod3IsEEE10hipError_tT0_T1_T2_jT3_P12ihipStream_tbPNSt15iterator_traitsISJ_E10value_typeEPNSP_ISK_E10value_typeEPSL_NS1_7vsmem_tEENKUlT_SJ_SK_SL_E_clIPsSE_SF_SF_EESI_SY_SJ_SK_SL_EUlSY_E0_NS1_11comp_targetILNS1_3genE10ELNS1_11target_archE1201ELNS1_3gpuE5ELNS1_3repE0EEENS1_38merge_mergepath_config_static_selectorELNS0_4arch9wavefront6targetE0EEEvSK_.has_dyn_sized_stack, 0
	.set _ZN7rocprim17ROCPRIM_400000_NS6detail17trampoline_kernelINS0_14default_configENS1_38merge_sort_block_merge_config_selectorIsNS0_10empty_typeEEEZZNS1_27merge_sort_block_merge_implIS3_N6thrust23THRUST_200600_302600_NS6detail15normal_iteratorINS9_10device_ptrIsEEEEPS5_m9comp_mod3IsEEE10hipError_tT0_T1_T2_jT3_P12ihipStream_tbPNSt15iterator_traitsISJ_E10value_typeEPNSP_ISK_E10value_typeEPSL_NS1_7vsmem_tEENKUlT_SJ_SK_SL_E_clIPsSE_SF_SF_EESI_SY_SJ_SK_SL_EUlSY_E0_NS1_11comp_targetILNS1_3genE10ELNS1_11target_archE1201ELNS1_3gpuE5ELNS1_3repE0EEENS1_38merge_mergepath_config_static_selectorELNS0_4arch9wavefront6targetE0EEEvSK_.has_recursion, 0
	.set _ZN7rocprim17ROCPRIM_400000_NS6detail17trampoline_kernelINS0_14default_configENS1_38merge_sort_block_merge_config_selectorIsNS0_10empty_typeEEEZZNS1_27merge_sort_block_merge_implIS3_N6thrust23THRUST_200600_302600_NS6detail15normal_iteratorINS9_10device_ptrIsEEEEPS5_m9comp_mod3IsEEE10hipError_tT0_T1_T2_jT3_P12ihipStream_tbPNSt15iterator_traitsISJ_E10value_typeEPNSP_ISK_E10value_typeEPSL_NS1_7vsmem_tEENKUlT_SJ_SK_SL_E_clIPsSE_SF_SF_EESI_SY_SJ_SK_SL_EUlSY_E0_NS1_11comp_targetILNS1_3genE10ELNS1_11target_archE1201ELNS1_3gpuE5ELNS1_3repE0EEENS1_38merge_mergepath_config_static_selectorELNS0_4arch9wavefront6targetE0EEEvSK_.has_indirect_call, 0
	.section	.AMDGPU.csdata,"",@progbits
; Kernel info:
; codeLenInByte = 0
; TotalNumSgprs: 0
; NumVgprs: 0
; ScratchSize: 0
; MemoryBound: 0
; FloatMode: 240
; IeeeMode: 1
; LDSByteSize: 0 bytes/workgroup (compile time only)
; SGPRBlocks: 0
; VGPRBlocks: 0
; NumSGPRsForWavesPerEU: 1
; NumVGPRsForWavesPerEU: 1
; Occupancy: 16
; WaveLimiterHint : 0
; COMPUTE_PGM_RSRC2:SCRATCH_EN: 0
; COMPUTE_PGM_RSRC2:USER_SGPR: 6
; COMPUTE_PGM_RSRC2:TRAP_HANDLER: 0
; COMPUTE_PGM_RSRC2:TGID_X_EN: 1
; COMPUTE_PGM_RSRC2:TGID_Y_EN: 0
; COMPUTE_PGM_RSRC2:TGID_Z_EN: 0
; COMPUTE_PGM_RSRC2:TIDIG_COMP_CNT: 0
	.section	.text._ZN7rocprim17ROCPRIM_400000_NS6detail17trampoline_kernelINS0_14default_configENS1_38merge_sort_block_merge_config_selectorIsNS0_10empty_typeEEEZZNS1_27merge_sort_block_merge_implIS3_N6thrust23THRUST_200600_302600_NS6detail15normal_iteratorINS9_10device_ptrIsEEEEPS5_m9comp_mod3IsEEE10hipError_tT0_T1_T2_jT3_P12ihipStream_tbPNSt15iterator_traitsISJ_E10value_typeEPNSP_ISK_E10value_typeEPSL_NS1_7vsmem_tEENKUlT_SJ_SK_SL_E_clIPsSE_SF_SF_EESI_SY_SJ_SK_SL_EUlSY_E0_NS1_11comp_targetILNS1_3genE5ELNS1_11target_archE942ELNS1_3gpuE9ELNS1_3repE0EEENS1_38merge_mergepath_config_static_selectorELNS0_4arch9wavefront6targetE0EEEvSK_,"axG",@progbits,_ZN7rocprim17ROCPRIM_400000_NS6detail17trampoline_kernelINS0_14default_configENS1_38merge_sort_block_merge_config_selectorIsNS0_10empty_typeEEEZZNS1_27merge_sort_block_merge_implIS3_N6thrust23THRUST_200600_302600_NS6detail15normal_iteratorINS9_10device_ptrIsEEEEPS5_m9comp_mod3IsEEE10hipError_tT0_T1_T2_jT3_P12ihipStream_tbPNSt15iterator_traitsISJ_E10value_typeEPNSP_ISK_E10value_typeEPSL_NS1_7vsmem_tEENKUlT_SJ_SK_SL_E_clIPsSE_SF_SF_EESI_SY_SJ_SK_SL_EUlSY_E0_NS1_11comp_targetILNS1_3genE5ELNS1_11target_archE942ELNS1_3gpuE9ELNS1_3repE0EEENS1_38merge_mergepath_config_static_selectorELNS0_4arch9wavefront6targetE0EEEvSK_,comdat
	.protected	_ZN7rocprim17ROCPRIM_400000_NS6detail17trampoline_kernelINS0_14default_configENS1_38merge_sort_block_merge_config_selectorIsNS0_10empty_typeEEEZZNS1_27merge_sort_block_merge_implIS3_N6thrust23THRUST_200600_302600_NS6detail15normal_iteratorINS9_10device_ptrIsEEEEPS5_m9comp_mod3IsEEE10hipError_tT0_T1_T2_jT3_P12ihipStream_tbPNSt15iterator_traitsISJ_E10value_typeEPNSP_ISK_E10value_typeEPSL_NS1_7vsmem_tEENKUlT_SJ_SK_SL_E_clIPsSE_SF_SF_EESI_SY_SJ_SK_SL_EUlSY_E0_NS1_11comp_targetILNS1_3genE5ELNS1_11target_archE942ELNS1_3gpuE9ELNS1_3repE0EEENS1_38merge_mergepath_config_static_selectorELNS0_4arch9wavefront6targetE0EEEvSK_ ; -- Begin function _ZN7rocprim17ROCPRIM_400000_NS6detail17trampoline_kernelINS0_14default_configENS1_38merge_sort_block_merge_config_selectorIsNS0_10empty_typeEEEZZNS1_27merge_sort_block_merge_implIS3_N6thrust23THRUST_200600_302600_NS6detail15normal_iteratorINS9_10device_ptrIsEEEEPS5_m9comp_mod3IsEEE10hipError_tT0_T1_T2_jT3_P12ihipStream_tbPNSt15iterator_traitsISJ_E10value_typeEPNSP_ISK_E10value_typeEPSL_NS1_7vsmem_tEENKUlT_SJ_SK_SL_E_clIPsSE_SF_SF_EESI_SY_SJ_SK_SL_EUlSY_E0_NS1_11comp_targetILNS1_3genE5ELNS1_11target_archE942ELNS1_3gpuE9ELNS1_3repE0EEENS1_38merge_mergepath_config_static_selectorELNS0_4arch9wavefront6targetE0EEEvSK_
	.globl	_ZN7rocprim17ROCPRIM_400000_NS6detail17trampoline_kernelINS0_14default_configENS1_38merge_sort_block_merge_config_selectorIsNS0_10empty_typeEEEZZNS1_27merge_sort_block_merge_implIS3_N6thrust23THRUST_200600_302600_NS6detail15normal_iteratorINS9_10device_ptrIsEEEEPS5_m9comp_mod3IsEEE10hipError_tT0_T1_T2_jT3_P12ihipStream_tbPNSt15iterator_traitsISJ_E10value_typeEPNSP_ISK_E10value_typeEPSL_NS1_7vsmem_tEENKUlT_SJ_SK_SL_E_clIPsSE_SF_SF_EESI_SY_SJ_SK_SL_EUlSY_E0_NS1_11comp_targetILNS1_3genE5ELNS1_11target_archE942ELNS1_3gpuE9ELNS1_3repE0EEENS1_38merge_mergepath_config_static_selectorELNS0_4arch9wavefront6targetE0EEEvSK_
	.p2align	8
	.type	_ZN7rocprim17ROCPRIM_400000_NS6detail17trampoline_kernelINS0_14default_configENS1_38merge_sort_block_merge_config_selectorIsNS0_10empty_typeEEEZZNS1_27merge_sort_block_merge_implIS3_N6thrust23THRUST_200600_302600_NS6detail15normal_iteratorINS9_10device_ptrIsEEEEPS5_m9comp_mod3IsEEE10hipError_tT0_T1_T2_jT3_P12ihipStream_tbPNSt15iterator_traitsISJ_E10value_typeEPNSP_ISK_E10value_typeEPSL_NS1_7vsmem_tEENKUlT_SJ_SK_SL_E_clIPsSE_SF_SF_EESI_SY_SJ_SK_SL_EUlSY_E0_NS1_11comp_targetILNS1_3genE5ELNS1_11target_archE942ELNS1_3gpuE9ELNS1_3repE0EEENS1_38merge_mergepath_config_static_selectorELNS0_4arch9wavefront6targetE0EEEvSK_,@function
_ZN7rocprim17ROCPRIM_400000_NS6detail17trampoline_kernelINS0_14default_configENS1_38merge_sort_block_merge_config_selectorIsNS0_10empty_typeEEEZZNS1_27merge_sort_block_merge_implIS3_N6thrust23THRUST_200600_302600_NS6detail15normal_iteratorINS9_10device_ptrIsEEEEPS5_m9comp_mod3IsEEE10hipError_tT0_T1_T2_jT3_P12ihipStream_tbPNSt15iterator_traitsISJ_E10value_typeEPNSP_ISK_E10value_typeEPSL_NS1_7vsmem_tEENKUlT_SJ_SK_SL_E_clIPsSE_SF_SF_EESI_SY_SJ_SK_SL_EUlSY_E0_NS1_11comp_targetILNS1_3genE5ELNS1_11target_archE942ELNS1_3gpuE9ELNS1_3repE0EEENS1_38merge_mergepath_config_static_selectorELNS0_4arch9wavefront6targetE0EEEvSK_: ; @_ZN7rocprim17ROCPRIM_400000_NS6detail17trampoline_kernelINS0_14default_configENS1_38merge_sort_block_merge_config_selectorIsNS0_10empty_typeEEEZZNS1_27merge_sort_block_merge_implIS3_N6thrust23THRUST_200600_302600_NS6detail15normal_iteratorINS9_10device_ptrIsEEEEPS5_m9comp_mod3IsEEE10hipError_tT0_T1_T2_jT3_P12ihipStream_tbPNSt15iterator_traitsISJ_E10value_typeEPNSP_ISK_E10value_typeEPSL_NS1_7vsmem_tEENKUlT_SJ_SK_SL_E_clIPsSE_SF_SF_EESI_SY_SJ_SK_SL_EUlSY_E0_NS1_11comp_targetILNS1_3genE5ELNS1_11target_archE942ELNS1_3gpuE9ELNS1_3repE0EEENS1_38merge_mergepath_config_static_selectorELNS0_4arch9wavefront6targetE0EEEvSK_
; %bb.0:
	.section	.rodata,"a",@progbits
	.p2align	6, 0x0
	.amdhsa_kernel _ZN7rocprim17ROCPRIM_400000_NS6detail17trampoline_kernelINS0_14default_configENS1_38merge_sort_block_merge_config_selectorIsNS0_10empty_typeEEEZZNS1_27merge_sort_block_merge_implIS3_N6thrust23THRUST_200600_302600_NS6detail15normal_iteratorINS9_10device_ptrIsEEEEPS5_m9comp_mod3IsEEE10hipError_tT0_T1_T2_jT3_P12ihipStream_tbPNSt15iterator_traitsISJ_E10value_typeEPNSP_ISK_E10value_typeEPSL_NS1_7vsmem_tEENKUlT_SJ_SK_SL_E_clIPsSE_SF_SF_EESI_SY_SJ_SK_SL_EUlSY_E0_NS1_11comp_targetILNS1_3genE5ELNS1_11target_archE942ELNS1_3gpuE9ELNS1_3repE0EEENS1_38merge_mergepath_config_static_selectorELNS0_4arch9wavefront6targetE0EEEvSK_
		.amdhsa_group_segment_fixed_size 0
		.amdhsa_private_segment_fixed_size 0
		.amdhsa_kernarg_size 80
		.amdhsa_user_sgpr_count 6
		.amdhsa_user_sgpr_private_segment_buffer 1
		.amdhsa_user_sgpr_dispatch_ptr 0
		.amdhsa_user_sgpr_queue_ptr 0
		.amdhsa_user_sgpr_kernarg_segment_ptr 1
		.amdhsa_user_sgpr_dispatch_id 0
		.amdhsa_user_sgpr_flat_scratch_init 0
		.amdhsa_user_sgpr_private_segment_size 0
		.amdhsa_wavefront_size32 1
		.amdhsa_uses_dynamic_stack 0
		.amdhsa_system_sgpr_private_segment_wavefront_offset 0
		.amdhsa_system_sgpr_workgroup_id_x 1
		.amdhsa_system_sgpr_workgroup_id_y 0
		.amdhsa_system_sgpr_workgroup_id_z 0
		.amdhsa_system_sgpr_workgroup_info 0
		.amdhsa_system_vgpr_workitem_id 0
		.amdhsa_next_free_vgpr 1
		.amdhsa_next_free_sgpr 1
		.amdhsa_reserve_vcc 0
		.amdhsa_reserve_flat_scratch 0
		.amdhsa_float_round_mode_32 0
		.amdhsa_float_round_mode_16_64 0
		.amdhsa_float_denorm_mode_32 3
		.amdhsa_float_denorm_mode_16_64 3
		.amdhsa_dx10_clamp 1
		.amdhsa_ieee_mode 1
		.amdhsa_fp16_overflow 0
		.amdhsa_workgroup_processor_mode 1
		.amdhsa_memory_ordered 1
		.amdhsa_forward_progress 1
		.amdhsa_shared_vgpr_count 0
		.amdhsa_exception_fp_ieee_invalid_op 0
		.amdhsa_exception_fp_denorm_src 0
		.amdhsa_exception_fp_ieee_div_zero 0
		.amdhsa_exception_fp_ieee_overflow 0
		.amdhsa_exception_fp_ieee_underflow 0
		.amdhsa_exception_fp_ieee_inexact 0
		.amdhsa_exception_int_div_zero 0
	.end_amdhsa_kernel
	.section	.text._ZN7rocprim17ROCPRIM_400000_NS6detail17trampoline_kernelINS0_14default_configENS1_38merge_sort_block_merge_config_selectorIsNS0_10empty_typeEEEZZNS1_27merge_sort_block_merge_implIS3_N6thrust23THRUST_200600_302600_NS6detail15normal_iteratorINS9_10device_ptrIsEEEEPS5_m9comp_mod3IsEEE10hipError_tT0_T1_T2_jT3_P12ihipStream_tbPNSt15iterator_traitsISJ_E10value_typeEPNSP_ISK_E10value_typeEPSL_NS1_7vsmem_tEENKUlT_SJ_SK_SL_E_clIPsSE_SF_SF_EESI_SY_SJ_SK_SL_EUlSY_E0_NS1_11comp_targetILNS1_3genE5ELNS1_11target_archE942ELNS1_3gpuE9ELNS1_3repE0EEENS1_38merge_mergepath_config_static_selectorELNS0_4arch9wavefront6targetE0EEEvSK_,"axG",@progbits,_ZN7rocprim17ROCPRIM_400000_NS6detail17trampoline_kernelINS0_14default_configENS1_38merge_sort_block_merge_config_selectorIsNS0_10empty_typeEEEZZNS1_27merge_sort_block_merge_implIS3_N6thrust23THRUST_200600_302600_NS6detail15normal_iteratorINS9_10device_ptrIsEEEEPS5_m9comp_mod3IsEEE10hipError_tT0_T1_T2_jT3_P12ihipStream_tbPNSt15iterator_traitsISJ_E10value_typeEPNSP_ISK_E10value_typeEPSL_NS1_7vsmem_tEENKUlT_SJ_SK_SL_E_clIPsSE_SF_SF_EESI_SY_SJ_SK_SL_EUlSY_E0_NS1_11comp_targetILNS1_3genE5ELNS1_11target_archE942ELNS1_3gpuE9ELNS1_3repE0EEENS1_38merge_mergepath_config_static_selectorELNS0_4arch9wavefront6targetE0EEEvSK_,comdat
.Lfunc_end1056:
	.size	_ZN7rocprim17ROCPRIM_400000_NS6detail17trampoline_kernelINS0_14default_configENS1_38merge_sort_block_merge_config_selectorIsNS0_10empty_typeEEEZZNS1_27merge_sort_block_merge_implIS3_N6thrust23THRUST_200600_302600_NS6detail15normal_iteratorINS9_10device_ptrIsEEEEPS5_m9comp_mod3IsEEE10hipError_tT0_T1_T2_jT3_P12ihipStream_tbPNSt15iterator_traitsISJ_E10value_typeEPNSP_ISK_E10value_typeEPSL_NS1_7vsmem_tEENKUlT_SJ_SK_SL_E_clIPsSE_SF_SF_EESI_SY_SJ_SK_SL_EUlSY_E0_NS1_11comp_targetILNS1_3genE5ELNS1_11target_archE942ELNS1_3gpuE9ELNS1_3repE0EEENS1_38merge_mergepath_config_static_selectorELNS0_4arch9wavefront6targetE0EEEvSK_, .Lfunc_end1056-_ZN7rocprim17ROCPRIM_400000_NS6detail17trampoline_kernelINS0_14default_configENS1_38merge_sort_block_merge_config_selectorIsNS0_10empty_typeEEEZZNS1_27merge_sort_block_merge_implIS3_N6thrust23THRUST_200600_302600_NS6detail15normal_iteratorINS9_10device_ptrIsEEEEPS5_m9comp_mod3IsEEE10hipError_tT0_T1_T2_jT3_P12ihipStream_tbPNSt15iterator_traitsISJ_E10value_typeEPNSP_ISK_E10value_typeEPSL_NS1_7vsmem_tEENKUlT_SJ_SK_SL_E_clIPsSE_SF_SF_EESI_SY_SJ_SK_SL_EUlSY_E0_NS1_11comp_targetILNS1_3genE5ELNS1_11target_archE942ELNS1_3gpuE9ELNS1_3repE0EEENS1_38merge_mergepath_config_static_selectorELNS0_4arch9wavefront6targetE0EEEvSK_
                                        ; -- End function
	.set _ZN7rocprim17ROCPRIM_400000_NS6detail17trampoline_kernelINS0_14default_configENS1_38merge_sort_block_merge_config_selectorIsNS0_10empty_typeEEEZZNS1_27merge_sort_block_merge_implIS3_N6thrust23THRUST_200600_302600_NS6detail15normal_iteratorINS9_10device_ptrIsEEEEPS5_m9comp_mod3IsEEE10hipError_tT0_T1_T2_jT3_P12ihipStream_tbPNSt15iterator_traitsISJ_E10value_typeEPNSP_ISK_E10value_typeEPSL_NS1_7vsmem_tEENKUlT_SJ_SK_SL_E_clIPsSE_SF_SF_EESI_SY_SJ_SK_SL_EUlSY_E0_NS1_11comp_targetILNS1_3genE5ELNS1_11target_archE942ELNS1_3gpuE9ELNS1_3repE0EEENS1_38merge_mergepath_config_static_selectorELNS0_4arch9wavefront6targetE0EEEvSK_.num_vgpr, 0
	.set _ZN7rocprim17ROCPRIM_400000_NS6detail17trampoline_kernelINS0_14default_configENS1_38merge_sort_block_merge_config_selectorIsNS0_10empty_typeEEEZZNS1_27merge_sort_block_merge_implIS3_N6thrust23THRUST_200600_302600_NS6detail15normal_iteratorINS9_10device_ptrIsEEEEPS5_m9comp_mod3IsEEE10hipError_tT0_T1_T2_jT3_P12ihipStream_tbPNSt15iterator_traitsISJ_E10value_typeEPNSP_ISK_E10value_typeEPSL_NS1_7vsmem_tEENKUlT_SJ_SK_SL_E_clIPsSE_SF_SF_EESI_SY_SJ_SK_SL_EUlSY_E0_NS1_11comp_targetILNS1_3genE5ELNS1_11target_archE942ELNS1_3gpuE9ELNS1_3repE0EEENS1_38merge_mergepath_config_static_selectorELNS0_4arch9wavefront6targetE0EEEvSK_.num_agpr, 0
	.set _ZN7rocprim17ROCPRIM_400000_NS6detail17trampoline_kernelINS0_14default_configENS1_38merge_sort_block_merge_config_selectorIsNS0_10empty_typeEEEZZNS1_27merge_sort_block_merge_implIS3_N6thrust23THRUST_200600_302600_NS6detail15normal_iteratorINS9_10device_ptrIsEEEEPS5_m9comp_mod3IsEEE10hipError_tT0_T1_T2_jT3_P12ihipStream_tbPNSt15iterator_traitsISJ_E10value_typeEPNSP_ISK_E10value_typeEPSL_NS1_7vsmem_tEENKUlT_SJ_SK_SL_E_clIPsSE_SF_SF_EESI_SY_SJ_SK_SL_EUlSY_E0_NS1_11comp_targetILNS1_3genE5ELNS1_11target_archE942ELNS1_3gpuE9ELNS1_3repE0EEENS1_38merge_mergepath_config_static_selectorELNS0_4arch9wavefront6targetE0EEEvSK_.numbered_sgpr, 0
	.set _ZN7rocprim17ROCPRIM_400000_NS6detail17trampoline_kernelINS0_14default_configENS1_38merge_sort_block_merge_config_selectorIsNS0_10empty_typeEEEZZNS1_27merge_sort_block_merge_implIS3_N6thrust23THRUST_200600_302600_NS6detail15normal_iteratorINS9_10device_ptrIsEEEEPS5_m9comp_mod3IsEEE10hipError_tT0_T1_T2_jT3_P12ihipStream_tbPNSt15iterator_traitsISJ_E10value_typeEPNSP_ISK_E10value_typeEPSL_NS1_7vsmem_tEENKUlT_SJ_SK_SL_E_clIPsSE_SF_SF_EESI_SY_SJ_SK_SL_EUlSY_E0_NS1_11comp_targetILNS1_3genE5ELNS1_11target_archE942ELNS1_3gpuE9ELNS1_3repE0EEENS1_38merge_mergepath_config_static_selectorELNS0_4arch9wavefront6targetE0EEEvSK_.num_named_barrier, 0
	.set _ZN7rocprim17ROCPRIM_400000_NS6detail17trampoline_kernelINS0_14default_configENS1_38merge_sort_block_merge_config_selectorIsNS0_10empty_typeEEEZZNS1_27merge_sort_block_merge_implIS3_N6thrust23THRUST_200600_302600_NS6detail15normal_iteratorINS9_10device_ptrIsEEEEPS5_m9comp_mod3IsEEE10hipError_tT0_T1_T2_jT3_P12ihipStream_tbPNSt15iterator_traitsISJ_E10value_typeEPNSP_ISK_E10value_typeEPSL_NS1_7vsmem_tEENKUlT_SJ_SK_SL_E_clIPsSE_SF_SF_EESI_SY_SJ_SK_SL_EUlSY_E0_NS1_11comp_targetILNS1_3genE5ELNS1_11target_archE942ELNS1_3gpuE9ELNS1_3repE0EEENS1_38merge_mergepath_config_static_selectorELNS0_4arch9wavefront6targetE0EEEvSK_.private_seg_size, 0
	.set _ZN7rocprim17ROCPRIM_400000_NS6detail17trampoline_kernelINS0_14default_configENS1_38merge_sort_block_merge_config_selectorIsNS0_10empty_typeEEEZZNS1_27merge_sort_block_merge_implIS3_N6thrust23THRUST_200600_302600_NS6detail15normal_iteratorINS9_10device_ptrIsEEEEPS5_m9comp_mod3IsEEE10hipError_tT0_T1_T2_jT3_P12ihipStream_tbPNSt15iterator_traitsISJ_E10value_typeEPNSP_ISK_E10value_typeEPSL_NS1_7vsmem_tEENKUlT_SJ_SK_SL_E_clIPsSE_SF_SF_EESI_SY_SJ_SK_SL_EUlSY_E0_NS1_11comp_targetILNS1_3genE5ELNS1_11target_archE942ELNS1_3gpuE9ELNS1_3repE0EEENS1_38merge_mergepath_config_static_selectorELNS0_4arch9wavefront6targetE0EEEvSK_.uses_vcc, 0
	.set _ZN7rocprim17ROCPRIM_400000_NS6detail17trampoline_kernelINS0_14default_configENS1_38merge_sort_block_merge_config_selectorIsNS0_10empty_typeEEEZZNS1_27merge_sort_block_merge_implIS3_N6thrust23THRUST_200600_302600_NS6detail15normal_iteratorINS9_10device_ptrIsEEEEPS5_m9comp_mod3IsEEE10hipError_tT0_T1_T2_jT3_P12ihipStream_tbPNSt15iterator_traitsISJ_E10value_typeEPNSP_ISK_E10value_typeEPSL_NS1_7vsmem_tEENKUlT_SJ_SK_SL_E_clIPsSE_SF_SF_EESI_SY_SJ_SK_SL_EUlSY_E0_NS1_11comp_targetILNS1_3genE5ELNS1_11target_archE942ELNS1_3gpuE9ELNS1_3repE0EEENS1_38merge_mergepath_config_static_selectorELNS0_4arch9wavefront6targetE0EEEvSK_.uses_flat_scratch, 0
	.set _ZN7rocprim17ROCPRIM_400000_NS6detail17trampoline_kernelINS0_14default_configENS1_38merge_sort_block_merge_config_selectorIsNS0_10empty_typeEEEZZNS1_27merge_sort_block_merge_implIS3_N6thrust23THRUST_200600_302600_NS6detail15normal_iteratorINS9_10device_ptrIsEEEEPS5_m9comp_mod3IsEEE10hipError_tT0_T1_T2_jT3_P12ihipStream_tbPNSt15iterator_traitsISJ_E10value_typeEPNSP_ISK_E10value_typeEPSL_NS1_7vsmem_tEENKUlT_SJ_SK_SL_E_clIPsSE_SF_SF_EESI_SY_SJ_SK_SL_EUlSY_E0_NS1_11comp_targetILNS1_3genE5ELNS1_11target_archE942ELNS1_3gpuE9ELNS1_3repE0EEENS1_38merge_mergepath_config_static_selectorELNS0_4arch9wavefront6targetE0EEEvSK_.has_dyn_sized_stack, 0
	.set _ZN7rocprim17ROCPRIM_400000_NS6detail17trampoline_kernelINS0_14default_configENS1_38merge_sort_block_merge_config_selectorIsNS0_10empty_typeEEEZZNS1_27merge_sort_block_merge_implIS3_N6thrust23THRUST_200600_302600_NS6detail15normal_iteratorINS9_10device_ptrIsEEEEPS5_m9comp_mod3IsEEE10hipError_tT0_T1_T2_jT3_P12ihipStream_tbPNSt15iterator_traitsISJ_E10value_typeEPNSP_ISK_E10value_typeEPSL_NS1_7vsmem_tEENKUlT_SJ_SK_SL_E_clIPsSE_SF_SF_EESI_SY_SJ_SK_SL_EUlSY_E0_NS1_11comp_targetILNS1_3genE5ELNS1_11target_archE942ELNS1_3gpuE9ELNS1_3repE0EEENS1_38merge_mergepath_config_static_selectorELNS0_4arch9wavefront6targetE0EEEvSK_.has_recursion, 0
	.set _ZN7rocprim17ROCPRIM_400000_NS6detail17trampoline_kernelINS0_14default_configENS1_38merge_sort_block_merge_config_selectorIsNS0_10empty_typeEEEZZNS1_27merge_sort_block_merge_implIS3_N6thrust23THRUST_200600_302600_NS6detail15normal_iteratorINS9_10device_ptrIsEEEEPS5_m9comp_mod3IsEEE10hipError_tT0_T1_T2_jT3_P12ihipStream_tbPNSt15iterator_traitsISJ_E10value_typeEPNSP_ISK_E10value_typeEPSL_NS1_7vsmem_tEENKUlT_SJ_SK_SL_E_clIPsSE_SF_SF_EESI_SY_SJ_SK_SL_EUlSY_E0_NS1_11comp_targetILNS1_3genE5ELNS1_11target_archE942ELNS1_3gpuE9ELNS1_3repE0EEENS1_38merge_mergepath_config_static_selectorELNS0_4arch9wavefront6targetE0EEEvSK_.has_indirect_call, 0
	.section	.AMDGPU.csdata,"",@progbits
; Kernel info:
; codeLenInByte = 0
; TotalNumSgprs: 0
; NumVgprs: 0
; ScratchSize: 0
; MemoryBound: 0
; FloatMode: 240
; IeeeMode: 1
; LDSByteSize: 0 bytes/workgroup (compile time only)
; SGPRBlocks: 0
; VGPRBlocks: 0
; NumSGPRsForWavesPerEU: 1
; NumVGPRsForWavesPerEU: 1
; Occupancy: 16
; WaveLimiterHint : 0
; COMPUTE_PGM_RSRC2:SCRATCH_EN: 0
; COMPUTE_PGM_RSRC2:USER_SGPR: 6
; COMPUTE_PGM_RSRC2:TRAP_HANDLER: 0
; COMPUTE_PGM_RSRC2:TGID_X_EN: 1
; COMPUTE_PGM_RSRC2:TGID_Y_EN: 0
; COMPUTE_PGM_RSRC2:TGID_Z_EN: 0
; COMPUTE_PGM_RSRC2:TIDIG_COMP_CNT: 0
	.section	.text._ZN7rocprim17ROCPRIM_400000_NS6detail17trampoline_kernelINS0_14default_configENS1_38merge_sort_block_merge_config_selectorIsNS0_10empty_typeEEEZZNS1_27merge_sort_block_merge_implIS3_N6thrust23THRUST_200600_302600_NS6detail15normal_iteratorINS9_10device_ptrIsEEEEPS5_m9comp_mod3IsEEE10hipError_tT0_T1_T2_jT3_P12ihipStream_tbPNSt15iterator_traitsISJ_E10value_typeEPNSP_ISK_E10value_typeEPSL_NS1_7vsmem_tEENKUlT_SJ_SK_SL_E_clIPsSE_SF_SF_EESI_SY_SJ_SK_SL_EUlSY_E0_NS1_11comp_targetILNS1_3genE4ELNS1_11target_archE910ELNS1_3gpuE8ELNS1_3repE0EEENS1_38merge_mergepath_config_static_selectorELNS0_4arch9wavefront6targetE0EEEvSK_,"axG",@progbits,_ZN7rocprim17ROCPRIM_400000_NS6detail17trampoline_kernelINS0_14default_configENS1_38merge_sort_block_merge_config_selectorIsNS0_10empty_typeEEEZZNS1_27merge_sort_block_merge_implIS3_N6thrust23THRUST_200600_302600_NS6detail15normal_iteratorINS9_10device_ptrIsEEEEPS5_m9comp_mod3IsEEE10hipError_tT0_T1_T2_jT3_P12ihipStream_tbPNSt15iterator_traitsISJ_E10value_typeEPNSP_ISK_E10value_typeEPSL_NS1_7vsmem_tEENKUlT_SJ_SK_SL_E_clIPsSE_SF_SF_EESI_SY_SJ_SK_SL_EUlSY_E0_NS1_11comp_targetILNS1_3genE4ELNS1_11target_archE910ELNS1_3gpuE8ELNS1_3repE0EEENS1_38merge_mergepath_config_static_selectorELNS0_4arch9wavefront6targetE0EEEvSK_,comdat
	.protected	_ZN7rocprim17ROCPRIM_400000_NS6detail17trampoline_kernelINS0_14default_configENS1_38merge_sort_block_merge_config_selectorIsNS0_10empty_typeEEEZZNS1_27merge_sort_block_merge_implIS3_N6thrust23THRUST_200600_302600_NS6detail15normal_iteratorINS9_10device_ptrIsEEEEPS5_m9comp_mod3IsEEE10hipError_tT0_T1_T2_jT3_P12ihipStream_tbPNSt15iterator_traitsISJ_E10value_typeEPNSP_ISK_E10value_typeEPSL_NS1_7vsmem_tEENKUlT_SJ_SK_SL_E_clIPsSE_SF_SF_EESI_SY_SJ_SK_SL_EUlSY_E0_NS1_11comp_targetILNS1_3genE4ELNS1_11target_archE910ELNS1_3gpuE8ELNS1_3repE0EEENS1_38merge_mergepath_config_static_selectorELNS0_4arch9wavefront6targetE0EEEvSK_ ; -- Begin function _ZN7rocprim17ROCPRIM_400000_NS6detail17trampoline_kernelINS0_14default_configENS1_38merge_sort_block_merge_config_selectorIsNS0_10empty_typeEEEZZNS1_27merge_sort_block_merge_implIS3_N6thrust23THRUST_200600_302600_NS6detail15normal_iteratorINS9_10device_ptrIsEEEEPS5_m9comp_mod3IsEEE10hipError_tT0_T1_T2_jT3_P12ihipStream_tbPNSt15iterator_traitsISJ_E10value_typeEPNSP_ISK_E10value_typeEPSL_NS1_7vsmem_tEENKUlT_SJ_SK_SL_E_clIPsSE_SF_SF_EESI_SY_SJ_SK_SL_EUlSY_E0_NS1_11comp_targetILNS1_3genE4ELNS1_11target_archE910ELNS1_3gpuE8ELNS1_3repE0EEENS1_38merge_mergepath_config_static_selectorELNS0_4arch9wavefront6targetE0EEEvSK_
	.globl	_ZN7rocprim17ROCPRIM_400000_NS6detail17trampoline_kernelINS0_14default_configENS1_38merge_sort_block_merge_config_selectorIsNS0_10empty_typeEEEZZNS1_27merge_sort_block_merge_implIS3_N6thrust23THRUST_200600_302600_NS6detail15normal_iteratorINS9_10device_ptrIsEEEEPS5_m9comp_mod3IsEEE10hipError_tT0_T1_T2_jT3_P12ihipStream_tbPNSt15iterator_traitsISJ_E10value_typeEPNSP_ISK_E10value_typeEPSL_NS1_7vsmem_tEENKUlT_SJ_SK_SL_E_clIPsSE_SF_SF_EESI_SY_SJ_SK_SL_EUlSY_E0_NS1_11comp_targetILNS1_3genE4ELNS1_11target_archE910ELNS1_3gpuE8ELNS1_3repE0EEENS1_38merge_mergepath_config_static_selectorELNS0_4arch9wavefront6targetE0EEEvSK_
	.p2align	8
	.type	_ZN7rocprim17ROCPRIM_400000_NS6detail17trampoline_kernelINS0_14default_configENS1_38merge_sort_block_merge_config_selectorIsNS0_10empty_typeEEEZZNS1_27merge_sort_block_merge_implIS3_N6thrust23THRUST_200600_302600_NS6detail15normal_iteratorINS9_10device_ptrIsEEEEPS5_m9comp_mod3IsEEE10hipError_tT0_T1_T2_jT3_P12ihipStream_tbPNSt15iterator_traitsISJ_E10value_typeEPNSP_ISK_E10value_typeEPSL_NS1_7vsmem_tEENKUlT_SJ_SK_SL_E_clIPsSE_SF_SF_EESI_SY_SJ_SK_SL_EUlSY_E0_NS1_11comp_targetILNS1_3genE4ELNS1_11target_archE910ELNS1_3gpuE8ELNS1_3repE0EEENS1_38merge_mergepath_config_static_selectorELNS0_4arch9wavefront6targetE0EEEvSK_,@function
_ZN7rocprim17ROCPRIM_400000_NS6detail17trampoline_kernelINS0_14default_configENS1_38merge_sort_block_merge_config_selectorIsNS0_10empty_typeEEEZZNS1_27merge_sort_block_merge_implIS3_N6thrust23THRUST_200600_302600_NS6detail15normal_iteratorINS9_10device_ptrIsEEEEPS5_m9comp_mod3IsEEE10hipError_tT0_T1_T2_jT3_P12ihipStream_tbPNSt15iterator_traitsISJ_E10value_typeEPNSP_ISK_E10value_typeEPSL_NS1_7vsmem_tEENKUlT_SJ_SK_SL_E_clIPsSE_SF_SF_EESI_SY_SJ_SK_SL_EUlSY_E0_NS1_11comp_targetILNS1_3genE4ELNS1_11target_archE910ELNS1_3gpuE8ELNS1_3repE0EEENS1_38merge_mergepath_config_static_selectorELNS0_4arch9wavefront6targetE0EEEvSK_: ; @_ZN7rocprim17ROCPRIM_400000_NS6detail17trampoline_kernelINS0_14default_configENS1_38merge_sort_block_merge_config_selectorIsNS0_10empty_typeEEEZZNS1_27merge_sort_block_merge_implIS3_N6thrust23THRUST_200600_302600_NS6detail15normal_iteratorINS9_10device_ptrIsEEEEPS5_m9comp_mod3IsEEE10hipError_tT0_T1_T2_jT3_P12ihipStream_tbPNSt15iterator_traitsISJ_E10value_typeEPNSP_ISK_E10value_typeEPSL_NS1_7vsmem_tEENKUlT_SJ_SK_SL_E_clIPsSE_SF_SF_EESI_SY_SJ_SK_SL_EUlSY_E0_NS1_11comp_targetILNS1_3genE4ELNS1_11target_archE910ELNS1_3gpuE8ELNS1_3repE0EEENS1_38merge_mergepath_config_static_selectorELNS0_4arch9wavefront6targetE0EEEvSK_
; %bb.0:
	.section	.rodata,"a",@progbits
	.p2align	6, 0x0
	.amdhsa_kernel _ZN7rocprim17ROCPRIM_400000_NS6detail17trampoline_kernelINS0_14default_configENS1_38merge_sort_block_merge_config_selectorIsNS0_10empty_typeEEEZZNS1_27merge_sort_block_merge_implIS3_N6thrust23THRUST_200600_302600_NS6detail15normal_iteratorINS9_10device_ptrIsEEEEPS5_m9comp_mod3IsEEE10hipError_tT0_T1_T2_jT3_P12ihipStream_tbPNSt15iterator_traitsISJ_E10value_typeEPNSP_ISK_E10value_typeEPSL_NS1_7vsmem_tEENKUlT_SJ_SK_SL_E_clIPsSE_SF_SF_EESI_SY_SJ_SK_SL_EUlSY_E0_NS1_11comp_targetILNS1_3genE4ELNS1_11target_archE910ELNS1_3gpuE8ELNS1_3repE0EEENS1_38merge_mergepath_config_static_selectorELNS0_4arch9wavefront6targetE0EEEvSK_
		.amdhsa_group_segment_fixed_size 0
		.amdhsa_private_segment_fixed_size 0
		.amdhsa_kernarg_size 80
		.amdhsa_user_sgpr_count 6
		.amdhsa_user_sgpr_private_segment_buffer 1
		.amdhsa_user_sgpr_dispatch_ptr 0
		.amdhsa_user_sgpr_queue_ptr 0
		.amdhsa_user_sgpr_kernarg_segment_ptr 1
		.amdhsa_user_sgpr_dispatch_id 0
		.amdhsa_user_sgpr_flat_scratch_init 0
		.amdhsa_user_sgpr_private_segment_size 0
		.amdhsa_wavefront_size32 1
		.amdhsa_uses_dynamic_stack 0
		.amdhsa_system_sgpr_private_segment_wavefront_offset 0
		.amdhsa_system_sgpr_workgroup_id_x 1
		.amdhsa_system_sgpr_workgroup_id_y 0
		.amdhsa_system_sgpr_workgroup_id_z 0
		.amdhsa_system_sgpr_workgroup_info 0
		.amdhsa_system_vgpr_workitem_id 0
		.amdhsa_next_free_vgpr 1
		.amdhsa_next_free_sgpr 1
		.amdhsa_reserve_vcc 0
		.amdhsa_reserve_flat_scratch 0
		.amdhsa_float_round_mode_32 0
		.amdhsa_float_round_mode_16_64 0
		.amdhsa_float_denorm_mode_32 3
		.amdhsa_float_denorm_mode_16_64 3
		.amdhsa_dx10_clamp 1
		.amdhsa_ieee_mode 1
		.amdhsa_fp16_overflow 0
		.amdhsa_workgroup_processor_mode 1
		.amdhsa_memory_ordered 1
		.amdhsa_forward_progress 1
		.amdhsa_shared_vgpr_count 0
		.amdhsa_exception_fp_ieee_invalid_op 0
		.amdhsa_exception_fp_denorm_src 0
		.amdhsa_exception_fp_ieee_div_zero 0
		.amdhsa_exception_fp_ieee_overflow 0
		.amdhsa_exception_fp_ieee_underflow 0
		.amdhsa_exception_fp_ieee_inexact 0
		.amdhsa_exception_int_div_zero 0
	.end_amdhsa_kernel
	.section	.text._ZN7rocprim17ROCPRIM_400000_NS6detail17trampoline_kernelINS0_14default_configENS1_38merge_sort_block_merge_config_selectorIsNS0_10empty_typeEEEZZNS1_27merge_sort_block_merge_implIS3_N6thrust23THRUST_200600_302600_NS6detail15normal_iteratorINS9_10device_ptrIsEEEEPS5_m9comp_mod3IsEEE10hipError_tT0_T1_T2_jT3_P12ihipStream_tbPNSt15iterator_traitsISJ_E10value_typeEPNSP_ISK_E10value_typeEPSL_NS1_7vsmem_tEENKUlT_SJ_SK_SL_E_clIPsSE_SF_SF_EESI_SY_SJ_SK_SL_EUlSY_E0_NS1_11comp_targetILNS1_3genE4ELNS1_11target_archE910ELNS1_3gpuE8ELNS1_3repE0EEENS1_38merge_mergepath_config_static_selectorELNS0_4arch9wavefront6targetE0EEEvSK_,"axG",@progbits,_ZN7rocprim17ROCPRIM_400000_NS6detail17trampoline_kernelINS0_14default_configENS1_38merge_sort_block_merge_config_selectorIsNS0_10empty_typeEEEZZNS1_27merge_sort_block_merge_implIS3_N6thrust23THRUST_200600_302600_NS6detail15normal_iteratorINS9_10device_ptrIsEEEEPS5_m9comp_mod3IsEEE10hipError_tT0_T1_T2_jT3_P12ihipStream_tbPNSt15iterator_traitsISJ_E10value_typeEPNSP_ISK_E10value_typeEPSL_NS1_7vsmem_tEENKUlT_SJ_SK_SL_E_clIPsSE_SF_SF_EESI_SY_SJ_SK_SL_EUlSY_E0_NS1_11comp_targetILNS1_3genE4ELNS1_11target_archE910ELNS1_3gpuE8ELNS1_3repE0EEENS1_38merge_mergepath_config_static_selectorELNS0_4arch9wavefront6targetE0EEEvSK_,comdat
.Lfunc_end1057:
	.size	_ZN7rocprim17ROCPRIM_400000_NS6detail17trampoline_kernelINS0_14default_configENS1_38merge_sort_block_merge_config_selectorIsNS0_10empty_typeEEEZZNS1_27merge_sort_block_merge_implIS3_N6thrust23THRUST_200600_302600_NS6detail15normal_iteratorINS9_10device_ptrIsEEEEPS5_m9comp_mod3IsEEE10hipError_tT0_T1_T2_jT3_P12ihipStream_tbPNSt15iterator_traitsISJ_E10value_typeEPNSP_ISK_E10value_typeEPSL_NS1_7vsmem_tEENKUlT_SJ_SK_SL_E_clIPsSE_SF_SF_EESI_SY_SJ_SK_SL_EUlSY_E0_NS1_11comp_targetILNS1_3genE4ELNS1_11target_archE910ELNS1_3gpuE8ELNS1_3repE0EEENS1_38merge_mergepath_config_static_selectorELNS0_4arch9wavefront6targetE0EEEvSK_, .Lfunc_end1057-_ZN7rocprim17ROCPRIM_400000_NS6detail17trampoline_kernelINS0_14default_configENS1_38merge_sort_block_merge_config_selectorIsNS0_10empty_typeEEEZZNS1_27merge_sort_block_merge_implIS3_N6thrust23THRUST_200600_302600_NS6detail15normal_iteratorINS9_10device_ptrIsEEEEPS5_m9comp_mod3IsEEE10hipError_tT0_T1_T2_jT3_P12ihipStream_tbPNSt15iterator_traitsISJ_E10value_typeEPNSP_ISK_E10value_typeEPSL_NS1_7vsmem_tEENKUlT_SJ_SK_SL_E_clIPsSE_SF_SF_EESI_SY_SJ_SK_SL_EUlSY_E0_NS1_11comp_targetILNS1_3genE4ELNS1_11target_archE910ELNS1_3gpuE8ELNS1_3repE0EEENS1_38merge_mergepath_config_static_selectorELNS0_4arch9wavefront6targetE0EEEvSK_
                                        ; -- End function
	.set _ZN7rocprim17ROCPRIM_400000_NS6detail17trampoline_kernelINS0_14default_configENS1_38merge_sort_block_merge_config_selectorIsNS0_10empty_typeEEEZZNS1_27merge_sort_block_merge_implIS3_N6thrust23THRUST_200600_302600_NS6detail15normal_iteratorINS9_10device_ptrIsEEEEPS5_m9comp_mod3IsEEE10hipError_tT0_T1_T2_jT3_P12ihipStream_tbPNSt15iterator_traitsISJ_E10value_typeEPNSP_ISK_E10value_typeEPSL_NS1_7vsmem_tEENKUlT_SJ_SK_SL_E_clIPsSE_SF_SF_EESI_SY_SJ_SK_SL_EUlSY_E0_NS1_11comp_targetILNS1_3genE4ELNS1_11target_archE910ELNS1_3gpuE8ELNS1_3repE0EEENS1_38merge_mergepath_config_static_selectorELNS0_4arch9wavefront6targetE0EEEvSK_.num_vgpr, 0
	.set _ZN7rocprim17ROCPRIM_400000_NS6detail17trampoline_kernelINS0_14default_configENS1_38merge_sort_block_merge_config_selectorIsNS0_10empty_typeEEEZZNS1_27merge_sort_block_merge_implIS3_N6thrust23THRUST_200600_302600_NS6detail15normal_iteratorINS9_10device_ptrIsEEEEPS5_m9comp_mod3IsEEE10hipError_tT0_T1_T2_jT3_P12ihipStream_tbPNSt15iterator_traitsISJ_E10value_typeEPNSP_ISK_E10value_typeEPSL_NS1_7vsmem_tEENKUlT_SJ_SK_SL_E_clIPsSE_SF_SF_EESI_SY_SJ_SK_SL_EUlSY_E0_NS1_11comp_targetILNS1_3genE4ELNS1_11target_archE910ELNS1_3gpuE8ELNS1_3repE0EEENS1_38merge_mergepath_config_static_selectorELNS0_4arch9wavefront6targetE0EEEvSK_.num_agpr, 0
	.set _ZN7rocprim17ROCPRIM_400000_NS6detail17trampoline_kernelINS0_14default_configENS1_38merge_sort_block_merge_config_selectorIsNS0_10empty_typeEEEZZNS1_27merge_sort_block_merge_implIS3_N6thrust23THRUST_200600_302600_NS6detail15normal_iteratorINS9_10device_ptrIsEEEEPS5_m9comp_mod3IsEEE10hipError_tT0_T1_T2_jT3_P12ihipStream_tbPNSt15iterator_traitsISJ_E10value_typeEPNSP_ISK_E10value_typeEPSL_NS1_7vsmem_tEENKUlT_SJ_SK_SL_E_clIPsSE_SF_SF_EESI_SY_SJ_SK_SL_EUlSY_E0_NS1_11comp_targetILNS1_3genE4ELNS1_11target_archE910ELNS1_3gpuE8ELNS1_3repE0EEENS1_38merge_mergepath_config_static_selectorELNS0_4arch9wavefront6targetE0EEEvSK_.numbered_sgpr, 0
	.set _ZN7rocprim17ROCPRIM_400000_NS6detail17trampoline_kernelINS0_14default_configENS1_38merge_sort_block_merge_config_selectorIsNS0_10empty_typeEEEZZNS1_27merge_sort_block_merge_implIS3_N6thrust23THRUST_200600_302600_NS6detail15normal_iteratorINS9_10device_ptrIsEEEEPS5_m9comp_mod3IsEEE10hipError_tT0_T1_T2_jT3_P12ihipStream_tbPNSt15iterator_traitsISJ_E10value_typeEPNSP_ISK_E10value_typeEPSL_NS1_7vsmem_tEENKUlT_SJ_SK_SL_E_clIPsSE_SF_SF_EESI_SY_SJ_SK_SL_EUlSY_E0_NS1_11comp_targetILNS1_3genE4ELNS1_11target_archE910ELNS1_3gpuE8ELNS1_3repE0EEENS1_38merge_mergepath_config_static_selectorELNS0_4arch9wavefront6targetE0EEEvSK_.num_named_barrier, 0
	.set _ZN7rocprim17ROCPRIM_400000_NS6detail17trampoline_kernelINS0_14default_configENS1_38merge_sort_block_merge_config_selectorIsNS0_10empty_typeEEEZZNS1_27merge_sort_block_merge_implIS3_N6thrust23THRUST_200600_302600_NS6detail15normal_iteratorINS9_10device_ptrIsEEEEPS5_m9comp_mod3IsEEE10hipError_tT0_T1_T2_jT3_P12ihipStream_tbPNSt15iterator_traitsISJ_E10value_typeEPNSP_ISK_E10value_typeEPSL_NS1_7vsmem_tEENKUlT_SJ_SK_SL_E_clIPsSE_SF_SF_EESI_SY_SJ_SK_SL_EUlSY_E0_NS1_11comp_targetILNS1_3genE4ELNS1_11target_archE910ELNS1_3gpuE8ELNS1_3repE0EEENS1_38merge_mergepath_config_static_selectorELNS0_4arch9wavefront6targetE0EEEvSK_.private_seg_size, 0
	.set _ZN7rocprim17ROCPRIM_400000_NS6detail17trampoline_kernelINS0_14default_configENS1_38merge_sort_block_merge_config_selectorIsNS0_10empty_typeEEEZZNS1_27merge_sort_block_merge_implIS3_N6thrust23THRUST_200600_302600_NS6detail15normal_iteratorINS9_10device_ptrIsEEEEPS5_m9comp_mod3IsEEE10hipError_tT0_T1_T2_jT3_P12ihipStream_tbPNSt15iterator_traitsISJ_E10value_typeEPNSP_ISK_E10value_typeEPSL_NS1_7vsmem_tEENKUlT_SJ_SK_SL_E_clIPsSE_SF_SF_EESI_SY_SJ_SK_SL_EUlSY_E0_NS1_11comp_targetILNS1_3genE4ELNS1_11target_archE910ELNS1_3gpuE8ELNS1_3repE0EEENS1_38merge_mergepath_config_static_selectorELNS0_4arch9wavefront6targetE0EEEvSK_.uses_vcc, 0
	.set _ZN7rocprim17ROCPRIM_400000_NS6detail17trampoline_kernelINS0_14default_configENS1_38merge_sort_block_merge_config_selectorIsNS0_10empty_typeEEEZZNS1_27merge_sort_block_merge_implIS3_N6thrust23THRUST_200600_302600_NS6detail15normal_iteratorINS9_10device_ptrIsEEEEPS5_m9comp_mod3IsEEE10hipError_tT0_T1_T2_jT3_P12ihipStream_tbPNSt15iterator_traitsISJ_E10value_typeEPNSP_ISK_E10value_typeEPSL_NS1_7vsmem_tEENKUlT_SJ_SK_SL_E_clIPsSE_SF_SF_EESI_SY_SJ_SK_SL_EUlSY_E0_NS1_11comp_targetILNS1_3genE4ELNS1_11target_archE910ELNS1_3gpuE8ELNS1_3repE0EEENS1_38merge_mergepath_config_static_selectorELNS0_4arch9wavefront6targetE0EEEvSK_.uses_flat_scratch, 0
	.set _ZN7rocprim17ROCPRIM_400000_NS6detail17trampoline_kernelINS0_14default_configENS1_38merge_sort_block_merge_config_selectorIsNS0_10empty_typeEEEZZNS1_27merge_sort_block_merge_implIS3_N6thrust23THRUST_200600_302600_NS6detail15normal_iteratorINS9_10device_ptrIsEEEEPS5_m9comp_mod3IsEEE10hipError_tT0_T1_T2_jT3_P12ihipStream_tbPNSt15iterator_traitsISJ_E10value_typeEPNSP_ISK_E10value_typeEPSL_NS1_7vsmem_tEENKUlT_SJ_SK_SL_E_clIPsSE_SF_SF_EESI_SY_SJ_SK_SL_EUlSY_E0_NS1_11comp_targetILNS1_3genE4ELNS1_11target_archE910ELNS1_3gpuE8ELNS1_3repE0EEENS1_38merge_mergepath_config_static_selectorELNS0_4arch9wavefront6targetE0EEEvSK_.has_dyn_sized_stack, 0
	.set _ZN7rocprim17ROCPRIM_400000_NS6detail17trampoline_kernelINS0_14default_configENS1_38merge_sort_block_merge_config_selectorIsNS0_10empty_typeEEEZZNS1_27merge_sort_block_merge_implIS3_N6thrust23THRUST_200600_302600_NS6detail15normal_iteratorINS9_10device_ptrIsEEEEPS5_m9comp_mod3IsEEE10hipError_tT0_T1_T2_jT3_P12ihipStream_tbPNSt15iterator_traitsISJ_E10value_typeEPNSP_ISK_E10value_typeEPSL_NS1_7vsmem_tEENKUlT_SJ_SK_SL_E_clIPsSE_SF_SF_EESI_SY_SJ_SK_SL_EUlSY_E0_NS1_11comp_targetILNS1_3genE4ELNS1_11target_archE910ELNS1_3gpuE8ELNS1_3repE0EEENS1_38merge_mergepath_config_static_selectorELNS0_4arch9wavefront6targetE0EEEvSK_.has_recursion, 0
	.set _ZN7rocprim17ROCPRIM_400000_NS6detail17trampoline_kernelINS0_14default_configENS1_38merge_sort_block_merge_config_selectorIsNS0_10empty_typeEEEZZNS1_27merge_sort_block_merge_implIS3_N6thrust23THRUST_200600_302600_NS6detail15normal_iteratorINS9_10device_ptrIsEEEEPS5_m9comp_mod3IsEEE10hipError_tT0_T1_T2_jT3_P12ihipStream_tbPNSt15iterator_traitsISJ_E10value_typeEPNSP_ISK_E10value_typeEPSL_NS1_7vsmem_tEENKUlT_SJ_SK_SL_E_clIPsSE_SF_SF_EESI_SY_SJ_SK_SL_EUlSY_E0_NS1_11comp_targetILNS1_3genE4ELNS1_11target_archE910ELNS1_3gpuE8ELNS1_3repE0EEENS1_38merge_mergepath_config_static_selectorELNS0_4arch9wavefront6targetE0EEEvSK_.has_indirect_call, 0
	.section	.AMDGPU.csdata,"",@progbits
; Kernel info:
; codeLenInByte = 0
; TotalNumSgprs: 0
; NumVgprs: 0
; ScratchSize: 0
; MemoryBound: 0
; FloatMode: 240
; IeeeMode: 1
; LDSByteSize: 0 bytes/workgroup (compile time only)
; SGPRBlocks: 0
; VGPRBlocks: 0
; NumSGPRsForWavesPerEU: 1
; NumVGPRsForWavesPerEU: 1
; Occupancy: 16
; WaveLimiterHint : 0
; COMPUTE_PGM_RSRC2:SCRATCH_EN: 0
; COMPUTE_PGM_RSRC2:USER_SGPR: 6
; COMPUTE_PGM_RSRC2:TRAP_HANDLER: 0
; COMPUTE_PGM_RSRC2:TGID_X_EN: 1
; COMPUTE_PGM_RSRC2:TGID_Y_EN: 0
; COMPUTE_PGM_RSRC2:TGID_Z_EN: 0
; COMPUTE_PGM_RSRC2:TIDIG_COMP_CNT: 0
	.section	.text._ZN7rocprim17ROCPRIM_400000_NS6detail17trampoline_kernelINS0_14default_configENS1_38merge_sort_block_merge_config_selectorIsNS0_10empty_typeEEEZZNS1_27merge_sort_block_merge_implIS3_N6thrust23THRUST_200600_302600_NS6detail15normal_iteratorINS9_10device_ptrIsEEEEPS5_m9comp_mod3IsEEE10hipError_tT0_T1_T2_jT3_P12ihipStream_tbPNSt15iterator_traitsISJ_E10value_typeEPNSP_ISK_E10value_typeEPSL_NS1_7vsmem_tEENKUlT_SJ_SK_SL_E_clIPsSE_SF_SF_EESI_SY_SJ_SK_SL_EUlSY_E0_NS1_11comp_targetILNS1_3genE3ELNS1_11target_archE908ELNS1_3gpuE7ELNS1_3repE0EEENS1_38merge_mergepath_config_static_selectorELNS0_4arch9wavefront6targetE0EEEvSK_,"axG",@progbits,_ZN7rocprim17ROCPRIM_400000_NS6detail17trampoline_kernelINS0_14default_configENS1_38merge_sort_block_merge_config_selectorIsNS0_10empty_typeEEEZZNS1_27merge_sort_block_merge_implIS3_N6thrust23THRUST_200600_302600_NS6detail15normal_iteratorINS9_10device_ptrIsEEEEPS5_m9comp_mod3IsEEE10hipError_tT0_T1_T2_jT3_P12ihipStream_tbPNSt15iterator_traitsISJ_E10value_typeEPNSP_ISK_E10value_typeEPSL_NS1_7vsmem_tEENKUlT_SJ_SK_SL_E_clIPsSE_SF_SF_EESI_SY_SJ_SK_SL_EUlSY_E0_NS1_11comp_targetILNS1_3genE3ELNS1_11target_archE908ELNS1_3gpuE7ELNS1_3repE0EEENS1_38merge_mergepath_config_static_selectorELNS0_4arch9wavefront6targetE0EEEvSK_,comdat
	.protected	_ZN7rocprim17ROCPRIM_400000_NS6detail17trampoline_kernelINS0_14default_configENS1_38merge_sort_block_merge_config_selectorIsNS0_10empty_typeEEEZZNS1_27merge_sort_block_merge_implIS3_N6thrust23THRUST_200600_302600_NS6detail15normal_iteratorINS9_10device_ptrIsEEEEPS5_m9comp_mod3IsEEE10hipError_tT0_T1_T2_jT3_P12ihipStream_tbPNSt15iterator_traitsISJ_E10value_typeEPNSP_ISK_E10value_typeEPSL_NS1_7vsmem_tEENKUlT_SJ_SK_SL_E_clIPsSE_SF_SF_EESI_SY_SJ_SK_SL_EUlSY_E0_NS1_11comp_targetILNS1_3genE3ELNS1_11target_archE908ELNS1_3gpuE7ELNS1_3repE0EEENS1_38merge_mergepath_config_static_selectorELNS0_4arch9wavefront6targetE0EEEvSK_ ; -- Begin function _ZN7rocprim17ROCPRIM_400000_NS6detail17trampoline_kernelINS0_14default_configENS1_38merge_sort_block_merge_config_selectorIsNS0_10empty_typeEEEZZNS1_27merge_sort_block_merge_implIS3_N6thrust23THRUST_200600_302600_NS6detail15normal_iteratorINS9_10device_ptrIsEEEEPS5_m9comp_mod3IsEEE10hipError_tT0_T1_T2_jT3_P12ihipStream_tbPNSt15iterator_traitsISJ_E10value_typeEPNSP_ISK_E10value_typeEPSL_NS1_7vsmem_tEENKUlT_SJ_SK_SL_E_clIPsSE_SF_SF_EESI_SY_SJ_SK_SL_EUlSY_E0_NS1_11comp_targetILNS1_3genE3ELNS1_11target_archE908ELNS1_3gpuE7ELNS1_3repE0EEENS1_38merge_mergepath_config_static_selectorELNS0_4arch9wavefront6targetE0EEEvSK_
	.globl	_ZN7rocprim17ROCPRIM_400000_NS6detail17trampoline_kernelINS0_14default_configENS1_38merge_sort_block_merge_config_selectorIsNS0_10empty_typeEEEZZNS1_27merge_sort_block_merge_implIS3_N6thrust23THRUST_200600_302600_NS6detail15normal_iteratorINS9_10device_ptrIsEEEEPS5_m9comp_mod3IsEEE10hipError_tT0_T1_T2_jT3_P12ihipStream_tbPNSt15iterator_traitsISJ_E10value_typeEPNSP_ISK_E10value_typeEPSL_NS1_7vsmem_tEENKUlT_SJ_SK_SL_E_clIPsSE_SF_SF_EESI_SY_SJ_SK_SL_EUlSY_E0_NS1_11comp_targetILNS1_3genE3ELNS1_11target_archE908ELNS1_3gpuE7ELNS1_3repE0EEENS1_38merge_mergepath_config_static_selectorELNS0_4arch9wavefront6targetE0EEEvSK_
	.p2align	8
	.type	_ZN7rocprim17ROCPRIM_400000_NS6detail17trampoline_kernelINS0_14default_configENS1_38merge_sort_block_merge_config_selectorIsNS0_10empty_typeEEEZZNS1_27merge_sort_block_merge_implIS3_N6thrust23THRUST_200600_302600_NS6detail15normal_iteratorINS9_10device_ptrIsEEEEPS5_m9comp_mod3IsEEE10hipError_tT0_T1_T2_jT3_P12ihipStream_tbPNSt15iterator_traitsISJ_E10value_typeEPNSP_ISK_E10value_typeEPSL_NS1_7vsmem_tEENKUlT_SJ_SK_SL_E_clIPsSE_SF_SF_EESI_SY_SJ_SK_SL_EUlSY_E0_NS1_11comp_targetILNS1_3genE3ELNS1_11target_archE908ELNS1_3gpuE7ELNS1_3repE0EEENS1_38merge_mergepath_config_static_selectorELNS0_4arch9wavefront6targetE0EEEvSK_,@function
_ZN7rocprim17ROCPRIM_400000_NS6detail17trampoline_kernelINS0_14default_configENS1_38merge_sort_block_merge_config_selectorIsNS0_10empty_typeEEEZZNS1_27merge_sort_block_merge_implIS3_N6thrust23THRUST_200600_302600_NS6detail15normal_iteratorINS9_10device_ptrIsEEEEPS5_m9comp_mod3IsEEE10hipError_tT0_T1_T2_jT3_P12ihipStream_tbPNSt15iterator_traitsISJ_E10value_typeEPNSP_ISK_E10value_typeEPSL_NS1_7vsmem_tEENKUlT_SJ_SK_SL_E_clIPsSE_SF_SF_EESI_SY_SJ_SK_SL_EUlSY_E0_NS1_11comp_targetILNS1_3genE3ELNS1_11target_archE908ELNS1_3gpuE7ELNS1_3repE0EEENS1_38merge_mergepath_config_static_selectorELNS0_4arch9wavefront6targetE0EEEvSK_: ; @_ZN7rocprim17ROCPRIM_400000_NS6detail17trampoline_kernelINS0_14default_configENS1_38merge_sort_block_merge_config_selectorIsNS0_10empty_typeEEEZZNS1_27merge_sort_block_merge_implIS3_N6thrust23THRUST_200600_302600_NS6detail15normal_iteratorINS9_10device_ptrIsEEEEPS5_m9comp_mod3IsEEE10hipError_tT0_T1_T2_jT3_P12ihipStream_tbPNSt15iterator_traitsISJ_E10value_typeEPNSP_ISK_E10value_typeEPSL_NS1_7vsmem_tEENKUlT_SJ_SK_SL_E_clIPsSE_SF_SF_EESI_SY_SJ_SK_SL_EUlSY_E0_NS1_11comp_targetILNS1_3genE3ELNS1_11target_archE908ELNS1_3gpuE7ELNS1_3repE0EEENS1_38merge_mergepath_config_static_selectorELNS0_4arch9wavefront6targetE0EEEvSK_
; %bb.0:
	.section	.rodata,"a",@progbits
	.p2align	6, 0x0
	.amdhsa_kernel _ZN7rocprim17ROCPRIM_400000_NS6detail17trampoline_kernelINS0_14default_configENS1_38merge_sort_block_merge_config_selectorIsNS0_10empty_typeEEEZZNS1_27merge_sort_block_merge_implIS3_N6thrust23THRUST_200600_302600_NS6detail15normal_iteratorINS9_10device_ptrIsEEEEPS5_m9comp_mod3IsEEE10hipError_tT0_T1_T2_jT3_P12ihipStream_tbPNSt15iterator_traitsISJ_E10value_typeEPNSP_ISK_E10value_typeEPSL_NS1_7vsmem_tEENKUlT_SJ_SK_SL_E_clIPsSE_SF_SF_EESI_SY_SJ_SK_SL_EUlSY_E0_NS1_11comp_targetILNS1_3genE3ELNS1_11target_archE908ELNS1_3gpuE7ELNS1_3repE0EEENS1_38merge_mergepath_config_static_selectorELNS0_4arch9wavefront6targetE0EEEvSK_
		.amdhsa_group_segment_fixed_size 0
		.amdhsa_private_segment_fixed_size 0
		.amdhsa_kernarg_size 80
		.amdhsa_user_sgpr_count 6
		.amdhsa_user_sgpr_private_segment_buffer 1
		.amdhsa_user_sgpr_dispatch_ptr 0
		.amdhsa_user_sgpr_queue_ptr 0
		.amdhsa_user_sgpr_kernarg_segment_ptr 1
		.amdhsa_user_sgpr_dispatch_id 0
		.amdhsa_user_sgpr_flat_scratch_init 0
		.amdhsa_user_sgpr_private_segment_size 0
		.amdhsa_wavefront_size32 1
		.amdhsa_uses_dynamic_stack 0
		.amdhsa_system_sgpr_private_segment_wavefront_offset 0
		.amdhsa_system_sgpr_workgroup_id_x 1
		.amdhsa_system_sgpr_workgroup_id_y 0
		.amdhsa_system_sgpr_workgroup_id_z 0
		.amdhsa_system_sgpr_workgroup_info 0
		.amdhsa_system_vgpr_workitem_id 0
		.amdhsa_next_free_vgpr 1
		.amdhsa_next_free_sgpr 1
		.amdhsa_reserve_vcc 0
		.amdhsa_reserve_flat_scratch 0
		.amdhsa_float_round_mode_32 0
		.amdhsa_float_round_mode_16_64 0
		.amdhsa_float_denorm_mode_32 3
		.amdhsa_float_denorm_mode_16_64 3
		.amdhsa_dx10_clamp 1
		.amdhsa_ieee_mode 1
		.amdhsa_fp16_overflow 0
		.amdhsa_workgroup_processor_mode 1
		.amdhsa_memory_ordered 1
		.amdhsa_forward_progress 1
		.amdhsa_shared_vgpr_count 0
		.amdhsa_exception_fp_ieee_invalid_op 0
		.amdhsa_exception_fp_denorm_src 0
		.amdhsa_exception_fp_ieee_div_zero 0
		.amdhsa_exception_fp_ieee_overflow 0
		.amdhsa_exception_fp_ieee_underflow 0
		.amdhsa_exception_fp_ieee_inexact 0
		.amdhsa_exception_int_div_zero 0
	.end_amdhsa_kernel
	.section	.text._ZN7rocprim17ROCPRIM_400000_NS6detail17trampoline_kernelINS0_14default_configENS1_38merge_sort_block_merge_config_selectorIsNS0_10empty_typeEEEZZNS1_27merge_sort_block_merge_implIS3_N6thrust23THRUST_200600_302600_NS6detail15normal_iteratorINS9_10device_ptrIsEEEEPS5_m9comp_mod3IsEEE10hipError_tT0_T1_T2_jT3_P12ihipStream_tbPNSt15iterator_traitsISJ_E10value_typeEPNSP_ISK_E10value_typeEPSL_NS1_7vsmem_tEENKUlT_SJ_SK_SL_E_clIPsSE_SF_SF_EESI_SY_SJ_SK_SL_EUlSY_E0_NS1_11comp_targetILNS1_3genE3ELNS1_11target_archE908ELNS1_3gpuE7ELNS1_3repE0EEENS1_38merge_mergepath_config_static_selectorELNS0_4arch9wavefront6targetE0EEEvSK_,"axG",@progbits,_ZN7rocprim17ROCPRIM_400000_NS6detail17trampoline_kernelINS0_14default_configENS1_38merge_sort_block_merge_config_selectorIsNS0_10empty_typeEEEZZNS1_27merge_sort_block_merge_implIS3_N6thrust23THRUST_200600_302600_NS6detail15normal_iteratorINS9_10device_ptrIsEEEEPS5_m9comp_mod3IsEEE10hipError_tT0_T1_T2_jT3_P12ihipStream_tbPNSt15iterator_traitsISJ_E10value_typeEPNSP_ISK_E10value_typeEPSL_NS1_7vsmem_tEENKUlT_SJ_SK_SL_E_clIPsSE_SF_SF_EESI_SY_SJ_SK_SL_EUlSY_E0_NS1_11comp_targetILNS1_3genE3ELNS1_11target_archE908ELNS1_3gpuE7ELNS1_3repE0EEENS1_38merge_mergepath_config_static_selectorELNS0_4arch9wavefront6targetE0EEEvSK_,comdat
.Lfunc_end1058:
	.size	_ZN7rocprim17ROCPRIM_400000_NS6detail17trampoline_kernelINS0_14default_configENS1_38merge_sort_block_merge_config_selectorIsNS0_10empty_typeEEEZZNS1_27merge_sort_block_merge_implIS3_N6thrust23THRUST_200600_302600_NS6detail15normal_iteratorINS9_10device_ptrIsEEEEPS5_m9comp_mod3IsEEE10hipError_tT0_T1_T2_jT3_P12ihipStream_tbPNSt15iterator_traitsISJ_E10value_typeEPNSP_ISK_E10value_typeEPSL_NS1_7vsmem_tEENKUlT_SJ_SK_SL_E_clIPsSE_SF_SF_EESI_SY_SJ_SK_SL_EUlSY_E0_NS1_11comp_targetILNS1_3genE3ELNS1_11target_archE908ELNS1_3gpuE7ELNS1_3repE0EEENS1_38merge_mergepath_config_static_selectorELNS0_4arch9wavefront6targetE0EEEvSK_, .Lfunc_end1058-_ZN7rocprim17ROCPRIM_400000_NS6detail17trampoline_kernelINS0_14default_configENS1_38merge_sort_block_merge_config_selectorIsNS0_10empty_typeEEEZZNS1_27merge_sort_block_merge_implIS3_N6thrust23THRUST_200600_302600_NS6detail15normal_iteratorINS9_10device_ptrIsEEEEPS5_m9comp_mod3IsEEE10hipError_tT0_T1_T2_jT3_P12ihipStream_tbPNSt15iterator_traitsISJ_E10value_typeEPNSP_ISK_E10value_typeEPSL_NS1_7vsmem_tEENKUlT_SJ_SK_SL_E_clIPsSE_SF_SF_EESI_SY_SJ_SK_SL_EUlSY_E0_NS1_11comp_targetILNS1_3genE3ELNS1_11target_archE908ELNS1_3gpuE7ELNS1_3repE0EEENS1_38merge_mergepath_config_static_selectorELNS0_4arch9wavefront6targetE0EEEvSK_
                                        ; -- End function
	.set _ZN7rocprim17ROCPRIM_400000_NS6detail17trampoline_kernelINS0_14default_configENS1_38merge_sort_block_merge_config_selectorIsNS0_10empty_typeEEEZZNS1_27merge_sort_block_merge_implIS3_N6thrust23THRUST_200600_302600_NS6detail15normal_iteratorINS9_10device_ptrIsEEEEPS5_m9comp_mod3IsEEE10hipError_tT0_T1_T2_jT3_P12ihipStream_tbPNSt15iterator_traitsISJ_E10value_typeEPNSP_ISK_E10value_typeEPSL_NS1_7vsmem_tEENKUlT_SJ_SK_SL_E_clIPsSE_SF_SF_EESI_SY_SJ_SK_SL_EUlSY_E0_NS1_11comp_targetILNS1_3genE3ELNS1_11target_archE908ELNS1_3gpuE7ELNS1_3repE0EEENS1_38merge_mergepath_config_static_selectorELNS0_4arch9wavefront6targetE0EEEvSK_.num_vgpr, 0
	.set _ZN7rocprim17ROCPRIM_400000_NS6detail17trampoline_kernelINS0_14default_configENS1_38merge_sort_block_merge_config_selectorIsNS0_10empty_typeEEEZZNS1_27merge_sort_block_merge_implIS3_N6thrust23THRUST_200600_302600_NS6detail15normal_iteratorINS9_10device_ptrIsEEEEPS5_m9comp_mod3IsEEE10hipError_tT0_T1_T2_jT3_P12ihipStream_tbPNSt15iterator_traitsISJ_E10value_typeEPNSP_ISK_E10value_typeEPSL_NS1_7vsmem_tEENKUlT_SJ_SK_SL_E_clIPsSE_SF_SF_EESI_SY_SJ_SK_SL_EUlSY_E0_NS1_11comp_targetILNS1_3genE3ELNS1_11target_archE908ELNS1_3gpuE7ELNS1_3repE0EEENS1_38merge_mergepath_config_static_selectorELNS0_4arch9wavefront6targetE0EEEvSK_.num_agpr, 0
	.set _ZN7rocprim17ROCPRIM_400000_NS6detail17trampoline_kernelINS0_14default_configENS1_38merge_sort_block_merge_config_selectorIsNS0_10empty_typeEEEZZNS1_27merge_sort_block_merge_implIS3_N6thrust23THRUST_200600_302600_NS6detail15normal_iteratorINS9_10device_ptrIsEEEEPS5_m9comp_mod3IsEEE10hipError_tT0_T1_T2_jT3_P12ihipStream_tbPNSt15iterator_traitsISJ_E10value_typeEPNSP_ISK_E10value_typeEPSL_NS1_7vsmem_tEENKUlT_SJ_SK_SL_E_clIPsSE_SF_SF_EESI_SY_SJ_SK_SL_EUlSY_E0_NS1_11comp_targetILNS1_3genE3ELNS1_11target_archE908ELNS1_3gpuE7ELNS1_3repE0EEENS1_38merge_mergepath_config_static_selectorELNS0_4arch9wavefront6targetE0EEEvSK_.numbered_sgpr, 0
	.set _ZN7rocprim17ROCPRIM_400000_NS6detail17trampoline_kernelINS0_14default_configENS1_38merge_sort_block_merge_config_selectorIsNS0_10empty_typeEEEZZNS1_27merge_sort_block_merge_implIS3_N6thrust23THRUST_200600_302600_NS6detail15normal_iteratorINS9_10device_ptrIsEEEEPS5_m9comp_mod3IsEEE10hipError_tT0_T1_T2_jT3_P12ihipStream_tbPNSt15iterator_traitsISJ_E10value_typeEPNSP_ISK_E10value_typeEPSL_NS1_7vsmem_tEENKUlT_SJ_SK_SL_E_clIPsSE_SF_SF_EESI_SY_SJ_SK_SL_EUlSY_E0_NS1_11comp_targetILNS1_3genE3ELNS1_11target_archE908ELNS1_3gpuE7ELNS1_3repE0EEENS1_38merge_mergepath_config_static_selectorELNS0_4arch9wavefront6targetE0EEEvSK_.num_named_barrier, 0
	.set _ZN7rocprim17ROCPRIM_400000_NS6detail17trampoline_kernelINS0_14default_configENS1_38merge_sort_block_merge_config_selectorIsNS0_10empty_typeEEEZZNS1_27merge_sort_block_merge_implIS3_N6thrust23THRUST_200600_302600_NS6detail15normal_iteratorINS9_10device_ptrIsEEEEPS5_m9comp_mod3IsEEE10hipError_tT0_T1_T2_jT3_P12ihipStream_tbPNSt15iterator_traitsISJ_E10value_typeEPNSP_ISK_E10value_typeEPSL_NS1_7vsmem_tEENKUlT_SJ_SK_SL_E_clIPsSE_SF_SF_EESI_SY_SJ_SK_SL_EUlSY_E0_NS1_11comp_targetILNS1_3genE3ELNS1_11target_archE908ELNS1_3gpuE7ELNS1_3repE0EEENS1_38merge_mergepath_config_static_selectorELNS0_4arch9wavefront6targetE0EEEvSK_.private_seg_size, 0
	.set _ZN7rocprim17ROCPRIM_400000_NS6detail17trampoline_kernelINS0_14default_configENS1_38merge_sort_block_merge_config_selectorIsNS0_10empty_typeEEEZZNS1_27merge_sort_block_merge_implIS3_N6thrust23THRUST_200600_302600_NS6detail15normal_iteratorINS9_10device_ptrIsEEEEPS5_m9comp_mod3IsEEE10hipError_tT0_T1_T2_jT3_P12ihipStream_tbPNSt15iterator_traitsISJ_E10value_typeEPNSP_ISK_E10value_typeEPSL_NS1_7vsmem_tEENKUlT_SJ_SK_SL_E_clIPsSE_SF_SF_EESI_SY_SJ_SK_SL_EUlSY_E0_NS1_11comp_targetILNS1_3genE3ELNS1_11target_archE908ELNS1_3gpuE7ELNS1_3repE0EEENS1_38merge_mergepath_config_static_selectorELNS0_4arch9wavefront6targetE0EEEvSK_.uses_vcc, 0
	.set _ZN7rocprim17ROCPRIM_400000_NS6detail17trampoline_kernelINS0_14default_configENS1_38merge_sort_block_merge_config_selectorIsNS0_10empty_typeEEEZZNS1_27merge_sort_block_merge_implIS3_N6thrust23THRUST_200600_302600_NS6detail15normal_iteratorINS9_10device_ptrIsEEEEPS5_m9comp_mod3IsEEE10hipError_tT0_T1_T2_jT3_P12ihipStream_tbPNSt15iterator_traitsISJ_E10value_typeEPNSP_ISK_E10value_typeEPSL_NS1_7vsmem_tEENKUlT_SJ_SK_SL_E_clIPsSE_SF_SF_EESI_SY_SJ_SK_SL_EUlSY_E0_NS1_11comp_targetILNS1_3genE3ELNS1_11target_archE908ELNS1_3gpuE7ELNS1_3repE0EEENS1_38merge_mergepath_config_static_selectorELNS0_4arch9wavefront6targetE0EEEvSK_.uses_flat_scratch, 0
	.set _ZN7rocprim17ROCPRIM_400000_NS6detail17trampoline_kernelINS0_14default_configENS1_38merge_sort_block_merge_config_selectorIsNS0_10empty_typeEEEZZNS1_27merge_sort_block_merge_implIS3_N6thrust23THRUST_200600_302600_NS6detail15normal_iteratorINS9_10device_ptrIsEEEEPS5_m9comp_mod3IsEEE10hipError_tT0_T1_T2_jT3_P12ihipStream_tbPNSt15iterator_traitsISJ_E10value_typeEPNSP_ISK_E10value_typeEPSL_NS1_7vsmem_tEENKUlT_SJ_SK_SL_E_clIPsSE_SF_SF_EESI_SY_SJ_SK_SL_EUlSY_E0_NS1_11comp_targetILNS1_3genE3ELNS1_11target_archE908ELNS1_3gpuE7ELNS1_3repE0EEENS1_38merge_mergepath_config_static_selectorELNS0_4arch9wavefront6targetE0EEEvSK_.has_dyn_sized_stack, 0
	.set _ZN7rocprim17ROCPRIM_400000_NS6detail17trampoline_kernelINS0_14default_configENS1_38merge_sort_block_merge_config_selectorIsNS0_10empty_typeEEEZZNS1_27merge_sort_block_merge_implIS3_N6thrust23THRUST_200600_302600_NS6detail15normal_iteratorINS9_10device_ptrIsEEEEPS5_m9comp_mod3IsEEE10hipError_tT0_T1_T2_jT3_P12ihipStream_tbPNSt15iterator_traitsISJ_E10value_typeEPNSP_ISK_E10value_typeEPSL_NS1_7vsmem_tEENKUlT_SJ_SK_SL_E_clIPsSE_SF_SF_EESI_SY_SJ_SK_SL_EUlSY_E0_NS1_11comp_targetILNS1_3genE3ELNS1_11target_archE908ELNS1_3gpuE7ELNS1_3repE0EEENS1_38merge_mergepath_config_static_selectorELNS0_4arch9wavefront6targetE0EEEvSK_.has_recursion, 0
	.set _ZN7rocprim17ROCPRIM_400000_NS6detail17trampoline_kernelINS0_14default_configENS1_38merge_sort_block_merge_config_selectorIsNS0_10empty_typeEEEZZNS1_27merge_sort_block_merge_implIS3_N6thrust23THRUST_200600_302600_NS6detail15normal_iteratorINS9_10device_ptrIsEEEEPS5_m9comp_mod3IsEEE10hipError_tT0_T1_T2_jT3_P12ihipStream_tbPNSt15iterator_traitsISJ_E10value_typeEPNSP_ISK_E10value_typeEPSL_NS1_7vsmem_tEENKUlT_SJ_SK_SL_E_clIPsSE_SF_SF_EESI_SY_SJ_SK_SL_EUlSY_E0_NS1_11comp_targetILNS1_3genE3ELNS1_11target_archE908ELNS1_3gpuE7ELNS1_3repE0EEENS1_38merge_mergepath_config_static_selectorELNS0_4arch9wavefront6targetE0EEEvSK_.has_indirect_call, 0
	.section	.AMDGPU.csdata,"",@progbits
; Kernel info:
; codeLenInByte = 0
; TotalNumSgprs: 0
; NumVgprs: 0
; ScratchSize: 0
; MemoryBound: 0
; FloatMode: 240
; IeeeMode: 1
; LDSByteSize: 0 bytes/workgroup (compile time only)
; SGPRBlocks: 0
; VGPRBlocks: 0
; NumSGPRsForWavesPerEU: 1
; NumVGPRsForWavesPerEU: 1
; Occupancy: 16
; WaveLimiterHint : 0
; COMPUTE_PGM_RSRC2:SCRATCH_EN: 0
; COMPUTE_PGM_RSRC2:USER_SGPR: 6
; COMPUTE_PGM_RSRC2:TRAP_HANDLER: 0
; COMPUTE_PGM_RSRC2:TGID_X_EN: 1
; COMPUTE_PGM_RSRC2:TGID_Y_EN: 0
; COMPUTE_PGM_RSRC2:TGID_Z_EN: 0
; COMPUTE_PGM_RSRC2:TIDIG_COMP_CNT: 0
	.section	.text._ZN7rocprim17ROCPRIM_400000_NS6detail17trampoline_kernelINS0_14default_configENS1_38merge_sort_block_merge_config_selectorIsNS0_10empty_typeEEEZZNS1_27merge_sort_block_merge_implIS3_N6thrust23THRUST_200600_302600_NS6detail15normal_iteratorINS9_10device_ptrIsEEEEPS5_m9comp_mod3IsEEE10hipError_tT0_T1_T2_jT3_P12ihipStream_tbPNSt15iterator_traitsISJ_E10value_typeEPNSP_ISK_E10value_typeEPSL_NS1_7vsmem_tEENKUlT_SJ_SK_SL_E_clIPsSE_SF_SF_EESI_SY_SJ_SK_SL_EUlSY_E0_NS1_11comp_targetILNS1_3genE2ELNS1_11target_archE906ELNS1_3gpuE6ELNS1_3repE0EEENS1_38merge_mergepath_config_static_selectorELNS0_4arch9wavefront6targetE0EEEvSK_,"axG",@progbits,_ZN7rocprim17ROCPRIM_400000_NS6detail17trampoline_kernelINS0_14default_configENS1_38merge_sort_block_merge_config_selectorIsNS0_10empty_typeEEEZZNS1_27merge_sort_block_merge_implIS3_N6thrust23THRUST_200600_302600_NS6detail15normal_iteratorINS9_10device_ptrIsEEEEPS5_m9comp_mod3IsEEE10hipError_tT0_T1_T2_jT3_P12ihipStream_tbPNSt15iterator_traitsISJ_E10value_typeEPNSP_ISK_E10value_typeEPSL_NS1_7vsmem_tEENKUlT_SJ_SK_SL_E_clIPsSE_SF_SF_EESI_SY_SJ_SK_SL_EUlSY_E0_NS1_11comp_targetILNS1_3genE2ELNS1_11target_archE906ELNS1_3gpuE6ELNS1_3repE0EEENS1_38merge_mergepath_config_static_selectorELNS0_4arch9wavefront6targetE0EEEvSK_,comdat
	.protected	_ZN7rocprim17ROCPRIM_400000_NS6detail17trampoline_kernelINS0_14default_configENS1_38merge_sort_block_merge_config_selectorIsNS0_10empty_typeEEEZZNS1_27merge_sort_block_merge_implIS3_N6thrust23THRUST_200600_302600_NS6detail15normal_iteratorINS9_10device_ptrIsEEEEPS5_m9comp_mod3IsEEE10hipError_tT0_T1_T2_jT3_P12ihipStream_tbPNSt15iterator_traitsISJ_E10value_typeEPNSP_ISK_E10value_typeEPSL_NS1_7vsmem_tEENKUlT_SJ_SK_SL_E_clIPsSE_SF_SF_EESI_SY_SJ_SK_SL_EUlSY_E0_NS1_11comp_targetILNS1_3genE2ELNS1_11target_archE906ELNS1_3gpuE6ELNS1_3repE0EEENS1_38merge_mergepath_config_static_selectorELNS0_4arch9wavefront6targetE0EEEvSK_ ; -- Begin function _ZN7rocprim17ROCPRIM_400000_NS6detail17trampoline_kernelINS0_14default_configENS1_38merge_sort_block_merge_config_selectorIsNS0_10empty_typeEEEZZNS1_27merge_sort_block_merge_implIS3_N6thrust23THRUST_200600_302600_NS6detail15normal_iteratorINS9_10device_ptrIsEEEEPS5_m9comp_mod3IsEEE10hipError_tT0_T1_T2_jT3_P12ihipStream_tbPNSt15iterator_traitsISJ_E10value_typeEPNSP_ISK_E10value_typeEPSL_NS1_7vsmem_tEENKUlT_SJ_SK_SL_E_clIPsSE_SF_SF_EESI_SY_SJ_SK_SL_EUlSY_E0_NS1_11comp_targetILNS1_3genE2ELNS1_11target_archE906ELNS1_3gpuE6ELNS1_3repE0EEENS1_38merge_mergepath_config_static_selectorELNS0_4arch9wavefront6targetE0EEEvSK_
	.globl	_ZN7rocprim17ROCPRIM_400000_NS6detail17trampoline_kernelINS0_14default_configENS1_38merge_sort_block_merge_config_selectorIsNS0_10empty_typeEEEZZNS1_27merge_sort_block_merge_implIS3_N6thrust23THRUST_200600_302600_NS6detail15normal_iteratorINS9_10device_ptrIsEEEEPS5_m9comp_mod3IsEEE10hipError_tT0_T1_T2_jT3_P12ihipStream_tbPNSt15iterator_traitsISJ_E10value_typeEPNSP_ISK_E10value_typeEPSL_NS1_7vsmem_tEENKUlT_SJ_SK_SL_E_clIPsSE_SF_SF_EESI_SY_SJ_SK_SL_EUlSY_E0_NS1_11comp_targetILNS1_3genE2ELNS1_11target_archE906ELNS1_3gpuE6ELNS1_3repE0EEENS1_38merge_mergepath_config_static_selectorELNS0_4arch9wavefront6targetE0EEEvSK_
	.p2align	8
	.type	_ZN7rocprim17ROCPRIM_400000_NS6detail17trampoline_kernelINS0_14default_configENS1_38merge_sort_block_merge_config_selectorIsNS0_10empty_typeEEEZZNS1_27merge_sort_block_merge_implIS3_N6thrust23THRUST_200600_302600_NS6detail15normal_iteratorINS9_10device_ptrIsEEEEPS5_m9comp_mod3IsEEE10hipError_tT0_T1_T2_jT3_P12ihipStream_tbPNSt15iterator_traitsISJ_E10value_typeEPNSP_ISK_E10value_typeEPSL_NS1_7vsmem_tEENKUlT_SJ_SK_SL_E_clIPsSE_SF_SF_EESI_SY_SJ_SK_SL_EUlSY_E0_NS1_11comp_targetILNS1_3genE2ELNS1_11target_archE906ELNS1_3gpuE6ELNS1_3repE0EEENS1_38merge_mergepath_config_static_selectorELNS0_4arch9wavefront6targetE0EEEvSK_,@function
_ZN7rocprim17ROCPRIM_400000_NS6detail17trampoline_kernelINS0_14default_configENS1_38merge_sort_block_merge_config_selectorIsNS0_10empty_typeEEEZZNS1_27merge_sort_block_merge_implIS3_N6thrust23THRUST_200600_302600_NS6detail15normal_iteratorINS9_10device_ptrIsEEEEPS5_m9comp_mod3IsEEE10hipError_tT0_T1_T2_jT3_P12ihipStream_tbPNSt15iterator_traitsISJ_E10value_typeEPNSP_ISK_E10value_typeEPSL_NS1_7vsmem_tEENKUlT_SJ_SK_SL_E_clIPsSE_SF_SF_EESI_SY_SJ_SK_SL_EUlSY_E0_NS1_11comp_targetILNS1_3genE2ELNS1_11target_archE906ELNS1_3gpuE6ELNS1_3repE0EEENS1_38merge_mergepath_config_static_selectorELNS0_4arch9wavefront6targetE0EEEvSK_: ; @_ZN7rocprim17ROCPRIM_400000_NS6detail17trampoline_kernelINS0_14default_configENS1_38merge_sort_block_merge_config_selectorIsNS0_10empty_typeEEEZZNS1_27merge_sort_block_merge_implIS3_N6thrust23THRUST_200600_302600_NS6detail15normal_iteratorINS9_10device_ptrIsEEEEPS5_m9comp_mod3IsEEE10hipError_tT0_T1_T2_jT3_P12ihipStream_tbPNSt15iterator_traitsISJ_E10value_typeEPNSP_ISK_E10value_typeEPSL_NS1_7vsmem_tEENKUlT_SJ_SK_SL_E_clIPsSE_SF_SF_EESI_SY_SJ_SK_SL_EUlSY_E0_NS1_11comp_targetILNS1_3genE2ELNS1_11target_archE906ELNS1_3gpuE6ELNS1_3repE0EEENS1_38merge_mergepath_config_static_selectorELNS0_4arch9wavefront6targetE0EEEvSK_
; %bb.0:
	.section	.rodata,"a",@progbits
	.p2align	6, 0x0
	.amdhsa_kernel _ZN7rocprim17ROCPRIM_400000_NS6detail17trampoline_kernelINS0_14default_configENS1_38merge_sort_block_merge_config_selectorIsNS0_10empty_typeEEEZZNS1_27merge_sort_block_merge_implIS3_N6thrust23THRUST_200600_302600_NS6detail15normal_iteratorINS9_10device_ptrIsEEEEPS5_m9comp_mod3IsEEE10hipError_tT0_T1_T2_jT3_P12ihipStream_tbPNSt15iterator_traitsISJ_E10value_typeEPNSP_ISK_E10value_typeEPSL_NS1_7vsmem_tEENKUlT_SJ_SK_SL_E_clIPsSE_SF_SF_EESI_SY_SJ_SK_SL_EUlSY_E0_NS1_11comp_targetILNS1_3genE2ELNS1_11target_archE906ELNS1_3gpuE6ELNS1_3repE0EEENS1_38merge_mergepath_config_static_selectorELNS0_4arch9wavefront6targetE0EEEvSK_
		.amdhsa_group_segment_fixed_size 0
		.amdhsa_private_segment_fixed_size 0
		.amdhsa_kernarg_size 80
		.amdhsa_user_sgpr_count 6
		.amdhsa_user_sgpr_private_segment_buffer 1
		.amdhsa_user_sgpr_dispatch_ptr 0
		.amdhsa_user_sgpr_queue_ptr 0
		.amdhsa_user_sgpr_kernarg_segment_ptr 1
		.amdhsa_user_sgpr_dispatch_id 0
		.amdhsa_user_sgpr_flat_scratch_init 0
		.amdhsa_user_sgpr_private_segment_size 0
		.amdhsa_wavefront_size32 1
		.amdhsa_uses_dynamic_stack 0
		.amdhsa_system_sgpr_private_segment_wavefront_offset 0
		.amdhsa_system_sgpr_workgroup_id_x 1
		.amdhsa_system_sgpr_workgroup_id_y 0
		.amdhsa_system_sgpr_workgroup_id_z 0
		.amdhsa_system_sgpr_workgroup_info 0
		.amdhsa_system_vgpr_workitem_id 0
		.amdhsa_next_free_vgpr 1
		.amdhsa_next_free_sgpr 1
		.amdhsa_reserve_vcc 0
		.amdhsa_reserve_flat_scratch 0
		.amdhsa_float_round_mode_32 0
		.amdhsa_float_round_mode_16_64 0
		.amdhsa_float_denorm_mode_32 3
		.amdhsa_float_denorm_mode_16_64 3
		.amdhsa_dx10_clamp 1
		.amdhsa_ieee_mode 1
		.amdhsa_fp16_overflow 0
		.amdhsa_workgroup_processor_mode 1
		.amdhsa_memory_ordered 1
		.amdhsa_forward_progress 1
		.amdhsa_shared_vgpr_count 0
		.amdhsa_exception_fp_ieee_invalid_op 0
		.amdhsa_exception_fp_denorm_src 0
		.amdhsa_exception_fp_ieee_div_zero 0
		.amdhsa_exception_fp_ieee_overflow 0
		.amdhsa_exception_fp_ieee_underflow 0
		.amdhsa_exception_fp_ieee_inexact 0
		.amdhsa_exception_int_div_zero 0
	.end_amdhsa_kernel
	.section	.text._ZN7rocprim17ROCPRIM_400000_NS6detail17trampoline_kernelINS0_14default_configENS1_38merge_sort_block_merge_config_selectorIsNS0_10empty_typeEEEZZNS1_27merge_sort_block_merge_implIS3_N6thrust23THRUST_200600_302600_NS6detail15normal_iteratorINS9_10device_ptrIsEEEEPS5_m9comp_mod3IsEEE10hipError_tT0_T1_T2_jT3_P12ihipStream_tbPNSt15iterator_traitsISJ_E10value_typeEPNSP_ISK_E10value_typeEPSL_NS1_7vsmem_tEENKUlT_SJ_SK_SL_E_clIPsSE_SF_SF_EESI_SY_SJ_SK_SL_EUlSY_E0_NS1_11comp_targetILNS1_3genE2ELNS1_11target_archE906ELNS1_3gpuE6ELNS1_3repE0EEENS1_38merge_mergepath_config_static_selectorELNS0_4arch9wavefront6targetE0EEEvSK_,"axG",@progbits,_ZN7rocprim17ROCPRIM_400000_NS6detail17trampoline_kernelINS0_14default_configENS1_38merge_sort_block_merge_config_selectorIsNS0_10empty_typeEEEZZNS1_27merge_sort_block_merge_implIS3_N6thrust23THRUST_200600_302600_NS6detail15normal_iteratorINS9_10device_ptrIsEEEEPS5_m9comp_mod3IsEEE10hipError_tT0_T1_T2_jT3_P12ihipStream_tbPNSt15iterator_traitsISJ_E10value_typeEPNSP_ISK_E10value_typeEPSL_NS1_7vsmem_tEENKUlT_SJ_SK_SL_E_clIPsSE_SF_SF_EESI_SY_SJ_SK_SL_EUlSY_E0_NS1_11comp_targetILNS1_3genE2ELNS1_11target_archE906ELNS1_3gpuE6ELNS1_3repE0EEENS1_38merge_mergepath_config_static_selectorELNS0_4arch9wavefront6targetE0EEEvSK_,comdat
.Lfunc_end1059:
	.size	_ZN7rocprim17ROCPRIM_400000_NS6detail17trampoline_kernelINS0_14default_configENS1_38merge_sort_block_merge_config_selectorIsNS0_10empty_typeEEEZZNS1_27merge_sort_block_merge_implIS3_N6thrust23THRUST_200600_302600_NS6detail15normal_iteratorINS9_10device_ptrIsEEEEPS5_m9comp_mod3IsEEE10hipError_tT0_T1_T2_jT3_P12ihipStream_tbPNSt15iterator_traitsISJ_E10value_typeEPNSP_ISK_E10value_typeEPSL_NS1_7vsmem_tEENKUlT_SJ_SK_SL_E_clIPsSE_SF_SF_EESI_SY_SJ_SK_SL_EUlSY_E0_NS1_11comp_targetILNS1_3genE2ELNS1_11target_archE906ELNS1_3gpuE6ELNS1_3repE0EEENS1_38merge_mergepath_config_static_selectorELNS0_4arch9wavefront6targetE0EEEvSK_, .Lfunc_end1059-_ZN7rocprim17ROCPRIM_400000_NS6detail17trampoline_kernelINS0_14default_configENS1_38merge_sort_block_merge_config_selectorIsNS0_10empty_typeEEEZZNS1_27merge_sort_block_merge_implIS3_N6thrust23THRUST_200600_302600_NS6detail15normal_iteratorINS9_10device_ptrIsEEEEPS5_m9comp_mod3IsEEE10hipError_tT0_T1_T2_jT3_P12ihipStream_tbPNSt15iterator_traitsISJ_E10value_typeEPNSP_ISK_E10value_typeEPSL_NS1_7vsmem_tEENKUlT_SJ_SK_SL_E_clIPsSE_SF_SF_EESI_SY_SJ_SK_SL_EUlSY_E0_NS1_11comp_targetILNS1_3genE2ELNS1_11target_archE906ELNS1_3gpuE6ELNS1_3repE0EEENS1_38merge_mergepath_config_static_selectorELNS0_4arch9wavefront6targetE0EEEvSK_
                                        ; -- End function
	.set _ZN7rocprim17ROCPRIM_400000_NS6detail17trampoline_kernelINS0_14default_configENS1_38merge_sort_block_merge_config_selectorIsNS0_10empty_typeEEEZZNS1_27merge_sort_block_merge_implIS3_N6thrust23THRUST_200600_302600_NS6detail15normal_iteratorINS9_10device_ptrIsEEEEPS5_m9comp_mod3IsEEE10hipError_tT0_T1_T2_jT3_P12ihipStream_tbPNSt15iterator_traitsISJ_E10value_typeEPNSP_ISK_E10value_typeEPSL_NS1_7vsmem_tEENKUlT_SJ_SK_SL_E_clIPsSE_SF_SF_EESI_SY_SJ_SK_SL_EUlSY_E0_NS1_11comp_targetILNS1_3genE2ELNS1_11target_archE906ELNS1_3gpuE6ELNS1_3repE0EEENS1_38merge_mergepath_config_static_selectorELNS0_4arch9wavefront6targetE0EEEvSK_.num_vgpr, 0
	.set _ZN7rocprim17ROCPRIM_400000_NS6detail17trampoline_kernelINS0_14default_configENS1_38merge_sort_block_merge_config_selectorIsNS0_10empty_typeEEEZZNS1_27merge_sort_block_merge_implIS3_N6thrust23THRUST_200600_302600_NS6detail15normal_iteratorINS9_10device_ptrIsEEEEPS5_m9comp_mod3IsEEE10hipError_tT0_T1_T2_jT3_P12ihipStream_tbPNSt15iterator_traitsISJ_E10value_typeEPNSP_ISK_E10value_typeEPSL_NS1_7vsmem_tEENKUlT_SJ_SK_SL_E_clIPsSE_SF_SF_EESI_SY_SJ_SK_SL_EUlSY_E0_NS1_11comp_targetILNS1_3genE2ELNS1_11target_archE906ELNS1_3gpuE6ELNS1_3repE0EEENS1_38merge_mergepath_config_static_selectorELNS0_4arch9wavefront6targetE0EEEvSK_.num_agpr, 0
	.set _ZN7rocprim17ROCPRIM_400000_NS6detail17trampoline_kernelINS0_14default_configENS1_38merge_sort_block_merge_config_selectorIsNS0_10empty_typeEEEZZNS1_27merge_sort_block_merge_implIS3_N6thrust23THRUST_200600_302600_NS6detail15normal_iteratorINS9_10device_ptrIsEEEEPS5_m9comp_mod3IsEEE10hipError_tT0_T1_T2_jT3_P12ihipStream_tbPNSt15iterator_traitsISJ_E10value_typeEPNSP_ISK_E10value_typeEPSL_NS1_7vsmem_tEENKUlT_SJ_SK_SL_E_clIPsSE_SF_SF_EESI_SY_SJ_SK_SL_EUlSY_E0_NS1_11comp_targetILNS1_3genE2ELNS1_11target_archE906ELNS1_3gpuE6ELNS1_3repE0EEENS1_38merge_mergepath_config_static_selectorELNS0_4arch9wavefront6targetE0EEEvSK_.numbered_sgpr, 0
	.set _ZN7rocprim17ROCPRIM_400000_NS6detail17trampoline_kernelINS0_14default_configENS1_38merge_sort_block_merge_config_selectorIsNS0_10empty_typeEEEZZNS1_27merge_sort_block_merge_implIS3_N6thrust23THRUST_200600_302600_NS6detail15normal_iteratorINS9_10device_ptrIsEEEEPS5_m9comp_mod3IsEEE10hipError_tT0_T1_T2_jT3_P12ihipStream_tbPNSt15iterator_traitsISJ_E10value_typeEPNSP_ISK_E10value_typeEPSL_NS1_7vsmem_tEENKUlT_SJ_SK_SL_E_clIPsSE_SF_SF_EESI_SY_SJ_SK_SL_EUlSY_E0_NS1_11comp_targetILNS1_3genE2ELNS1_11target_archE906ELNS1_3gpuE6ELNS1_3repE0EEENS1_38merge_mergepath_config_static_selectorELNS0_4arch9wavefront6targetE0EEEvSK_.num_named_barrier, 0
	.set _ZN7rocprim17ROCPRIM_400000_NS6detail17trampoline_kernelINS0_14default_configENS1_38merge_sort_block_merge_config_selectorIsNS0_10empty_typeEEEZZNS1_27merge_sort_block_merge_implIS3_N6thrust23THRUST_200600_302600_NS6detail15normal_iteratorINS9_10device_ptrIsEEEEPS5_m9comp_mod3IsEEE10hipError_tT0_T1_T2_jT3_P12ihipStream_tbPNSt15iterator_traitsISJ_E10value_typeEPNSP_ISK_E10value_typeEPSL_NS1_7vsmem_tEENKUlT_SJ_SK_SL_E_clIPsSE_SF_SF_EESI_SY_SJ_SK_SL_EUlSY_E0_NS1_11comp_targetILNS1_3genE2ELNS1_11target_archE906ELNS1_3gpuE6ELNS1_3repE0EEENS1_38merge_mergepath_config_static_selectorELNS0_4arch9wavefront6targetE0EEEvSK_.private_seg_size, 0
	.set _ZN7rocprim17ROCPRIM_400000_NS6detail17trampoline_kernelINS0_14default_configENS1_38merge_sort_block_merge_config_selectorIsNS0_10empty_typeEEEZZNS1_27merge_sort_block_merge_implIS3_N6thrust23THRUST_200600_302600_NS6detail15normal_iteratorINS9_10device_ptrIsEEEEPS5_m9comp_mod3IsEEE10hipError_tT0_T1_T2_jT3_P12ihipStream_tbPNSt15iterator_traitsISJ_E10value_typeEPNSP_ISK_E10value_typeEPSL_NS1_7vsmem_tEENKUlT_SJ_SK_SL_E_clIPsSE_SF_SF_EESI_SY_SJ_SK_SL_EUlSY_E0_NS1_11comp_targetILNS1_3genE2ELNS1_11target_archE906ELNS1_3gpuE6ELNS1_3repE0EEENS1_38merge_mergepath_config_static_selectorELNS0_4arch9wavefront6targetE0EEEvSK_.uses_vcc, 0
	.set _ZN7rocprim17ROCPRIM_400000_NS6detail17trampoline_kernelINS0_14default_configENS1_38merge_sort_block_merge_config_selectorIsNS0_10empty_typeEEEZZNS1_27merge_sort_block_merge_implIS3_N6thrust23THRUST_200600_302600_NS6detail15normal_iteratorINS9_10device_ptrIsEEEEPS5_m9comp_mod3IsEEE10hipError_tT0_T1_T2_jT3_P12ihipStream_tbPNSt15iterator_traitsISJ_E10value_typeEPNSP_ISK_E10value_typeEPSL_NS1_7vsmem_tEENKUlT_SJ_SK_SL_E_clIPsSE_SF_SF_EESI_SY_SJ_SK_SL_EUlSY_E0_NS1_11comp_targetILNS1_3genE2ELNS1_11target_archE906ELNS1_3gpuE6ELNS1_3repE0EEENS1_38merge_mergepath_config_static_selectorELNS0_4arch9wavefront6targetE0EEEvSK_.uses_flat_scratch, 0
	.set _ZN7rocprim17ROCPRIM_400000_NS6detail17trampoline_kernelINS0_14default_configENS1_38merge_sort_block_merge_config_selectorIsNS0_10empty_typeEEEZZNS1_27merge_sort_block_merge_implIS3_N6thrust23THRUST_200600_302600_NS6detail15normal_iteratorINS9_10device_ptrIsEEEEPS5_m9comp_mod3IsEEE10hipError_tT0_T1_T2_jT3_P12ihipStream_tbPNSt15iterator_traitsISJ_E10value_typeEPNSP_ISK_E10value_typeEPSL_NS1_7vsmem_tEENKUlT_SJ_SK_SL_E_clIPsSE_SF_SF_EESI_SY_SJ_SK_SL_EUlSY_E0_NS1_11comp_targetILNS1_3genE2ELNS1_11target_archE906ELNS1_3gpuE6ELNS1_3repE0EEENS1_38merge_mergepath_config_static_selectorELNS0_4arch9wavefront6targetE0EEEvSK_.has_dyn_sized_stack, 0
	.set _ZN7rocprim17ROCPRIM_400000_NS6detail17trampoline_kernelINS0_14default_configENS1_38merge_sort_block_merge_config_selectorIsNS0_10empty_typeEEEZZNS1_27merge_sort_block_merge_implIS3_N6thrust23THRUST_200600_302600_NS6detail15normal_iteratorINS9_10device_ptrIsEEEEPS5_m9comp_mod3IsEEE10hipError_tT0_T1_T2_jT3_P12ihipStream_tbPNSt15iterator_traitsISJ_E10value_typeEPNSP_ISK_E10value_typeEPSL_NS1_7vsmem_tEENKUlT_SJ_SK_SL_E_clIPsSE_SF_SF_EESI_SY_SJ_SK_SL_EUlSY_E0_NS1_11comp_targetILNS1_3genE2ELNS1_11target_archE906ELNS1_3gpuE6ELNS1_3repE0EEENS1_38merge_mergepath_config_static_selectorELNS0_4arch9wavefront6targetE0EEEvSK_.has_recursion, 0
	.set _ZN7rocprim17ROCPRIM_400000_NS6detail17trampoline_kernelINS0_14default_configENS1_38merge_sort_block_merge_config_selectorIsNS0_10empty_typeEEEZZNS1_27merge_sort_block_merge_implIS3_N6thrust23THRUST_200600_302600_NS6detail15normal_iteratorINS9_10device_ptrIsEEEEPS5_m9comp_mod3IsEEE10hipError_tT0_T1_T2_jT3_P12ihipStream_tbPNSt15iterator_traitsISJ_E10value_typeEPNSP_ISK_E10value_typeEPSL_NS1_7vsmem_tEENKUlT_SJ_SK_SL_E_clIPsSE_SF_SF_EESI_SY_SJ_SK_SL_EUlSY_E0_NS1_11comp_targetILNS1_3genE2ELNS1_11target_archE906ELNS1_3gpuE6ELNS1_3repE0EEENS1_38merge_mergepath_config_static_selectorELNS0_4arch9wavefront6targetE0EEEvSK_.has_indirect_call, 0
	.section	.AMDGPU.csdata,"",@progbits
; Kernel info:
; codeLenInByte = 0
; TotalNumSgprs: 0
; NumVgprs: 0
; ScratchSize: 0
; MemoryBound: 0
; FloatMode: 240
; IeeeMode: 1
; LDSByteSize: 0 bytes/workgroup (compile time only)
; SGPRBlocks: 0
; VGPRBlocks: 0
; NumSGPRsForWavesPerEU: 1
; NumVGPRsForWavesPerEU: 1
; Occupancy: 16
; WaveLimiterHint : 0
; COMPUTE_PGM_RSRC2:SCRATCH_EN: 0
; COMPUTE_PGM_RSRC2:USER_SGPR: 6
; COMPUTE_PGM_RSRC2:TRAP_HANDLER: 0
; COMPUTE_PGM_RSRC2:TGID_X_EN: 1
; COMPUTE_PGM_RSRC2:TGID_Y_EN: 0
; COMPUTE_PGM_RSRC2:TGID_Z_EN: 0
; COMPUTE_PGM_RSRC2:TIDIG_COMP_CNT: 0
	.section	.text._ZN7rocprim17ROCPRIM_400000_NS6detail17trampoline_kernelINS0_14default_configENS1_38merge_sort_block_merge_config_selectorIsNS0_10empty_typeEEEZZNS1_27merge_sort_block_merge_implIS3_N6thrust23THRUST_200600_302600_NS6detail15normal_iteratorINS9_10device_ptrIsEEEEPS5_m9comp_mod3IsEEE10hipError_tT0_T1_T2_jT3_P12ihipStream_tbPNSt15iterator_traitsISJ_E10value_typeEPNSP_ISK_E10value_typeEPSL_NS1_7vsmem_tEENKUlT_SJ_SK_SL_E_clIPsSE_SF_SF_EESI_SY_SJ_SK_SL_EUlSY_E0_NS1_11comp_targetILNS1_3genE9ELNS1_11target_archE1100ELNS1_3gpuE3ELNS1_3repE0EEENS1_38merge_mergepath_config_static_selectorELNS0_4arch9wavefront6targetE0EEEvSK_,"axG",@progbits,_ZN7rocprim17ROCPRIM_400000_NS6detail17trampoline_kernelINS0_14default_configENS1_38merge_sort_block_merge_config_selectorIsNS0_10empty_typeEEEZZNS1_27merge_sort_block_merge_implIS3_N6thrust23THRUST_200600_302600_NS6detail15normal_iteratorINS9_10device_ptrIsEEEEPS5_m9comp_mod3IsEEE10hipError_tT0_T1_T2_jT3_P12ihipStream_tbPNSt15iterator_traitsISJ_E10value_typeEPNSP_ISK_E10value_typeEPSL_NS1_7vsmem_tEENKUlT_SJ_SK_SL_E_clIPsSE_SF_SF_EESI_SY_SJ_SK_SL_EUlSY_E0_NS1_11comp_targetILNS1_3genE9ELNS1_11target_archE1100ELNS1_3gpuE3ELNS1_3repE0EEENS1_38merge_mergepath_config_static_selectorELNS0_4arch9wavefront6targetE0EEEvSK_,comdat
	.protected	_ZN7rocprim17ROCPRIM_400000_NS6detail17trampoline_kernelINS0_14default_configENS1_38merge_sort_block_merge_config_selectorIsNS0_10empty_typeEEEZZNS1_27merge_sort_block_merge_implIS3_N6thrust23THRUST_200600_302600_NS6detail15normal_iteratorINS9_10device_ptrIsEEEEPS5_m9comp_mod3IsEEE10hipError_tT0_T1_T2_jT3_P12ihipStream_tbPNSt15iterator_traitsISJ_E10value_typeEPNSP_ISK_E10value_typeEPSL_NS1_7vsmem_tEENKUlT_SJ_SK_SL_E_clIPsSE_SF_SF_EESI_SY_SJ_SK_SL_EUlSY_E0_NS1_11comp_targetILNS1_3genE9ELNS1_11target_archE1100ELNS1_3gpuE3ELNS1_3repE0EEENS1_38merge_mergepath_config_static_selectorELNS0_4arch9wavefront6targetE0EEEvSK_ ; -- Begin function _ZN7rocprim17ROCPRIM_400000_NS6detail17trampoline_kernelINS0_14default_configENS1_38merge_sort_block_merge_config_selectorIsNS0_10empty_typeEEEZZNS1_27merge_sort_block_merge_implIS3_N6thrust23THRUST_200600_302600_NS6detail15normal_iteratorINS9_10device_ptrIsEEEEPS5_m9comp_mod3IsEEE10hipError_tT0_T1_T2_jT3_P12ihipStream_tbPNSt15iterator_traitsISJ_E10value_typeEPNSP_ISK_E10value_typeEPSL_NS1_7vsmem_tEENKUlT_SJ_SK_SL_E_clIPsSE_SF_SF_EESI_SY_SJ_SK_SL_EUlSY_E0_NS1_11comp_targetILNS1_3genE9ELNS1_11target_archE1100ELNS1_3gpuE3ELNS1_3repE0EEENS1_38merge_mergepath_config_static_selectorELNS0_4arch9wavefront6targetE0EEEvSK_
	.globl	_ZN7rocprim17ROCPRIM_400000_NS6detail17trampoline_kernelINS0_14default_configENS1_38merge_sort_block_merge_config_selectorIsNS0_10empty_typeEEEZZNS1_27merge_sort_block_merge_implIS3_N6thrust23THRUST_200600_302600_NS6detail15normal_iteratorINS9_10device_ptrIsEEEEPS5_m9comp_mod3IsEEE10hipError_tT0_T1_T2_jT3_P12ihipStream_tbPNSt15iterator_traitsISJ_E10value_typeEPNSP_ISK_E10value_typeEPSL_NS1_7vsmem_tEENKUlT_SJ_SK_SL_E_clIPsSE_SF_SF_EESI_SY_SJ_SK_SL_EUlSY_E0_NS1_11comp_targetILNS1_3genE9ELNS1_11target_archE1100ELNS1_3gpuE3ELNS1_3repE0EEENS1_38merge_mergepath_config_static_selectorELNS0_4arch9wavefront6targetE0EEEvSK_
	.p2align	8
	.type	_ZN7rocprim17ROCPRIM_400000_NS6detail17trampoline_kernelINS0_14default_configENS1_38merge_sort_block_merge_config_selectorIsNS0_10empty_typeEEEZZNS1_27merge_sort_block_merge_implIS3_N6thrust23THRUST_200600_302600_NS6detail15normal_iteratorINS9_10device_ptrIsEEEEPS5_m9comp_mod3IsEEE10hipError_tT0_T1_T2_jT3_P12ihipStream_tbPNSt15iterator_traitsISJ_E10value_typeEPNSP_ISK_E10value_typeEPSL_NS1_7vsmem_tEENKUlT_SJ_SK_SL_E_clIPsSE_SF_SF_EESI_SY_SJ_SK_SL_EUlSY_E0_NS1_11comp_targetILNS1_3genE9ELNS1_11target_archE1100ELNS1_3gpuE3ELNS1_3repE0EEENS1_38merge_mergepath_config_static_selectorELNS0_4arch9wavefront6targetE0EEEvSK_,@function
_ZN7rocprim17ROCPRIM_400000_NS6detail17trampoline_kernelINS0_14default_configENS1_38merge_sort_block_merge_config_selectorIsNS0_10empty_typeEEEZZNS1_27merge_sort_block_merge_implIS3_N6thrust23THRUST_200600_302600_NS6detail15normal_iteratorINS9_10device_ptrIsEEEEPS5_m9comp_mod3IsEEE10hipError_tT0_T1_T2_jT3_P12ihipStream_tbPNSt15iterator_traitsISJ_E10value_typeEPNSP_ISK_E10value_typeEPSL_NS1_7vsmem_tEENKUlT_SJ_SK_SL_E_clIPsSE_SF_SF_EESI_SY_SJ_SK_SL_EUlSY_E0_NS1_11comp_targetILNS1_3genE9ELNS1_11target_archE1100ELNS1_3gpuE3ELNS1_3repE0EEENS1_38merge_mergepath_config_static_selectorELNS0_4arch9wavefront6targetE0EEEvSK_: ; @_ZN7rocprim17ROCPRIM_400000_NS6detail17trampoline_kernelINS0_14default_configENS1_38merge_sort_block_merge_config_selectorIsNS0_10empty_typeEEEZZNS1_27merge_sort_block_merge_implIS3_N6thrust23THRUST_200600_302600_NS6detail15normal_iteratorINS9_10device_ptrIsEEEEPS5_m9comp_mod3IsEEE10hipError_tT0_T1_T2_jT3_P12ihipStream_tbPNSt15iterator_traitsISJ_E10value_typeEPNSP_ISK_E10value_typeEPSL_NS1_7vsmem_tEENKUlT_SJ_SK_SL_E_clIPsSE_SF_SF_EESI_SY_SJ_SK_SL_EUlSY_E0_NS1_11comp_targetILNS1_3genE9ELNS1_11target_archE1100ELNS1_3gpuE3ELNS1_3repE0EEENS1_38merge_mergepath_config_static_selectorELNS0_4arch9wavefront6targetE0EEEvSK_
; %bb.0:
	.section	.rodata,"a",@progbits
	.p2align	6, 0x0
	.amdhsa_kernel _ZN7rocprim17ROCPRIM_400000_NS6detail17trampoline_kernelINS0_14default_configENS1_38merge_sort_block_merge_config_selectorIsNS0_10empty_typeEEEZZNS1_27merge_sort_block_merge_implIS3_N6thrust23THRUST_200600_302600_NS6detail15normal_iteratorINS9_10device_ptrIsEEEEPS5_m9comp_mod3IsEEE10hipError_tT0_T1_T2_jT3_P12ihipStream_tbPNSt15iterator_traitsISJ_E10value_typeEPNSP_ISK_E10value_typeEPSL_NS1_7vsmem_tEENKUlT_SJ_SK_SL_E_clIPsSE_SF_SF_EESI_SY_SJ_SK_SL_EUlSY_E0_NS1_11comp_targetILNS1_3genE9ELNS1_11target_archE1100ELNS1_3gpuE3ELNS1_3repE0EEENS1_38merge_mergepath_config_static_selectorELNS0_4arch9wavefront6targetE0EEEvSK_
		.amdhsa_group_segment_fixed_size 0
		.amdhsa_private_segment_fixed_size 0
		.amdhsa_kernarg_size 80
		.amdhsa_user_sgpr_count 6
		.amdhsa_user_sgpr_private_segment_buffer 1
		.amdhsa_user_sgpr_dispatch_ptr 0
		.amdhsa_user_sgpr_queue_ptr 0
		.amdhsa_user_sgpr_kernarg_segment_ptr 1
		.amdhsa_user_sgpr_dispatch_id 0
		.amdhsa_user_sgpr_flat_scratch_init 0
		.amdhsa_user_sgpr_private_segment_size 0
		.amdhsa_wavefront_size32 1
		.amdhsa_uses_dynamic_stack 0
		.amdhsa_system_sgpr_private_segment_wavefront_offset 0
		.amdhsa_system_sgpr_workgroup_id_x 1
		.amdhsa_system_sgpr_workgroup_id_y 0
		.amdhsa_system_sgpr_workgroup_id_z 0
		.amdhsa_system_sgpr_workgroup_info 0
		.amdhsa_system_vgpr_workitem_id 0
		.amdhsa_next_free_vgpr 1
		.amdhsa_next_free_sgpr 1
		.amdhsa_reserve_vcc 0
		.amdhsa_reserve_flat_scratch 0
		.amdhsa_float_round_mode_32 0
		.amdhsa_float_round_mode_16_64 0
		.amdhsa_float_denorm_mode_32 3
		.amdhsa_float_denorm_mode_16_64 3
		.amdhsa_dx10_clamp 1
		.amdhsa_ieee_mode 1
		.amdhsa_fp16_overflow 0
		.amdhsa_workgroup_processor_mode 1
		.amdhsa_memory_ordered 1
		.amdhsa_forward_progress 1
		.amdhsa_shared_vgpr_count 0
		.amdhsa_exception_fp_ieee_invalid_op 0
		.amdhsa_exception_fp_denorm_src 0
		.amdhsa_exception_fp_ieee_div_zero 0
		.amdhsa_exception_fp_ieee_overflow 0
		.amdhsa_exception_fp_ieee_underflow 0
		.amdhsa_exception_fp_ieee_inexact 0
		.amdhsa_exception_int_div_zero 0
	.end_amdhsa_kernel
	.section	.text._ZN7rocprim17ROCPRIM_400000_NS6detail17trampoline_kernelINS0_14default_configENS1_38merge_sort_block_merge_config_selectorIsNS0_10empty_typeEEEZZNS1_27merge_sort_block_merge_implIS3_N6thrust23THRUST_200600_302600_NS6detail15normal_iteratorINS9_10device_ptrIsEEEEPS5_m9comp_mod3IsEEE10hipError_tT0_T1_T2_jT3_P12ihipStream_tbPNSt15iterator_traitsISJ_E10value_typeEPNSP_ISK_E10value_typeEPSL_NS1_7vsmem_tEENKUlT_SJ_SK_SL_E_clIPsSE_SF_SF_EESI_SY_SJ_SK_SL_EUlSY_E0_NS1_11comp_targetILNS1_3genE9ELNS1_11target_archE1100ELNS1_3gpuE3ELNS1_3repE0EEENS1_38merge_mergepath_config_static_selectorELNS0_4arch9wavefront6targetE0EEEvSK_,"axG",@progbits,_ZN7rocprim17ROCPRIM_400000_NS6detail17trampoline_kernelINS0_14default_configENS1_38merge_sort_block_merge_config_selectorIsNS0_10empty_typeEEEZZNS1_27merge_sort_block_merge_implIS3_N6thrust23THRUST_200600_302600_NS6detail15normal_iteratorINS9_10device_ptrIsEEEEPS5_m9comp_mod3IsEEE10hipError_tT0_T1_T2_jT3_P12ihipStream_tbPNSt15iterator_traitsISJ_E10value_typeEPNSP_ISK_E10value_typeEPSL_NS1_7vsmem_tEENKUlT_SJ_SK_SL_E_clIPsSE_SF_SF_EESI_SY_SJ_SK_SL_EUlSY_E0_NS1_11comp_targetILNS1_3genE9ELNS1_11target_archE1100ELNS1_3gpuE3ELNS1_3repE0EEENS1_38merge_mergepath_config_static_selectorELNS0_4arch9wavefront6targetE0EEEvSK_,comdat
.Lfunc_end1060:
	.size	_ZN7rocprim17ROCPRIM_400000_NS6detail17trampoline_kernelINS0_14default_configENS1_38merge_sort_block_merge_config_selectorIsNS0_10empty_typeEEEZZNS1_27merge_sort_block_merge_implIS3_N6thrust23THRUST_200600_302600_NS6detail15normal_iteratorINS9_10device_ptrIsEEEEPS5_m9comp_mod3IsEEE10hipError_tT0_T1_T2_jT3_P12ihipStream_tbPNSt15iterator_traitsISJ_E10value_typeEPNSP_ISK_E10value_typeEPSL_NS1_7vsmem_tEENKUlT_SJ_SK_SL_E_clIPsSE_SF_SF_EESI_SY_SJ_SK_SL_EUlSY_E0_NS1_11comp_targetILNS1_3genE9ELNS1_11target_archE1100ELNS1_3gpuE3ELNS1_3repE0EEENS1_38merge_mergepath_config_static_selectorELNS0_4arch9wavefront6targetE0EEEvSK_, .Lfunc_end1060-_ZN7rocprim17ROCPRIM_400000_NS6detail17trampoline_kernelINS0_14default_configENS1_38merge_sort_block_merge_config_selectorIsNS0_10empty_typeEEEZZNS1_27merge_sort_block_merge_implIS3_N6thrust23THRUST_200600_302600_NS6detail15normal_iteratorINS9_10device_ptrIsEEEEPS5_m9comp_mod3IsEEE10hipError_tT0_T1_T2_jT3_P12ihipStream_tbPNSt15iterator_traitsISJ_E10value_typeEPNSP_ISK_E10value_typeEPSL_NS1_7vsmem_tEENKUlT_SJ_SK_SL_E_clIPsSE_SF_SF_EESI_SY_SJ_SK_SL_EUlSY_E0_NS1_11comp_targetILNS1_3genE9ELNS1_11target_archE1100ELNS1_3gpuE3ELNS1_3repE0EEENS1_38merge_mergepath_config_static_selectorELNS0_4arch9wavefront6targetE0EEEvSK_
                                        ; -- End function
	.set _ZN7rocprim17ROCPRIM_400000_NS6detail17trampoline_kernelINS0_14default_configENS1_38merge_sort_block_merge_config_selectorIsNS0_10empty_typeEEEZZNS1_27merge_sort_block_merge_implIS3_N6thrust23THRUST_200600_302600_NS6detail15normal_iteratorINS9_10device_ptrIsEEEEPS5_m9comp_mod3IsEEE10hipError_tT0_T1_T2_jT3_P12ihipStream_tbPNSt15iterator_traitsISJ_E10value_typeEPNSP_ISK_E10value_typeEPSL_NS1_7vsmem_tEENKUlT_SJ_SK_SL_E_clIPsSE_SF_SF_EESI_SY_SJ_SK_SL_EUlSY_E0_NS1_11comp_targetILNS1_3genE9ELNS1_11target_archE1100ELNS1_3gpuE3ELNS1_3repE0EEENS1_38merge_mergepath_config_static_selectorELNS0_4arch9wavefront6targetE0EEEvSK_.num_vgpr, 0
	.set _ZN7rocprim17ROCPRIM_400000_NS6detail17trampoline_kernelINS0_14default_configENS1_38merge_sort_block_merge_config_selectorIsNS0_10empty_typeEEEZZNS1_27merge_sort_block_merge_implIS3_N6thrust23THRUST_200600_302600_NS6detail15normal_iteratorINS9_10device_ptrIsEEEEPS5_m9comp_mod3IsEEE10hipError_tT0_T1_T2_jT3_P12ihipStream_tbPNSt15iterator_traitsISJ_E10value_typeEPNSP_ISK_E10value_typeEPSL_NS1_7vsmem_tEENKUlT_SJ_SK_SL_E_clIPsSE_SF_SF_EESI_SY_SJ_SK_SL_EUlSY_E0_NS1_11comp_targetILNS1_3genE9ELNS1_11target_archE1100ELNS1_3gpuE3ELNS1_3repE0EEENS1_38merge_mergepath_config_static_selectorELNS0_4arch9wavefront6targetE0EEEvSK_.num_agpr, 0
	.set _ZN7rocprim17ROCPRIM_400000_NS6detail17trampoline_kernelINS0_14default_configENS1_38merge_sort_block_merge_config_selectorIsNS0_10empty_typeEEEZZNS1_27merge_sort_block_merge_implIS3_N6thrust23THRUST_200600_302600_NS6detail15normal_iteratorINS9_10device_ptrIsEEEEPS5_m9comp_mod3IsEEE10hipError_tT0_T1_T2_jT3_P12ihipStream_tbPNSt15iterator_traitsISJ_E10value_typeEPNSP_ISK_E10value_typeEPSL_NS1_7vsmem_tEENKUlT_SJ_SK_SL_E_clIPsSE_SF_SF_EESI_SY_SJ_SK_SL_EUlSY_E0_NS1_11comp_targetILNS1_3genE9ELNS1_11target_archE1100ELNS1_3gpuE3ELNS1_3repE0EEENS1_38merge_mergepath_config_static_selectorELNS0_4arch9wavefront6targetE0EEEvSK_.numbered_sgpr, 0
	.set _ZN7rocprim17ROCPRIM_400000_NS6detail17trampoline_kernelINS0_14default_configENS1_38merge_sort_block_merge_config_selectorIsNS0_10empty_typeEEEZZNS1_27merge_sort_block_merge_implIS3_N6thrust23THRUST_200600_302600_NS6detail15normal_iteratorINS9_10device_ptrIsEEEEPS5_m9comp_mod3IsEEE10hipError_tT0_T1_T2_jT3_P12ihipStream_tbPNSt15iterator_traitsISJ_E10value_typeEPNSP_ISK_E10value_typeEPSL_NS1_7vsmem_tEENKUlT_SJ_SK_SL_E_clIPsSE_SF_SF_EESI_SY_SJ_SK_SL_EUlSY_E0_NS1_11comp_targetILNS1_3genE9ELNS1_11target_archE1100ELNS1_3gpuE3ELNS1_3repE0EEENS1_38merge_mergepath_config_static_selectorELNS0_4arch9wavefront6targetE0EEEvSK_.num_named_barrier, 0
	.set _ZN7rocprim17ROCPRIM_400000_NS6detail17trampoline_kernelINS0_14default_configENS1_38merge_sort_block_merge_config_selectorIsNS0_10empty_typeEEEZZNS1_27merge_sort_block_merge_implIS3_N6thrust23THRUST_200600_302600_NS6detail15normal_iteratorINS9_10device_ptrIsEEEEPS5_m9comp_mod3IsEEE10hipError_tT0_T1_T2_jT3_P12ihipStream_tbPNSt15iterator_traitsISJ_E10value_typeEPNSP_ISK_E10value_typeEPSL_NS1_7vsmem_tEENKUlT_SJ_SK_SL_E_clIPsSE_SF_SF_EESI_SY_SJ_SK_SL_EUlSY_E0_NS1_11comp_targetILNS1_3genE9ELNS1_11target_archE1100ELNS1_3gpuE3ELNS1_3repE0EEENS1_38merge_mergepath_config_static_selectorELNS0_4arch9wavefront6targetE0EEEvSK_.private_seg_size, 0
	.set _ZN7rocprim17ROCPRIM_400000_NS6detail17trampoline_kernelINS0_14default_configENS1_38merge_sort_block_merge_config_selectorIsNS0_10empty_typeEEEZZNS1_27merge_sort_block_merge_implIS3_N6thrust23THRUST_200600_302600_NS6detail15normal_iteratorINS9_10device_ptrIsEEEEPS5_m9comp_mod3IsEEE10hipError_tT0_T1_T2_jT3_P12ihipStream_tbPNSt15iterator_traitsISJ_E10value_typeEPNSP_ISK_E10value_typeEPSL_NS1_7vsmem_tEENKUlT_SJ_SK_SL_E_clIPsSE_SF_SF_EESI_SY_SJ_SK_SL_EUlSY_E0_NS1_11comp_targetILNS1_3genE9ELNS1_11target_archE1100ELNS1_3gpuE3ELNS1_3repE0EEENS1_38merge_mergepath_config_static_selectorELNS0_4arch9wavefront6targetE0EEEvSK_.uses_vcc, 0
	.set _ZN7rocprim17ROCPRIM_400000_NS6detail17trampoline_kernelINS0_14default_configENS1_38merge_sort_block_merge_config_selectorIsNS0_10empty_typeEEEZZNS1_27merge_sort_block_merge_implIS3_N6thrust23THRUST_200600_302600_NS6detail15normal_iteratorINS9_10device_ptrIsEEEEPS5_m9comp_mod3IsEEE10hipError_tT0_T1_T2_jT3_P12ihipStream_tbPNSt15iterator_traitsISJ_E10value_typeEPNSP_ISK_E10value_typeEPSL_NS1_7vsmem_tEENKUlT_SJ_SK_SL_E_clIPsSE_SF_SF_EESI_SY_SJ_SK_SL_EUlSY_E0_NS1_11comp_targetILNS1_3genE9ELNS1_11target_archE1100ELNS1_3gpuE3ELNS1_3repE0EEENS1_38merge_mergepath_config_static_selectorELNS0_4arch9wavefront6targetE0EEEvSK_.uses_flat_scratch, 0
	.set _ZN7rocprim17ROCPRIM_400000_NS6detail17trampoline_kernelINS0_14default_configENS1_38merge_sort_block_merge_config_selectorIsNS0_10empty_typeEEEZZNS1_27merge_sort_block_merge_implIS3_N6thrust23THRUST_200600_302600_NS6detail15normal_iteratorINS9_10device_ptrIsEEEEPS5_m9comp_mod3IsEEE10hipError_tT0_T1_T2_jT3_P12ihipStream_tbPNSt15iterator_traitsISJ_E10value_typeEPNSP_ISK_E10value_typeEPSL_NS1_7vsmem_tEENKUlT_SJ_SK_SL_E_clIPsSE_SF_SF_EESI_SY_SJ_SK_SL_EUlSY_E0_NS1_11comp_targetILNS1_3genE9ELNS1_11target_archE1100ELNS1_3gpuE3ELNS1_3repE0EEENS1_38merge_mergepath_config_static_selectorELNS0_4arch9wavefront6targetE0EEEvSK_.has_dyn_sized_stack, 0
	.set _ZN7rocprim17ROCPRIM_400000_NS6detail17trampoline_kernelINS0_14default_configENS1_38merge_sort_block_merge_config_selectorIsNS0_10empty_typeEEEZZNS1_27merge_sort_block_merge_implIS3_N6thrust23THRUST_200600_302600_NS6detail15normal_iteratorINS9_10device_ptrIsEEEEPS5_m9comp_mod3IsEEE10hipError_tT0_T1_T2_jT3_P12ihipStream_tbPNSt15iterator_traitsISJ_E10value_typeEPNSP_ISK_E10value_typeEPSL_NS1_7vsmem_tEENKUlT_SJ_SK_SL_E_clIPsSE_SF_SF_EESI_SY_SJ_SK_SL_EUlSY_E0_NS1_11comp_targetILNS1_3genE9ELNS1_11target_archE1100ELNS1_3gpuE3ELNS1_3repE0EEENS1_38merge_mergepath_config_static_selectorELNS0_4arch9wavefront6targetE0EEEvSK_.has_recursion, 0
	.set _ZN7rocprim17ROCPRIM_400000_NS6detail17trampoline_kernelINS0_14default_configENS1_38merge_sort_block_merge_config_selectorIsNS0_10empty_typeEEEZZNS1_27merge_sort_block_merge_implIS3_N6thrust23THRUST_200600_302600_NS6detail15normal_iteratorINS9_10device_ptrIsEEEEPS5_m9comp_mod3IsEEE10hipError_tT0_T1_T2_jT3_P12ihipStream_tbPNSt15iterator_traitsISJ_E10value_typeEPNSP_ISK_E10value_typeEPSL_NS1_7vsmem_tEENKUlT_SJ_SK_SL_E_clIPsSE_SF_SF_EESI_SY_SJ_SK_SL_EUlSY_E0_NS1_11comp_targetILNS1_3genE9ELNS1_11target_archE1100ELNS1_3gpuE3ELNS1_3repE0EEENS1_38merge_mergepath_config_static_selectorELNS0_4arch9wavefront6targetE0EEEvSK_.has_indirect_call, 0
	.section	.AMDGPU.csdata,"",@progbits
; Kernel info:
; codeLenInByte = 0
; TotalNumSgprs: 0
; NumVgprs: 0
; ScratchSize: 0
; MemoryBound: 0
; FloatMode: 240
; IeeeMode: 1
; LDSByteSize: 0 bytes/workgroup (compile time only)
; SGPRBlocks: 0
; VGPRBlocks: 0
; NumSGPRsForWavesPerEU: 1
; NumVGPRsForWavesPerEU: 1
; Occupancy: 16
; WaveLimiterHint : 0
; COMPUTE_PGM_RSRC2:SCRATCH_EN: 0
; COMPUTE_PGM_RSRC2:USER_SGPR: 6
; COMPUTE_PGM_RSRC2:TRAP_HANDLER: 0
; COMPUTE_PGM_RSRC2:TGID_X_EN: 1
; COMPUTE_PGM_RSRC2:TGID_Y_EN: 0
; COMPUTE_PGM_RSRC2:TGID_Z_EN: 0
; COMPUTE_PGM_RSRC2:TIDIG_COMP_CNT: 0
	.section	.text._ZN7rocprim17ROCPRIM_400000_NS6detail17trampoline_kernelINS0_14default_configENS1_38merge_sort_block_merge_config_selectorIsNS0_10empty_typeEEEZZNS1_27merge_sort_block_merge_implIS3_N6thrust23THRUST_200600_302600_NS6detail15normal_iteratorINS9_10device_ptrIsEEEEPS5_m9comp_mod3IsEEE10hipError_tT0_T1_T2_jT3_P12ihipStream_tbPNSt15iterator_traitsISJ_E10value_typeEPNSP_ISK_E10value_typeEPSL_NS1_7vsmem_tEENKUlT_SJ_SK_SL_E_clIPsSE_SF_SF_EESI_SY_SJ_SK_SL_EUlSY_E0_NS1_11comp_targetILNS1_3genE8ELNS1_11target_archE1030ELNS1_3gpuE2ELNS1_3repE0EEENS1_38merge_mergepath_config_static_selectorELNS0_4arch9wavefront6targetE0EEEvSK_,"axG",@progbits,_ZN7rocprim17ROCPRIM_400000_NS6detail17trampoline_kernelINS0_14default_configENS1_38merge_sort_block_merge_config_selectorIsNS0_10empty_typeEEEZZNS1_27merge_sort_block_merge_implIS3_N6thrust23THRUST_200600_302600_NS6detail15normal_iteratorINS9_10device_ptrIsEEEEPS5_m9comp_mod3IsEEE10hipError_tT0_T1_T2_jT3_P12ihipStream_tbPNSt15iterator_traitsISJ_E10value_typeEPNSP_ISK_E10value_typeEPSL_NS1_7vsmem_tEENKUlT_SJ_SK_SL_E_clIPsSE_SF_SF_EESI_SY_SJ_SK_SL_EUlSY_E0_NS1_11comp_targetILNS1_3genE8ELNS1_11target_archE1030ELNS1_3gpuE2ELNS1_3repE0EEENS1_38merge_mergepath_config_static_selectorELNS0_4arch9wavefront6targetE0EEEvSK_,comdat
	.protected	_ZN7rocprim17ROCPRIM_400000_NS6detail17trampoline_kernelINS0_14default_configENS1_38merge_sort_block_merge_config_selectorIsNS0_10empty_typeEEEZZNS1_27merge_sort_block_merge_implIS3_N6thrust23THRUST_200600_302600_NS6detail15normal_iteratorINS9_10device_ptrIsEEEEPS5_m9comp_mod3IsEEE10hipError_tT0_T1_T2_jT3_P12ihipStream_tbPNSt15iterator_traitsISJ_E10value_typeEPNSP_ISK_E10value_typeEPSL_NS1_7vsmem_tEENKUlT_SJ_SK_SL_E_clIPsSE_SF_SF_EESI_SY_SJ_SK_SL_EUlSY_E0_NS1_11comp_targetILNS1_3genE8ELNS1_11target_archE1030ELNS1_3gpuE2ELNS1_3repE0EEENS1_38merge_mergepath_config_static_selectorELNS0_4arch9wavefront6targetE0EEEvSK_ ; -- Begin function _ZN7rocprim17ROCPRIM_400000_NS6detail17trampoline_kernelINS0_14default_configENS1_38merge_sort_block_merge_config_selectorIsNS0_10empty_typeEEEZZNS1_27merge_sort_block_merge_implIS3_N6thrust23THRUST_200600_302600_NS6detail15normal_iteratorINS9_10device_ptrIsEEEEPS5_m9comp_mod3IsEEE10hipError_tT0_T1_T2_jT3_P12ihipStream_tbPNSt15iterator_traitsISJ_E10value_typeEPNSP_ISK_E10value_typeEPSL_NS1_7vsmem_tEENKUlT_SJ_SK_SL_E_clIPsSE_SF_SF_EESI_SY_SJ_SK_SL_EUlSY_E0_NS1_11comp_targetILNS1_3genE8ELNS1_11target_archE1030ELNS1_3gpuE2ELNS1_3repE0EEENS1_38merge_mergepath_config_static_selectorELNS0_4arch9wavefront6targetE0EEEvSK_
	.globl	_ZN7rocprim17ROCPRIM_400000_NS6detail17trampoline_kernelINS0_14default_configENS1_38merge_sort_block_merge_config_selectorIsNS0_10empty_typeEEEZZNS1_27merge_sort_block_merge_implIS3_N6thrust23THRUST_200600_302600_NS6detail15normal_iteratorINS9_10device_ptrIsEEEEPS5_m9comp_mod3IsEEE10hipError_tT0_T1_T2_jT3_P12ihipStream_tbPNSt15iterator_traitsISJ_E10value_typeEPNSP_ISK_E10value_typeEPSL_NS1_7vsmem_tEENKUlT_SJ_SK_SL_E_clIPsSE_SF_SF_EESI_SY_SJ_SK_SL_EUlSY_E0_NS1_11comp_targetILNS1_3genE8ELNS1_11target_archE1030ELNS1_3gpuE2ELNS1_3repE0EEENS1_38merge_mergepath_config_static_selectorELNS0_4arch9wavefront6targetE0EEEvSK_
	.p2align	8
	.type	_ZN7rocprim17ROCPRIM_400000_NS6detail17trampoline_kernelINS0_14default_configENS1_38merge_sort_block_merge_config_selectorIsNS0_10empty_typeEEEZZNS1_27merge_sort_block_merge_implIS3_N6thrust23THRUST_200600_302600_NS6detail15normal_iteratorINS9_10device_ptrIsEEEEPS5_m9comp_mod3IsEEE10hipError_tT0_T1_T2_jT3_P12ihipStream_tbPNSt15iterator_traitsISJ_E10value_typeEPNSP_ISK_E10value_typeEPSL_NS1_7vsmem_tEENKUlT_SJ_SK_SL_E_clIPsSE_SF_SF_EESI_SY_SJ_SK_SL_EUlSY_E0_NS1_11comp_targetILNS1_3genE8ELNS1_11target_archE1030ELNS1_3gpuE2ELNS1_3repE0EEENS1_38merge_mergepath_config_static_selectorELNS0_4arch9wavefront6targetE0EEEvSK_,@function
_ZN7rocprim17ROCPRIM_400000_NS6detail17trampoline_kernelINS0_14default_configENS1_38merge_sort_block_merge_config_selectorIsNS0_10empty_typeEEEZZNS1_27merge_sort_block_merge_implIS3_N6thrust23THRUST_200600_302600_NS6detail15normal_iteratorINS9_10device_ptrIsEEEEPS5_m9comp_mod3IsEEE10hipError_tT0_T1_T2_jT3_P12ihipStream_tbPNSt15iterator_traitsISJ_E10value_typeEPNSP_ISK_E10value_typeEPSL_NS1_7vsmem_tEENKUlT_SJ_SK_SL_E_clIPsSE_SF_SF_EESI_SY_SJ_SK_SL_EUlSY_E0_NS1_11comp_targetILNS1_3genE8ELNS1_11target_archE1030ELNS1_3gpuE2ELNS1_3repE0EEENS1_38merge_mergepath_config_static_selectorELNS0_4arch9wavefront6targetE0EEEvSK_: ; @_ZN7rocprim17ROCPRIM_400000_NS6detail17trampoline_kernelINS0_14default_configENS1_38merge_sort_block_merge_config_selectorIsNS0_10empty_typeEEEZZNS1_27merge_sort_block_merge_implIS3_N6thrust23THRUST_200600_302600_NS6detail15normal_iteratorINS9_10device_ptrIsEEEEPS5_m9comp_mod3IsEEE10hipError_tT0_T1_T2_jT3_P12ihipStream_tbPNSt15iterator_traitsISJ_E10value_typeEPNSP_ISK_E10value_typeEPSL_NS1_7vsmem_tEENKUlT_SJ_SK_SL_E_clIPsSE_SF_SF_EESI_SY_SJ_SK_SL_EUlSY_E0_NS1_11comp_targetILNS1_3genE8ELNS1_11target_archE1030ELNS1_3gpuE2ELNS1_3repE0EEENS1_38merge_mergepath_config_static_selectorELNS0_4arch9wavefront6targetE0EEEvSK_
; %bb.0:
	s_clause 0x1
	s_load_dwordx2 s[22:23], s[4:5], 0x50
	s_load_dword s0, s[4:5], 0x38
	s_add_u32 s20, s4, 0x50
	s_addc_u32 s21, s5, 0
	s_waitcnt lgkmcnt(0)
	s_mul_i32 s1, s23, s8
	s_add_i32 s1, s1, s7
	s_mul_i32 s1, s1, s22
	s_add_i32 s18, s1, s6
	s_cmp_ge_u32 s18, s0
	s_cbranch_scc1 .LBB1061_75
; %bb.1:
	s_clause 0x1
	s_load_dwordx2 s[0:1], s[4:5], 0x48
	s_load_dwordx4 s[8:11], s[4:5], 0x28
	s_mov_b32 s19, 0
	s_lshl_b64 s[2:3], s[18:19], 3
	s_waitcnt lgkmcnt(0)
	s_add_u32 s0, s0, s2
	s_addc_u32 s1, s1, s3
	s_lshr_b64 s[12:13], s[10:11], 9
	s_load_dwordx4 s[0:3], s[0:1], 0x0
	s_and_b32 s7, s12, -2
	s_mov_b32 s13, s19
	s_sub_i32 s7, 0, s7
	s_lshl_b64 s[16:17], s[18:19], 10
	s_and_b32 s12, s18, s7
	s_lshl_b64 s[24:25], s[12:13], 10
	s_sub_u32 s23, s16, s24
	s_subb_u32 s26, s17, s25
	s_lshl_b64 s[28:29], s[12:13], 11
	s_load_dwordx4 s[12:15], s[4:5], 0x8
	s_add_u32 s27, s28, s10
	s_addc_u32 s28, s29, s11
	s_add_u32 s23, s27, s23
	s_addc_u32 s26, s28, s26
	s_waitcnt lgkmcnt(0)
	s_sub_u32 s29, s23, s2
	s_subb_u32 s3, s26, s3
	s_add_u32 s30, s29, 0x400
	s_addc_u32 s31, s3, 0
	v_cmp_lt_u64_e64 s3, s[8:9], s[30:31]
	s_and_b32 s3, s3, exec_lo
	s_cselect_b32 s3, s8, s30
	s_or_b32 s7, s18, s7
	s_cmp_lg_u32 s7, -1
	s_mov_b32 s7, -1
	s_cbranch_scc1 .LBB1061_3
; %bb.2:
	s_sub_u32 s24, s27, s24
	s_subb_u32 s25, s28, s25
	v_cmp_lt_u64_e64 s2, s[8:9], s[24:25]
	s_and_b32 s2, s2, exec_lo
	s_cselect_b32 s2, s8, s24
	s_add_u32 s10, s24, s10
	s_addc_u32 s11, s25, s11
	v_cmp_lt_u64_e64 s3, s[8:9], s[10:11]
	s_and_b32 s3, s3, exec_lo
	s_cselect_b32 s3, s8, s10
.LBB1061_3:
	s_lshr_b64 s[28:29], s[8:9], 10
	v_mov_b32_e32 v10, 0
	s_cmp_lg_u64 s[28:29], s[18:19]
	v_lshlrev_b32_e32 v11, 1, v0
	s_cselect_b32 s10, -1, 0
	s_sub_u32 s24, s23, s0
	s_subb_u32 s25, s26, s1
	global_load_dword v1, v10, s[20:21] offset:14
	v_cmp_lt_u64_e64 s11, s[8:9], s[24:25]
	s_and_b32 s11, s11, exec_lo
	s_cselect_b32 s26, s8, s24
	s_cselect_b32 s27, s9, s25
	s_sub_i32 s9, s2, s0
	s_lshl_b64 s[0:1], s[0:1], 1
	s_sub_i32 s11, s3, s26
	s_add_u32 s23, s12, s0
	s_addc_u32 s24, s13, s1
	s_lshl_b64 s[0:1], s[26:27], 1
	s_add_u32 s12, s12, s0
	s_addc_u32 s13, s13, s1
	s_cmp_lt_u32 s6, s22
	s_cselect_b32 s0, 12, 18
	s_add_u32 s0, s20, s0
	s_addc_u32 s1, s21, 0
	s_cmp_eq_u64 s[28:29], s[18:19]
	global_load_ushort v2, v10, s[0:1]
	s_waitcnt vmcnt(1)
	v_lshrrev_b32_e32 v3, 16, v1
	v_and_b32_e32 v1, 0xffff, v1
	v_mul_lo_u32 v1, v1, v3
	s_waitcnt vmcnt(0)
	v_mul_lo_u32 v12, v1, v2
	v_add_nc_u32_e32 v7, v12, v0
	v_add_nc_u32_e32 v5, v7, v12
	s_cbranch_scc1 .LBB1061_5
; %bb.4:
	v_mov_b32_e32 v8, v10
	v_mov_b32_e32 v6, v10
	v_add_co_u32 v19, s0, s23, v11
	v_add_co_ci_u32_e64 v21, null, s24, 0, s0
	v_lshlrev_b64 v[1:2], 1, v[7:8]
	v_sub_co_u32 v9, vcc_lo, v0, s9
	v_mov_b32_e32 v20, v10
	v_lshlrev_b64 v[3:4], 1, v[9:10]
	v_add_co_u32 v8, s0, s23, v1
	v_add_co_ci_u32_e64 v23, null, s24, v2, s0
	v_lshlrev_b64 v[1:2], 1, v[5:6]
	v_sub_co_u32 v9, s0, v7, s9
	v_add_co_u32 v31, s7, s12, v3
	v_add_co_ci_u32_e64 v22, null, s13, v4, s7
	v_add_co_u32 v6, s1, s23, v1
	v_lshlrev_b64 v[13:14], 1, v[9:10]
	v_add_co_ci_u32_e64 v24, null, s24, v2, s1
	v_sub_co_u32 v9, s1, v5, s9
	v_cndmask_b32_e32 v22, v22, v21, vcc_lo
	v_cndmask_b32_e32 v21, v31, v19, vcc_lo
	v_lshlrev_b64 v[1:2], 1, v[9:10]
	v_add_nc_u32_e32 v9, v5, v12
	v_lshlrev_b64 v[15:16], 1, v[9:10]
	v_add_co_u32 v32, s7, s12, v1
	v_add_co_u32 v25, s2, s23, v15
	v_add_co_ci_u32_e64 v26, null, s24, v16, s2
	v_sub_co_u32 v15, s2, v9, s9
	v_add_nc_u32_e32 v9, v9, v12
	v_lshlrev_b64 v[16:17], 1, v[9:10]
	v_add_co_u32 v27, s3, s23, v16
	v_add_co_ci_u32_e64 v28, null, s24, v17, s3
	v_sub_co_u32 v16, s3, v9, s9
	v_add_nc_u32_e32 v9, v9, v12
	v_lshlrev_b64 v[17:18], 1, v[9:10]
	v_add_co_u32 v29, s6, s23, v17
	v_add_co_ci_u32_e64 v30, null, s24, v18, s6
	v_sub_co_u32 v18, s6, v9, s9
	v_add_nc_u32_e32 v9, v9, v12
	v_mov_b32_e32 v17, v10
	v_lshlrev_b64 v[3:4], 1, v[9:10]
	v_lshlrev_b64 v[16:17], 1, v[16:17]
	v_add_co_u32 v31, vcc_lo, s23, v3
	v_add_co_ci_u32_e64 v4, null, s24, v4, vcc_lo
	v_sub_co_u32 v19, vcc_lo, v9, s9
	v_add_co_ci_u32_e64 v3, null, s13, v2, s7
	v_add_co_u32 v16, s7, s12, v16
	v_lshlrev_b64 v[1:2], 1, v[19:20]
	v_add_co_ci_u32_e64 v17, null, s13, v17, s7
	v_cndmask_b32_e64 v3, v3, v24, s1
	v_cndmask_b32_e64 v16, v16, v27, s3
	v_add_nc_u32_e32 v9, v9, v12
	v_add_co_u32 v1, s7, s12, v1
	v_add_co_ci_u32_e64 v19, null, s13, v2, s7
	v_cndmask_b32_e64 v2, v32, v6, s1
	v_cndmask_b32_e64 v17, v17, v28, s3
	s_add_i32 s1, s9, s11
	v_cndmask_b32_e32 v20, v19, v4, vcc_lo
	v_cndmask_b32_e32 v19, v1, v31, vcc_lo
	global_load_ushort v1, v[21:22], off
	global_load_ushort v2, v[2:3], off
	;; [unrolled: 1-line block ×4, first 2 shown]
	v_add_co_u32 v6, vcc_lo, s12, v13
	v_add_co_ci_u32_e64 v17, null, s13, v14, vcc_lo
	v_lshlrev_b64 v[13:14], 1, v[9:10]
	v_mov_b32_e32 v19, v10
	v_mov_b32_e32 v16, v10
	v_cndmask_b32_e64 v20, v6, v8, s0
	v_cndmask_b32_e64 v21, v17, v23, s0
	v_add_co_u32 v6, vcc_lo, s23, v13
	v_lshlrev_b64 v[17:18], 1, v[18:19]
	v_add_co_ci_u32_e64 v19, null, s24, v14, vcc_lo
	v_sub_co_u32 v9, vcc_lo, v9, s9
	v_lshlrev_b64 v[15:16], 1, v[15:16]
	v_lshlrev_b64 v[8:9], 1, v[9:10]
	v_add_co_u32 v13, s0, s12, v15
	v_add_co_ci_u32_e64 v14, null, s13, v16, s0
	v_add_co_u32 v10, s0, s12, v17
	v_add_co_ci_u32_e64 v15, null, s13, v18, s0
	;; [unrolled: 2-line block ×3, first 2 shown]
	v_cndmask_b32_e64 v9, v14, v26, s2
	v_cndmask_b32_e64 v8, v13, v25, s2
	;; [unrolled: 1-line block ×4, first 2 shown]
	v_cndmask_b32_e32 v16, v16, v19, vcc_lo
	v_cndmask_b32_e32 v15, v17, v6, vcc_lo
	global_load_short_d16_hi v1, v[20:21], off
	global_load_short_d16_hi v2, v[8:9], off
	global_load_short_d16_hi v3, v[13:14], off
	global_load_short_d16_hi v4, v[15:16], off
	s_load_dwordx2 s[2:3], s[4:5], 0x40
	s_cbranch_execz .LBB1061_6
	s_branch .LBB1061_21
.LBB1061_5:
                                        ; implicit-def: $vgpr1_vgpr2_vgpr3_vgpr4
                                        ; implicit-def: $sgpr1
	s_load_dwordx2 s[2:3], s[4:5], 0x40
	s_andn2_b32 vcc_lo, exec_lo, s7
	s_cbranch_vccnz .LBB1061_21
.LBB1061_6:
	s_waitcnt vmcnt(3)
	v_mov_b32_e32 v1, 0
	s_add_i32 s1, s9, s11
	s_mov_b32 s4, exec_lo
	s_waitcnt vmcnt(2)
	v_mov_b32_e32 v2, v1
	s_waitcnt vmcnt(1)
	v_mov_b32_e32 v3, v1
	;; [unrolled: 2-line block ×3, first 2 shown]
	v_cmpx_gt_u32_e64 s1, v0
	s_cbranch_execnz .LBB1061_76
; %bb.7:
	s_or_b32 exec_lo, exec_lo, s4
	s_mov_b32 s4, exec_lo
	v_cmpx_gt_u32_e64 s1, v7
	s_cbranch_execnz .LBB1061_77
.LBB1061_8:
	s_or_b32 exec_lo, exec_lo, s4
	s_mov_b32 s4, exec_lo
	v_cmpx_gt_u32_e64 s1, v5
	s_cbranch_execz .LBB1061_10
.LBB1061_9:
	v_mov_b32_e32 v6, 0
	v_lshlrev_b64 v[7:8], 1, v[5:6]
	v_mov_b32_e32 v9, v6
	v_add_co_u32 v10, vcc_lo, s23, v7
	v_add_co_ci_u32_e64 v13, null, s24, v8, vcc_lo
	v_sub_co_u32 v8, vcc_lo, v5, s9
	v_lshlrev_b64 v[6:7], 1, v[8:9]
	v_add_co_u32 v6, s0, s12, v6
	v_add_co_ci_u32_e64 v7, null, s13, v7, s0
	v_cndmask_b32_e32 v6, v6, v10, vcc_lo
	v_cndmask_b32_e32 v7, v7, v13, vcc_lo
	global_load_short_d16 v2, v[6:7], off
.LBB1061_10:
	s_or_b32 exec_lo, exec_lo, s4
	v_add_nc_u32_e32 v5, v5, v12
	s_mov_b32 s4, exec_lo
	v_cmpx_gt_u32_e64 s1, v5
	s_cbranch_execz .LBB1061_12
; %bb.11:
	v_mov_b32_e32 v6, 0
	v_lshlrev_b64 v[7:8], 1, v[5:6]
	v_mov_b32_e32 v9, v6
	v_add_co_u32 v10, vcc_lo, s23, v7
	v_add_co_ci_u32_e64 v13, null, s24, v8, vcc_lo
	v_sub_co_u32 v8, vcc_lo, v5, s9
	v_lshlrev_b64 v[6:7], 1, v[8:9]
	v_add_co_u32 v6, s0, s12, v6
	v_add_co_ci_u32_e64 v7, null, s13, v7, s0
	v_cndmask_b32_e32 v6, v6, v10, vcc_lo
	v_cndmask_b32_e32 v7, v7, v13, vcc_lo
	global_load_short_d16_hi v2, v[6:7], off
.LBB1061_12:
	s_or_b32 exec_lo, exec_lo, s4
	v_add_nc_u32_e32 v5, v5, v12
	s_mov_b32 s4, exec_lo
	v_cmpx_gt_u32_e64 s1, v5
	s_cbranch_execz .LBB1061_14
; %bb.13:
	v_mov_b32_e32 v6, 0
	v_lshlrev_b64 v[7:8], 1, v[5:6]
	v_mov_b32_e32 v9, v6
	v_add_co_u32 v10, vcc_lo, s23, v7
	v_add_co_ci_u32_e64 v13, null, s24, v8, vcc_lo
	v_sub_co_u32 v8, vcc_lo, v5, s9
	v_lshlrev_b64 v[6:7], 1, v[8:9]
	v_add_co_u32 v6, s0, s12, v6
	v_add_co_ci_u32_e64 v7, null, s13, v7, s0
	v_cndmask_b32_e32 v6, v6, v10, vcc_lo
	v_cndmask_b32_e32 v7, v7, v13, vcc_lo
	global_load_short_d16 v3, v[6:7], off
.LBB1061_14:
	s_or_b32 exec_lo, exec_lo, s4
	v_add_nc_u32_e32 v5, v5, v12
	s_mov_b32 s4, exec_lo
	v_cmpx_gt_u32_e64 s1, v5
	s_cbranch_execz .LBB1061_16
; %bb.15:
	v_mov_b32_e32 v6, 0
	v_lshlrev_b64 v[7:8], 1, v[5:6]
	v_mov_b32_e32 v9, v6
	v_add_co_u32 v10, vcc_lo, s23, v7
	v_add_co_ci_u32_e64 v13, null, s24, v8, vcc_lo
	v_sub_co_u32 v8, vcc_lo, v5, s9
	v_lshlrev_b64 v[6:7], 1, v[8:9]
	v_add_co_u32 v6, s0, s12, v6
	v_add_co_ci_u32_e64 v7, null, s13, v7, s0
	v_cndmask_b32_e32 v6, v6, v10, vcc_lo
	v_cndmask_b32_e32 v7, v7, v13, vcc_lo
	global_load_short_d16_hi v3, v[6:7], off
.LBB1061_16:
	s_or_b32 exec_lo, exec_lo, s4
	v_add_nc_u32_e32 v5, v5, v12
	s_mov_b32 s4, exec_lo
	v_cmpx_gt_u32_e64 s1, v5
	s_cbranch_execz .LBB1061_18
; %bb.17:
	v_mov_b32_e32 v6, 0
	v_lshlrev_b64 v[7:8], 1, v[5:6]
	v_mov_b32_e32 v9, v6
	v_add_co_u32 v10, vcc_lo, s23, v7
	v_add_co_ci_u32_e64 v13, null, s24, v8, vcc_lo
	v_sub_co_u32 v8, vcc_lo, v5, s9
	v_lshlrev_b64 v[6:7], 1, v[8:9]
	v_add_co_u32 v6, s0, s12, v6
	v_add_co_ci_u32_e64 v7, null, s13, v7, s0
	v_cndmask_b32_e32 v6, v6, v10, vcc_lo
	v_cndmask_b32_e32 v7, v7, v13, vcc_lo
	global_load_short_d16 v4, v[6:7], off
.LBB1061_18:
	s_or_b32 exec_lo, exec_lo, s4
	v_add_nc_u32_e32 v5, v5, v12
	s_mov_b32 s4, exec_lo
	v_cmpx_gt_u32_e64 s1, v5
	s_cbranch_execz .LBB1061_20
; %bb.19:
	v_mov_b32_e32 v6, 0
	v_lshlrev_b64 v[7:8], 1, v[5:6]
	v_add_co_u32 v7, vcc_lo, s23, v7
	v_add_co_ci_u32_e64 v8, null, s24, v8, vcc_lo
	v_sub_co_u32 v5, vcc_lo, v5, s9
	v_lshlrev_b64 v[5:6], 1, v[5:6]
	v_add_co_u32 v5, s0, s12, v5
	v_add_co_ci_u32_e64 v6, null, s13, v6, s0
	v_cndmask_b32_e32 v5, v5, v7, vcc_lo
	v_cndmask_b32_e32 v6, v6, v8, vcc_lo
	global_load_short_d16_hi v4, v[5:6], off
.LBB1061_20:
	s_or_b32 exec_lo, exec_lo, s4
.LBB1061_21:
	v_lshlrev_b32_e32 v5, 3, v0
	s_waitcnt vmcnt(0)
	v_lshrrev_b32_e32 v7, 16, v1
	v_lshrrev_b32_e32 v9, 16, v2
	;; [unrolled: 1-line block ×4, first 2 shown]
	v_min_u32_e32 v8, s1, v5
	s_mov_b32 s0, exec_lo
	ds_write_b16 v11, v1
	ds_write_b16 v11, v2 offset:512
	ds_write_b16 v11, v7 offset:256
	;; [unrolled: 1-line block ×3, first 2 shown]
	v_sub_nc_u32_e64 v6, v8, s11 clamp
	v_min_u32_e32 v10, s9, v8
	ds_write_b16 v11, v3 offset:1024
	ds_write_b16 v11, v14 offset:1280
	;; [unrolled: 1-line block ×4, first 2 shown]
	s_waitcnt lgkmcnt(0)
	s_barrier
	buffer_gl0_inv
	v_cmpx_lt_u32_e64 v6, v10
	s_cbranch_execz .LBB1061_25
; %bb.22:
	v_lshlrev_b32_e32 v12, 1, v8
	s_mov_b32 s4, 0
	v_lshl_add_u32 v12, s9, 1, v12
	s_inst_prefetch 0x1
	.p2align	6
.LBB1061_23:                            ; =>This Inner Loop Header: Depth=1
	v_add_nc_u32_e32 v15, v10, v6
	v_lshrrev_b32_e32 v19, 1, v15
	v_and_b32_e32 v15, -2, v15
	v_not_b32_e32 v16, v19
	v_lshl_add_u32 v16, v16, 1, v12
	ds_read_u16 v15, v15
	ds_read_u16 v17, v16
	s_waitcnt lgkmcnt(1)
	v_bfe_i32 v15, v15, 0, 16
	s_waitcnt lgkmcnt(0)
	v_bfe_i32 v17, v17, 0, 16
	v_ashrrev_i32_e32 v16, 31, v15
	v_ashrrev_i32_e32 v18, 31, v17
	v_lshlrev_b64 v[15:16], 1, v[15:16]
	v_lshlrev_b64 v[17:18], 1, v[17:18]
	v_add_co_u32 v15, vcc_lo, s2, v15
	v_add_co_ci_u32_e64 v16, null, s3, v16, vcc_lo
	v_add_co_u32 v17, vcc_lo, s2, v17
	v_add_co_ci_u32_e64 v18, null, s3, v18, vcc_lo
	s_clause 0x1
	global_load_ushort v17, v[17:18], off
	global_load_ushort v15, v[15:16], off
	v_add_nc_u32_e32 v16, 1, v19
	s_waitcnt vmcnt(0)
	v_cmp_lt_i16_e32 vcc_lo, v17, v15
	v_cndmask_b32_e32 v10, v10, v19, vcc_lo
	v_cndmask_b32_e32 v6, v16, v6, vcc_lo
	v_cmp_ge_u32_e32 vcc_lo, v6, v10
	s_or_b32 s4, vcc_lo, s4
	s_andn2_b32 exec_lo, exec_lo, s4
	s_cbranch_execnz .LBB1061_23
; %bb.24:
	s_inst_prefetch 0x2
	s_or_b32 exec_lo, exec_lo, s4
.LBB1061_25:
	s_or_b32 exec_lo, exec_lo, s0
	v_sub_nc_u32_e32 v8, v8, v6
	v_cmp_ge_u32_e32 vcc_lo, s9, v6
	v_add_nc_u32_e32 v8, s9, v8
	v_cmp_ge_u32_e64 s0, s1, v8
	s_or_b32 s0, vcc_lo, s0
	s_and_saveexec_b32 s4, s0
	s_cbranch_execz .LBB1061_61
; %bb.26:
	s_mov_b32 s5, exec_lo
	v_cmp_le_u32_e32 vcc_lo, s9, v6
                                        ; implicit-def: $vgpr1
	v_cmpx_gt_u32_e64 s9, v6
; %bb.27:
	v_lshlrev_b32_e32 v1, 1, v6
	ds_read_u16 v1, v1
; %bb.28:
	s_or_b32 exec_lo, exec_lo, s5
	v_cmp_le_u32_e64 s5, s1, v8
	s_mov_b32 s6, exec_lo
                                        ; implicit-def: $vgpr4
	v_cmpx_gt_u32_e64 s1, v8
; %bb.29:
	v_lshlrev_b32_e32 v2, 1, v8
	ds_read_u16 v4, v2
; %bb.30:
	s_or_b32 exec_lo, exec_lo, s6
	s_nor_b32 s6, vcc_lo, s5
	s_and_saveexec_b32 s0, s6
	s_cbranch_execz .LBB1061_32
; %bb.31:
	s_waitcnt lgkmcnt(0)
	v_bfe_i32 v2, v4, 0, 16
	v_bfe_i32 v9, v1, 0, 16
	s_andn2_b32 s5, s5, exec_lo
	v_ashrrev_i32_e32 v3, 31, v2
	v_ashrrev_i32_e32 v10, 31, v9
	v_lshlrev_b64 v[2:3], 1, v[2:3]
	v_lshlrev_b64 v[9:10], 1, v[9:10]
	v_add_co_u32 v2, vcc_lo, s2, v2
	v_add_co_ci_u32_e64 v3, null, s3, v3, vcc_lo
	v_add_co_u32 v9, vcc_lo, s2, v9
	v_add_co_ci_u32_e64 v10, null, s3, v10, vcc_lo
	s_clause 0x1
	global_load_ushort v2, v[2:3], off
	global_load_ushort v3, v[9:10], off
	s_waitcnt vmcnt(0)
	v_cmp_ge_i16_e32 vcc_lo, v2, v3
	s_and_b32 s6, vcc_lo, exec_lo
	s_or_b32 s5, s5, s6
.LBB1061_32:
	s_or_b32 exec_lo, exec_lo, s0
	v_mov_b32_e32 v2, s9
	v_cndmask_b32_e64 v3, v8, v6, s5
	s_mov_b32 s6, -1
	s_mov_b32 s0, -1
	s_mov_b32 s7, exec_lo
	v_cndmask_b32_e64 v2, s1, v2, s5
	v_add_nc_u32_e32 v3, 1, v3
	v_add_nc_u32_e32 v2, -1, v2
	v_min_u32_e32 v2, v3, v2
	v_lshlrev_b32_e32 v2, 1, v2
	ds_read_u16 v7, v2
	v_cndmask_b32_e64 v2, v3, v8, s5
	v_cndmask_b32_e64 v3, v6, v3, s5
	s_waitcnt lgkmcnt(0)
	v_cndmask_b32_e64 v6, v7, v4, s5
	v_cndmask_b32_e64 v7, v1, v7, s5
	v_cmpx_gt_u32_e64 s1, v2
	s_cbranch_execz .LBB1061_36
; %bb.33:
	s_mov_b32 s11, 0
	s_mov_b32 s0, exec_lo
	v_cmpx_gt_u32_e64 s9, v3
	s_cbranch_execz .LBB1061_35
; %bb.34:
	v_bfe_i32 v8, v6, 0, 16
	v_bfe_i32 v12, v7, 0, 16
	v_ashrrev_i32_e32 v9, 31, v8
	v_ashrrev_i32_e32 v13, 31, v12
	v_lshlrev_b64 v[8:9], 1, v[8:9]
	v_lshlrev_b64 v[12:13], 1, v[12:13]
	v_add_co_u32 v8, vcc_lo, s2, v8
	v_add_co_ci_u32_e64 v9, null, s3, v9, vcc_lo
	v_add_co_u32 v12, vcc_lo, s2, v12
	v_add_co_ci_u32_e64 v13, null, s3, v13, vcc_lo
	s_clause 0x1
	global_load_ushort v8, v[8:9], off
	global_load_ushort v9, v[12:13], off
	s_waitcnt vmcnt(0)
	v_cmp_ge_i16_e32 vcc_lo, v8, v9
	s_and_b32 s11, vcc_lo, exec_lo
.LBB1061_35:
	s_or_b32 exec_lo, exec_lo, s0
	s_orn2_b32 s0, s11, exec_lo
.LBB1061_36:
	s_or_b32 exec_lo, exec_lo, s7
	v_mov_b32_e32 v8, s9
	v_cndmask_b32_e64 v9, v2, v3, s0
	s_mov_b32 s7, exec_lo
	v_cndmask_b32_e64 v8, s1, v8, s0
	v_add_nc_u32_e32 v10, 1, v9
	v_add_nc_u32_e32 v8, -1, v8
	v_cndmask_b32_e64 v9, v10, v2, s0
	v_cndmask_b32_e64 v3, v3, v10, s0
	v_min_u32_e32 v8, v10, v8
	v_lshlrev_b32_e32 v8, 1, v8
	ds_read_u16 v8, v8
	s_waitcnt lgkmcnt(0)
	v_cndmask_b32_e64 v2, v8, v6, s0
	v_cndmask_b32_e64 v8, v7, v8, s0
	v_cmpx_gt_u32_e64 s1, v9
	s_cbranch_execz .LBB1061_40
; %bb.37:
	s_mov_b32 s11, 0
	s_mov_b32 s6, exec_lo
	v_cmpx_gt_u32_e64 s9, v3
	s_cbranch_execz .LBB1061_39
; %bb.38:
	v_bfe_i32 v12, v2, 0, 16
	v_bfe_i32 v14, v8, 0, 16
	v_ashrrev_i32_e32 v13, 31, v12
	v_ashrrev_i32_e32 v15, 31, v14
	v_lshlrev_b64 v[12:13], 1, v[12:13]
	v_lshlrev_b64 v[14:15], 1, v[14:15]
	v_add_co_u32 v12, vcc_lo, s2, v12
	v_add_co_ci_u32_e64 v13, null, s3, v13, vcc_lo
	v_add_co_u32 v14, vcc_lo, s2, v14
	v_add_co_ci_u32_e64 v15, null, s3, v15, vcc_lo
	s_clause 0x1
	global_load_ushort v10, v[12:13], off
	global_load_ushort v12, v[14:15], off
	s_waitcnt vmcnt(0)
	v_cmp_ge_i16_e32 vcc_lo, v10, v12
	s_and_b32 s11, vcc_lo, exec_lo
.LBB1061_39:
	s_or_b32 exec_lo, exec_lo, s6
	s_orn2_b32 s6, s11, exec_lo
.LBB1061_40:
	s_or_b32 exec_lo, exec_lo, s7
	v_mov_b32_e32 v10, s9
	v_cndmask_b32_e64 v12, v9, v3, s6
	s_mov_b32 s11, -1
	s_mov_b32 s7, -1
	s_mov_b32 s12, exec_lo
	v_cndmask_b32_e64 v10, s1, v10, s6
	v_add_nc_u32_e32 v13, 1, v12
	v_add_nc_u32_e32 v10, -1, v10
	v_cndmask_b32_e64 v12, v13, v9, s6
	v_cndmask_b32_e64 v3, v3, v13, s6
	v_min_u32_e32 v10, v13, v10
	v_lshlrev_b32_e32 v10, 1, v10
	ds_read_u16 v10, v10
	s_waitcnt lgkmcnt(0)
	v_cndmask_b32_e64 v9, v10, v2, s6
	v_cndmask_b32_e64 v10, v8, v10, s6
	v_cmpx_gt_u32_e64 s1, v12
	s_cbranch_execz .LBB1061_44
; %bb.41:
	s_mov_b32 s13, 0
	s_mov_b32 s7, exec_lo
	v_cmpx_gt_u32_e64 s9, v3
	s_cbranch_execz .LBB1061_43
; %bb.42:
	v_bfe_i32 v13, v9, 0, 16
	v_bfe_i32 v15, v10, 0, 16
	v_ashrrev_i32_e32 v14, 31, v13
	v_ashrrev_i32_e32 v16, 31, v15
	v_lshlrev_b64 v[13:14], 1, v[13:14]
	v_lshlrev_b64 v[15:16], 1, v[15:16]
	v_add_co_u32 v13, vcc_lo, s2, v13
	v_add_co_ci_u32_e64 v14, null, s3, v14, vcc_lo
	v_add_co_u32 v15, vcc_lo, s2, v15
	v_add_co_ci_u32_e64 v16, null, s3, v16, vcc_lo
	s_clause 0x1
	global_load_ushort v13, v[13:14], off
	global_load_ushort v14, v[15:16], off
	s_waitcnt vmcnt(0)
	v_cmp_ge_i16_e32 vcc_lo, v13, v14
	s_and_b32 s13, vcc_lo, exec_lo
.LBB1061_43:
	s_or_b32 exec_lo, exec_lo, s7
	s_orn2_b32 s7, s13, exec_lo
.LBB1061_44:
	s_or_b32 exec_lo, exec_lo, s12
	v_mov_b32_e32 v13, s9
	v_cndmask_b32_e64 v14, v12, v3, s7
	s_mov_b32 s12, exec_lo
	v_cndmask_b32_e64 v13, s1, v13, s7
	v_add_nc_u32_e32 v14, 1, v14
	v_add_nc_u32_e32 v13, -1, v13
	v_min_u32_e32 v13, v14, v13
	v_lshlrev_b32_e32 v13, 1, v13
	ds_read_u16 v15, v13
	v_cndmask_b32_e64 v13, v14, v12, s7
	v_cndmask_b32_e64 v14, v3, v14, s7
	s_waitcnt lgkmcnt(0)
	v_cndmask_b32_e64 v3, v15, v9, s7
	v_cndmask_b32_e64 v12, v10, v15, s7
	v_cmpx_gt_u32_e64 s1, v13
	s_cbranch_execz .LBB1061_48
; %bb.45:
	s_mov_b32 s13, 0
	s_mov_b32 s11, exec_lo
	v_cmpx_gt_u32_e64 s9, v14
	s_cbranch_execz .LBB1061_47
; %bb.46:
	v_bfe_i32 v15, v3, 0, 16
	v_bfe_i32 v17, v12, 0, 16
	v_ashrrev_i32_e32 v16, 31, v15
	v_ashrrev_i32_e32 v18, 31, v17
	v_lshlrev_b64 v[15:16], 1, v[15:16]
	v_lshlrev_b64 v[17:18], 1, v[17:18]
	v_add_co_u32 v15, vcc_lo, s2, v15
	v_add_co_ci_u32_e64 v16, null, s3, v16, vcc_lo
	v_add_co_u32 v17, vcc_lo, s2, v17
	v_add_co_ci_u32_e64 v18, null, s3, v18, vcc_lo
	s_clause 0x1
	global_load_ushort v15, v[15:16], off
	global_load_ushort v16, v[17:18], off
	s_waitcnt vmcnt(0)
	v_cmp_ge_i16_e32 vcc_lo, v15, v16
	s_and_b32 s13, vcc_lo, exec_lo
.LBB1061_47:
	s_or_b32 exec_lo, exec_lo, s11
	s_orn2_b32 s11, s13, exec_lo
.LBB1061_48:
	s_or_b32 exec_lo, exec_lo, s12
	v_mov_b32_e32 v15, s9
	v_cndmask_b32_e64 v16, v13, v14, s11
	s_mov_b32 s12, -1
	s_mov_b32 s13, -1
	s_mov_b32 s18, exec_lo
	v_cndmask_b32_e64 v15, s1, v15, s11
	v_add_nc_u32_e32 v16, 1, v16
	v_add_nc_u32_e32 v15, -1, v15
	v_cndmask_b32_e64 v13, v16, v13, s11
	v_min_u32_e32 v15, v16, v15
	v_cndmask_b32_e64 v16, v14, v16, s11
	v_lshlrev_b32_e32 v15, 1, v15
	ds_read_u16 v15, v15
	s_waitcnt lgkmcnt(0)
	v_cndmask_b32_e64 v14, v15, v3, s11
	v_cndmask_b32_e64 v15, v12, v15, s11
	v_cmpx_gt_u32_e64 s1, v13
	s_cbranch_execz .LBB1061_52
; %bb.49:
	s_mov_b32 s19, 0
	s_mov_b32 s13, exec_lo
	v_cmpx_gt_u32_e64 s9, v16
	s_cbranch_execz .LBB1061_51
; %bb.50:
	v_bfe_i32 v17, v14, 0, 16
	v_bfe_i32 v19, v15, 0, 16
	v_ashrrev_i32_e32 v18, 31, v17
	v_ashrrev_i32_e32 v20, 31, v19
	v_lshlrev_b64 v[17:18], 1, v[17:18]
	v_lshlrev_b64 v[19:20], 1, v[19:20]
	v_add_co_u32 v17, vcc_lo, s2, v17
	v_add_co_ci_u32_e64 v18, null, s3, v18, vcc_lo
	v_add_co_u32 v19, vcc_lo, s2, v19
	v_add_co_ci_u32_e64 v20, null, s3, v20, vcc_lo
	s_clause 0x1
	global_load_ushort v17, v[17:18], off
	global_load_ushort v18, v[19:20], off
	s_waitcnt vmcnt(0)
	v_cmp_ge_i16_e32 vcc_lo, v17, v18
	s_and_b32 s19, vcc_lo, exec_lo
.LBB1061_51:
	s_or_b32 exec_lo, exec_lo, s13
	s_orn2_b32 s13, s19, exec_lo
.LBB1061_52:
	s_or_b32 exec_lo, exec_lo, s18
	v_mov_b32_e32 v17, s9
	v_cndmask_b32_e64 v18, v13, v16, s13
	s_mov_b32 s18, exec_lo
	v_cndmask_b32_e64 v17, s1, v17, s13
	v_add_nc_u32_e32 v18, 1, v18
	v_add_nc_u32_e32 v17, -1, v17
	v_cndmask_b32_e64 v13, v18, v13, s13
	v_min_u32_e32 v17, v18, v17
	v_cndmask_b32_e64 v18, v16, v18, s13
	v_lshlrev_b32_e32 v17, 1, v17
	ds_read_u16 v17, v17
	s_waitcnt lgkmcnt(0)
	v_cndmask_b32_e64 v16, v17, v14, s13
	v_cndmask_b32_e64 v17, v15, v17, s13
	v_cmpx_gt_u32_e64 s1, v13
	s_cbranch_execz .LBB1061_56
; %bb.53:
	s_mov_b32 s19, 0
	s_mov_b32 s12, exec_lo
	v_cmpx_gt_u32_e64 s9, v18
	s_cbranch_execz .LBB1061_55
; %bb.54:
	v_bfe_i32 v19, v16, 0, 16
	v_bfe_i32 v21, v17, 0, 16
	v_ashrrev_i32_e32 v20, 31, v19
	v_ashrrev_i32_e32 v22, 31, v21
	v_lshlrev_b64 v[19:20], 1, v[19:20]
	v_lshlrev_b64 v[21:22], 1, v[21:22]
	v_add_co_u32 v19, vcc_lo, s2, v19
	v_add_co_ci_u32_e64 v20, null, s3, v20, vcc_lo
	v_add_co_u32 v21, vcc_lo, s2, v21
	v_add_co_ci_u32_e64 v22, null, s3, v22, vcc_lo
	s_clause 0x1
	global_load_ushort v19, v[19:20], off
	global_load_ushort v20, v[21:22], off
	s_waitcnt vmcnt(0)
	v_cmp_ge_i16_e32 vcc_lo, v19, v20
	s_and_b32 s19, vcc_lo, exec_lo
.LBB1061_55:
	s_or_b32 exec_lo, exec_lo, s12
	s_orn2_b32 s12, s19, exec_lo
.LBB1061_56:
	s_or_b32 exec_lo, exec_lo, s18
	v_mov_b32_e32 v19, s9
	v_cndmask_b32_e64 v20, v13, v18, s12
	v_cndmask_b32_e64 v21, s1, v19, s12
	v_add_nc_u32_e32 v19, 1, v20
	v_add_nc_u32_e32 v20, -1, v21
	v_cndmask_b32_e64 v21, v19, v13, s12
	v_min_u32_e32 v20, v19, v20
	v_cmp_gt_u32_e32 vcc_lo, s1, v21
	v_lshlrev_b32_e32 v20, 1, v20
	ds_read_u16 v20, v20
	s_waitcnt lgkmcnt(0)
	v_cndmask_b32_e64 v13, v17, v20, s12
	s_and_saveexec_b32 s1, vcc_lo
	s_cbranch_execz .LBB1061_60
; %bb.57:
	v_cndmask_b32_e64 v19, v18, v19, s12
	v_cndmask_b32_e64 v18, v20, v16, s12
	v_cmp_gt_u32_e32 vcc_lo, s9, v19
	s_and_saveexec_b32 s9, vcc_lo
	s_cbranch_execz .LBB1061_59
; %bb.58:
	v_bfe_i32 v19, v18, 0, 16
	v_bfe_i32 v21, v13, 0, 16
	v_ashrrev_i32_e32 v20, 31, v19
	v_ashrrev_i32_e32 v22, 31, v21
	v_lshlrev_b64 v[19:20], 1, v[19:20]
	v_lshlrev_b64 v[21:22], 1, v[21:22]
	v_add_co_u32 v19, vcc_lo, s2, v19
	v_add_co_ci_u32_e64 v20, null, s3, v20, vcc_lo
	v_add_co_u32 v21, vcc_lo, s2, v21
	v_add_co_ci_u32_e64 v22, null, s3, v22, vcc_lo
	s_clause 0x1
	global_load_ushort v19, v[19:20], off
	global_load_ushort v20, v[21:22], off
	s_waitcnt vmcnt(0)
	v_cmp_lt_i16_e32 vcc_lo, v19, v20
	v_cndmask_b32_e32 v18, v13, v18, vcc_lo
.LBB1061_59:
	s_or_b32 exec_lo, exec_lo, s9
	v_mov_b32_e32 v13, v18
.LBB1061_60:
	s_or_b32 exec_lo, exec_lo, s1
	v_cndmask_b32_e64 v14, v14, v15, s13
	v_cndmask_b32_e64 v3, v3, v12, s11
	;; [unrolled: 1-line block ×7, first 2 shown]
.LBB1061_61:
	s_or_b32 exec_lo, exec_lo, s4
	v_lshrrev_b32_e32 v6, 1, v0
	v_or_b32_e32 v8, 0x80, v0
	v_perm_b32 v2, v9, v2, 0x5040100
	v_perm_b32 v1, v7, v1, 0x5040100
	v_lshrrev_b32_e32 v7, 4, v0
	v_and_b32_e32 v6, 60, v6
	v_lshrrev_b32_e32 v9, 4, v8
	v_perm_b32 v4, v13, v4, 0x5040100
	v_perm_b32 v3, v14, v3, 0x5040100
	v_and_b32_e32 v7, 4, v7
	v_lshl_add_u32 v5, v5, 1, v6
	v_or_b32_e32 v6, 0x100, v0
	v_and_b32_e32 v9, 12, v9
	s_barrier
	buffer_gl0_inv
	v_lshrrev_b32_e32 v10, 4, v6
	v_add_nc_u32_e32 v12, v9, v11
	v_or_b32_e32 v9, 0x180, v0
	s_barrier
	buffer_gl0_inv
	v_and_b32_e32 v13, 20, v10
	ds_write2_b32 v5, v1, v2 offset1:1
	ds_write2_b32 v5, v3, v4 offset0:2 offset1:3
	v_add_nc_u32_e32 v10, v7, v11
	v_or_b32_e32 v7, 0x200, v0
	v_or_b32_e32 v5, 0x280, v0
	;; [unrolled: 1-line block ×4, first 2 shown]
	v_lshrrev_b32_e32 v1, 4, v9
	v_lshrrev_b32_e32 v2, 4, v7
	;; [unrolled: 1-line block ×5, first 2 shown]
	v_and_b32_e32 v1, 28, v1
	s_lshl_b64 s[0:1], s[16:17], 1
	v_and_b32_e32 v2, 36, v2
	v_and_b32_e32 v17, 44, v14
	;; [unrolled: 1-line block ×4, first 2 shown]
	s_add_u32 s0, s14, s0
	s_addc_u32 s1, s15, s1
	v_add_nc_u32_e32 v14, v1, v11
	v_add_co_u32 v1, s0, s0, v11
	v_add_nc_u32_e32 v13, v13, v11
	v_add_nc_u32_e32 v15, v2, v11
	v_add_nc_u32_e32 v16, v17, v11
	v_add_nc_u32_e32 v17, v18, v11
	v_add_nc_u32_e32 v18, v19, v11
	v_add_co_ci_u32_e64 v2, null, s1, 0, s0
	s_and_b32 vcc_lo, exec_lo, s10
	s_waitcnt lgkmcnt(0)
	s_cbranch_vccz .LBB1061_63
; %bb.62:
	s_barrier
	buffer_gl0_inv
	ds_read_u16 v19, v17 offset:1536
	s_mov_b32 s0, -1
	s_waitcnt lgkmcnt(0)
	v_mov_b32_e32 v11, v19
	ds_read_u16 v20, v10
	ds_read_u16 v21, v12 offset:256
	ds_read_u16 v22, v13 offset:512
	;; [unrolled: 1-line block ×5, first 2 shown]
	ds_read_u16_d16_hi v11, v18 offset:1792
	s_waitcnt lgkmcnt(6)
	global_store_short v[1:2], v20, off
	s_waitcnt lgkmcnt(5)
	global_store_short v[1:2], v21, off offset:256
	s_waitcnt lgkmcnt(4)
	global_store_short v[1:2], v22, off offset:512
	;; [unrolled: 2-line block ×5, first 2 shown]
	global_store_short v[1:2], v19, off offset:1536
	s_cbranch_execz .LBB1061_64
	s_branch .LBB1061_73
.LBB1061_63:
	s_mov_b32 s0, 0
                                        ; implicit-def: $vgpr11
.LBB1061_64:
	s_barrier
	s_waitcnt lgkmcnt(0)
	s_waitcnt_vscnt null, 0x0
	buffer_gl0_inv
	ds_read_u16 v21, v10
	ds_read_u16 v20, v12 offset:256
	ds_read_u16 v19, v13 offset:512
	;; [unrolled: 1-line block ×7, first 2 shown]
	s_sub_i32 s0, s8, s16
	s_mov_b32 s1, exec_lo
	v_cmpx_gt_u32_e64 s0, v0
	s_cbranch_execnz .LBB1061_78
; %bb.65:
	s_or_b32 exec_lo, exec_lo, s1
	s_mov_b32 s1, exec_lo
	v_cmpx_gt_u32_e64 s0, v8
	s_cbranch_execnz .LBB1061_79
.LBB1061_66:
	s_or_b32 exec_lo, exec_lo, s1
	s_mov_b32 s1, exec_lo
	v_cmpx_gt_u32_e64 s0, v6
	s_cbranch_execnz .LBB1061_80
.LBB1061_67:
	s_or_b32 exec_lo, exec_lo, s1
	s_mov_b32 s1, exec_lo
	v_cmpx_gt_u32_e64 s0, v9
	s_cbranch_execnz .LBB1061_81
.LBB1061_68:
	s_or_b32 exec_lo, exec_lo, s1
	s_mov_b32 s1, exec_lo
	v_cmpx_gt_u32_e64 s0, v7
	s_cbranch_execnz .LBB1061_82
.LBB1061_69:
	s_or_b32 exec_lo, exec_lo, s1
	s_mov_b32 s1, exec_lo
	v_cmpx_gt_u32_e64 s0, v5
	s_cbranch_execnz .LBB1061_83
.LBB1061_70:
	s_or_b32 exec_lo, exec_lo, s1
	s_mov_b32 s1, exec_lo
	v_cmpx_gt_u32_e64 s0, v4
	s_cbranch_execz .LBB1061_72
.LBB1061_71:
	s_waitcnt lgkmcnt(1)
	global_store_short v[1:2], v10, off offset:1536
.LBB1061_72:
	s_or_b32 exec_lo, exec_lo, s1
	v_cmp_gt_u32_e64 s0, s0, v3
	s_waitcnt lgkmcnt(0)
	v_perm_b32 v11, v11, v10, 0x5040100
.LBB1061_73:
	s_and_saveexec_b32 s1, s0
	s_cbranch_execz .LBB1061_75
; %bb.74:
	s_waitcnt lgkmcnt(0)
	global_store_short_d16_hi v[1:2], v11, off offset:1792
.LBB1061_75:
	s_endpgm
.LBB1061_76:
	v_sub_co_u32 v2, vcc_lo, v0, s9
	v_mov_b32_e32 v3, v1
	v_add_co_u32 v4, s0, s23, v11
	v_add_co_ci_u32_e64 v6, null, s24, 0, s0
	v_lshlrev_b64 v[2:3], 1, v[2:3]
	v_mov_b32_e32 v13, v1
	v_mov_b32_e32 v14, v1
	;; [unrolled: 1-line block ×4, first 2 shown]
	v_add_co_u32 v2, s0, s12, v2
	v_add_co_ci_u32_e64 v3, null, s13, v3, s0
	v_cndmask_b32_e32 v2, v2, v4, vcc_lo
	v_cndmask_b32_e32 v3, v3, v6, vcc_lo
	global_load_short_d16 v13, v[2:3], off
	s_waitcnt vmcnt(0)
	v_mov_b32_e32 v1, v13
	v_mov_b32_e32 v2, v14
	;; [unrolled: 1-line block ×4, first 2 shown]
	s_or_b32 exec_lo, exec_lo, s4
	s_mov_b32 s4, exec_lo
	v_cmpx_gt_u32_e64 s1, v7
	s_cbranch_execz .LBB1061_8
.LBB1061_77:
	v_mov_b32_e32 v8, 0
	v_lshlrev_b64 v[9:10], 1, v[7:8]
	v_add_co_u32 v9, vcc_lo, s23, v9
	v_add_co_ci_u32_e64 v10, null, s24, v10, vcc_lo
	v_sub_co_u32 v7, vcc_lo, v7, s9
	v_lshlrev_b64 v[6:7], 1, v[7:8]
	v_add_co_u32 v6, s0, s12, v6
	v_add_co_ci_u32_e64 v7, null, s13, v7, s0
	v_cndmask_b32_e32 v6, v6, v9, vcc_lo
	v_cndmask_b32_e32 v7, v7, v10, vcc_lo
	global_load_short_d16_hi v1, v[6:7], off
	s_or_b32 exec_lo, exec_lo, s4
	s_mov_b32 s4, exec_lo
	v_cmpx_gt_u32_e64 s1, v5
	s_cbranch_execnz .LBB1061_9
	s_branch .LBB1061_10
.LBB1061_78:
	s_waitcnt lgkmcnt(7)
	global_store_short v[1:2], v21, off
	s_or_b32 exec_lo, exec_lo, s1
	s_mov_b32 s1, exec_lo
	v_cmpx_gt_u32_e64 s0, v8
	s_cbranch_execz .LBB1061_66
.LBB1061_79:
	s_waitcnt lgkmcnt(6)
	global_store_short v[1:2], v20, off offset:256
	s_or_b32 exec_lo, exec_lo, s1
	s_mov_b32 s1, exec_lo
	v_cmpx_gt_u32_e64 s0, v6
	s_cbranch_execz .LBB1061_67
.LBB1061_80:
	s_waitcnt lgkmcnt(5)
	global_store_short v[1:2], v19, off offset:512
	s_or_b32 exec_lo, exec_lo, s1
	s_mov_b32 s1, exec_lo
	v_cmpx_gt_u32_e64 s0, v9
	s_cbranch_execz .LBB1061_68
.LBB1061_81:
	s_waitcnt lgkmcnt(4)
	global_store_short v[1:2], v14, off offset:768
	s_or_b32 exec_lo, exec_lo, s1
	s_mov_b32 s1, exec_lo
	v_cmpx_gt_u32_e64 s0, v7
	s_cbranch_execz .LBB1061_69
.LBB1061_82:
	s_waitcnt lgkmcnt(3)
	global_store_short v[1:2], v13, off offset:1024
	s_or_b32 exec_lo, exec_lo, s1
	s_mov_b32 s1, exec_lo
	v_cmpx_gt_u32_e64 s0, v5
	s_cbranch_execz .LBB1061_70
.LBB1061_83:
	s_waitcnt lgkmcnt(2)
	global_store_short v[1:2], v12, off offset:1280
	s_or_b32 exec_lo, exec_lo, s1
	s_mov_b32 s1, exec_lo
	v_cmpx_gt_u32_e64 s0, v4
	s_cbranch_execnz .LBB1061_71
	s_branch .LBB1061_72
	.section	.rodata,"a",@progbits
	.p2align	6, 0x0
	.amdhsa_kernel _ZN7rocprim17ROCPRIM_400000_NS6detail17trampoline_kernelINS0_14default_configENS1_38merge_sort_block_merge_config_selectorIsNS0_10empty_typeEEEZZNS1_27merge_sort_block_merge_implIS3_N6thrust23THRUST_200600_302600_NS6detail15normal_iteratorINS9_10device_ptrIsEEEEPS5_m9comp_mod3IsEEE10hipError_tT0_T1_T2_jT3_P12ihipStream_tbPNSt15iterator_traitsISJ_E10value_typeEPNSP_ISK_E10value_typeEPSL_NS1_7vsmem_tEENKUlT_SJ_SK_SL_E_clIPsSE_SF_SF_EESI_SY_SJ_SK_SL_EUlSY_E0_NS1_11comp_targetILNS1_3genE8ELNS1_11target_archE1030ELNS1_3gpuE2ELNS1_3repE0EEENS1_38merge_mergepath_config_static_selectorELNS0_4arch9wavefront6targetE0EEEvSK_
		.amdhsa_group_segment_fixed_size 2112
		.amdhsa_private_segment_fixed_size 0
		.amdhsa_kernarg_size 336
		.amdhsa_user_sgpr_count 6
		.amdhsa_user_sgpr_private_segment_buffer 1
		.amdhsa_user_sgpr_dispatch_ptr 0
		.amdhsa_user_sgpr_queue_ptr 0
		.amdhsa_user_sgpr_kernarg_segment_ptr 1
		.amdhsa_user_sgpr_dispatch_id 0
		.amdhsa_user_sgpr_flat_scratch_init 0
		.amdhsa_user_sgpr_private_segment_size 0
		.amdhsa_wavefront_size32 1
		.amdhsa_uses_dynamic_stack 0
		.amdhsa_system_sgpr_private_segment_wavefront_offset 0
		.amdhsa_system_sgpr_workgroup_id_x 1
		.amdhsa_system_sgpr_workgroup_id_y 1
		.amdhsa_system_sgpr_workgroup_id_z 1
		.amdhsa_system_sgpr_workgroup_info 0
		.amdhsa_system_vgpr_workitem_id 0
		.amdhsa_next_free_vgpr 33
		.amdhsa_next_free_sgpr 32
		.amdhsa_reserve_vcc 1
		.amdhsa_reserve_flat_scratch 0
		.amdhsa_float_round_mode_32 0
		.amdhsa_float_round_mode_16_64 0
		.amdhsa_float_denorm_mode_32 3
		.amdhsa_float_denorm_mode_16_64 3
		.amdhsa_dx10_clamp 1
		.amdhsa_ieee_mode 1
		.amdhsa_fp16_overflow 0
		.amdhsa_workgroup_processor_mode 1
		.amdhsa_memory_ordered 1
		.amdhsa_forward_progress 1
		.amdhsa_shared_vgpr_count 0
		.amdhsa_exception_fp_ieee_invalid_op 0
		.amdhsa_exception_fp_denorm_src 0
		.amdhsa_exception_fp_ieee_div_zero 0
		.amdhsa_exception_fp_ieee_overflow 0
		.amdhsa_exception_fp_ieee_underflow 0
		.amdhsa_exception_fp_ieee_inexact 0
		.amdhsa_exception_int_div_zero 0
	.end_amdhsa_kernel
	.section	.text._ZN7rocprim17ROCPRIM_400000_NS6detail17trampoline_kernelINS0_14default_configENS1_38merge_sort_block_merge_config_selectorIsNS0_10empty_typeEEEZZNS1_27merge_sort_block_merge_implIS3_N6thrust23THRUST_200600_302600_NS6detail15normal_iteratorINS9_10device_ptrIsEEEEPS5_m9comp_mod3IsEEE10hipError_tT0_T1_T2_jT3_P12ihipStream_tbPNSt15iterator_traitsISJ_E10value_typeEPNSP_ISK_E10value_typeEPSL_NS1_7vsmem_tEENKUlT_SJ_SK_SL_E_clIPsSE_SF_SF_EESI_SY_SJ_SK_SL_EUlSY_E0_NS1_11comp_targetILNS1_3genE8ELNS1_11target_archE1030ELNS1_3gpuE2ELNS1_3repE0EEENS1_38merge_mergepath_config_static_selectorELNS0_4arch9wavefront6targetE0EEEvSK_,"axG",@progbits,_ZN7rocprim17ROCPRIM_400000_NS6detail17trampoline_kernelINS0_14default_configENS1_38merge_sort_block_merge_config_selectorIsNS0_10empty_typeEEEZZNS1_27merge_sort_block_merge_implIS3_N6thrust23THRUST_200600_302600_NS6detail15normal_iteratorINS9_10device_ptrIsEEEEPS5_m9comp_mod3IsEEE10hipError_tT0_T1_T2_jT3_P12ihipStream_tbPNSt15iterator_traitsISJ_E10value_typeEPNSP_ISK_E10value_typeEPSL_NS1_7vsmem_tEENKUlT_SJ_SK_SL_E_clIPsSE_SF_SF_EESI_SY_SJ_SK_SL_EUlSY_E0_NS1_11comp_targetILNS1_3genE8ELNS1_11target_archE1030ELNS1_3gpuE2ELNS1_3repE0EEENS1_38merge_mergepath_config_static_selectorELNS0_4arch9wavefront6targetE0EEEvSK_,comdat
.Lfunc_end1061:
	.size	_ZN7rocprim17ROCPRIM_400000_NS6detail17trampoline_kernelINS0_14default_configENS1_38merge_sort_block_merge_config_selectorIsNS0_10empty_typeEEEZZNS1_27merge_sort_block_merge_implIS3_N6thrust23THRUST_200600_302600_NS6detail15normal_iteratorINS9_10device_ptrIsEEEEPS5_m9comp_mod3IsEEE10hipError_tT0_T1_T2_jT3_P12ihipStream_tbPNSt15iterator_traitsISJ_E10value_typeEPNSP_ISK_E10value_typeEPSL_NS1_7vsmem_tEENKUlT_SJ_SK_SL_E_clIPsSE_SF_SF_EESI_SY_SJ_SK_SL_EUlSY_E0_NS1_11comp_targetILNS1_3genE8ELNS1_11target_archE1030ELNS1_3gpuE2ELNS1_3repE0EEENS1_38merge_mergepath_config_static_selectorELNS0_4arch9wavefront6targetE0EEEvSK_, .Lfunc_end1061-_ZN7rocprim17ROCPRIM_400000_NS6detail17trampoline_kernelINS0_14default_configENS1_38merge_sort_block_merge_config_selectorIsNS0_10empty_typeEEEZZNS1_27merge_sort_block_merge_implIS3_N6thrust23THRUST_200600_302600_NS6detail15normal_iteratorINS9_10device_ptrIsEEEEPS5_m9comp_mod3IsEEE10hipError_tT0_T1_T2_jT3_P12ihipStream_tbPNSt15iterator_traitsISJ_E10value_typeEPNSP_ISK_E10value_typeEPSL_NS1_7vsmem_tEENKUlT_SJ_SK_SL_E_clIPsSE_SF_SF_EESI_SY_SJ_SK_SL_EUlSY_E0_NS1_11comp_targetILNS1_3genE8ELNS1_11target_archE1030ELNS1_3gpuE2ELNS1_3repE0EEENS1_38merge_mergepath_config_static_selectorELNS0_4arch9wavefront6targetE0EEEvSK_
                                        ; -- End function
	.set _ZN7rocprim17ROCPRIM_400000_NS6detail17trampoline_kernelINS0_14default_configENS1_38merge_sort_block_merge_config_selectorIsNS0_10empty_typeEEEZZNS1_27merge_sort_block_merge_implIS3_N6thrust23THRUST_200600_302600_NS6detail15normal_iteratorINS9_10device_ptrIsEEEEPS5_m9comp_mod3IsEEE10hipError_tT0_T1_T2_jT3_P12ihipStream_tbPNSt15iterator_traitsISJ_E10value_typeEPNSP_ISK_E10value_typeEPSL_NS1_7vsmem_tEENKUlT_SJ_SK_SL_E_clIPsSE_SF_SF_EESI_SY_SJ_SK_SL_EUlSY_E0_NS1_11comp_targetILNS1_3genE8ELNS1_11target_archE1030ELNS1_3gpuE2ELNS1_3repE0EEENS1_38merge_mergepath_config_static_selectorELNS0_4arch9wavefront6targetE0EEEvSK_.num_vgpr, 33
	.set _ZN7rocprim17ROCPRIM_400000_NS6detail17trampoline_kernelINS0_14default_configENS1_38merge_sort_block_merge_config_selectorIsNS0_10empty_typeEEEZZNS1_27merge_sort_block_merge_implIS3_N6thrust23THRUST_200600_302600_NS6detail15normal_iteratorINS9_10device_ptrIsEEEEPS5_m9comp_mod3IsEEE10hipError_tT0_T1_T2_jT3_P12ihipStream_tbPNSt15iterator_traitsISJ_E10value_typeEPNSP_ISK_E10value_typeEPSL_NS1_7vsmem_tEENKUlT_SJ_SK_SL_E_clIPsSE_SF_SF_EESI_SY_SJ_SK_SL_EUlSY_E0_NS1_11comp_targetILNS1_3genE8ELNS1_11target_archE1030ELNS1_3gpuE2ELNS1_3repE0EEENS1_38merge_mergepath_config_static_selectorELNS0_4arch9wavefront6targetE0EEEvSK_.num_agpr, 0
	.set _ZN7rocprim17ROCPRIM_400000_NS6detail17trampoline_kernelINS0_14default_configENS1_38merge_sort_block_merge_config_selectorIsNS0_10empty_typeEEEZZNS1_27merge_sort_block_merge_implIS3_N6thrust23THRUST_200600_302600_NS6detail15normal_iteratorINS9_10device_ptrIsEEEEPS5_m9comp_mod3IsEEE10hipError_tT0_T1_T2_jT3_P12ihipStream_tbPNSt15iterator_traitsISJ_E10value_typeEPNSP_ISK_E10value_typeEPSL_NS1_7vsmem_tEENKUlT_SJ_SK_SL_E_clIPsSE_SF_SF_EESI_SY_SJ_SK_SL_EUlSY_E0_NS1_11comp_targetILNS1_3genE8ELNS1_11target_archE1030ELNS1_3gpuE2ELNS1_3repE0EEENS1_38merge_mergepath_config_static_selectorELNS0_4arch9wavefront6targetE0EEEvSK_.numbered_sgpr, 32
	.set _ZN7rocprim17ROCPRIM_400000_NS6detail17trampoline_kernelINS0_14default_configENS1_38merge_sort_block_merge_config_selectorIsNS0_10empty_typeEEEZZNS1_27merge_sort_block_merge_implIS3_N6thrust23THRUST_200600_302600_NS6detail15normal_iteratorINS9_10device_ptrIsEEEEPS5_m9comp_mod3IsEEE10hipError_tT0_T1_T2_jT3_P12ihipStream_tbPNSt15iterator_traitsISJ_E10value_typeEPNSP_ISK_E10value_typeEPSL_NS1_7vsmem_tEENKUlT_SJ_SK_SL_E_clIPsSE_SF_SF_EESI_SY_SJ_SK_SL_EUlSY_E0_NS1_11comp_targetILNS1_3genE8ELNS1_11target_archE1030ELNS1_3gpuE2ELNS1_3repE0EEENS1_38merge_mergepath_config_static_selectorELNS0_4arch9wavefront6targetE0EEEvSK_.num_named_barrier, 0
	.set _ZN7rocprim17ROCPRIM_400000_NS6detail17trampoline_kernelINS0_14default_configENS1_38merge_sort_block_merge_config_selectorIsNS0_10empty_typeEEEZZNS1_27merge_sort_block_merge_implIS3_N6thrust23THRUST_200600_302600_NS6detail15normal_iteratorINS9_10device_ptrIsEEEEPS5_m9comp_mod3IsEEE10hipError_tT0_T1_T2_jT3_P12ihipStream_tbPNSt15iterator_traitsISJ_E10value_typeEPNSP_ISK_E10value_typeEPSL_NS1_7vsmem_tEENKUlT_SJ_SK_SL_E_clIPsSE_SF_SF_EESI_SY_SJ_SK_SL_EUlSY_E0_NS1_11comp_targetILNS1_3genE8ELNS1_11target_archE1030ELNS1_3gpuE2ELNS1_3repE0EEENS1_38merge_mergepath_config_static_selectorELNS0_4arch9wavefront6targetE0EEEvSK_.private_seg_size, 0
	.set _ZN7rocprim17ROCPRIM_400000_NS6detail17trampoline_kernelINS0_14default_configENS1_38merge_sort_block_merge_config_selectorIsNS0_10empty_typeEEEZZNS1_27merge_sort_block_merge_implIS3_N6thrust23THRUST_200600_302600_NS6detail15normal_iteratorINS9_10device_ptrIsEEEEPS5_m9comp_mod3IsEEE10hipError_tT0_T1_T2_jT3_P12ihipStream_tbPNSt15iterator_traitsISJ_E10value_typeEPNSP_ISK_E10value_typeEPSL_NS1_7vsmem_tEENKUlT_SJ_SK_SL_E_clIPsSE_SF_SF_EESI_SY_SJ_SK_SL_EUlSY_E0_NS1_11comp_targetILNS1_3genE8ELNS1_11target_archE1030ELNS1_3gpuE2ELNS1_3repE0EEENS1_38merge_mergepath_config_static_selectorELNS0_4arch9wavefront6targetE0EEEvSK_.uses_vcc, 1
	.set _ZN7rocprim17ROCPRIM_400000_NS6detail17trampoline_kernelINS0_14default_configENS1_38merge_sort_block_merge_config_selectorIsNS0_10empty_typeEEEZZNS1_27merge_sort_block_merge_implIS3_N6thrust23THRUST_200600_302600_NS6detail15normal_iteratorINS9_10device_ptrIsEEEEPS5_m9comp_mod3IsEEE10hipError_tT0_T1_T2_jT3_P12ihipStream_tbPNSt15iterator_traitsISJ_E10value_typeEPNSP_ISK_E10value_typeEPSL_NS1_7vsmem_tEENKUlT_SJ_SK_SL_E_clIPsSE_SF_SF_EESI_SY_SJ_SK_SL_EUlSY_E0_NS1_11comp_targetILNS1_3genE8ELNS1_11target_archE1030ELNS1_3gpuE2ELNS1_3repE0EEENS1_38merge_mergepath_config_static_selectorELNS0_4arch9wavefront6targetE0EEEvSK_.uses_flat_scratch, 0
	.set _ZN7rocprim17ROCPRIM_400000_NS6detail17trampoline_kernelINS0_14default_configENS1_38merge_sort_block_merge_config_selectorIsNS0_10empty_typeEEEZZNS1_27merge_sort_block_merge_implIS3_N6thrust23THRUST_200600_302600_NS6detail15normal_iteratorINS9_10device_ptrIsEEEEPS5_m9comp_mod3IsEEE10hipError_tT0_T1_T2_jT3_P12ihipStream_tbPNSt15iterator_traitsISJ_E10value_typeEPNSP_ISK_E10value_typeEPSL_NS1_7vsmem_tEENKUlT_SJ_SK_SL_E_clIPsSE_SF_SF_EESI_SY_SJ_SK_SL_EUlSY_E0_NS1_11comp_targetILNS1_3genE8ELNS1_11target_archE1030ELNS1_3gpuE2ELNS1_3repE0EEENS1_38merge_mergepath_config_static_selectorELNS0_4arch9wavefront6targetE0EEEvSK_.has_dyn_sized_stack, 0
	.set _ZN7rocprim17ROCPRIM_400000_NS6detail17trampoline_kernelINS0_14default_configENS1_38merge_sort_block_merge_config_selectorIsNS0_10empty_typeEEEZZNS1_27merge_sort_block_merge_implIS3_N6thrust23THRUST_200600_302600_NS6detail15normal_iteratorINS9_10device_ptrIsEEEEPS5_m9comp_mod3IsEEE10hipError_tT0_T1_T2_jT3_P12ihipStream_tbPNSt15iterator_traitsISJ_E10value_typeEPNSP_ISK_E10value_typeEPSL_NS1_7vsmem_tEENKUlT_SJ_SK_SL_E_clIPsSE_SF_SF_EESI_SY_SJ_SK_SL_EUlSY_E0_NS1_11comp_targetILNS1_3genE8ELNS1_11target_archE1030ELNS1_3gpuE2ELNS1_3repE0EEENS1_38merge_mergepath_config_static_selectorELNS0_4arch9wavefront6targetE0EEEvSK_.has_recursion, 0
	.set _ZN7rocprim17ROCPRIM_400000_NS6detail17trampoline_kernelINS0_14default_configENS1_38merge_sort_block_merge_config_selectorIsNS0_10empty_typeEEEZZNS1_27merge_sort_block_merge_implIS3_N6thrust23THRUST_200600_302600_NS6detail15normal_iteratorINS9_10device_ptrIsEEEEPS5_m9comp_mod3IsEEE10hipError_tT0_T1_T2_jT3_P12ihipStream_tbPNSt15iterator_traitsISJ_E10value_typeEPNSP_ISK_E10value_typeEPSL_NS1_7vsmem_tEENKUlT_SJ_SK_SL_E_clIPsSE_SF_SF_EESI_SY_SJ_SK_SL_EUlSY_E0_NS1_11comp_targetILNS1_3genE8ELNS1_11target_archE1030ELNS1_3gpuE2ELNS1_3repE0EEENS1_38merge_mergepath_config_static_selectorELNS0_4arch9wavefront6targetE0EEEvSK_.has_indirect_call, 0
	.section	.AMDGPU.csdata,"",@progbits
; Kernel info:
; codeLenInByte = 5284
; TotalNumSgprs: 34
; NumVgprs: 33
; ScratchSize: 0
; MemoryBound: 0
; FloatMode: 240
; IeeeMode: 1
; LDSByteSize: 2112 bytes/workgroup (compile time only)
; SGPRBlocks: 0
; VGPRBlocks: 4
; NumSGPRsForWavesPerEU: 34
; NumVGPRsForWavesPerEU: 33
; Occupancy: 16
; WaveLimiterHint : 1
; COMPUTE_PGM_RSRC2:SCRATCH_EN: 0
; COMPUTE_PGM_RSRC2:USER_SGPR: 6
; COMPUTE_PGM_RSRC2:TRAP_HANDLER: 0
; COMPUTE_PGM_RSRC2:TGID_X_EN: 1
; COMPUTE_PGM_RSRC2:TGID_Y_EN: 1
; COMPUTE_PGM_RSRC2:TGID_Z_EN: 1
; COMPUTE_PGM_RSRC2:TIDIG_COMP_CNT: 0
	.section	.text._ZN7rocprim17ROCPRIM_400000_NS6detail17trampoline_kernelINS0_14default_configENS1_38merge_sort_block_merge_config_selectorIsNS0_10empty_typeEEEZZNS1_27merge_sort_block_merge_implIS3_N6thrust23THRUST_200600_302600_NS6detail15normal_iteratorINS9_10device_ptrIsEEEEPS5_m9comp_mod3IsEEE10hipError_tT0_T1_T2_jT3_P12ihipStream_tbPNSt15iterator_traitsISJ_E10value_typeEPNSP_ISK_E10value_typeEPSL_NS1_7vsmem_tEENKUlT_SJ_SK_SL_E_clIPsSE_SF_SF_EESI_SY_SJ_SK_SL_EUlSY_E1_NS1_11comp_targetILNS1_3genE0ELNS1_11target_archE4294967295ELNS1_3gpuE0ELNS1_3repE0EEENS1_36merge_oddeven_config_static_selectorELNS0_4arch9wavefront6targetE0EEEvSK_,"axG",@progbits,_ZN7rocprim17ROCPRIM_400000_NS6detail17trampoline_kernelINS0_14default_configENS1_38merge_sort_block_merge_config_selectorIsNS0_10empty_typeEEEZZNS1_27merge_sort_block_merge_implIS3_N6thrust23THRUST_200600_302600_NS6detail15normal_iteratorINS9_10device_ptrIsEEEEPS5_m9comp_mod3IsEEE10hipError_tT0_T1_T2_jT3_P12ihipStream_tbPNSt15iterator_traitsISJ_E10value_typeEPNSP_ISK_E10value_typeEPSL_NS1_7vsmem_tEENKUlT_SJ_SK_SL_E_clIPsSE_SF_SF_EESI_SY_SJ_SK_SL_EUlSY_E1_NS1_11comp_targetILNS1_3genE0ELNS1_11target_archE4294967295ELNS1_3gpuE0ELNS1_3repE0EEENS1_36merge_oddeven_config_static_selectorELNS0_4arch9wavefront6targetE0EEEvSK_,comdat
	.protected	_ZN7rocprim17ROCPRIM_400000_NS6detail17trampoline_kernelINS0_14default_configENS1_38merge_sort_block_merge_config_selectorIsNS0_10empty_typeEEEZZNS1_27merge_sort_block_merge_implIS3_N6thrust23THRUST_200600_302600_NS6detail15normal_iteratorINS9_10device_ptrIsEEEEPS5_m9comp_mod3IsEEE10hipError_tT0_T1_T2_jT3_P12ihipStream_tbPNSt15iterator_traitsISJ_E10value_typeEPNSP_ISK_E10value_typeEPSL_NS1_7vsmem_tEENKUlT_SJ_SK_SL_E_clIPsSE_SF_SF_EESI_SY_SJ_SK_SL_EUlSY_E1_NS1_11comp_targetILNS1_3genE0ELNS1_11target_archE4294967295ELNS1_3gpuE0ELNS1_3repE0EEENS1_36merge_oddeven_config_static_selectorELNS0_4arch9wavefront6targetE0EEEvSK_ ; -- Begin function _ZN7rocprim17ROCPRIM_400000_NS6detail17trampoline_kernelINS0_14default_configENS1_38merge_sort_block_merge_config_selectorIsNS0_10empty_typeEEEZZNS1_27merge_sort_block_merge_implIS3_N6thrust23THRUST_200600_302600_NS6detail15normal_iteratorINS9_10device_ptrIsEEEEPS5_m9comp_mod3IsEEE10hipError_tT0_T1_T2_jT3_P12ihipStream_tbPNSt15iterator_traitsISJ_E10value_typeEPNSP_ISK_E10value_typeEPSL_NS1_7vsmem_tEENKUlT_SJ_SK_SL_E_clIPsSE_SF_SF_EESI_SY_SJ_SK_SL_EUlSY_E1_NS1_11comp_targetILNS1_3genE0ELNS1_11target_archE4294967295ELNS1_3gpuE0ELNS1_3repE0EEENS1_36merge_oddeven_config_static_selectorELNS0_4arch9wavefront6targetE0EEEvSK_
	.globl	_ZN7rocprim17ROCPRIM_400000_NS6detail17trampoline_kernelINS0_14default_configENS1_38merge_sort_block_merge_config_selectorIsNS0_10empty_typeEEEZZNS1_27merge_sort_block_merge_implIS3_N6thrust23THRUST_200600_302600_NS6detail15normal_iteratorINS9_10device_ptrIsEEEEPS5_m9comp_mod3IsEEE10hipError_tT0_T1_T2_jT3_P12ihipStream_tbPNSt15iterator_traitsISJ_E10value_typeEPNSP_ISK_E10value_typeEPSL_NS1_7vsmem_tEENKUlT_SJ_SK_SL_E_clIPsSE_SF_SF_EESI_SY_SJ_SK_SL_EUlSY_E1_NS1_11comp_targetILNS1_3genE0ELNS1_11target_archE4294967295ELNS1_3gpuE0ELNS1_3repE0EEENS1_36merge_oddeven_config_static_selectorELNS0_4arch9wavefront6targetE0EEEvSK_
	.p2align	8
	.type	_ZN7rocprim17ROCPRIM_400000_NS6detail17trampoline_kernelINS0_14default_configENS1_38merge_sort_block_merge_config_selectorIsNS0_10empty_typeEEEZZNS1_27merge_sort_block_merge_implIS3_N6thrust23THRUST_200600_302600_NS6detail15normal_iteratorINS9_10device_ptrIsEEEEPS5_m9comp_mod3IsEEE10hipError_tT0_T1_T2_jT3_P12ihipStream_tbPNSt15iterator_traitsISJ_E10value_typeEPNSP_ISK_E10value_typeEPSL_NS1_7vsmem_tEENKUlT_SJ_SK_SL_E_clIPsSE_SF_SF_EESI_SY_SJ_SK_SL_EUlSY_E1_NS1_11comp_targetILNS1_3genE0ELNS1_11target_archE4294967295ELNS1_3gpuE0ELNS1_3repE0EEENS1_36merge_oddeven_config_static_selectorELNS0_4arch9wavefront6targetE0EEEvSK_,@function
_ZN7rocprim17ROCPRIM_400000_NS6detail17trampoline_kernelINS0_14default_configENS1_38merge_sort_block_merge_config_selectorIsNS0_10empty_typeEEEZZNS1_27merge_sort_block_merge_implIS3_N6thrust23THRUST_200600_302600_NS6detail15normal_iteratorINS9_10device_ptrIsEEEEPS5_m9comp_mod3IsEEE10hipError_tT0_T1_T2_jT3_P12ihipStream_tbPNSt15iterator_traitsISJ_E10value_typeEPNSP_ISK_E10value_typeEPSL_NS1_7vsmem_tEENKUlT_SJ_SK_SL_E_clIPsSE_SF_SF_EESI_SY_SJ_SK_SL_EUlSY_E1_NS1_11comp_targetILNS1_3genE0ELNS1_11target_archE4294967295ELNS1_3gpuE0ELNS1_3repE0EEENS1_36merge_oddeven_config_static_selectorELNS0_4arch9wavefront6targetE0EEEvSK_: ; @_ZN7rocprim17ROCPRIM_400000_NS6detail17trampoline_kernelINS0_14default_configENS1_38merge_sort_block_merge_config_selectorIsNS0_10empty_typeEEEZZNS1_27merge_sort_block_merge_implIS3_N6thrust23THRUST_200600_302600_NS6detail15normal_iteratorINS9_10device_ptrIsEEEEPS5_m9comp_mod3IsEEE10hipError_tT0_T1_T2_jT3_P12ihipStream_tbPNSt15iterator_traitsISJ_E10value_typeEPNSP_ISK_E10value_typeEPSL_NS1_7vsmem_tEENKUlT_SJ_SK_SL_E_clIPsSE_SF_SF_EESI_SY_SJ_SK_SL_EUlSY_E1_NS1_11comp_targetILNS1_3genE0ELNS1_11target_archE4294967295ELNS1_3gpuE0ELNS1_3repE0EEENS1_36merge_oddeven_config_static_selectorELNS0_4arch9wavefront6targetE0EEEvSK_
; %bb.0:
	.section	.rodata,"a",@progbits
	.p2align	6, 0x0
	.amdhsa_kernel _ZN7rocprim17ROCPRIM_400000_NS6detail17trampoline_kernelINS0_14default_configENS1_38merge_sort_block_merge_config_selectorIsNS0_10empty_typeEEEZZNS1_27merge_sort_block_merge_implIS3_N6thrust23THRUST_200600_302600_NS6detail15normal_iteratorINS9_10device_ptrIsEEEEPS5_m9comp_mod3IsEEE10hipError_tT0_T1_T2_jT3_P12ihipStream_tbPNSt15iterator_traitsISJ_E10value_typeEPNSP_ISK_E10value_typeEPSL_NS1_7vsmem_tEENKUlT_SJ_SK_SL_E_clIPsSE_SF_SF_EESI_SY_SJ_SK_SL_EUlSY_E1_NS1_11comp_targetILNS1_3genE0ELNS1_11target_archE4294967295ELNS1_3gpuE0ELNS1_3repE0EEENS1_36merge_oddeven_config_static_selectorELNS0_4arch9wavefront6targetE0EEEvSK_
		.amdhsa_group_segment_fixed_size 0
		.amdhsa_private_segment_fixed_size 0
		.amdhsa_kernarg_size 56
		.amdhsa_user_sgpr_count 6
		.amdhsa_user_sgpr_private_segment_buffer 1
		.amdhsa_user_sgpr_dispatch_ptr 0
		.amdhsa_user_sgpr_queue_ptr 0
		.amdhsa_user_sgpr_kernarg_segment_ptr 1
		.amdhsa_user_sgpr_dispatch_id 0
		.amdhsa_user_sgpr_flat_scratch_init 0
		.amdhsa_user_sgpr_private_segment_size 0
		.amdhsa_wavefront_size32 1
		.amdhsa_uses_dynamic_stack 0
		.amdhsa_system_sgpr_private_segment_wavefront_offset 0
		.amdhsa_system_sgpr_workgroup_id_x 1
		.amdhsa_system_sgpr_workgroup_id_y 0
		.amdhsa_system_sgpr_workgroup_id_z 0
		.amdhsa_system_sgpr_workgroup_info 0
		.amdhsa_system_vgpr_workitem_id 0
		.amdhsa_next_free_vgpr 1
		.amdhsa_next_free_sgpr 1
		.amdhsa_reserve_vcc 0
		.amdhsa_reserve_flat_scratch 0
		.amdhsa_float_round_mode_32 0
		.amdhsa_float_round_mode_16_64 0
		.amdhsa_float_denorm_mode_32 3
		.amdhsa_float_denorm_mode_16_64 3
		.amdhsa_dx10_clamp 1
		.amdhsa_ieee_mode 1
		.amdhsa_fp16_overflow 0
		.amdhsa_workgroup_processor_mode 1
		.amdhsa_memory_ordered 1
		.amdhsa_forward_progress 1
		.amdhsa_shared_vgpr_count 0
		.amdhsa_exception_fp_ieee_invalid_op 0
		.amdhsa_exception_fp_denorm_src 0
		.amdhsa_exception_fp_ieee_div_zero 0
		.amdhsa_exception_fp_ieee_overflow 0
		.amdhsa_exception_fp_ieee_underflow 0
		.amdhsa_exception_fp_ieee_inexact 0
		.amdhsa_exception_int_div_zero 0
	.end_amdhsa_kernel
	.section	.text._ZN7rocprim17ROCPRIM_400000_NS6detail17trampoline_kernelINS0_14default_configENS1_38merge_sort_block_merge_config_selectorIsNS0_10empty_typeEEEZZNS1_27merge_sort_block_merge_implIS3_N6thrust23THRUST_200600_302600_NS6detail15normal_iteratorINS9_10device_ptrIsEEEEPS5_m9comp_mod3IsEEE10hipError_tT0_T1_T2_jT3_P12ihipStream_tbPNSt15iterator_traitsISJ_E10value_typeEPNSP_ISK_E10value_typeEPSL_NS1_7vsmem_tEENKUlT_SJ_SK_SL_E_clIPsSE_SF_SF_EESI_SY_SJ_SK_SL_EUlSY_E1_NS1_11comp_targetILNS1_3genE0ELNS1_11target_archE4294967295ELNS1_3gpuE0ELNS1_3repE0EEENS1_36merge_oddeven_config_static_selectorELNS0_4arch9wavefront6targetE0EEEvSK_,"axG",@progbits,_ZN7rocprim17ROCPRIM_400000_NS6detail17trampoline_kernelINS0_14default_configENS1_38merge_sort_block_merge_config_selectorIsNS0_10empty_typeEEEZZNS1_27merge_sort_block_merge_implIS3_N6thrust23THRUST_200600_302600_NS6detail15normal_iteratorINS9_10device_ptrIsEEEEPS5_m9comp_mod3IsEEE10hipError_tT0_T1_T2_jT3_P12ihipStream_tbPNSt15iterator_traitsISJ_E10value_typeEPNSP_ISK_E10value_typeEPSL_NS1_7vsmem_tEENKUlT_SJ_SK_SL_E_clIPsSE_SF_SF_EESI_SY_SJ_SK_SL_EUlSY_E1_NS1_11comp_targetILNS1_3genE0ELNS1_11target_archE4294967295ELNS1_3gpuE0ELNS1_3repE0EEENS1_36merge_oddeven_config_static_selectorELNS0_4arch9wavefront6targetE0EEEvSK_,comdat
.Lfunc_end1062:
	.size	_ZN7rocprim17ROCPRIM_400000_NS6detail17trampoline_kernelINS0_14default_configENS1_38merge_sort_block_merge_config_selectorIsNS0_10empty_typeEEEZZNS1_27merge_sort_block_merge_implIS3_N6thrust23THRUST_200600_302600_NS6detail15normal_iteratorINS9_10device_ptrIsEEEEPS5_m9comp_mod3IsEEE10hipError_tT0_T1_T2_jT3_P12ihipStream_tbPNSt15iterator_traitsISJ_E10value_typeEPNSP_ISK_E10value_typeEPSL_NS1_7vsmem_tEENKUlT_SJ_SK_SL_E_clIPsSE_SF_SF_EESI_SY_SJ_SK_SL_EUlSY_E1_NS1_11comp_targetILNS1_3genE0ELNS1_11target_archE4294967295ELNS1_3gpuE0ELNS1_3repE0EEENS1_36merge_oddeven_config_static_selectorELNS0_4arch9wavefront6targetE0EEEvSK_, .Lfunc_end1062-_ZN7rocprim17ROCPRIM_400000_NS6detail17trampoline_kernelINS0_14default_configENS1_38merge_sort_block_merge_config_selectorIsNS0_10empty_typeEEEZZNS1_27merge_sort_block_merge_implIS3_N6thrust23THRUST_200600_302600_NS6detail15normal_iteratorINS9_10device_ptrIsEEEEPS5_m9comp_mod3IsEEE10hipError_tT0_T1_T2_jT3_P12ihipStream_tbPNSt15iterator_traitsISJ_E10value_typeEPNSP_ISK_E10value_typeEPSL_NS1_7vsmem_tEENKUlT_SJ_SK_SL_E_clIPsSE_SF_SF_EESI_SY_SJ_SK_SL_EUlSY_E1_NS1_11comp_targetILNS1_3genE0ELNS1_11target_archE4294967295ELNS1_3gpuE0ELNS1_3repE0EEENS1_36merge_oddeven_config_static_selectorELNS0_4arch9wavefront6targetE0EEEvSK_
                                        ; -- End function
	.set _ZN7rocprim17ROCPRIM_400000_NS6detail17trampoline_kernelINS0_14default_configENS1_38merge_sort_block_merge_config_selectorIsNS0_10empty_typeEEEZZNS1_27merge_sort_block_merge_implIS3_N6thrust23THRUST_200600_302600_NS6detail15normal_iteratorINS9_10device_ptrIsEEEEPS5_m9comp_mod3IsEEE10hipError_tT0_T1_T2_jT3_P12ihipStream_tbPNSt15iterator_traitsISJ_E10value_typeEPNSP_ISK_E10value_typeEPSL_NS1_7vsmem_tEENKUlT_SJ_SK_SL_E_clIPsSE_SF_SF_EESI_SY_SJ_SK_SL_EUlSY_E1_NS1_11comp_targetILNS1_3genE0ELNS1_11target_archE4294967295ELNS1_3gpuE0ELNS1_3repE0EEENS1_36merge_oddeven_config_static_selectorELNS0_4arch9wavefront6targetE0EEEvSK_.num_vgpr, 0
	.set _ZN7rocprim17ROCPRIM_400000_NS6detail17trampoline_kernelINS0_14default_configENS1_38merge_sort_block_merge_config_selectorIsNS0_10empty_typeEEEZZNS1_27merge_sort_block_merge_implIS3_N6thrust23THRUST_200600_302600_NS6detail15normal_iteratorINS9_10device_ptrIsEEEEPS5_m9comp_mod3IsEEE10hipError_tT0_T1_T2_jT3_P12ihipStream_tbPNSt15iterator_traitsISJ_E10value_typeEPNSP_ISK_E10value_typeEPSL_NS1_7vsmem_tEENKUlT_SJ_SK_SL_E_clIPsSE_SF_SF_EESI_SY_SJ_SK_SL_EUlSY_E1_NS1_11comp_targetILNS1_3genE0ELNS1_11target_archE4294967295ELNS1_3gpuE0ELNS1_3repE0EEENS1_36merge_oddeven_config_static_selectorELNS0_4arch9wavefront6targetE0EEEvSK_.num_agpr, 0
	.set _ZN7rocprim17ROCPRIM_400000_NS6detail17trampoline_kernelINS0_14default_configENS1_38merge_sort_block_merge_config_selectorIsNS0_10empty_typeEEEZZNS1_27merge_sort_block_merge_implIS3_N6thrust23THRUST_200600_302600_NS6detail15normal_iteratorINS9_10device_ptrIsEEEEPS5_m9comp_mod3IsEEE10hipError_tT0_T1_T2_jT3_P12ihipStream_tbPNSt15iterator_traitsISJ_E10value_typeEPNSP_ISK_E10value_typeEPSL_NS1_7vsmem_tEENKUlT_SJ_SK_SL_E_clIPsSE_SF_SF_EESI_SY_SJ_SK_SL_EUlSY_E1_NS1_11comp_targetILNS1_3genE0ELNS1_11target_archE4294967295ELNS1_3gpuE0ELNS1_3repE0EEENS1_36merge_oddeven_config_static_selectorELNS0_4arch9wavefront6targetE0EEEvSK_.numbered_sgpr, 0
	.set _ZN7rocprim17ROCPRIM_400000_NS6detail17trampoline_kernelINS0_14default_configENS1_38merge_sort_block_merge_config_selectorIsNS0_10empty_typeEEEZZNS1_27merge_sort_block_merge_implIS3_N6thrust23THRUST_200600_302600_NS6detail15normal_iteratorINS9_10device_ptrIsEEEEPS5_m9comp_mod3IsEEE10hipError_tT0_T1_T2_jT3_P12ihipStream_tbPNSt15iterator_traitsISJ_E10value_typeEPNSP_ISK_E10value_typeEPSL_NS1_7vsmem_tEENKUlT_SJ_SK_SL_E_clIPsSE_SF_SF_EESI_SY_SJ_SK_SL_EUlSY_E1_NS1_11comp_targetILNS1_3genE0ELNS1_11target_archE4294967295ELNS1_3gpuE0ELNS1_3repE0EEENS1_36merge_oddeven_config_static_selectorELNS0_4arch9wavefront6targetE0EEEvSK_.num_named_barrier, 0
	.set _ZN7rocprim17ROCPRIM_400000_NS6detail17trampoline_kernelINS0_14default_configENS1_38merge_sort_block_merge_config_selectorIsNS0_10empty_typeEEEZZNS1_27merge_sort_block_merge_implIS3_N6thrust23THRUST_200600_302600_NS6detail15normal_iteratorINS9_10device_ptrIsEEEEPS5_m9comp_mod3IsEEE10hipError_tT0_T1_T2_jT3_P12ihipStream_tbPNSt15iterator_traitsISJ_E10value_typeEPNSP_ISK_E10value_typeEPSL_NS1_7vsmem_tEENKUlT_SJ_SK_SL_E_clIPsSE_SF_SF_EESI_SY_SJ_SK_SL_EUlSY_E1_NS1_11comp_targetILNS1_3genE0ELNS1_11target_archE4294967295ELNS1_3gpuE0ELNS1_3repE0EEENS1_36merge_oddeven_config_static_selectorELNS0_4arch9wavefront6targetE0EEEvSK_.private_seg_size, 0
	.set _ZN7rocprim17ROCPRIM_400000_NS6detail17trampoline_kernelINS0_14default_configENS1_38merge_sort_block_merge_config_selectorIsNS0_10empty_typeEEEZZNS1_27merge_sort_block_merge_implIS3_N6thrust23THRUST_200600_302600_NS6detail15normal_iteratorINS9_10device_ptrIsEEEEPS5_m9comp_mod3IsEEE10hipError_tT0_T1_T2_jT3_P12ihipStream_tbPNSt15iterator_traitsISJ_E10value_typeEPNSP_ISK_E10value_typeEPSL_NS1_7vsmem_tEENKUlT_SJ_SK_SL_E_clIPsSE_SF_SF_EESI_SY_SJ_SK_SL_EUlSY_E1_NS1_11comp_targetILNS1_3genE0ELNS1_11target_archE4294967295ELNS1_3gpuE0ELNS1_3repE0EEENS1_36merge_oddeven_config_static_selectorELNS0_4arch9wavefront6targetE0EEEvSK_.uses_vcc, 0
	.set _ZN7rocprim17ROCPRIM_400000_NS6detail17trampoline_kernelINS0_14default_configENS1_38merge_sort_block_merge_config_selectorIsNS0_10empty_typeEEEZZNS1_27merge_sort_block_merge_implIS3_N6thrust23THRUST_200600_302600_NS6detail15normal_iteratorINS9_10device_ptrIsEEEEPS5_m9comp_mod3IsEEE10hipError_tT0_T1_T2_jT3_P12ihipStream_tbPNSt15iterator_traitsISJ_E10value_typeEPNSP_ISK_E10value_typeEPSL_NS1_7vsmem_tEENKUlT_SJ_SK_SL_E_clIPsSE_SF_SF_EESI_SY_SJ_SK_SL_EUlSY_E1_NS1_11comp_targetILNS1_3genE0ELNS1_11target_archE4294967295ELNS1_3gpuE0ELNS1_3repE0EEENS1_36merge_oddeven_config_static_selectorELNS0_4arch9wavefront6targetE0EEEvSK_.uses_flat_scratch, 0
	.set _ZN7rocprim17ROCPRIM_400000_NS6detail17trampoline_kernelINS0_14default_configENS1_38merge_sort_block_merge_config_selectorIsNS0_10empty_typeEEEZZNS1_27merge_sort_block_merge_implIS3_N6thrust23THRUST_200600_302600_NS6detail15normal_iteratorINS9_10device_ptrIsEEEEPS5_m9comp_mod3IsEEE10hipError_tT0_T1_T2_jT3_P12ihipStream_tbPNSt15iterator_traitsISJ_E10value_typeEPNSP_ISK_E10value_typeEPSL_NS1_7vsmem_tEENKUlT_SJ_SK_SL_E_clIPsSE_SF_SF_EESI_SY_SJ_SK_SL_EUlSY_E1_NS1_11comp_targetILNS1_3genE0ELNS1_11target_archE4294967295ELNS1_3gpuE0ELNS1_3repE0EEENS1_36merge_oddeven_config_static_selectorELNS0_4arch9wavefront6targetE0EEEvSK_.has_dyn_sized_stack, 0
	.set _ZN7rocprim17ROCPRIM_400000_NS6detail17trampoline_kernelINS0_14default_configENS1_38merge_sort_block_merge_config_selectorIsNS0_10empty_typeEEEZZNS1_27merge_sort_block_merge_implIS3_N6thrust23THRUST_200600_302600_NS6detail15normal_iteratorINS9_10device_ptrIsEEEEPS5_m9comp_mod3IsEEE10hipError_tT0_T1_T2_jT3_P12ihipStream_tbPNSt15iterator_traitsISJ_E10value_typeEPNSP_ISK_E10value_typeEPSL_NS1_7vsmem_tEENKUlT_SJ_SK_SL_E_clIPsSE_SF_SF_EESI_SY_SJ_SK_SL_EUlSY_E1_NS1_11comp_targetILNS1_3genE0ELNS1_11target_archE4294967295ELNS1_3gpuE0ELNS1_3repE0EEENS1_36merge_oddeven_config_static_selectorELNS0_4arch9wavefront6targetE0EEEvSK_.has_recursion, 0
	.set _ZN7rocprim17ROCPRIM_400000_NS6detail17trampoline_kernelINS0_14default_configENS1_38merge_sort_block_merge_config_selectorIsNS0_10empty_typeEEEZZNS1_27merge_sort_block_merge_implIS3_N6thrust23THRUST_200600_302600_NS6detail15normal_iteratorINS9_10device_ptrIsEEEEPS5_m9comp_mod3IsEEE10hipError_tT0_T1_T2_jT3_P12ihipStream_tbPNSt15iterator_traitsISJ_E10value_typeEPNSP_ISK_E10value_typeEPSL_NS1_7vsmem_tEENKUlT_SJ_SK_SL_E_clIPsSE_SF_SF_EESI_SY_SJ_SK_SL_EUlSY_E1_NS1_11comp_targetILNS1_3genE0ELNS1_11target_archE4294967295ELNS1_3gpuE0ELNS1_3repE0EEENS1_36merge_oddeven_config_static_selectorELNS0_4arch9wavefront6targetE0EEEvSK_.has_indirect_call, 0
	.section	.AMDGPU.csdata,"",@progbits
; Kernel info:
; codeLenInByte = 0
; TotalNumSgprs: 0
; NumVgprs: 0
; ScratchSize: 0
; MemoryBound: 0
; FloatMode: 240
; IeeeMode: 1
; LDSByteSize: 0 bytes/workgroup (compile time only)
; SGPRBlocks: 0
; VGPRBlocks: 0
; NumSGPRsForWavesPerEU: 1
; NumVGPRsForWavesPerEU: 1
; Occupancy: 16
; WaveLimiterHint : 0
; COMPUTE_PGM_RSRC2:SCRATCH_EN: 0
; COMPUTE_PGM_RSRC2:USER_SGPR: 6
; COMPUTE_PGM_RSRC2:TRAP_HANDLER: 0
; COMPUTE_PGM_RSRC2:TGID_X_EN: 1
; COMPUTE_PGM_RSRC2:TGID_Y_EN: 0
; COMPUTE_PGM_RSRC2:TGID_Z_EN: 0
; COMPUTE_PGM_RSRC2:TIDIG_COMP_CNT: 0
	.section	.text._ZN7rocprim17ROCPRIM_400000_NS6detail17trampoline_kernelINS0_14default_configENS1_38merge_sort_block_merge_config_selectorIsNS0_10empty_typeEEEZZNS1_27merge_sort_block_merge_implIS3_N6thrust23THRUST_200600_302600_NS6detail15normal_iteratorINS9_10device_ptrIsEEEEPS5_m9comp_mod3IsEEE10hipError_tT0_T1_T2_jT3_P12ihipStream_tbPNSt15iterator_traitsISJ_E10value_typeEPNSP_ISK_E10value_typeEPSL_NS1_7vsmem_tEENKUlT_SJ_SK_SL_E_clIPsSE_SF_SF_EESI_SY_SJ_SK_SL_EUlSY_E1_NS1_11comp_targetILNS1_3genE10ELNS1_11target_archE1201ELNS1_3gpuE5ELNS1_3repE0EEENS1_36merge_oddeven_config_static_selectorELNS0_4arch9wavefront6targetE0EEEvSK_,"axG",@progbits,_ZN7rocprim17ROCPRIM_400000_NS6detail17trampoline_kernelINS0_14default_configENS1_38merge_sort_block_merge_config_selectorIsNS0_10empty_typeEEEZZNS1_27merge_sort_block_merge_implIS3_N6thrust23THRUST_200600_302600_NS6detail15normal_iteratorINS9_10device_ptrIsEEEEPS5_m9comp_mod3IsEEE10hipError_tT0_T1_T2_jT3_P12ihipStream_tbPNSt15iterator_traitsISJ_E10value_typeEPNSP_ISK_E10value_typeEPSL_NS1_7vsmem_tEENKUlT_SJ_SK_SL_E_clIPsSE_SF_SF_EESI_SY_SJ_SK_SL_EUlSY_E1_NS1_11comp_targetILNS1_3genE10ELNS1_11target_archE1201ELNS1_3gpuE5ELNS1_3repE0EEENS1_36merge_oddeven_config_static_selectorELNS0_4arch9wavefront6targetE0EEEvSK_,comdat
	.protected	_ZN7rocprim17ROCPRIM_400000_NS6detail17trampoline_kernelINS0_14default_configENS1_38merge_sort_block_merge_config_selectorIsNS0_10empty_typeEEEZZNS1_27merge_sort_block_merge_implIS3_N6thrust23THRUST_200600_302600_NS6detail15normal_iteratorINS9_10device_ptrIsEEEEPS5_m9comp_mod3IsEEE10hipError_tT0_T1_T2_jT3_P12ihipStream_tbPNSt15iterator_traitsISJ_E10value_typeEPNSP_ISK_E10value_typeEPSL_NS1_7vsmem_tEENKUlT_SJ_SK_SL_E_clIPsSE_SF_SF_EESI_SY_SJ_SK_SL_EUlSY_E1_NS1_11comp_targetILNS1_3genE10ELNS1_11target_archE1201ELNS1_3gpuE5ELNS1_3repE0EEENS1_36merge_oddeven_config_static_selectorELNS0_4arch9wavefront6targetE0EEEvSK_ ; -- Begin function _ZN7rocprim17ROCPRIM_400000_NS6detail17trampoline_kernelINS0_14default_configENS1_38merge_sort_block_merge_config_selectorIsNS0_10empty_typeEEEZZNS1_27merge_sort_block_merge_implIS3_N6thrust23THRUST_200600_302600_NS6detail15normal_iteratorINS9_10device_ptrIsEEEEPS5_m9comp_mod3IsEEE10hipError_tT0_T1_T2_jT3_P12ihipStream_tbPNSt15iterator_traitsISJ_E10value_typeEPNSP_ISK_E10value_typeEPSL_NS1_7vsmem_tEENKUlT_SJ_SK_SL_E_clIPsSE_SF_SF_EESI_SY_SJ_SK_SL_EUlSY_E1_NS1_11comp_targetILNS1_3genE10ELNS1_11target_archE1201ELNS1_3gpuE5ELNS1_3repE0EEENS1_36merge_oddeven_config_static_selectorELNS0_4arch9wavefront6targetE0EEEvSK_
	.globl	_ZN7rocprim17ROCPRIM_400000_NS6detail17trampoline_kernelINS0_14default_configENS1_38merge_sort_block_merge_config_selectorIsNS0_10empty_typeEEEZZNS1_27merge_sort_block_merge_implIS3_N6thrust23THRUST_200600_302600_NS6detail15normal_iteratorINS9_10device_ptrIsEEEEPS5_m9comp_mod3IsEEE10hipError_tT0_T1_T2_jT3_P12ihipStream_tbPNSt15iterator_traitsISJ_E10value_typeEPNSP_ISK_E10value_typeEPSL_NS1_7vsmem_tEENKUlT_SJ_SK_SL_E_clIPsSE_SF_SF_EESI_SY_SJ_SK_SL_EUlSY_E1_NS1_11comp_targetILNS1_3genE10ELNS1_11target_archE1201ELNS1_3gpuE5ELNS1_3repE0EEENS1_36merge_oddeven_config_static_selectorELNS0_4arch9wavefront6targetE0EEEvSK_
	.p2align	8
	.type	_ZN7rocprim17ROCPRIM_400000_NS6detail17trampoline_kernelINS0_14default_configENS1_38merge_sort_block_merge_config_selectorIsNS0_10empty_typeEEEZZNS1_27merge_sort_block_merge_implIS3_N6thrust23THRUST_200600_302600_NS6detail15normal_iteratorINS9_10device_ptrIsEEEEPS5_m9comp_mod3IsEEE10hipError_tT0_T1_T2_jT3_P12ihipStream_tbPNSt15iterator_traitsISJ_E10value_typeEPNSP_ISK_E10value_typeEPSL_NS1_7vsmem_tEENKUlT_SJ_SK_SL_E_clIPsSE_SF_SF_EESI_SY_SJ_SK_SL_EUlSY_E1_NS1_11comp_targetILNS1_3genE10ELNS1_11target_archE1201ELNS1_3gpuE5ELNS1_3repE0EEENS1_36merge_oddeven_config_static_selectorELNS0_4arch9wavefront6targetE0EEEvSK_,@function
_ZN7rocprim17ROCPRIM_400000_NS6detail17trampoline_kernelINS0_14default_configENS1_38merge_sort_block_merge_config_selectorIsNS0_10empty_typeEEEZZNS1_27merge_sort_block_merge_implIS3_N6thrust23THRUST_200600_302600_NS6detail15normal_iteratorINS9_10device_ptrIsEEEEPS5_m9comp_mod3IsEEE10hipError_tT0_T1_T2_jT3_P12ihipStream_tbPNSt15iterator_traitsISJ_E10value_typeEPNSP_ISK_E10value_typeEPSL_NS1_7vsmem_tEENKUlT_SJ_SK_SL_E_clIPsSE_SF_SF_EESI_SY_SJ_SK_SL_EUlSY_E1_NS1_11comp_targetILNS1_3genE10ELNS1_11target_archE1201ELNS1_3gpuE5ELNS1_3repE0EEENS1_36merge_oddeven_config_static_selectorELNS0_4arch9wavefront6targetE0EEEvSK_: ; @_ZN7rocprim17ROCPRIM_400000_NS6detail17trampoline_kernelINS0_14default_configENS1_38merge_sort_block_merge_config_selectorIsNS0_10empty_typeEEEZZNS1_27merge_sort_block_merge_implIS3_N6thrust23THRUST_200600_302600_NS6detail15normal_iteratorINS9_10device_ptrIsEEEEPS5_m9comp_mod3IsEEE10hipError_tT0_T1_T2_jT3_P12ihipStream_tbPNSt15iterator_traitsISJ_E10value_typeEPNSP_ISK_E10value_typeEPSL_NS1_7vsmem_tEENKUlT_SJ_SK_SL_E_clIPsSE_SF_SF_EESI_SY_SJ_SK_SL_EUlSY_E1_NS1_11comp_targetILNS1_3genE10ELNS1_11target_archE1201ELNS1_3gpuE5ELNS1_3repE0EEENS1_36merge_oddeven_config_static_selectorELNS0_4arch9wavefront6targetE0EEEvSK_
; %bb.0:
	.section	.rodata,"a",@progbits
	.p2align	6, 0x0
	.amdhsa_kernel _ZN7rocprim17ROCPRIM_400000_NS6detail17trampoline_kernelINS0_14default_configENS1_38merge_sort_block_merge_config_selectorIsNS0_10empty_typeEEEZZNS1_27merge_sort_block_merge_implIS3_N6thrust23THRUST_200600_302600_NS6detail15normal_iteratorINS9_10device_ptrIsEEEEPS5_m9comp_mod3IsEEE10hipError_tT0_T1_T2_jT3_P12ihipStream_tbPNSt15iterator_traitsISJ_E10value_typeEPNSP_ISK_E10value_typeEPSL_NS1_7vsmem_tEENKUlT_SJ_SK_SL_E_clIPsSE_SF_SF_EESI_SY_SJ_SK_SL_EUlSY_E1_NS1_11comp_targetILNS1_3genE10ELNS1_11target_archE1201ELNS1_3gpuE5ELNS1_3repE0EEENS1_36merge_oddeven_config_static_selectorELNS0_4arch9wavefront6targetE0EEEvSK_
		.amdhsa_group_segment_fixed_size 0
		.amdhsa_private_segment_fixed_size 0
		.amdhsa_kernarg_size 56
		.amdhsa_user_sgpr_count 6
		.amdhsa_user_sgpr_private_segment_buffer 1
		.amdhsa_user_sgpr_dispatch_ptr 0
		.amdhsa_user_sgpr_queue_ptr 0
		.amdhsa_user_sgpr_kernarg_segment_ptr 1
		.amdhsa_user_sgpr_dispatch_id 0
		.amdhsa_user_sgpr_flat_scratch_init 0
		.amdhsa_user_sgpr_private_segment_size 0
		.amdhsa_wavefront_size32 1
		.amdhsa_uses_dynamic_stack 0
		.amdhsa_system_sgpr_private_segment_wavefront_offset 0
		.amdhsa_system_sgpr_workgroup_id_x 1
		.amdhsa_system_sgpr_workgroup_id_y 0
		.amdhsa_system_sgpr_workgroup_id_z 0
		.amdhsa_system_sgpr_workgroup_info 0
		.amdhsa_system_vgpr_workitem_id 0
		.amdhsa_next_free_vgpr 1
		.amdhsa_next_free_sgpr 1
		.amdhsa_reserve_vcc 0
		.amdhsa_reserve_flat_scratch 0
		.amdhsa_float_round_mode_32 0
		.amdhsa_float_round_mode_16_64 0
		.amdhsa_float_denorm_mode_32 3
		.amdhsa_float_denorm_mode_16_64 3
		.amdhsa_dx10_clamp 1
		.amdhsa_ieee_mode 1
		.amdhsa_fp16_overflow 0
		.amdhsa_workgroup_processor_mode 1
		.amdhsa_memory_ordered 1
		.amdhsa_forward_progress 1
		.amdhsa_shared_vgpr_count 0
		.amdhsa_exception_fp_ieee_invalid_op 0
		.amdhsa_exception_fp_denorm_src 0
		.amdhsa_exception_fp_ieee_div_zero 0
		.amdhsa_exception_fp_ieee_overflow 0
		.amdhsa_exception_fp_ieee_underflow 0
		.amdhsa_exception_fp_ieee_inexact 0
		.amdhsa_exception_int_div_zero 0
	.end_amdhsa_kernel
	.section	.text._ZN7rocprim17ROCPRIM_400000_NS6detail17trampoline_kernelINS0_14default_configENS1_38merge_sort_block_merge_config_selectorIsNS0_10empty_typeEEEZZNS1_27merge_sort_block_merge_implIS3_N6thrust23THRUST_200600_302600_NS6detail15normal_iteratorINS9_10device_ptrIsEEEEPS5_m9comp_mod3IsEEE10hipError_tT0_T1_T2_jT3_P12ihipStream_tbPNSt15iterator_traitsISJ_E10value_typeEPNSP_ISK_E10value_typeEPSL_NS1_7vsmem_tEENKUlT_SJ_SK_SL_E_clIPsSE_SF_SF_EESI_SY_SJ_SK_SL_EUlSY_E1_NS1_11comp_targetILNS1_3genE10ELNS1_11target_archE1201ELNS1_3gpuE5ELNS1_3repE0EEENS1_36merge_oddeven_config_static_selectorELNS0_4arch9wavefront6targetE0EEEvSK_,"axG",@progbits,_ZN7rocprim17ROCPRIM_400000_NS6detail17trampoline_kernelINS0_14default_configENS1_38merge_sort_block_merge_config_selectorIsNS0_10empty_typeEEEZZNS1_27merge_sort_block_merge_implIS3_N6thrust23THRUST_200600_302600_NS6detail15normal_iteratorINS9_10device_ptrIsEEEEPS5_m9comp_mod3IsEEE10hipError_tT0_T1_T2_jT3_P12ihipStream_tbPNSt15iterator_traitsISJ_E10value_typeEPNSP_ISK_E10value_typeEPSL_NS1_7vsmem_tEENKUlT_SJ_SK_SL_E_clIPsSE_SF_SF_EESI_SY_SJ_SK_SL_EUlSY_E1_NS1_11comp_targetILNS1_3genE10ELNS1_11target_archE1201ELNS1_3gpuE5ELNS1_3repE0EEENS1_36merge_oddeven_config_static_selectorELNS0_4arch9wavefront6targetE0EEEvSK_,comdat
.Lfunc_end1063:
	.size	_ZN7rocprim17ROCPRIM_400000_NS6detail17trampoline_kernelINS0_14default_configENS1_38merge_sort_block_merge_config_selectorIsNS0_10empty_typeEEEZZNS1_27merge_sort_block_merge_implIS3_N6thrust23THRUST_200600_302600_NS6detail15normal_iteratorINS9_10device_ptrIsEEEEPS5_m9comp_mod3IsEEE10hipError_tT0_T1_T2_jT3_P12ihipStream_tbPNSt15iterator_traitsISJ_E10value_typeEPNSP_ISK_E10value_typeEPSL_NS1_7vsmem_tEENKUlT_SJ_SK_SL_E_clIPsSE_SF_SF_EESI_SY_SJ_SK_SL_EUlSY_E1_NS1_11comp_targetILNS1_3genE10ELNS1_11target_archE1201ELNS1_3gpuE5ELNS1_3repE0EEENS1_36merge_oddeven_config_static_selectorELNS0_4arch9wavefront6targetE0EEEvSK_, .Lfunc_end1063-_ZN7rocprim17ROCPRIM_400000_NS6detail17trampoline_kernelINS0_14default_configENS1_38merge_sort_block_merge_config_selectorIsNS0_10empty_typeEEEZZNS1_27merge_sort_block_merge_implIS3_N6thrust23THRUST_200600_302600_NS6detail15normal_iteratorINS9_10device_ptrIsEEEEPS5_m9comp_mod3IsEEE10hipError_tT0_T1_T2_jT3_P12ihipStream_tbPNSt15iterator_traitsISJ_E10value_typeEPNSP_ISK_E10value_typeEPSL_NS1_7vsmem_tEENKUlT_SJ_SK_SL_E_clIPsSE_SF_SF_EESI_SY_SJ_SK_SL_EUlSY_E1_NS1_11comp_targetILNS1_3genE10ELNS1_11target_archE1201ELNS1_3gpuE5ELNS1_3repE0EEENS1_36merge_oddeven_config_static_selectorELNS0_4arch9wavefront6targetE0EEEvSK_
                                        ; -- End function
	.set _ZN7rocprim17ROCPRIM_400000_NS6detail17trampoline_kernelINS0_14default_configENS1_38merge_sort_block_merge_config_selectorIsNS0_10empty_typeEEEZZNS1_27merge_sort_block_merge_implIS3_N6thrust23THRUST_200600_302600_NS6detail15normal_iteratorINS9_10device_ptrIsEEEEPS5_m9comp_mod3IsEEE10hipError_tT0_T1_T2_jT3_P12ihipStream_tbPNSt15iterator_traitsISJ_E10value_typeEPNSP_ISK_E10value_typeEPSL_NS1_7vsmem_tEENKUlT_SJ_SK_SL_E_clIPsSE_SF_SF_EESI_SY_SJ_SK_SL_EUlSY_E1_NS1_11comp_targetILNS1_3genE10ELNS1_11target_archE1201ELNS1_3gpuE5ELNS1_3repE0EEENS1_36merge_oddeven_config_static_selectorELNS0_4arch9wavefront6targetE0EEEvSK_.num_vgpr, 0
	.set _ZN7rocprim17ROCPRIM_400000_NS6detail17trampoline_kernelINS0_14default_configENS1_38merge_sort_block_merge_config_selectorIsNS0_10empty_typeEEEZZNS1_27merge_sort_block_merge_implIS3_N6thrust23THRUST_200600_302600_NS6detail15normal_iteratorINS9_10device_ptrIsEEEEPS5_m9comp_mod3IsEEE10hipError_tT0_T1_T2_jT3_P12ihipStream_tbPNSt15iterator_traitsISJ_E10value_typeEPNSP_ISK_E10value_typeEPSL_NS1_7vsmem_tEENKUlT_SJ_SK_SL_E_clIPsSE_SF_SF_EESI_SY_SJ_SK_SL_EUlSY_E1_NS1_11comp_targetILNS1_3genE10ELNS1_11target_archE1201ELNS1_3gpuE5ELNS1_3repE0EEENS1_36merge_oddeven_config_static_selectorELNS0_4arch9wavefront6targetE0EEEvSK_.num_agpr, 0
	.set _ZN7rocprim17ROCPRIM_400000_NS6detail17trampoline_kernelINS0_14default_configENS1_38merge_sort_block_merge_config_selectorIsNS0_10empty_typeEEEZZNS1_27merge_sort_block_merge_implIS3_N6thrust23THRUST_200600_302600_NS6detail15normal_iteratorINS9_10device_ptrIsEEEEPS5_m9comp_mod3IsEEE10hipError_tT0_T1_T2_jT3_P12ihipStream_tbPNSt15iterator_traitsISJ_E10value_typeEPNSP_ISK_E10value_typeEPSL_NS1_7vsmem_tEENKUlT_SJ_SK_SL_E_clIPsSE_SF_SF_EESI_SY_SJ_SK_SL_EUlSY_E1_NS1_11comp_targetILNS1_3genE10ELNS1_11target_archE1201ELNS1_3gpuE5ELNS1_3repE0EEENS1_36merge_oddeven_config_static_selectorELNS0_4arch9wavefront6targetE0EEEvSK_.numbered_sgpr, 0
	.set _ZN7rocprim17ROCPRIM_400000_NS6detail17trampoline_kernelINS0_14default_configENS1_38merge_sort_block_merge_config_selectorIsNS0_10empty_typeEEEZZNS1_27merge_sort_block_merge_implIS3_N6thrust23THRUST_200600_302600_NS6detail15normal_iteratorINS9_10device_ptrIsEEEEPS5_m9comp_mod3IsEEE10hipError_tT0_T1_T2_jT3_P12ihipStream_tbPNSt15iterator_traitsISJ_E10value_typeEPNSP_ISK_E10value_typeEPSL_NS1_7vsmem_tEENKUlT_SJ_SK_SL_E_clIPsSE_SF_SF_EESI_SY_SJ_SK_SL_EUlSY_E1_NS1_11comp_targetILNS1_3genE10ELNS1_11target_archE1201ELNS1_3gpuE5ELNS1_3repE0EEENS1_36merge_oddeven_config_static_selectorELNS0_4arch9wavefront6targetE0EEEvSK_.num_named_barrier, 0
	.set _ZN7rocprim17ROCPRIM_400000_NS6detail17trampoline_kernelINS0_14default_configENS1_38merge_sort_block_merge_config_selectorIsNS0_10empty_typeEEEZZNS1_27merge_sort_block_merge_implIS3_N6thrust23THRUST_200600_302600_NS6detail15normal_iteratorINS9_10device_ptrIsEEEEPS5_m9comp_mod3IsEEE10hipError_tT0_T1_T2_jT3_P12ihipStream_tbPNSt15iterator_traitsISJ_E10value_typeEPNSP_ISK_E10value_typeEPSL_NS1_7vsmem_tEENKUlT_SJ_SK_SL_E_clIPsSE_SF_SF_EESI_SY_SJ_SK_SL_EUlSY_E1_NS1_11comp_targetILNS1_3genE10ELNS1_11target_archE1201ELNS1_3gpuE5ELNS1_3repE0EEENS1_36merge_oddeven_config_static_selectorELNS0_4arch9wavefront6targetE0EEEvSK_.private_seg_size, 0
	.set _ZN7rocprim17ROCPRIM_400000_NS6detail17trampoline_kernelINS0_14default_configENS1_38merge_sort_block_merge_config_selectorIsNS0_10empty_typeEEEZZNS1_27merge_sort_block_merge_implIS3_N6thrust23THRUST_200600_302600_NS6detail15normal_iteratorINS9_10device_ptrIsEEEEPS5_m9comp_mod3IsEEE10hipError_tT0_T1_T2_jT3_P12ihipStream_tbPNSt15iterator_traitsISJ_E10value_typeEPNSP_ISK_E10value_typeEPSL_NS1_7vsmem_tEENKUlT_SJ_SK_SL_E_clIPsSE_SF_SF_EESI_SY_SJ_SK_SL_EUlSY_E1_NS1_11comp_targetILNS1_3genE10ELNS1_11target_archE1201ELNS1_3gpuE5ELNS1_3repE0EEENS1_36merge_oddeven_config_static_selectorELNS0_4arch9wavefront6targetE0EEEvSK_.uses_vcc, 0
	.set _ZN7rocprim17ROCPRIM_400000_NS6detail17trampoline_kernelINS0_14default_configENS1_38merge_sort_block_merge_config_selectorIsNS0_10empty_typeEEEZZNS1_27merge_sort_block_merge_implIS3_N6thrust23THRUST_200600_302600_NS6detail15normal_iteratorINS9_10device_ptrIsEEEEPS5_m9comp_mod3IsEEE10hipError_tT0_T1_T2_jT3_P12ihipStream_tbPNSt15iterator_traitsISJ_E10value_typeEPNSP_ISK_E10value_typeEPSL_NS1_7vsmem_tEENKUlT_SJ_SK_SL_E_clIPsSE_SF_SF_EESI_SY_SJ_SK_SL_EUlSY_E1_NS1_11comp_targetILNS1_3genE10ELNS1_11target_archE1201ELNS1_3gpuE5ELNS1_3repE0EEENS1_36merge_oddeven_config_static_selectorELNS0_4arch9wavefront6targetE0EEEvSK_.uses_flat_scratch, 0
	.set _ZN7rocprim17ROCPRIM_400000_NS6detail17trampoline_kernelINS0_14default_configENS1_38merge_sort_block_merge_config_selectorIsNS0_10empty_typeEEEZZNS1_27merge_sort_block_merge_implIS3_N6thrust23THRUST_200600_302600_NS6detail15normal_iteratorINS9_10device_ptrIsEEEEPS5_m9comp_mod3IsEEE10hipError_tT0_T1_T2_jT3_P12ihipStream_tbPNSt15iterator_traitsISJ_E10value_typeEPNSP_ISK_E10value_typeEPSL_NS1_7vsmem_tEENKUlT_SJ_SK_SL_E_clIPsSE_SF_SF_EESI_SY_SJ_SK_SL_EUlSY_E1_NS1_11comp_targetILNS1_3genE10ELNS1_11target_archE1201ELNS1_3gpuE5ELNS1_3repE0EEENS1_36merge_oddeven_config_static_selectorELNS0_4arch9wavefront6targetE0EEEvSK_.has_dyn_sized_stack, 0
	.set _ZN7rocprim17ROCPRIM_400000_NS6detail17trampoline_kernelINS0_14default_configENS1_38merge_sort_block_merge_config_selectorIsNS0_10empty_typeEEEZZNS1_27merge_sort_block_merge_implIS3_N6thrust23THRUST_200600_302600_NS6detail15normal_iteratorINS9_10device_ptrIsEEEEPS5_m9comp_mod3IsEEE10hipError_tT0_T1_T2_jT3_P12ihipStream_tbPNSt15iterator_traitsISJ_E10value_typeEPNSP_ISK_E10value_typeEPSL_NS1_7vsmem_tEENKUlT_SJ_SK_SL_E_clIPsSE_SF_SF_EESI_SY_SJ_SK_SL_EUlSY_E1_NS1_11comp_targetILNS1_3genE10ELNS1_11target_archE1201ELNS1_3gpuE5ELNS1_3repE0EEENS1_36merge_oddeven_config_static_selectorELNS0_4arch9wavefront6targetE0EEEvSK_.has_recursion, 0
	.set _ZN7rocprim17ROCPRIM_400000_NS6detail17trampoline_kernelINS0_14default_configENS1_38merge_sort_block_merge_config_selectorIsNS0_10empty_typeEEEZZNS1_27merge_sort_block_merge_implIS3_N6thrust23THRUST_200600_302600_NS6detail15normal_iteratorINS9_10device_ptrIsEEEEPS5_m9comp_mod3IsEEE10hipError_tT0_T1_T2_jT3_P12ihipStream_tbPNSt15iterator_traitsISJ_E10value_typeEPNSP_ISK_E10value_typeEPSL_NS1_7vsmem_tEENKUlT_SJ_SK_SL_E_clIPsSE_SF_SF_EESI_SY_SJ_SK_SL_EUlSY_E1_NS1_11comp_targetILNS1_3genE10ELNS1_11target_archE1201ELNS1_3gpuE5ELNS1_3repE0EEENS1_36merge_oddeven_config_static_selectorELNS0_4arch9wavefront6targetE0EEEvSK_.has_indirect_call, 0
	.section	.AMDGPU.csdata,"",@progbits
; Kernel info:
; codeLenInByte = 0
; TotalNumSgprs: 0
; NumVgprs: 0
; ScratchSize: 0
; MemoryBound: 0
; FloatMode: 240
; IeeeMode: 1
; LDSByteSize: 0 bytes/workgroup (compile time only)
; SGPRBlocks: 0
; VGPRBlocks: 0
; NumSGPRsForWavesPerEU: 1
; NumVGPRsForWavesPerEU: 1
; Occupancy: 16
; WaveLimiterHint : 0
; COMPUTE_PGM_RSRC2:SCRATCH_EN: 0
; COMPUTE_PGM_RSRC2:USER_SGPR: 6
; COMPUTE_PGM_RSRC2:TRAP_HANDLER: 0
; COMPUTE_PGM_RSRC2:TGID_X_EN: 1
; COMPUTE_PGM_RSRC2:TGID_Y_EN: 0
; COMPUTE_PGM_RSRC2:TGID_Z_EN: 0
; COMPUTE_PGM_RSRC2:TIDIG_COMP_CNT: 0
	.section	.text._ZN7rocprim17ROCPRIM_400000_NS6detail17trampoline_kernelINS0_14default_configENS1_38merge_sort_block_merge_config_selectorIsNS0_10empty_typeEEEZZNS1_27merge_sort_block_merge_implIS3_N6thrust23THRUST_200600_302600_NS6detail15normal_iteratorINS9_10device_ptrIsEEEEPS5_m9comp_mod3IsEEE10hipError_tT0_T1_T2_jT3_P12ihipStream_tbPNSt15iterator_traitsISJ_E10value_typeEPNSP_ISK_E10value_typeEPSL_NS1_7vsmem_tEENKUlT_SJ_SK_SL_E_clIPsSE_SF_SF_EESI_SY_SJ_SK_SL_EUlSY_E1_NS1_11comp_targetILNS1_3genE5ELNS1_11target_archE942ELNS1_3gpuE9ELNS1_3repE0EEENS1_36merge_oddeven_config_static_selectorELNS0_4arch9wavefront6targetE0EEEvSK_,"axG",@progbits,_ZN7rocprim17ROCPRIM_400000_NS6detail17trampoline_kernelINS0_14default_configENS1_38merge_sort_block_merge_config_selectorIsNS0_10empty_typeEEEZZNS1_27merge_sort_block_merge_implIS3_N6thrust23THRUST_200600_302600_NS6detail15normal_iteratorINS9_10device_ptrIsEEEEPS5_m9comp_mod3IsEEE10hipError_tT0_T1_T2_jT3_P12ihipStream_tbPNSt15iterator_traitsISJ_E10value_typeEPNSP_ISK_E10value_typeEPSL_NS1_7vsmem_tEENKUlT_SJ_SK_SL_E_clIPsSE_SF_SF_EESI_SY_SJ_SK_SL_EUlSY_E1_NS1_11comp_targetILNS1_3genE5ELNS1_11target_archE942ELNS1_3gpuE9ELNS1_3repE0EEENS1_36merge_oddeven_config_static_selectorELNS0_4arch9wavefront6targetE0EEEvSK_,comdat
	.protected	_ZN7rocprim17ROCPRIM_400000_NS6detail17trampoline_kernelINS0_14default_configENS1_38merge_sort_block_merge_config_selectorIsNS0_10empty_typeEEEZZNS1_27merge_sort_block_merge_implIS3_N6thrust23THRUST_200600_302600_NS6detail15normal_iteratorINS9_10device_ptrIsEEEEPS5_m9comp_mod3IsEEE10hipError_tT0_T1_T2_jT3_P12ihipStream_tbPNSt15iterator_traitsISJ_E10value_typeEPNSP_ISK_E10value_typeEPSL_NS1_7vsmem_tEENKUlT_SJ_SK_SL_E_clIPsSE_SF_SF_EESI_SY_SJ_SK_SL_EUlSY_E1_NS1_11comp_targetILNS1_3genE5ELNS1_11target_archE942ELNS1_3gpuE9ELNS1_3repE0EEENS1_36merge_oddeven_config_static_selectorELNS0_4arch9wavefront6targetE0EEEvSK_ ; -- Begin function _ZN7rocprim17ROCPRIM_400000_NS6detail17trampoline_kernelINS0_14default_configENS1_38merge_sort_block_merge_config_selectorIsNS0_10empty_typeEEEZZNS1_27merge_sort_block_merge_implIS3_N6thrust23THRUST_200600_302600_NS6detail15normal_iteratorINS9_10device_ptrIsEEEEPS5_m9comp_mod3IsEEE10hipError_tT0_T1_T2_jT3_P12ihipStream_tbPNSt15iterator_traitsISJ_E10value_typeEPNSP_ISK_E10value_typeEPSL_NS1_7vsmem_tEENKUlT_SJ_SK_SL_E_clIPsSE_SF_SF_EESI_SY_SJ_SK_SL_EUlSY_E1_NS1_11comp_targetILNS1_3genE5ELNS1_11target_archE942ELNS1_3gpuE9ELNS1_3repE0EEENS1_36merge_oddeven_config_static_selectorELNS0_4arch9wavefront6targetE0EEEvSK_
	.globl	_ZN7rocprim17ROCPRIM_400000_NS6detail17trampoline_kernelINS0_14default_configENS1_38merge_sort_block_merge_config_selectorIsNS0_10empty_typeEEEZZNS1_27merge_sort_block_merge_implIS3_N6thrust23THRUST_200600_302600_NS6detail15normal_iteratorINS9_10device_ptrIsEEEEPS5_m9comp_mod3IsEEE10hipError_tT0_T1_T2_jT3_P12ihipStream_tbPNSt15iterator_traitsISJ_E10value_typeEPNSP_ISK_E10value_typeEPSL_NS1_7vsmem_tEENKUlT_SJ_SK_SL_E_clIPsSE_SF_SF_EESI_SY_SJ_SK_SL_EUlSY_E1_NS1_11comp_targetILNS1_3genE5ELNS1_11target_archE942ELNS1_3gpuE9ELNS1_3repE0EEENS1_36merge_oddeven_config_static_selectorELNS0_4arch9wavefront6targetE0EEEvSK_
	.p2align	8
	.type	_ZN7rocprim17ROCPRIM_400000_NS6detail17trampoline_kernelINS0_14default_configENS1_38merge_sort_block_merge_config_selectorIsNS0_10empty_typeEEEZZNS1_27merge_sort_block_merge_implIS3_N6thrust23THRUST_200600_302600_NS6detail15normal_iteratorINS9_10device_ptrIsEEEEPS5_m9comp_mod3IsEEE10hipError_tT0_T1_T2_jT3_P12ihipStream_tbPNSt15iterator_traitsISJ_E10value_typeEPNSP_ISK_E10value_typeEPSL_NS1_7vsmem_tEENKUlT_SJ_SK_SL_E_clIPsSE_SF_SF_EESI_SY_SJ_SK_SL_EUlSY_E1_NS1_11comp_targetILNS1_3genE5ELNS1_11target_archE942ELNS1_3gpuE9ELNS1_3repE0EEENS1_36merge_oddeven_config_static_selectorELNS0_4arch9wavefront6targetE0EEEvSK_,@function
_ZN7rocprim17ROCPRIM_400000_NS6detail17trampoline_kernelINS0_14default_configENS1_38merge_sort_block_merge_config_selectorIsNS0_10empty_typeEEEZZNS1_27merge_sort_block_merge_implIS3_N6thrust23THRUST_200600_302600_NS6detail15normal_iteratorINS9_10device_ptrIsEEEEPS5_m9comp_mod3IsEEE10hipError_tT0_T1_T2_jT3_P12ihipStream_tbPNSt15iterator_traitsISJ_E10value_typeEPNSP_ISK_E10value_typeEPSL_NS1_7vsmem_tEENKUlT_SJ_SK_SL_E_clIPsSE_SF_SF_EESI_SY_SJ_SK_SL_EUlSY_E1_NS1_11comp_targetILNS1_3genE5ELNS1_11target_archE942ELNS1_3gpuE9ELNS1_3repE0EEENS1_36merge_oddeven_config_static_selectorELNS0_4arch9wavefront6targetE0EEEvSK_: ; @_ZN7rocprim17ROCPRIM_400000_NS6detail17trampoline_kernelINS0_14default_configENS1_38merge_sort_block_merge_config_selectorIsNS0_10empty_typeEEEZZNS1_27merge_sort_block_merge_implIS3_N6thrust23THRUST_200600_302600_NS6detail15normal_iteratorINS9_10device_ptrIsEEEEPS5_m9comp_mod3IsEEE10hipError_tT0_T1_T2_jT3_P12ihipStream_tbPNSt15iterator_traitsISJ_E10value_typeEPNSP_ISK_E10value_typeEPSL_NS1_7vsmem_tEENKUlT_SJ_SK_SL_E_clIPsSE_SF_SF_EESI_SY_SJ_SK_SL_EUlSY_E1_NS1_11comp_targetILNS1_3genE5ELNS1_11target_archE942ELNS1_3gpuE9ELNS1_3repE0EEENS1_36merge_oddeven_config_static_selectorELNS0_4arch9wavefront6targetE0EEEvSK_
; %bb.0:
	.section	.rodata,"a",@progbits
	.p2align	6, 0x0
	.amdhsa_kernel _ZN7rocprim17ROCPRIM_400000_NS6detail17trampoline_kernelINS0_14default_configENS1_38merge_sort_block_merge_config_selectorIsNS0_10empty_typeEEEZZNS1_27merge_sort_block_merge_implIS3_N6thrust23THRUST_200600_302600_NS6detail15normal_iteratorINS9_10device_ptrIsEEEEPS5_m9comp_mod3IsEEE10hipError_tT0_T1_T2_jT3_P12ihipStream_tbPNSt15iterator_traitsISJ_E10value_typeEPNSP_ISK_E10value_typeEPSL_NS1_7vsmem_tEENKUlT_SJ_SK_SL_E_clIPsSE_SF_SF_EESI_SY_SJ_SK_SL_EUlSY_E1_NS1_11comp_targetILNS1_3genE5ELNS1_11target_archE942ELNS1_3gpuE9ELNS1_3repE0EEENS1_36merge_oddeven_config_static_selectorELNS0_4arch9wavefront6targetE0EEEvSK_
		.amdhsa_group_segment_fixed_size 0
		.amdhsa_private_segment_fixed_size 0
		.amdhsa_kernarg_size 56
		.amdhsa_user_sgpr_count 6
		.amdhsa_user_sgpr_private_segment_buffer 1
		.amdhsa_user_sgpr_dispatch_ptr 0
		.amdhsa_user_sgpr_queue_ptr 0
		.amdhsa_user_sgpr_kernarg_segment_ptr 1
		.amdhsa_user_sgpr_dispatch_id 0
		.amdhsa_user_sgpr_flat_scratch_init 0
		.amdhsa_user_sgpr_private_segment_size 0
		.amdhsa_wavefront_size32 1
		.amdhsa_uses_dynamic_stack 0
		.amdhsa_system_sgpr_private_segment_wavefront_offset 0
		.amdhsa_system_sgpr_workgroup_id_x 1
		.amdhsa_system_sgpr_workgroup_id_y 0
		.amdhsa_system_sgpr_workgroup_id_z 0
		.amdhsa_system_sgpr_workgroup_info 0
		.amdhsa_system_vgpr_workitem_id 0
		.amdhsa_next_free_vgpr 1
		.amdhsa_next_free_sgpr 1
		.amdhsa_reserve_vcc 0
		.amdhsa_reserve_flat_scratch 0
		.amdhsa_float_round_mode_32 0
		.amdhsa_float_round_mode_16_64 0
		.amdhsa_float_denorm_mode_32 3
		.amdhsa_float_denorm_mode_16_64 3
		.amdhsa_dx10_clamp 1
		.amdhsa_ieee_mode 1
		.amdhsa_fp16_overflow 0
		.amdhsa_workgroup_processor_mode 1
		.amdhsa_memory_ordered 1
		.amdhsa_forward_progress 1
		.amdhsa_shared_vgpr_count 0
		.amdhsa_exception_fp_ieee_invalid_op 0
		.amdhsa_exception_fp_denorm_src 0
		.amdhsa_exception_fp_ieee_div_zero 0
		.amdhsa_exception_fp_ieee_overflow 0
		.amdhsa_exception_fp_ieee_underflow 0
		.amdhsa_exception_fp_ieee_inexact 0
		.amdhsa_exception_int_div_zero 0
	.end_amdhsa_kernel
	.section	.text._ZN7rocprim17ROCPRIM_400000_NS6detail17trampoline_kernelINS0_14default_configENS1_38merge_sort_block_merge_config_selectorIsNS0_10empty_typeEEEZZNS1_27merge_sort_block_merge_implIS3_N6thrust23THRUST_200600_302600_NS6detail15normal_iteratorINS9_10device_ptrIsEEEEPS5_m9comp_mod3IsEEE10hipError_tT0_T1_T2_jT3_P12ihipStream_tbPNSt15iterator_traitsISJ_E10value_typeEPNSP_ISK_E10value_typeEPSL_NS1_7vsmem_tEENKUlT_SJ_SK_SL_E_clIPsSE_SF_SF_EESI_SY_SJ_SK_SL_EUlSY_E1_NS1_11comp_targetILNS1_3genE5ELNS1_11target_archE942ELNS1_3gpuE9ELNS1_3repE0EEENS1_36merge_oddeven_config_static_selectorELNS0_4arch9wavefront6targetE0EEEvSK_,"axG",@progbits,_ZN7rocprim17ROCPRIM_400000_NS6detail17trampoline_kernelINS0_14default_configENS1_38merge_sort_block_merge_config_selectorIsNS0_10empty_typeEEEZZNS1_27merge_sort_block_merge_implIS3_N6thrust23THRUST_200600_302600_NS6detail15normal_iteratorINS9_10device_ptrIsEEEEPS5_m9comp_mod3IsEEE10hipError_tT0_T1_T2_jT3_P12ihipStream_tbPNSt15iterator_traitsISJ_E10value_typeEPNSP_ISK_E10value_typeEPSL_NS1_7vsmem_tEENKUlT_SJ_SK_SL_E_clIPsSE_SF_SF_EESI_SY_SJ_SK_SL_EUlSY_E1_NS1_11comp_targetILNS1_3genE5ELNS1_11target_archE942ELNS1_3gpuE9ELNS1_3repE0EEENS1_36merge_oddeven_config_static_selectorELNS0_4arch9wavefront6targetE0EEEvSK_,comdat
.Lfunc_end1064:
	.size	_ZN7rocprim17ROCPRIM_400000_NS6detail17trampoline_kernelINS0_14default_configENS1_38merge_sort_block_merge_config_selectorIsNS0_10empty_typeEEEZZNS1_27merge_sort_block_merge_implIS3_N6thrust23THRUST_200600_302600_NS6detail15normal_iteratorINS9_10device_ptrIsEEEEPS5_m9comp_mod3IsEEE10hipError_tT0_T1_T2_jT3_P12ihipStream_tbPNSt15iterator_traitsISJ_E10value_typeEPNSP_ISK_E10value_typeEPSL_NS1_7vsmem_tEENKUlT_SJ_SK_SL_E_clIPsSE_SF_SF_EESI_SY_SJ_SK_SL_EUlSY_E1_NS1_11comp_targetILNS1_3genE5ELNS1_11target_archE942ELNS1_3gpuE9ELNS1_3repE0EEENS1_36merge_oddeven_config_static_selectorELNS0_4arch9wavefront6targetE0EEEvSK_, .Lfunc_end1064-_ZN7rocprim17ROCPRIM_400000_NS6detail17trampoline_kernelINS0_14default_configENS1_38merge_sort_block_merge_config_selectorIsNS0_10empty_typeEEEZZNS1_27merge_sort_block_merge_implIS3_N6thrust23THRUST_200600_302600_NS6detail15normal_iteratorINS9_10device_ptrIsEEEEPS5_m9comp_mod3IsEEE10hipError_tT0_T1_T2_jT3_P12ihipStream_tbPNSt15iterator_traitsISJ_E10value_typeEPNSP_ISK_E10value_typeEPSL_NS1_7vsmem_tEENKUlT_SJ_SK_SL_E_clIPsSE_SF_SF_EESI_SY_SJ_SK_SL_EUlSY_E1_NS1_11comp_targetILNS1_3genE5ELNS1_11target_archE942ELNS1_3gpuE9ELNS1_3repE0EEENS1_36merge_oddeven_config_static_selectorELNS0_4arch9wavefront6targetE0EEEvSK_
                                        ; -- End function
	.set _ZN7rocprim17ROCPRIM_400000_NS6detail17trampoline_kernelINS0_14default_configENS1_38merge_sort_block_merge_config_selectorIsNS0_10empty_typeEEEZZNS1_27merge_sort_block_merge_implIS3_N6thrust23THRUST_200600_302600_NS6detail15normal_iteratorINS9_10device_ptrIsEEEEPS5_m9comp_mod3IsEEE10hipError_tT0_T1_T2_jT3_P12ihipStream_tbPNSt15iterator_traitsISJ_E10value_typeEPNSP_ISK_E10value_typeEPSL_NS1_7vsmem_tEENKUlT_SJ_SK_SL_E_clIPsSE_SF_SF_EESI_SY_SJ_SK_SL_EUlSY_E1_NS1_11comp_targetILNS1_3genE5ELNS1_11target_archE942ELNS1_3gpuE9ELNS1_3repE0EEENS1_36merge_oddeven_config_static_selectorELNS0_4arch9wavefront6targetE0EEEvSK_.num_vgpr, 0
	.set _ZN7rocprim17ROCPRIM_400000_NS6detail17trampoline_kernelINS0_14default_configENS1_38merge_sort_block_merge_config_selectorIsNS0_10empty_typeEEEZZNS1_27merge_sort_block_merge_implIS3_N6thrust23THRUST_200600_302600_NS6detail15normal_iteratorINS9_10device_ptrIsEEEEPS5_m9comp_mod3IsEEE10hipError_tT0_T1_T2_jT3_P12ihipStream_tbPNSt15iterator_traitsISJ_E10value_typeEPNSP_ISK_E10value_typeEPSL_NS1_7vsmem_tEENKUlT_SJ_SK_SL_E_clIPsSE_SF_SF_EESI_SY_SJ_SK_SL_EUlSY_E1_NS1_11comp_targetILNS1_3genE5ELNS1_11target_archE942ELNS1_3gpuE9ELNS1_3repE0EEENS1_36merge_oddeven_config_static_selectorELNS0_4arch9wavefront6targetE0EEEvSK_.num_agpr, 0
	.set _ZN7rocprim17ROCPRIM_400000_NS6detail17trampoline_kernelINS0_14default_configENS1_38merge_sort_block_merge_config_selectorIsNS0_10empty_typeEEEZZNS1_27merge_sort_block_merge_implIS3_N6thrust23THRUST_200600_302600_NS6detail15normal_iteratorINS9_10device_ptrIsEEEEPS5_m9comp_mod3IsEEE10hipError_tT0_T1_T2_jT3_P12ihipStream_tbPNSt15iterator_traitsISJ_E10value_typeEPNSP_ISK_E10value_typeEPSL_NS1_7vsmem_tEENKUlT_SJ_SK_SL_E_clIPsSE_SF_SF_EESI_SY_SJ_SK_SL_EUlSY_E1_NS1_11comp_targetILNS1_3genE5ELNS1_11target_archE942ELNS1_3gpuE9ELNS1_3repE0EEENS1_36merge_oddeven_config_static_selectorELNS0_4arch9wavefront6targetE0EEEvSK_.numbered_sgpr, 0
	.set _ZN7rocprim17ROCPRIM_400000_NS6detail17trampoline_kernelINS0_14default_configENS1_38merge_sort_block_merge_config_selectorIsNS0_10empty_typeEEEZZNS1_27merge_sort_block_merge_implIS3_N6thrust23THRUST_200600_302600_NS6detail15normal_iteratorINS9_10device_ptrIsEEEEPS5_m9comp_mod3IsEEE10hipError_tT0_T1_T2_jT3_P12ihipStream_tbPNSt15iterator_traitsISJ_E10value_typeEPNSP_ISK_E10value_typeEPSL_NS1_7vsmem_tEENKUlT_SJ_SK_SL_E_clIPsSE_SF_SF_EESI_SY_SJ_SK_SL_EUlSY_E1_NS1_11comp_targetILNS1_3genE5ELNS1_11target_archE942ELNS1_3gpuE9ELNS1_3repE0EEENS1_36merge_oddeven_config_static_selectorELNS0_4arch9wavefront6targetE0EEEvSK_.num_named_barrier, 0
	.set _ZN7rocprim17ROCPRIM_400000_NS6detail17trampoline_kernelINS0_14default_configENS1_38merge_sort_block_merge_config_selectorIsNS0_10empty_typeEEEZZNS1_27merge_sort_block_merge_implIS3_N6thrust23THRUST_200600_302600_NS6detail15normal_iteratorINS9_10device_ptrIsEEEEPS5_m9comp_mod3IsEEE10hipError_tT0_T1_T2_jT3_P12ihipStream_tbPNSt15iterator_traitsISJ_E10value_typeEPNSP_ISK_E10value_typeEPSL_NS1_7vsmem_tEENKUlT_SJ_SK_SL_E_clIPsSE_SF_SF_EESI_SY_SJ_SK_SL_EUlSY_E1_NS1_11comp_targetILNS1_3genE5ELNS1_11target_archE942ELNS1_3gpuE9ELNS1_3repE0EEENS1_36merge_oddeven_config_static_selectorELNS0_4arch9wavefront6targetE0EEEvSK_.private_seg_size, 0
	.set _ZN7rocprim17ROCPRIM_400000_NS6detail17trampoline_kernelINS0_14default_configENS1_38merge_sort_block_merge_config_selectorIsNS0_10empty_typeEEEZZNS1_27merge_sort_block_merge_implIS3_N6thrust23THRUST_200600_302600_NS6detail15normal_iteratorINS9_10device_ptrIsEEEEPS5_m9comp_mod3IsEEE10hipError_tT0_T1_T2_jT3_P12ihipStream_tbPNSt15iterator_traitsISJ_E10value_typeEPNSP_ISK_E10value_typeEPSL_NS1_7vsmem_tEENKUlT_SJ_SK_SL_E_clIPsSE_SF_SF_EESI_SY_SJ_SK_SL_EUlSY_E1_NS1_11comp_targetILNS1_3genE5ELNS1_11target_archE942ELNS1_3gpuE9ELNS1_3repE0EEENS1_36merge_oddeven_config_static_selectorELNS0_4arch9wavefront6targetE0EEEvSK_.uses_vcc, 0
	.set _ZN7rocprim17ROCPRIM_400000_NS6detail17trampoline_kernelINS0_14default_configENS1_38merge_sort_block_merge_config_selectorIsNS0_10empty_typeEEEZZNS1_27merge_sort_block_merge_implIS3_N6thrust23THRUST_200600_302600_NS6detail15normal_iteratorINS9_10device_ptrIsEEEEPS5_m9comp_mod3IsEEE10hipError_tT0_T1_T2_jT3_P12ihipStream_tbPNSt15iterator_traitsISJ_E10value_typeEPNSP_ISK_E10value_typeEPSL_NS1_7vsmem_tEENKUlT_SJ_SK_SL_E_clIPsSE_SF_SF_EESI_SY_SJ_SK_SL_EUlSY_E1_NS1_11comp_targetILNS1_3genE5ELNS1_11target_archE942ELNS1_3gpuE9ELNS1_3repE0EEENS1_36merge_oddeven_config_static_selectorELNS0_4arch9wavefront6targetE0EEEvSK_.uses_flat_scratch, 0
	.set _ZN7rocprim17ROCPRIM_400000_NS6detail17trampoline_kernelINS0_14default_configENS1_38merge_sort_block_merge_config_selectorIsNS0_10empty_typeEEEZZNS1_27merge_sort_block_merge_implIS3_N6thrust23THRUST_200600_302600_NS6detail15normal_iteratorINS9_10device_ptrIsEEEEPS5_m9comp_mod3IsEEE10hipError_tT0_T1_T2_jT3_P12ihipStream_tbPNSt15iterator_traitsISJ_E10value_typeEPNSP_ISK_E10value_typeEPSL_NS1_7vsmem_tEENKUlT_SJ_SK_SL_E_clIPsSE_SF_SF_EESI_SY_SJ_SK_SL_EUlSY_E1_NS1_11comp_targetILNS1_3genE5ELNS1_11target_archE942ELNS1_3gpuE9ELNS1_3repE0EEENS1_36merge_oddeven_config_static_selectorELNS0_4arch9wavefront6targetE0EEEvSK_.has_dyn_sized_stack, 0
	.set _ZN7rocprim17ROCPRIM_400000_NS6detail17trampoline_kernelINS0_14default_configENS1_38merge_sort_block_merge_config_selectorIsNS0_10empty_typeEEEZZNS1_27merge_sort_block_merge_implIS3_N6thrust23THRUST_200600_302600_NS6detail15normal_iteratorINS9_10device_ptrIsEEEEPS5_m9comp_mod3IsEEE10hipError_tT0_T1_T2_jT3_P12ihipStream_tbPNSt15iterator_traitsISJ_E10value_typeEPNSP_ISK_E10value_typeEPSL_NS1_7vsmem_tEENKUlT_SJ_SK_SL_E_clIPsSE_SF_SF_EESI_SY_SJ_SK_SL_EUlSY_E1_NS1_11comp_targetILNS1_3genE5ELNS1_11target_archE942ELNS1_3gpuE9ELNS1_3repE0EEENS1_36merge_oddeven_config_static_selectorELNS0_4arch9wavefront6targetE0EEEvSK_.has_recursion, 0
	.set _ZN7rocprim17ROCPRIM_400000_NS6detail17trampoline_kernelINS0_14default_configENS1_38merge_sort_block_merge_config_selectorIsNS0_10empty_typeEEEZZNS1_27merge_sort_block_merge_implIS3_N6thrust23THRUST_200600_302600_NS6detail15normal_iteratorINS9_10device_ptrIsEEEEPS5_m9comp_mod3IsEEE10hipError_tT0_T1_T2_jT3_P12ihipStream_tbPNSt15iterator_traitsISJ_E10value_typeEPNSP_ISK_E10value_typeEPSL_NS1_7vsmem_tEENKUlT_SJ_SK_SL_E_clIPsSE_SF_SF_EESI_SY_SJ_SK_SL_EUlSY_E1_NS1_11comp_targetILNS1_3genE5ELNS1_11target_archE942ELNS1_3gpuE9ELNS1_3repE0EEENS1_36merge_oddeven_config_static_selectorELNS0_4arch9wavefront6targetE0EEEvSK_.has_indirect_call, 0
	.section	.AMDGPU.csdata,"",@progbits
; Kernel info:
; codeLenInByte = 0
; TotalNumSgprs: 0
; NumVgprs: 0
; ScratchSize: 0
; MemoryBound: 0
; FloatMode: 240
; IeeeMode: 1
; LDSByteSize: 0 bytes/workgroup (compile time only)
; SGPRBlocks: 0
; VGPRBlocks: 0
; NumSGPRsForWavesPerEU: 1
; NumVGPRsForWavesPerEU: 1
; Occupancy: 16
; WaveLimiterHint : 0
; COMPUTE_PGM_RSRC2:SCRATCH_EN: 0
; COMPUTE_PGM_RSRC2:USER_SGPR: 6
; COMPUTE_PGM_RSRC2:TRAP_HANDLER: 0
; COMPUTE_PGM_RSRC2:TGID_X_EN: 1
; COMPUTE_PGM_RSRC2:TGID_Y_EN: 0
; COMPUTE_PGM_RSRC2:TGID_Z_EN: 0
; COMPUTE_PGM_RSRC2:TIDIG_COMP_CNT: 0
	.section	.text._ZN7rocprim17ROCPRIM_400000_NS6detail17trampoline_kernelINS0_14default_configENS1_38merge_sort_block_merge_config_selectorIsNS0_10empty_typeEEEZZNS1_27merge_sort_block_merge_implIS3_N6thrust23THRUST_200600_302600_NS6detail15normal_iteratorINS9_10device_ptrIsEEEEPS5_m9comp_mod3IsEEE10hipError_tT0_T1_T2_jT3_P12ihipStream_tbPNSt15iterator_traitsISJ_E10value_typeEPNSP_ISK_E10value_typeEPSL_NS1_7vsmem_tEENKUlT_SJ_SK_SL_E_clIPsSE_SF_SF_EESI_SY_SJ_SK_SL_EUlSY_E1_NS1_11comp_targetILNS1_3genE4ELNS1_11target_archE910ELNS1_3gpuE8ELNS1_3repE0EEENS1_36merge_oddeven_config_static_selectorELNS0_4arch9wavefront6targetE0EEEvSK_,"axG",@progbits,_ZN7rocprim17ROCPRIM_400000_NS6detail17trampoline_kernelINS0_14default_configENS1_38merge_sort_block_merge_config_selectorIsNS0_10empty_typeEEEZZNS1_27merge_sort_block_merge_implIS3_N6thrust23THRUST_200600_302600_NS6detail15normal_iteratorINS9_10device_ptrIsEEEEPS5_m9comp_mod3IsEEE10hipError_tT0_T1_T2_jT3_P12ihipStream_tbPNSt15iterator_traitsISJ_E10value_typeEPNSP_ISK_E10value_typeEPSL_NS1_7vsmem_tEENKUlT_SJ_SK_SL_E_clIPsSE_SF_SF_EESI_SY_SJ_SK_SL_EUlSY_E1_NS1_11comp_targetILNS1_3genE4ELNS1_11target_archE910ELNS1_3gpuE8ELNS1_3repE0EEENS1_36merge_oddeven_config_static_selectorELNS0_4arch9wavefront6targetE0EEEvSK_,comdat
	.protected	_ZN7rocprim17ROCPRIM_400000_NS6detail17trampoline_kernelINS0_14default_configENS1_38merge_sort_block_merge_config_selectorIsNS0_10empty_typeEEEZZNS1_27merge_sort_block_merge_implIS3_N6thrust23THRUST_200600_302600_NS6detail15normal_iteratorINS9_10device_ptrIsEEEEPS5_m9comp_mod3IsEEE10hipError_tT0_T1_T2_jT3_P12ihipStream_tbPNSt15iterator_traitsISJ_E10value_typeEPNSP_ISK_E10value_typeEPSL_NS1_7vsmem_tEENKUlT_SJ_SK_SL_E_clIPsSE_SF_SF_EESI_SY_SJ_SK_SL_EUlSY_E1_NS1_11comp_targetILNS1_3genE4ELNS1_11target_archE910ELNS1_3gpuE8ELNS1_3repE0EEENS1_36merge_oddeven_config_static_selectorELNS0_4arch9wavefront6targetE0EEEvSK_ ; -- Begin function _ZN7rocprim17ROCPRIM_400000_NS6detail17trampoline_kernelINS0_14default_configENS1_38merge_sort_block_merge_config_selectorIsNS0_10empty_typeEEEZZNS1_27merge_sort_block_merge_implIS3_N6thrust23THRUST_200600_302600_NS6detail15normal_iteratorINS9_10device_ptrIsEEEEPS5_m9comp_mod3IsEEE10hipError_tT0_T1_T2_jT3_P12ihipStream_tbPNSt15iterator_traitsISJ_E10value_typeEPNSP_ISK_E10value_typeEPSL_NS1_7vsmem_tEENKUlT_SJ_SK_SL_E_clIPsSE_SF_SF_EESI_SY_SJ_SK_SL_EUlSY_E1_NS1_11comp_targetILNS1_3genE4ELNS1_11target_archE910ELNS1_3gpuE8ELNS1_3repE0EEENS1_36merge_oddeven_config_static_selectorELNS0_4arch9wavefront6targetE0EEEvSK_
	.globl	_ZN7rocprim17ROCPRIM_400000_NS6detail17trampoline_kernelINS0_14default_configENS1_38merge_sort_block_merge_config_selectorIsNS0_10empty_typeEEEZZNS1_27merge_sort_block_merge_implIS3_N6thrust23THRUST_200600_302600_NS6detail15normal_iteratorINS9_10device_ptrIsEEEEPS5_m9comp_mod3IsEEE10hipError_tT0_T1_T2_jT3_P12ihipStream_tbPNSt15iterator_traitsISJ_E10value_typeEPNSP_ISK_E10value_typeEPSL_NS1_7vsmem_tEENKUlT_SJ_SK_SL_E_clIPsSE_SF_SF_EESI_SY_SJ_SK_SL_EUlSY_E1_NS1_11comp_targetILNS1_3genE4ELNS1_11target_archE910ELNS1_3gpuE8ELNS1_3repE0EEENS1_36merge_oddeven_config_static_selectorELNS0_4arch9wavefront6targetE0EEEvSK_
	.p2align	8
	.type	_ZN7rocprim17ROCPRIM_400000_NS6detail17trampoline_kernelINS0_14default_configENS1_38merge_sort_block_merge_config_selectorIsNS0_10empty_typeEEEZZNS1_27merge_sort_block_merge_implIS3_N6thrust23THRUST_200600_302600_NS6detail15normal_iteratorINS9_10device_ptrIsEEEEPS5_m9comp_mod3IsEEE10hipError_tT0_T1_T2_jT3_P12ihipStream_tbPNSt15iterator_traitsISJ_E10value_typeEPNSP_ISK_E10value_typeEPSL_NS1_7vsmem_tEENKUlT_SJ_SK_SL_E_clIPsSE_SF_SF_EESI_SY_SJ_SK_SL_EUlSY_E1_NS1_11comp_targetILNS1_3genE4ELNS1_11target_archE910ELNS1_3gpuE8ELNS1_3repE0EEENS1_36merge_oddeven_config_static_selectorELNS0_4arch9wavefront6targetE0EEEvSK_,@function
_ZN7rocprim17ROCPRIM_400000_NS6detail17trampoline_kernelINS0_14default_configENS1_38merge_sort_block_merge_config_selectorIsNS0_10empty_typeEEEZZNS1_27merge_sort_block_merge_implIS3_N6thrust23THRUST_200600_302600_NS6detail15normal_iteratorINS9_10device_ptrIsEEEEPS5_m9comp_mod3IsEEE10hipError_tT0_T1_T2_jT3_P12ihipStream_tbPNSt15iterator_traitsISJ_E10value_typeEPNSP_ISK_E10value_typeEPSL_NS1_7vsmem_tEENKUlT_SJ_SK_SL_E_clIPsSE_SF_SF_EESI_SY_SJ_SK_SL_EUlSY_E1_NS1_11comp_targetILNS1_3genE4ELNS1_11target_archE910ELNS1_3gpuE8ELNS1_3repE0EEENS1_36merge_oddeven_config_static_selectorELNS0_4arch9wavefront6targetE0EEEvSK_: ; @_ZN7rocprim17ROCPRIM_400000_NS6detail17trampoline_kernelINS0_14default_configENS1_38merge_sort_block_merge_config_selectorIsNS0_10empty_typeEEEZZNS1_27merge_sort_block_merge_implIS3_N6thrust23THRUST_200600_302600_NS6detail15normal_iteratorINS9_10device_ptrIsEEEEPS5_m9comp_mod3IsEEE10hipError_tT0_T1_T2_jT3_P12ihipStream_tbPNSt15iterator_traitsISJ_E10value_typeEPNSP_ISK_E10value_typeEPSL_NS1_7vsmem_tEENKUlT_SJ_SK_SL_E_clIPsSE_SF_SF_EESI_SY_SJ_SK_SL_EUlSY_E1_NS1_11comp_targetILNS1_3genE4ELNS1_11target_archE910ELNS1_3gpuE8ELNS1_3repE0EEENS1_36merge_oddeven_config_static_selectorELNS0_4arch9wavefront6targetE0EEEvSK_
; %bb.0:
	.section	.rodata,"a",@progbits
	.p2align	6, 0x0
	.amdhsa_kernel _ZN7rocprim17ROCPRIM_400000_NS6detail17trampoline_kernelINS0_14default_configENS1_38merge_sort_block_merge_config_selectorIsNS0_10empty_typeEEEZZNS1_27merge_sort_block_merge_implIS3_N6thrust23THRUST_200600_302600_NS6detail15normal_iteratorINS9_10device_ptrIsEEEEPS5_m9comp_mod3IsEEE10hipError_tT0_T1_T2_jT3_P12ihipStream_tbPNSt15iterator_traitsISJ_E10value_typeEPNSP_ISK_E10value_typeEPSL_NS1_7vsmem_tEENKUlT_SJ_SK_SL_E_clIPsSE_SF_SF_EESI_SY_SJ_SK_SL_EUlSY_E1_NS1_11comp_targetILNS1_3genE4ELNS1_11target_archE910ELNS1_3gpuE8ELNS1_3repE0EEENS1_36merge_oddeven_config_static_selectorELNS0_4arch9wavefront6targetE0EEEvSK_
		.amdhsa_group_segment_fixed_size 0
		.amdhsa_private_segment_fixed_size 0
		.amdhsa_kernarg_size 56
		.amdhsa_user_sgpr_count 6
		.amdhsa_user_sgpr_private_segment_buffer 1
		.amdhsa_user_sgpr_dispatch_ptr 0
		.amdhsa_user_sgpr_queue_ptr 0
		.amdhsa_user_sgpr_kernarg_segment_ptr 1
		.amdhsa_user_sgpr_dispatch_id 0
		.amdhsa_user_sgpr_flat_scratch_init 0
		.amdhsa_user_sgpr_private_segment_size 0
		.amdhsa_wavefront_size32 1
		.amdhsa_uses_dynamic_stack 0
		.amdhsa_system_sgpr_private_segment_wavefront_offset 0
		.amdhsa_system_sgpr_workgroup_id_x 1
		.amdhsa_system_sgpr_workgroup_id_y 0
		.amdhsa_system_sgpr_workgroup_id_z 0
		.amdhsa_system_sgpr_workgroup_info 0
		.amdhsa_system_vgpr_workitem_id 0
		.amdhsa_next_free_vgpr 1
		.amdhsa_next_free_sgpr 1
		.amdhsa_reserve_vcc 0
		.amdhsa_reserve_flat_scratch 0
		.amdhsa_float_round_mode_32 0
		.amdhsa_float_round_mode_16_64 0
		.amdhsa_float_denorm_mode_32 3
		.amdhsa_float_denorm_mode_16_64 3
		.amdhsa_dx10_clamp 1
		.amdhsa_ieee_mode 1
		.amdhsa_fp16_overflow 0
		.amdhsa_workgroup_processor_mode 1
		.amdhsa_memory_ordered 1
		.amdhsa_forward_progress 1
		.amdhsa_shared_vgpr_count 0
		.amdhsa_exception_fp_ieee_invalid_op 0
		.amdhsa_exception_fp_denorm_src 0
		.amdhsa_exception_fp_ieee_div_zero 0
		.amdhsa_exception_fp_ieee_overflow 0
		.amdhsa_exception_fp_ieee_underflow 0
		.amdhsa_exception_fp_ieee_inexact 0
		.amdhsa_exception_int_div_zero 0
	.end_amdhsa_kernel
	.section	.text._ZN7rocprim17ROCPRIM_400000_NS6detail17trampoline_kernelINS0_14default_configENS1_38merge_sort_block_merge_config_selectorIsNS0_10empty_typeEEEZZNS1_27merge_sort_block_merge_implIS3_N6thrust23THRUST_200600_302600_NS6detail15normal_iteratorINS9_10device_ptrIsEEEEPS5_m9comp_mod3IsEEE10hipError_tT0_T1_T2_jT3_P12ihipStream_tbPNSt15iterator_traitsISJ_E10value_typeEPNSP_ISK_E10value_typeEPSL_NS1_7vsmem_tEENKUlT_SJ_SK_SL_E_clIPsSE_SF_SF_EESI_SY_SJ_SK_SL_EUlSY_E1_NS1_11comp_targetILNS1_3genE4ELNS1_11target_archE910ELNS1_3gpuE8ELNS1_3repE0EEENS1_36merge_oddeven_config_static_selectorELNS0_4arch9wavefront6targetE0EEEvSK_,"axG",@progbits,_ZN7rocprim17ROCPRIM_400000_NS6detail17trampoline_kernelINS0_14default_configENS1_38merge_sort_block_merge_config_selectorIsNS0_10empty_typeEEEZZNS1_27merge_sort_block_merge_implIS3_N6thrust23THRUST_200600_302600_NS6detail15normal_iteratorINS9_10device_ptrIsEEEEPS5_m9comp_mod3IsEEE10hipError_tT0_T1_T2_jT3_P12ihipStream_tbPNSt15iterator_traitsISJ_E10value_typeEPNSP_ISK_E10value_typeEPSL_NS1_7vsmem_tEENKUlT_SJ_SK_SL_E_clIPsSE_SF_SF_EESI_SY_SJ_SK_SL_EUlSY_E1_NS1_11comp_targetILNS1_3genE4ELNS1_11target_archE910ELNS1_3gpuE8ELNS1_3repE0EEENS1_36merge_oddeven_config_static_selectorELNS0_4arch9wavefront6targetE0EEEvSK_,comdat
.Lfunc_end1065:
	.size	_ZN7rocprim17ROCPRIM_400000_NS6detail17trampoline_kernelINS0_14default_configENS1_38merge_sort_block_merge_config_selectorIsNS0_10empty_typeEEEZZNS1_27merge_sort_block_merge_implIS3_N6thrust23THRUST_200600_302600_NS6detail15normal_iteratorINS9_10device_ptrIsEEEEPS5_m9comp_mod3IsEEE10hipError_tT0_T1_T2_jT3_P12ihipStream_tbPNSt15iterator_traitsISJ_E10value_typeEPNSP_ISK_E10value_typeEPSL_NS1_7vsmem_tEENKUlT_SJ_SK_SL_E_clIPsSE_SF_SF_EESI_SY_SJ_SK_SL_EUlSY_E1_NS1_11comp_targetILNS1_3genE4ELNS1_11target_archE910ELNS1_3gpuE8ELNS1_3repE0EEENS1_36merge_oddeven_config_static_selectorELNS0_4arch9wavefront6targetE0EEEvSK_, .Lfunc_end1065-_ZN7rocprim17ROCPRIM_400000_NS6detail17trampoline_kernelINS0_14default_configENS1_38merge_sort_block_merge_config_selectorIsNS0_10empty_typeEEEZZNS1_27merge_sort_block_merge_implIS3_N6thrust23THRUST_200600_302600_NS6detail15normal_iteratorINS9_10device_ptrIsEEEEPS5_m9comp_mod3IsEEE10hipError_tT0_T1_T2_jT3_P12ihipStream_tbPNSt15iterator_traitsISJ_E10value_typeEPNSP_ISK_E10value_typeEPSL_NS1_7vsmem_tEENKUlT_SJ_SK_SL_E_clIPsSE_SF_SF_EESI_SY_SJ_SK_SL_EUlSY_E1_NS1_11comp_targetILNS1_3genE4ELNS1_11target_archE910ELNS1_3gpuE8ELNS1_3repE0EEENS1_36merge_oddeven_config_static_selectorELNS0_4arch9wavefront6targetE0EEEvSK_
                                        ; -- End function
	.set _ZN7rocprim17ROCPRIM_400000_NS6detail17trampoline_kernelINS0_14default_configENS1_38merge_sort_block_merge_config_selectorIsNS0_10empty_typeEEEZZNS1_27merge_sort_block_merge_implIS3_N6thrust23THRUST_200600_302600_NS6detail15normal_iteratorINS9_10device_ptrIsEEEEPS5_m9comp_mod3IsEEE10hipError_tT0_T1_T2_jT3_P12ihipStream_tbPNSt15iterator_traitsISJ_E10value_typeEPNSP_ISK_E10value_typeEPSL_NS1_7vsmem_tEENKUlT_SJ_SK_SL_E_clIPsSE_SF_SF_EESI_SY_SJ_SK_SL_EUlSY_E1_NS1_11comp_targetILNS1_3genE4ELNS1_11target_archE910ELNS1_3gpuE8ELNS1_3repE0EEENS1_36merge_oddeven_config_static_selectorELNS0_4arch9wavefront6targetE0EEEvSK_.num_vgpr, 0
	.set _ZN7rocprim17ROCPRIM_400000_NS6detail17trampoline_kernelINS0_14default_configENS1_38merge_sort_block_merge_config_selectorIsNS0_10empty_typeEEEZZNS1_27merge_sort_block_merge_implIS3_N6thrust23THRUST_200600_302600_NS6detail15normal_iteratorINS9_10device_ptrIsEEEEPS5_m9comp_mod3IsEEE10hipError_tT0_T1_T2_jT3_P12ihipStream_tbPNSt15iterator_traitsISJ_E10value_typeEPNSP_ISK_E10value_typeEPSL_NS1_7vsmem_tEENKUlT_SJ_SK_SL_E_clIPsSE_SF_SF_EESI_SY_SJ_SK_SL_EUlSY_E1_NS1_11comp_targetILNS1_3genE4ELNS1_11target_archE910ELNS1_3gpuE8ELNS1_3repE0EEENS1_36merge_oddeven_config_static_selectorELNS0_4arch9wavefront6targetE0EEEvSK_.num_agpr, 0
	.set _ZN7rocprim17ROCPRIM_400000_NS6detail17trampoline_kernelINS0_14default_configENS1_38merge_sort_block_merge_config_selectorIsNS0_10empty_typeEEEZZNS1_27merge_sort_block_merge_implIS3_N6thrust23THRUST_200600_302600_NS6detail15normal_iteratorINS9_10device_ptrIsEEEEPS5_m9comp_mod3IsEEE10hipError_tT0_T1_T2_jT3_P12ihipStream_tbPNSt15iterator_traitsISJ_E10value_typeEPNSP_ISK_E10value_typeEPSL_NS1_7vsmem_tEENKUlT_SJ_SK_SL_E_clIPsSE_SF_SF_EESI_SY_SJ_SK_SL_EUlSY_E1_NS1_11comp_targetILNS1_3genE4ELNS1_11target_archE910ELNS1_3gpuE8ELNS1_3repE0EEENS1_36merge_oddeven_config_static_selectorELNS0_4arch9wavefront6targetE0EEEvSK_.numbered_sgpr, 0
	.set _ZN7rocprim17ROCPRIM_400000_NS6detail17trampoline_kernelINS0_14default_configENS1_38merge_sort_block_merge_config_selectorIsNS0_10empty_typeEEEZZNS1_27merge_sort_block_merge_implIS3_N6thrust23THRUST_200600_302600_NS6detail15normal_iteratorINS9_10device_ptrIsEEEEPS5_m9comp_mod3IsEEE10hipError_tT0_T1_T2_jT3_P12ihipStream_tbPNSt15iterator_traitsISJ_E10value_typeEPNSP_ISK_E10value_typeEPSL_NS1_7vsmem_tEENKUlT_SJ_SK_SL_E_clIPsSE_SF_SF_EESI_SY_SJ_SK_SL_EUlSY_E1_NS1_11comp_targetILNS1_3genE4ELNS1_11target_archE910ELNS1_3gpuE8ELNS1_3repE0EEENS1_36merge_oddeven_config_static_selectorELNS0_4arch9wavefront6targetE0EEEvSK_.num_named_barrier, 0
	.set _ZN7rocprim17ROCPRIM_400000_NS6detail17trampoline_kernelINS0_14default_configENS1_38merge_sort_block_merge_config_selectorIsNS0_10empty_typeEEEZZNS1_27merge_sort_block_merge_implIS3_N6thrust23THRUST_200600_302600_NS6detail15normal_iteratorINS9_10device_ptrIsEEEEPS5_m9comp_mod3IsEEE10hipError_tT0_T1_T2_jT3_P12ihipStream_tbPNSt15iterator_traitsISJ_E10value_typeEPNSP_ISK_E10value_typeEPSL_NS1_7vsmem_tEENKUlT_SJ_SK_SL_E_clIPsSE_SF_SF_EESI_SY_SJ_SK_SL_EUlSY_E1_NS1_11comp_targetILNS1_3genE4ELNS1_11target_archE910ELNS1_3gpuE8ELNS1_3repE0EEENS1_36merge_oddeven_config_static_selectorELNS0_4arch9wavefront6targetE0EEEvSK_.private_seg_size, 0
	.set _ZN7rocprim17ROCPRIM_400000_NS6detail17trampoline_kernelINS0_14default_configENS1_38merge_sort_block_merge_config_selectorIsNS0_10empty_typeEEEZZNS1_27merge_sort_block_merge_implIS3_N6thrust23THRUST_200600_302600_NS6detail15normal_iteratorINS9_10device_ptrIsEEEEPS5_m9comp_mod3IsEEE10hipError_tT0_T1_T2_jT3_P12ihipStream_tbPNSt15iterator_traitsISJ_E10value_typeEPNSP_ISK_E10value_typeEPSL_NS1_7vsmem_tEENKUlT_SJ_SK_SL_E_clIPsSE_SF_SF_EESI_SY_SJ_SK_SL_EUlSY_E1_NS1_11comp_targetILNS1_3genE4ELNS1_11target_archE910ELNS1_3gpuE8ELNS1_3repE0EEENS1_36merge_oddeven_config_static_selectorELNS0_4arch9wavefront6targetE0EEEvSK_.uses_vcc, 0
	.set _ZN7rocprim17ROCPRIM_400000_NS6detail17trampoline_kernelINS0_14default_configENS1_38merge_sort_block_merge_config_selectorIsNS0_10empty_typeEEEZZNS1_27merge_sort_block_merge_implIS3_N6thrust23THRUST_200600_302600_NS6detail15normal_iteratorINS9_10device_ptrIsEEEEPS5_m9comp_mod3IsEEE10hipError_tT0_T1_T2_jT3_P12ihipStream_tbPNSt15iterator_traitsISJ_E10value_typeEPNSP_ISK_E10value_typeEPSL_NS1_7vsmem_tEENKUlT_SJ_SK_SL_E_clIPsSE_SF_SF_EESI_SY_SJ_SK_SL_EUlSY_E1_NS1_11comp_targetILNS1_3genE4ELNS1_11target_archE910ELNS1_3gpuE8ELNS1_3repE0EEENS1_36merge_oddeven_config_static_selectorELNS0_4arch9wavefront6targetE0EEEvSK_.uses_flat_scratch, 0
	.set _ZN7rocprim17ROCPRIM_400000_NS6detail17trampoline_kernelINS0_14default_configENS1_38merge_sort_block_merge_config_selectorIsNS0_10empty_typeEEEZZNS1_27merge_sort_block_merge_implIS3_N6thrust23THRUST_200600_302600_NS6detail15normal_iteratorINS9_10device_ptrIsEEEEPS5_m9comp_mod3IsEEE10hipError_tT0_T1_T2_jT3_P12ihipStream_tbPNSt15iterator_traitsISJ_E10value_typeEPNSP_ISK_E10value_typeEPSL_NS1_7vsmem_tEENKUlT_SJ_SK_SL_E_clIPsSE_SF_SF_EESI_SY_SJ_SK_SL_EUlSY_E1_NS1_11comp_targetILNS1_3genE4ELNS1_11target_archE910ELNS1_3gpuE8ELNS1_3repE0EEENS1_36merge_oddeven_config_static_selectorELNS0_4arch9wavefront6targetE0EEEvSK_.has_dyn_sized_stack, 0
	.set _ZN7rocprim17ROCPRIM_400000_NS6detail17trampoline_kernelINS0_14default_configENS1_38merge_sort_block_merge_config_selectorIsNS0_10empty_typeEEEZZNS1_27merge_sort_block_merge_implIS3_N6thrust23THRUST_200600_302600_NS6detail15normal_iteratorINS9_10device_ptrIsEEEEPS5_m9comp_mod3IsEEE10hipError_tT0_T1_T2_jT3_P12ihipStream_tbPNSt15iterator_traitsISJ_E10value_typeEPNSP_ISK_E10value_typeEPSL_NS1_7vsmem_tEENKUlT_SJ_SK_SL_E_clIPsSE_SF_SF_EESI_SY_SJ_SK_SL_EUlSY_E1_NS1_11comp_targetILNS1_3genE4ELNS1_11target_archE910ELNS1_3gpuE8ELNS1_3repE0EEENS1_36merge_oddeven_config_static_selectorELNS0_4arch9wavefront6targetE0EEEvSK_.has_recursion, 0
	.set _ZN7rocprim17ROCPRIM_400000_NS6detail17trampoline_kernelINS0_14default_configENS1_38merge_sort_block_merge_config_selectorIsNS0_10empty_typeEEEZZNS1_27merge_sort_block_merge_implIS3_N6thrust23THRUST_200600_302600_NS6detail15normal_iteratorINS9_10device_ptrIsEEEEPS5_m9comp_mod3IsEEE10hipError_tT0_T1_T2_jT3_P12ihipStream_tbPNSt15iterator_traitsISJ_E10value_typeEPNSP_ISK_E10value_typeEPSL_NS1_7vsmem_tEENKUlT_SJ_SK_SL_E_clIPsSE_SF_SF_EESI_SY_SJ_SK_SL_EUlSY_E1_NS1_11comp_targetILNS1_3genE4ELNS1_11target_archE910ELNS1_3gpuE8ELNS1_3repE0EEENS1_36merge_oddeven_config_static_selectorELNS0_4arch9wavefront6targetE0EEEvSK_.has_indirect_call, 0
	.section	.AMDGPU.csdata,"",@progbits
; Kernel info:
; codeLenInByte = 0
; TotalNumSgprs: 0
; NumVgprs: 0
; ScratchSize: 0
; MemoryBound: 0
; FloatMode: 240
; IeeeMode: 1
; LDSByteSize: 0 bytes/workgroup (compile time only)
; SGPRBlocks: 0
; VGPRBlocks: 0
; NumSGPRsForWavesPerEU: 1
; NumVGPRsForWavesPerEU: 1
; Occupancy: 16
; WaveLimiterHint : 0
; COMPUTE_PGM_RSRC2:SCRATCH_EN: 0
; COMPUTE_PGM_RSRC2:USER_SGPR: 6
; COMPUTE_PGM_RSRC2:TRAP_HANDLER: 0
; COMPUTE_PGM_RSRC2:TGID_X_EN: 1
; COMPUTE_PGM_RSRC2:TGID_Y_EN: 0
; COMPUTE_PGM_RSRC2:TGID_Z_EN: 0
; COMPUTE_PGM_RSRC2:TIDIG_COMP_CNT: 0
	.section	.text._ZN7rocprim17ROCPRIM_400000_NS6detail17trampoline_kernelINS0_14default_configENS1_38merge_sort_block_merge_config_selectorIsNS0_10empty_typeEEEZZNS1_27merge_sort_block_merge_implIS3_N6thrust23THRUST_200600_302600_NS6detail15normal_iteratorINS9_10device_ptrIsEEEEPS5_m9comp_mod3IsEEE10hipError_tT0_T1_T2_jT3_P12ihipStream_tbPNSt15iterator_traitsISJ_E10value_typeEPNSP_ISK_E10value_typeEPSL_NS1_7vsmem_tEENKUlT_SJ_SK_SL_E_clIPsSE_SF_SF_EESI_SY_SJ_SK_SL_EUlSY_E1_NS1_11comp_targetILNS1_3genE3ELNS1_11target_archE908ELNS1_3gpuE7ELNS1_3repE0EEENS1_36merge_oddeven_config_static_selectorELNS0_4arch9wavefront6targetE0EEEvSK_,"axG",@progbits,_ZN7rocprim17ROCPRIM_400000_NS6detail17trampoline_kernelINS0_14default_configENS1_38merge_sort_block_merge_config_selectorIsNS0_10empty_typeEEEZZNS1_27merge_sort_block_merge_implIS3_N6thrust23THRUST_200600_302600_NS6detail15normal_iteratorINS9_10device_ptrIsEEEEPS5_m9comp_mod3IsEEE10hipError_tT0_T1_T2_jT3_P12ihipStream_tbPNSt15iterator_traitsISJ_E10value_typeEPNSP_ISK_E10value_typeEPSL_NS1_7vsmem_tEENKUlT_SJ_SK_SL_E_clIPsSE_SF_SF_EESI_SY_SJ_SK_SL_EUlSY_E1_NS1_11comp_targetILNS1_3genE3ELNS1_11target_archE908ELNS1_3gpuE7ELNS1_3repE0EEENS1_36merge_oddeven_config_static_selectorELNS0_4arch9wavefront6targetE0EEEvSK_,comdat
	.protected	_ZN7rocprim17ROCPRIM_400000_NS6detail17trampoline_kernelINS0_14default_configENS1_38merge_sort_block_merge_config_selectorIsNS0_10empty_typeEEEZZNS1_27merge_sort_block_merge_implIS3_N6thrust23THRUST_200600_302600_NS6detail15normal_iteratorINS9_10device_ptrIsEEEEPS5_m9comp_mod3IsEEE10hipError_tT0_T1_T2_jT3_P12ihipStream_tbPNSt15iterator_traitsISJ_E10value_typeEPNSP_ISK_E10value_typeEPSL_NS1_7vsmem_tEENKUlT_SJ_SK_SL_E_clIPsSE_SF_SF_EESI_SY_SJ_SK_SL_EUlSY_E1_NS1_11comp_targetILNS1_3genE3ELNS1_11target_archE908ELNS1_3gpuE7ELNS1_3repE0EEENS1_36merge_oddeven_config_static_selectorELNS0_4arch9wavefront6targetE0EEEvSK_ ; -- Begin function _ZN7rocprim17ROCPRIM_400000_NS6detail17trampoline_kernelINS0_14default_configENS1_38merge_sort_block_merge_config_selectorIsNS0_10empty_typeEEEZZNS1_27merge_sort_block_merge_implIS3_N6thrust23THRUST_200600_302600_NS6detail15normal_iteratorINS9_10device_ptrIsEEEEPS5_m9comp_mod3IsEEE10hipError_tT0_T1_T2_jT3_P12ihipStream_tbPNSt15iterator_traitsISJ_E10value_typeEPNSP_ISK_E10value_typeEPSL_NS1_7vsmem_tEENKUlT_SJ_SK_SL_E_clIPsSE_SF_SF_EESI_SY_SJ_SK_SL_EUlSY_E1_NS1_11comp_targetILNS1_3genE3ELNS1_11target_archE908ELNS1_3gpuE7ELNS1_3repE0EEENS1_36merge_oddeven_config_static_selectorELNS0_4arch9wavefront6targetE0EEEvSK_
	.globl	_ZN7rocprim17ROCPRIM_400000_NS6detail17trampoline_kernelINS0_14default_configENS1_38merge_sort_block_merge_config_selectorIsNS0_10empty_typeEEEZZNS1_27merge_sort_block_merge_implIS3_N6thrust23THRUST_200600_302600_NS6detail15normal_iteratorINS9_10device_ptrIsEEEEPS5_m9comp_mod3IsEEE10hipError_tT0_T1_T2_jT3_P12ihipStream_tbPNSt15iterator_traitsISJ_E10value_typeEPNSP_ISK_E10value_typeEPSL_NS1_7vsmem_tEENKUlT_SJ_SK_SL_E_clIPsSE_SF_SF_EESI_SY_SJ_SK_SL_EUlSY_E1_NS1_11comp_targetILNS1_3genE3ELNS1_11target_archE908ELNS1_3gpuE7ELNS1_3repE0EEENS1_36merge_oddeven_config_static_selectorELNS0_4arch9wavefront6targetE0EEEvSK_
	.p2align	8
	.type	_ZN7rocprim17ROCPRIM_400000_NS6detail17trampoline_kernelINS0_14default_configENS1_38merge_sort_block_merge_config_selectorIsNS0_10empty_typeEEEZZNS1_27merge_sort_block_merge_implIS3_N6thrust23THRUST_200600_302600_NS6detail15normal_iteratorINS9_10device_ptrIsEEEEPS5_m9comp_mod3IsEEE10hipError_tT0_T1_T2_jT3_P12ihipStream_tbPNSt15iterator_traitsISJ_E10value_typeEPNSP_ISK_E10value_typeEPSL_NS1_7vsmem_tEENKUlT_SJ_SK_SL_E_clIPsSE_SF_SF_EESI_SY_SJ_SK_SL_EUlSY_E1_NS1_11comp_targetILNS1_3genE3ELNS1_11target_archE908ELNS1_3gpuE7ELNS1_3repE0EEENS1_36merge_oddeven_config_static_selectorELNS0_4arch9wavefront6targetE0EEEvSK_,@function
_ZN7rocprim17ROCPRIM_400000_NS6detail17trampoline_kernelINS0_14default_configENS1_38merge_sort_block_merge_config_selectorIsNS0_10empty_typeEEEZZNS1_27merge_sort_block_merge_implIS3_N6thrust23THRUST_200600_302600_NS6detail15normal_iteratorINS9_10device_ptrIsEEEEPS5_m9comp_mod3IsEEE10hipError_tT0_T1_T2_jT3_P12ihipStream_tbPNSt15iterator_traitsISJ_E10value_typeEPNSP_ISK_E10value_typeEPSL_NS1_7vsmem_tEENKUlT_SJ_SK_SL_E_clIPsSE_SF_SF_EESI_SY_SJ_SK_SL_EUlSY_E1_NS1_11comp_targetILNS1_3genE3ELNS1_11target_archE908ELNS1_3gpuE7ELNS1_3repE0EEENS1_36merge_oddeven_config_static_selectorELNS0_4arch9wavefront6targetE0EEEvSK_: ; @_ZN7rocprim17ROCPRIM_400000_NS6detail17trampoline_kernelINS0_14default_configENS1_38merge_sort_block_merge_config_selectorIsNS0_10empty_typeEEEZZNS1_27merge_sort_block_merge_implIS3_N6thrust23THRUST_200600_302600_NS6detail15normal_iteratorINS9_10device_ptrIsEEEEPS5_m9comp_mod3IsEEE10hipError_tT0_T1_T2_jT3_P12ihipStream_tbPNSt15iterator_traitsISJ_E10value_typeEPNSP_ISK_E10value_typeEPSL_NS1_7vsmem_tEENKUlT_SJ_SK_SL_E_clIPsSE_SF_SF_EESI_SY_SJ_SK_SL_EUlSY_E1_NS1_11comp_targetILNS1_3genE3ELNS1_11target_archE908ELNS1_3gpuE7ELNS1_3repE0EEENS1_36merge_oddeven_config_static_selectorELNS0_4arch9wavefront6targetE0EEEvSK_
; %bb.0:
	.section	.rodata,"a",@progbits
	.p2align	6, 0x0
	.amdhsa_kernel _ZN7rocprim17ROCPRIM_400000_NS6detail17trampoline_kernelINS0_14default_configENS1_38merge_sort_block_merge_config_selectorIsNS0_10empty_typeEEEZZNS1_27merge_sort_block_merge_implIS3_N6thrust23THRUST_200600_302600_NS6detail15normal_iteratorINS9_10device_ptrIsEEEEPS5_m9comp_mod3IsEEE10hipError_tT0_T1_T2_jT3_P12ihipStream_tbPNSt15iterator_traitsISJ_E10value_typeEPNSP_ISK_E10value_typeEPSL_NS1_7vsmem_tEENKUlT_SJ_SK_SL_E_clIPsSE_SF_SF_EESI_SY_SJ_SK_SL_EUlSY_E1_NS1_11comp_targetILNS1_3genE3ELNS1_11target_archE908ELNS1_3gpuE7ELNS1_3repE0EEENS1_36merge_oddeven_config_static_selectorELNS0_4arch9wavefront6targetE0EEEvSK_
		.amdhsa_group_segment_fixed_size 0
		.amdhsa_private_segment_fixed_size 0
		.amdhsa_kernarg_size 56
		.amdhsa_user_sgpr_count 6
		.amdhsa_user_sgpr_private_segment_buffer 1
		.amdhsa_user_sgpr_dispatch_ptr 0
		.amdhsa_user_sgpr_queue_ptr 0
		.amdhsa_user_sgpr_kernarg_segment_ptr 1
		.amdhsa_user_sgpr_dispatch_id 0
		.amdhsa_user_sgpr_flat_scratch_init 0
		.amdhsa_user_sgpr_private_segment_size 0
		.amdhsa_wavefront_size32 1
		.amdhsa_uses_dynamic_stack 0
		.amdhsa_system_sgpr_private_segment_wavefront_offset 0
		.amdhsa_system_sgpr_workgroup_id_x 1
		.amdhsa_system_sgpr_workgroup_id_y 0
		.amdhsa_system_sgpr_workgroup_id_z 0
		.amdhsa_system_sgpr_workgroup_info 0
		.amdhsa_system_vgpr_workitem_id 0
		.amdhsa_next_free_vgpr 1
		.amdhsa_next_free_sgpr 1
		.amdhsa_reserve_vcc 0
		.amdhsa_reserve_flat_scratch 0
		.amdhsa_float_round_mode_32 0
		.amdhsa_float_round_mode_16_64 0
		.amdhsa_float_denorm_mode_32 3
		.amdhsa_float_denorm_mode_16_64 3
		.amdhsa_dx10_clamp 1
		.amdhsa_ieee_mode 1
		.amdhsa_fp16_overflow 0
		.amdhsa_workgroup_processor_mode 1
		.amdhsa_memory_ordered 1
		.amdhsa_forward_progress 1
		.amdhsa_shared_vgpr_count 0
		.amdhsa_exception_fp_ieee_invalid_op 0
		.amdhsa_exception_fp_denorm_src 0
		.amdhsa_exception_fp_ieee_div_zero 0
		.amdhsa_exception_fp_ieee_overflow 0
		.amdhsa_exception_fp_ieee_underflow 0
		.amdhsa_exception_fp_ieee_inexact 0
		.amdhsa_exception_int_div_zero 0
	.end_amdhsa_kernel
	.section	.text._ZN7rocprim17ROCPRIM_400000_NS6detail17trampoline_kernelINS0_14default_configENS1_38merge_sort_block_merge_config_selectorIsNS0_10empty_typeEEEZZNS1_27merge_sort_block_merge_implIS3_N6thrust23THRUST_200600_302600_NS6detail15normal_iteratorINS9_10device_ptrIsEEEEPS5_m9comp_mod3IsEEE10hipError_tT0_T1_T2_jT3_P12ihipStream_tbPNSt15iterator_traitsISJ_E10value_typeEPNSP_ISK_E10value_typeEPSL_NS1_7vsmem_tEENKUlT_SJ_SK_SL_E_clIPsSE_SF_SF_EESI_SY_SJ_SK_SL_EUlSY_E1_NS1_11comp_targetILNS1_3genE3ELNS1_11target_archE908ELNS1_3gpuE7ELNS1_3repE0EEENS1_36merge_oddeven_config_static_selectorELNS0_4arch9wavefront6targetE0EEEvSK_,"axG",@progbits,_ZN7rocprim17ROCPRIM_400000_NS6detail17trampoline_kernelINS0_14default_configENS1_38merge_sort_block_merge_config_selectorIsNS0_10empty_typeEEEZZNS1_27merge_sort_block_merge_implIS3_N6thrust23THRUST_200600_302600_NS6detail15normal_iteratorINS9_10device_ptrIsEEEEPS5_m9comp_mod3IsEEE10hipError_tT0_T1_T2_jT3_P12ihipStream_tbPNSt15iterator_traitsISJ_E10value_typeEPNSP_ISK_E10value_typeEPSL_NS1_7vsmem_tEENKUlT_SJ_SK_SL_E_clIPsSE_SF_SF_EESI_SY_SJ_SK_SL_EUlSY_E1_NS1_11comp_targetILNS1_3genE3ELNS1_11target_archE908ELNS1_3gpuE7ELNS1_3repE0EEENS1_36merge_oddeven_config_static_selectorELNS0_4arch9wavefront6targetE0EEEvSK_,comdat
.Lfunc_end1066:
	.size	_ZN7rocprim17ROCPRIM_400000_NS6detail17trampoline_kernelINS0_14default_configENS1_38merge_sort_block_merge_config_selectorIsNS0_10empty_typeEEEZZNS1_27merge_sort_block_merge_implIS3_N6thrust23THRUST_200600_302600_NS6detail15normal_iteratorINS9_10device_ptrIsEEEEPS5_m9comp_mod3IsEEE10hipError_tT0_T1_T2_jT3_P12ihipStream_tbPNSt15iterator_traitsISJ_E10value_typeEPNSP_ISK_E10value_typeEPSL_NS1_7vsmem_tEENKUlT_SJ_SK_SL_E_clIPsSE_SF_SF_EESI_SY_SJ_SK_SL_EUlSY_E1_NS1_11comp_targetILNS1_3genE3ELNS1_11target_archE908ELNS1_3gpuE7ELNS1_3repE0EEENS1_36merge_oddeven_config_static_selectorELNS0_4arch9wavefront6targetE0EEEvSK_, .Lfunc_end1066-_ZN7rocprim17ROCPRIM_400000_NS6detail17trampoline_kernelINS0_14default_configENS1_38merge_sort_block_merge_config_selectorIsNS0_10empty_typeEEEZZNS1_27merge_sort_block_merge_implIS3_N6thrust23THRUST_200600_302600_NS6detail15normal_iteratorINS9_10device_ptrIsEEEEPS5_m9comp_mod3IsEEE10hipError_tT0_T1_T2_jT3_P12ihipStream_tbPNSt15iterator_traitsISJ_E10value_typeEPNSP_ISK_E10value_typeEPSL_NS1_7vsmem_tEENKUlT_SJ_SK_SL_E_clIPsSE_SF_SF_EESI_SY_SJ_SK_SL_EUlSY_E1_NS1_11comp_targetILNS1_3genE3ELNS1_11target_archE908ELNS1_3gpuE7ELNS1_3repE0EEENS1_36merge_oddeven_config_static_selectorELNS0_4arch9wavefront6targetE0EEEvSK_
                                        ; -- End function
	.set _ZN7rocprim17ROCPRIM_400000_NS6detail17trampoline_kernelINS0_14default_configENS1_38merge_sort_block_merge_config_selectorIsNS0_10empty_typeEEEZZNS1_27merge_sort_block_merge_implIS3_N6thrust23THRUST_200600_302600_NS6detail15normal_iteratorINS9_10device_ptrIsEEEEPS5_m9comp_mod3IsEEE10hipError_tT0_T1_T2_jT3_P12ihipStream_tbPNSt15iterator_traitsISJ_E10value_typeEPNSP_ISK_E10value_typeEPSL_NS1_7vsmem_tEENKUlT_SJ_SK_SL_E_clIPsSE_SF_SF_EESI_SY_SJ_SK_SL_EUlSY_E1_NS1_11comp_targetILNS1_3genE3ELNS1_11target_archE908ELNS1_3gpuE7ELNS1_3repE0EEENS1_36merge_oddeven_config_static_selectorELNS0_4arch9wavefront6targetE0EEEvSK_.num_vgpr, 0
	.set _ZN7rocprim17ROCPRIM_400000_NS6detail17trampoline_kernelINS0_14default_configENS1_38merge_sort_block_merge_config_selectorIsNS0_10empty_typeEEEZZNS1_27merge_sort_block_merge_implIS3_N6thrust23THRUST_200600_302600_NS6detail15normal_iteratorINS9_10device_ptrIsEEEEPS5_m9comp_mod3IsEEE10hipError_tT0_T1_T2_jT3_P12ihipStream_tbPNSt15iterator_traitsISJ_E10value_typeEPNSP_ISK_E10value_typeEPSL_NS1_7vsmem_tEENKUlT_SJ_SK_SL_E_clIPsSE_SF_SF_EESI_SY_SJ_SK_SL_EUlSY_E1_NS1_11comp_targetILNS1_3genE3ELNS1_11target_archE908ELNS1_3gpuE7ELNS1_3repE0EEENS1_36merge_oddeven_config_static_selectorELNS0_4arch9wavefront6targetE0EEEvSK_.num_agpr, 0
	.set _ZN7rocprim17ROCPRIM_400000_NS6detail17trampoline_kernelINS0_14default_configENS1_38merge_sort_block_merge_config_selectorIsNS0_10empty_typeEEEZZNS1_27merge_sort_block_merge_implIS3_N6thrust23THRUST_200600_302600_NS6detail15normal_iteratorINS9_10device_ptrIsEEEEPS5_m9comp_mod3IsEEE10hipError_tT0_T1_T2_jT3_P12ihipStream_tbPNSt15iterator_traitsISJ_E10value_typeEPNSP_ISK_E10value_typeEPSL_NS1_7vsmem_tEENKUlT_SJ_SK_SL_E_clIPsSE_SF_SF_EESI_SY_SJ_SK_SL_EUlSY_E1_NS1_11comp_targetILNS1_3genE3ELNS1_11target_archE908ELNS1_3gpuE7ELNS1_3repE0EEENS1_36merge_oddeven_config_static_selectorELNS0_4arch9wavefront6targetE0EEEvSK_.numbered_sgpr, 0
	.set _ZN7rocprim17ROCPRIM_400000_NS6detail17trampoline_kernelINS0_14default_configENS1_38merge_sort_block_merge_config_selectorIsNS0_10empty_typeEEEZZNS1_27merge_sort_block_merge_implIS3_N6thrust23THRUST_200600_302600_NS6detail15normal_iteratorINS9_10device_ptrIsEEEEPS5_m9comp_mod3IsEEE10hipError_tT0_T1_T2_jT3_P12ihipStream_tbPNSt15iterator_traitsISJ_E10value_typeEPNSP_ISK_E10value_typeEPSL_NS1_7vsmem_tEENKUlT_SJ_SK_SL_E_clIPsSE_SF_SF_EESI_SY_SJ_SK_SL_EUlSY_E1_NS1_11comp_targetILNS1_3genE3ELNS1_11target_archE908ELNS1_3gpuE7ELNS1_3repE0EEENS1_36merge_oddeven_config_static_selectorELNS0_4arch9wavefront6targetE0EEEvSK_.num_named_barrier, 0
	.set _ZN7rocprim17ROCPRIM_400000_NS6detail17trampoline_kernelINS0_14default_configENS1_38merge_sort_block_merge_config_selectorIsNS0_10empty_typeEEEZZNS1_27merge_sort_block_merge_implIS3_N6thrust23THRUST_200600_302600_NS6detail15normal_iteratorINS9_10device_ptrIsEEEEPS5_m9comp_mod3IsEEE10hipError_tT0_T1_T2_jT3_P12ihipStream_tbPNSt15iterator_traitsISJ_E10value_typeEPNSP_ISK_E10value_typeEPSL_NS1_7vsmem_tEENKUlT_SJ_SK_SL_E_clIPsSE_SF_SF_EESI_SY_SJ_SK_SL_EUlSY_E1_NS1_11comp_targetILNS1_3genE3ELNS1_11target_archE908ELNS1_3gpuE7ELNS1_3repE0EEENS1_36merge_oddeven_config_static_selectorELNS0_4arch9wavefront6targetE0EEEvSK_.private_seg_size, 0
	.set _ZN7rocprim17ROCPRIM_400000_NS6detail17trampoline_kernelINS0_14default_configENS1_38merge_sort_block_merge_config_selectorIsNS0_10empty_typeEEEZZNS1_27merge_sort_block_merge_implIS3_N6thrust23THRUST_200600_302600_NS6detail15normal_iteratorINS9_10device_ptrIsEEEEPS5_m9comp_mod3IsEEE10hipError_tT0_T1_T2_jT3_P12ihipStream_tbPNSt15iterator_traitsISJ_E10value_typeEPNSP_ISK_E10value_typeEPSL_NS1_7vsmem_tEENKUlT_SJ_SK_SL_E_clIPsSE_SF_SF_EESI_SY_SJ_SK_SL_EUlSY_E1_NS1_11comp_targetILNS1_3genE3ELNS1_11target_archE908ELNS1_3gpuE7ELNS1_3repE0EEENS1_36merge_oddeven_config_static_selectorELNS0_4arch9wavefront6targetE0EEEvSK_.uses_vcc, 0
	.set _ZN7rocprim17ROCPRIM_400000_NS6detail17trampoline_kernelINS0_14default_configENS1_38merge_sort_block_merge_config_selectorIsNS0_10empty_typeEEEZZNS1_27merge_sort_block_merge_implIS3_N6thrust23THRUST_200600_302600_NS6detail15normal_iteratorINS9_10device_ptrIsEEEEPS5_m9comp_mod3IsEEE10hipError_tT0_T1_T2_jT3_P12ihipStream_tbPNSt15iterator_traitsISJ_E10value_typeEPNSP_ISK_E10value_typeEPSL_NS1_7vsmem_tEENKUlT_SJ_SK_SL_E_clIPsSE_SF_SF_EESI_SY_SJ_SK_SL_EUlSY_E1_NS1_11comp_targetILNS1_3genE3ELNS1_11target_archE908ELNS1_3gpuE7ELNS1_3repE0EEENS1_36merge_oddeven_config_static_selectorELNS0_4arch9wavefront6targetE0EEEvSK_.uses_flat_scratch, 0
	.set _ZN7rocprim17ROCPRIM_400000_NS6detail17trampoline_kernelINS0_14default_configENS1_38merge_sort_block_merge_config_selectorIsNS0_10empty_typeEEEZZNS1_27merge_sort_block_merge_implIS3_N6thrust23THRUST_200600_302600_NS6detail15normal_iteratorINS9_10device_ptrIsEEEEPS5_m9comp_mod3IsEEE10hipError_tT0_T1_T2_jT3_P12ihipStream_tbPNSt15iterator_traitsISJ_E10value_typeEPNSP_ISK_E10value_typeEPSL_NS1_7vsmem_tEENKUlT_SJ_SK_SL_E_clIPsSE_SF_SF_EESI_SY_SJ_SK_SL_EUlSY_E1_NS1_11comp_targetILNS1_3genE3ELNS1_11target_archE908ELNS1_3gpuE7ELNS1_3repE0EEENS1_36merge_oddeven_config_static_selectorELNS0_4arch9wavefront6targetE0EEEvSK_.has_dyn_sized_stack, 0
	.set _ZN7rocprim17ROCPRIM_400000_NS6detail17trampoline_kernelINS0_14default_configENS1_38merge_sort_block_merge_config_selectorIsNS0_10empty_typeEEEZZNS1_27merge_sort_block_merge_implIS3_N6thrust23THRUST_200600_302600_NS6detail15normal_iteratorINS9_10device_ptrIsEEEEPS5_m9comp_mod3IsEEE10hipError_tT0_T1_T2_jT3_P12ihipStream_tbPNSt15iterator_traitsISJ_E10value_typeEPNSP_ISK_E10value_typeEPSL_NS1_7vsmem_tEENKUlT_SJ_SK_SL_E_clIPsSE_SF_SF_EESI_SY_SJ_SK_SL_EUlSY_E1_NS1_11comp_targetILNS1_3genE3ELNS1_11target_archE908ELNS1_3gpuE7ELNS1_3repE0EEENS1_36merge_oddeven_config_static_selectorELNS0_4arch9wavefront6targetE0EEEvSK_.has_recursion, 0
	.set _ZN7rocprim17ROCPRIM_400000_NS6detail17trampoline_kernelINS0_14default_configENS1_38merge_sort_block_merge_config_selectorIsNS0_10empty_typeEEEZZNS1_27merge_sort_block_merge_implIS3_N6thrust23THRUST_200600_302600_NS6detail15normal_iteratorINS9_10device_ptrIsEEEEPS5_m9comp_mod3IsEEE10hipError_tT0_T1_T2_jT3_P12ihipStream_tbPNSt15iterator_traitsISJ_E10value_typeEPNSP_ISK_E10value_typeEPSL_NS1_7vsmem_tEENKUlT_SJ_SK_SL_E_clIPsSE_SF_SF_EESI_SY_SJ_SK_SL_EUlSY_E1_NS1_11comp_targetILNS1_3genE3ELNS1_11target_archE908ELNS1_3gpuE7ELNS1_3repE0EEENS1_36merge_oddeven_config_static_selectorELNS0_4arch9wavefront6targetE0EEEvSK_.has_indirect_call, 0
	.section	.AMDGPU.csdata,"",@progbits
; Kernel info:
; codeLenInByte = 0
; TotalNumSgprs: 0
; NumVgprs: 0
; ScratchSize: 0
; MemoryBound: 0
; FloatMode: 240
; IeeeMode: 1
; LDSByteSize: 0 bytes/workgroup (compile time only)
; SGPRBlocks: 0
; VGPRBlocks: 0
; NumSGPRsForWavesPerEU: 1
; NumVGPRsForWavesPerEU: 1
; Occupancy: 16
; WaveLimiterHint : 0
; COMPUTE_PGM_RSRC2:SCRATCH_EN: 0
; COMPUTE_PGM_RSRC2:USER_SGPR: 6
; COMPUTE_PGM_RSRC2:TRAP_HANDLER: 0
; COMPUTE_PGM_RSRC2:TGID_X_EN: 1
; COMPUTE_PGM_RSRC2:TGID_Y_EN: 0
; COMPUTE_PGM_RSRC2:TGID_Z_EN: 0
; COMPUTE_PGM_RSRC2:TIDIG_COMP_CNT: 0
	.section	.text._ZN7rocprim17ROCPRIM_400000_NS6detail17trampoline_kernelINS0_14default_configENS1_38merge_sort_block_merge_config_selectorIsNS0_10empty_typeEEEZZNS1_27merge_sort_block_merge_implIS3_N6thrust23THRUST_200600_302600_NS6detail15normal_iteratorINS9_10device_ptrIsEEEEPS5_m9comp_mod3IsEEE10hipError_tT0_T1_T2_jT3_P12ihipStream_tbPNSt15iterator_traitsISJ_E10value_typeEPNSP_ISK_E10value_typeEPSL_NS1_7vsmem_tEENKUlT_SJ_SK_SL_E_clIPsSE_SF_SF_EESI_SY_SJ_SK_SL_EUlSY_E1_NS1_11comp_targetILNS1_3genE2ELNS1_11target_archE906ELNS1_3gpuE6ELNS1_3repE0EEENS1_36merge_oddeven_config_static_selectorELNS0_4arch9wavefront6targetE0EEEvSK_,"axG",@progbits,_ZN7rocprim17ROCPRIM_400000_NS6detail17trampoline_kernelINS0_14default_configENS1_38merge_sort_block_merge_config_selectorIsNS0_10empty_typeEEEZZNS1_27merge_sort_block_merge_implIS3_N6thrust23THRUST_200600_302600_NS6detail15normal_iteratorINS9_10device_ptrIsEEEEPS5_m9comp_mod3IsEEE10hipError_tT0_T1_T2_jT3_P12ihipStream_tbPNSt15iterator_traitsISJ_E10value_typeEPNSP_ISK_E10value_typeEPSL_NS1_7vsmem_tEENKUlT_SJ_SK_SL_E_clIPsSE_SF_SF_EESI_SY_SJ_SK_SL_EUlSY_E1_NS1_11comp_targetILNS1_3genE2ELNS1_11target_archE906ELNS1_3gpuE6ELNS1_3repE0EEENS1_36merge_oddeven_config_static_selectorELNS0_4arch9wavefront6targetE0EEEvSK_,comdat
	.protected	_ZN7rocprim17ROCPRIM_400000_NS6detail17trampoline_kernelINS0_14default_configENS1_38merge_sort_block_merge_config_selectorIsNS0_10empty_typeEEEZZNS1_27merge_sort_block_merge_implIS3_N6thrust23THRUST_200600_302600_NS6detail15normal_iteratorINS9_10device_ptrIsEEEEPS5_m9comp_mod3IsEEE10hipError_tT0_T1_T2_jT3_P12ihipStream_tbPNSt15iterator_traitsISJ_E10value_typeEPNSP_ISK_E10value_typeEPSL_NS1_7vsmem_tEENKUlT_SJ_SK_SL_E_clIPsSE_SF_SF_EESI_SY_SJ_SK_SL_EUlSY_E1_NS1_11comp_targetILNS1_3genE2ELNS1_11target_archE906ELNS1_3gpuE6ELNS1_3repE0EEENS1_36merge_oddeven_config_static_selectorELNS0_4arch9wavefront6targetE0EEEvSK_ ; -- Begin function _ZN7rocprim17ROCPRIM_400000_NS6detail17trampoline_kernelINS0_14default_configENS1_38merge_sort_block_merge_config_selectorIsNS0_10empty_typeEEEZZNS1_27merge_sort_block_merge_implIS3_N6thrust23THRUST_200600_302600_NS6detail15normal_iteratorINS9_10device_ptrIsEEEEPS5_m9comp_mod3IsEEE10hipError_tT0_T1_T2_jT3_P12ihipStream_tbPNSt15iterator_traitsISJ_E10value_typeEPNSP_ISK_E10value_typeEPSL_NS1_7vsmem_tEENKUlT_SJ_SK_SL_E_clIPsSE_SF_SF_EESI_SY_SJ_SK_SL_EUlSY_E1_NS1_11comp_targetILNS1_3genE2ELNS1_11target_archE906ELNS1_3gpuE6ELNS1_3repE0EEENS1_36merge_oddeven_config_static_selectorELNS0_4arch9wavefront6targetE0EEEvSK_
	.globl	_ZN7rocprim17ROCPRIM_400000_NS6detail17trampoline_kernelINS0_14default_configENS1_38merge_sort_block_merge_config_selectorIsNS0_10empty_typeEEEZZNS1_27merge_sort_block_merge_implIS3_N6thrust23THRUST_200600_302600_NS6detail15normal_iteratorINS9_10device_ptrIsEEEEPS5_m9comp_mod3IsEEE10hipError_tT0_T1_T2_jT3_P12ihipStream_tbPNSt15iterator_traitsISJ_E10value_typeEPNSP_ISK_E10value_typeEPSL_NS1_7vsmem_tEENKUlT_SJ_SK_SL_E_clIPsSE_SF_SF_EESI_SY_SJ_SK_SL_EUlSY_E1_NS1_11comp_targetILNS1_3genE2ELNS1_11target_archE906ELNS1_3gpuE6ELNS1_3repE0EEENS1_36merge_oddeven_config_static_selectorELNS0_4arch9wavefront6targetE0EEEvSK_
	.p2align	8
	.type	_ZN7rocprim17ROCPRIM_400000_NS6detail17trampoline_kernelINS0_14default_configENS1_38merge_sort_block_merge_config_selectorIsNS0_10empty_typeEEEZZNS1_27merge_sort_block_merge_implIS3_N6thrust23THRUST_200600_302600_NS6detail15normal_iteratorINS9_10device_ptrIsEEEEPS5_m9comp_mod3IsEEE10hipError_tT0_T1_T2_jT3_P12ihipStream_tbPNSt15iterator_traitsISJ_E10value_typeEPNSP_ISK_E10value_typeEPSL_NS1_7vsmem_tEENKUlT_SJ_SK_SL_E_clIPsSE_SF_SF_EESI_SY_SJ_SK_SL_EUlSY_E1_NS1_11comp_targetILNS1_3genE2ELNS1_11target_archE906ELNS1_3gpuE6ELNS1_3repE0EEENS1_36merge_oddeven_config_static_selectorELNS0_4arch9wavefront6targetE0EEEvSK_,@function
_ZN7rocprim17ROCPRIM_400000_NS6detail17trampoline_kernelINS0_14default_configENS1_38merge_sort_block_merge_config_selectorIsNS0_10empty_typeEEEZZNS1_27merge_sort_block_merge_implIS3_N6thrust23THRUST_200600_302600_NS6detail15normal_iteratorINS9_10device_ptrIsEEEEPS5_m9comp_mod3IsEEE10hipError_tT0_T1_T2_jT3_P12ihipStream_tbPNSt15iterator_traitsISJ_E10value_typeEPNSP_ISK_E10value_typeEPSL_NS1_7vsmem_tEENKUlT_SJ_SK_SL_E_clIPsSE_SF_SF_EESI_SY_SJ_SK_SL_EUlSY_E1_NS1_11comp_targetILNS1_3genE2ELNS1_11target_archE906ELNS1_3gpuE6ELNS1_3repE0EEENS1_36merge_oddeven_config_static_selectorELNS0_4arch9wavefront6targetE0EEEvSK_: ; @_ZN7rocprim17ROCPRIM_400000_NS6detail17trampoline_kernelINS0_14default_configENS1_38merge_sort_block_merge_config_selectorIsNS0_10empty_typeEEEZZNS1_27merge_sort_block_merge_implIS3_N6thrust23THRUST_200600_302600_NS6detail15normal_iteratorINS9_10device_ptrIsEEEEPS5_m9comp_mod3IsEEE10hipError_tT0_T1_T2_jT3_P12ihipStream_tbPNSt15iterator_traitsISJ_E10value_typeEPNSP_ISK_E10value_typeEPSL_NS1_7vsmem_tEENKUlT_SJ_SK_SL_E_clIPsSE_SF_SF_EESI_SY_SJ_SK_SL_EUlSY_E1_NS1_11comp_targetILNS1_3genE2ELNS1_11target_archE906ELNS1_3gpuE6ELNS1_3repE0EEENS1_36merge_oddeven_config_static_selectorELNS0_4arch9wavefront6targetE0EEEvSK_
; %bb.0:
	.section	.rodata,"a",@progbits
	.p2align	6, 0x0
	.amdhsa_kernel _ZN7rocprim17ROCPRIM_400000_NS6detail17trampoline_kernelINS0_14default_configENS1_38merge_sort_block_merge_config_selectorIsNS0_10empty_typeEEEZZNS1_27merge_sort_block_merge_implIS3_N6thrust23THRUST_200600_302600_NS6detail15normal_iteratorINS9_10device_ptrIsEEEEPS5_m9comp_mod3IsEEE10hipError_tT0_T1_T2_jT3_P12ihipStream_tbPNSt15iterator_traitsISJ_E10value_typeEPNSP_ISK_E10value_typeEPSL_NS1_7vsmem_tEENKUlT_SJ_SK_SL_E_clIPsSE_SF_SF_EESI_SY_SJ_SK_SL_EUlSY_E1_NS1_11comp_targetILNS1_3genE2ELNS1_11target_archE906ELNS1_3gpuE6ELNS1_3repE0EEENS1_36merge_oddeven_config_static_selectorELNS0_4arch9wavefront6targetE0EEEvSK_
		.amdhsa_group_segment_fixed_size 0
		.amdhsa_private_segment_fixed_size 0
		.amdhsa_kernarg_size 56
		.amdhsa_user_sgpr_count 6
		.amdhsa_user_sgpr_private_segment_buffer 1
		.amdhsa_user_sgpr_dispatch_ptr 0
		.amdhsa_user_sgpr_queue_ptr 0
		.amdhsa_user_sgpr_kernarg_segment_ptr 1
		.amdhsa_user_sgpr_dispatch_id 0
		.amdhsa_user_sgpr_flat_scratch_init 0
		.amdhsa_user_sgpr_private_segment_size 0
		.amdhsa_wavefront_size32 1
		.amdhsa_uses_dynamic_stack 0
		.amdhsa_system_sgpr_private_segment_wavefront_offset 0
		.amdhsa_system_sgpr_workgroup_id_x 1
		.amdhsa_system_sgpr_workgroup_id_y 0
		.amdhsa_system_sgpr_workgroup_id_z 0
		.amdhsa_system_sgpr_workgroup_info 0
		.amdhsa_system_vgpr_workitem_id 0
		.amdhsa_next_free_vgpr 1
		.amdhsa_next_free_sgpr 1
		.amdhsa_reserve_vcc 0
		.amdhsa_reserve_flat_scratch 0
		.amdhsa_float_round_mode_32 0
		.amdhsa_float_round_mode_16_64 0
		.amdhsa_float_denorm_mode_32 3
		.amdhsa_float_denorm_mode_16_64 3
		.amdhsa_dx10_clamp 1
		.amdhsa_ieee_mode 1
		.amdhsa_fp16_overflow 0
		.amdhsa_workgroup_processor_mode 1
		.amdhsa_memory_ordered 1
		.amdhsa_forward_progress 1
		.amdhsa_shared_vgpr_count 0
		.amdhsa_exception_fp_ieee_invalid_op 0
		.amdhsa_exception_fp_denorm_src 0
		.amdhsa_exception_fp_ieee_div_zero 0
		.amdhsa_exception_fp_ieee_overflow 0
		.amdhsa_exception_fp_ieee_underflow 0
		.amdhsa_exception_fp_ieee_inexact 0
		.amdhsa_exception_int_div_zero 0
	.end_amdhsa_kernel
	.section	.text._ZN7rocprim17ROCPRIM_400000_NS6detail17trampoline_kernelINS0_14default_configENS1_38merge_sort_block_merge_config_selectorIsNS0_10empty_typeEEEZZNS1_27merge_sort_block_merge_implIS3_N6thrust23THRUST_200600_302600_NS6detail15normal_iteratorINS9_10device_ptrIsEEEEPS5_m9comp_mod3IsEEE10hipError_tT0_T1_T2_jT3_P12ihipStream_tbPNSt15iterator_traitsISJ_E10value_typeEPNSP_ISK_E10value_typeEPSL_NS1_7vsmem_tEENKUlT_SJ_SK_SL_E_clIPsSE_SF_SF_EESI_SY_SJ_SK_SL_EUlSY_E1_NS1_11comp_targetILNS1_3genE2ELNS1_11target_archE906ELNS1_3gpuE6ELNS1_3repE0EEENS1_36merge_oddeven_config_static_selectorELNS0_4arch9wavefront6targetE0EEEvSK_,"axG",@progbits,_ZN7rocprim17ROCPRIM_400000_NS6detail17trampoline_kernelINS0_14default_configENS1_38merge_sort_block_merge_config_selectorIsNS0_10empty_typeEEEZZNS1_27merge_sort_block_merge_implIS3_N6thrust23THRUST_200600_302600_NS6detail15normal_iteratorINS9_10device_ptrIsEEEEPS5_m9comp_mod3IsEEE10hipError_tT0_T1_T2_jT3_P12ihipStream_tbPNSt15iterator_traitsISJ_E10value_typeEPNSP_ISK_E10value_typeEPSL_NS1_7vsmem_tEENKUlT_SJ_SK_SL_E_clIPsSE_SF_SF_EESI_SY_SJ_SK_SL_EUlSY_E1_NS1_11comp_targetILNS1_3genE2ELNS1_11target_archE906ELNS1_3gpuE6ELNS1_3repE0EEENS1_36merge_oddeven_config_static_selectorELNS0_4arch9wavefront6targetE0EEEvSK_,comdat
.Lfunc_end1067:
	.size	_ZN7rocprim17ROCPRIM_400000_NS6detail17trampoline_kernelINS0_14default_configENS1_38merge_sort_block_merge_config_selectorIsNS0_10empty_typeEEEZZNS1_27merge_sort_block_merge_implIS3_N6thrust23THRUST_200600_302600_NS6detail15normal_iteratorINS9_10device_ptrIsEEEEPS5_m9comp_mod3IsEEE10hipError_tT0_T1_T2_jT3_P12ihipStream_tbPNSt15iterator_traitsISJ_E10value_typeEPNSP_ISK_E10value_typeEPSL_NS1_7vsmem_tEENKUlT_SJ_SK_SL_E_clIPsSE_SF_SF_EESI_SY_SJ_SK_SL_EUlSY_E1_NS1_11comp_targetILNS1_3genE2ELNS1_11target_archE906ELNS1_3gpuE6ELNS1_3repE0EEENS1_36merge_oddeven_config_static_selectorELNS0_4arch9wavefront6targetE0EEEvSK_, .Lfunc_end1067-_ZN7rocprim17ROCPRIM_400000_NS6detail17trampoline_kernelINS0_14default_configENS1_38merge_sort_block_merge_config_selectorIsNS0_10empty_typeEEEZZNS1_27merge_sort_block_merge_implIS3_N6thrust23THRUST_200600_302600_NS6detail15normal_iteratorINS9_10device_ptrIsEEEEPS5_m9comp_mod3IsEEE10hipError_tT0_T1_T2_jT3_P12ihipStream_tbPNSt15iterator_traitsISJ_E10value_typeEPNSP_ISK_E10value_typeEPSL_NS1_7vsmem_tEENKUlT_SJ_SK_SL_E_clIPsSE_SF_SF_EESI_SY_SJ_SK_SL_EUlSY_E1_NS1_11comp_targetILNS1_3genE2ELNS1_11target_archE906ELNS1_3gpuE6ELNS1_3repE0EEENS1_36merge_oddeven_config_static_selectorELNS0_4arch9wavefront6targetE0EEEvSK_
                                        ; -- End function
	.set _ZN7rocprim17ROCPRIM_400000_NS6detail17trampoline_kernelINS0_14default_configENS1_38merge_sort_block_merge_config_selectorIsNS0_10empty_typeEEEZZNS1_27merge_sort_block_merge_implIS3_N6thrust23THRUST_200600_302600_NS6detail15normal_iteratorINS9_10device_ptrIsEEEEPS5_m9comp_mod3IsEEE10hipError_tT0_T1_T2_jT3_P12ihipStream_tbPNSt15iterator_traitsISJ_E10value_typeEPNSP_ISK_E10value_typeEPSL_NS1_7vsmem_tEENKUlT_SJ_SK_SL_E_clIPsSE_SF_SF_EESI_SY_SJ_SK_SL_EUlSY_E1_NS1_11comp_targetILNS1_3genE2ELNS1_11target_archE906ELNS1_3gpuE6ELNS1_3repE0EEENS1_36merge_oddeven_config_static_selectorELNS0_4arch9wavefront6targetE0EEEvSK_.num_vgpr, 0
	.set _ZN7rocprim17ROCPRIM_400000_NS6detail17trampoline_kernelINS0_14default_configENS1_38merge_sort_block_merge_config_selectorIsNS0_10empty_typeEEEZZNS1_27merge_sort_block_merge_implIS3_N6thrust23THRUST_200600_302600_NS6detail15normal_iteratorINS9_10device_ptrIsEEEEPS5_m9comp_mod3IsEEE10hipError_tT0_T1_T2_jT3_P12ihipStream_tbPNSt15iterator_traitsISJ_E10value_typeEPNSP_ISK_E10value_typeEPSL_NS1_7vsmem_tEENKUlT_SJ_SK_SL_E_clIPsSE_SF_SF_EESI_SY_SJ_SK_SL_EUlSY_E1_NS1_11comp_targetILNS1_3genE2ELNS1_11target_archE906ELNS1_3gpuE6ELNS1_3repE0EEENS1_36merge_oddeven_config_static_selectorELNS0_4arch9wavefront6targetE0EEEvSK_.num_agpr, 0
	.set _ZN7rocprim17ROCPRIM_400000_NS6detail17trampoline_kernelINS0_14default_configENS1_38merge_sort_block_merge_config_selectorIsNS0_10empty_typeEEEZZNS1_27merge_sort_block_merge_implIS3_N6thrust23THRUST_200600_302600_NS6detail15normal_iteratorINS9_10device_ptrIsEEEEPS5_m9comp_mod3IsEEE10hipError_tT0_T1_T2_jT3_P12ihipStream_tbPNSt15iterator_traitsISJ_E10value_typeEPNSP_ISK_E10value_typeEPSL_NS1_7vsmem_tEENKUlT_SJ_SK_SL_E_clIPsSE_SF_SF_EESI_SY_SJ_SK_SL_EUlSY_E1_NS1_11comp_targetILNS1_3genE2ELNS1_11target_archE906ELNS1_3gpuE6ELNS1_3repE0EEENS1_36merge_oddeven_config_static_selectorELNS0_4arch9wavefront6targetE0EEEvSK_.numbered_sgpr, 0
	.set _ZN7rocprim17ROCPRIM_400000_NS6detail17trampoline_kernelINS0_14default_configENS1_38merge_sort_block_merge_config_selectorIsNS0_10empty_typeEEEZZNS1_27merge_sort_block_merge_implIS3_N6thrust23THRUST_200600_302600_NS6detail15normal_iteratorINS9_10device_ptrIsEEEEPS5_m9comp_mod3IsEEE10hipError_tT0_T1_T2_jT3_P12ihipStream_tbPNSt15iterator_traitsISJ_E10value_typeEPNSP_ISK_E10value_typeEPSL_NS1_7vsmem_tEENKUlT_SJ_SK_SL_E_clIPsSE_SF_SF_EESI_SY_SJ_SK_SL_EUlSY_E1_NS1_11comp_targetILNS1_3genE2ELNS1_11target_archE906ELNS1_3gpuE6ELNS1_3repE0EEENS1_36merge_oddeven_config_static_selectorELNS0_4arch9wavefront6targetE0EEEvSK_.num_named_barrier, 0
	.set _ZN7rocprim17ROCPRIM_400000_NS6detail17trampoline_kernelINS0_14default_configENS1_38merge_sort_block_merge_config_selectorIsNS0_10empty_typeEEEZZNS1_27merge_sort_block_merge_implIS3_N6thrust23THRUST_200600_302600_NS6detail15normal_iteratorINS9_10device_ptrIsEEEEPS5_m9comp_mod3IsEEE10hipError_tT0_T1_T2_jT3_P12ihipStream_tbPNSt15iterator_traitsISJ_E10value_typeEPNSP_ISK_E10value_typeEPSL_NS1_7vsmem_tEENKUlT_SJ_SK_SL_E_clIPsSE_SF_SF_EESI_SY_SJ_SK_SL_EUlSY_E1_NS1_11comp_targetILNS1_3genE2ELNS1_11target_archE906ELNS1_3gpuE6ELNS1_3repE0EEENS1_36merge_oddeven_config_static_selectorELNS0_4arch9wavefront6targetE0EEEvSK_.private_seg_size, 0
	.set _ZN7rocprim17ROCPRIM_400000_NS6detail17trampoline_kernelINS0_14default_configENS1_38merge_sort_block_merge_config_selectorIsNS0_10empty_typeEEEZZNS1_27merge_sort_block_merge_implIS3_N6thrust23THRUST_200600_302600_NS6detail15normal_iteratorINS9_10device_ptrIsEEEEPS5_m9comp_mod3IsEEE10hipError_tT0_T1_T2_jT3_P12ihipStream_tbPNSt15iterator_traitsISJ_E10value_typeEPNSP_ISK_E10value_typeEPSL_NS1_7vsmem_tEENKUlT_SJ_SK_SL_E_clIPsSE_SF_SF_EESI_SY_SJ_SK_SL_EUlSY_E1_NS1_11comp_targetILNS1_3genE2ELNS1_11target_archE906ELNS1_3gpuE6ELNS1_3repE0EEENS1_36merge_oddeven_config_static_selectorELNS0_4arch9wavefront6targetE0EEEvSK_.uses_vcc, 0
	.set _ZN7rocprim17ROCPRIM_400000_NS6detail17trampoline_kernelINS0_14default_configENS1_38merge_sort_block_merge_config_selectorIsNS0_10empty_typeEEEZZNS1_27merge_sort_block_merge_implIS3_N6thrust23THRUST_200600_302600_NS6detail15normal_iteratorINS9_10device_ptrIsEEEEPS5_m9comp_mod3IsEEE10hipError_tT0_T1_T2_jT3_P12ihipStream_tbPNSt15iterator_traitsISJ_E10value_typeEPNSP_ISK_E10value_typeEPSL_NS1_7vsmem_tEENKUlT_SJ_SK_SL_E_clIPsSE_SF_SF_EESI_SY_SJ_SK_SL_EUlSY_E1_NS1_11comp_targetILNS1_3genE2ELNS1_11target_archE906ELNS1_3gpuE6ELNS1_3repE0EEENS1_36merge_oddeven_config_static_selectorELNS0_4arch9wavefront6targetE0EEEvSK_.uses_flat_scratch, 0
	.set _ZN7rocprim17ROCPRIM_400000_NS6detail17trampoline_kernelINS0_14default_configENS1_38merge_sort_block_merge_config_selectorIsNS0_10empty_typeEEEZZNS1_27merge_sort_block_merge_implIS3_N6thrust23THRUST_200600_302600_NS6detail15normal_iteratorINS9_10device_ptrIsEEEEPS5_m9comp_mod3IsEEE10hipError_tT0_T1_T2_jT3_P12ihipStream_tbPNSt15iterator_traitsISJ_E10value_typeEPNSP_ISK_E10value_typeEPSL_NS1_7vsmem_tEENKUlT_SJ_SK_SL_E_clIPsSE_SF_SF_EESI_SY_SJ_SK_SL_EUlSY_E1_NS1_11comp_targetILNS1_3genE2ELNS1_11target_archE906ELNS1_3gpuE6ELNS1_3repE0EEENS1_36merge_oddeven_config_static_selectorELNS0_4arch9wavefront6targetE0EEEvSK_.has_dyn_sized_stack, 0
	.set _ZN7rocprim17ROCPRIM_400000_NS6detail17trampoline_kernelINS0_14default_configENS1_38merge_sort_block_merge_config_selectorIsNS0_10empty_typeEEEZZNS1_27merge_sort_block_merge_implIS3_N6thrust23THRUST_200600_302600_NS6detail15normal_iteratorINS9_10device_ptrIsEEEEPS5_m9comp_mod3IsEEE10hipError_tT0_T1_T2_jT3_P12ihipStream_tbPNSt15iterator_traitsISJ_E10value_typeEPNSP_ISK_E10value_typeEPSL_NS1_7vsmem_tEENKUlT_SJ_SK_SL_E_clIPsSE_SF_SF_EESI_SY_SJ_SK_SL_EUlSY_E1_NS1_11comp_targetILNS1_3genE2ELNS1_11target_archE906ELNS1_3gpuE6ELNS1_3repE0EEENS1_36merge_oddeven_config_static_selectorELNS0_4arch9wavefront6targetE0EEEvSK_.has_recursion, 0
	.set _ZN7rocprim17ROCPRIM_400000_NS6detail17trampoline_kernelINS0_14default_configENS1_38merge_sort_block_merge_config_selectorIsNS0_10empty_typeEEEZZNS1_27merge_sort_block_merge_implIS3_N6thrust23THRUST_200600_302600_NS6detail15normal_iteratorINS9_10device_ptrIsEEEEPS5_m9comp_mod3IsEEE10hipError_tT0_T1_T2_jT3_P12ihipStream_tbPNSt15iterator_traitsISJ_E10value_typeEPNSP_ISK_E10value_typeEPSL_NS1_7vsmem_tEENKUlT_SJ_SK_SL_E_clIPsSE_SF_SF_EESI_SY_SJ_SK_SL_EUlSY_E1_NS1_11comp_targetILNS1_3genE2ELNS1_11target_archE906ELNS1_3gpuE6ELNS1_3repE0EEENS1_36merge_oddeven_config_static_selectorELNS0_4arch9wavefront6targetE0EEEvSK_.has_indirect_call, 0
	.section	.AMDGPU.csdata,"",@progbits
; Kernel info:
; codeLenInByte = 0
; TotalNumSgprs: 0
; NumVgprs: 0
; ScratchSize: 0
; MemoryBound: 0
; FloatMode: 240
; IeeeMode: 1
; LDSByteSize: 0 bytes/workgroup (compile time only)
; SGPRBlocks: 0
; VGPRBlocks: 0
; NumSGPRsForWavesPerEU: 1
; NumVGPRsForWavesPerEU: 1
; Occupancy: 16
; WaveLimiterHint : 0
; COMPUTE_PGM_RSRC2:SCRATCH_EN: 0
; COMPUTE_PGM_RSRC2:USER_SGPR: 6
; COMPUTE_PGM_RSRC2:TRAP_HANDLER: 0
; COMPUTE_PGM_RSRC2:TGID_X_EN: 1
; COMPUTE_PGM_RSRC2:TGID_Y_EN: 0
; COMPUTE_PGM_RSRC2:TGID_Z_EN: 0
; COMPUTE_PGM_RSRC2:TIDIG_COMP_CNT: 0
	.section	.text._ZN7rocprim17ROCPRIM_400000_NS6detail17trampoline_kernelINS0_14default_configENS1_38merge_sort_block_merge_config_selectorIsNS0_10empty_typeEEEZZNS1_27merge_sort_block_merge_implIS3_N6thrust23THRUST_200600_302600_NS6detail15normal_iteratorINS9_10device_ptrIsEEEEPS5_m9comp_mod3IsEEE10hipError_tT0_T1_T2_jT3_P12ihipStream_tbPNSt15iterator_traitsISJ_E10value_typeEPNSP_ISK_E10value_typeEPSL_NS1_7vsmem_tEENKUlT_SJ_SK_SL_E_clIPsSE_SF_SF_EESI_SY_SJ_SK_SL_EUlSY_E1_NS1_11comp_targetILNS1_3genE9ELNS1_11target_archE1100ELNS1_3gpuE3ELNS1_3repE0EEENS1_36merge_oddeven_config_static_selectorELNS0_4arch9wavefront6targetE0EEEvSK_,"axG",@progbits,_ZN7rocprim17ROCPRIM_400000_NS6detail17trampoline_kernelINS0_14default_configENS1_38merge_sort_block_merge_config_selectorIsNS0_10empty_typeEEEZZNS1_27merge_sort_block_merge_implIS3_N6thrust23THRUST_200600_302600_NS6detail15normal_iteratorINS9_10device_ptrIsEEEEPS5_m9comp_mod3IsEEE10hipError_tT0_T1_T2_jT3_P12ihipStream_tbPNSt15iterator_traitsISJ_E10value_typeEPNSP_ISK_E10value_typeEPSL_NS1_7vsmem_tEENKUlT_SJ_SK_SL_E_clIPsSE_SF_SF_EESI_SY_SJ_SK_SL_EUlSY_E1_NS1_11comp_targetILNS1_3genE9ELNS1_11target_archE1100ELNS1_3gpuE3ELNS1_3repE0EEENS1_36merge_oddeven_config_static_selectorELNS0_4arch9wavefront6targetE0EEEvSK_,comdat
	.protected	_ZN7rocprim17ROCPRIM_400000_NS6detail17trampoline_kernelINS0_14default_configENS1_38merge_sort_block_merge_config_selectorIsNS0_10empty_typeEEEZZNS1_27merge_sort_block_merge_implIS3_N6thrust23THRUST_200600_302600_NS6detail15normal_iteratorINS9_10device_ptrIsEEEEPS5_m9comp_mod3IsEEE10hipError_tT0_T1_T2_jT3_P12ihipStream_tbPNSt15iterator_traitsISJ_E10value_typeEPNSP_ISK_E10value_typeEPSL_NS1_7vsmem_tEENKUlT_SJ_SK_SL_E_clIPsSE_SF_SF_EESI_SY_SJ_SK_SL_EUlSY_E1_NS1_11comp_targetILNS1_3genE9ELNS1_11target_archE1100ELNS1_3gpuE3ELNS1_3repE0EEENS1_36merge_oddeven_config_static_selectorELNS0_4arch9wavefront6targetE0EEEvSK_ ; -- Begin function _ZN7rocprim17ROCPRIM_400000_NS6detail17trampoline_kernelINS0_14default_configENS1_38merge_sort_block_merge_config_selectorIsNS0_10empty_typeEEEZZNS1_27merge_sort_block_merge_implIS3_N6thrust23THRUST_200600_302600_NS6detail15normal_iteratorINS9_10device_ptrIsEEEEPS5_m9comp_mod3IsEEE10hipError_tT0_T1_T2_jT3_P12ihipStream_tbPNSt15iterator_traitsISJ_E10value_typeEPNSP_ISK_E10value_typeEPSL_NS1_7vsmem_tEENKUlT_SJ_SK_SL_E_clIPsSE_SF_SF_EESI_SY_SJ_SK_SL_EUlSY_E1_NS1_11comp_targetILNS1_3genE9ELNS1_11target_archE1100ELNS1_3gpuE3ELNS1_3repE0EEENS1_36merge_oddeven_config_static_selectorELNS0_4arch9wavefront6targetE0EEEvSK_
	.globl	_ZN7rocprim17ROCPRIM_400000_NS6detail17trampoline_kernelINS0_14default_configENS1_38merge_sort_block_merge_config_selectorIsNS0_10empty_typeEEEZZNS1_27merge_sort_block_merge_implIS3_N6thrust23THRUST_200600_302600_NS6detail15normal_iteratorINS9_10device_ptrIsEEEEPS5_m9comp_mod3IsEEE10hipError_tT0_T1_T2_jT3_P12ihipStream_tbPNSt15iterator_traitsISJ_E10value_typeEPNSP_ISK_E10value_typeEPSL_NS1_7vsmem_tEENKUlT_SJ_SK_SL_E_clIPsSE_SF_SF_EESI_SY_SJ_SK_SL_EUlSY_E1_NS1_11comp_targetILNS1_3genE9ELNS1_11target_archE1100ELNS1_3gpuE3ELNS1_3repE0EEENS1_36merge_oddeven_config_static_selectorELNS0_4arch9wavefront6targetE0EEEvSK_
	.p2align	8
	.type	_ZN7rocprim17ROCPRIM_400000_NS6detail17trampoline_kernelINS0_14default_configENS1_38merge_sort_block_merge_config_selectorIsNS0_10empty_typeEEEZZNS1_27merge_sort_block_merge_implIS3_N6thrust23THRUST_200600_302600_NS6detail15normal_iteratorINS9_10device_ptrIsEEEEPS5_m9comp_mod3IsEEE10hipError_tT0_T1_T2_jT3_P12ihipStream_tbPNSt15iterator_traitsISJ_E10value_typeEPNSP_ISK_E10value_typeEPSL_NS1_7vsmem_tEENKUlT_SJ_SK_SL_E_clIPsSE_SF_SF_EESI_SY_SJ_SK_SL_EUlSY_E1_NS1_11comp_targetILNS1_3genE9ELNS1_11target_archE1100ELNS1_3gpuE3ELNS1_3repE0EEENS1_36merge_oddeven_config_static_selectorELNS0_4arch9wavefront6targetE0EEEvSK_,@function
_ZN7rocprim17ROCPRIM_400000_NS6detail17trampoline_kernelINS0_14default_configENS1_38merge_sort_block_merge_config_selectorIsNS0_10empty_typeEEEZZNS1_27merge_sort_block_merge_implIS3_N6thrust23THRUST_200600_302600_NS6detail15normal_iteratorINS9_10device_ptrIsEEEEPS5_m9comp_mod3IsEEE10hipError_tT0_T1_T2_jT3_P12ihipStream_tbPNSt15iterator_traitsISJ_E10value_typeEPNSP_ISK_E10value_typeEPSL_NS1_7vsmem_tEENKUlT_SJ_SK_SL_E_clIPsSE_SF_SF_EESI_SY_SJ_SK_SL_EUlSY_E1_NS1_11comp_targetILNS1_3genE9ELNS1_11target_archE1100ELNS1_3gpuE3ELNS1_3repE0EEENS1_36merge_oddeven_config_static_selectorELNS0_4arch9wavefront6targetE0EEEvSK_: ; @_ZN7rocprim17ROCPRIM_400000_NS6detail17trampoline_kernelINS0_14default_configENS1_38merge_sort_block_merge_config_selectorIsNS0_10empty_typeEEEZZNS1_27merge_sort_block_merge_implIS3_N6thrust23THRUST_200600_302600_NS6detail15normal_iteratorINS9_10device_ptrIsEEEEPS5_m9comp_mod3IsEEE10hipError_tT0_T1_T2_jT3_P12ihipStream_tbPNSt15iterator_traitsISJ_E10value_typeEPNSP_ISK_E10value_typeEPSL_NS1_7vsmem_tEENKUlT_SJ_SK_SL_E_clIPsSE_SF_SF_EESI_SY_SJ_SK_SL_EUlSY_E1_NS1_11comp_targetILNS1_3genE9ELNS1_11target_archE1100ELNS1_3gpuE3ELNS1_3repE0EEENS1_36merge_oddeven_config_static_selectorELNS0_4arch9wavefront6targetE0EEEvSK_
; %bb.0:
	.section	.rodata,"a",@progbits
	.p2align	6, 0x0
	.amdhsa_kernel _ZN7rocprim17ROCPRIM_400000_NS6detail17trampoline_kernelINS0_14default_configENS1_38merge_sort_block_merge_config_selectorIsNS0_10empty_typeEEEZZNS1_27merge_sort_block_merge_implIS3_N6thrust23THRUST_200600_302600_NS6detail15normal_iteratorINS9_10device_ptrIsEEEEPS5_m9comp_mod3IsEEE10hipError_tT0_T1_T2_jT3_P12ihipStream_tbPNSt15iterator_traitsISJ_E10value_typeEPNSP_ISK_E10value_typeEPSL_NS1_7vsmem_tEENKUlT_SJ_SK_SL_E_clIPsSE_SF_SF_EESI_SY_SJ_SK_SL_EUlSY_E1_NS1_11comp_targetILNS1_3genE9ELNS1_11target_archE1100ELNS1_3gpuE3ELNS1_3repE0EEENS1_36merge_oddeven_config_static_selectorELNS0_4arch9wavefront6targetE0EEEvSK_
		.amdhsa_group_segment_fixed_size 0
		.amdhsa_private_segment_fixed_size 0
		.amdhsa_kernarg_size 56
		.amdhsa_user_sgpr_count 6
		.amdhsa_user_sgpr_private_segment_buffer 1
		.amdhsa_user_sgpr_dispatch_ptr 0
		.amdhsa_user_sgpr_queue_ptr 0
		.amdhsa_user_sgpr_kernarg_segment_ptr 1
		.amdhsa_user_sgpr_dispatch_id 0
		.amdhsa_user_sgpr_flat_scratch_init 0
		.amdhsa_user_sgpr_private_segment_size 0
		.amdhsa_wavefront_size32 1
		.amdhsa_uses_dynamic_stack 0
		.amdhsa_system_sgpr_private_segment_wavefront_offset 0
		.amdhsa_system_sgpr_workgroup_id_x 1
		.amdhsa_system_sgpr_workgroup_id_y 0
		.amdhsa_system_sgpr_workgroup_id_z 0
		.amdhsa_system_sgpr_workgroup_info 0
		.amdhsa_system_vgpr_workitem_id 0
		.amdhsa_next_free_vgpr 1
		.amdhsa_next_free_sgpr 1
		.amdhsa_reserve_vcc 0
		.amdhsa_reserve_flat_scratch 0
		.amdhsa_float_round_mode_32 0
		.amdhsa_float_round_mode_16_64 0
		.amdhsa_float_denorm_mode_32 3
		.amdhsa_float_denorm_mode_16_64 3
		.amdhsa_dx10_clamp 1
		.amdhsa_ieee_mode 1
		.amdhsa_fp16_overflow 0
		.amdhsa_workgroup_processor_mode 1
		.amdhsa_memory_ordered 1
		.amdhsa_forward_progress 1
		.amdhsa_shared_vgpr_count 0
		.amdhsa_exception_fp_ieee_invalid_op 0
		.amdhsa_exception_fp_denorm_src 0
		.amdhsa_exception_fp_ieee_div_zero 0
		.amdhsa_exception_fp_ieee_overflow 0
		.amdhsa_exception_fp_ieee_underflow 0
		.amdhsa_exception_fp_ieee_inexact 0
		.amdhsa_exception_int_div_zero 0
	.end_amdhsa_kernel
	.section	.text._ZN7rocprim17ROCPRIM_400000_NS6detail17trampoline_kernelINS0_14default_configENS1_38merge_sort_block_merge_config_selectorIsNS0_10empty_typeEEEZZNS1_27merge_sort_block_merge_implIS3_N6thrust23THRUST_200600_302600_NS6detail15normal_iteratorINS9_10device_ptrIsEEEEPS5_m9comp_mod3IsEEE10hipError_tT0_T1_T2_jT3_P12ihipStream_tbPNSt15iterator_traitsISJ_E10value_typeEPNSP_ISK_E10value_typeEPSL_NS1_7vsmem_tEENKUlT_SJ_SK_SL_E_clIPsSE_SF_SF_EESI_SY_SJ_SK_SL_EUlSY_E1_NS1_11comp_targetILNS1_3genE9ELNS1_11target_archE1100ELNS1_3gpuE3ELNS1_3repE0EEENS1_36merge_oddeven_config_static_selectorELNS0_4arch9wavefront6targetE0EEEvSK_,"axG",@progbits,_ZN7rocprim17ROCPRIM_400000_NS6detail17trampoline_kernelINS0_14default_configENS1_38merge_sort_block_merge_config_selectorIsNS0_10empty_typeEEEZZNS1_27merge_sort_block_merge_implIS3_N6thrust23THRUST_200600_302600_NS6detail15normal_iteratorINS9_10device_ptrIsEEEEPS5_m9comp_mod3IsEEE10hipError_tT0_T1_T2_jT3_P12ihipStream_tbPNSt15iterator_traitsISJ_E10value_typeEPNSP_ISK_E10value_typeEPSL_NS1_7vsmem_tEENKUlT_SJ_SK_SL_E_clIPsSE_SF_SF_EESI_SY_SJ_SK_SL_EUlSY_E1_NS1_11comp_targetILNS1_3genE9ELNS1_11target_archE1100ELNS1_3gpuE3ELNS1_3repE0EEENS1_36merge_oddeven_config_static_selectorELNS0_4arch9wavefront6targetE0EEEvSK_,comdat
.Lfunc_end1068:
	.size	_ZN7rocprim17ROCPRIM_400000_NS6detail17trampoline_kernelINS0_14default_configENS1_38merge_sort_block_merge_config_selectorIsNS0_10empty_typeEEEZZNS1_27merge_sort_block_merge_implIS3_N6thrust23THRUST_200600_302600_NS6detail15normal_iteratorINS9_10device_ptrIsEEEEPS5_m9comp_mod3IsEEE10hipError_tT0_T1_T2_jT3_P12ihipStream_tbPNSt15iterator_traitsISJ_E10value_typeEPNSP_ISK_E10value_typeEPSL_NS1_7vsmem_tEENKUlT_SJ_SK_SL_E_clIPsSE_SF_SF_EESI_SY_SJ_SK_SL_EUlSY_E1_NS1_11comp_targetILNS1_3genE9ELNS1_11target_archE1100ELNS1_3gpuE3ELNS1_3repE0EEENS1_36merge_oddeven_config_static_selectorELNS0_4arch9wavefront6targetE0EEEvSK_, .Lfunc_end1068-_ZN7rocprim17ROCPRIM_400000_NS6detail17trampoline_kernelINS0_14default_configENS1_38merge_sort_block_merge_config_selectorIsNS0_10empty_typeEEEZZNS1_27merge_sort_block_merge_implIS3_N6thrust23THRUST_200600_302600_NS6detail15normal_iteratorINS9_10device_ptrIsEEEEPS5_m9comp_mod3IsEEE10hipError_tT0_T1_T2_jT3_P12ihipStream_tbPNSt15iterator_traitsISJ_E10value_typeEPNSP_ISK_E10value_typeEPSL_NS1_7vsmem_tEENKUlT_SJ_SK_SL_E_clIPsSE_SF_SF_EESI_SY_SJ_SK_SL_EUlSY_E1_NS1_11comp_targetILNS1_3genE9ELNS1_11target_archE1100ELNS1_3gpuE3ELNS1_3repE0EEENS1_36merge_oddeven_config_static_selectorELNS0_4arch9wavefront6targetE0EEEvSK_
                                        ; -- End function
	.set _ZN7rocprim17ROCPRIM_400000_NS6detail17trampoline_kernelINS0_14default_configENS1_38merge_sort_block_merge_config_selectorIsNS0_10empty_typeEEEZZNS1_27merge_sort_block_merge_implIS3_N6thrust23THRUST_200600_302600_NS6detail15normal_iteratorINS9_10device_ptrIsEEEEPS5_m9comp_mod3IsEEE10hipError_tT0_T1_T2_jT3_P12ihipStream_tbPNSt15iterator_traitsISJ_E10value_typeEPNSP_ISK_E10value_typeEPSL_NS1_7vsmem_tEENKUlT_SJ_SK_SL_E_clIPsSE_SF_SF_EESI_SY_SJ_SK_SL_EUlSY_E1_NS1_11comp_targetILNS1_3genE9ELNS1_11target_archE1100ELNS1_3gpuE3ELNS1_3repE0EEENS1_36merge_oddeven_config_static_selectorELNS0_4arch9wavefront6targetE0EEEvSK_.num_vgpr, 0
	.set _ZN7rocprim17ROCPRIM_400000_NS6detail17trampoline_kernelINS0_14default_configENS1_38merge_sort_block_merge_config_selectorIsNS0_10empty_typeEEEZZNS1_27merge_sort_block_merge_implIS3_N6thrust23THRUST_200600_302600_NS6detail15normal_iteratorINS9_10device_ptrIsEEEEPS5_m9comp_mod3IsEEE10hipError_tT0_T1_T2_jT3_P12ihipStream_tbPNSt15iterator_traitsISJ_E10value_typeEPNSP_ISK_E10value_typeEPSL_NS1_7vsmem_tEENKUlT_SJ_SK_SL_E_clIPsSE_SF_SF_EESI_SY_SJ_SK_SL_EUlSY_E1_NS1_11comp_targetILNS1_3genE9ELNS1_11target_archE1100ELNS1_3gpuE3ELNS1_3repE0EEENS1_36merge_oddeven_config_static_selectorELNS0_4arch9wavefront6targetE0EEEvSK_.num_agpr, 0
	.set _ZN7rocprim17ROCPRIM_400000_NS6detail17trampoline_kernelINS0_14default_configENS1_38merge_sort_block_merge_config_selectorIsNS0_10empty_typeEEEZZNS1_27merge_sort_block_merge_implIS3_N6thrust23THRUST_200600_302600_NS6detail15normal_iteratorINS9_10device_ptrIsEEEEPS5_m9comp_mod3IsEEE10hipError_tT0_T1_T2_jT3_P12ihipStream_tbPNSt15iterator_traitsISJ_E10value_typeEPNSP_ISK_E10value_typeEPSL_NS1_7vsmem_tEENKUlT_SJ_SK_SL_E_clIPsSE_SF_SF_EESI_SY_SJ_SK_SL_EUlSY_E1_NS1_11comp_targetILNS1_3genE9ELNS1_11target_archE1100ELNS1_3gpuE3ELNS1_3repE0EEENS1_36merge_oddeven_config_static_selectorELNS0_4arch9wavefront6targetE0EEEvSK_.numbered_sgpr, 0
	.set _ZN7rocprim17ROCPRIM_400000_NS6detail17trampoline_kernelINS0_14default_configENS1_38merge_sort_block_merge_config_selectorIsNS0_10empty_typeEEEZZNS1_27merge_sort_block_merge_implIS3_N6thrust23THRUST_200600_302600_NS6detail15normal_iteratorINS9_10device_ptrIsEEEEPS5_m9comp_mod3IsEEE10hipError_tT0_T1_T2_jT3_P12ihipStream_tbPNSt15iterator_traitsISJ_E10value_typeEPNSP_ISK_E10value_typeEPSL_NS1_7vsmem_tEENKUlT_SJ_SK_SL_E_clIPsSE_SF_SF_EESI_SY_SJ_SK_SL_EUlSY_E1_NS1_11comp_targetILNS1_3genE9ELNS1_11target_archE1100ELNS1_3gpuE3ELNS1_3repE0EEENS1_36merge_oddeven_config_static_selectorELNS0_4arch9wavefront6targetE0EEEvSK_.num_named_barrier, 0
	.set _ZN7rocprim17ROCPRIM_400000_NS6detail17trampoline_kernelINS0_14default_configENS1_38merge_sort_block_merge_config_selectorIsNS0_10empty_typeEEEZZNS1_27merge_sort_block_merge_implIS3_N6thrust23THRUST_200600_302600_NS6detail15normal_iteratorINS9_10device_ptrIsEEEEPS5_m9comp_mod3IsEEE10hipError_tT0_T1_T2_jT3_P12ihipStream_tbPNSt15iterator_traitsISJ_E10value_typeEPNSP_ISK_E10value_typeEPSL_NS1_7vsmem_tEENKUlT_SJ_SK_SL_E_clIPsSE_SF_SF_EESI_SY_SJ_SK_SL_EUlSY_E1_NS1_11comp_targetILNS1_3genE9ELNS1_11target_archE1100ELNS1_3gpuE3ELNS1_3repE0EEENS1_36merge_oddeven_config_static_selectorELNS0_4arch9wavefront6targetE0EEEvSK_.private_seg_size, 0
	.set _ZN7rocprim17ROCPRIM_400000_NS6detail17trampoline_kernelINS0_14default_configENS1_38merge_sort_block_merge_config_selectorIsNS0_10empty_typeEEEZZNS1_27merge_sort_block_merge_implIS3_N6thrust23THRUST_200600_302600_NS6detail15normal_iteratorINS9_10device_ptrIsEEEEPS5_m9comp_mod3IsEEE10hipError_tT0_T1_T2_jT3_P12ihipStream_tbPNSt15iterator_traitsISJ_E10value_typeEPNSP_ISK_E10value_typeEPSL_NS1_7vsmem_tEENKUlT_SJ_SK_SL_E_clIPsSE_SF_SF_EESI_SY_SJ_SK_SL_EUlSY_E1_NS1_11comp_targetILNS1_3genE9ELNS1_11target_archE1100ELNS1_3gpuE3ELNS1_3repE0EEENS1_36merge_oddeven_config_static_selectorELNS0_4arch9wavefront6targetE0EEEvSK_.uses_vcc, 0
	.set _ZN7rocprim17ROCPRIM_400000_NS6detail17trampoline_kernelINS0_14default_configENS1_38merge_sort_block_merge_config_selectorIsNS0_10empty_typeEEEZZNS1_27merge_sort_block_merge_implIS3_N6thrust23THRUST_200600_302600_NS6detail15normal_iteratorINS9_10device_ptrIsEEEEPS5_m9comp_mod3IsEEE10hipError_tT0_T1_T2_jT3_P12ihipStream_tbPNSt15iterator_traitsISJ_E10value_typeEPNSP_ISK_E10value_typeEPSL_NS1_7vsmem_tEENKUlT_SJ_SK_SL_E_clIPsSE_SF_SF_EESI_SY_SJ_SK_SL_EUlSY_E1_NS1_11comp_targetILNS1_3genE9ELNS1_11target_archE1100ELNS1_3gpuE3ELNS1_3repE0EEENS1_36merge_oddeven_config_static_selectorELNS0_4arch9wavefront6targetE0EEEvSK_.uses_flat_scratch, 0
	.set _ZN7rocprim17ROCPRIM_400000_NS6detail17trampoline_kernelINS0_14default_configENS1_38merge_sort_block_merge_config_selectorIsNS0_10empty_typeEEEZZNS1_27merge_sort_block_merge_implIS3_N6thrust23THRUST_200600_302600_NS6detail15normal_iteratorINS9_10device_ptrIsEEEEPS5_m9comp_mod3IsEEE10hipError_tT0_T1_T2_jT3_P12ihipStream_tbPNSt15iterator_traitsISJ_E10value_typeEPNSP_ISK_E10value_typeEPSL_NS1_7vsmem_tEENKUlT_SJ_SK_SL_E_clIPsSE_SF_SF_EESI_SY_SJ_SK_SL_EUlSY_E1_NS1_11comp_targetILNS1_3genE9ELNS1_11target_archE1100ELNS1_3gpuE3ELNS1_3repE0EEENS1_36merge_oddeven_config_static_selectorELNS0_4arch9wavefront6targetE0EEEvSK_.has_dyn_sized_stack, 0
	.set _ZN7rocprim17ROCPRIM_400000_NS6detail17trampoline_kernelINS0_14default_configENS1_38merge_sort_block_merge_config_selectorIsNS0_10empty_typeEEEZZNS1_27merge_sort_block_merge_implIS3_N6thrust23THRUST_200600_302600_NS6detail15normal_iteratorINS9_10device_ptrIsEEEEPS5_m9comp_mod3IsEEE10hipError_tT0_T1_T2_jT3_P12ihipStream_tbPNSt15iterator_traitsISJ_E10value_typeEPNSP_ISK_E10value_typeEPSL_NS1_7vsmem_tEENKUlT_SJ_SK_SL_E_clIPsSE_SF_SF_EESI_SY_SJ_SK_SL_EUlSY_E1_NS1_11comp_targetILNS1_3genE9ELNS1_11target_archE1100ELNS1_3gpuE3ELNS1_3repE0EEENS1_36merge_oddeven_config_static_selectorELNS0_4arch9wavefront6targetE0EEEvSK_.has_recursion, 0
	.set _ZN7rocprim17ROCPRIM_400000_NS6detail17trampoline_kernelINS0_14default_configENS1_38merge_sort_block_merge_config_selectorIsNS0_10empty_typeEEEZZNS1_27merge_sort_block_merge_implIS3_N6thrust23THRUST_200600_302600_NS6detail15normal_iteratorINS9_10device_ptrIsEEEEPS5_m9comp_mod3IsEEE10hipError_tT0_T1_T2_jT3_P12ihipStream_tbPNSt15iterator_traitsISJ_E10value_typeEPNSP_ISK_E10value_typeEPSL_NS1_7vsmem_tEENKUlT_SJ_SK_SL_E_clIPsSE_SF_SF_EESI_SY_SJ_SK_SL_EUlSY_E1_NS1_11comp_targetILNS1_3genE9ELNS1_11target_archE1100ELNS1_3gpuE3ELNS1_3repE0EEENS1_36merge_oddeven_config_static_selectorELNS0_4arch9wavefront6targetE0EEEvSK_.has_indirect_call, 0
	.section	.AMDGPU.csdata,"",@progbits
; Kernel info:
; codeLenInByte = 0
; TotalNumSgprs: 0
; NumVgprs: 0
; ScratchSize: 0
; MemoryBound: 0
; FloatMode: 240
; IeeeMode: 1
; LDSByteSize: 0 bytes/workgroup (compile time only)
; SGPRBlocks: 0
; VGPRBlocks: 0
; NumSGPRsForWavesPerEU: 1
; NumVGPRsForWavesPerEU: 1
; Occupancy: 16
; WaveLimiterHint : 0
; COMPUTE_PGM_RSRC2:SCRATCH_EN: 0
; COMPUTE_PGM_RSRC2:USER_SGPR: 6
; COMPUTE_PGM_RSRC2:TRAP_HANDLER: 0
; COMPUTE_PGM_RSRC2:TGID_X_EN: 1
; COMPUTE_PGM_RSRC2:TGID_Y_EN: 0
; COMPUTE_PGM_RSRC2:TGID_Z_EN: 0
; COMPUTE_PGM_RSRC2:TIDIG_COMP_CNT: 0
	.section	.text._ZN7rocprim17ROCPRIM_400000_NS6detail17trampoline_kernelINS0_14default_configENS1_38merge_sort_block_merge_config_selectorIsNS0_10empty_typeEEEZZNS1_27merge_sort_block_merge_implIS3_N6thrust23THRUST_200600_302600_NS6detail15normal_iteratorINS9_10device_ptrIsEEEEPS5_m9comp_mod3IsEEE10hipError_tT0_T1_T2_jT3_P12ihipStream_tbPNSt15iterator_traitsISJ_E10value_typeEPNSP_ISK_E10value_typeEPSL_NS1_7vsmem_tEENKUlT_SJ_SK_SL_E_clIPsSE_SF_SF_EESI_SY_SJ_SK_SL_EUlSY_E1_NS1_11comp_targetILNS1_3genE8ELNS1_11target_archE1030ELNS1_3gpuE2ELNS1_3repE0EEENS1_36merge_oddeven_config_static_selectorELNS0_4arch9wavefront6targetE0EEEvSK_,"axG",@progbits,_ZN7rocprim17ROCPRIM_400000_NS6detail17trampoline_kernelINS0_14default_configENS1_38merge_sort_block_merge_config_selectorIsNS0_10empty_typeEEEZZNS1_27merge_sort_block_merge_implIS3_N6thrust23THRUST_200600_302600_NS6detail15normal_iteratorINS9_10device_ptrIsEEEEPS5_m9comp_mod3IsEEE10hipError_tT0_T1_T2_jT3_P12ihipStream_tbPNSt15iterator_traitsISJ_E10value_typeEPNSP_ISK_E10value_typeEPSL_NS1_7vsmem_tEENKUlT_SJ_SK_SL_E_clIPsSE_SF_SF_EESI_SY_SJ_SK_SL_EUlSY_E1_NS1_11comp_targetILNS1_3genE8ELNS1_11target_archE1030ELNS1_3gpuE2ELNS1_3repE0EEENS1_36merge_oddeven_config_static_selectorELNS0_4arch9wavefront6targetE0EEEvSK_,comdat
	.protected	_ZN7rocprim17ROCPRIM_400000_NS6detail17trampoline_kernelINS0_14default_configENS1_38merge_sort_block_merge_config_selectorIsNS0_10empty_typeEEEZZNS1_27merge_sort_block_merge_implIS3_N6thrust23THRUST_200600_302600_NS6detail15normal_iteratorINS9_10device_ptrIsEEEEPS5_m9comp_mod3IsEEE10hipError_tT0_T1_T2_jT3_P12ihipStream_tbPNSt15iterator_traitsISJ_E10value_typeEPNSP_ISK_E10value_typeEPSL_NS1_7vsmem_tEENKUlT_SJ_SK_SL_E_clIPsSE_SF_SF_EESI_SY_SJ_SK_SL_EUlSY_E1_NS1_11comp_targetILNS1_3genE8ELNS1_11target_archE1030ELNS1_3gpuE2ELNS1_3repE0EEENS1_36merge_oddeven_config_static_selectorELNS0_4arch9wavefront6targetE0EEEvSK_ ; -- Begin function _ZN7rocprim17ROCPRIM_400000_NS6detail17trampoline_kernelINS0_14default_configENS1_38merge_sort_block_merge_config_selectorIsNS0_10empty_typeEEEZZNS1_27merge_sort_block_merge_implIS3_N6thrust23THRUST_200600_302600_NS6detail15normal_iteratorINS9_10device_ptrIsEEEEPS5_m9comp_mod3IsEEE10hipError_tT0_T1_T2_jT3_P12ihipStream_tbPNSt15iterator_traitsISJ_E10value_typeEPNSP_ISK_E10value_typeEPSL_NS1_7vsmem_tEENKUlT_SJ_SK_SL_E_clIPsSE_SF_SF_EESI_SY_SJ_SK_SL_EUlSY_E1_NS1_11comp_targetILNS1_3genE8ELNS1_11target_archE1030ELNS1_3gpuE2ELNS1_3repE0EEENS1_36merge_oddeven_config_static_selectorELNS0_4arch9wavefront6targetE0EEEvSK_
	.globl	_ZN7rocprim17ROCPRIM_400000_NS6detail17trampoline_kernelINS0_14default_configENS1_38merge_sort_block_merge_config_selectorIsNS0_10empty_typeEEEZZNS1_27merge_sort_block_merge_implIS3_N6thrust23THRUST_200600_302600_NS6detail15normal_iteratorINS9_10device_ptrIsEEEEPS5_m9comp_mod3IsEEE10hipError_tT0_T1_T2_jT3_P12ihipStream_tbPNSt15iterator_traitsISJ_E10value_typeEPNSP_ISK_E10value_typeEPSL_NS1_7vsmem_tEENKUlT_SJ_SK_SL_E_clIPsSE_SF_SF_EESI_SY_SJ_SK_SL_EUlSY_E1_NS1_11comp_targetILNS1_3genE8ELNS1_11target_archE1030ELNS1_3gpuE2ELNS1_3repE0EEENS1_36merge_oddeven_config_static_selectorELNS0_4arch9wavefront6targetE0EEEvSK_
	.p2align	8
	.type	_ZN7rocprim17ROCPRIM_400000_NS6detail17trampoline_kernelINS0_14default_configENS1_38merge_sort_block_merge_config_selectorIsNS0_10empty_typeEEEZZNS1_27merge_sort_block_merge_implIS3_N6thrust23THRUST_200600_302600_NS6detail15normal_iteratorINS9_10device_ptrIsEEEEPS5_m9comp_mod3IsEEE10hipError_tT0_T1_T2_jT3_P12ihipStream_tbPNSt15iterator_traitsISJ_E10value_typeEPNSP_ISK_E10value_typeEPSL_NS1_7vsmem_tEENKUlT_SJ_SK_SL_E_clIPsSE_SF_SF_EESI_SY_SJ_SK_SL_EUlSY_E1_NS1_11comp_targetILNS1_3genE8ELNS1_11target_archE1030ELNS1_3gpuE2ELNS1_3repE0EEENS1_36merge_oddeven_config_static_selectorELNS0_4arch9wavefront6targetE0EEEvSK_,@function
_ZN7rocprim17ROCPRIM_400000_NS6detail17trampoline_kernelINS0_14default_configENS1_38merge_sort_block_merge_config_selectorIsNS0_10empty_typeEEEZZNS1_27merge_sort_block_merge_implIS3_N6thrust23THRUST_200600_302600_NS6detail15normal_iteratorINS9_10device_ptrIsEEEEPS5_m9comp_mod3IsEEE10hipError_tT0_T1_T2_jT3_P12ihipStream_tbPNSt15iterator_traitsISJ_E10value_typeEPNSP_ISK_E10value_typeEPSL_NS1_7vsmem_tEENKUlT_SJ_SK_SL_E_clIPsSE_SF_SF_EESI_SY_SJ_SK_SL_EUlSY_E1_NS1_11comp_targetILNS1_3genE8ELNS1_11target_archE1030ELNS1_3gpuE2ELNS1_3repE0EEENS1_36merge_oddeven_config_static_selectorELNS0_4arch9wavefront6targetE0EEEvSK_: ; @_ZN7rocprim17ROCPRIM_400000_NS6detail17trampoline_kernelINS0_14default_configENS1_38merge_sort_block_merge_config_selectorIsNS0_10empty_typeEEEZZNS1_27merge_sort_block_merge_implIS3_N6thrust23THRUST_200600_302600_NS6detail15normal_iteratorINS9_10device_ptrIsEEEEPS5_m9comp_mod3IsEEE10hipError_tT0_T1_T2_jT3_P12ihipStream_tbPNSt15iterator_traitsISJ_E10value_typeEPNSP_ISK_E10value_typeEPSL_NS1_7vsmem_tEENKUlT_SJ_SK_SL_E_clIPsSE_SF_SF_EESI_SY_SJ_SK_SL_EUlSY_E1_NS1_11comp_targetILNS1_3genE8ELNS1_11target_archE1030ELNS1_3gpuE2ELNS1_3repE0EEENS1_36merge_oddeven_config_static_selectorELNS0_4arch9wavefront6targetE0EEEvSK_
; %bb.0:
	s_load_dword s7, s[4:5], 0x20
	s_waitcnt lgkmcnt(0)
	s_lshr_b32 s0, s7, 8
	s_cmp_lg_u32 s6, s0
	s_cselect_b32 s2, -1, 0
	s_cmp_eq_u32 s6, s0
	s_cselect_b32 s14, -1, 0
	s_lshl_b32 s12, s6, 8
	s_sub_i32 s0, s7, s12
	v_cmp_gt_u32_e64 s0, s0, v0
	s_or_b32 s1, s2, s0
	s_and_saveexec_b32 s3, s1
	s_cbranch_execz .LBB1069_28
; %bb.1:
	s_clause 0x1
	s_load_dwordx4 s[8:11], s[4:5], 0x0
	s_load_dword s15, s[4:5], 0x28
	s_mov_b32 s13, 0
	v_lshlrev_b32_e32 v1, 1, v0
	s_lshl_b64 s[16:17], s[12:13], 1
	v_add_nc_u32_e32 v2, s12, v0
	s_waitcnt lgkmcnt(0)
	s_add_u32 s16, s8, s16
	s_addc_u32 s17, s9, s17
	s_lshr_b32 s1, s15, 8
	global_load_ushort v4, v1, s[16:17]
	s_sub_i32 s3, 0, s1
	s_and_b32 s3, s6, s3
	s_and_b32 s6, s3, s1
	s_cmp_lg_u32 s6, 0
	s_cselect_b32 s1, -1, 0
	s_lshl_b32 s16, s3, 8
	s_sub_i32 s3, 0, s15
	s_cmp_eq_u32 s6, 0
	s_cselect_b32 s6, s15, s3
	s_add_i32 s6, s6, s16
	s_cmp_lt_u32 s6, s7
	s_cbranch_scc1 .LBB1069_3
; %bb.2:
	v_cmp_gt_u32_e32 vcc_lo, s7, v2
	s_or_b32 s3, vcc_lo, s2
	s_and_b32 s13, s3, exec_lo
	s_cbranch_execz .LBB1069_4
	s_branch .LBB1069_26
.LBB1069_3:
.LBB1069_4:
	s_load_dwordx2 s[2:3], s[4:5], 0x30
	s_waitcnt vmcnt(0)
	v_bfe_i32 v0, v4, 0, 16
	s_min_u32 s4, s6, s7
	s_add_i32 s5, s16, s4
	s_add_i32 s12, s4, s15
	v_ashrrev_i32_e32 v1, 31, v0
	v_subrev_nc_u32_e32 v2, s5, v2
	s_min_u32 s5, s16, s4
	v_lshlrev_b64 v[0:1], 1, v[0:1]
	v_add_nc_u32_e32 v5, s5, v2
	s_min_u32 s5, s12, s7
	s_waitcnt lgkmcnt(0)
	v_add_co_u32 v0, vcc_lo, s2, v0
	v_add_co_ci_u32_e64 v1, null, s3, v1, vcc_lo
	s_and_b32 vcc_lo, exec_lo, s14
	s_cbranch_vccz .LBB1069_13
; %bb.5:
                                        ; implicit-def: $vgpr2
	s_and_saveexec_b32 s7, s0
	s_cbranch_execz .LBB1069_16
; %bb.6:
	v_mov_b32_e32 v6, s4
	s_cmp_ge_u32 s6, s5
	s_cbranch_scc1 .LBB1069_15
; %bb.7:
	v_mov_b32_e32 v7, s5
	v_mov_b32_e32 v6, s4
	s_mov_b32 s0, 0
	s_branch .LBB1069_9
.LBB1069_8:                             ;   in Loop: Header=BB1069_9 Depth=1
	v_lshrrev_b32_e32 v2, 1, v8
	v_add_nc_u32_e32 v3, 1, v2
	v_cndmask_b32_e64 v7, v2, v7, s12
	v_cndmask_b32_e64 v6, v6, v3, s12
	v_cmp_ge_u32_e32 vcc_lo, v6, v7
	s_or_b32 s0, vcc_lo, s0
	s_andn2_b32 exec_lo, exec_lo, s0
	s_cbranch_execz .LBB1069_14
.LBB1069_9:                             ; =>This Inner Loop Header: Depth=1
	v_add_nc_u32_e32 v8, v6, v7
	s_andn2_b32 vcc_lo, exec_lo, s1
	s_mov_b32 s14, -1
                                        ; implicit-def: $sgpr12
	v_and_b32_e32 v2, -2, v8
	global_load_ushort v2, v2, s[8:9]
	s_waitcnt vmcnt(0)
	v_bfe_i32 v2, v2, 0, 16
	v_ashrrev_i32_e32 v3, 31, v2
	s_cbranch_vccnz .LBB1069_11
; %bb.10:                               ;   in Loop: Header=BB1069_9 Depth=1
	v_lshlrev_b64 v[9:10], 1, v[2:3]
	s_mov_b32 s14, 0
	v_add_co_u32 v9, vcc_lo, s2, v9
	v_add_co_ci_u32_e64 v10, null, s3, v10, vcc_lo
	s_clause 0x1
	global_load_ushort v11, v[0:1], off
	global_load_ushort v9, v[9:10], off
	s_waitcnt vmcnt(0)
	v_cmp_ge_i16_e64 s12, v11, v9
.LBB1069_11:                            ;   in Loop: Header=BB1069_9 Depth=1
	s_andn2_b32 vcc_lo, exec_lo, s14
	s_cbranch_vccnz .LBB1069_8
; %bb.12:                               ;   in Loop: Header=BB1069_9 Depth=1
	v_lshlrev_b64 v[2:3], 1, v[2:3]
	s_andn2_b32 s12, s12, exec_lo
	v_add_co_u32 v2, vcc_lo, s2, v2
	v_add_co_ci_u32_e64 v3, null, s3, v3, vcc_lo
	s_clause 0x1
	global_load_ushort v2, v[2:3], off
	global_load_ushort v3, v[0:1], off
	s_waitcnt vmcnt(0)
	v_cmp_lt_i16_e32 vcc_lo, v2, v3
	s_and_b32 s14, vcc_lo, exec_lo
	s_or_b32 s12, s12, s14
	s_branch .LBB1069_8
.LBB1069_13:
                                        ; implicit-def: $vgpr2
	s_cbranch_execnz .LBB1069_17
	s_branch .LBB1069_26
.LBB1069_14:
	s_or_b32 exec_lo, exec_lo, s0
.LBB1069_15:
	v_add_nc_u32_e32 v2, v6, v5
	s_or_b32 s13, s13, exec_lo
.LBB1069_16:
	s_or_b32 exec_lo, exec_lo, s7
	s_branch .LBB1069_26
.LBB1069_17:
	v_mov_b32_e32 v6, s4
	s_cmp_ge_u32 s6, s5
	s_cbranch_scc1 .LBB1069_25
; %bb.18:
	v_mov_b32_e32 v7, s5
	v_mov_b32_e32 v6, s4
	s_mov_b32 s0, 0
	s_branch .LBB1069_20
.LBB1069_19:                            ;   in Loop: Header=BB1069_20 Depth=1
	v_lshrrev_b32_e32 v2, 1, v8
	v_add_nc_u32_e32 v3, 1, v2
	v_cndmask_b32_e64 v7, v2, v7, s4
	v_cndmask_b32_e64 v6, v6, v3, s4
	v_cmp_ge_u32_e32 vcc_lo, v6, v7
	s_or_b32 s0, vcc_lo, s0
	s_andn2_b32 exec_lo, exec_lo, s0
	s_cbranch_execz .LBB1069_24
.LBB1069_20:                            ; =>This Inner Loop Header: Depth=1
	v_add_nc_u32_e32 v8, v6, v7
	s_andn2_b32 vcc_lo, exec_lo, s1
	s_mov_b32 s5, -1
                                        ; implicit-def: $sgpr4
	v_and_b32_e32 v2, -2, v8
	global_load_ushort v2, v2, s[8:9]
	s_waitcnt vmcnt(0)
	v_bfe_i32 v2, v2, 0, 16
	v_ashrrev_i32_e32 v3, 31, v2
	s_cbranch_vccnz .LBB1069_22
; %bb.21:                               ;   in Loop: Header=BB1069_20 Depth=1
	v_lshlrev_b64 v[9:10], 1, v[2:3]
	s_mov_b32 s5, 0
	v_add_co_u32 v9, vcc_lo, s2, v9
	v_add_co_ci_u32_e64 v10, null, s3, v10, vcc_lo
	s_clause 0x1
	global_load_ushort v11, v[0:1], off
	global_load_ushort v9, v[9:10], off
	s_waitcnt vmcnt(0)
	v_cmp_ge_i16_e64 s4, v11, v9
.LBB1069_22:                            ;   in Loop: Header=BB1069_20 Depth=1
	s_andn2_b32 vcc_lo, exec_lo, s5
	s_cbranch_vccnz .LBB1069_19
; %bb.23:                               ;   in Loop: Header=BB1069_20 Depth=1
	v_lshlrev_b64 v[2:3], 1, v[2:3]
	s_andn2_b32 s4, s4, exec_lo
	v_add_co_u32 v2, vcc_lo, s2, v2
	v_add_co_ci_u32_e64 v3, null, s3, v3, vcc_lo
	s_clause 0x1
	global_load_ushort v2, v[2:3], off
	global_load_ushort v3, v[0:1], off
	s_waitcnt vmcnt(0)
	v_cmp_lt_i16_e32 vcc_lo, v2, v3
	s_and_b32 s5, vcc_lo, exec_lo
	s_or_b32 s4, s4, s5
	s_branch .LBB1069_19
.LBB1069_24:
	s_or_b32 exec_lo, exec_lo, s0
.LBB1069_25:
	v_add_nc_u32_e32 v2, v6, v5
	s_mov_b32 s13, -1
.LBB1069_26:
	s_and_b32 exec_lo, exec_lo, s13
	s_cbranch_execz .LBB1069_28
; %bb.27:
	v_mov_b32_e32 v3, 0
	v_lshlrev_b64 v[0:1], 1, v[2:3]
	v_add_co_u32 v0, vcc_lo, s10, v0
	v_add_co_ci_u32_e64 v1, null, s11, v1, vcc_lo
	s_waitcnt vmcnt(0)
	global_store_short v[0:1], v4, off
.LBB1069_28:
	s_endpgm
	.section	.rodata,"a",@progbits
	.p2align	6, 0x0
	.amdhsa_kernel _ZN7rocprim17ROCPRIM_400000_NS6detail17trampoline_kernelINS0_14default_configENS1_38merge_sort_block_merge_config_selectorIsNS0_10empty_typeEEEZZNS1_27merge_sort_block_merge_implIS3_N6thrust23THRUST_200600_302600_NS6detail15normal_iteratorINS9_10device_ptrIsEEEEPS5_m9comp_mod3IsEEE10hipError_tT0_T1_T2_jT3_P12ihipStream_tbPNSt15iterator_traitsISJ_E10value_typeEPNSP_ISK_E10value_typeEPSL_NS1_7vsmem_tEENKUlT_SJ_SK_SL_E_clIPsSE_SF_SF_EESI_SY_SJ_SK_SL_EUlSY_E1_NS1_11comp_targetILNS1_3genE8ELNS1_11target_archE1030ELNS1_3gpuE2ELNS1_3repE0EEENS1_36merge_oddeven_config_static_selectorELNS0_4arch9wavefront6targetE0EEEvSK_
		.amdhsa_group_segment_fixed_size 0
		.amdhsa_private_segment_fixed_size 0
		.amdhsa_kernarg_size 56
		.amdhsa_user_sgpr_count 6
		.amdhsa_user_sgpr_private_segment_buffer 1
		.amdhsa_user_sgpr_dispatch_ptr 0
		.amdhsa_user_sgpr_queue_ptr 0
		.amdhsa_user_sgpr_kernarg_segment_ptr 1
		.amdhsa_user_sgpr_dispatch_id 0
		.amdhsa_user_sgpr_flat_scratch_init 0
		.amdhsa_user_sgpr_private_segment_size 0
		.amdhsa_wavefront_size32 1
		.amdhsa_uses_dynamic_stack 0
		.amdhsa_system_sgpr_private_segment_wavefront_offset 0
		.amdhsa_system_sgpr_workgroup_id_x 1
		.amdhsa_system_sgpr_workgroup_id_y 0
		.amdhsa_system_sgpr_workgroup_id_z 0
		.amdhsa_system_sgpr_workgroup_info 0
		.amdhsa_system_vgpr_workitem_id 0
		.amdhsa_next_free_vgpr 12
		.amdhsa_next_free_sgpr 18
		.amdhsa_reserve_vcc 1
		.amdhsa_reserve_flat_scratch 0
		.amdhsa_float_round_mode_32 0
		.amdhsa_float_round_mode_16_64 0
		.amdhsa_float_denorm_mode_32 3
		.amdhsa_float_denorm_mode_16_64 3
		.amdhsa_dx10_clamp 1
		.amdhsa_ieee_mode 1
		.amdhsa_fp16_overflow 0
		.amdhsa_workgroup_processor_mode 1
		.amdhsa_memory_ordered 1
		.amdhsa_forward_progress 1
		.amdhsa_shared_vgpr_count 0
		.amdhsa_exception_fp_ieee_invalid_op 0
		.amdhsa_exception_fp_denorm_src 0
		.amdhsa_exception_fp_ieee_div_zero 0
		.amdhsa_exception_fp_ieee_overflow 0
		.amdhsa_exception_fp_ieee_underflow 0
		.amdhsa_exception_fp_ieee_inexact 0
		.amdhsa_exception_int_div_zero 0
	.end_amdhsa_kernel
	.section	.text._ZN7rocprim17ROCPRIM_400000_NS6detail17trampoline_kernelINS0_14default_configENS1_38merge_sort_block_merge_config_selectorIsNS0_10empty_typeEEEZZNS1_27merge_sort_block_merge_implIS3_N6thrust23THRUST_200600_302600_NS6detail15normal_iteratorINS9_10device_ptrIsEEEEPS5_m9comp_mod3IsEEE10hipError_tT0_T1_T2_jT3_P12ihipStream_tbPNSt15iterator_traitsISJ_E10value_typeEPNSP_ISK_E10value_typeEPSL_NS1_7vsmem_tEENKUlT_SJ_SK_SL_E_clIPsSE_SF_SF_EESI_SY_SJ_SK_SL_EUlSY_E1_NS1_11comp_targetILNS1_3genE8ELNS1_11target_archE1030ELNS1_3gpuE2ELNS1_3repE0EEENS1_36merge_oddeven_config_static_selectorELNS0_4arch9wavefront6targetE0EEEvSK_,"axG",@progbits,_ZN7rocprim17ROCPRIM_400000_NS6detail17trampoline_kernelINS0_14default_configENS1_38merge_sort_block_merge_config_selectorIsNS0_10empty_typeEEEZZNS1_27merge_sort_block_merge_implIS3_N6thrust23THRUST_200600_302600_NS6detail15normal_iteratorINS9_10device_ptrIsEEEEPS5_m9comp_mod3IsEEE10hipError_tT0_T1_T2_jT3_P12ihipStream_tbPNSt15iterator_traitsISJ_E10value_typeEPNSP_ISK_E10value_typeEPSL_NS1_7vsmem_tEENKUlT_SJ_SK_SL_E_clIPsSE_SF_SF_EESI_SY_SJ_SK_SL_EUlSY_E1_NS1_11comp_targetILNS1_3genE8ELNS1_11target_archE1030ELNS1_3gpuE2ELNS1_3repE0EEENS1_36merge_oddeven_config_static_selectorELNS0_4arch9wavefront6targetE0EEEvSK_,comdat
.Lfunc_end1069:
	.size	_ZN7rocprim17ROCPRIM_400000_NS6detail17trampoline_kernelINS0_14default_configENS1_38merge_sort_block_merge_config_selectorIsNS0_10empty_typeEEEZZNS1_27merge_sort_block_merge_implIS3_N6thrust23THRUST_200600_302600_NS6detail15normal_iteratorINS9_10device_ptrIsEEEEPS5_m9comp_mod3IsEEE10hipError_tT0_T1_T2_jT3_P12ihipStream_tbPNSt15iterator_traitsISJ_E10value_typeEPNSP_ISK_E10value_typeEPSL_NS1_7vsmem_tEENKUlT_SJ_SK_SL_E_clIPsSE_SF_SF_EESI_SY_SJ_SK_SL_EUlSY_E1_NS1_11comp_targetILNS1_3genE8ELNS1_11target_archE1030ELNS1_3gpuE2ELNS1_3repE0EEENS1_36merge_oddeven_config_static_selectorELNS0_4arch9wavefront6targetE0EEEvSK_, .Lfunc_end1069-_ZN7rocprim17ROCPRIM_400000_NS6detail17trampoline_kernelINS0_14default_configENS1_38merge_sort_block_merge_config_selectorIsNS0_10empty_typeEEEZZNS1_27merge_sort_block_merge_implIS3_N6thrust23THRUST_200600_302600_NS6detail15normal_iteratorINS9_10device_ptrIsEEEEPS5_m9comp_mod3IsEEE10hipError_tT0_T1_T2_jT3_P12ihipStream_tbPNSt15iterator_traitsISJ_E10value_typeEPNSP_ISK_E10value_typeEPSL_NS1_7vsmem_tEENKUlT_SJ_SK_SL_E_clIPsSE_SF_SF_EESI_SY_SJ_SK_SL_EUlSY_E1_NS1_11comp_targetILNS1_3genE8ELNS1_11target_archE1030ELNS1_3gpuE2ELNS1_3repE0EEENS1_36merge_oddeven_config_static_selectorELNS0_4arch9wavefront6targetE0EEEvSK_
                                        ; -- End function
	.set _ZN7rocprim17ROCPRIM_400000_NS6detail17trampoline_kernelINS0_14default_configENS1_38merge_sort_block_merge_config_selectorIsNS0_10empty_typeEEEZZNS1_27merge_sort_block_merge_implIS3_N6thrust23THRUST_200600_302600_NS6detail15normal_iteratorINS9_10device_ptrIsEEEEPS5_m9comp_mod3IsEEE10hipError_tT0_T1_T2_jT3_P12ihipStream_tbPNSt15iterator_traitsISJ_E10value_typeEPNSP_ISK_E10value_typeEPSL_NS1_7vsmem_tEENKUlT_SJ_SK_SL_E_clIPsSE_SF_SF_EESI_SY_SJ_SK_SL_EUlSY_E1_NS1_11comp_targetILNS1_3genE8ELNS1_11target_archE1030ELNS1_3gpuE2ELNS1_3repE0EEENS1_36merge_oddeven_config_static_selectorELNS0_4arch9wavefront6targetE0EEEvSK_.num_vgpr, 12
	.set _ZN7rocprim17ROCPRIM_400000_NS6detail17trampoline_kernelINS0_14default_configENS1_38merge_sort_block_merge_config_selectorIsNS0_10empty_typeEEEZZNS1_27merge_sort_block_merge_implIS3_N6thrust23THRUST_200600_302600_NS6detail15normal_iteratorINS9_10device_ptrIsEEEEPS5_m9comp_mod3IsEEE10hipError_tT0_T1_T2_jT3_P12ihipStream_tbPNSt15iterator_traitsISJ_E10value_typeEPNSP_ISK_E10value_typeEPSL_NS1_7vsmem_tEENKUlT_SJ_SK_SL_E_clIPsSE_SF_SF_EESI_SY_SJ_SK_SL_EUlSY_E1_NS1_11comp_targetILNS1_3genE8ELNS1_11target_archE1030ELNS1_3gpuE2ELNS1_3repE0EEENS1_36merge_oddeven_config_static_selectorELNS0_4arch9wavefront6targetE0EEEvSK_.num_agpr, 0
	.set _ZN7rocprim17ROCPRIM_400000_NS6detail17trampoline_kernelINS0_14default_configENS1_38merge_sort_block_merge_config_selectorIsNS0_10empty_typeEEEZZNS1_27merge_sort_block_merge_implIS3_N6thrust23THRUST_200600_302600_NS6detail15normal_iteratorINS9_10device_ptrIsEEEEPS5_m9comp_mod3IsEEE10hipError_tT0_T1_T2_jT3_P12ihipStream_tbPNSt15iterator_traitsISJ_E10value_typeEPNSP_ISK_E10value_typeEPSL_NS1_7vsmem_tEENKUlT_SJ_SK_SL_E_clIPsSE_SF_SF_EESI_SY_SJ_SK_SL_EUlSY_E1_NS1_11comp_targetILNS1_3genE8ELNS1_11target_archE1030ELNS1_3gpuE2ELNS1_3repE0EEENS1_36merge_oddeven_config_static_selectorELNS0_4arch9wavefront6targetE0EEEvSK_.numbered_sgpr, 18
	.set _ZN7rocprim17ROCPRIM_400000_NS6detail17trampoline_kernelINS0_14default_configENS1_38merge_sort_block_merge_config_selectorIsNS0_10empty_typeEEEZZNS1_27merge_sort_block_merge_implIS3_N6thrust23THRUST_200600_302600_NS6detail15normal_iteratorINS9_10device_ptrIsEEEEPS5_m9comp_mod3IsEEE10hipError_tT0_T1_T2_jT3_P12ihipStream_tbPNSt15iterator_traitsISJ_E10value_typeEPNSP_ISK_E10value_typeEPSL_NS1_7vsmem_tEENKUlT_SJ_SK_SL_E_clIPsSE_SF_SF_EESI_SY_SJ_SK_SL_EUlSY_E1_NS1_11comp_targetILNS1_3genE8ELNS1_11target_archE1030ELNS1_3gpuE2ELNS1_3repE0EEENS1_36merge_oddeven_config_static_selectorELNS0_4arch9wavefront6targetE0EEEvSK_.num_named_barrier, 0
	.set _ZN7rocprim17ROCPRIM_400000_NS6detail17trampoline_kernelINS0_14default_configENS1_38merge_sort_block_merge_config_selectorIsNS0_10empty_typeEEEZZNS1_27merge_sort_block_merge_implIS3_N6thrust23THRUST_200600_302600_NS6detail15normal_iteratorINS9_10device_ptrIsEEEEPS5_m9comp_mod3IsEEE10hipError_tT0_T1_T2_jT3_P12ihipStream_tbPNSt15iterator_traitsISJ_E10value_typeEPNSP_ISK_E10value_typeEPSL_NS1_7vsmem_tEENKUlT_SJ_SK_SL_E_clIPsSE_SF_SF_EESI_SY_SJ_SK_SL_EUlSY_E1_NS1_11comp_targetILNS1_3genE8ELNS1_11target_archE1030ELNS1_3gpuE2ELNS1_3repE0EEENS1_36merge_oddeven_config_static_selectorELNS0_4arch9wavefront6targetE0EEEvSK_.private_seg_size, 0
	.set _ZN7rocprim17ROCPRIM_400000_NS6detail17trampoline_kernelINS0_14default_configENS1_38merge_sort_block_merge_config_selectorIsNS0_10empty_typeEEEZZNS1_27merge_sort_block_merge_implIS3_N6thrust23THRUST_200600_302600_NS6detail15normal_iteratorINS9_10device_ptrIsEEEEPS5_m9comp_mod3IsEEE10hipError_tT0_T1_T2_jT3_P12ihipStream_tbPNSt15iterator_traitsISJ_E10value_typeEPNSP_ISK_E10value_typeEPSL_NS1_7vsmem_tEENKUlT_SJ_SK_SL_E_clIPsSE_SF_SF_EESI_SY_SJ_SK_SL_EUlSY_E1_NS1_11comp_targetILNS1_3genE8ELNS1_11target_archE1030ELNS1_3gpuE2ELNS1_3repE0EEENS1_36merge_oddeven_config_static_selectorELNS0_4arch9wavefront6targetE0EEEvSK_.uses_vcc, 1
	.set _ZN7rocprim17ROCPRIM_400000_NS6detail17trampoline_kernelINS0_14default_configENS1_38merge_sort_block_merge_config_selectorIsNS0_10empty_typeEEEZZNS1_27merge_sort_block_merge_implIS3_N6thrust23THRUST_200600_302600_NS6detail15normal_iteratorINS9_10device_ptrIsEEEEPS5_m9comp_mod3IsEEE10hipError_tT0_T1_T2_jT3_P12ihipStream_tbPNSt15iterator_traitsISJ_E10value_typeEPNSP_ISK_E10value_typeEPSL_NS1_7vsmem_tEENKUlT_SJ_SK_SL_E_clIPsSE_SF_SF_EESI_SY_SJ_SK_SL_EUlSY_E1_NS1_11comp_targetILNS1_3genE8ELNS1_11target_archE1030ELNS1_3gpuE2ELNS1_3repE0EEENS1_36merge_oddeven_config_static_selectorELNS0_4arch9wavefront6targetE0EEEvSK_.uses_flat_scratch, 0
	.set _ZN7rocprim17ROCPRIM_400000_NS6detail17trampoline_kernelINS0_14default_configENS1_38merge_sort_block_merge_config_selectorIsNS0_10empty_typeEEEZZNS1_27merge_sort_block_merge_implIS3_N6thrust23THRUST_200600_302600_NS6detail15normal_iteratorINS9_10device_ptrIsEEEEPS5_m9comp_mod3IsEEE10hipError_tT0_T1_T2_jT3_P12ihipStream_tbPNSt15iterator_traitsISJ_E10value_typeEPNSP_ISK_E10value_typeEPSL_NS1_7vsmem_tEENKUlT_SJ_SK_SL_E_clIPsSE_SF_SF_EESI_SY_SJ_SK_SL_EUlSY_E1_NS1_11comp_targetILNS1_3genE8ELNS1_11target_archE1030ELNS1_3gpuE2ELNS1_3repE0EEENS1_36merge_oddeven_config_static_selectorELNS0_4arch9wavefront6targetE0EEEvSK_.has_dyn_sized_stack, 0
	.set _ZN7rocprim17ROCPRIM_400000_NS6detail17trampoline_kernelINS0_14default_configENS1_38merge_sort_block_merge_config_selectorIsNS0_10empty_typeEEEZZNS1_27merge_sort_block_merge_implIS3_N6thrust23THRUST_200600_302600_NS6detail15normal_iteratorINS9_10device_ptrIsEEEEPS5_m9comp_mod3IsEEE10hipError_tT0_T1_T2_jT3_P12ihipStream_tbPNSt15iterator_traitsISJ_E10value_typeEPNSP_ISK_E10value_typeEPSL_NS1_7vsmem_tEENKUlT_SJ_SK_SL_E_clIPsSE_SF_SF_EESI_SY_SJ_SK_SL_EUlSY_E1_NS1_11comp_targetILNS1_3genE8ELNS1_11target_archE1030ELNS1_3gpuE2ELNS1_3repE0EEENS1_36merge_oddeven_config_static_selectorELNS0_4arch9wavefront6targetE0EEEvSK_.has_recursion, 0
	.set _ZN7rocprim17ROCPRIM_400000_NS6detail17trampoline_kernelINS0_14default_configENS1_38merge_sort_block_merge_config_selectorIsNS0_10empty_typeEEEZZNS1_27merge_sort_block_merge_implIS3_N6thrust23THRUST_200600_302600_NS6detail15normal_iteratorINS9_10device_ptrIsEEEEPS5_m9comp_mod3IsEEE10hipError_tT0_T1_T2_jT3_P12ihipStream_tbPNSt15iterator_traitsISJ_E10value_typeEPNSP_ISK_E10value_typeEPSL_NS1_7vsmem_tEENKUlT_SJ_SK_SL_E_clIPsSE_SF_SF_EESI_SY_SJ_SK_SL_EUlSY_E1_NS1_11comp_targetILNS1_3genE8ELNS1_11target_archE1030ELNS1_3gpuE2ELNS1_3repE0EEENS1_36merge_oddeven_config_static_selectorELNS0_4arch9wavefront6targetE0EEEvSK_.has_indirect_call, 0
	.section	.AMDGPU.csdata,"",@progbits
; Kernel info:
; codeLenInByte = 872
; TotalNumSgprs: 20
; NumVgprs: 12
; ScratchSize: 0
; MemoryBound: 0
; FloatMode: 240
; IeeeMode: 1
; LDSByteSize: 0 bytes/workgroup (compile time only)
; SGPRBlocks: 0
; VGPRBlocks: 1
; NumSGPRsForWavesPerEU: 20
; NumVGPRsForWavesPerEU: 12
; Occupancy: 16
; WaveLimiterHint : 1
; COMPUTE_PGM_RSRC2:SCRATCH_EN: 0
; COMPUTE_PGM_RSRC2:USER_SGPR: 6
; COMPUTE_PGM_RSRC2:TRAP_HANDLER: 0
; COMPUTE_PGM_RSRC2:TGID_X_EN: 1
; COMPUTE_PGM_RSRC2:TGID_Y_EN: 0
; COMPUTE_PGM_RSRC2:TGID_Z_EN: 0
; COMPUTE_PGM_RSRC2:TIDIG_COMP_CNT: 0
	.section	.text._ZN7rocprim17ROCPRIM_400000_NS6detail17trampoline_kernelINS0_14default_configENS1_38merge_sort_block_merge_config_selectorIsNS0_10empty_typeEEEZZNS1_27merge_sort_block_merge_implIS3_N6thrust23THRUST_200600_302600_NS6detail15normal_iteratorINS9_10device_ptrIsEEEEPS5_m9comp_mod3IsEEE10hipError_tT0_T1_T2_jT3_P12ihipStream_tbPNSt15iterator_traitsISJ_E10value_typeEPNSP_ISK_E10value_typeEPSL_NS1_7vsmem_tEENKUlT_SJ_SK_SL_E_clISE_PsSF_SF_EESI_SY_SJ_SK_SL_EUlSY_E_NS1_11comp_targetILNS1_3genE0ELNS1_11target_archE4294967295ELNS1_3gpuE0ELNS1_3repE0EEENS1_48merge_mergepath_partition_config_static_selectorELNS0_4arch9wavefront6targetE0EEEvSK_,"axG",@progbits,_ZN7rocprim17ROCPRIM_400000_NS6detail17trampoline_kernelINS0_14default_configENS1_38merge_sort_block_merge_config_selectorIsNS0_10empty_typeEEEZZNS1_27merge_sort_block_merge_implIS3_N6thrust23THRUST_200600_302600_NS6detail15normal_iteratorINS9_10device_ptrIsEEEEPS5_m9comp_mod3IsEEE10hipError_tT0_T1_T2_jT3_P12ihipStream_tbPNSt15iterator_traitsISJ_E10value_typeEPNSP_ISK_E10value_typeEPSL_NS1_7vsmem_tEENKUlT_SJ_SK_SL_E_clISE_PsSF_SF_EESI_SY_SJ_SK_SL_EUlSY_E_NS1_11comp_targetILNS1_3genE0ELNS1_11target_archE4294967295ELNS1_3gpuE0ELNS1_3repE0EEENS1_48merge_mergepath_partition_config_static_selectorELNS0_4arch9wavefront6targetE0EEEvSK_,comdat
	.protected	_ZN7rocprim17ROCPRIM_400000_NS6detail17trampoline_kernelINS0_14default_configENS1_38merge_sort_block_merge_config_selectorIsNS0_10empty_typeEEEZZNS1_27merge_sort_block_merge_implIS3_N6thrust23THRUST_200600_302600_NS6detail15normal_iteratorINS9_10device_ptrIsEEEEPS5_m9comp_mod3IsEEE10hipError_tT0_T1_T2_jT3_P12ihipStream_tbPNSt15iterator_traitsISJ_E10value_typeEPNSP_ISK_E10value_typeEPSL_NS1_7vsmem_tEENKUlT_SJ_SK_SL_E_clISE_PsSF_SF_EESI_SY_SJ_SK_SL_EUlSY_E_NS1_11comp_targetILNS1_3genE0ELNS1_11target_archE4294967295ELNS1_3gpuE0ELNS1_3repE0EEENS1_48merge_mergepath_partition_config_static_selectorELNS0_4arch9wavefront6targetE0EEEvSK_ ; -- Begin function _ZN7rocprim17ROCPRIM_400000_NS6detail17trampoline_kernelINS0_14default_configENS1_38merge_sort_block_merge_config_selectorIsNS0_10empty_typeEEEZZNS1_27merge_sort_block_merge_implIS3_N6thrust23THRUST_200600_302600_NS6detail15normal_iteratorINS9_10device_ptrIsEEEEPS5_m9comp_mod3IsEEE10hipError_tT0_T1_T2_jT3_P12ihipStream_tbPNSt15iterator_traitsISJ_E10value_typeEPNSP_ISK_E10value_typeEPSL_NS1_7vsmem_tEENKUlT_SJ_SK_SL_E_clISE_PsSF_SF_EESI_SY_SJ_SK_SL_EUlSY_E_NS1_11comp_targetILNS1_3genE0ELNS1_11target_archE4294967295ELNS1_3gpuE0ELNS1_3repE0EEENS1_48merge_mergepath_partition_config_static_selectorELNS0_4arch9wavefront6targetE0EEEvSK_
	.globl	_ZN7rocprim17ROCPRIM_400000_NS6detail17trampoline_kernelINS0_14default_configENS1_38merge_sort_block_merge_config_selectorIsNS0_10empty_typeEEEZZNS1_27merge_sort_block_merge_implIS3_N6thrust23THRUST_200600_302600_NS6detail15normal_iteratorINS9_10device_ptrIsEEEEPS5_m9comp_mod3IsEEE10hipError_tT0_T1_T2_jT3_P12ihipStream_tbPNSt15iterator_traitsISJ_E10value_typeEPNSP_ISK_E10value_typeEPSL_NS1_7vsmem_tEENKUlT_SJ_SK_SL_E_clISE_PsSF_SF_EESI_SY_SJ_SK_SL_EUlSY_E_NS1_11comp_targetILNS1_3genE0ELNS1_11target_archE4294967295ELNS1_3gpuE0ELNS1_3repE0EEENS1_48merge_mergepath_partition_config_static_selectorELNS0_4arch9wavefront6targetE0EEEvSK_
	.p2align	8
	.type	_ZN7rocprim17ROCPRIM_400000_NS6detail17trampoline_kernelINS0_14default_configENS1_38merge_sort_block_merge_config_selectorIsNS0_10empty_typeEEEZZNS1_27merge_sort_block_merge_implIS3_N6thrust23THRUST_200600_302600_NS6detail15normal_iteratorINS9_10device_ptrIsEEEEPS5_m9comp_mod3IsEEE10hipError_tT0_T1_T2_jT3_P12ihipStream_tbPNSt15iterator_traitsISJ_E10value_typeEPNSP_ISK_E10value_typeEPSL_NS1_7vsmem_tEENKUlT_SJ_SK_SL_E_clISE_PsSF_SF_EESI_SY_SJ_SK_SL_EUlSY_E_NS1_11comp_targetILNS1_3genE0ELNS1_11target_archE4294967295ELNS1_3gpuE0ELNS1_3repE0EEENS1_48merge_mergepath_partition_config_static_selectorELNS0_4arch9wavefront6targetE0EEEvSK_,@function
_ZN7rocprim17ROCPRIM_400000_NS6detail17trampoline_kernelINS0_14default_configENS1_38merge_sort_block_merge_config_selectorIsNS0_10empty_typeEEEZZNS1_27merge_sort_block_merge_implIS3_N6thrust23THRUST_200600_302600_NS6detail15normal_iteratorINS9_10device_ptrIsEEEEPS5_m9comp_mod3IsEEE10hipError_tT0_T1_T2_jT3_P12ihipStream_tbPNSt15iterator_traitsISJ_E10value_typeEPNSP_ISK_E10value_typeEPSL_NS1_7vsmem_tEENKUlT_SJ_SK_SL_E_clISE_PsSF_SF_EESI_SY_SJ_SK_SL_EUlSY_E_NS1_11comp_targetILNS1_3genE0ELNS1_11target_archE4294967295ELNS1_3gpuE0ELNS1_3repE0EEENS1_48merge_mergepath_partition_config_static_selectorELNS0_4arch9wavefront6targetE0EEEvSK_: ; @_ZN7rocprim17ROCPRIM_400000_NS6detail17trampoline_kernelINS0_14default_configENS1_38merge_sort_block_merge_config_selectorIsNS0_10empty_typeEEEZZNS1_27merge_sort_block_merge_implIS3_N6thrust23THRUST_200600_302600_NS6detail15normal_iteratorINS9_10device_ptrIsEEEEPS5_m9comp_mod3IsEEE10hipError_tT0_T1_T2_jT3_P12ihipStream_tbPNSt15iterator_traitsISJ_E10value_typeEPNSP_ISK_E10value_typeEPSL_NS1_7vsmem_tEENKUlT_SJ_SK_SL_E_clISE_PsSF_SF_EESI_SY_SJ_SK_SL_EUlSY_E_NS1_11comp_targetILNS1_3genE0ELNS1_11target_archE4294967295ELNS1_3gpuE0ELNS1_3repE0EEENS1_48merge_mergepath_partition_config_static_selectorELNS0_4arch9wavefront6targetE0EEEvSK_
; %bb.0:
	.section	.rodata,"a",@progbits
	.p2align	6, 0x0
	.amdhsa_kernel _ZN7rocprim17ROCPRIM_400000_NS6detail17trampoline_kernelINS0_14default_configENS1_38merge_sort_block_merge_config_selectorIsNS0_10empty_typeEEEZZNS1_27merge_sort_block_merge_implIS3_N6thrust23THRUST_200600_302600_NS6detail15normal_iteratorINS9_10device_ptrIsEEEEPS5_m9comp_mod3IsEEE10hipError_tT0_T1_T2_jT3_P12ihipStream_tbPNSt15iterator_traitsISJ_E10value_typeEPNSP_ISK_E10value_typeEPSL_NS1_7vsmem_tEENKUlT_SJ_SK_SL_E_clISE_PsSF_SF_EESI_SY_SJ_SK_SL_EUlSY_E_NS1_11comp_targetILNS1_3genE0ELNS1_11target_archE4294967295ELNS1_3gpuE0ELNS1_3repE0EEENS1_48merge_mergepath_partition_config_static_selectorELNS0_4arch9wavefront6targetE0EEEvSK_
		.amdhsa_group_segment_fixed_size 0
		.amdhsa_private_segment_fixed_size 0
		.amdhsa_kernarg_size 48
		.amdhsa_user_sgpr_count 6
		.amdhsa_user_sgpr_private_segment_buffer 1
		.amdhsa_user_sgpr_dispatch_ptr 0
		.amdhsa_user_sgpr_queue_ptr 0
		.amdhsa_user_sgpr_kernarg_segment_ptr 1
		.amdhsa_user_sgpr_dispatch_id 0
		.amdhsa_user_sgpr_flat_scratch_init 0
		.amdhsa_user_sgpr_private_segment_size 0
		.amdhsa_wavefront_size32 1
		.amdhsa_uses_dynamic_stack 0
		.amdhsa_system_sgpr_private_segment_wavefront_offset 0
		.amdhsa_system_sgpr_workgroup_id_x 1
		.amdhsa_system_sgpr_workgroup_id_y 0
		.amdhsa_system_sgpr_workgroup_id_z 0
		.amdhsa_system_sgpr_workgroup_info 0
		.amdhsa_system_vgpr_workitem_id 0
		.amdhsa_next_free_vgpr 1
		.amdhsa_next_free_sgpr 1
		.amdhsa_reserve_vcc 0
		.amdhsa_reserve_flat_scratch 0
		.amdhsa_float_round_mode_32 0
		.amdhsa_float_round_mode_16_64 0
		.amdhsa_float_denorm_mode_32 3
		.amdhsa_float_denorm_mode_16_64 3
		.amdhsa_dx10_clamp 1
		.amdhsa_ieee_mode 1
		.amdhsa_fp16_overflow 0
		.amdhsa_workgroup_processor_mode 1
		.amdhsa_memory_ordered 1
		.amdhsa_forward_progress 1
		.amdhsa_shared_vgpr_count 0
		.amdhsa_exception_fp_ieee_invalid_op 0
		.amdhsa_exception_fp_denorm_src 0
		.amdhsa_exception_fp_ieee_div_zero 0
		.amdhsa_exception_fp_ieee_overflow 0
		.amdhsa_exception_fp_ieee_underflow 0
		.amdhsa_exception_fp_ieee_inexact 0
		.amdhsa_exception_int_div_zero 0
	.end_amdhsa_kernel
	.section	.text._ZN7rocprim17ROCPRIM_400000_NS6detail17trampoline_kernelINS0_14default_configENS1_38merge_sort_block_merge_config_selectorIsNS0_10empty_typeEEEZZNS1_27merge_sort_block_merge_implIS3_N6thrust23THRUST_200600_302600_NS6detail15normal_iteratorINS9_10device_ptrIsEEEEPS5_m9comp_mod3IsEEE10hipError_tT0_T1_T2_jT3_P12ihipStream_tbPNSt15iterator_traitsISJ_E10value_typeEPNSP_ISK_E10value_typeEPSL_NS1_7vsmem_tEENKUlT_SJ_SK_SL_E_clISE_PsSF_SF_EESI_SY_SJ_SK_SL_EUlSY_E_NS1_11comp_targetILNS1_3genE0ELNS1_11target_archE4294967295ELNS1_3gpuE0ELNS1_3repE0EEENS1_48merge_mergepath_partition_config_static_selectorELNS0_4arch9wavefront6targetE0EEEvSK_,"axG",@progbits,_ZN7rocprim17ROCPRIM_400000_NS6detail17trampoline_kernelINS0_14default_configENS1_38merge_sort_block_merge_config_selectorIsNS0_10empty_typeEEEZZNS1_27merge_sort_block_merge_implIS3_N6thrust23THRUST_200600_302600_NS6detail15normal_iteratorINS9_10device_ptrIsEEEEPS5_m9comp_mod3IsEEE10hipError_tT0_T1_T2_jT3_P12ihipStream_tbPNSt15iterator_traitsISJ_E10value_typeEPNSP_ISK_E10value_typeEPSL_NS1_7vsmem_tEENKUlT_SJ_SK_SL_E_clISE_PsSF_SF_EESI_SY_SJ_SK_SL_EUlSY_E_NS1_11comp_targetILNS1_3genE0ELNS1_11target_archE4294967295ELNS1_3gpuE0ELNS1_3repE0EEENS1_48merge_mergepath_partition_config_static_selectorELNS0_4arch9wavefront6targetE0EEEvSK_,comdat
.Lfunc_end1070:
	.size	_ZN7rocprim17ROCPRIM_400000_NS6detail17trampoline_kernelINS0_14default_configENS1_38merge_sort_block_merge_config_selectorIsNS0_10empty_typeEEEZZNS1_27merge_sort_block_merge_implIS3_N6thrust23THRUST_200600_302600_NS6detail15normal_iteratorINS9_10device_ptrIsEEEEPS5_m9comp_mod3IsEEE10hipError_tT0_T1_T2_jT3_P12ihipStream_tbPNSt15iterator_traitsISJ_E10value_typeEPNSP_ISK_E10value_typeEPSL_NS1_7vsmem_tEENKUlT_SJ_SK_SL_E_clISE_PsSF_SF_EESI_SY_SJ_SK_SL_EUlSY_E_NS1_11comp_targetILNS1_3genE0ELNS1_11target_archE4294967295ELNS1_3gpuE0ELNS1_3repE0EEENS1_48merge_mergepath_partition_config_static_selectorELNS0_4arch9wavefront6targetE0EEEvSK_, .Lfunc_end1070-_ZN7rocprim17ROCPRIM_400000_NS6detail17trampoline_kernelINS0_14default_configENS1_38merge_sort_block_merge_config_selectorIsNS0_10empty_typeEEEZZNS1_27merge_sort_block_merge_implIS3_N6thrust23THRUST_200600_302600_NS6detail15normal_iteratorINS9_10device_ptrIsEEEEPS5_m9comp_mod3IsEEE10hipError_tT0_T1_T2_jT3_P12ihipStream_tbPNSt15iterator_traitsISJ_E10value_typeEPNSP_ISK_E10value_typeEPSL_NS1_7vsmem_tEENKUlT_SJ_SK_SL_E_clISE_PsSF_SF_EESI_SY_SJ_SK_SL_EUlSY_E_NS1_11comp_targetILNS1_3genE0ELNS1_11target_archE4294967295ELNS1_3gpuE0ELNS1_3repE0EEENS1_48merge_mergepath_partition_config_static_selectorELNS0_4arch9wavefront6targetE0EEEvSK_
                                        ; -- End function
	.set _ZN7rocprim17ROCPRIM_400000_NS6detail17trampoline_kernelINS0_14default_configENS1_38merge_sort_block_merge_config_selectorIsNS0_10empty_typeEEEZZNS1_27merge_sort_block_merge_implIS3_N6thrust23THRUST_200600_302600_NS6detail15normal_iteratorINS9_10device_ptrIsEEEEPS5_m9comp_mod3IsEEE10hipError_tT0_T1_T2_jT3_P12ihipStream_tbPNSt15iterator_traitsISJ_E10value_typeEPNSP_ISK_E10value_typeEPSL_NS1_7vsmem_tEENKUlT_SJ_SK_SL_E_clISE_PsSF_SF_EESI_SY_SJ_SK_SL_EUlSY_E_NS1_11comp_targetILNS1_3genE0ELNS1_11target_archE4294967295ELNS1_3gpuE0ELNS1_3repE0EEENS1_48merge_mergepath_partition_config_static_selectorELNS0_4arch9wavefront6targetE0EEEvSK_.num_vgpr, 0
	.set _ZN7rocprim17ROCPRIM_400000_NS6detail17trampoline_kernelINS0_14default_configENS1_38merge_sort_block_merge_config_selectorIsNS0_10empty_typeEEEZZNS1_27merge_sort_block_merge_implIS3_N6thrust23THRUST_200600_302600_NS6detail15normal_iteratorINS9_10device_ptrIsEEEEPS5_m9comp_mod3IsEEE10hipError_tT0_T1_T2_jT3_P12ihipStream_tbPNSt15iterator_traitsISJ_E10value_typeEPNSP_ISK_E10value_typeEPSL_NS1_7vsmem_tEENKUlT_SJ_SK_SL_E_clISE_PsSF_SF_EESI_SY_SJ_SK_SL_EUlSY_E_NS1_11comp_targetILNS1_3genE0ELNS1_11target_archE4294967295ELNS1_3gpuE0ELNS1_3repE0EEENS1_48merge_mergepath_partition_config_static_selectorELNS0_4arch9wavefront6targetE0EEEvSK_.num_agpr, 0
	.set _ZN7rocprim17ROCPRIM_400000_NS6detail17trampoline_kernelINS0_14default_configENS1_38merge_sort_block_merge_config_selectorIsNS0_10empty_typeEEEZZNS1_27merge_sort_block_merge_implIS3_N6thrust23THRUST_200600_302600_NS6detail15normal_iteratorINS9_10device_ptrIsEEEEPS5_m9comp_mod3IsEEE10hipError_tT0_T1_T2_jT3_P12ihipStream_tbPNSt15iterator_traitsISJ_E10value_typeEPNSP_ISK_E10value_typeEPSL_NS1_7vsmem_tEENKUlT_SJ_SK_SL_E_clISE_PsSF_SF_EESI_SY_SJ_SK_SL_EUlSY_E_NS1_11comp_targetILNS1_3genE0ELNS1_11target_archE4294967295ELNS1_3gpuE0ELNS1_3repE0EEENS1_48merge_mergepath_partition_config_static_selectorELNS0_4arch9wavefront6targetE0EEEvSK_.numbered_sgpr, 0
	.set _ZN7rocprim17ROCPRIM_400000_NS6detail17trampoline_kernelINS0_14default_configENS1_38merge_sort_block_merge_config_selectorIsNS0_10empty_typeEEEZZNS1_27merge_sort_block_merge_implIS3_N6thrust23THRUST_200600_302600_NS6detail15normal_iteratorINS9_10device_ptrIsEEEEPS5_m9comp_mod3IsEEE10hipError_tT0_T1_T2_jT3_P12ihipStream_tbPNSt15iterator_traitsISJ_E10value_typeEPNSP_ISK_E10value_typeEPSL_NS1_7vsmem_tEENKUlT_SJ_SK_SL_E_clISE_PsSF_SF_EESI_SY_SJ_SK_SL_EUlSY_E_NS1_11comp_targetILNS1_3genE0ELNS1_11target_archE4294967295ELNS1_3gpuE0ELNS1_3repE0EEENS1_48merge_mergepath_partition_config_static_selectorELNS0_4arch9wavefront6targetE0EEEvSK_.num_named_barrier, 0
	.set _ZN7rocprim17ROCPRIM_400000_NS6detail17trampoline_kernelINS0_14default_configENS1_38merge_sort_block_merge_config_selectorIsNS0_10empty_typeEEEZZNS1_27merge_sort_block_merge_implIS3_N6thrust23THRUST_200600_302600_NS6detail15normal_iteratorINS9_10device_ptrIsEEEEPS5_m9comp_mod3IsEEE10hipError_tT0_T1_T2_jT3_P12ihipStream_tbPNSt15iterator_traitsISJ_E10value_typeEPNSP_ISK_E10value_typeEPSL_NS1_7vsmem_tEENKUlT_SJ_SK_SL_E_clISE_PsSF_SF_EESI_SY_SJ_SK_SL_EUlSY_E_NS1_11comp_targetILNS1_3genE0ELNS1_11target_archE4294967295ELNS1_3gpuE0ELNS1_3repE0EEENS1_48merge_mergepath_partition_config_static_selectorELNS0_4arch9wavefront6targetE0EEEvSK_.private_seg_size, 0
	.set _ZN7rocprim17ROCPRIM_400000_NS6detail17trampoline_kernelINS0_14default_configENS1_38merge_sort_block_merge_config_selectorIsNS0_10empty_typeEEEZZNS1_27merge_sort_block_merge_implIS3_N6thrust23THRUST_200600_302600_NS6detail15normal_iteratorINS9_10device_ptrIsEEEEPS5_m9comp_mod3IsEEE10hipError_tT0_T1_T2_jT3_P12ihipStream_tbPNSt15iterator_traitsISJ_E10value_typeEPNSP_ISK_E10value_typeEPSL_NS1_7vsmem_tEENKUlT_SJ_SK_SL_E_clISE_PsSF_SF_EESI_SY_SJ_SK_SL_EUlSY_E_NS1_11comp_targetILNS1_3genE0ELNS1_11target_archE4294967295ELNS1_3gpuE0ELNS1_3repE0EEENS1_48merge_mergepath_partition_config_static_selectorELNS0_4arch9wavefront6targetE0EEEvSK_.uses_vcc, 0
	.set _ZN7rocprim17ROCPRIM_400000_NS6detail17trampoline_kernelINS0_14default_configENS1_38merge_sort_block_merge_config_selectorIsNS0_10empty_typeEEEZZNS1_27merge_sort_block_merge_implIS3_N6thrust23THRUST_200600_302600_NS6detail15normal_iteratorINS9_10device_ptrIsEEEEPS5_m9comp_mod3IsEEE10hipError_tT0_T1_T2_jT3_P12ihipStream_tbPNSt15iterator_traitsISJ_E10value_typeEPNSP_ISK_E10value_typeEPSL_NS1_7vsmem_tEENKUlT_SJ_SK_SL_E_clISE_PsSF_SF_EESI_SY_SJ_SK_SL_EUlSY_E_NS1_11comp_targetILNS1_3genE0ELNS1_11target_archE4294967295ELNS1_3gpuE0ELNS1_3repE0EEENS1_48merge_mergepath_partition_config_static_selectorELNS0_4arch9wavefront6targetE0EEEvSK_.uses_flat_scratch, 0
	.set _ZN7rocprim17ROCPRIM_400000_NS6detail17trampoline_kernelINS0_14default_configENS1_38merge_sort_block_merge_config_selectorIsNS0_10empty_typeEEEZZNS1_27merge_sort_block_merge_implIS3_N6thrust23THRUST_200600_302600_NS6detail15normal_iteratorINS9_10device_ptrIsEEEEPS5_m9comp_mod3IsEEE10hipError_tT0_T1_T2_jT3_P12ihipStream_tbPNSt15iterator_traitsISJ_E10value_typeEPNSP_ISK_E10value_typeEPSL_NS1_7vsmem_tEENKUlT_SJ_SK_SL_E_clISE_PsSF_SF_EESI_SY_SJ_SK_SL_EUlSY_E_NS1_11comp_targetILNS1_3genE0ELNS1_11target_archE4294967295ELNS1_3gpuE0ELNS1_3repE0EEENS1_48merge_mergepath_partition_config_static_selectorELNS0_4arch9wavefront6targetE0EEEvSK_.has_dyn_sized_stack, 0
	.set _ZN7rocprim17ROCPRIM_400000_NS6detail17trampoline_kernelINS0_14default_configENS1_38merge_sort_block_merge_config_selectorIsNS0_10empty_typeEEEZZNS1_27merge_sort_block_merge_implIS3_N6thrust23THRUST_200600_302600_NS6detail15normal_iteratorINS9_10device_ptrIsEEEEPS5_m9comp_mod3IsEEE10hipError_tT0_T1_T2_jT3_P12ihipStream_tbPNSt15iterator_traitsISJ_E10value_typeEPNSP_ISK_E10value_typeEPSL_NS1_7vsmem_tEENKUlT_SJ_SK_SL_E_clISE_PsSF_SF_EESI_SY_SJ_SK_SL_EUlSY_E_NS1_11comp_targetILNS1_3genE0ELNS1_11target_archE4294967295ELNS1_3gpuE0ELNS1_3repE0EEENS1_48merge_mergepath_partition_config_static_selectorELNS0_4arch9wavefront6targetE0EEEvSK_.has_recursion, 0
	.set _ZN7rocprim17ROCPRIM_400000_NS6detail17trampoline_kernelINS0_14default_configENS1_38merge_sort_block_merge_config_selectorIsNS0_10empty_typeEEEZZNS1_27merge_sort_block_merge_implIS3_N6thrust23THRUST_200600_302600_NS6detail15normal_iteratorINS9_10device_ptrIsEEEEPS5_m9comp_mod3IsEEE10hipError_tT0_T1_T2_jT3_P12ihipStream_tbPNSt15iterator_traitsISJ_E10value_typeEPNSP_ISK_E10value_typeEPSL_NS1_7vsmem_tEENKUlT_SJ_SK_SL_E_clISE_PsSF_SF_EESI_SY_SJ_SK_SL_EUlSY_E_NS1_11comp_targetILNS1_3genE0ELNS1_11target_archE4294967295ELNS1_3gpuE0ELNS1_3repE0EEENS1_48merge_mergepath_partition_config_static_selectorELNS0_4arch9wavefront6targetE0EEEvSK_.has_indirect_call, 0
	.section	.AMDGPU.csdata,"",@progbits
; Kernel info:
; codeLenInByte = 0
; TotalNumSgprs: 0
; NumVgprs: 0
; ScratchSize: 0
; MemoryBound: 0
; FloatMode: 240
; IeeeMode: 1
; LDSByteSize: 0 bytes/workgroup (compile time only)
; SGPRBlocks: 0
; VGPRBlocks: 0
; NumSGPRsForWavesPerEU: 1
; NumVGPRsForWavesPerEU: 1
; Occupancy: 16
; WaveLimiterHint : 0
; COMPUTE_PGM_RSRC2:SCRATCH_EN: 0
; COMPUTE_PGM_RSRC2:USER_SGPR: 6
; COMPUTE_PGM_RSRC2:TRAP_HANDLER: 0
; COMPUTE_PGM_RSRC2:TGID_X_EN: 1
; COMPUTE_PGM_RSRC2:TGID_Y_EN: 0
; COMPUTE_PGM_RSRC2:TGID_Z_EN: 0
; COMPUTE_PGM_RSRC2:TIDIG_COMP_CNT: 0
	.section	.text._ZN7rocprim17ROCPRIM_400000_NS6detail17trampoline_kernelINS0_14default_configENS1_38merge_sort_block_merge_config_selectorIsNS0_10empty_typeEEEZZNS1_27merge_sort_block_merge_implIS3_N6thrust23THRUST_200600_302600_NS6detail15normal_iteratorINS9_10device_ptrIsEEEEPS5_m9comp_mod3IsEEE10hipError_tT0_T1_T2_jT3_P12ihipStream_tbPNSt15iterator_traitsISJ_E10value_typeEPNSP_ISK_E10value_typeEPSL_NS1_7vsmem_tEENKUlT_SJ_SK_SL_E_clISE_PsSF_SF_EESI_SY_SJ_SK_SL_EUlSY_E_NS1_11comp_targetILNS1_3genE10ELNS1_11target_archE1201ELNS1_3gpuE5ELNS1_3repE0EEENS1_48merge_mergepath_partition_config_static_selectorELNS0_4arch9wavefront6targetE0EEEvSK_,"axG",@progbits,_ZN7rocprim17ROCPRIM_400000_NS6detail17trampoline_kernelINS0_14default_configENS1_38merge_sort_block_merge_config_selectorIsNS0_10empty_typeEEEZZNS1_27merge_sort_block_merge_implIS3_N6thrust23THRUST_200600_302600_NS6detail15normal_iteratorINS9_10device_ptrIsEEEEPS5_m9comp_mod3IsEEE10hipError_tT0_T1_T2_jT3_P12ihipStream_tbPNSt15iterator_traitsISJ_E10value_typeEPNSP_ISK_E10value_typeEPSL_NS1_7vsmem_tEENKUlT_SJ_SK_SL_E_clISE_PsSF_SF_EESI_SY_SJ_SK_SL_EUlSY_E_NS1_11comp_targetILNS1_3genE10ELNS1_11target_archE1201ELNS1_3gpuE5ELNS1_3repE0EEENS1_48merge_mergepath_partition_config_static_selectorELNS0_4arch9wavefront6targetE0EEEvSK_,comdat
	.protected	_ZN7rocprim17ROCPRIM_400000_NS6detail17trampoline_kernelINS0_14default_configENS1_38merge_sort_block_merge_config_selectorIsNS0_10empty_typeEEEZZNS1_27merge_sort_block_merge_implIS3_N6thrust23THRUST_200600_302600_NS6detail15normal_iteratorINS9_10device_ptrIsEEEEPS5_m9comp_mod3IsEEE10hipError_tT0_T1_T2_jT3_P12ihipStream_tbPNSt15iterator_traitsISJ_E10value_typeEPNSP_ISK_E10value_typeEPSL_NS1_7vsmem_tEENKUlT_SJ_SK_SL_E_clISE_PsSF_SF_EESI_SY_SJ_SK_SL_EUlSY_E_NS1_11comp_targetILNS1_3genE10ELNS1_11target_archE1201ELNS1_3gpuE5ELNS1_3repE0EEENS1_48merge_mergepath_partition_config_static_selectorELNS0_4arch9wavefront6targetE0EEEvSK_ ; -- Begin function _ZN7rocprim17ROCPRIM_400000_NS6detail17trampoline_kernelINS0_14default_configENS1_38merge_sort_block_merge_config_selectorIsNS0_10empty_typeEEEZZNS1_27merge_sort_block_merge_implIS3_N6thrust23THRUST_200600_302600_NS6detail15normal_iteratorINS9_10device_ptrIsEEEEPS5_m9comp_mod3IsEEE10hipError_tT0_T1_T2_jT3_P12ihipStream_tbPNSt15iterator_traitsISJ_E10value_typeEPNSP_ISK_E10value_typeEPSL_NS1_7vsmem_tEENKUlT_SJ_SK_SL_E_clISE_PsSF_SF_EESI_SY_SJ_SK_SL_EUlSY_E_NS1_11comp_targetILNS1_3genE10ELNS1_11target_archE1201ELNS1_3gpuE5ELNS1_3repE0EEENS1_48merge_mergepath_partition_config_static_selectorELNS0_4arch9wavefront6targetE0EEEvSK_
	.globl	_ZN7rocprim17ROCPRIM_400000_NS6detail17trampoline_kernelINS0_14default_configENS1_38merge_sort_block_merge_config_selectorIsNS0_10empty_typeEEEZZNS1_27merge_sort_block_merge_implIS3_N6thrust23THRUST_200600_302600_NS6detail15normal_iteratorINS9_10device_ptrIsEEEEPS5_m9comp_mod3IsEEE10hipError_tT0_T1_T2_jT3_P12ihipStream_tbPNSt15iterator_traitsISJ_E10value_typeEPNSP_ISK_E10value_typeEPSL_NS1_7vsmem_tEENKUlT_SJ_SK_SL_E_clISE_PsSF_SF_EESI_SY_SJ_SK_SL_EUlSY_E_NS1_11comp_targetILNS1_3genE10ELNS1_11target_archE1201ELNS1_3gpuE5ELNS1_3repE0EEENS1_48merge_mergepath_partition_config_static_selectorELNS0_4arch9wavefront6targetE0EEEvSK_
	.p2align	8
	.type	_ZN7rocprim17ROCPRIM_400000_NS6detail17trampoline_kernelINS0_14default_configENS1_38merge_sort_block_merge_config_selectorIsNS0_10empty_typeEEEZZNS1_27merge_sort_block_merge_implIS3_N6thrust23THRUST_200600_302600_NS6detail15normal_iteratorINS9_10device_ptrIsEEEEPS5_m9comp_mod3IsEEE10hipError_tT0_T1_T2_jT3_P12ihipStream_tbPNSt15iterator_traitsISJ_E10value_typeEPNSP_ISK_E10value_typeEPSL_NS1_7vsmem_tEENKUlT_SJ_SK_SL_E_clISE_PsSF_SF_EESI_SY_SJ_SK_SL_EUlSY_E_NS1_11comp_targetILNS1_3genE10ELNS1_11target_archE1201ELNS1_3gpuE5ELNS1_3repE0EEENS1_48merge_mergepath_partition_config_static_selectorELNS0_4arch9wavefront6targetE0EEEvSK_,@function
_ZN7rocprim17ROCPRIM_400000_NS6detail17trampoline_kernelINS0_14default_configENS1_38merge_sort_block_merge_config_selectorIsNS0_10empty_typeEEEZZNS1_27merge_sort_block_merge_implIS3_N6thrust23THRUST_200600_302600_NS6detail15normal_iteratorINS9_10device_ptrIsEEEEPS5_m9comp_mod3IsEEE10hipError_tT0_T1_T2_jT3_P12ihipStream_tbPNSt15iterator_traitsISJ_E10value_typeEPNSP_ISK_E10value_typeEPSL_NS1_7vsmem_tEENKUlT_SJ_SK_SL_E_clISE_PsSF_SF_EESI_SY_SJ_SK_SL_EUlSY_E_NS1_11comp_targetILNS1_3genE10ELNS1_11target_archE1201ELNS1_3gpuE5ELNS1_3repE0EEENS1_48merge_mergepath_partition_config_static_selectorELNS0_4arch9wavefront6targetE0EEEvSK_: ; @_ZN7rocprim17ROCPRIM_400000_NS6detail17trampoline_kernelINS0_14default_configENS1_38merge_sort_block_merge_config_selectorIsNS0_10empty_typeEEEZZNS1_27merge_sort_block_merge_implIS3_N6thrust23THRUST_200600_302600_NS6detail15normal_iteratorINS9_10device_ptrIsEEEEPS5_m9comp_mod3IsEEE10hipError_tT0_T1_T2_jT3_P12ihipStream_tbPNSt15iterator_traitsISJ_E10value_typeEPNSP_ISK_E10value_typeEPSL_NS1_7vsmem_tEENKUlT_SJ_SK_SL_E_clISE_PsSF_SF_EESI_SY_SJ_SK_SL_EUlSY_E_NS1_11comp_targetILNS1_3genE10ELNS1_11target_archE1201ELNS1_3gpuE5ELNS1_3repE0EEENS1_48merge_mergepath_partition_config_static_selectorELNS0_4arch9wavefront6targetE0EEEvSK_
; %bb.0:
	.section	.rodata,"a",@progbits
	.p2align	6, 0x0
	.amdhsa_kernel _ZN7rocprim17ROCPRIM_400000_NS6detail17trampoline_kernelINS0_14default_configENS1_38merge_sort_block_merge_config_selectorIsNS0_10empty_typeEEEZZNS1_27merge_sort_block_merge_implIS3_N6thrust23THRUST_200600_302600_NS6detail15normal_iteratorINS9_10device_ptrIsEEEEPS5_m9comp_mod3IsEEE10hipError_tT0_T1_T2_jT3_P12ihipStream_tbPNSt15iterator_traitsISJ_E10value_typeEPNSP_ISK_E10value_typeEPSL_NS1_7vsmem_tEENKUlT_SJ_SK_SL_E_clISE_PsSF_SF_EESI_SY_SJ_SK_SL_EUlSY_E_NS1_11comp_targetILNS1_3genE10ELNS1_11target_archE1201ELNS1_3gpuE5ELNS1_3repE0EEENS1_48merge_mergepath_partition_config_static_selectorELNS0_4arch9wavefront6targetE0EEEvSK_
		.amdhsa_group_segment_fixed_size 0
		.amdhsa_private_segment_fixed_size 0
		.amdhsa_kernarg_size 48
		.amdhsa_user_sgpr_count 6
		.amdhsa_user_sgpr_private_segment_buffer 1
		.amdhsa_user_sgpr_dispatch_ptr 0
		.amdhsa_user_sgpr_queue_ptr 0
		.amdhsa_user_sgpr_kernarg_segment_ptr 1
		.amdhsa_user_sgpr_dispatch_id 0
		.amdhsa_user_sgpr_flat_scratch_init 0
		.amdhsa_user_sgpr_private_segment_size 0
		.amdhsa_wavefront_size32 1
		.amdhsa_uses_dynamic_stack 0
		.amdhsa_system_sgpr_private_segment_wavefront_offset 0
		.amdhsa_system_sgpr_workgroup_id_x 1
		.amdhsa_system_sgpr_workgroup_id_y 0
		.amdhsa_system_sgpr_workgroup_id_z 0
		.amdhsa_system_sgpr_workgroup_info 0
		.amdhsa_system_vgpr_workitem_id 0
		.amdhsa_next_free_vgpr 1
		.amdhsa_next_free_sgpr 1
		.amdhsa_reserve_vcc 0
		.amdhsa_reserve_flat_scratch 0
		.amdhsa_float_round_mode_32 0
		.amdhsa_float_round_mode_16_64 0
		.amdhsa_float_denorm_mode_32 3
		.amdhsa_float_denorm_mode_16_64 3
		.amdhsa_dx10_clamp 1
		.amdhsa_ieee_mode 1
		.amdhsa_fp16_overflow 0
		.amdhsa_workgroup_processor_mode 1
		.amdhsa_memory_ordered 1
		.amdhsa_forward_progress 1
		.amdhsa_shared_vgpr_count 0
		.amdhsa_exception_fp_ieee_invalid_op 0
		.amdhsa_exception_fp_denorm_src 0
		.amdhsa_exception_fp_ieee_div_zero 0
		.amdhsa_exception_fp_ieee_overflow 0
		.amdhsa_exception_fp_ieee_underflow 0
		.amdhsa_exception_fp_ieee_inexact 0
		.amdhsa_exception_int_div_zero 0
	.end_amdhsa_kernel
	.section	.text._ZN7rocprim17ROCPRIM_400000_NS6detail17trampoline_kernelINS0_14default_configENS1_38merge_sort_block_merge_config_selectorIsNS0_10empty_typeEEEZZNS1_27merge_sort_block_merge_implIS3_N6thrust23THRUST_200600_302600_NS6detail15normal_iteratorINS9_10device_ptrIsEEEEPS5_m9comp_mod3IsEEE10hipError_tT0_T1_T2_jT3_P12ihipStream_tbPNSt15iterator_traitsISJ_E10value_typeEPNSP_ISK_E10value_typeEPSL_NS1_7vsmem_tEENKUlT_SJ_SK_SL_E_clISE_PsSF_SF_EESI_SY_SJ_SK_SL_EUlSY_E_NS1_11comp_targetILNS1_3genE10ELNS1_11target_archE1201ELNS1_3gpuE5ELNS1_3repE0EEENS1_48merge_mergepath_partition_config_static_selectorELNS0_4arch9wavefront6targetE0EEEvSK_,"axG",@progbits,_ZN7rocprim17ROCPRIM_400000_NS6detail17trampoline_kernelINS0_14default_configENS1_38merge_sort_block_merge_config_selectorIsNS0_10empty_typeEEEZZNS1_27merge_sort_block_merge_implIS3_N6thrust23THRUST_200600_302600_NS6detail15normal_iteratorINS9_10device_ptrIsEEEEPS5_m9comp_mod3IsEEE10hipError_tT0_T1_T2_jT3_P12ihipStream_tbPNSt15iterator_traitsISJ_E10value_typeEPNSP_ISK_E10value_typeEPSL_NS1_7vsmem_tEENKUlT_SJ_SK_SL_E_clISE_PsSF_SF_EESI_SY_SJ_SK_SL_EUlSY_E_NS1_11comp_targetILNS1_3genE10ELNS1_11target_archE1201ELNS1_3gpuE5ELNS1_3repE0EEENS1_48merge_mergepath_partition_config_static_selectorELNS0_4arch9wavefront6targetE0EEEvSK_,comdat
.Lfunc_end1071:
	.size	_ZN7rocprim17ROCPRIM_400000_NS6detail17trampoline_kernelINS0_14default_configENS1_38merge_sort_block_merge_config_selectorIsNS0_10empty_typeEEEZZNS1_27merge_sort_block_merge_implIS3_N6thrust23THRUST_200600_302600_NS6detail15normal_iteratorINS9_10device_ptrIsEEEEPS5_m9comp_mod3IsEEE10hipError_tT0_T1_T2_jT3_P12ihipStream_tbPNSt15iterator_traitsISJ_E10value_typeEPNSP_ISK_E10value_typeEPSL_NS1_7vsmem_tEENKUlT_SJ_SK_SL_E_clISE_PsSF_SF_EESI_SY_SJ_SK_SL_EUlSY_E_NS1_11comp_targetILNS1_3genE10ELNS1_11target_archE1201ELNS1_3gpuE5ELNS1_3repE0EEENS1_48merge_mergepath_partition_config_static_selectorELNS0_4arch9wavefront6targetE0EEEvSK_, .Lfunc_end1071-_ZN7rocprim17ROCPRIM_400000_NS6detail17trampoline_kernelINS0_14default_configENS1_38merge_sort_block_merge_config_selectorIsNS0_10empty_typeEEEZZNS1_27merge_sort_block_merge_implIS3_N6thrust23THRUST_200600_302600_NS6detail15normal_iteratorINS9_10device_ptrIsEEEEPS5_m9comp_mod3IsEEE10hipError_tT0_T1_T2_jT3_P12ihipStream_tbPNSt15iterator_traitsISJ_E10value_typeEPNSP_ISK_E10value_typeEPSL_NS1_7vsmem_tEENKUlT_SJ_SK_SL_E_clISE_PsSF_SF_EESI_SY_SJ_SK_SL_EUlSY_E_NS1_11comp_targetILNS1_3genE10ELNS1_11target_archE1201ELNS1_3gpuE5ELNS1_3repE0EEENS1_48merge_mergepath_partition_config_static_selectorELNS0_4arch9wavefront6targetE0EEEvSK_
                                        ; -- End function
	.set _ZN7rocprim17ROCPRIM_400000_NS6detail17trampoline_kernelINS0_14default_configENS1_38merge_sort_block_merge_config_selectorIsNS0_10empty_typeEEEZZNS1_27merge_sort_block_merge_implIS3_N6thrust23THRUST_200600_302600_NS6detail15normal_iteratorINS9_10device_ptrIsEEEEPS5_m9comp_mod3IsEEE10hipError_tT0_T1_T2_jT3_P12ihipStream_tbPNSt15iterator_traitsISJ_E10value_typeEPNSP_ISK_E10value_typeEPSL_NS1_7vsmem_tEENKUlT_SJ_SK_SL_E_clISE_PsSF_SF_EESI_SY_SJ_SK_SL_EUlSY_E_NS1_11comp_targetILNS1_3genE10ELNS1_11target_archE1201ELNS1_3gpuE5ELNS1_3repE0EEENS1_48merge_mergepath_partition_config_static_selectorELNS0_4arch9wavefront6targetE0EEEvSK_.num_vgpr, 0
	.set _ZN7rocprim17ROCPRIM_400000_NS6detail17trampoline_kernelINS0_14default_configENS1_38merge_sort_block_merge_config_selectorIsNS0_10empty_typeEEEZZNS1_27merge_sort_block_merge_implIS3_N6thrust23THRUST_200600_302600_NS6detail15normal_iteratorINS9_10device_ptrIsEEEEPS5_m9comp_mod3IsEEE10hipError_tT0_T1_T2_jT3_P12ihipStream_tbPNSt15iterator_traitsISJ_E10value_typeEPNSP_ISK_E10value_typeEPSL_NS1_7vsmem_tEENKUlT_SJ_SK_SL_E_clISE_PsSF_SF_EESI_SY_SJ_SK_SL_EUlSY_E_NS1_11comp_targetILNS1_3genE10ELNS1_11target_archE1201ELNS1_3gpuE5ELNS1_3repE0EEENS1_48merge_mergepath_partition_config_static_selectorELNS0_4arch9wavefront6targetE0EEEvSK_.num_agpr, 0
	.set _ZN7rocprim17ROCPRIM_400000_NS6detail17trampoline_kernelINS0_14default_configENS1_38merge_sort_block_merge_config_selectorIsNS0_10empty_typeEEEZZNS1_27merge_sort_block_merge_implIS3_N6thrust23THRUST_200600_302600_NS6detail15normal_iteratorINS9_10device_ptrIsEEEEPS5_m9comp_mod3IsEEE10hipError_tT0_T1_T2_jT3_P12ihipStream_tbPNSt15iterator_traitsISJ_E10value_typeEPNSP_ISK_E10value_typeEPSL_NS1_7vsmem_tEENKUlT_SJ_SK_SL_E_clISE_PsSF_SF_EESI_SY_SJ_SK_SL_EUlSY_E_NS1_11comp_targetILNS1_3genE10ELNS1_11target_archE1201ELNS1_3gpuE5ELNS1_3repE0EEENS1_48merge_mergepath_partition_config_static_selectorELNS0_4arch9wavefront6targetE0EEEvSK_.numbered_sgpr, 0
	.set _ZN7rocprim17ROCPRIM_400000_NS6detail17trampoline_kernelINS0_14default_configENS1_38merge_sort_block_merge_config_selectorIsNS0_10empty_typeEEEZZNS1_27merge_sort_block_merge_implIS3_N6thrust23THRUST_200600_302600_NS6detail15normal_iteratorINS9_10device_ptrIsEEEEPS5_m9comp_mod3IsEEE10hipError_tT0_T1_T2_jT3_P12ihipStream_tbPNSt15iterator_traitsISJ_E10value_typeEPNSP_ISK_E10value_typeEPSL_NS1_7vsmem_tEENKUlT_SJ_SK_SL_E_clISE_PsSF_SF_EESI_SY_SJ_SK_SL_EUlSY_E_NS1_11comp_targetILNS1_3genE10ELNS1_11target_archE1201ELNS1_3gpuE5ELNS1_3repE0EEENS1_48merge_mergepath_partition_config_static_selectorELNS0_4arch9wavefront6targetE0EEEvSK_.num_named_barrier, 0
	.set _ZN7rocprim17ROCPRIM_400000_NS6detail17trampoline_kernelINS0_14default_configENS1_38merge_sort_block_merge_config_selectorIsNS0_10empty_typeEEEZZNS1_27merge_sort_block_merge_implIS3_N6thrust23THRUST_200600_302600_NS6detail15normal_iteratorINS9_10device_ptrIsEEEEPS5_m9comp_mod3IsEEE10hipError_tT0_T1_T2_jT3_P12ihipStream_tbPNSt15iterator_traitsISJ_E10value_typeEPNSP_ISK_E10value_typeEPSL_NS1_7vsmem_tEENKUlT_SJ_SK_SL_E_clISE_PsSF_SF_EESI_SY_SJ_SK_SL_EUlSY_E_NS1_11comp_targetILNS1_3genE10ELNS1_11target_archE1201ELNS1_3gpuE5ELNS1_3repE0EEENS1_48merge_mergepath_partition_config_static_selectorELNS0_4arch9wavefront6targetE0EEEvSK_.private_seg_size, 0
	.set _ZN7rocprim17ROCPRIM_400000_NS6detail17trampoline_kernelINS0_14default_configENS1_38merge_sort_block_merge_config_selectorIsNS0_10empty_typeEEEZZNS1_27merge_sort_block_merge_implIS3_N6thrust23THRUST_200600_302600_NS6detail15normal_iteratorINS9_10device_ptrIsEEEEPS5_m9comp_mod3IsEEE10hipError_tT0_T1_T2_jT3_P12ihipStream_tbPNSt15iterator_traitsISJ_E10value_typeEPNSP_ISK_E10value_typeEPSL_NS1_7vsmem_tEENKUlT_SJ_SK_SL_E_clISE_PsSF_SF_EESI_SY_SJ_SK_SL_EUlSY_E_NS1_11comp_targetILNS1_3genE10ELNS1_11target_archE1201ELNS1_3gpuE5ELNS1_3repE0EEENS1_48merge_mergepath_partition_config_static_selectorELNS0_4arch9wavefront6targetE0EEEvSK_.uses_vcc, 0
	.set _ZN7rocprim17ROCPRIM_400000_NS6detail17trampoline_kernelINS0_14default_configENS1_38merge_sort_block_merge_config_selectorIsNS0_10empty_typeEEEZZNS1_27merge_sort_block_merge_implIS3_N6thrust23THRUST_200600_302600_NS6detail15normal_iteratorINS9_10device_ptrIsEEEEPS5_m9comp_mod3IsEEE10hipError_tT0_T1_T2_jT3_P12ihipStream_tbPNSt15iterator_traitsISJ_E10value_typeEPNSP_ISK_E10value_typeEPSL_NS1_7vsmem_tEENKUlT_SJ_SK_SL_E_clISE_PsSF_SF_EESI_SY_SJ_SK_SL_EUlSY_E_NS1_11comp_targetILNS1_3genE10ELNS1_11target_archE1201ELNS1_3gpuE5ELNS1_3repE0EEENS1_48merge_mergepath_partition_config_static_selectorELNS0_4arch9wavefront6targetE0EEEvSK_.uses_flat_scratch, 0
	.set _ZN7rocprim17ROCPRIM_400000_NS6detail17trampoline_kernelINS0_14default_configENS1_38merge_sort_block_merge_config_selectorIsNS0_10empty_typeEEEZZNS1_27merge_sort_block_merge_implIS3_N6thrust23THRUST_200600_302600_NS6detail15normal_iteratorINS9_10device_ptrIsEEEEPS5_m9comp_mod3IsEEE10hipError_tT0_T1_T2_jT3_P12ihipStream_tbPNSt15iterator_traitsISJ_E10value_typeEPNSP_ISK_E10value_typeEPSL_NS1_7vsmem_tEENKUlT_SJ_SK_SL_E_clISE_PsSF_SF_EESI_SY_SJ_SK_SL_EUlSY_E_NS1_11comp_targetILNS1_3genE10ELNS1_11target_archE1201ELNS1_3gpuE5ELNS1_3repE0EEENS1_48merge_mergepath_partition_config_static_selectorELNS0_4arch9wavefront6targetE0EEEvSK_.has_dyn_sized_stack, 0
	.set _ZN7rocprim17ROCPRIM_400000_NS6detail17trampoline_kernelINS0_14default_configENS1_38merge_sort_block_merge_config_selectorIsNS0_10empty_typeEEEZZNS1_27merge_sort_block_merge_implIS3_N6thrust23THRUST_200600_302600_NS6detail15normal_iteratorINS9_10device_ptrIsEEEEPS5_m9comp_mod3IsEEE10hipError_tT0_T1_T2_jT3_P12ihipStream_tbPNSt15iterator_traitsISJ_E10value_typeEPNSP_ISK_E10value_typeEPSL_NS1_7vsmem_tEENKUlT_SJ_SK_SL_E_clISE_PsSF_SF_EESI_SY_SJ_SK_SL_EUlSY_E_NS1_11comp_targetILNS1_3genE10ELNS1_11target_archE1201ELNS1_3gpuE5ELNS1_3repE0EEENS1_48merge_mergepath_partition_config_static_selectorELNS0_4arch9wavefront6targetE0EEEvSK_.has_recursion, 0
	.set _ZN7rocprim17ROCPRIM_400000_NS6detail17trampoline_kernelINS0_14default_configENS1_38merge_sort_block_merge_config_selectorIsNS0_10empty_typeEEEZZNS1_27merge_sort_block_merge_implIS3_N6thrust23THRUST_200600_302600_NS6detail15normal_iteratorINS9_10device_ptrIsEEEEPS5_m9comp_mod3IsEEE10hipError_tT0_T1_T2_jT3_P12ihipStream_tbPNSt15iterator_traitsISJ_E10value_typeEPNSP_ISK_E10value_typeEPSL_NS1_7vsmem_tEENKUlT_SJ_SK_SL_E_clISE_PsSF_SF_EESI_SY_SJ_SK_SL_EUlSY_E_NS1_11comp_targetILNS1_3genE10ELNS1_11target_archE1201ELNS1_3gpuE5ELNS1_3repE0EEENS1_48merge_mergepath_partition_config_static_selectorELNS0_4arch9wavefront6targetE0EEEvSK_.has_indirect_call, 0
	.section	.AMDGPU.csdata,"",@progbits
; Kernel info:
; codeLenInByte = 0
; TotalNumSgprs: 0
; NumVgprs: 0
; ScratchSize: 0
; MemoryBound: 0
; FloatMode: 240
; IeeeMode: 1
; LDSByteSize: 0 bytes/workgroup (compile time only)
; SGPRBlocks: 0
; VGPRBlocks: 0
; NumSGPRsForWavesPerEU: 1
; NumVGPRsForWavesPerEU: 1
; Occupancy: 16
; WaveLimiterHint : 0
; COMPUTE_PGM_RSRC2:SCRATCH_EN: 0
; COMPUTE_PGM_RSRC2:USER_SGPR: 6
; COMPUTE_PGM_RSRC2:TRAP_HANDLER: 0
; COMPUTE_PGM_RSRC2:TGID_X_EN: 1
; COMPUTE_PGM_RSRC2:TGID_Y_EN: 0
; COMPUTE_PGM_RSRC2:TGID_Z_EN: 0
; COMPUTE_PGM_RSRC2:TIDIG_COMP_CNT: 0
	.section	.text._ZN7rocprim17ROCPRIM_400000_NS6detail17trampoline_kernelINS0_14default_configENS1_38merge_sort_block_merge_config_selectorIsNS0_10empty_typeEEEZZNS1_27merge_sort_block_merge_implIS3_N6thrust23THRUST_200600_302600_NS6detail15normal_iteratorINS9_10device_ptrIsEEEEPS5_m9comp_mod3IsEEE10hipError_tT0_T1_T2_jT3_P12ihipStream_tbPNSt15iterator_traitsISJ_E10value_typeEPNSP_ISK_E10value_typeEPSL_NS1_7vsmem_tEENKUlT_SJ_SK_SL_E_clISE_PsSF_SF_EESI_SY_SJ_SK_SL_EUlSY_E_NS1_11comp_targetILNS1_3genE5ELNS1_11target_archE942ELNS1_3gpuE9ELNS1_3repE0EEENS1_48merge_mergepath_partition_config_static_selectorELNS0_4arch9wavefront6targetE0EEEvSK_,"axG",@progbits,_ZN7rocprim17ROCPRIM_400000_NS6detail17trampoline_kernelINS0_14default_configENS1_38merge_sort_block_merge_config_selectorIsNS0_10empty_typeEEEZZNS1_27merge_sort_block_merge_implIS3_N6thrust23THRUST_200600_302600_NS6detail15normal_iteratorINS9_10device_ptrIsEEEEPS5_m9comp_mod3IsEEE10hipError_tT0_T1_T2_jT3_P12ihipStream_tbPNSt15iterator_traitsISJ_E10value_typeEPNSP_ISK_E10value_typeEPSL_NS1_7vsmem_tEENKUlT_SJ_SK_SL_E_clISE_PsSF_SF_EESI_SY_SJ_SK_SL_EUlSY_E_NS1_11comp_targetILNS1_3genE5ELNS1_11target_archE942ELNS1_3gpuE9ELNS1_3repE0EEENS1_48merge_mergepath_partition_config_static_selectorELNS0_4arch9wavefront6targetE0EEEvSK_,comdat
	.protected	_ZN7rocprim17ROCPRIM_400000_NS6detail17trampoline_kernelINS0_14default_configENS1_38merge_sort_block_merge_config_selectorIsNS0_10empty_typeEEEZZNS1_27merge_sort_block_merge_implIS3_N6thrust23THRUST_200600_302600_NS6detail15normal_iteratorINS9_10device_ptrIsEEEEPS5_m9comp_mod3IsEEE10hipError_tT0_T1_T2_jT3_P12ihipStream_tbPNSt15iterator_traitsISJ_E10value_typeEPNSP_ISK_E10value_typeEPSL_NS1_7vsmem_tEENKUlT_SJ_SK_SL_E_clISE_PsSF_SF_EESI_SY_SJ_SK_SL_EUlSY_E_NS1_11comp_targetILNS1_3genE5ELNS1_11target_archE942ELNS1_3gpuE9ELNS1_3repE0EEENS1_48merge_mergepath_partition_config_static_selectorELNS0_4arch9wavefront6targetE0EEEvSK_ ; -- Begin function _ZN7rocprim17ROCPRIM_400000_NS6detail17trampoline_kernelINS0_14default_configENS1_38merge_sort_block_merge_config_selectorIsNS0_10empty_typeEEEZZNS1_27merge_sort_block_merge_implIS3_N6thrust23THRUST_200600_302600_NS6detail15normal_iteratorINS9_10device_ptrIsEEEEPS5_m9comp_mod3IsEEE10hipError_tT0_T1_T2_jT3_P12ihipStream_tbPNSt15iterator_traitsISJ_E10value_typeEPNSP_ISK_E10value_typeEPSL_NS1_7vsmem_tEENKUlT_SJ_SK_SL_E_clISE_PsSF_SF_EESI_SY_SJ_SK_SL_EUlSY_E_NS1_11comp_targetILNS1_3genE5ELNS1_11target_archE942ELNS1_3gpuE9ELNS1_3repE0EEENS1_48merge_mergepath_partition_config_static_selectorELNS0_4arch9wavefront6targetE0EEEvSK_
	.globl	_ZN7rocprim17ROCPRIM_400000_NS6detail17trampoline_kernelINS0_14default_configENS1_38merge_sort_block_merge_config_selectorIsNS0_10empty_typeEEEZZNS1_27merge_sort_block_merge_implIS3_N6thrust23THRUST_200600_302600_NS6detail15normal_iteratorINS9_10device_ptrIsEEEEPS5_m9comp_mod3IsEEE10hipError_tT0_T1_T2_jT3_P12ihipStream_tbPNSt15iterator_traitsISJ_E10value_typeEPNSP_ISK_E10value_typeEPSL_NS1_7vsmem_tEENKUlT_SJ_SK_SL_E_clISE_PsSF_SF_EESI_SY_SJ_SK_SL_EUlSY_E_NS1_11comp_targetILNS1_3genE5ELNS1_11target_archE942ELNS1_3gpuE9ELNS1_3repE0EEENS1_48merge_mergepath_partition_config_static_selectorELNS0_4arch9wavefront6targetE0EEEvSK_
	.p2align	8
	.type	_ZN7rocprim17ROCPRIM_400000_NS6detail17trampoline_kernelINS0_14default_configENS1_38merge_sort_block_merge_config_selectorIsNS0_10empty_typeEEEZZNS1_27merge_sort_block_merge_implIS3_N6thrust23THRUST_200600_302600_NS6detail15normal_iteratorINS9_10device_ptrIsEEEEPS5_m9comp_mod3IsEEE10hipError_tT0_T1_T2_jT3_P12ihipStream_tbPNSt15iterator_traitsISJ_E10value_typeEPNSP_ISK_E10value_typeEPSL_NS1_7vsmem_tEENKUlT_SJ_SK_SL_E_clISE_PsSF_SF_EESI_SY_SJ_SK_SL_EUlSY_E_NS1_11comp_targetILNS1_3genE5ELNS1_11target_archE942ELNS1_3gpuE9ELNS1_3repE0EEENS1_48merge_mergepath_partition_config_static_selectorELNS0_4arch9wavefront6targetE0EEEvSK_,@function
_ZN7rocprim17ROCPRIM_400000_NS6detail17trampoline_kernelINS0_14default_configENS1_38merge_sort_block_merge_config_selectorIsNS0_10empty_typeEEEZZNS1_27merge_sort_block_merge_implIS3_N6thrust23THRUST_200600_302600_NS6detail15normal_iteratorINS9_10device_ptrIsEEEEPS5_m9comp_mod3IsEEE10hipError_tT0_T1_T2_jT3_P12ihipStream_tbPNSt15iterator_traitsISJ_E10value_typeEPNSP_ISK_E10value_typeEPSL_NS1_7vsmem_tEENKUlT_SJ_SK_SL_E_clISE_PsSF_SF_EESI_SY_SJ_SK_SL_EUlSY_E_NS1_11comp_targetILNS1_3genE5ELNS1_11target_archE942ELNS1_3gpuE9ELNS1_3repE0EEENS1_48merge_mergepath_partition_config_static_selectorELNS0_4arch9wavefront6targetE0EEEvSK_: ; @_ZN7rocprim17ROCPRIM_400000_NS6detail17trampoline_kernelINS0_14default_configENS1_38merge_sort_block_merge_config_selectorIsNS0_10empty_typeEEEZZNS1_27merge_sort_block_merge_implIS3_N6thrust23THRUST_200600_302600_NS6detail15normal_iteratorINS9_10device_ptrIsEEEEPS5_m9comp_mod3IsEEE10hipError_tT0_T1_T2_jT3_P12ihipStream_tbPNSt15iterator_traitsISJ_E10value_typeEPNSP_ISK_E10value_typeEPSL_NS1_7vsmem_tEENKUlT_SJ_SK_SL_E_clISE_PsSF_SF_EESI_SY_SJ_SK_SL_EUlSY_E_NS1_11comp_targetILNS1_3genE5ELNS1_11target_archE942ELNS1_3gpuE9ELNS1_3repE0EEENS1_48merge_mergepath_partition_config_static_selectorELNS0_4arch9wavefront6targetE0EEEvSK_
; %bb.0:
	.section	.rodata,"a",@progbits
	.p2align	6, 0x0
	.amdhsa_kernel _ZN7rocprim17ROCPRIM_400000_NS6detail17trampoline_kernelINS0_14default_configENS1_38merge_sort_block_merge_config_selectorIsNS0_10empty_typeEEEZZNS1_27merge_sort_block_merge_implIS3_N6thrust23THRUST_200600_302600_NS6detail15normal_iteratorINS9_10device_ptrIsEEEEPS5_m9comp_mod3IsEEE10hipError_tT0_T1_T2_jT3_P12ihipStream_tbPNSt15iterator_traitsISJ_E10value_typeEPNSP_ISK_E10value_typeEPSL_NS1_7vsmem_tEENKUlT_SJ_SK_SL_E_clISE_PsSF_SF_EESI_SY_SJ_SK_SL_EUlSY_E_NS1_11comp_targetILNS1_3genE5ELNS1_11target_archE942ELNS1_3gpuE9ELNS1_3repE0EEENS1_48merge_mergepath_partition_config_static_selectorELNS0_4arch9wavefront6targetE0EEEvSK_
		.amdhsa_group_segment_fixed_size 0
		.amdhsa_private_segment_fixed_size 0
		.amdhsa_kernarg_size 48
		.amdhsa_user_sgpr_count 6
		.amdhsa_user_sgpr_private_segment_buffer 1
		.amdhsa_user_sgpr_dispatch_ptr 0
		.amdhsa_user_sgpr_queue_ptr 0
		.amdhsa_user_sgpr_kernarg_segment_ptr 1
		.amdhsa_user_sgpr_dispatch_id 0
		.amdhsa_user_sgpr_flat_scratch_init 0
		.amdhsa_user_sgpr_private_segment_size 0
		.amdhsa_wavefront_size32 1
		.amdhsa_uses_dynamic_stack 0
		.amdhsa_system_sgpr_private_segment_wavefront_offset 0
		.amdhsa_system_sgpr_workgroup_id_x 1
		.amdhsa_system_sgpr_workgroup_id_y 0
		.amdhsa_system_sgpr_workgroup_id_z 0
		.amdhsa_system_sgpr_workgroup_info 0
		.amdhsa_system_vgpr_workitem_id 0
		.amdhsa_next_free_vgpr 1
		.amdhsa_next_free_sgpr 1
		.amdhsa_reserve_vcc 0
		.amdhsa_reserve_flat_scratch 0
		.amdhsa_float_round_mode_32 0
		.amdhsa_float_round_mode_16_64 0
		.amdhsa_float_denorm_mode_32 3
		.amdhsa_float_denorm_mode_16_64 3
		.amdhsa_dx10_clamp 1
		.amdhsa_ieee_mode 1
		.amdhsa_fp16_overflow 0
		.amdhsa_workgroup_processor_mode 1
		.amdhsa_memory_ordered 1
		.amdhsa_forward_progress 1
		.amdhsa_shared_vgpr_count 0
		.amdhsa_exception_fp_ieee_invalid_op 0
		.amdhsa_exception_fp_denorm_src 0
		.amdhsa_exception_fp_ieee_div_zero 0
		.amdhsa_exception_fp_ieee_overflow 0
		.amdhsa_exception_fp_ieee_underflow 0
		.amdhsa_exception_fp_ieee_inexact 0
		.amdhsa_exception_int_div_zero 0
	.end_amdhsa_kernel
	.section	.text._ZN7rocprim17ROCPRIM_400000_NS6detail17trampoline_kernelINS0_14default_configENS1_38merge_sort_block_merge_config_selectorIsNS0_10empty_typeEEEZZNS1_27merge_sort_block_merge_implIS3_N6thrust23THRUST_200600_302600_NS6detail15normal_iteratorINS9_10device_ptrIsEEEEPS5_m9comp_mod3IsEEE10hipError_tT0_T1_T2_jT3_P12ihipStream_tbPNSt15iterator_traitsISJ_E10value_typeEPNSP_ISK_E10value_typeEPSL_NS1_7vsmem_tEENKUlT_SJ_SK_SL_E_clISE_PsSF_SF_EESI_SY_SJ_SK_SL_EUlSY_E_NS1_11comp_targetILNS1_3genE5ELNS1_11target_archE942ELNS1_3gpuE9ELNS1_3repE0EEENS1_48merge_mergepath_partition_config_static_selectorELNS0_4arch9wavefront6targetE0EEEvSK_,"axG",@progbits,_ZN7rocprim17ROCPRIM_400000_NS6detail17trampoline_kernelINS0_14default_configENS1_38merge_sort_block_merge_config_selectorIsNS0_10empty_typeEEEZZNS1_27merge_sort_block_merge_implIS3_N6thrust23THRUST_200600_302600_NS6detail15normal_iteratorINS9_10device_ptrIsEEEEPS5_m9comp_mod3IsEEE10hipError_tT0_T1_T2_jT3_P12ihipStream_tbPNSt15iterator_traitsISJ_E10value_typeEPNSP_ISK_E10value_typeEPSL_NS1_7vsmem_tEENKUlT_SJ_SK_SL_E_clISE_PsSF_SF_EESI_SY_SJ_SK_SL_EUlSY_E_NS1_11comp_targetILNS1_3genE5ELNS1_11target_archE942ELNS1_3gpuE9ELNS1_3repE0EEENS1_48merge_mergepath_partition_config_static_selectorELNS0_4arch9wavefront6targetE0EEEvSK_,comdat
.Lfunc_end1072:
	.size	_ZN7rocprim17ROCPRIM_400000_NS6detail17trampoline_kernelINS0_14default_configENS1_38merge_sort_block_merge_config_selectorIsNS0_10empty_typeEEEZZNS1_27merge_sort_block_merge_implIS3_N6thrust23THRUST_200600_302600_NS6detail15normal_iteratorINS9_10device_ptrIsEEEEPS5_m9comp_mod3IsEEE10hipError_tT0_T1_T2_jT3_P12ihipStream_tbPNSt15iterator_traitsISJ_E10value_typeEPNSP_ISK_E10value_typeEPSL_NS1_7vsmem_tEENKUlT_SJ_SK_SL_E_clISE_PsSF_SF_EESI_SY_SJ_SK_SL_EUlSY_E_NS1_11comp_targetILNS1_3genE5ELNS1_11target_archE942ELNS1_3gpuE9ELNS1_3repE0EEENS1_48merge_mergepath_partition_config_static_selectorELNS0_4arch9wavefront6targetE0EEEvSK_, .Lfunc_end1072-_ZN7rocprim17ROCPRIM_400000_NS6detail17trampoline_kernelINS0_14default_configENS1_38merge_sort_block_merge_config_selectorIsNS0_10empty_typeEEEZZNS1_27merge_sort_block_merge_implIS3_N6thrust23THRUST_200600_302600_NS6detail15normal_iteratorINS9_10device_ptrIsEEEEPS5_m9comp_mod3IsEEE10hipError_tT0_T1_T2_jT3_P12ihipStream_tbPNSt15iterator_traitsISJ_E10value_typeEPNSP_ISK_E10value_typeEPSL_NS1_7vsmem_tEENKUlT_SJ_SK_SL_E_clISE_PsSF_SF_EESI_SY_SJ_SK_SL_EUlSY_E_NS1_11comp_targetILNS1_3genE5ELNS1_11target_archE942ELNS1_3gpuE9ELNS1_3repE0EEENS1_48merge_mergepath_partition_config_static_selectorELNS0_4arch9wavefront6targetE0EEEvSK_
                                        ; -- End function
	.set _ZN7rocprim17ROCPRIM_400000_NS6detail17trampoline_kernelINS0_14default_configENS1_38merge_sort_block_merge_config_selectorIsNS0_10empty_typeEEEZZNS1_27merge_sort_block_merge_implIS3_N6thrust23THRUST_200600_302600_NS6detail15normal_iteratorINS9_10device_ptrIsEEEEPS5_m9comp_mod3IsEEE10hipError_tT0_T1_T2_jT3_P12ihipStream_tbPNSt15iterator_traitsISJ_E10value_typeEPNSP_ISK_E10value_typeEPSL_NS1_7vsmem_tEENKUlT_SJ_SK_SL_E_clISE_PsSF_SF_EESI_SY_SJ_SK_SL_EUlSY_E_NS1_11comp_targetILNS1_3genE5ELNS1_11target_archE942ELNS1_3gpuE9ELNS1_3repE0EEENS1_48merge_mergepath_partition_config_static_selectorELNS0_4arch9wavefront6targetE0EEEvSK_.num_vgpr, 0
	.set _ZN7rocprim17ROCPRIM_400000_NS6detail17trampoline_kernelINS0_14default_configENS1_38merge_sort_block_merge_config_selectorIsNS0_10empty_typeEEEZZNS1_27merge_sort_block_merge_implIS3_N6thrust23THRUST_200600_302600_NS6detail15normal_iteratorINS9_10device_ptrIsEEEEPS5_m9comp_mod3IsEEE10hipError_tT0_T1_T2_jT3_P12ihipStream_tbPNSt15iterator_traitsISJ_E10value_typeEPNSP_ISK_E10value_typeEPSL_NS1_7vsmem_tEENKUlT_SJ_SK_SL_E_clISE_PsSF_SF_EESI_SY_SJ_SK_SL_EUlSY_E_NS1_11comp_targetILNS1_3genE5ELNS1_11target_archE942ELNS1_3gpuE9ELNS1_3repE0EEENS1_48merge_mergepath_partition_config_static_selectorELNS0_4arch9wavefront6targetE0EEEvSK_.num_agpr, 0
	.set _ZN7rocprim17ROCPRIM_400000_NS6detail17trampoline_kernelINS0_14default_configENS1_38merge_sort_block_merge_config_selectorIsNS0_10empty_typeEEEZZNS1_27merge_sort_block_merge_implIS3_N6thrust23THRUST_200600_302600_NS6detail15normal_iteratorINS9_10device_ptrIsEEEEPS5_m9comp_mod3IsEEE10hipError_tT0_T1_T2_jT3_P12ihipStream_tbPNSt15iterator_traitsISJ_E10value_typeEPNSP_ISK_E10value_typeEPSL_NS1_7vsmem_tEENKUlT_SJ_SK_SL_E_clISE_PsSF_SF_EESI_SY_SJ_SK_SL_EUlSY_E_NS1_11comp_targetILNS1_3genE5ELNS1_11target_archE942ELNS1_3gpuE9ELNS1_3repE0EEENS1_48merge_mergepath_partition_config_static_selectorELNS0_4arch9wavefront6targetE0EEEvSK_.numbered_sgpr, 0
	.set _ZN7rocprim17ROCPRIM_400000_NS6detail17trampoline_kernelINS0_14default_configENS1_38merge_sort_block_merge_config_selectorIsNS0_10empty_typeEEEZZNS1_27merge_sort_block_merge_implIS3_N6thrust23THRUST_200600_302600_NS6detail15normal_iteratorINS9_10device_ptrIsEEEEPS5_m9comp_mod3IsEEE10hipError_tT0_T1_T2_jT3_P12ihipStream_tbPNSt15iterator_traitsISJ_E10value_typeEPNSP_ISK_E10value_typeEPSL_NS1_7vsmem_tEENKUlT_SJ_SK_SL_E_clISE_PsSF_SF_EESI_SY_SJ_SK_SL_EUlSY_E_NS1_11comp_targetILNS1_3genE5ELNS1_11target_archE942ELNS1_3gpuE9ELNS1_3repE0EEENS1_48merge_mergepath_partition_config_static_selectorELNS0_4arch9wavefront6targetE0EEEvSK_.num_named_barrier, 0
	.set _ZN7rocprim17ROCPRIM_400000_NS6detail17trampoline_kernelINS0_14default_configENS1_38merge_sort_block_merge_config_selectorIsNS0_10empty_typeEEEZZNS1_27merge_sort_block_merge_implIS3_N6thrust23THRUST_200600_302600_NS6detail15normal_iteratorINS9_10device_ptrIsEEEEPS5_m9comp_mod3IsEEE10hipError_tT0_T1_T2_jT3_P12ihipStream_tbPNSt15iterator_traitsISJ_E10value_typeEPNSP_ISK_E10value_typeEPSL_NS1_7vsmem_tEENKUlT_SJ_SK_SL_E_clISE_PsSF_SF_EESI_SY_SJ_SK_SL_EUlSY_E_NS1_11comp_targetILNS1_3genE5ELNS1_11target_archE942ELNS1_3gpuE9ELNS1_3repE0EEENS1_48merge_mergepath_partition_config_static_selectorELNS0_4arch9wavefront6targetE0EEEvSK_.private_seg_size, 0
	.set _ZN7rocprim17ROCPRIM_400000_NS6detail17trampoline_kernelINS0_14default_configENS1_38merge_sort_block_merge_config_selectorIsNS0_10empty_typeEEEZZNS1_27merge_sort_block_merge_implIS3_N6thrust23THRUST_200600_302600_NS6detail15normal_iteratorINS9_10device_ptrIsEEEEPS5_m9comp_mod3IsEEE10hipError_tT0_T1_T2_jT3_P12ihipStream_tbPNSt15iterator_traitsISJ_E10value_typeEPNSP_ISK_E10value_typeEPSL_NS1_7vsmem_tEENKUlT_SJ_SK_SL_E_clISE_PsSF_SF_EESI_SY_SJ_SK_SL_EUlSY_E_NS1_11comp_targetILNS1_3genE5ELNS1_11target_archE942ELNS1_3gpuE9ELNS1_3repE0EEENS1_48merge_mergepath_partition_config_static_selectorELNS0_4arch9wavefront6targetE0EEEvSK_.uses_vcc, 0
	.set _ZN7rocprim17ROCPRIM_400000_NS6detail17trampoline_kernelINS0_14default_configENS1_38merge_sort_block_merge_config_selectorIsNS0_10empty_typeEEEZZNS1_27merge_sort_block_merge_implIS3_N6thrust23THRUST_200600_302600_NS6detail15normal_iteratorINS9_10device_ptrIsEEEEPS5_m9comp_mod3IsEEE10hipError_tT0_T1_T2_jT3_P12ihipStream_tbPNSt15iterator_traitsISJ_E10value_typeEPNSP_ISK_E10value_typeEPSL_NS1_7vsmem_tEENKUlT_SJ_SK_SL_E_clISE_PsSF_SF_EESI_SY_SJ_SK_SL_EUlSY_E_NS1_11comp_targetILNS1_3genE5ELNS1_11target_archE942ELNS1_3gpuE9ELNS1_3repE0EEENS1_48merge_mergepath_partition_config_static_selectorELNS0_4arch9wavefront6targetE0EEEvSK_.uses_flat_scratch, 0
	.set _ZN7rocprim17ROCPRIM_400000_NS6detail17trampoline_kernelINS0_14default_configENS1_38merge_sort_block_merge_config_selectorIsNS0_10empty_typeEEEZZNS1_27merge_sort_block_merge_implIS3_N6thrust23THRUST_200600_302600_NS6detail15normal_iteratorINS9_10device_ptrIsEEEEPS5_m9comp_mod3IsEEE10hipError_tT0_T1_T2_jT3_P12ihipStream_tbPNSt15iterator_traitsISJ_E10value_typeEPNSP_ISK_E10value_typeEPSL_NS1_7vsmem_tEENKUlT_SJ_SK_SL_E_clISE_PsSF_SF_EESI_SY_SJ_SK_SL_EUlSY_E_NS1_11comp_targetILNS1_3genE5ELNS1_11target_archE942ELNS1_3gpuE9ELNS1_3repE0EEENS1_48merge_mergepath_partition_config_static_selectorELNS0_4arch9wavefront6targetE0EEEvSK_.has_dyn_sized_stack, 0
	.set _ZN7rocprim17ROCPRIM_400000_NS6detail17trampoline_kernelINS0_14default_configENS1_38merge_sort_block_merge_config_selectorIsNS0_10empty_typeEEEZZNS1_27merge_sort_block_merge_implIS3_N6thrust23THRUST_200600_302600_NS6detail15normal_iteratorINS9_10device_ptrIsEEEEPS5_m9comp_mod3IsEEE10hipError_tT0_T1_T2_jT3_P12ihipStream_tbPNSt15iterator_traitsISJ_E10value_typeEPNSP_ISK_E10value_typeEPSL_NS1_7vsmem_tEENKUlT_SJ_SK_SL_E_clISE_PsSF_SF_EESI_SY_SJ_SK_SL_EUlSY_E_NS1_11comp_targetILNS1_3genE5ELNS1_11target_archE942ELNS1_3gpuE9ELNS1_3repE0EEENS1_48merge_mergepath_partition_config_static_selectorELNS0_4arch9wavefront6targetE0EEEvSK_.has_recursion, 0
	.set _ZN7rocprim17ROCPRIM_400000_NS6detail17trampoline_kernelINS0_14default_configENS1_38merge_sort_block_merge_config_selectorIsNS0_10empty_typeEEEZZNS1_27merge_sort_block_merge_implIS3_N6thrust23THRUST_200600_302600_NS6detail15normal_iteratorINS9_10device_ptrIsEEEEPS5_m9comp_mod3IsEEE10hipError_tT0_T1_T2_jT3_P12ihipStream_tbPNSt15iterator_traitsISJ_E10value_typeEPNSP_ISK_E10value_typeEPSL_NS1_7vsmem_tEENKUlT_SJ_SK_SL_E_clISE_PsSF_SF_EESI_SY_SJ_SK_SL_EUlSY_E_NS1_11comp_targetILNS1_3genE5ELNS1_11target_archE942ELNS1_3gpuE9ELNS1_3repE0EEENS1_48merge_mergepath_partition_config_static_selectorELNS0_4arch9wavefront6targetE0EEEvSK_.has_indirect_call, 0
	.section	.AMDGPU.csdata,"",@progbits
; Kernel info:
; codeLenInByte = 0
; TotalNumSgprs: 0
; NumVgprs: 0
; ScratchSize: 0
; MemoryBound: 0
; FloatMode: 240
; IeeeMode: 1
; LDSByteSize: 0 bytes/workgroup (compile time only)
; SGPRBlocks: 0
; VGPRBlocks: 0
; NumSGPRsForWavesPerEU: 1
; NumVGPRsForWavesPerEU: 1
; Occupancy: 16
; WaveLimiterHint : 0
; COMPUTE_PGM_RSRC2:SCRATCH_EN: 0
; COMPUTE_PGM_RSRC2:USER_SGPR: 6
; COMPUTE_PGM_RSRC2:TRAP_HANDLER: 0
; COMPUTE_PGM_RSRC2:TGID_X_EN: 1
; COMPUTE_PGM_RSRC2:TGID_Y_EN: 0
; COMPUTE_PGM_RSRC2:TGID_Z_EN: 0
; COMPUTE_PGM_RSRC2:TIDIG_COMP_CNT: 0
	.section	.text._ZN7rocprim17ROCPRIM_400000_NS6detail17trampoline_kernelINS0_14default_configENS1_38merge_sort_block_merge_config_selectorIsNS0_10empty_typeEEEZZNS1_27merge_sort_block_merge_implIS3_N6thrust23THRUST_200600_302600_NS6detail15normal_iteratorINS9_10device_ptrIsEEEEPS5_m9comp_mod3IsEEE10hipError_tT0_T1_T2_jT3_P12ihipStream_tbPNSt15iterator_traitsISJ_E10value_typeEPNSP_ISK_E10value_typeEPSL_NS1_7vsmem_tEENKUlT_SJ_SK_SL_E_clISE_PsSF_SF_EESI_SY_SJ_SK_SL_EUlSY_E_NS1_11comp_targetILNS1_3genE4ELNS1_11target_archE910ELNS1_3gpuE8ELNS1_3repE0EEENS1_48merge_mergepath_partition_config_static_selectorELNS0_4arch9wavefront6targetE0EEEvSK_,"axG",@progbits,_ZN7rocprim17ROCPRIM_400000_NS6detail17trampoline_kernelINS0_14default_configENS1_38merge_sort_block_merge_config_selectorIsNS0_10empty_typeEEEZZNS1_27merge_sort_block_merge_implIS3_N6thrust23THRUST_200600_302600_NS6detail15normal_iteratorINS9_10device_ptrIsEEEEPS5_m9comp_mod3IsEEE10hipError_tT0_T1_T2_jT3_P12ihipStream_tbPNSt15iterator_traitsISJ_E10value_typeEPNSP_ISK_E10value_typeEPSL_NS1_7vsmem_tEENKUlT_SJ_SK_SL_E_clISE_PsSF_SF_EESI_SY_SJ_SK_SL_EUlSY_E_NS1_11comp_targetILNS1_3genE4ELNS1_11target_archE910ELNS1_3gpuE8ELNS1_3repE0EEENS1_48merge_mergepath_partition_config_static_selectorELNS0_4arch9wavefront6targetE0EEEvSK_,comdat
	.protected	_ZN7rocprim17ROCPRIM_400000_NS6detail17trampoline_kernelINS0_14default_configENS1_38merge_sort_block_merge_config_selectorIsNS0_10empty_typeEEEZZNS1_27merge_sort_block_merge_implIS3_N6thrust23THRUST_200600_302600_NS6detail15normal_iteratorINS9_10device_ptrIsEEEEPS5_m9comp_mod3IsEEE10hipError_tT0_T1_T2_jT3_P12ihipStream_tbPNSt15iterator_traitsISJ_E10value_typeEPNSP_ISK_E10value_typeEPSL_NS1_7vsmem_tEENKUlT_SJ_SK_SL_E_clISE_PsSF_SF_EESI_SY_SJ_SK_SL_EUlSY_E_NS1_11comp_targetILNS1_3genE4ELNS1_11target_archE910ELNS1_3gpuE8ELNS1_3repE0EEENS1_48merge_mergepath_partition_config_static_selectorELNS0_4arch9wavefront6targetE0EEEvSK_ ; -- Begin function _ZN7rocprim17ROCPRIM_400000_NS6detail17trampoline_kernelINS0_14default_configENS1_38merge_sort_block_merge_config_selectorIsNS0_10empty_typeEEEZZNS1_27merge_sort_block_merge_implIS3_N6thrust23THRUST_200600_302600_NS6detail15normal_iteratorINS9_10device_ptrIsEEEEPS5_m9comp_mod3IsEEE10hipError_tT0_T1_T2_jT3_P12ihipStream_tbPNSt15iterator_traitsISJ_E10value_typeEPNSP_ISK_E10value_typeEPSL_NS1_7vsmem_tEENKUlT_SJ_SK_SL_E_clISE_PsSF_SF_EESI_SY_SJ_SK_SL_EUlSY_E_NS1_11comp_targetILNS1_3genE4ELNS1_11target_archE910ELNS1_3gpuE8ELNS1_3repE0EEENS1_48merge_mergepath_partition_config_static_selectorELNS0_4arch9wavefront6targetE0EEEvSK_
	.globl	_ZN7rocprim17ROCPRIM_400000_NS6detail17trampoline_kernelINS0_14default_configENS1_38merge_sort_block_merge_config_selectorIsNS0_10empty_typeEEEZZNS1_27merge_sort_block_merge_implIS3_N6thrust23THRUST_200600_302600_NS6detail15normal_iteratorINS9_10device_ptrIsEEEEPS5_m9comp_mod3IsEEE10hipError_tT0_T1_T2_jT3_P12ihipStream_tbPNSt15iterator_traitsISJ_E10value_typeEPNSP_ISK_E10value_typeEPSL_NS1_7vsmem_tEENKUlT_SJ_SK_SL_E_clISE_PsSF_SF_EESI_SY_SJ_SK_SL_EUlSY_E_NS1_11comp_targetILNS1_3genE4ELNS1_11target_archE910ELNS1_3gpuE8ELNS1_3repE0EEENS1_48merge_mergepath_partition_config_static_selectorELNS0_4arch9wavefront6targetE0EEEvSK_
	.p2align	8
	.type	_ZN7rocprim17ROCPRIM_400000_NS6detail17trampoline_kernelINS0_14default_configENS1_38merge_sort_block_merge_config_selectorIsNS0_10empty_typeEEEZZNS1_27merge_sort_block_merge_implIS3_N6thrust23THRUST_200600_302600_NS6detail15normal_iteratorINS9_10device_ptrIsEEEEPS5_m9comp_mod3IsEEE10hipError_tT0_T1_T2_jT3_P12ihipStream_tbPNSt15iterator_traitsISJ_E10value_typeEPNSP_ISK_E10value_typeEPSL_NS1_7vsmem_tEENKUlT_SJ_SK_SL_E_clISE_PsSF_SF_EESI_SY_SJ_SK_SL_EUlSY_E_NS1_11comp_targetILNS1_3genE4ELNS1_11target_archE910ELNS1_3gpuE8ELNS1_3repE0EEENS1_48merge_mergepath_partition_config_static_selectorELNS0_4arch9wavefront6targetE0EEEvSK_,@function
_ZN7rocprim17ROCPRIM_400000_NS6detail17trampoline_kernelINS0_14default_configENS1_38merge_sort_block_merge_config_selectorIsNS0_10empty_typeEEEZZNS1_27merge_sort_block_merge_implIS3_N6thrust23THRUST_200600_302600_NS6detail15normal_iteratorINS9_10device_ptrIsEEEEPS5_m9comp_mod3IsEEE10hipError_tT0_T1_T2_jT3_P12ihipStream_tbPNSt15iterator_traitsISJ_E10value_typeEPNSP_ISK_E10value_typeEPSL_NS1_7vsmem_tEENKUlT_SJ_SK_SL_E_clISE_PsSF_SF_EESI_SY_SJ_SK_SL_EUlSY_E_NS1_11comp_targetILNS1_3genE4ELNS1_11target_archE910ELNS1_3gpuE8ELNS1_3repE0EEENS1_48merge_mergepath_partition_config_static_selectorELNS0_4arch9wavefront6targetE0EEEvSK_: ; @_ZN7rocprim17ROCPRIM_400000_NS6detail17trampoline_kernelINS0_14default_configENS1_38merge_sort_block_merge_config_selectorIsNS0_10empty_typeEEEZZNS1_27merge_sort_block_merge_implIS3_N6thrust23THRUST_200600_302600_NS6detail15normal_iteratorINS9_10device_ptrIsEEEEPS5_m9comp_mod3IsEEE10hipError_tT0_T1_T2_jT3_P12ihipStream_tbPNSt15iterator_traitsISJ_E10value_typeEPNSP_ISK_E10value_typeEPSL_NS1_7vsmem_tEENKUlT_SJ_SK_SL_E_clISE_PsSF_SF_EESI_SY_SJ_SK_SL_EUlSY_E_NS1_11comp_targetILNS1_3genE4ELNS1_11target_archE910ELNS1_3gpuE8ELNS1_3repE0EEENS1_48merge_mergepath_partition_config_static_selectorELNS0_4arch9wavefront6targetE0EEEvSK_
; %bb.0:
	.section	.rodata,"a",@progbits
	.p2align	6, 0x0
	.amdhsa_kernel _ZN7rocprim17ROCPRIM_400000_NS6detail17trampoline_kernelINS0_14default_configENS1_38merge_sort_block_merge_config_selectorIsNS0_10empty_typeEEEZZNS1_27merge_sort_block_merge_implIS3_N6thrust23THRUST_200600_302600_NS6detail15normal_iteratorINS9_10device_ptrIsEEEEPS5_m9comp_mod3IsEEE10hipError_tT0_T1_T2_jT3_P12ihipStream_tbPNSt15iterator_traitsISJ_E10value_typeEPNSP_ISK_E10value_typeEPSL_NS1_7vsmem_tEENKUlT_SJ_SK_SL_E_clISE_PsSF_SF_EESI_SY_SJ_SK_SL_EUlSY_E_NS1_11comp_targetILNS1_3genE4ELNS1_11target_archE910ELNS1_3gpuE8ELNS1_3repE0EEENS1_48merge_mergepath_partition_config_static_selectorELNS0_4arch9wavefront6targetE0EEEvSK_
		.amdhsa_group_segment_fixed_size 0
		.amdhsa_private_segment_fixed_size 0
		.amdhsa_kernarg_size 48
		.amdhsa_user_sgpr_count 6
		.amdhsa_user_sgpr_private_segment_buffer 1
		.amdhsa_user_sgpr_dispatch_ptr 0
		.amdhsa_user_sgpr_queue_ptr 0
		.amdhsa_user_sgpr_kernarg_segment_ptr 1
		.amdhsa_user_sgpr_dispatch_id 0
		.amdhsa_user_sgpr_flat_scratch_init 0
		.amdhsa_user_sgpr_private_segment_size 0
		.amdhsa_wavefront_size32 1
		.amdhsa_uses_dynamic_stack 0
		.amdhsa_system_sgpr_private_segment_wavefront_offset 0
		.amdhsa_system_sgpr_workgroup_id_x 1
		.amdhsa_system_sgpr_workgroup_id_y 0
		.amdhsa_system_sgpr_workgroup_id_z 0
		.amdhsa_system_sgpr_workgroup_info 0
		.amdhsa_system_vgpr_workitem_id 0
		.amdhsa_next_free_vgpr 1
		.amdhsa_next_free_sgpr 1
		.amdhsa_reserve_vcc 0
		.amdhsa_reserve_flat_scratch 0
		.amdhsa_float_round_mode_32 0
		.amdhsa_float_round_mode_16_64 0
		.amdhsa_float_denorm_mode_32 3
		.amdhsa_float_denorm_mode_16_64 3
		.amdhsa_dx10_clamp 1
		.amdhsa_ieee_mode 1
		.amdhsa_fp16_overflow 0
		.amdhsa_workgroup_processor_mode 1
		.amdhsa_memory_ordered 1
		.amdhsa_forward_progress 1
		.amdhsa_shared_vgpr_count 0
		.amdhsa_exception_fp_ieee_invalid_op 0
		.amdhsa_exception_fp_denorm_src 0
		.amdhsa_exception_fp_ieee_div_zero 0
		.amdhsa_exception_fp_ieee_overflow 0
		.amdhsa_exception_fp_ieee_underflow 0
		.amdhsa_exception_fp_ieee_inexact 0
		.amdhsa_exception_int_div_zero 0
	.end_amdhsa_kernel
	.section	.text._ZN7rocprim17ROCPRIM_400000_NS6detail17trampoline_kernelINS0_14default_configENS1_38merge_sort_block_merge_config_selectorIsNS0_10empty_typeEEEZZNS1_27merge_sort_block_merge_implIS3_N6thrust23THRUST_200600_302600_NS6detail15normal_iteratorINS9_10device_ptrIsEEEEPS5_m9comp_mod3IsEEE10hipError_tT0_T1_T2_jT3_P12ihipStream_tbPNSt15iterator_traitsISJ_E10value_typeEPNSP_ISK_E10value_typeEPSL_NS1_7vsmem_tEENKUlT_SJ_SK_SL_E_clISE_PsSF_SF_EESI_SY_SJ_SK_SL_EUlSY_E_NS1_11comp_targetILNS1_3genE4ELNS1_11target_archE910ELNS1_3gpuE8ELNS1_3repE0EEENS1_48merge_mergepath_partition_config_static_selectorELNS0_4arch9wavefront6targetE0EEEvSK_,"axG",@progbits,_ZN7rocprim17ROCPRIM_400000_NS6detail17trampoline_kernelINS0_14default_configENS1_38merge_sort_block_merge_config_selectorIsNS0_10empty_typeEEEZZNS1_27merge_sort_block_merge_implIS3_N6thrust23THRUST_200600_302600_NS6detail15normal_iteratorINS9_10device_ptrIsEEEEPS5_m9comp_mod3IsEEE10hipError_tT0_T1_T2_jT3_P12ihipStream_tbPNSt15iterator_traitsISJ_E10value_typeEPNSP_ISK_E10value_typeEPSL_NS1_7vsmem_tEENKUlT_SJ_SK_SL_E_clISE_PsSF_SF_EESI_SY_SJ_SK_SL_EUlSY_E_NS1_11comp_targetILNS1_3genE4ELNS1_11target_archE910ELNS1_3gpuE8ELNS1_3repE0EEENS1_48merge_mergepath_partition_config_static_selectorELNS0_4arch9wavefront6targetE0EEEvSK_,comdat
.Lfunc_end1073:
	.size	_ZN7rocprim17ROCPRIM_400000_NS6detail17trampoline_kernelINS0_14default_configENS1_38merge_sort_block_merge_config_selectorIsNS0_10empty_typeEEEZZNS1_27merge_sort_block_merge_implIS3_N6thrust23THRUST_200600_302600_NS6detail15normal_iteratorINS9_10device_ptrIsEEEEPS5_m9comp_mod3IsEEE10hipError_tT0_T1_T2_jT3_P12ihipStream_tbPNSt15iterator_traitsISJ_E10value_typeEPNSP_ISK_E10value_typeEPSL_NS1_7vsmem_tEENKUlT_SJ_SK_SL_E_clISE_PsSF_SF_EESI_SY_SJ_SK_SL_EUlSY_E_NS1_11comp_targetILNS1_3genE4ELNS1_11target_archE910ELNS1_3gpuE8ELNS1_3repE0EEENS1_48merge_mergepath_partition_config_static_selectorELNS0_4arch9wavefront6targetE0EEEvSK_, .Lfunc_end1073-_ZN7rocprim17ROCPRIM_400000_NS6detail17trampoline_kernelINS0_14default_configENS1_38merge_sort_block_merge_config_selectorIsNS0_10empty_typeEEEZZNS1_27merge_sort_block_merge_implIS3_N6thrust23THRUST_200600_302600_NS6detail15normal_iteratorINS9_10device_ptrIsEEEEPS5_m9comp_mod3IsEEE10hipError_tT0_T1_T2_jT3_P12ihipStream_tbPNSt15iterator_traitsISJ_E10value_typeEPNSP_ISK_E10value_typeEPSL_NS1_7vsmem_tEENKUlT_SJ_SK_SL_E_clISE_PsSF_SF_EESI_SY_SJ_SK_SL_EUlSY_E_NS1_11comp_targetILNS1_3genE4ELNS1_11target_archE910ELNS1_3gpuE8ELNS1_3repE0EEENS1_48merge_mergepath_partition_config_static_selectorELNS0_4arch9wavefront6targetE0EEEvSK_
                                        ; -- End function
	.set _ZN7rocprim17ROCPRIM_400000_NS6detail17trampoline_kernelINS0_14default_configENS1_38merge_sort_block_merge_config_selectorIsNS0_10empty_typeEEEZZNS1_27merge_sort_block_merge_implIS3_N6thrust23THRUST_200600_302600_NS6detail15normal_iteratorINS9_10device_ptrIsEEEEPS5_m9comp_mod3IsEEE10hipError_tT0_T1_T2_jT3_P12ihipStream_tbPNSt15iterator_traitsISJ_E10value_typeEPNSP_ISK_E10value_typeEPSL_NS1_7vsmem_tEENKUlT_SJ_SK_SL_E_clISE_PsSF_SF_EESI_SY_SJ_SK_SL_EUlSY_E_NS1_11comp_targetILNS1_3genE4ELNS1_11target_archE910ELNS1_3gpuE8ELNS1_3repE0EEENS1_48merge_mergepath_partition_config_static_selectorELNS0_4arch9wavefront6targetE0EEEvSK_.num_vgpr, 0
	.set _ZN7rocprim17ROCPRIM_400000_NS6detail17trampoline_kernelINS0_14default_configENS1_38merge_sort_block_merge_config_selectorIsNS0_10empty_typeEEEZZNS1_27merge_sort_block_merge_implIS3_N6thrust23THRUST_200600_302600_NS6detail15normal_iteratorINS9_10device_ptrIsEEEEPS5_m9comp_mod3IsEEE10hipError_tT0_T1_T2_jT3_P12ihipStream_tbPNSt15iterator_traitsISJ_E10value_typeEPNSP_ISK_E10value_typeEPSL_NS1_7vsmem_tEENKUlT_SJ_SK_SL_E_clISE_PsSF_SF_EESI_SY_SJ_SK_SL_EUlSY_E_NS1_11comp_targetILNS1_3genE4ELNS1_11target_archE910ELNS1_3gpuE8ELNS1_3repE0EEENS1_48merge_mergepath_partition_config_static_selectorELNS0_4arch9wavefront6targetE0EEEvSK_.num_agpr, 0
	.set _ZN7rocprim17ROCPRIM_400000_NS6detail17trampoline_kernelINS0_14default_configENS1_38merge_sort_block_merge_config_selectorIsNS0_10empty_typeEEEZZNS1_27merge_sort_block_merge_implIS3_N6thrust23THRUST_200600_302600_NS6detail15normal_iteratorINS9_10device_ptrIsEEEEPS5_m9comp_mod3IsEEE10hipError_tT0_T1_T2_jT3_P12ihipStream_tbPNSt15iterator_traitsISJ_E10value_typeEPNSP_ISK_E10value_typeEPSL_NS1_7vsmem_tEENKUlT_SJ_SK_SL_E_clISE_PsSF_SF_EESI_SY_SJ_SK_SL_EUlSY_E_NS1_11comp_targetILNS1_3genE4ELNS1_11target_archE910ELNS1_3gpuE8ELNS1_3repE0EEENS1_48merge_mergepath_partition_config_static_selectorELNS0_4arch9wavefront6targetE0EEEvSK_.numbered_sgpr, 0
	.set _ZN7rocprim17ROCPRIM_400000_NS6detail17trampoline_kernelINS0_14default_configENS1_38merge_sort_block_merge_config_selectorIsNS0_10empty_typeEEEZZNS1_27merge_sort_block_merge_implIS3_N6thrust23THRUST_200600_302600_NS6detail15normal_iteratorINS9_10device_ptrIsEEEEPS5_m9comp_mod3IsEEE10hipError_tT0_T1_T2_jT3_P12ihipStream_tbPNSt15iterator_traitsISJ_E10value_typeEPNSP_ISK_E10value_typeEPSL_NS1_7vsmem_tEENKUlT_SJ_SK_SL_E_clISE_PsSF_SF_EESI_SY_SJ_SK_SL_EUlSY_E_NS1_11comp_targetILNS1_3genE4ELNS1_11target_archE910ELNS1_3gpuE8ELNS1_3repE0EEENS1_48merge_mergepath_partition_config_static_selectorELNS0_4arch9wavefront6targetE0EEEvSK_.num_named_barrier, 0
	.set _ZN7rocprim17ROCPRIM_400000_NS6detail17trampoline_kernelINS0_14default_configENS1_38merge_sort_block_merge_config_selectorIsNS0_10empty_typeEEEZZNS1_27merge_sort_block_merge_implIS3_N6thrust23THRUST_200600_302600_NS6detail15normal_iteratorINS9_10device_ptrIsEEEEPS5_m9comp_mod3IsEEE10hipError_tT0_T1_T2_jT3_P12ihipStream_tbPNSt15iterator_traitsISJ_E10value_typeEPNSP_ISK_E10value_typeEPSL_NS1_7vsmem_tEENKUlT_SJ_SK_SL_E_clISE_PsSF_SF_EESI_SY_SJ_SK_SL_EUlSY_E_NS1_11comp_targetILNS1_3genE4ELNS1_11target_archE910ELNS1_3gpuE8ELNS1_3repE0EEENS1_48merge_mergepath_partition_config_static_selectorELNS0_4arch9wavefront6targetE0EEEvSK_.private_seg_size, 0
	.set _ZN7rocprim17ROCPRIM_400000_NS6detail17trampoline_kernelINS0_14default_configENS1_38merge_sort_block_merge_config_selectorIsNS0_10empty_typeEEEZZNS1_27merge_sort_block_merge_implIS3_N6thrust23THRUST_200600_302600_NS6detail15normal_iteratorINS9_10device_ptrIsEEEEPS5_m9comp_mod3IsEEE10hipError_tT0_T1_T2_jT3_P12ihipStream_tbPNSt15iterator_traitsISJ_E10value_typeEPNSP_ISK_E10value_typeEPSL_NS1_7vsmem_tEENKUlT_SJ_SK_SL_E_clISE_PsSF_SF_EESI_SY_SJ_SK_SL_EUlSY_E_NS1_11comp_targetILNS1_3genE4ELNS1_11target_archE910ELNS1_3gpuE8ELNS1_3repE0EEENS1_48merge_mergepath_partition_config_static_selectorELNS0_4arch9wavefront6targetE0EEEvSK_.uses_vcc, 0
	.set _ZN7rocprim17ROCPRIM_400000_NS6detail17trampoline_kernelINS0_14default_configENS1_38merge_sort_block_merge_config_selectorIsNS0_10empty_typeEEEZZNS1_27merge_sort_block_merge_implIS3_N6thrust23THRUST_200600_302600_NS6detail15normal_iteratorINS9_10device_ptrIsEEEEPS5_m9comp_mod3IsEEE10hipError_tT0_T1_T2_jT3_P12ihipStream_tbPNSt15iterator_traitsISJ_E10value_typeEPNSP_ISK_E10value_typeEPSL_NS1_7vsmem_tEENKUlT_SJ_SK_SL_E_clISE_PsSF_SF_EESI_SY_SJ_SK_SL_EUlSY_E_NS1_11comp_targetILNS1_3genE4ELNS1_11target_archE910ELNS1_3gpuE8ELNS1_3repE0EEENS1_48merge_mergepath_partition_config_static_selectorELNS0_4arch9wavefront6targetE0EEEvSK_.uses_flat_scratch, 0
	.set _ZN7rocprim17ROCPRIM_400000_NS6detail17trampoline_kernelINS0_14default_configENS1_38merge_sort_block_merge_config_selectorIsNS0_10empty_typeEEEZZNS1_27merge_sort_block_merge_implIS3_N6thrust23THRUST_200600_302600_NS6detail15normal_iteratorINS9_10device_ptrIsEEEEPS5_m9comp_mod3IsEEE10hipError_tT0_T1_T2_jT3_P12ihipStream_tbPNSt15iterator_traitsISJ_E10value_typeEPNSP_ISK_E10value_typeEPSL_NS1_7vsmem_tEENKUlT_SJ_SK_SL_E_clISE_PsSF_SF_EESI_SY_SJ_SK_SL_EUlSY_E_NS1_11comp_targetILNS1_3genE4ELNS1_11target_archE910ELNS1_3gpuE8ELNS1_3repE0EEENS1_48merge_mergepath_partition_config_static_selectorELNS0_4arch9wavefront6targetE0EEEvSK_.has_dyn_sized_stack, 0
	.set _ZN7rocprim17ROCPRIM_400000_NS6detail17trampoline_kernelINS0_14default_configENS1_38merge_sort_block_merge_config_selectorIsNS0_10empty_typeEEEZZNS1_27merge_sort_block_merge_implIS3_N6thrust23THRUST_200600_302600_NS6detail15normal_iteratorINS9_10device_ptrIsEEEEPS5_m9comp_mod3IsEEE10hipError_tT0_T1_T2_jT3_P12ihipStream_tbPNSt15iterator_traitsISJ_E10value_typeEPNSP_ISK_E10value_typeEPSL_NS1_7vsmem_tEENKUlT_SJ_SK_SL_E_clISE_PsSF_SF_EESI_SY_SJ_SK_SL_EUlSY_E_NS1_11comp_targetILNS1_3genE4ELNS1_11target_archE910ELNS1_3gpuE8ELNS1_3repE0EEENS1_48merge_mergepath_partition_config_static_selectorELNS0_4arch9wavefront6targetE0EEEvSK_.has_recursion, 0
	.set _ZN7rocprim17ROCPRIM_400000_NS6detail17trampoline_kernelINS0_14default_configENS1_38merge_sort_block_merge_config_selectorIsNS0_10empty_typeEEEZZNS1_27merge_sort_block_merge_implIS3_N6thrust23THRUST_200600_302600_NS6detail15normal_iteratorINS9_10device_ptrIsEEEEPS5_m9comp_mod3IsEEE10hipError_tT0_T1_T2_jT3_P12ihipStream_tbPNSt15iterator_traitsISJ_E10value_typeEPNSP_ISK_E10value_typeEPSL_NS1_7vsmem_tEENKUlT_SJ_SK_SL_E_clISE_PsSF_SF_EESI_SY_SJ_SK_SL_EUlSY_E_NS1_11comp_targetILNS1_3genE4ELNS1_11target_archE910ELNS1_3gpuE8ELNS1_3repE0EEENS1_48merge_mergepath_partition_config_static_selectorELNS0_4arch9wavefront6targetE0EEEvSK_.has_indirect_call, 0
	.section	.AMDGPU.csdata,"",@progbits
; Kernel info:
; codeLenInByte = 0
; TotalNumSgprs: 0
; NumVgprs: 0
; ScratchSize: 0
; MemoryBound: 0
; FloatMode: 240
; IeeeMode: 1
; LDSByteSize: 0 bytes/workgroup (compile time only)
; SGPRBlocks: 0
; VGPRBlocks: 0
; NumSGPRsForWavesPerEU: 1
; NumVGPRsForWavesPerEU: 1
; Occupancy: 16
; WaveLimiterHint : 0
; COMPUTE_PGM_RSRC2:SCRATCH_EN: 0
; COMPUTE_PGM_RSRC2:USER_SGPR: 6
; COMPUTE_PGM_RSRC2:TRAP_HANDLER: 0
; COMPUTE_PGM_RSRC2:TGID_X_EN: 1
; COMPUTE_PGM_RSRC2:TGID_Y_EN: 0
; COMPUTE_PGM_RSRC2:TGID_Z_EN: 0
; COMPUTE_PGM_RSRC2:TIDIG_COMP_CNT: 0
	.section	.text._ZN7rocprim17ROCPRIM_400000_NS6detail17trampoline_kernelINS0_14default_configENS1_38merge_sort_block_merge_config_selectorIsNS0_10empty_typeEEEZZNS1_27merge_sort_block_merge_implIS3_N6thrust23THRUST_200600_302600_NS6detail15normal_iteratorINS9_10device_ptrIsEEEEPS5_m9comp_mod3IsEEE10hipError_tT0_T1_T2_jT3_P12ihipStream_tbPNSt15iterator_traitsISJ_E10value_typeEPNSP_ISK_E10value_typeEPSL_NS1_7vsmem_tEENKUlT_SJ_SK_SL_E_clISE_PsSF_SF_EESI_SY_SJ_SK_SL_EUlSY_E_NS1_11comp_targetILNS1_3genE3ELNS1_11target_archE908ELNS1_3gpuE7ELNS1_3repE0EEENS1_48merge_mergepath_partition_config_static_selectorELNS0_4arch9wavefront6targetE0EEEvSK_,"axG",@progbits,_ZN7rocprim17ROCPRIM_400000_NS6detail17trampoline_kernelINS0_14default_configENS1_38merge_sort_block_merge_config_selectorIsNS0_10empty_typeEEEZZNS1_27merge_sort_block_merge_implIS3_N6thrust23THRUST_200600_302600_NS6detail15normal_iteratorINS9_10device_ptrIsEEEEPS5_m9comp_mod3IsEEE10hipError_tT0_T1_T2_jT3_P12ihipStream_tbPNSt15iterator_traitsISJ_E10value_typeEPNSP_ISK_E10value_typeEPSL_NS1_7vsmem_tEENKUlT_SJ_SK_SL_E_clISE_PsSF_SF_EESI_SY_SJ_SK_SL_EUlSY_E_NS1_11comp_targetILNS1_3genE3ELNS1_11target_archE908ELNS1_3gpuE7ELNS1_3repE0EEENS1_48merge_mergepath_partition_config_static_selectorELNS0_4arch9wavefront6targetE0EEEvSK_,comdat
	.protected	_ZN7rocprim17ROCPRIM_400000_NS6detail17trampoline_kernelINS0_14default_configENS1_38merge_sort_block_merge_config_selectorIsNS0_10empty_typeEEEZZNS1_27merge_sort_block_merge_implIS3_N6thrust23THRUST_200600_302600_NS6detail15normal_iteratorINS9_10device_ptrIsEEEEPS5_m9comp_mod3IsEEE10hipError_tT0_T1_T2_jT3_P12ihipStream_tbPNSt15iterator_traitsISJ_E10value_typeEPNSP_ISK_E10value_typeEPSL_NS1_7vsmem_tEENKUlT_SJ_SK_SL_E_clISE_PsSF_SF_EESI_SY_SJ_SK_SL_EUlSY_E_NS1_11comp_targetILNS1_3genE3ELNS1_11target_archE908ELNS1_3gpuE7ELNS1_3repE0EEENS1_48merge_mergepath_partition_config_static_selectorELNS0_4arch9wavefront6targetE0EEEvSK_ ; -- Begin function _ZN7rocprim17ROCPRIM_400000_NS6detail17trampoline_kernelINS0_14default_configENS1_38merge_sort_block_merge_config_selectorIsNS0_10empty_typeEEEZZNS1_27merge_sort_block_merge_implIS3_N6thrust23THRUST_200600_302600_NS6detail15normal_iteratorINS9_10device_ptrIsEEEEPS5_m9comp_mod3IsEEE10hipError_tT0_T1_T2_jT3_P12ihipStream_tbPNSt15iterator_traitsISJ_E10value_typeEPNSP_ISK_E10value_typeEPSL_NS1_7vsmem_tEENKUlT_SJ_SK_SL_E_clISE_PsSF_SF_EESI_SY_SJ_SK_SL_EUlSY_E_NS1_11comp_targetILNS1_3genE3ELNS1_11target_archE908ELNS1_3gpuE7ELNS1_3repE0EEENS1_48merge_mergepath_partition_config_static_selectorELNS0_4arch9wavefront6targetE0EEEvSK_
	.globl	_ZN7rocprim17ROCPRIM_400000_NS6detail17trampoline_kernelINS0_14default_configENS1_38merge_sort_block_merge_config_selectorIsNS0_10empty_typeEEEZZNS1_27merge_sort_block_merge_implIS3_N6thrust23THRUST_200600_302600_NS6detail15normal_iteratorINS9_10device_ptrIsEEEEPS5_m9comp_mod3IsEEE10hipError_tT0_T1_T2_jT3_P12ihipStream_tbPNSt15iterator_traitsISJ_E10value_typeEPNSP_ISK_E10value_typeEPSL_NS1_7vsmem_tEENKUlT_SJ_SK_SL_E_clISE_PsSF_SF_EESI_SY_SJ_SK_SL_EUlSY_E_NS1_11comp_targetILNS1_3genE3ELNS1_11target_archE908ELNS1_3gpuE7ELNS1_3repE0EEENS1_48merge_mergepath_partition_config_static_selectorELNS0_4arch9wavefront6targetE0EEEvSK_
	.p2align	8
	.type	_ZN7rocprim17ROCPRIM_400000_NS6detail17trampoline_kernelINS0_14default_configENS1_38merge_sort_block_merge_config_selectorIsNS0_10empty_typeEEEZZNS1_27merge_sort_block_merge_implIS3_N6thrust23THRUST_200600_302600_NS6detail15normal_iteratorINS9_10device_ptrIsEEEEPS5_m9comp_mod3IsEEE10hipError_tT0_T1_T2_jT3_P12ihipStream_tbPNSt15iterator_traitsISJ_E10value_typeEPNSP_ISK_E10value_typeEPSL_NS1_7vsmem_tEENKUlT_SJ_SK_SL_E_clISE_PsSF_SF_EESI_SY_SJ_SK_SL_EUlSY_E_NS1_11comp_targetILNS1_3genE3ELNS1_11target_archE908ELNS1_3gpuE7ELNS1_3repE0EEENS1_48merge_mergepath_partition_config_static_selectorELNS0_4arch9wavefront6targetE0EEEvSK_,@function
_ZN7rocprim17ROCPRIM_400000_NS6detail17trampoline_kernelINS0_14default_configENS1_38merge_sort_block_merge_config_selectorIsNS0_10empty_typeEEEZZNS1_27merge_sort_block_merge_implIS3_N6thrust23THRUST_200600_302600_NS6detail15normal_iteratorINS9_10device_ptrIsEEEEPS5_m9comp_mod3IsEEE10hipError_tT0_T1_T2_jT3_P12ihipStream_tbPNSt15iterator_traitsISJ_E10value_typeEPNSP_ISK_E10value_typeEPSL_NS1_7vsmem_tEENKUlT_SJ_SK_SL_E_clISE_PsSF_SF_EESI_SY_SJ_SK_SL_EUlSY_E_NS1_11comp_targetILNS1_3genE3ELNS1_11target_archE908ELNS1_3gpuE7ELNS1_3repE0EEENS1_48merge_mergepath_partition_config_static_selectorELNS0_4arch9wavefront6targetE0EEEvSK_: ; @_ZN7rocprim17ROCPRIM_400000_NS6detail17trampoline_kernelINS0_14default_configENS1_38merge_sort_block_merge_config_selectorIsNS0_10empty_typeEEEZZNS1_27merge_sort_block_merge_implIS3_N6thrust23THRUST_200600_302600_NS6detail15normal_iteratorINS9_10device_ptrIsEEEEPS5_m9comp_mod3IsEEE10hipError_tT0_T1_T2_jT3_P12ihipStream_tbPNSt15iterator_traitsISJ_E10value_typeEPNSP_ISK_E10value_typeEPSL_NS1_7vsmem_tEENKUlT_SJ_SK_SL_E_clISE_PsSF_SF_EESI_SY_SJ_SK_SL_EUlSY_E_NS1_11comp_targetILNS1_3genE3ELNS1_11target_archE908ELNS1_3gpuE7ELNS1_3repE0EEENS1_48merge_mergepath_partition_config_static_selectorELNS0_4arch9wavefront6targetE0EEEvSK_
; %bb.0:
	.section	.rodata,"a",@progbits
	.p2align	6, 0x0
	.amdhsa_kernel _ZN7rocprim17ROCPRIM_400000_NS6detail17trampoline_kernelINS0_14default_configENS1_38merge_sort_block_merge_config_selectorIsNS0_10empty_typeEEEZZNS1_27merge_sort_block_merge_implIS3_N6thrust23THRUST_200600_302600_NS6detail15normal_iteratorINS9_10device_ptrIsEEEEPS5_m9comp_mod3IsEEE10hipError_tT0_T1_T2_jT3_P12ihipStream_tbPNSt15iterator_traitsISJ_E10value_typeEPNSP_ISK_E10value_typeEPSL_NS1_7vsmem_tEENKUlT_SJ_SK_SL_E_clISE_PsSF_SF_EESI_SY_SJ_SK_SL_EUlSY_E_NS1_11comp_targetILNS1_3genE3ELNS1_11target_archE908ELNS1_3gpuE7ELNS1_3repE0EEENS1_48merge_mergepath_partition_config_static_selectorELNS0_4arch9wavefront6targetE0EEEvSK_
		.amdhsa_group_segment_fixed_size 0
		.amdhsa_private_segment_fixed_size 0
		.amdhsa_kernarg_size 48
		.amdhsa_user_sgpr_count 6
		.amdhsa_user_sgpr_private_segment_buffer 1
		.amdhsa_user_sgpr_dispatch_ptr 0
		.amdhsa_user_sgpr_queue_ptr 0
		.amdhsa_user_sgpr_kernarg_segment_ptr 1
		.amdhsa_user_sgpr_dispatch_id 0
		.amdhsa_user_sgpr_flat_scratch_init 0
		.amdhsa_user_sgpr_private_segment_size 0
		.amdhsa_wavefront_size32 1
		.amdhsa_uses_dynamic_stack 0
		.amdhsa_system_sgpr_private_segment_wavefront_offset 0
		.amdhsa_system_sgpr_workgroup_id_x 1
		.amdhsa_system_sgpr_workgroup_id_y 0
		.amdhsa_system_sgpr_workgroup_id_z 0
		.amdhsa_system_sgpr_workgroup_info 0
		.amdhsa_system_vgpr_workitem_id 0
		.amdhsa_next_free_vgpr 1
		.amdhsa_next_free_sgpr 1
		.amdhsa_reserve_vcc 0
		.amdhsa_reserve_flat_scratch 0
		.amdhsa_float_round_mode_32 0
		.amdhsa_float_round_mode_16_64 0
		.amdhsa_float_denorm_mode_32 3
		.amdhsa_float_denorm_mode_16_64 3
		.amdhsa_dx10_clamp 1
		.amdhsa_ieee_mode 1
		.amdhsa_fp16_overflow 0
		.amdhsa_workgroup_processor_mode 1
		.amdhsa_memory_ordered 1
		.amdhsa_forward_progress 1
		.amdhsa_shared_vgpr_count 0
		.amdhsa_exception_fp_ieee_invalid_op 0
		.amdhsa_exception_fp_denorm_src 0
		.amdhsa_exception_fp_ieee_div_zero 0
		.amdhsa_exception_fp_ieee_overflow 0
		.amdhsa_exception_fp_ieee_underflow 0
		.amdhsa_exception_fp_ieee_inexact 0
		.amdhsa_exception_int_div_zero 0
	.end_amdhsa_kernel
	.section	.text._ZN7rocprim17ROCPRIM_400000_NS6detail17trampoline_kernelINS0_14default_configENS1_38merge_sort_block_merge_config_selectorIsNS0_10empty_typeEEEZZNS1_27merge_sort_block_merge_implIS3_N6thrust23THRUST_200600_302600_NS6detail15normal_iteratorINS9_10device_ptrIsEEEEPS5_m9comp_mod3IsEEE10hipError_tT0_T1_T2_jT3_P12ihipStream_tbPNSt15iterator_traitsISJ_E10value_typeEPNSP_ISK_E10value_typeEPSL_NS1_7vsmem_tEENKUlT_SJ_SK_SL_E_clISE_PsSF_SF_EESI_SY_SJ_SK_SL_EUlSY_E_NS1_11comp_targetILNS1_3genE3ELNS1_11target_archE908ELNS1_3gpuE7ELNS1_3repE0EEENS1_48merge_mergepath_partition_config_static_selectorELNS0_4arch9wavefront6targetE0EEEvSK_,"axG",@progbits,_ZN7rocprim17ROCPRIM_400000_NS6detail17trampoline_kernelINS0_14default_configENS1_38merge_sort_block_merge_config_selectorIsNS0_10empty_typeEEEZZNS1_27merge_sort_block_merge_implIS3_N6thrust23THRUST_200600_302600_NS6detail15normal_iteratorINS9_10device_ptrIsEEEEPS5_m9comp_mod3IsEEE10hipError_tT0_T1_T2_jT3_P12ihipStream_tbPNSt15iterator_traitsISJ_E10value_typeEPNSP_ISK_E10value_typeEPSL_NS1_7vsmem_tEENKUlT_SJ_SK_SL_E_clISE_PsSF_SF_EESI_SY_SJ_SK_SL_EUlSY_E_NS1_11comp_targetILNS1_3genE3ELNS1_11target_archE908ELNS1_3gpuE7ELNS1_3repE0EEENS1_48merge_mergepath_partition_config_static_selectorELNS0_4arch9wavefront6targetE0EEEvSK_,comdat
.Lfunc_end1074:
	.size	_ZN7rocprim17ROCPRIM_400000_NS6detail17trampoline_kernelINS0_14default_configENS1_38merge_sort_block_merge_config_selectorIsNS0_10empty_typeEEEZZNS1_27merge_sort_block_merge_implIS3_N6thrust23THRUST_200600_302600_NS6detail15normal_iteratorINS9_10device_ptrIsEEEEPS5_m9comp_mod3IsEEE10hipError_tT0_T1_T2_jT3_P12ihipStream_tbPNSt15iterator_traitsISJ_E10value_typeEPNSP_ISK_E10value_typeEPSL_NS1_7vsmem_tEENKUlT_SJ_SK_SL_E_clISE_PsSF_SF_EESI_SY_SJ_SK_SL_EUlSY_E_NS1_11comp_targetILNS1_3genE3ELNS1_11target_archE908ELNS1_3gpuE7ELNS1_3repE0EEENS1_48merge_mergepath_partition_config_static_selectorELNS0_4arch9wavefront6targetE0EEEvSK_, .Lfunc_end1074-_ZN7rocprim17ROCPRIM_400000_NS6detail17trampoline_kernelINS0_14default_configENS1_38merge_sort_block_merge_config_selectorIsNS0_10empty_typeEEEZZNS1_27merge_sort_block_merge_implIS3_N6thrust23THRUST_200600_302600_NS6detail15normal_iteratorINS9_10device_ptrIsEEEEPS5_m9comp_mod3IsEEE10hipError_tT0_T1_T2_jT3_P12ihipStream_tbPNSt15iterator_traitsISJ_E10value_typeEPNSP_ISK_E10value_typeEPSL_NS1_7vsmem_tEENKUlT_SJ_SK_SL_E_clISE_PsSF_SF_EESI_SY_SJ_SK_SL_EUlSY_E_NS1_11comp_targetILNS1_3genE3ELNS1_11target_archE908ELNS1_3gpuE7ELNS1_3repE0EEENS1_48merge_mergepath_partition_config_static_selectorELNS0_4arch9wavefront6targetE0EEEvSK_
                                        ; -- End function
	.set _ZN7rocprim17ROCPRIM_400000_NS6detail17trampoline_kernelINS0_14default_configENS1_38merge_sort_block_merge_config_selectorIsNS0_10empty_typeEEEZZNS1_27merge_sort_block_merge_implIS3_N6thrust23THRUST_200600_302600_NS6detail15normal_iteratorINS9_10device_ptrIsEEEEPS5_m9comp_mod3IsEEE10hipError_tT0_T1_T2_jT3_P12ihipStream_tbPNSt15iterator_traitsISJ_E10value_typeEPNSP_ISK_E10value_typeEPSL_NS1_7vsmem_tEENKUlT_SJ_SK_SL_E_clISE_PsSF_SF_EESI_SY_SJ_SK_SL_EUlSY_E_NS1_11comp_targetILNS1_3genE3ELNS1_11target_archE908ELNS1_3gpuE7ELNS1_3repE0EEENS1_48merge_mergepath_partition_config_static_selectorELNS0_4arch9wavefront6targetE0EEEvSK_.num_vgpr, 0
	.set _ZN7rocprim17ROCPRIM_400000_NS6detail17trampoline_kernelINS0_14default_configENS1_38merge_sort_block_merge_config_selectorIsNS0_10empty_typeEEEZZNS1_27merge_sort_block_merge_implIS3_N6thrust23THRUST_200600_302600_NS6detail15normal_iteratorINS9_10device_ptrIsEEEEPS5_m9comp_mod3IsEEE10hipError_tT0_T1_T2_jT3_P12ihipStream_tbPNSt15iterator_traitsISJ_E10value_typeEPNSP_ISK_E10value_typeEPSL_NS1_7vsmem_tEENKUlT_SJ_SK_SL_E_clISE_PsSF_SF_EESI_SY_SJ_SK_SL_EUlSY_E_NS1_11comp_targetILNS1_3genE3ELNS1_11target_archE908ELNS1_3gpuE7ELNS1_3repE0EEENS1_48merge_mergepath_partition_config_static_selectorELNS0_4arch9wavefront6targetE0EEEvSK_.num_agpr, 0
	.set _ZN7rocprim17ROCPRIM_400000_NS6detail17trampoline_kernelINS0_14default_configENS1_38merge_sort_block_merge_config_selectorIsNS0_10empty_typeEEEZZNS1_27merge_sort_block_merge_implIS3_N6thrust23THRUST_200600_302600_NS6detail15normal_iteratorINS9_10device_ptrIsEEEEPS5_m9comp_mod3IsEEE10hipError_tT0_T1_T2_jT3_P12ihipStream_tbPNSt15iterator_traitsISJ_E10value_typeEPNSP_ISK_E10value_typeEPSL_NS1_7vsmem_tEENKUlT_SJ_SK_SL_E_clISE_PsSF_SF_EESI_SY_SJ_SK_SL_EUlSY_E_NS1_11comp_targetILNS1_3genE3ELNS1_11target_archE908ELNS1_3gpuE7ELNS1_3repE0EEENS1_48merge_mergepath_partition_config_static_selectorELNS0_4arch9wavefront6targetE0EEEvSK_.numbered_sgpr, 0
	.set _ZN7rocprim17ROCPRIM_400000_NS6detail17trampoline_kernelINS0_14default_configENS1_38merge_sort_block_merge_config_selectorIsNS0_10empty_typeEEEZZNS1_27merge_sort_block_merge_implIS3_N6thrust23THRUST_200600_302600_NS6detail15normal_iteratorINS9_10device_ptrIsEEEEPS5_m9comp_mod3IsEEE10hipError_tT0_T1_T2_jT3_P12ihipStream_tbPNSt15iterator_traitsISJ_E10value_typeEPNSP_ISK_E10value_typeEPSL_NS1_7vsmem_tEENKUlT_SJ_SK_SL_E_clISE_PsSF_SF_EESI_SY_SJ_SK_SL_EUlSY_E_NS1_11comp_targetILNS1_3genE3ELNS1_11target_archE908ELNS1_3gpuE7ELNS1_3repE0EEENS1_48merge_mergepath_partition_config_static_selectorELNS0_4arch9wavefront6targetE0EEEvSK_.num_named_barrier, 0
	.set _ZN7rocprim17ROCPRIM_400000_NS6detail17trampoline_kernelINS0_14default_configENS1_38merge_sort_block_merge_config_selectorIsNS0_10empty_typeEEEZZNS1_27merge_sort_block_merge_implIS3_N6thrust23THRUST_200600_302600_NS6detail15normal_iteratorINS9_10device_ptrIsEEEEPS5_m9comp_mod3IsEEE10hipError_tT0_T1_T2_jT3_P12ihipStream_tbPNSt15iterator_traitsISJ_E10value_typeEPNSP_ISK_E10value_typeEPSL_NS1_7vsmem_tEENKUlT_SJ_SK_SL_E_clISE_PsSF_SF_EESI_SY_SJ_SK_SL_EUlSY_E_NS1_11comp_targetILNS1_3genE3ELNS1_11target_archE908ELNS1_3gpuE7ELNS1_3repE0EEENS1_48merge_mergepath_partition_config_static_selectorELNS0_4arch9wavefront6targetE0EEEvSK_.private_seg_size, 0
	.set _ZN7rocprim17ROCPRIM_400000_NS6detail17trampoline_kernelINS0_14default_configENS1_38merge_sort_block_merge_config_selectorIsNS0_10empty_typeEEEZZNS1_27merge_sort_block_merge_implIS3_N6thrust23THRUST_200600_302600_NS6detail15normal_iteratorINS9_10device_ptrIsEEEEPS5_m9comp_mod3IsEEE10hipError_tT0_T1_T2_jT3_P12ihipStream_tbPNSt15iterator_traitsISJ_E10value_typeEPNSP_ISK_E10value_typeEPSL_NS1_7vsmem_tEENKUlT_SJ_SK_SL_E_clISE_PsSF_SF_EESI_SY_SJ_SK_SL_EUlSY_E_NS1_11comp_targetILNS1_3genE3ELNS1_11target_archE908ELNS1_3gpuE7ELNS1_3repE0EEENS1_48merge_mergepath_partition_config_static_selectorELNS0_4arch9wavefront6targetE0EEEvSK_.uses_vcc, 0
	.set _ZN7rocprim17ROCPRIM_400000_NS6detail17trampoline_kernelINS0_14default_configENS1_38merge_sort_block_merge_config_selectorIsNS0_10empty_typeEEEZZNS1_27merge_sort_block_merge_implIS3_N6thrust23THRUST_200600_302600_NS6detail15normal_iteratorINS9_10device_ptrIsEEEEPS5_m9comp_mod3IsEEE10hipError_tT0_T1_T2_jT3_P12ihipStream_tbPNSt15iterator_traitsISJ_E10value_typeEPNSP_ISK_E10value_typeEPSL_NS1_7vsmem_tEENKUlT_SJ_SK_SL_E_clISE_PsSF_SF_EESI_SY_SJ_SK_SL_EUlSY_E_NS1_11comp_targetILNS1_3genE3ELNS1_11target_archE908ELNS1_3gpuE7ELNS1_3repE0EEENS1_48merge_mergepath_partition_config_static_selectorELNS0_4arch9wavefront6targetE0EEEvSK_.uses_flat_scratch, 0
	.set _ZN7rocprim17ROCPRIM_400000_NS6detail17trampoline_kernelINS0_14default_configENS1_38merge_sort_block_merge_config_selectorIsNS0_10empty_typeEEEZZNS1_27merge_sort_block_merge_implIS3_N6thrust23THRUST_200600_302600_NS6detail15normal_iteratorINS9_10device_ptrIsEEEEPS5_m9comp_mod3IsEEE10hipError_tT0_T1_T2_jT3_P12ihipStream_tbPNSt15iterator_traitsISJ_E10value_typeEPNSP_ISK_E10value_typeEPSL_NS1_7vsmem_tEENKUlT_SJ_SK_SL_E_clISE_PsSF_SF_EESI_SY_SJ_SK_SL_EUlSY_E_NS1_11comp_targetILNS1_3genE3ELNS1_11target_archE908ELNS1_3gpuE7ELNS1_3repE0EEENS1_48merge_mergepath_partition_config_static_selectorELNS0_4arch9wavefront6targetE0EEEvSK_.has_dyn_sized_stack, 0
	.set _ZN7rocprim17ROCPRIM_400000_NS6detail17trampoline_kernelINS0_14default_configENS1_38merge_sort_block_merge_config_selectorIsNS0_10empty_typeEEEZZNS1_27merge_sort_block_merge_implIS3_N6thrust23THRUST_200600_302600_NS6detail15normal_iteratorINS9_10device_ptrIsEEEEPS5_m9comp_mod3IsEEE10hipError_tT0_T1_T2_jT3_P12ihipStream_tbPNSt15iterator_traitsISJ_E10value_typeEPNSP_ISK_E10value_typeEPSL_NS1_7vsmem_tEENKUlT_SJ_SK_SL_E_clISE_PsSF_SF_EESI_SY_SJ_SK_SL_EUlSY_E_NS1_11comp_targetILNS1_3genE3ELNS1_11target_archE908ELNS1_3gpuE7ELNS1_3repE0EEENS1_48merge_mergepath_partition_config_static_selectorELNS0_4arch9wavefront6targetE0EEEvSK_.has_recursion, 0
	.set _ZN7rocprim17ROCPRIM_400000_NS6detail17trampoline_kernelINS0_14default_configENS1_38merge_sort_block_merge_config_selectorIsNS0_10empty_typeEEEZZNS1_27merge_sort_block_merge_implIS3_N6thrust23THRUST_200600_302600_NS6detail15normal_iteratorINS9_10device_ptrIsEEEEPS5_m9comp_mod3IsEEE10hipError_tT0_T1_T2_jT3_P12ihipStream_tbPNSt15iterator_traitsISJ_E10value_typeEPNSP_ISK_E10value_typeEPSL_NS1_7vsmem_tEENKUlT_SJ_SK_SL_E_clISE_PsSF_SF_EESI_SY_SJ_SK_SL_EUlSY_E_NS1_11comp_targetILNS1_3genE3ELNS1_11target_archE908ELNS1_3gpuE7ELNS1_3repE0EEENS1_48merge_mergepath_partition_config_static_selectorELNS0_4arch9wavefront6targetE0EEEvSK_.has_indirect_call, 0
	.section	.AMDGPU.csdata,"",@progbits
; Kernel info:
; codeLenInByte = 0
; TotalNumSgprs: 0
; NumVgprs: 0
; ScratchSize: 0
; MemoryBound: 0
; FloatMode: 240
; IeeeMode: 1
; LDSByteSize: 0 bytes/workgroup (compile time only)
; SGPRBlocks: 0
; VGPRBlocks: 0
; NumSGPRsForWavesPerEU: 1
; NumVGPRsForWavesPerEU: 1
; Occupancy: 16
; WaveLimiterHint : 0
; COMPUTE_PGM_RSRC2:SCRATCH_EN: 0
; COMPUTE_PGM_RSRC2:USER_SGPR: 6
; COMPUTE_PGM_RSRC2:TRAP_HANDLER: 0
; COMPUTE_PGM_RSRC2:TGID_X_EN: 1
; COMPUTE_PGM_RSRC2:TGID_Y_EN: 0
; COMPUTE_PGM_RSRC2:TGID_Z_EN: 0
; COMPUTE_PGM_RSRC2:TIDIG_COMP_CNT: 0
	.section	.text._ZN7rocprim17ROCPRIM_400000_NS6detail17trampoline_kernelINS0_14default_configENS1_38merge_sort_block_merge_config_selectorIsNS0_10empty_typeEEEZZNS1_27merge_sort_block_merge_implIS3_N6thrust23THRUST_200600_302600_NS6detail15normal_iteratorINS9_10device_ptrIsEEEEPS5_m9comp_mod3IsEEE10hipError_tT0_T1_T2_jT3_P12ihipStream_tbPNSt15iterator_traitsISJ_E10value_typeEPNSP_ISK_E10value_typeEPSL_NS1_7vsmem_tEENKUlT_SJ_SK_SL_E_clISE_PsSF_SF_EESI_SY_SJ_SK_SL_EUlSY_E_NS1_11comp_targetILNS1_3genE2ELNS1_11target_archE906ELNS1_3gpuE6ELNS1_3repE0EEENS1_48merge_mergepath_partition_config_static_selectorELNS0_4arch9wavefront6targetE0EEEvSK_,"axG",@progbits,_ZN7rocprim17ROCPRIM_400000_NS6detail17trampoline_kernelINS0_14default_configENS1_38merge_sort_block_merge_config_selectorIsNS0_10empty_typeEEEZZNS1_27merge_sort_block_merge_implIS3_N6thrust23THRUST_200600_302600_NS6detail15normal_iteratorINS9_10device_ptrIsEEEEPS5_m9comp_mod3IsEEE10hipError_tT0_T1_T2_jT3_P12ihipStream_tbPNSt15iterator_traitsISJ_E10value_typeEPNSP_ISK_E10value_typeEPSL_NS1_7vsmem_tEENKUlT_SJ_SK_SL_E_clISE_PsSF_SF_EESI_SY_SJ_SK_SL_EUlSY_E_NS1_11comp_targetILNS1_3genE2ELNS1_11target_archE906ELNS1_3gpuE6ELNS1_3repE0EEENS1_48merge_mergepath_partition_config_static_selectorELNS0_4arch9wavefront6targetE0EEEvSK_,comdat
	.protected	_ZN7rocprim17ROCPRIM_400000_NS6detail17trampoline_kernelINS0_14default_configENS1_38merge_sort_block_merge_config_selectorIsNS0_10empty_typeEEEZZNS1_27merge_sort_block_merge_implIS3_N6thrust23THRUST_200600_302600_NS6detail15normal_iteratorINS9_10device_ptrIsEEEEPS5_m9comp_mod3IsEEE10hipError_tT0_T1_T2_jT3_P12ihipStream_tbPNSt15iterator_traitsISJ_E10value_typeEPNSP_ISK_E10value_typeEPSL_NS1_7vsmem_tEENKUlT_SJ_SK_SL_E_clISE_PsSF_SF_EESI_SY_SJ_SK_SL_EUlSY_E_NS1_11comp_targetILNS1_3genE2ELNS1_11target_archE906ELNS1_3gpuE6ELNS1_3repE0EEENS1_48merge_mergepath_partition_config_static_selectorELNS0_4arch9wavefront6targetE0EEEvSK_ ; -- Begin function _ZN7rocprim17ROCPRIM_400000_NS6detail17trampoline_kernelINS0_14default_configENS1_38merge_sort_block_merge_config_selectorIsNS0_10empty_typeEEEZZNS1_27merge_sort_block_merge_implIS3_N6thrust23THRUST_200600_302600_NS6detail15normal_iteratorINS9_10device_ptrIsEEEEPS5_m9comp_mod3IsEEE10hipError_tT0_T1_T2_jT3_P12ihipStream_tbPNSt15iterator_traitsISJ_E10value_typeEPNSP_ISK_E10value_typeEPSL_NS1_7vsmem_tEENKUlT_SJ_SK_SL_E_clISE_PsSF_SF_EESI_SY_SJ_SK_SL_EUlSY_E_NS1_11comp_targetILNS1_3genE2ELNS1_11target_archE906ELNS1_3gpuE6ELNS1_3repE0EEENS1_48merge_mergepath_partition_config_static_selectorELNS0_4arch9wavefront6targetE0EEEvSK_
	.globl	_ZN7rocprim17ROCPRIM_400000_NS6detail17trampoline_kernelINS0_14default_configENS1_38merge_sort_block_merge_config_selectorIsNS0_10empty_typeEEEZZNS1_27merge_sort_block_merge_implIS3_N6thrust23THRUST_200600_302600_NS6detail15normal_iteratorINS9_10device_ptrIsEEEEPS5_m9comp_mod3IsEEE10hipError_tT0_T1_T2_jT3_P12ihipStream_tbPNSt15iterator_traitsISJ_E10value_typeEPNSP_ISK_E10value_typeEPSL_NS1_7vsmem_tEENKUlT_SJ_SK_SL_E_clISE_PsSF_SF_EESI_SY_SJ_SK_SL_EUlSY_E_NS1_11comp_targetILNS1_3genE2ELNS1_11target_archE906ELNS1_3gpuE6ELNS1_3repE0EEENS1_48merge_mergepath_partition_config_static_selectorELNS0_4arch9wavefront6targetE0EEEvSK_
	.p2align	8
	.type	_ZN7rocprim17ROCPRIM_400000_NS6detail17trampoline_kernelINS0_14default_configENS1_38merge_sort_block_merge_config_selectorIsNS0_10empty_typeEEEZZNS1_27merge_sort_block_merge_implIS3_N6thrust23THRUST_200600_302600_NS6detail15normal_iteratorINS9_10device_ptrIsEEEEPS5_m9comp_mod3IsEEE10hipError_tT0_T1_T2_jT3_P12ihipStream_tbPNSt15iterator_traitsISJ_E10value_typeEPNSP_ISK_E10value_typeEPSL_NS1_7vsmem_tEENKUlT_SJ_SK_SL_E_clISE_PsSF_SF_EESI_SY_SJ_SK_SL_EUlSY_E_NS1_11comp_targetILNS1_3genE2ELNS1_11target_archE906ELNS1_3gpuE6ELNS1_3repE0EEENS1_48merge_mergepath_partition_config_static_selectorELNS0_4arch9wavefront6targetE0EEEvSK_,@function
_ZN7rocprim17ROCPRIM_400000_NS6detail17trampoline_kernelINS0_14default_configENS1_38merge_sort_block_merge_config_selectorIsNS0_10empty_typeEEEZZNS1_27merge_sort_block_merge_implIS3_N6thrust23THRUST_200600_302600_NS6detail15normal_iteratorINS9_10device_ptrIsEEEEPS5_m9comp_mod3IsEEE10hipError_tT0_T1_T2_jT3_P12ihipStream_tbPNSt15iterator_traitsISJ_E10value_typeEPNSP_ISK_E10value_typeEPSL_NS1_7vsmem_tEENKUlT_SJ_SK_SL_E_clISE_PsSF_SF_EESI_SY_SJ_SK_SL_EUlSY_E_NS1_11comp_targetILNS1_3genE2ELNS1_11target_archE906ELNS1_3gpuE6ELNS1_3repE0EEENS1_48merge_mergepath_partition_config_static_selectorELNS0_4arch9wavefront6targetE0EEEvSK_: ; @_ZN7rocprim17ROCPRIM_400000_NS6detail17trampoline_kernelINS0_14default_configENS1_38merge_sort_block_merge_config_selectorIsNS0_10empty_typeEEEZZNS1_27merge_sort_block_merge_implIS3_N6thrust23THRUST_200600_302600_NS6detail15normal_iteratorINS9_10device_ptrIsEEEEPS5_m9comp_mod3IsEEE10hipError_tT0_T1_T2_jT3_P12ihipStream_tbPNSt15iterator_traitsISJ_E10value_typeEPNSP_ISK_E10value_typeEPSL_NS1_7vsmem_tEENKUlT_SJ_SK_SL_E_clISE_PsSF_SF_EESI_SY_SJ_SK_SL_EUlSY_E_NS1_11comp_targetILNS1_3genE2ELNS1_11target_archE906ELNS1_3gpuE6ELNS1_3repE0EEENS1_48merge_mergepath_partition_config_static_selectorELNS0_4arch9wavefront6targetE0EEEvSK_
; %bb.0:
	.section	.rodata,"a",@progbits
	.p2align	6, 0x0
	.amdhsa_kernel _ZN7rocprim17ROCPRIM_400000_NS6detail17trampoline_kernelINS0_14default_configENS1_38merge_sort_block_merge_config_selectorIsNS0_10empty_typeEEEZZNS1_27merge_sort_block_merge_implIS3_N6thrust23THRUST_200600_302600_NS6detail15normal_iteratorINS9_10device_ptrIsEEEEPS5_m9comp_mod3IsEEE10hipError_tT0_T1_T2_jT3_P12ihipStream_tbPNSt15iterator_traitsISJ_E10value_typeEPNSP_ISK_E10value_typeEPSL_NS1_7vsmem_tEENKUlT_SJ_SK_SL_E_clISE_PsSF_SF_EESI_SY_SJ_SK_SL_EUlSY_E_NS1_11comp_targetILNS1_3genE2ELNS1_11target_archE906ELNS1_3gpuE6ELNS1_3repE0EEENS1_48merge_mergepath_partition_config_static_selectorELNS0_4arch9wavefront6targetE0EEEvSK_
		.amdhsa_group_segment_fixed_size 0
		.amdhsa_private_segment_fixed_size 0
		.amdhsa_kernarg_size 48
		.amdhsa_user_sgpr_count 6
		.amdhsa_user_sgpr_private_segment_buffer 1
		.amdhsa_user_sgpr_dispatch_ptr 0
		.amdhsa_user_sgpr_queue_ptr 0
		.amdhsa_user_sgpr_kernarg_segment_ptr 1
		.amdhsa_user_sgpr_dispatch_id 0
		.amdhsa_user_sgpr_flat_scratch_init 0
		.amdhsa_user_sgpr_private_segment_size 0
		.amdhsa_wavefront_size32 1
		.amdhsa_uses_dynamic_stack 0
		.amdhsa_system_sgpr_private_segment_wavefront_offset 0
		.amdhsa_system_sgpr_workgroup_id_x 1
		.amdhsa_system_sgpr_workgroup_id_y 0
		.amdhsa_system_sgpr_workgroup_id_z 0
		.amdhsa_system_sgpr_workgroup_info 0
		.amdhsa_system_vgpr_workitem_id 0
		.amdhsa_next_free_vgpr 1
		.amdhsa_next_free_sgpr 1
		.amdhsa_reserve_vcc 0
		.amdhsa_reserve_flat_scratch 0
		.amdhsa_float_round_mode_32 0
		.amdhsa_float_round_mode_16_64 0
		.amdhsa_float_denorm_mode_32 3
		.amdhsa_float_denorm_mode_16_64 3
		.amdhsa_dx10_clamp 1
		.amdhsa_ieee_mode 1
		.amdhsa_fp16_overflow 0
		.amdhsa_workgroup_processor_mode 1
		.amdhsa_memory_ordered 1
		.amdhsa_forward_progress 1
		.amdhsa_shared_vgpr_count 0
		.amdhsa_exception_fp_ieee_invalid_op 0
		.amdhsa_exception_fp_denorm_src 0
		.amdhsa_exception_fp_ieee_div_zero 0
		.amdhsa_exception_fp_ieee_overflow 0
		.amdhsa_exception_fp_ieee_underflow 0
		.amdhsa_exception_fp_ieee_inexact 0
		.amdhsa_exception_int_div_zero 0
	.end_amdhsa_kernel
	.section	.text._ZN7rocprim17ROCPRIM_400000_NS6detail17trampoline_kernelINS0_14default_configENS1_38merge_sort_block_merge_config_selectorIsNS0_10empty_typeEEEZZNS1_27merge_sort_block_merge_implIS3_N6thrust23THRUST_200600_302600_NS6detail15normal_iteratorINS9_10device_ptrIsEEEEPS5_m9comp_mod3IsEEE10hipError_tT0_T1_T2_jT3_P12ihipStream_tbPNSt15iterator_traitsISJ_E10value_typeEPNSP_ISK_E10value_typeEPSL_NS1_7vsmem_tEENKUlT_SJ_SK_SL_E_clISE_PsSF_SF_EESI_SY_SJ_SK_SL_EUlSY_E_NS1_11comp_targetILNS1_3genE2ELNS1_11target_archE906ELNS1_3gpuE6ELNS1_3repE0EEENS1_48merge_mergepath_partition_config_static_selectorELNS0_4arch9wavefront6targetE0EEEvSK_,"axG",@progbits,_ZN7rocprim17ROCPRIM_400000_NS6detail17trampoline_kernelINS0_14default_configENS1_38merge_sort_block_merge_config_selectorIsNS0_10empty_typeEEEZZNS1_27merge_sort_block_merge_implIS3_N6thrust23THRUST_200600_302600_NS6detail15normal_iteratorINS9_10device_ptrIsEEEEPS5_m9comp_mod3IsEEE10hipError_tT0_T1_T2_jT3_P12ihipStream_tbPNSt15iterator_traitsISJ_E10value_typeEPNSP_ISK_E10value_typeEPSL_NS1_7vsmem_tEENKUlT_SJ_SK_SL_E_clISE_PsSF_SF_EESI_SY_SJ_SK_SL_EUlSY_E_NS1_11comp_targetILNS1_3genE2ELNS1_11target_archE906ELNS1_3gpuE6ELNS1_3repE0EEENS1_48merge_mergepath_partition_config_static_selectorELNS0_4arch9wavefront6targetE0EEEvSK_,comdat
.Lfunc_end1075:
	.size	_ZN7rocprim17ROCPRIM_400000_NS6detail17trampoline_kernelINS0_14default_configENS1_38merge_sort_block_merge_config_selectorIsNS0_10empty_typeEEEZZNS1_27merge_sort_block_merge_implIS3_N6thrust23THRUST_200600_302600_NS6detail15normal_iteratorINS9_10device_ptrIsEEEEPS5_m9comp_mod3IsEEE10hipError_tT0_T1_T2_jT3_P12ihipStream_tbPNSt15iterator_traitsISJ_E10value_typeEPNSP_ISK_E10value_typeEPSL_NS1_7vsmem_tEENKUlT_SJ_SK_SL_E_clISE_PsSF_SF_EESI_SY_SJ_SK_SL_EUlSY_E_NS1_11comp_targetILNS1_3genE2ELNS1_11target_archE906ELNS1_3gpuE6ELNS1_3repE0EEENS1_48merge_mergepath_partition_config_static_selectorELNS0_4arch9wavefront6targetE0EEEvSK_, .Lfunc_end1075-_ZN7rocprim17ROCPRIM_400000_NS6detail17trampoline_kernelINS0_14default_configENS1_38merge_sort_block_merge_config_selectorIsNS0_10empty_typeEEEZZNS1_27merge_sort_block_merge_implIS3_N6thrust23THRUST_200600_302600_NS6detail15normal_iteratorINS9_10device_ptrIsEEEEPS5_m9comp_mod3IsEEE10hipError_tT0_T1_T2_jT3_P12ihipStream_tbPNSt15iterator_traitsISJ_E10value_typeEPNSP_ISK_E10value_typeEPSL_NS1_7vsmem_tEENKUlT_SJ_SK_SL_E_clISE_PsSF_SF_EESI_SY_SJ_SK_SL_EUlSY_E_NS1_11comp_targetILNS1_3genE2ELNS1_11target_archE906ELNS1_3gpuE6ELNS1_3repE0EEENS1_48merge_mergepath_partition_config_static_selectorELNS0_4arch9wavefront6targetE0EEEvSK_
                                        ; -- End function
	.set _ZN7rocprim17ROCPRIM_400000_NS6detail17trampoline_kernelINS0_14default_configENS1_38merge_sort_block_merge_config_selectorIsNS0_10empty_typeEEEZZNS1_27merge_sort_block_merge_implIS3_N6thrust23THRUST_200600_302600_NS6detail15normal_iteratorINS9_10device_ptrIsEEEEPS5_m9comp_mod3IsEEE10hipError_tT0_T1_T2_jT3_P12ihipStream_tbPNSt15iterator_traitsISJ_E10value_typeEPNSP_ISK_E10value_typeEPSL_NS1_7vsmem_tEENKUlT_SJ_SK_SL_E_clISE_PsSF_SF_EESI_SY_SJ_SK_SL_EUlSY_E_NS1_11comp_targetILNS1_3genE2ELNS1_11target_archE906ELNS1_3gpuE6ELNS1_3repE0EEENS1_48merge_mergepath_partition_config_static_selectorELNS0_4arch9wavefront6targetE0EEEvSK_.num_vgpr, 0
	.set _ZN7rocprim17ROCPRIM_400000_NS6detail17trampoline_kernelINS0_14default_configENS1_38merge_sort_block_merge_config_selectorIsNS0_10empty_typeEEEZZNS1_27merge_sort_block_merge_implIS3_N6thrust23THRUST_200600_302600_NS6detail15normal_iteratorINS9_10device_ptrIsEEEEPS5_m9comp_mod3IsEEE10hipError_tT0_T1_T2_jT3_P12ihipStream_tbPNSt15iterator_traitsISJ_E10value_typeEPNSP_ISK_E10value_typeEPSL_NS1_7vsmem_tEENKUlT_SJ_SK_SL_E_clISE_PsSF_SF_EESI_SY_SJ_SK_SL_EUlSY_E_NS1_11comp_targetILNS1_3genE2ELNS1_11target_archE906ELNS1_3gpuE6ELNS1_3repE0EEENS1_48merge_mergepath_partition_config_static_selectorELNS0_4arch9wavefront6targetE0EEEvSK_.num_agpr, 0
	.set _ZN7rocprim17ROCPRIM_400000_NS6detail17trampoline_kernelINS0_14default_configENS1_38merge_sort_block_merge_config_selectorIsNS0_10empty_typeEEEZZNS1_27merge_sort_block_merge_implIS3_N6thrust23THRUST_200600_302600_NS6detail15normal_iteratorINS9_10device_ptrIsEEEEPS5_m9comp_mod3IsEEE10hipError_tT0_T1_T2_jT3_P12ihipStream_tbPNSt15iterator_traitsISJ_E10value_typeEPNSP_ISK_E10value_typeEPSL_NS1_7vsmem_tEENKUlT_SJ_SK_SL_E_clISE_PsSF_SF_EESI_SY_SJ_SK_SL_EUlSY_E_NS1_11comp_targetILNS1_3genE2ELNS1_11target_archE906ELNS1_3gpuE6ELNS1_3repE0EEENS1_48merge_mergepath_partition_config_static_selectorELNS0_4arch9wavefront6targetE0EEEvSK_.numbered_sgpr, 0
	.set _ZN7rocprim17ROCPRIM_400000_NS6detail17trampoline_kernelINS0_14default_configENS1_38merge_sort_block_merge_config_selectorIsNS0_10empty_typeEEEZZNS1_27merge_sort_block_merge_implIS3_N6thrust23THRUST_200600_302600_NS6detail15normal_iteratorINS9_10device_ptrIsEEEEPS5_m9comp_mod3IsEEE10hipError_tT0_T1_T2_jT3_P12ihipStream_tbPNSt15iterator_traitsISJ_E10value_typeEPNSP_ISK_E10value_typeEPSL_NS1_7vsmem_tEENKUlT_SJ_SK_SL_E_clISE_PsSF_SF_EESI_SY_SJ_SK_SL_EUlSY_E_NS1_11comp_targetILNS1_3genE2ELNS1_11target_archE906ELNS1_3gpuE6ELNS1_3repE0EEENS1_48merge_mergepath_partition_config_static_selectorELNS0_4arch9wavefront6targetE0EEEvSK_.num_named_barrier, 0
	.set _ZN7rocprim17ROCPRIM_400000_NS6detail17trampoline_kernelINS0_14default_configENS1_38merge_sort_block_merge_config_selectorIsNS0_10empty_typeEEEZZNS1_27merge_sort_block_merge_implIS3_N6thrust23THRUST_200600_302600_NS6detail15normal_iteratorINS9_10device_ptrIsEEEEPS5_m9comp_mod3IsEEE10hipError_tT0_T1_T2_jT3_P12ihipStream_tbPNSt15iterator_traitsISJ_E10value_typeEPNSP_ISK_E10value_typeEPSL_NS1_7vsmem_tEENKUlT_SJ_SK_SL_E_clISE_PsSF_SF_EESI_SY_SJ_SK_SL_EUlSY_E_NS1_11comp_targetILNS1_3genE2ELNS1_11target_archE906ELNS1_3gpuE6ELNS1_3repE0EEENS1_48merge_mergepath_partition_config_static_selectorELNS0_4arch9wavefront6targetE0EEEvSK_.private_seg_size, 0
	.set _ZN7rocprim17ROCPRIM_400000_NS6detail17trampoline_kernelINS0_14default_configENS1_38merge_sort_block_merge_config_selectorIsNS0_10empty_typeEEEZZNS1_27merge_sort_block_merge_implIS3_N6thrust23THRUST_200600_302600_NS6detail15normal_iteratorINS9_10device_ptrIsEEEEPS5_m9comp_mod3IsEEE10hipError_tT0_T1_T2_jT3_P12ihipStream_tbPNSt15iterator_traitsISJ_E10value_typeEPNSP_ISK_E10value_typeEPSL_NS1_7vsmem_tEENKUlT_SJ_SK_SL_E_clISE_PsSF_SF_EESI_SY_SJ_SK_SL_EUlSY_E_NS1_11comp_targetILNS1_3genE2ELNS1_11target_archE906ELNS1_3gpuE6ELNS1_3repE0EEENS1_48merge_mergepath_partition_config_static_selectorELNS0_4arch9wavefront6targetE0EEEvSK_.uses_vcc, 0
	.set _ZN7rocprim17ROCPRIM_400000_NS6detail17trampoline_kernelINS0_14default_configENS1_38merge_sort_block_merge_config_selectorIsNS0_10empty_typeEEEZZNS1_27merge_sort_block_merge_implIS3_N6thrust23THRUST_200600_302600_NS6detail15normal_iteratorINS9_10device_ptrIsEEEEPS5_m9comp_mod3IsEEE10hipError_tT0_T1_T2_jT3_P12ihipStream_tbPNSt15iterator_traitsISJ_E10value_typeEPNSP_ISK_E10value_typeEPSL_NS1_7vsmem_tEENKUlT_SJ_SK_SL_E_clISE_PsSF_SF_EESI_SY_SJ_SK_SL_EUlSY_E_NS1_11comp_targetILNS1_3genE2ELNS1_11target_archE906ELNS1_3gpuE6ELNS1_3repE0EEENS1_48merge_mergepath_partition_config_static_selectorELNS0_4arch9wavefront6targetE0EEEvSK_.uses_flat_scratch, 0
	.set _ZN7rocprim17ROCPRIM_400000_NS6detail17trampoline_kernelINS0_14default_configENS1_38merge_sort_block_merge_config_selectorIsNS0_10empty_typeEEEZZNS1_27merge_sort_block_merge_implIS3_N6thrust23THRUST_200600_302600_NS6detail15normal_iteratorINS9_10device_ptrIsEEEEPS5_m9comp_mod3IsEEE10hipError_tT0_T1_T2_jT3_P12ihipStream_tbPNSt15iterator_traitsISJ_E10value_typeEPNSP_ISK_E10value_typeEPSL_NS1_7vsmem_tEENKUlT_SJ_SK_SL_E_clISE_PsSF_SF_EESI_SY_SJ_SK_SL_EUlSY_E_NS1_11comp_targetILNS1_3genE2ELNS1_11target_archE906ELNS1_3gpuE6ELNS1_3repE0EEENS1_48merge_mergepath_partition_config_static_selectorELNS0_4arch9wavefront6targetE0EEEvSK_.has_dyn_sized_stack, 0
	.set _ZN7rocprim17ROCPRIM_400000_NS6detail17trampoline_kernelINS0_14default_configENS1_38merge_sort_block_merge_config_selectorIsNS0_10empty_typeEEEZZNS1_27merge_sort_block_merge_implIS3_N6thrust23THRUST_200600_302600_NS6detail15normal_iteratorINS9_10device_ptrIsEEEEPS5_m9comp_mod3IsEEE10hipError_tT0_T1_T2_jT3_P12ihipStream_tbPNSt15iterator_traitsISJ_E10value_typeEPNSP_ISK_E10value_typeEPSL_NS1_7vsmem_tEENKUlT_SJ_SK_SL_E_clISE_PsSF_SF_EESI_SY_SJ_SK_SL_EUlSY_E_NS1_11comp_targetILNS1_3genE2ELNS1_11target_archE906ELNS1_3gpuE6ELNS1_3repE0EEENS1_48merge_mergepath_partition_config_static_selectorELNS0_4arch9wavefront6targetE0EEEvSK_.has_recursion, 0
	.set _ZN7rocprim17ROCPRIM_400000_NS6detail17trampoline_kernelINS0_14default_configENS1_38merge_sort_block_merge_config_selectorIsNS0_10empty_typeEEEZZNS1_27merge_sort_block_merge_implIS3_N6thrust23THRUST_200600_302600_NS6detail15normal_iteratorINS9_10device_ptrIsEEEEPS5_m9comp_mod3IsEEE10hipError_tT0_T1_T2_jT3_P12ihipStream_tbPNSt15iterator_traitsISJ_E10value_typeEPNSP_ISK_E10value_typeEPSL_NS1_7vsmem_tEENKUlT_SJ_SK_SL_E_clISE_PsSF_SF_EESI_SY_SJ_SK_SL_EUlSY_E_NS1_11comp_targetILNS1_3genE2ELNS1_11target_archE906ELNS1_3gpuE6ELNS1_3repE0EEENS1_48merge_mergepath_partition_config_static_selectorELNS0_4arch9wavefront6targetE0EEEvSK_.has_indirect_call, 0
	.section	.AMDGPU.csdata,"",@progbits
; Kernel info:
; codeLenInByte = 0
; TotalNumSgprs: 0
; NumVgprs: 0
; ScratchSize: 0
; MemoryBound: 0
; FloatMode: 240
; IeeeMode: 1
; LDSByteSize: 0 bytes/workgroup (compile time only)
; SGPRBlocks: 0
; VGPRBlocks: 0
; NumSGPRsForWavesPerEU: 1
; NumVGPRsForWavesPerEU: 1
; Occupancy: 16
; WaveLimiterHint : 0
; COMPUTE_PGM_RSRC2:SCRATCH_EN: 0
; COMPUTE_PGM_RSRC2:USER_SGPR: 6
; COMPUTE_PGM_RSRC2:TRAP_HANDLER: 0
; COMPUTE_PGM_RSRC2:TGID_X_EN: 1
; COMPUTE_PGM_RSRC2:TGID_Y_EN: 0
; COMPUTE_PGM_RSRC2:TGID_Z_EN: 0
; COMPUTE_PGM_RSRC2:TIDIG_COMP_CNT: 0
	.section	.text._ZN7rocprim17ROCPRIM_400000_NS6detail17trampoline_kernelINS0_14default_configENS1_38merge_sort_block_merge_config_selectorIsNS0_10empty_typeEEEZZNS1_27merge_sort_block_merge_implIS3_N6thrust23THRUST_200600_302600_NS6detail15normal_iteratorINS9_10device_ptrIsEEEEPS5_m9comp_mod3IsEEE10hipError_tT0_T1_T2_jT3_P12ihipStream_tbPNSt15iterator_traitsISJ_E10value_typeEPNSP_ISK_E10value_typeEPSL_NS1_7vsmem_tEENKUlT_SJ_SK_SL_E_clISE_PsSF_SF_EESI_SY_SJ_SK_SL_EUlSY_E_NS1_11comp_targetILNS1_3genE9ELNS1_11target_archE1100ELNS1_3gpuE3ELNS1_3repE0EEENS1_48merge_mergepath_partition_config_static_selectorELNS0_4arch9wavefront6targetE0EEEvSK_,"axG",@progbits,_ZN7rocprim17ROCPRIM_400000_NS6detail17trampoline_kernelINS0_14default_configENS1_38merge_sort_block_merge_config_selectorIsNS0_10empty_typeEEEZZNS1_27merge_sort_block_merge_implIS3_N6thrust23THRUST_200600_302600_NS6detail15normal_iteratorINS9_10device_ptrIsEEEEPS5_m9comp_mod3IsEEE10hipError_tT0_T1_T2_jT3_P12ihipStream_tbPNSt15iterator_traitsISJ_E10value_typeEPNSP_ISK_E10value_typeEPSL_NS1_7vsmem_tEENKUlT_SJ_SK_SL_E_clISE_PsSF_SF_EESI_SY_SJ_SK_SL_EUlSY_E_NS1_11comp_targetILNS1_3genE9ELNS1_11target_archE1100ELNS1_3gpuE3ELNS1_3repE0EEENS1_48merge_mergepath_partition_config_static_selectorELNS0_4arch9wavefront6targetE0EEEvSK_,comdat
	.protected	_ZN7rocprim17ROCPRIM_400000_NS6detail17trampoline_kernelINS0_14default_configENS1_38merge_sort_block_merge_config_selectorIsNS0_10empty_typeEEEZZNS1_27merge_sort_block_merge_implIS3_N6thrust23THRUST_200600_302600_NS6detail15normal_iteratorINS9_10device_ptrIsEEEEPS5_m9comp_mod3IsEEE10hipError_tT0_T1_T2_jT3_P12ihipStream_tbPNSt15iterator_traitsISJ_E10value_typeEPNSP_ISK_E10value_typeEPSL_NS1_7vsmem_tEENKUlT_SJ_SK_SL_E_clISE_PsSF_SF_EESI_SY_SJ_SK_SL_EUlSY_E_NS1_11comp_targetILNS1_3genE9ELNS1_11target_archE1100ELNS1_3gpuE3ELNS1_3repE0EEENS1_48merge_mergepath_partition_config_static_selectorELNS0_4arch9wavefront6targetE0EEEvSK_ ; -- Begin function _ZN7rocprim17ROCPRIM_400000_NS6detail17trampoline_kernelINS0_14default_configENS1_38merge_sort_block_merge_config_selectorIsNS0_10empty_typeEEEZZNS1_27merge_sort_block_merge_implIS3_N6thrust23THRUST_200600_302600_NS6detail15normal_iteratorINS9_10device_ptrIsEEEEPS5_m9comp_mod3IsEEE10hipError_tT0_T1_T2_jT3_P12ihipStream_tbPNSt15iterator_traitsISJ_E10value_typeEPNSP_ISK_E10value_typeEPSL_NS1_7vsmem_tEENKUlT_SJ_SK_SL_E_clISE_PsSF_SF_EESI_SY_SJ_SK_SL_EUlSY_E_NS1_11comp_targetILNS1_3genE9ELNS1_11target_archE1100ELNS1_3gpuE3ELNS1_3repE0EEENS1_48merge_mergepath_partition_config_static_selectorELNS0_4arch9wavefront6targetE0EEEvSK_
	.globl	_ZN7rocprim17ROCPRIM_400000_NS6detail17trampoline_kernelINS0_14default_configENS1_38merge_sort_block_merge_config_selectorIsNS0_10empty_typeEEEZZNS1_27merge_sort_block_merge_implIS3_N6thrust23THRUST_200600_302600_NS6detail15normal_iteratorINS9_10device_ptrIsEEEEPS5_m9comp_mod3IsEEE10hipError_tT0_T1_T2_jT3_P12ihipStream_tbPNSt15iterator_traitsISJ_E10value_typeEPNSP_ISK_E10value_typeEPSL_NS1_7vsmem_tEENKUlT_SJ_SK_SL_E_clISE_PsSF_SF_EESI_SY_SJ_SK_SL_EUlSY_E_NS1_11comp_targetILNS1_3genE9ELNS1_11target_archE1100ELNS1_3gpuE3ELNS1_3repE0EEENS1_48merge_mergepath_partition_config_static_selectorELNS0_4arch9wavefront6targetE0EEEvSK_
	.p2align	8
	.type	_ZN7rocprim17ROCPRIM_400000_NS6detail17trampoline_kernelINS0_14default_configENS1_38merge_sort_block_merge_config_selectorIsNS0_10empty_typeEEEZZNS1_27merge_sort_block_merge_implIS3_N6thrust23THRUST_200600_302600_NS6detail15normal_iteratorINS9_10device_ptrIsEEEEPS5_m9comp_mod3IsEEE10hipError_tT0_T1_T2_jT3_P12ihipStream_tbPNSt15iterator_traitsISJ_E10value_typeEPNSP_ISK_E10value_typeEPSL_NS1_7vsmem_tEENKUlT_SJ_SK_SL_E_clISE_PsSF_SF_EESI_SY_SJ_SK_SL_EUlSY_E_NS1_11comp_targetILNS1_3genE9ELNS1_11target_archE1100ELNS1_3gpuE3ELNS1_3repE0EEENS1_48merge_mergepath_partition_config_static_selectorELNS0_4arch9wavefront6targetE0EEEvSK_,@function
_ZN7rocprim17ROCPRIM_400000_NS6detail17trampoline_kernelINS0_14default_configENS1_38merge_sort_block_merge_config_selectorIsNS0_10empty_typeEEEZZNS1_27merge_sort_block_merge_implIS3_N6thrust23THRUST_200600_302600_NS6detail15normal_iteratorINS9_10device_ptrIsEEEEPS5_m9comp_mod3IsEEE10hipError_tT0_T1_T2_jT3_P12ihipStream_tbPNSt15iterator_traitsISJ_E10value_typeEPNSP_ISK_E10value_typeEPSL_NS1_7vsmem_tEENKUlT_SJ_SK_SL_E_clISE_PsSF_SF_EESI_SY_SJ_SK_SL_EUlSY_E_NS1_11comp_targetILNS1_3genE9ELNS1_11target_archE1100ELNS1_3gpuE3ELNS1_3repE0EEENS1_48merge_mergepath_partition_config_static_selectorELNS0_4arch9wavefront6targetE0EEEvSK_: ; @_ZN7rocprim17ROCPRIM_400000_NS6detail17trampoline_kernelINS0_14default_configENS1_38merge_sort_block_merge_config_selectorIsNS0_10empty_typeEEEZZNS1_27merge_sort_block_merge_implIS3_N6thrust23THRUST_200600_302600_NS6detail15normal_iteratorINS9_10device_ptrIsEEEEPS5_m9comp_mod3IsEEE10hipError_tT0_T1_T2_jT3_P12ihipStream_tbPNSt15iterator_traitsISJ_E10value_typeEPNSP_ISK_E10value_typeEPSL_NS1_7vsmem_tEENKUlT_SJ_SK_SL_E_clISE_PsSF_SF_EESI_SY_SJ_SK_SL_EUlSY_E_NS1_11comp_targetILNS1_3genE9ELNS1_11target_archE1100ELNS1_3gpuE3ELNS1_3repE0EEENS1_48merge_mergepath_partition_config_static_selectorELNS0_4arch9wavefront6targetE0EEEvSK_
; %bb.0:
	.section	.rodata,"a",@progbits
	.p2align	6, 0x0
	.amdhsa_kernel _ZN7rocprim17ROCPRIM_400000_NS6detail17trampoline_kernelINS0_14default_configENS1_38merge_sort_block_merge_config_selectorIsNS0_10empty_typeEEEZZNS1_27merge_sort_block_merge_implIS3_N6thrust23THRUST_200600_302600_NS6detail15normal_iteratorINS9_10device_ptrIsEEEEPS5_m9comp_mod3IsEEE10hipError_tT0_T1_T2_jT3_P12ihipStream_tbPNSt15iterator_traitsISJ_E10value_typeEPNSP_ISK_E10value_typeEPSL_NS1_7vsmem_tEENKUlT_SJ_SK_SL_E_clISE_PsSF_SF_EESI_SY_SJ_SK_SL_EUlSY_E_NS1_11comp_targetILNS1_3genE9ELNS1_11target_archE1100ELNS1_3gpuE3ELNS1_3repE0EEENS1_48merge_mergepath_partition_config_static_selectorELNS0_4arch9wavefront6targetE0EEEvSK_
		.amdhsa_group_segment_fixed_size 0
		.amdhsa_private_segment_fixed_size 0
		.amdhsa_kernarg_size 48
		.amdhsa_user_sgpr_count 6
		.amdhsa_user_sgpr_private_segment_buffer 1
		.amdhsa_user_sgpr_dispatch_ptr 0
		.amdhsa_user_sgpr_queue_ptr 0
		.amdhsa_user_sgpr_kernarg_segment_ptr 1
		.amdhsa_user_sgpr_dispatch_id 0
		.amdhsa_user_sgpr_flat_scratch_init 0
		.amdhsa_user_sgpr_private_segment_size 0
		.amdhsa_wavefront_size32 1
		.amdhsa_uses_dynamic_stack 0
		.amdhsa_system_sgpr_private_segment_wavefront_offset 0
		.amdhsa_system_sgpr_workgroup_id_x 1
		.amdhsa_system_sgpr_workgroup_id_y 0
		.amdhsa_system_sgpr_workgroup_id_z 0
		.amdhsa_system_sgpr_workgroup_info 0
		.amdhsa_system_vgpr_workitem_id 0
		.amdhsa_next_free_vgpr 1
		.amdhsa_next_free_sgpr 1
		.amdhsa_reserve_vcc 0
		.amdhsa_reserve_flat_scratch 0
		.amdhsa_float_round_mode_32 0
		.amdhsa_float_round_mode_16_64 0
		.amdhsa_float_denorm_mode_32 3
		.amdhsa_float_denorm_mode_16_64 3
		.amdhsa_dx10_clamp 1
		.amdhsa_ieee_mode 1
		.amdhsa_fp16_overflow 0
		.amdhsa_workgroup_processor_mode 1
		.amdhsa_memory_ordered 1
		.amdhsa_forward_progress 1
		.amdhsa_shared_vgpr_count 0
		.amdhsa_exception_fp_ieee_invalid_op 0
		.amdhsa_exception_fp_denorm_src 0
		.amdhsa_exception_fp_ieee_div_zero 0
		.amdhsa_exception_fp_ieee_overflow 0
		.amdhsa_exception_fp_ieee_underflow 0
		.amdhsa_exception_fp_ieee_inexact 0
		.amdhsa_exception_int_div_zero 0
	.end_amdhsa_kernel
	.section	.text._ZN7rocprim17ROCPRIM_400000_NS6detail17trampoline_kernelINS0_14default_configENS1_38merge_sort_block_merge_config_selectorIsNS0_10empty_typeEEEZZNS1_27merge_sort_block_merge_implIS3_N6thrust23THRUST_200600_302600_NS6detail15normal_iteratorINS9_10device_ptrIsEEEEPS5_m9comp_mod3IsEEE10hipError_tT0_T1_T2_jT3_P12ihipStream_tbPNSt15iterator_traitsISJ_E10value_typeEPNSP_ISK_E10value_typeEPSL_NS1_7vsmem_tEENKUlT_SJ_SK_SL_E_clISE_PsSF_SF_EESI_SY_SJ_SK_SL_EUlSY_E_NS1_11comp_targetILNS1_3genE9ELNS1_11target_archE1100ELNS1_3gpuE3ELNS1_3repE0EEENS1_48merge_mergepath_partition_config_static_selectorELNS0_4arch9wavefront6targetE0EEEvSK_,"axG",@progbits,_ZN7rocprim17ROCPRIM_400000_NS6detail17trampoline_kernelINS0_14default_configENS1_38merge_sort_block_merge_config_selectorIsNS0_10empty_typeEEEZZNS1_27merge_sort_block_merge_implIS3_N6thrust23THRUST_200600_302600_NS6detail15normal_iteratorINS9_10device_ptrIsEEEEPS5_m9comp_mod3IsEEE10hipError_tT0_T1_T2_jT3_P12ihipStream_tbPNSt15iterator_traitsISJ_E10value_typeEPNSP_ISK_E10value_typeEPSL_NS1_7vsmem_tEENKUlT_SJ_SK_SL_E_clISE_PsSF_SF_EESI_SY_SJ_SK_SL_EUlSY_E_NS1_11comp_targetILNS1_3genE9ELNS1_11target_archE1100ELNS1_3gpuE3ELNS1_3repE0EEENS1_48merge_mergepath_partition_config_static_selectorELNS0_4arch9wavefront6targetE0EEEvSK_,comdat
.Lfunc_end1076:
	.size	_ZN7rocprim17ROCPRIM_400000_NS6detail17trampoline_kernelINS0_14default_configENS1_38merge_sort_block_merge_config_selectorIsNS0_10empty_typeEEEZZNS1_27merge_sort_block_merge_implIS3_N6thrust23THRUST_200600_302600_NS6detail15normal_iteratorINS9_10device_ptrIsEEEEPS5_m9comp_mod3IsEEE10hipError_tT0_T1_T2_jT3_P12ihipStream_tbPNSt15iterator_traitsISJ_E10value_typeEPNSP_ISK_E10value_typeEPSL_NS1_7vsmem_tEENKUlT_SJ_SK_SL_E_clISE_PsSF_SF_EESI_SY_SJ_SK_SL_EUlSY_E_NS1_11comp_targetILNS1_3genE9ELNS1_11target_archE1100ELNS1_3gpuE3ELNS1_3repE0EEENS1_48merge_mergepath_partition_config_static_selectorELNS0_4arch9wavefront6targetE0EEEvSK_, .Lfunc_end1076-_ZN7rocprim17ROCPRIM_400000_NS6detail17trampoline_kernelINS0_14default_configENS1_38merge_sort_block_merge_config_selectorIsNS0_10empty_typeEEEZZNS1_27merge_sort_block_merge_implIS3_N6thrust23THRUST_200600_302600_NS6detail15normal_iteratorINS9_10device_ptrIsEEEEPS5_m9comp_mod3IsEEE10hipError_tT0_T1_T2_jT3_P12ihipStream_tbPNSt15iterator_traitsISJ_E10value_typeEPNSP_ISK_E10value_typeEPSL_NS1_7vsmem_tEENKUlT_SJ_SK_SL_E_clISE_PsSF_SF_EESI_SY_SJ_SK_SL_EUlSY_E_NS1_11comp_targetILNS1_3genE9ELNS1_11target_archE1100ELNS1_3gpuE3ELNS1_3repE0EEENS1_48merge_mergepath_partition_config_static_selectorELNS0_4arch9wavefront6targetE0EEEvSK_
                                        ; -- End function
	.set _ZN7rocprim17ROCPRIM_400000_NS6detail17trampoline_kernelINS0_14default_configENS1_38merge_sort_block_merge_config_selectorIsNS0_10empty_typeEEEZZNS1_27merge_sort_block_merge_implIS3_N6thrust23THRUST_200600_302600_NS6detail15normal_iteratorINS9_10device_ptrIsEEEEPS5_m9comp_mod3IsEEE10hipError_tT0_T1_T2_jT3_P12ihipStream_tbPNSt15iterator_traitsISJ_E10value_typeEPNSP_ISK_E10value_typeEPSL_NS1_7vsmem_tEENKUlT_SJ_SK_SL_E_clISE_PsSF_SF_EESI_SY_SJ_SK_SL_EUlSY_E_NS1_11comp_targetILNS1_3genE9ELNS1_11target_archE1100ELNS1_3gpuE3ELNS1_3repE0EEENS1_48merge_mergepath_partition_config_static_selectorELNS0_4arch9wavefront6targetE0EEEvSK_.num_vgpr, 0
	.set _ZN7rocprim17ROCPRIM_400000_NS6detail17trampoline_kernelINS0_14default_configENS1_38merge_sort_block_merge_config_selectorIsNS0_10empty_typeEEEZZNS1_27merge_sort_block_merge_implIS3_N6thrust23THRUST_200600_302600_NS6detail15normal_iteratorINS9_10device_ptrIsEEEEPS5_m9comp_mod3IsEEE10hipError_tT0_T1_T2_jT3_P12ihipStream_tbPNSt15iterator_traitsISJ_E10value_typeEPNSP_ISK_E10value_typeEPSL_NS1_7vsmem_tEENKUlT_SJ_SK_SL_E_clISE_PsSF_SF_EESI_SY_SJ_SK_SL_EUlSY_E_NS1_11comp_targetILNS1_3genE9ELNS1_11target_archE1100ELNS1_3gpuE3ELNS1_3repE0EEENS1_48merge_mergepath_partition_config_static_selectorELNS0_4arch9wavefront6targetE0EEEvSK_.num_agpr, 0
	.set _ZN7rocprim17ROCPRIM_400000_NS6detail17trampoline_kernelINS0_14default_configENS1_38merge_sort_block_merge_config_selectorIsNS0_10empty_typeEEEZZNS1_27merge_sort_block_merge_implIS3_N6thrust23THRUST_200600_302600_NS6detail15normal_iteratorINS9_10device_ptrIsEEEEPS5_m9comp_mod3IsEEE10hipError_tT0_T1_T2_jT3_P12ihipStream_tbPNSt15iterator_traitsISJ_E10value_typeEPNSP_ISK_E10value_typeEPSL_NS1_7vsmem_tEENKUlT_SJ_SK_SL_E_clISE_PsSF_SF_EESI_SY_SJ_SK_SL_EUlSY_E_NS1_11comp_targetILNS1_3genE9ELNS1_11target_archE1100ELNS1_3gpuE3ELNS1_3repE0EEENS1_48merge_mergepath_partition_config_static_selectorELNS0_4arch9wavefront6targetE0EEEvSK_.numbered_sgpr, 0
	.set _ZN7rocprim17ROCPRIM_400000_NS6detail17trampoline_kernelINS0_14default_configENS1_38merge_sort_block_merge_config_selectorIsNS0_10empty_typeEEEZZNS1_27merge_sort_block_merge_implIS3_N6thrust23THRUST_200600_302600_NS6detail15normal_iteratorINS9_10device_ptrIsEEEEPS5_m9comp_mod3IsEEE10hipError_tT0_T1_T2_jT3_P12ihipStream_tbPNSt15iterator_traitsISJ_E10value_typeEPNSP_ISK_E10value_typeEPSL_NS1_7vsmem_tEENKUlT_SJ_SK_SL_E_clISE_PsSF_SF_EESI_SY_SJ_SK_SL_EUlSY_E_NS1_11comp_targetILNS1_3genE9ELNS1_11target_archE1100ELNS1_3gpuE3ELNS1_3repE0EEENS1_48merge_mergepath_partition_config_static_selectorELNS0_4arch9wavefront6targetE0EEEvSK_.num_named_barrier, 0
	.set _ZN7rocprim17ROCPRIM_400000_NS6detail17trampoline_kernelINS0_14default_configENS1_38merge_sort_block_merge_config_selectorIsNS0_10empty_typeEEEZZNS1_27merge_sort_block_merge_implIS3_N6thrust23THRUST_200600_302600_NS6detail15normal_iteratorINS9_10device_ptrIsEEEEPS5_m9comp_mod3IsEEE10hipError_tT0_T1_T2_jT3_P12ihipStream_tbPNSt15iterator_traitsISJ_E10value_typeEPNSP_ISK_E10value_typeEPSL_NS1_7vsmem_tEENKUlT_SJ_SK_SL_E_clISE_PsSF_SF_EESI_SY_SJ_SK_SL_EUlSY_E_NS1_11comp_targetILNS1_3genE9ELNS1_11target_archE1100ELNS1_3gpuE3ELNS1_3repE0EEENS1_48merge_mergepath_partition_config_static_selectorELNS0_4arch9wavefront6targetE0EEEvSK_.private_seg_size, 0
	.set _ZN7rocprim17ROCPRIM_400000_NS6detail17trampoline_kernelINS0_14default_configENS1_38merge_sort_block_merge_config_selectorIsNS0_10empty_typeEEEZZNS1_27merge_sort_block_merge_implIS3_N6thrust23THRUST_200600_302600_NS6detail15normal_iteratorINS9_10device_ptrIsEEEEPS5_m9comp_mod3IsEEE10hipError_tT0_T1_T2_jT3_P12ihipStream_tbPNSt15iterator_traitsISJ_E10value_typeEPNSP_ISK_E10value_typeEPSL_NS1_7vsmem_tEENKUlT_SJ_SK_SL_E_clISE_PsSF_SF_EESI_SY_SJ_SK_SL_EUlSY_E_NS1_11comp_targetILNS1_3genE9ELNS1_11target_archE1100ELNS1_3gpuE3ELNS1_3repE0EEENS1_48merge_mergepath_partition_config_static_selectorELNS0_4arch9wavefront6targetE0EEEvSK_.uses_vcc, 0
	.set _ZN7rocprim17ROCPRIM_400000_NS6detail17trampoline_kernelINS0_14default_configENS1_38merge_sort_block_merge_config_selectorIsNS0_10empty_typeEEEZZNS1_27merge_sort_block_merge_implIS3_N6thrust23THRUST_200600_302600_NS6detail15normal_iteratorINS9_10device_ptrIsEEEEPS5_m9comp_mod3IsEEE10hipError_tT0_T1_T2_jT3_P12ihipStream_tbPNSt15iterator_traitsISJ_E10value_typeEPNSP_ISK_E10value_typeEPSL_NS1_7vsmem_tEENKUlT_SJ_SK_SL_E_clISE_PsSF_SF_EESI_SY_SJ_SK_SL_EUlSY_E_NS1_11comp_targetILNS1_3genE9ELNS1_11target_archE1100ELNS1_3gpuE3ELNS1_3repE0EEENS1_48merge_mergepath_partition_config_static_selectorELNS0_4arch9wavefront6targetE0EEEvSK_.uses_flat_scratch, 0
	.set _ZN7rocprim17ROCPRIM_400000_NS6detail17trampoline_kernelINS0_14default_configENS1_38merge_sort_block_merge_config_selectorIsNS0_10empty_typeEEEZZNS1_27merge_sort_block_merge_implIS3_N6thrust23THRUST_200600_302600_NS6detail15normal_iteratorINS9_10device_ptrIsEEEEPS5_m9comp_mod3IsEEE10hipError_tT0_T1_T2_jT3_P12ihipStream_tbPNSt15iterator_traitsISJ_E10value_typeEPNSP_ISK_E10value_typeEPSL_NS1_7vsmem_tEENKUlT_SJ_SK_SL_E_clISE_PsSF_SF_EESI_SY_SJ_SK_SL_EUlSY_E_NS1_11comp_targetILNS1_3genE9ELNS1_11target_archE1100ELNS1_3gpuE3ELNS1_3repE0EEENS1_48merge_mergepath_partition_config_static_selectorELNS0_4arch9wavefront6targetE0EEEvSK_.has_dyn_sized_stack, 0
	.set _ZN7rocprim17ROCPRIM_400000_NS6detail17trampoline_kernelINS0_14default_configENS1_38merge_sort_block_merge_config_selectorIsNS0_10empty_typeEEEZZNS1_27merge_sort_block_merge_implIS3_N6thrust23THRUST_200600_302600_NS6detail15normal_iteratorINS9_10device_ptrIsEEEEPS5_m9comp_mod3IsEEE10hipError_tT0_T1_T2_jT3_P12ihipStream_tbPNSt15iterator_traitsISJ_E10value_typeEPNSP_ISK_E10value_typeEPSL_NS1_7vsmem_tEENKUlT_SJ_SK_SL_E_clISE_PsSF_SF_EESI_SY_SJ_SK_SL_EUlSY_E_NS1_11comp_targetILNS1_3genE9ELNS1_11target_archE1100ELNS1_3gpuE3ELNS1_3repE0EEENS1_48merge_mergepath_partition_config_static_selectorELNS0_4arch9wavefront6targetE0EEEvSK_.has_recursion, 0
	.set _ZN7rocprim17ROCPRIM_400000_NS6detail17trampoline_kernelINS0_14default_configENS1_38merge_sort_block_merge_config_selectorIsNS0_10empty_typeEEEZZNS1_27merge_sort_block_merge_implIS3_N6thrust23THRUST_200600_302600_NS6detail15normal_iteratorINS9_10device_ptrIsEEEEPS5_m9comp_mod3IsEEE10hipError_tT0_T1_T2_jT3_P12ihipStream_tbPNSt15iterator_traitsISJ_E10value_typeEPNSP_ISK_E10value_typeEPSL_NS1_7vsmem_tEENKUlT_SJ_SK_SL_E_clISE_PsSF_SF_EESI_SY_SJ_SK_SL_EUlSY_E_NS1_11comp_targetILNS1_3genE9ELNS1_11target_archE1100ELNS1_3gpuE3ELNS1_3repE0EEENS1_48merge_mergepath_partition_config_static_selectorELNS0_4arch9wavefront6targetE0EEEvSK_.has_indirect_call, 0
	.section	.AMDGPU.csdata,"",@progbits
; Kernel info:
; codeLenInByte = 0
; TotalNumSgprs: 0
; NumVgprs: 0
; ScratchSize: 0
; MemoryBound: 0
; FloatMode: 240
; IeeeMode: 1
; LDSByteSize: 0 bytes/workgroup (compile time only)
; SGPRBlocks: 0
; VGPRBlocks: 0
; NumSGPRsForWavesPerEU: 1
; NumVGPRsForWavesPerEU: 1
; Occupancy: 16
; WaveLimiterHint : 0
; COMPUTE_PGM_RSRC2:SCRATCH_EN: 0
; COMPUTE_PGM_RSRC2:USER_SGPR: 6
; COMPUTE_PGM_RSRC2:TRAP_HANDLER: 0
; COMPUTE_PGM_RSRC2:TGID_X_EN: 1
; COMPUTE_PGM_RSRC2:TGID_Y_EN: 0
; COMPUTE_PGM_RSRC2:TGID_Z_EN: 0
; COMPUTE_PGM_RSRC2:TIDIG_COMP_CNT: 0
	.section	.text._ZN7rocprim17ROCPRIM_400000_NS6detail17trampoline_kernelINS0_14default_configENS1_38merge_sort_block_merge_config_selectorIsNS0_10empty_typeEEEZZNS1_27merge_sort_block_merge_implIS3_N6thrust23THRUST_200600_302600_NS6detail15normal_iteratorINS9_10device_ptrIsEEEEPS5_m9comp_mod3IsEEE10hipError_tT0_T1_T2_jT3_P12ihipStream_tbPNSt15iterator_traitsISJ_E10value_typeEPNSP_ISK_E10value_typeEPSL_NS1_7vsmem_tEENKUlT_SJ_SK_SL_E_clISE_PsSF_SF_EESI_SY_SJ_SK_SL_EUlSY_E_NS1_11comp_targetILNS1_3genE8ELNS1_11target_archE1030ELNS1_3gpuE2ELNS1_3repE0EEENS1_48merge_mergepath_partition_config_static_selectorELNS0_4arch9wavefront6targetE0EEEvSK_,"axG",@progbits,_ZN7rocprim17ROCPRIM_400000_NS6detail17trampoline_kernelINS0_14default_configENS1_38merge_sort_block_merge_config_selectorIsNS0_10empty_typeEEEZZNS1_27merge_sort_block_merge_implIS3_N6thrust23THRUST_200600_302600_NS6detail15normal_iteratorINS9_10device_ptrIsEEEEPS5_m9comp_mod3IsEEE10hipError_tT0_T1_T2_jT3_P12ihipStream_tbPNSt15iterator_traitsISJ_E10value_typeEPNSP_ISK_E10value_typeEPSL_NS1_7vsmem_tEENKUlT_SJ_SK_SL_E_clISE_PsSF_SF_EESI_SY_SJ_SK_SL_EUlSY_E_NS1_11comp_targetILNS1_3genE8ELNS1_11target_archE1030ELNS1_3gpuE2ELNS1_3repE0EEENS1_48merge_mergepath_partition_config_static_selectorELNS0_4arch9wavefront6targetE0EEEvSK_,comdat
	.protected	_ZN7rocprim17ROCPRIM_400000_NS6detail17trampoline_kernelINS0_14default_configENS1_38merge_sort_block_merge_config_selectorIsNS0_10empty_typeEEEZZNS1_27merge_sort_block_merge_implIS3_N6thrust23THRUST_200600_302600_NS6detail15normal_iteratorINS9_10device_ptrIsEEEEPS5_m9comp_mod3IsEEE10hipError_tT0_T1_T2_jT3_P12ihipStream_tbPNSt15iterator_traitsISJ_E10value_typeEPNSP_ISK_E10value_typeEPSL_NS1_7vsmem_tEENKUlT_SJ_SK_SL_E_clISE_PsSF_SF_EESI_SY_SJ_SK_SL_EUlSY_E_NS1_11comp_targetILNS1_3genE8ELNS1_11target_archE1030ELNS1_3gpuE2ELNS1_3repE0EEENS1_48merge_mergepath_partition_config_static_selectorELNS0_4arch9wavefront6targetE0EEEvSK_ ; -- Begin function _ZN7rocprim17ROCPRIM_400000_NS6detail17trampoline_kernelINS0_14default_configENS1_38merge_sort_block_merge_config_selectorIsNS0_10empty_typeEEEZZNS1_27merge_sort_block_merge_implIS3_N6thrust23THRUST_200600_302600_NS6detail15normal_iteratorINS9_10device_ptrIsEEEEPS5_m9comp_mod3IsEEE10hipError_tT0_T1_T2_jT3_P12ihipStream_tbPNSt15iterator_traitsISJ_E10value_typeEPNSP_ISK_E10value_typeEPSL_NS1_7vsmem_tEENKUlT_SJ_SK_SL_E_clISE_PsSF_SF_EESI_SY_SJ_SK_SL_EUlSY_E_NS1_11comp_targetILNS1_3genE8ELNS1_11target_archE1030ELNS1_3gpuE2ELNS1_3repE0EEENS1_48merge_mergepath_partition_config_static_selectorELNS0_4arch9wavefront6targetE0EEEvSK_
	.globl	_ZN7rocprim17ROCPRIM_400000_NS6detail17trampoline_kernelINS0_14default_configENS1_38merge_sort_block_merge_config_selectorIsNS0_10empty_typeEEEZZNS1_27merge_sort_block_merge_implIS3_N6thrust23THRUST_200600_302600_NS6detail15normal_iteratorINS9_10device_ptrIsEEEEPS5_m9comp_mod3IsEEE10hipError_tT0_T1_T2_jT3_P12ihipStream_tbPNSt15iterator_traitsISJ_E10value_typeEPNSP_ISK_E10value_typeEPSL_NS1_7vsmem_tEENKUlT_SJ_SK_SL_E_clISE_PsSF_SF_EESI_SY_SJ_SK_SL_EUlSY_E_NS1_11comp_targetILNS1_3genE8ELNS1_11target_archE1030ELNS1_3gpuE2ELNS1_3repE0EEENS1_48merge_mergepath_partition_config_static_selectorELNS0_4arch9wavefront6targetE0EEEvSK_
	.p2align	8
	.type	_ZN7rocprim17ROCPRIM_400000_NS6detail17trampoline_kernelINS0_14default_configENS1_38merge_sort_block_merge_config_selectorIsNS0_10empty_typeEEEZZNS1_27merge_sort_block_merge_implIS3_N6thrust23THRUST_200600_302600_NS6detail15normal_iteratorINS9_10device_ptrIsEEEEPS5_m9comp_mod3IsEEE10hipError_tT0_T1_T2_jT3_P12ihipStream_tbPNSt15iterator_traitsISJ_E10value_typeEPNSP_ISK_E10value_typeEPSL_NS1_7vsmem_tEENKUlT_SJ_SK_SL_E_clISE_PsSF_SF_EESI_SY_SJ_SK_SL_EUlSY_E_NS1_11comp_targetILNS1_3genE8ELNS1_11target_archE1030ELNS1_3gpuE2ELNS1_3repE0EEENS1_48merge_mergepath_partition_config_static_selectorELNS0_4arch9wavefront6targetE0EEEvSK_,@function
_ZN7rocprim17ROCPRIM_400000_NS6detail17trampoline_kernelINS0_14default_configENS1_38merge_sort_block_merge_config_selectorIsNS0_10empty_typeEEEZZNS1_27merge_sort_block_merge_implIS3_N6thrust23THRUST_200600_302600_NS6detail15normal_iteratorINS9_10device_ptrIsEEEEPS5_m9comp_mod3IsEEE10hipError_tT0_T1_T2_jT3_P12ihipStream_tbPNSt15iterator_traitsISJ_E10value_typeEPNSP_ISK_E10value_typeEPSL_NS1_7vsmem_tEENKUlT_SJ_SK_SL_E_clISE_PsSF_SF_EESI_SY_SJ_SK_SL_EUlSY_E_NS1_11comp_targetILNS1_3genE8ELNS1_11target_archE1030ELNS1_3gpuE2ELNS1_3repE0EEENS1_48merge_mergepath_partition_config_static_selectorELNS0_4arch9wavefront6targetE0EEEvSK_: ; @_ZN7rocprim17ROCPRIM_400000_NS6detail17trampoline_kernelINS0_14default_configENS1_38merge_sort_block_merge_config_selectorIsNS0_10empty_typeEEEZZNS1_27merge_sort_block_merge_implIS3_N6thrust23THRUST_200600_302600_NS6detail15normal_iteratorINS9_10device_ptrIsEEEEPS5_m9comp_mod3IsEEE10hipError_tT0_T1_T2_jT3_P12ihipStream_tbPNSt15iterator_traitsISJ_E10value_typeEPNSP_ISK_E10value_typeEPSL_NS1_7vsmem_tEENKUlT_SJ_SK_SL_E_clISE_PsSF_SF_EESI_SY_SJ_SK_SL_EUlSY_E_NS1_11comp_targetILNS1_3genE8ELNS1_11target_archE1030ELNS1_3gpuE2ELNS1_3repE0EEENS1_48merge_mergepath_partition_config_static_selectorELNS0_4arch9wavefront6targetE0EEEvSK_
; %bb.0:
	s_load_dword s0, s[4:5], 0x0
	v_lshl_or_b32 v0, s6, 7, v0
	s_waitcnt lgkmcnt(0)
	v_cmp_gt_u32_e32 vcc_lo, s0, v0
	s_and_saveexec_b32 s0, vcc_lo
	s_cbranch_execz .LBB1077_6
; %bb.1:
	s_clause 0x1
	s_load_dwordx4 s[0:3], s[4:5], 0x8
	s_load_dwordx4 s[8:11], s[4:5], 0x20
	v_mov_b32_e32 v2, 0
	v_mov_b32_e32 v11, v2
	s_waitcnt lgkmcnt(0)
	s_lshr_b64 s[6:7], s[0:1], 9
	s_and_b32 s6, s6, -2
	s_sub_i32 s7, 0, s6
	s_add_i32 s6, s6, -1
	v_and_b32_e32 v1, s7, v0
	v_and_b32_e32 v10, s6, v0
	v_lshlrev_b64 v[4:5], 10, v[1:2]
	v_add_co_u32 v6, vcc_lo, v4, s0
	v_add_co_ci_u32_e64 v7, null, s1, v5, vcc_lo
	v_cmp_lt_u64_e32 vcc_lo, s[2:3], v[6:7]
	v_cndmask_b32_e64 v8, v6, s2, vcc_lo
	v_cndmask_b32_e64 v9, v7, s3, vcc_lo
	v_add_co_u32 v6, vcc_lo, v8, s0
	v_add_co_ci_u32_e64 v7, null, s1, v9, vcc_lo
	v_cmp_lt_u64_e32 vcc_lo, s[2:3], v[4:5]
	s_mov_b32 s1, 0
	v_cmp_lt_u64_e64 s0, s[2:3], v[6:7]
	v_cndmask_b32_e64 v2, v4, s2, vcc_lo
	v_cndmask_b32_e64 v3, v5, s3, vcc_lo
	v_lshlrev_b64 v[4:5], 10, v[10:11]
	v_cndmask_b32_e64 v12, v6, s2, s0
	v_cndmask_b32_e64 v1, v7, s3, s0
	v_sub_co_u32 v6, vcc_lo, v12, v2
	v_sub_co_ci_u32_e64 v7, null, v1, v3, vcc_lo
	v_cmp_lt_u64_e32 vcc_lo, v[6:7], v[4:5]
	v_cndmask_b32_e32 v11, v5, v7, vcc_lo
	v_cndmask_b32_e32 v10, v4, v6, vcc_lo
	v_sub_co_u32 v4, vcc_lo, v8, v12
	v_sub_co_ci_u32_e64 v1, null, v9, v1, vcc_lo
	v_add_co_u32 v4, vcc_lo, v10, v4
	v_add_co_ci_u32_e64 v5, null, v11, v1, vcc_lo
	v_sub_co_u32 v6, vcc_lo, v8, v2
	v_sub_co_ci_u32_e64 v7, null, v9, v3, vcc_lo
	v_cmp_gt_u64_e32 vcc_lo, v[4:5], v[10:11]
	v_cmp_lt_u64_e64 s0, v[10:11], v[6:7]
	v_cndmask_b32_e64 v5, v5, 0, vcc_lo
	v_cndmask_b32_e64 v4, v4, 0, vcc_lo
	v_cndmask_b32_e64 v7, v7, v11, s0
	v_cndmask_b32_e64 v6, v6, v10, s0
	s_mov_b32 s0, exec_lo
	v_cmpx_lt_u64_e64 v[4:5], v[6:7]
	s_cbranch_execz .LBB1077_5
; %bb.2:
	s_load_dwordx2 s[2:3], s[4:5], 0x18
	v_lshlrev_b64 v[8:9], 1, v[8:9]
	v_lshlrev_b64 v[12:13], 1, v[2:3]
	;; [unrolled: 1-line block ×3, first 2 shown]
	s_waitcnt lgkmcnt(0)
	v_add_co_u32 v14, vcc_lo, s2, v8
	v_add_co_ci_u32_e64 v15, null, s3, v9, vcc_lo
	v_add_co_u32 v1, vcc_lo, s2, v12
	v_add_co_ci_u32_e64 v8, null, s3, v13, vcc_lo
	;; [unrolled: 2-line block ×3, first 2 shown]
.LBB1077_3:                             ; =>This Inner Loop Header: Depth=1
	v_add_co_u32 v11, vcc_lo, v6, v4
	v_add_co_ci_u32_e64 v12, null, v7, v5, vcc_lo
	v_and_b32_e32 v13, -2, v11
	v_xor_b32_e32 v16, -1, v12
	v_xor_b32_e32 v15, -2, v13
	v_add_co_u32 v13, vcc_lo, v1, v13
	v_add_co_ci_u32_e64 v14, null, v8, v12, vcc_lo
	v_add_co_u32 v15, vcc_lo, v9, v15
	v_add_co_ci_u32_e64 v16, null, v10, v16, vcc_lo
	v_lshrrev_b64 v[11:12], 1, v[11:12]
	flat_load_ushort v13, v[13:14]
	flat_load_ushort v14, v[15:16]
	s_waitcnt vmcnt(1) lgkmcnt(1)
	v_bfe_i32 v13, v13, 0, 16
	s_waitcnt vmcnt(0) lgkmcnt(0)
	v_bfe_i32 v15, v14, 0, 16
	v_ashrrev_i32_e32 v14, 31, v13
	v_ashrrev_i32_e32 v16, 31, v15
	v_lshlrev_b64 v[13:14], 1, v[13:14]
	v_lshlrev_b64 v[15:16], 1, v[15:16]
	v_add_co_u32 v13, vcc_lo, s8, v13
	v_add_co_ci_u32_e64 v14, null, s9, v14, vcc_lo
	v_add_co_u32 v15, vcc_lo, s8, v15
	v_add_co_ci_u32_e64 v16, null, s9, v16, vcc_lo
	s_clause 0x1
	global_load_ushort v15, v[15:16], off
	global_load_ushort v13, v[13:14], off
	v_add_co_u32 v14, vcc_lo, v11, 1
	v_add_co_ci_u32_e64 v16, null, 0, v12, vcc_lo
	s_waitcnt vmcnt(0)
	v_cmp_lt_i16_e32 vcc_lo, v15, v13
	v_cndmask_b32_e32 v7, v7, v12, vcc_lo
	v_cndmask_b32_e32 v6, v6, v11, vcc_lo
	;; [unrolled: 1-line block ×4, first 2 shown]
	v_cmp_ge_u64_e32 vcc_lo, v[4:5], v[6:7]
	s_or_b32 s1, vcc_lo, s1
	s_andn2_b32 exec_lo, exec_lo, s1
	s_cbranch_execnz .LBB1077_3
; %bb.4:
	s_or_b32 exec_lo, exec_lo, s1
.LBB1077_5:
	s_or_b32 exec_lo, exec_lo, s0
	v_mov_b32_e32 v1, 0
	v_add_co_u32 v2, vcc_lo, v4, v2
	v_add_co_ci_u32_e64 v3, null, v5, v3, vcc_lo
	v_lshlrev_b64 v[0:1], 3, v[0:1]
	v_add_co_u32 v0, vcc_lo, s10, v0
	v_add_co_ci_u32_e64 v1, null, s11, v1, vcc_lo
	global_store_dwordx2 v[0:1], v[2:3], off
.LBB1077_6:
	s_endpgm
	.section	.rodata,"a",@progbits
	.p2align	6, 0x0
	.amdhsa_kernel _ZN7rocprim17ROCPRIM_400000_NS6detail17trampoline_kernelINS0_14default_configENS1_38merge_sort_block_merge_config_selectorIsNS0_10empty_typeEEEZZNS1_27merge_sort_block_merge_implIS3_N6thrust23THRUST_200600_302600_NS6detail15normal_iteratorINS9_10device_ptrIsEEEEPS5_m9comp_mod3IsEEE10hipError_tT0_T1_T2_jT3_P12ihipStream_tbPNSt15iterator_traitsISJ_E10value_typeEPNSP_ISK_E10value_typeEPSL_NS1_7vsmem_tEENKUlT_SJ_SK_SL_E_clISE_PsSF_SF_EESI_SY_SJ_SK_SL_EUlSY_E_NS1_11comp_targetILNS1_3genE8ELNS1_11target_archE1030ELNS1_3gpuE2ELNS1_3repE0EEENS1_48merge_mergepath_partition_config_static_selectorELNS0_4arch9wavefront6targetE0EEEvSK_
		.amdhsa_group_segment_fixed_size 0
		.amdhsa_private_segment_fixed_size 0
		.amdhsa_kernarg_size 48
		.amdhsa_user_sgpr_count 6
		.amdhsa_user_sgpr_private_segment_buffer 1
		.amdhsa_user_sgpr_dispatch_ptr 0
		.amdhsa_user_sgpr_queue_ptr 0
		.amdhsa_user_sgpr_kernarg_segment_ptr 1
		.amdhsa_user_sgpr_dispatch_id 0
		.amdhsa_user_sgpr_flat_scratch_init 0
		.amdhsa_user_sgpr_private_segment_size 0
		.amdhsa_wavefront_size32 1
		.amdhsa_uses_dynamic_stack 0
		.amdhsa_system_sgpr_private_segment_wavefront_offset 0
		.amdhsa_system_sgpr_workgroup_id_x 1
		.amdhsa_system_sgpr_workgroup_id_y 0
		.amdhsa_system_sgpr_workgroup_id_z 0
		.amdhsa_system_sgpr_workgroup_info 0
		.amdhsa_system_vgpr_workitem_id 0
		.amdhsa_next_free_vgpr 17
		.amdhsa_next_free_sgpr 12
		.amdhsa_reserve_vcc 1
		.amdhsa_reserve_flat_scratch 0
		.amdhsa_float_round_mode_32 0
		.amdhsa_float_round_mode_16_64 0
		.amdhsa_float_denorm_mode_32 3
		.amdhsa_float_denorm_mode_16_64 3
		.amdhsa_dx10_clamp 1
		.amdhsa_ieee_mode 1
		.amdhsa_fp16_overflow 0
		.amdhsa_workgroup_processor_mode 1
		.amdhsa_memory_ordered 1
		.amdhsa_forward_progress 1
		.amdhsa_shared_vgpr_count 0
		.amdhsa_exception_fp_ieee_invalid_op 0
		.amdhsa_exception_fp_denorm_src 0
		.amdhsa_exception_fp_ieee_div_zero 0
		.amdhsa_exception_fp_ieee_overflow 0
		.amdhsa_exception_fp_ieee_underflow 0
		.amdhsa_exception_fp_ieee_inexact 0
		.amdhsa_exception_int_div_zero 0
	.end_amdhsa_kernel
	.section	.text._ZN7rocprim17ROCPRIM_400000_NS6detail17trampoline_kernelINS0_14default_configENS1_38merge_sort_block_merge_config_selectorIsNS0_10empty_typeEEEZZNS1_27merge_sort_block_merge_implIS3_N6thrust23THRUST_200600_302600_NS6detail15normal_iteratorINS9_10device_ptrIsEEEEPS5_m9comp_mod3IsEEE10hipError_tT0_T1_T2_jT3_P12ihipStream_tbPNSt15iterator_traitsISJ_E10value_typeEPNSP_ISK_E10value_typeEPSL_NS1_7vsmem_tEENKUlT_SJ_SK_SL_E_clISE_PsSF_SF_EESI_SY_SJ_SK_SL_EUlSY_E_NS1_11comp_targetILNS1_3genE8ELNS1_11target_archE1030ELNS1_3gpuE2ELNS1_3repE0EEENS1_48merge_mergepath_partition_config_static_selectorELNS0_4arch9wavefront6targetE0EEEvSK_,"axG",@progbits,_ZN7rocprim17ROCPRIM_400000_NS6detail17trampoline_kernelINS0_14default_configENS1_38merge_sort_block_merge_config_selectorIsNS0_10empty_typeEEEZZNS1_27merge_sort_block_merge_implIS3_N6thrust23THRUST_200600_302600_NS6detail15normal_iteratorINS9_10device_ptrIsEEEEPS5_m9comp_mod3IsEEE10hipError_tT0_T1_T2_jT3_P12ihipStream_tbPNSt15iterator_traitsISJ_E10value_typeEPNSP_ISK_E10value_typeEPSL_NS1_7vsmem_tEENKUlT_SJ_SK_SL_E_clISE_PsSF_SF_EESI_SY_SJ_SK_SL_EUlSY_E_NS1_11comp_targetILNS1_3genE8ELNS1_11target_archE1030ELNS1_3gpuE2ELNS1_3repE0EEENS1_48merge_mergepath_partition_config_static_selectorELNS0_4arch9wavefront6targetE0EEEvSK_,comdat
.Lfunc_end1077:
	.size	_ZN7rocprim17ROCPRIM_400000_NS6detail17trampoline_kernelINS0_14default_configENS1_38merge_sort_block_merge_config_selectorIsNS0_10empty_typeEEEZZNS1_27merge_sort_block_merge_implIS3_N6thrust23THRUST_200600_302600_NS6detail15normal_iteratorINS9_10device_ptrIsEEEEPS5_m9comp_mod3IsEEE10hipError_tT0_T1_T2_jT3_P12ihipStream_tbPNSt15iterator_traitsISJ_E10value_typeEPNSP_ISK_E10value_typeEPSL_NS1_7vsmem_tEENKUlT_SJ_SK_SL_E_clISE_PsSF_SF_EESI_SY_SJ_SK_SL_EUlSY_E_NS1_11comp_targetILNS1_3genE8ELNS1_11target_archE1030ELNS1_3gpuE2ELNS1_3repE0EEENS1_48merge_mergepath_partition_config_static_selectorELNS0_4arch9wavefront6targetE0EEEvSK_, .Lfunc_end1077-_ZN7rocprim17ROCPRIM_400000_NS6detail17trampoline_kernelINS0_14default_configENS1_38merge_sort_block_merge_config_selectorIsNS0_10empty_typeEEEZZNS1_27merge_sort_block_merge_implIS3_N6thrust23THRUST_200600_302600_NS6detail15normal_iteratorINS9_10device_ptrIsEEEEPS5_m9comp_mod3IsEEE10hipError_tT0_T1_T2_jT3_P12ihipStream_tbPNSt15iterator_traitsISJ_E10value_typeEPNSP_ISK_E10value_typeEPSL_NS1_7vsmem_tEENKUlT_SJ_SK_SL_E_clISE_PsSF_SF_EESI_SY_SJ_SK_SL_EUlSY_E_NS1_11comp_targetILNS1_3genE8ELNS1_11target_archE1030ELNS1_3gpuE2ELNS1_3repE0EEENS1_48merge_mergepath_partition_config_static_selectorELNS0_4arch9wavefront6targetE0EEEvSK_
                                        ; -- End function
	.set _ZN7rocprim17ROCPRIM_400000_NS6detail17trampoline_kernelINS0_14default_configENS1_38merge_sort_block_merge_config_selectorIsNS0_10empty_typeEEEZZNS1_27merge_sort_block_merge_implIS3_N6thrust23THRUST_200600_302600_NS6detail15normal_iteratorINS9_10device_ptrIsEEEEPS5_m9comp_mod3IsEEE10hipError_tT0_T1_T2_jT3_P12ihipStream_tbPNSt15iterator_traitsISJ_E10value_typeEPNSP_ISK_E10value_typeEPSL_NS1_7vsmem_tEENKUlT_SJ_SK_SL_E_clISE_PsSF_SF_EESI_SY_SJ_SK_SL_EUlSY_E_NS1_11comp_targetILNS1_3genE8ELNS1_11target_archE1030ELNS1_3gpuE2ELNS1_3repE0EEENS1_48merge_mergepath_partition_config_static_selectorELNS0_4arch9wavefront6targetE0EEEvSK_.num_vgpr, 17
	.set _ZN7rocprim17ROCPRIM_400000_NS6detail17trampoline_kernelINS0_14default_configENS1_38merge_sort_block_merge_config_selectorIsNS0_10empty_typeEEEZZNS1_27merge_sort_block_merge_implIS3_N6thrust23THRUST_200600_302600_NS6detail15normal_iteratorINS9_10device_ptrIsEEEEPS5_m9comp_mod3IsEEE10hipError_tT0_T1_T2_jT3_P12ihipStream_tbPNSt15iterator_traitsISJ_E10value_typeEPNSP_ISK_E10value_typeEPSL_NS1_7vsmem_tEENKUlT_SJ_SK_SL_E_clISE_PsSF_SF_EESI_SY_SJ_SK_SL_EUlSY_E_NS1_11comp_targetILNS1_3genE8ELNS1_11target_archE1030ELNS1_3gpuE2ELNS1_3repE0EEENS1_48merge_mergepath_partition_config_static_selectorELNS0_4arch9wavefront6targetE0EEEvSK_.num_agpr, 0
	.set _ZN7rocprim17ROCPRIM_400000_NS6detail17trampoline_kernelINS0_14default_configENS1_38merge_sort_block_merge_config_selectorIsNS0_10empty_typeEEEZZNS1_27merge_sort_block_merge_implIS3_N6thrust23THRUST_200600_302600_NS6detail15normal_iteratorINS9_10device_ptrIsEEEEPS5_m9comp_mod3IsEEE10hipError_tT0_T1_T2_jT3_P12ihipStream_tbPNSt15iterator_traitsISJ_E10value_typeEPNSP_ISK_E10value_typeEPSL_NS1_7vsmem_tEENKUlT_SJ_SK_SL_E_clISE_PsSF_SF_EESI_SY_SJ_SK_SL_EUlSY_E_NS1_11comp_targetILNS1_3genE8ELNS1_11target_archE1030ELNS1_3gpuE2ELNS1_3repE0EEENS1_48merge_mergepath_partition_config_static_selectorELNS0_4arch9wavefront6targetE0EEEvSK_.numbered_sgpr, 12
	.set _ZN7rocprim17ROCPRIM_400000_NS6detail17trampoline_kernelINS0_14default_configENS1_38merge_sort_block_merge_config_selectorIsNS0_10empty_typeEEEZZNS1_27merge_sort_block_merge_implIS3_N6thrust23THRUST_200600_302600_NS6detail15normal_iteratorINS9_10device_ptrIsEEEEPS5_m9comp_mod3IsEEE10hipError_tT0_T1_T2_jT3_P12ihipStream_tbPNSt15iterator_traitsISJ_E10value_typeEPNSP_ISK_E10value_typeEPSL_NS1_7vsmem_tEENKUlT_SJ_SK_SL_E_clISE_PsSF_SF_EESI_SY_SJ_SK_SL_EUlSY_E_NS1_11comp_targetILNS1_3genE8ELNS1_11target_archE1030ELNS1_3gpuE2ELNS1_3repE0EEENS1_48merge_mergepath_partition_config_static_selectorELNS0_4arch9wavefront6targetE0EEEvSK_.num_named_barrier, 0
	.set _ZN7rocprim17ROCPRIM_400000_NS6detail17trampoline_kernelINS0_14default_configENS1_38merge_sort_block_merge_config_selectorIsNS0_10empty_typeEEEZZNS1_27merge_sort_block_merge_implIS3_N6thrust23THRUST_200600_302600_NS6detail15normal_iteratorINS9_10device_ptrIsEEEEPS5_m9comp_mod3IsEEE10hipError_tT0_T1_T2_jT3_P12ihipStream_tbPNSt15iterator_traitsISJ_E10value_typeEPNSP_ISK_E10value_typeEPSL_NS1_7vsmem_tEENKUlT_SJ_SK_SL_E_clISE_PsSF_SF_EESI_SY_SJ_SK_SL_EUlSY_E_NS1_11comp_targetILNS1_3genE8ELNS1_11target_archE1030ELNS1_3gpuE2ELNS1_3repE0EEENS1_48merge_mergepath_partition_config_static_selectorELNS0_4arch9wavefront6targetE0EEEvSK_.private_seg_size, 0
	.set _ZN7rocprim17ROCPRIM_400000_NS6detail17trampoline_kernelINS0_14default_configENS1_38merge_sort_block_merge_config_selectorIsNS0_10empty_typeEEEZZNS1_27merge_sort_block_merge_implIS3_N6thrust23THRUST_200600_302600_NS6detail15normal_iteratorINS9_10device_ptrIsEEEEPS5_m9comp_mod3IsEEE10hipError_tT0_T1_T2_jT3_P12ihipStream_tbPNSt15iterator_traitsISJ_E10value_typeEPNSP_ISK_E10value_typeEPSL_NS1_7vsmem_tEENKUlT_SJ_SK_SL_E_clISE_PsSF_SF_EESI_SY_SJ_SK_SL_EUlSY_E_NS1_11comp_targetILNS1_3genE8ELNS1_11target_archE1030ELNS1_3gpuE2ELNS1_3repE0EEENS1_48merge_mergepath_partition_config_static_selectorELNS0_4arch9wavefront6targetE0EEEvSK_.uses_vcc, 1
	.set _ZN7rocprim17ROCPRIM_400000_NS6detail17trampoline_kernelINS0_14default_configENS1_38merge_sort_block_merge_config_selectorIsNS0_10empty_typeEEEZZNS1_27merge_sort_block_merge_implIS3_N6thrust23THRUST_200600_302600_NS6detail15normal_iteratorINS9_10device_ptrIsEEEEPS5_m9comp_mod3IsEEE10hipError_tT0_T1_T2_jT3_P12ihipStream_tbPNSt15iterator_traitsISJ_E10value_typeEPNSP_ISK_E10value_typeEPSL_NS1_7vsmem_tEENKUlT_SJ_SK_SL_E_clISE_PsSF_SF_EESI_SY_SJ_SK_SL_EUlSY_E_NS1_11comp_targetILNS1_3genE8ELNS1_11target_archE1030ELNS1_3gpuE2ELNS1_3repE0EEENS1_48merge_mergepath_partition_config_static_selectorELNS0_4arch9wavefront6targetE0EEEvSK_.uses_flat_scratch, 0
	.set _ZN7rocprim17ROCPRIM_400000_NS6detail17trampoline_kernelINS0_14default_configENS1_38merge_sort_block_merge_config_selectorIsNS0_10empty_typeEEEZZNS1_27merge_sort_block_merge_implIS3_N6thrust23THRUST_200600_302600_NS6detail15normal_iteratorINS9_10device_ptrIsEEEEPS5_m9comp_mod3IsEEE10hipError_tT0_T1_T2_jT3_P12ihipStream_tbPNSt15iterator_traitsISJ_E10value_typeEPNSP_ISK_E10value_typeEPSL_NS1_7vsmem_tEENKUlT_SJ_SK_SL_E_clISE_PsSF_SF_EESI_SY_SJ_SK_SL_EUlSY_E_NS1_11comp_targetILNS1_3genE8ELNS1_11target_archE1030ELNS1_3gpuE2ELNS1_3repE0EEENS1_48merge_mergepath_partition_config_static_selectorELNS0_4arch9wavefront6targetE0EEEvSK_.has_dyn_sized_stack, 0
	.set _ZN7rocprim17ROCPRIM_400000_NS6detail17trampoline_kernelINS0_14default_configENS1_38merge_sort_block_merge_config_selectorIsNS0_10empty_typeEEEZZNS1_27merge_sort_block_merge_implIS3_N6thrust23THRUST_200600_302600_NS6detail15normal_iteratorINS9_10device_ptrIsEEEEPS5_m9comp_mod3IsEEE10hipError_tT0_T1_T2_jT3_P12ihipStream_tbPNSt15iterator_traitsISJ_E10value_typeEPNSP_ISK_E10value_typeEPSL_NS1_7vsmem_tEENKUlT_SJ_SK_SL_E_clISE_PsSF_SF_EESI_SY_SJ_SK_SL_EUlSY_E_NS1_11comp_targetILNS1_3genE8ELNS1_11target_archE1030ELNS1_3gpuE2ELNS1_3repE0EEENS1_48merge_mergepath_partition_config_static_selectorELNS0_4arch9wavefront6targetE0EEEvSK_.has_recursion, 0
	.set _ZN7rocprim17ROCPRIM_400000_NS6detail17trampoline_kernelINS0_14default_configENS1_38merge_sort_block_merge_config_selectorIsNS0_10empty_typeEEEZZNS1_27merge_sort_block_merge_implIS3_N6thrust23THRUST_200600_302600_NS6detail15normal_iteratorINS9_10device_ptrIsEEEEPS5_m9comp_mod3IsEEE10hipError_tT0_T1_T2_jT3_P12ihipStream_tbPNSt15iterator_traitsISJ_E10value_typeEPNSP_ISK_E10value_typeEPSL_NS1_7vsmem_tEENKUlT_SJ_SK_SL_E_clISE_PsSF_SF_EESI_SY_SJ_SK_SL_EUlSY_E_NS1_11comp_targetILNS1_3genE8ELNS1_11target_archE1030ELNS1_3gpuE2ELNS1_3repE0EEENS1_48merge_mergepath_partition_config_static_selectorELNS0_4arch9wavefront6targetE0EEEvSK_.has_indirect_call, 0
	.section	.AMDGPU.csdata,"",@progbits
; Kernel info:
; codeLenInByte = 728
; TotalNumSgprs: 14
; NumVgprs: 17
; ScratchSize: 0
; MemoryBound: 0
; FloatMode: 240
; IeeeMode: 1
; LDSByteSize: 0 bytes/workgroup (compile time only)
; SGPRBlocks: 0
; VGPRBlocks: 2
; NumSGPRsForWavesPerEU: 14
; NumVGPRsForWavesPerEU: 17
; Occupancy: 16
; WaveLimiterHint : 1
; COMPUTE_PGM_RSRC2:SCRATCH_EN: 0
; COMPUTE_PGM_RSRC2:USER_SGPR: 6
; COMPUTE_PGM_RSRC2:TRAP_HANDLER: 0
; COMPUTE_PGM_RSRC2:TGID_X_EN: 1
; COMPUTE_PGM_RSRC2:TGID_Y_EN: 0
; COMPUTE_PGM_RSRC2:TGID_Z_EN: 0
; COMPUTE_PGM_RSRC2:TIDIG_COMP_CNT: 0
	.section	.text._ZN7rocprim17ROCPRIM_400000_NS6detail17trampoline_kernelINS0_14default_configENS1_38merge_sort_block_merge_config_selectorIsNS0_10empty_typeEEEZZNS1_27merge_sort_block_merge_implIS3_N6thrust23THRUST_200600_302600_NS6detail15normal_iteratorINS9_10device_ptrIsEEEEPS5_m9comp_mod3IsEEE10hipError_tT0_T1_T2_jT3_P12ihipStream_tbPNSt15iterator_traitsISJ_E10value_typeEPNSP_ISK_E10value_typeEPSL_NS1_7vsmem_tEENKUlT_SJ_SK_SL_E_clISE_PsSF_SF_EESI_SY_SJ_SK_SL_EUlSY_E0_NS1_11comp_targetILNS1_3genE0ELNS1_11target_archE4294967295ELNS1_3gpuE0ELNS1_3repE0EEENS1_38merge_mergepath_config_static_selectorELNS0_4arch9wavefront6targetE0EEEvSK_,"axG",@progbits,_ZN7rocprim17ROCPRIM_400000_NS6detail17trampoline_kernelINS0_14default_configENS1_38merge_sort_block_merge_config_selectorIsNS0_10empty_typeEEEZZNS1_27merge_sort_block_merge_implIS3_N6thrust23THRUST_200600_302600_NS6detail15normal_iteratorINS9_10device_ptrIsEEEEPS5_m9comp_mod3IsEEE10hipError_tT0_T1_T2_jT3_P12ihipStream_tbPNSt15iterator_traitsISJ_E10value_typeEPNSP_ISK_E10value_typeEPSL_NS1_7vsmem_tEENKUlT_SJ_SK_SL_E_clISE_PsSF_SF_EESI_SY_SJ_SK_SL_EUlSY_E0_NS1_11comp_targetILNS1_3genE0ELNS1_11target_archE4294967295ELNS1_3gpuE0ELNS1_3repE0EEENS1_38merge_mergepath_config_static_selectorELNS0_4arch9wavefront6targetE0EEEvSK_,comdat
	.protected	_ZN7rocprim17ROCPRIM_400000_NS6detail17trampoline_kernelINS0_14default_configENS1_38merge_sort_block_merge_config_selectorIsNS0_10empty_typeEEEZZNS1_27merge_sort_block_merge_implIS3_N6thrust23THRUST_200600_302600_NS6detail15normal_iteratorINS9_10device_ptrIsEEEEPS5_m9comp_mod3IsEEE10hipError_tT0_T1_T2_jT3_P12ihipStream_tbPNSt15iterator_traitsISJ_E10value_typeEPNSP_ISK_E10value_typeEPSL_NS1_7vsmem_tEENKUlT_SJ_SK_SL_E_clISE_PsSF_SF_EESI_SY_SJ_SK_SL_EUlSY_E0_NS1_11comp_targetILNS1_3genE0ELNS1_11target_archE4294967295ELNS1_3gpuE0ELNS1_3repE0EEENS1_38merge_mergepath_config_static_selectorELNS0_4arch9wavefront6targetE0EEEvSK_ ; -- Begin function _ZN7rocprim17ROCPRIM_400000_NS6detail17trampoline_kernelINS0_14default_configENS1_38merge_sort_block_merge_config_selectorIsNS0_10empty_typeEEEZZNS1_27merge_sort_block_merge_implIS3_N6thrust23THRUST_200600_302600_NS6detail15normal_iteratorINS9_10device_ptrIsEEEEPS5_m9comp_mod3IsEEE10hipError_tT0_T1_T2_jT3_P12ihipStream_tbPNSt15iterator_traitsISJ_E10value_typeEPNSP_ISK_E10value_typeEPSL_NS1_7vsmem_tEENKUlT_SJ_SK_SL_E_clISE_PsSF_SF_EESI_SY_SJ_SK_SL_EUlSY_E0_NS1_11comp_targetILNS1_3genE0ELNS1_11target_archE4294967295ELNS1_3gpuE0ELNS1_3repE0EEENS1_38merge_mergepath_config_static_selectorELNS0_4arch9wavefront6targetE0EEEvSK_
	.globl	_ZN7rocprim17ROCPRIM_400000_NS6detail17trampoline_kernelINS0_14default_configENS1_38merge_sort_block_merge_config_selectorIsNS0_10empty_typeEEEZZNS1_27merge_sort_block_merge_implIS3_N6thrust23THRUST_200600_302600_NS6detail15normal_iteratorINS9_10device_ptrIsEEEEPS5_m9comp_mod3IsEEE10hipError_tT0_T1_T2_jT3_P12ihipStream_tbPNSt15iterator_traitsISJ_E10value_typeEPNSP_ISK_E10value_typeEPSL_NS1_7vsmem_tEENKUlT_SJ_SK_SL_E_clISE_PsSF_SF_EESI_SY_SJ_SK_SL_EUlSY_E0_NS1_11comp_targetILNS1_3genE0ELNS1_11target_archE4294967295ELNS1_3gpuE0ELNS1_3repE0EEENS1_38merge_mergepath_config_static_selectorELNS0_4arch9wavefront6targetE0EEEvSK_
	.p2align	8
	.type	_ZN7rocprim17ROCPRIM_400000_NS6detail17trampoline_kernelINS0_14default_configENS1_38merge_sort_block_merge_config_selectorIsNS0_10empty_typeEEEZZNS1_27merge_sort_block_merge_implIS3_N6thrust23THRUST_200600_302600_NS6detail15normal_iteratorINS9_10device_ptrIsEEEEPS5_m9comp_mod3IsEEE10hipError_tT0_T1_T2_jT3_P12ihipStream_tbPNSt15iterator_traitsISJ_E10value_typeEPNSP_ISK_E10value_typeEPSL_NS1_7vsmem_tEENKUlT_SJ_SK_SL_E_clISE_PsSF_SF_EESI_SY_SJ_SK_SL_EUlSY_E0_NS1_11comp_targetILNS1_3genE0ELNS1_11target_archE4294967295ELNS1_3gpuE0ELNS1_3repE0EEENS1_38merge_mergepath_config_static_selectorELNS0_4arch9wavefront6targetE0EEEvSK_,@function
_ZN7rocprim17ROCPRIM_400000_NS6detail17trampoline_kernelINS0_14default_configENS1_38merge_sort_block_merge_config_selectorIsNS0_10empty_typeEEEZZNS1_27merge_sort_block_merge_implIS3_N6thrust23THRUST_200600_302600_NS6detail15normal_iteratorINS9_10device_ptrIsEEEEPS5_m9comp_mod3IsEEE10hipError_tT0_T1_T2_jT3_P12ihipStream_tbPNSt15iterator_traitsISJ_E10value_typeEPNSP_ISK_E10value_typeEPSL_NS1_7vsmem_tEENKUlT_SJ_SK_SL_E_clISE_PsSF_SF_EESI_SY_SJ_SK_SL_EUlSY_E0_NS1_11comp_targetILNS1_3genE0ELNS1_11target_archE4294967295ELNS1_3gpuE0ELNS1_3repE0EEENS1_38merge_mergepath_config_static_selectorELNS0_4arch9wavefront6targetE0EEEvSK_: ; @_ZN7rocprim17ROCPRIM_400000_NS6detail17trampoline_kernelINS0_14default_configENS1_38merge_sort_block_merge_config_selectorIsNS0_10empty_typeEEEZZNS1_27merge_sort_block_merge_implIS3_N6thrust23THRUST_200600_302600_NS6detail15normal_iteratorINS9_10device_ptrIsEEEEPS5_m9comp_mod3IsEEE10hipError_tT0_T1_T2_jT3_P12ihipStream_tbPNSt15iterator_traitsISJ_E10value_typeEPNSP_ISK_E10value_typeEPSL_NS1_7vsmem_tEENKUlT_SJ_SK_SL_E_clISE_PsSF_SF_EESI_SY_SJ_SK_SL_EUlSY_E0_NS1_11comp_targetILNS1_3genE0ELNS1_11target_archE4294967295ELNS1_3gpuE0ELNS1_3repE0EEENS1_38merge_mergepath_config_static_selectorELNS0_4arch9wavefront6targetE0EEEvSK_
; %bb.0:
	.section	.rodata,"a",@progbits
	.p2align	6, 0x0
	.amdhsa_kernel _ZN7rocprim17ROCPRIM_400000_NS6detail17trampoline_kernelINS0_14default_configENS1_38merge_sort_block_merge_config_selectorIsNS0_10empty_typeEEEZZNS1_27merge_sort_block_merge_implIS3_N6thrust23THRUST_200600_302600_NS6detail15normal_iteratorINS9_10device_ptrIsEEEEPS5_m9comp_mod3IsEEE10hipError_tT0_T1_T2_jT3_P12ihipStream_tbPNSt15iterator_traitsISJ_E10value_typeEPNSP_ISK_E10value_typeEPSL_NS1_7vsmem_tEENKUlT_SJ_SK_SL_E_clISE_PsSF_SF_EESI_SY_SJ_SK_SL_EUlSY_E0_NS1_11comp_targetILNS1_3genE0ELNS1_11target_archE4294967295ELNS1_3gpuE0ELNS1_3repE0EEENS1_38merge_mergepath_config_static_selectorELNS0_4arch9wavefront6targetE0EEEvSK_
		.amdhsa_group_segment_fixed_size 0
		.amdhsa_private_segment_fixed_size 0
		.amdhsa_kernarg_size 80
		.amdhsa_user_sgpr_count 6
		.amdhsa_user_sgpr_private_segment_buffer 1
		.amdhsa_user_sgpr_dispatch_ptr 0
		.amdhsa_user_sgpr_queue_ptr 0
		.amdhsa_user_sgpr_kernarg_segment_ptr 1
		.amdhsa_user_sgpr_dispatch_id 0
		.amdhsa_user_sgpr_flat_scratch_init 0
		.amdhsa_user_sgpr_private_segment_size 0
		.amdhsa_wavefront_size32 1
		.amdhsa_uses_dynamic_stack 0
		.amdhsa_system_sgpr_private_segment_wavefront_offset 0
		.amdhsa_system_sgpr_workgroup_id_x 1
		.amdhsa_system_sgpr_workgroup_id_y 0
		.amdhsa_system_sgpr_workgroup_id_z 0
		.amdhsa_system_sgpr_workgroup_info 0
		.amdhsa_system_vgpr_workitem_id 0
		.amdhsa_next_free_vgpr 1
		.amdhsa_next_free_sgpr 1
		.amdhsa_reserve_vcc 0
		.amdhsa_reserve_flat_scratch 0
		.amdhsa_float_round_mode_32 0
		.amdhsa_float_round_mode_16_64 0
		.amdhsa_float_denorm_mode_32 3
		.amdhsa_float_denorm_mode_16_64 3
		.amdhsa_dx10_clamp 1
		.amdhsa_ieee_mode 1
		.amdhsa_fp16_overflow 0
		.amdhsa_workgroup_processor_mode 1
		.amdhsa_memory_ordered 1
		.amdhsa_forward_progress 1
		.amdhsa_shared_vgpr_count 0
		.amdhsa_exception_fp_ieee_invalid_op 0
		.amdhsa_exception_fp_denorm_src 0
		.amdhsa_exception_fp_ieee_div_zero 0
		.amdhsa_exception_fp_ieee_overflow 0
		.amdhsa_exception_fp_ieee_underflow 0
		.amdhsa_exception_fp_ieee_inexact 0
		.amdhsa_exception_int_div_zero 0
	.end_amdhsa_kernel
	.section	.text._ZN7rocprim17ROCPRIM_400000_NS6detail17trampoline_kernelINS0_14default_configENS1_38merge_sort_block_merge_config_selectorIsNS0_10empty_typeEEEZZNS1_27merge_sort_block_merge_implIS3_N6thrust23THRUST_200600_302600_NS6detail15normal_iteratorINS9_10device_ptrIsEEEEPS5_m9comp_mod3IsEEE10hipError_tT0_T1_T2_jT3_P12ihipStream_tbPNSt15iterator_traitsISJ_E10value_typeEPNSP_ISK_E10value_typeEPSL_NS1_7vsmem_tEENKUlT_SJ_SK_SL_E_clISE_PsSF_SF_EESI_SY_SJ_SK_SL_EUlSY_E0_NS1_11comp_targetILNS1_3genE0ELNS1_11target_archE4294967295ELNS1_3gpuE0ELNS1_3repE0EEENS1_38merge_mergepath_config_static_selectorELNS0_4arch9wavefront6targetE0EEEvSK_,"axG",@progbits,_ZN7rocprim17ROCPRIM_400000_NS6detail17trampoline_kernelINS0_14default_configENS1_38merge_sort_block_merge_config_selectorIsNS0_10empty_typeEEEZZNS1_27merge_sort_block_merge_implIS3_N6thrust23THRUST_200600_302600_NS6detail15normal_iteratorINS9_10device_ptrIsEEEEPS5_m9comp_mod3IsEEE10hipError_tT0_T1_T2_jT3_P12ihipStream_tbPNSt15iterator_traitsISJ_E10value_typeEPNSP_ISK_E10value_typeEPSL_NS1_7vsmem_tEENKUlT_SJ_SK_SL_E_clISE_PsSF_SF_EESI_SY_SJ_SK_SL_EUlSY_E0_NS1_11comp_targetILNS1_3genE0ELNS1_11target_archE4294967295ELNS1_3gpuE0ELNS1_3repE0EEENS1_38merge_mergepath_config_static_selectorELNS0_4arch9wavefront6targetE0EEEvSK_,comdat
.Lfunc_end1078:
	.size	_ZN7rocprim17ROCPRIM_400000_NS6detail17trampoline_kernelINS0_14default_configENS1_38merge_sort_block_merge_config_selectorIsNS0_10empty_typeEEEZZNS1_27merge_sort_block_merge_implIS3_N6thrust23THRUST_200600_302600_NS6detail15normal_iteratorINS9_10device_ptrIsEEEEPS5_m9comp_mod3IsEEE10hipError_tT0_T1_T2_jT3_P12ihipStream_tbPNSt15iterator_traitsISJ_E10value_typeEPNSP_ISK_E10value_typeEPSL_NS1_7vsmem_tEENKUlT_SJ_SK_SL_E_clISE_PsSF_SF_EESI_SY_SJ_SK_SL_EUlSY_E0_NS1_11comp_targetILNS1_3genE0ELNS1_11target_archE4294967295ELNS1_3gpuE0ELNS1_3repE0EEENS1_38merge_mergepath_config_static_selectorELNS0_4arch9wavefront6targetE0EEEvSK_, .Lfunc_end1078-_ZN7rocprim17ROCPRIM_400000_NS6detail17trampoline_kernelINS0_14default_configENS1_38merge_sort_block_merge_config_selectorIsNS0_10empty_typeEEEZZNS1_27merge_sort_block_merge_implIS3_N6thrust23THRUST_200600_302600_NS6detail15normal_iteratorINS9_10device_ptrIsEEEEPS5_m9comp_mod3IsEEE10hipError_tT0_T1_T2_jT3_P12ihipStream_tbPNSt15iterator_traitsISJ_E10value_typeEPNSP_ISK_E10value_typeEPSL_NS1_7vsmem_tEENKUlT_SJ_SK_SL_E_clISE_PsSF_SF_EESI_SY_SJ_SK_SL_EUlSY_E0_NS1_11comp_targetILNS1_3genE0ELNS1_11target_archE4294967295ELNS1_3gpuE0ELNS1_3repE0EEENS1_38merge_mergepath_config_static_selectorELNS0_4arch9wavefront6targetE0EEEvSK_
                                        ; -- End function
	.set _ZN7rocprim17ROCPRIM_400000_NS6detail17trampoline_kernelINS0_14default_configENS1_38merge_sort_block_merge_config_selectorIsNS0_10empty_typeEEEZZNS1_27merge_sort_block_merge_implIS3_N6thrust23THRUST_200600_302600_NS6detail15normal_iteratorINS9_10device_ptrIsEEEEPS5_m9comp_mod3IsEEE10hipError_tT0_T1_T2_jT3_P12ihipStream_tbPNSt15iterator_traitsISJ_E10value_typeEPNSP_ISK_E10value_typeEPSL_NS1_7vsmem_tEENKUlT_SJ_SK_SL_E_clISE_PsSF_SF_EESI_SY_SJ_SK_SL_EUlSY_E0_NS1_11comp_targetILNS1_3genE0ELNS1_11target_archE4294967295ELNS1_3gpuE0ELNS1_3repE0EEENS1_38merge_mergepath_config_static_selectorELNS0_4arch9wavefront6targetE0EEEvSK_.num_vgpr, 0
	.set _ZN7rocprim17ROCPRIM_400000_NS6detail17trampoline_kernelINS0_14default_configENS1_38merge_sort_block_merge_config_selectorIsNS0_10empty_typeEEEZZNS1_27merge_sort_block_merge_implIS3_N6thrust23THRUST_200600_302600_NS6detail15normal_iteratorINS9_10device_ptrIsEEEEPS5_m9comp_mod3IsEEE10hipError_tT0_T1_T2_jT3_P12ihipStream_tbPNSt15iterator_traitsISJ_E10value_typeEPNSP_ISK_E10value_typeEPSL_NS1_7vsmem_tEENKUlT_SJ_SK_SL_E_clISE_PsSF_SF_EESI_SY_SJ_SK_SL_EUlSY_E0_NS1_11comp_targetILNS1_3genE0ELNS1_11target_archE4294967295ELNS1_3gpuE0ELNS1_3repE0EEENS1_38merge_mergepath_config_static_selectorELNS0_4arch9wavefront6targetE0EEEvSK_.num_agpr, 0
	.set _ZN7rocprim17ROCPRIM_400000_NS6detail17trampoline_kernelINS0_14default_configENS1_38merge_sort_block_merge_config_selectorIsNS0_10empty_typeEEEZZNS1_27merge_sort_block_merge_implIS3_N6thrust23THRUST_200600_302600_NS6detail15normal_iteratorINS9_10device_ptrIsEEEEPS5_m9comp_mod3IsEEE10hipError_tT0_T1_T2_jT3_P12ihipStream_tbPNSt15iterator_traitsISJ_E10value_typeEPNSP_ISK_E10value_typeEPSL_NS1_7vsmem_tEENKUlT_SJ_SK_SL_E_clISE_PsSF_SF_EESI_SY_SJ_SK_SL_EUlSY_E0_NS1_11comp_targetILNS1_3genE0ELNS1_11target_archE4294967295ELNS1_3gpuE0ELNS1_3repE0EEENS1_38merge_mergepath_config_static_selectorELNS0_4arch9wavefront6targetE0EEEvSK_.numbered_sgpr, 0
	.set _ZN7rocprim17ROCPRIM_400000_NS6detail17trampoline_kernelINS0_14default_configENS1_38merge_sort_block_merge_config_selectorIsNS0_10empty_typeEEEZZNS1_27merge_sort_block_merge_implIS3_N6thrust23THRUST_200600_302600_NS6detail15normal_iteratorINS9_10device_ptrIsEEEEPS5_m9comp_mod3IsEEE10hipError_tT0_T1_T2_jT3_P12ihipStream_tbPNSt15iterator_traitsISJ_E10value_typeEPNSP_ISK_E10value_typeEPSL_NS1_7vsmem_tEENKUlT_SJ_SK_SL_E_clISE_PsSF_SF_EESI_SY_SJ_SK_SL_EUlSY_E0_NS1_11comp_targetILNS1_3genE0ELNS1_11target_archE4294967295ELNS1_3gpuE0ELNS1_3repE0EEENS1_38merge_mergepath_config_static_selectorELNS0_4arch9wavefront6targetE0EEEvSK_.num_named_barrier, 0
	.set _ZN7rocprim17ROCPRIM_400000_NS6detail17trampoline_kernelINS0_14default_configENS1_38merge_sort_block_merge_config_selectorIsNS0_10empty_typeEEEZZNS1_27merge_sort_block_merge_implIS3_N6thrust23THRUST_200600_302600_NS6detail15normal_iteratorINS9_10device_ptrIsEEEEPS5_m9comp_mod3IsEEE10hipError_tT0_T1_T2_jT3_P12ihipStream_tbPNSt15iterator_traitsISJ_E10value_typeEPNSP_ISK_E10value_typeEPSL_NS1_7vsmem_tEENKUlT_SJ_SK_SL_E_clISE_PsSF_SF_EESI_SY_SJ_SK_SL_EUlSY_E0_NS1_11comp_targetILNS1_3genE0ELNS1_11target_archE4294967295ELNS1_3gpuE0ELNS1_3repE0EEENS1_38merge_mergepath_config_static_selectorELNS0_4arch9wavefront6targetE0EEEvSK_.private_seg_size, 0
	.set _ZN7rocprim17ROCPRIM_400000_NS6detail17trampoline_kernelINS0_14default_configENS1_38merge_sort_block_merge_config_selectorIsNS0_10empty_typeEEEZZNS1_27merge_sort_block_merge_implIS3_N6thrust23THRUST_200600_302600_NS6detail15normal_iteratorINS9_10device_ptrIsEEEEPS5_m9comp_mod3IsEEE10hipError_tT0_T1_T2_jT3_P12ihipStream_tbPNSt15iterator_traitsISJ_E10value_typeEPNSP_ISK_E10value_typeEPSL_NS1_7vsmem_tEENKUlT_SJ_SK_SL_E_clISE_PsSF_SF_EESI_SY_SJ_SK_SL_EUlSY_E0_NS1_11comp_targetILNS1_3genE0ELNS1_11target_archE4294967295ELNS1_3gpuE0ELNS1_3repE0EEENS1_38merge_mergepath_config_static_selectorELNS0_4arch9wavefront6targetE0EEEvSK_.uses_vcc, 0
	.set _ZN7rocprim17ROCPRIM_400000_NS6detail17trampoline_kernelINS0_14default_configENS1_38merge_sort_block_merge_config_selectorIsNS0_10empty_typeEEEZZNS1_27merge_sort_block_merge_implIS3_N6thrust23THRUST_200600_302600_NS6detail15normal_iteratorINS9_10device_ptrIsEEEEPS5_m9comp_mod3IsEEE10hipError_tT0_T1_T2_jT3_P12ihipStream_tbPNSt15iterator_traitsISJ_E10value_typeEPNSP_ISK_E10value_typeEPSL_NS1_7vsmem_tEENKUlT_SJ_SK_SL_E_clISE_PsSF_SF_EESI_SY_SJ_SK_SL_EUlSY_E0_NS1_11comp_targetILNS1_3genE0ELNS1_11target_archE4294967295ELNS1_3gpuE0ELNS1_3repE0EEENS1_38merge_mergepath_config_static_selectorELNS0_4arch9wavefront6targetE0EEEvSK_.uses_flat_scratch, 0
	.set _ZN7rocprim17ROCPRIM_400000_NS6detail17trampoline_kernelINS0_14default_configENS1_38merge_sort_block_merge_config_selectorIsNS0_10empty_typeEEEZZNS1_27merge_sort_block_merge_implIS3_N6thrust23THRUST_200600_302600_NS6detail15normal_iteratorINS9_10device_ptrIsEEEEPS5_m9comp_mod3IsEEE10hipError_tT0_T1_T2_jT3_P12ihipStream_tbPNSt15iterator_traitsISJ_E10value_typeEPNSP_ISK_E10value_typeEPSL_NS1_7vsmem_tEENKUlT_SJ_SK_SL_E_clISE_PsSF_SF_EESI_SY_SJ_SK_SL_EUlSY_E0_NS1_11comp_targetILNS1_3genE0ELNS1_11target_archE4294967295ELNS1_3gpuE0ELNS1_3repE0EEENS1_38merge_mergepath_config_static_selectorELNS0_4arch9wavefront6targetE0EEEvSK_.has_dyn_sized_stack, 0
	.set _ZN7rocprim17ROCPRIM_400000_NS6detail17trampoline_kernelINS0_14default_configENS1_38merge_sort_block_merge_config_selectorIsNS0_10empty_typeEEEZZNS1_27merge_sort_block_merge_implIS3_N6thrust23THRUST_200600_302600_NS6detail15normal_iteratorINS9_10device_ptrIsEEEEPS5_m9comp_mod3IsEEE10hipError_tT0_T1_T2_jT3_P12ihipStream_tbPNSt15iterator_traitsISJ_E10value_typeEPNSP_ISK_E10value_typeEPSL_NS1_7vsmem_tEENKUlT_SJ_SK_SL_E_clISE_PsSF_SF_EESI_SY_SJ_SK_SL_EUlSY_E0_NS1_11comp_targetILNS1_3genE0ELNS1_11target_archE4294967295ELNS1_3gpuE0ELNS1_3repE0EEENS1_38merge_mergepath_config_static_selectorELNS0_4arch9wavefront6targetE0EEEvSK_.has_recursion, 0
	.set _ZN7rocprim17ROCPRIM_400000_NS6detail17trampoline_kernelINS0_14default_configENS1_38merge_sort_block_merge_config_selectorIsNS0_10empty_typeEEEZZNS1_27merge_sort_block_merge_implIS3_N6thrust23THRUST_200600_302600_NS6detail15normal_iteratorINS9_10device_ptrIsEEEEPS5_m9comp_mod3IsEEE10hipError_tT0_T1_T2_jT3_P12ihipStream_tbPNSt15iterator_traitsISJ_E10value_typeEPNSP_ISK_E10value_typeEPSL_NS1_7vsmem_tEENKUlT_SJ_SK_SL_E_clISE_PsSF_SF_EESI_SY_SJ_SK_SL_EUlSY_E0_NS1_11comp_targetILNS1_3genE0ELNS1_11target_archE4294967295ELNS1_3gpuE0ELNS1_3repE0EEENS1_38merge_mergepath_config_static_selectorELNS0_4arch9wavefront6targetE0EEEvSK_.has_indirect_call, 0
	.section	.AMDGPU.csdata,"",@progbits
; Kernel info:
; codeLenInByte = 0
; TotalNumSgprs: 0
; NumVgprs: 0
; ScratchSize: 0
; MemoryBound: 0
; FloatMode: 240
; IeeeMode: 1
; LDSByteSize: 0 bytes/workgroup (compile time only)
; SGPRBlocks: 0
; VGPRBlocks: 0
; NumSGPRsForWavesPerEU: 1
; NumVGPRsForWavesPerEU: 1
; Occupancy: 16
; WaveLimiterHint : 0
; COMPUTE_PGM_RSRC2:SCRATCH_EN: 0
; COMPUTE_PGM_RSRC2:USER_SGPR: 6
; COMPUTE_PGM_RSRC2:TRAP_HANDLER: 0
; COMPUTE_PGM_RSRC2:TGID_X_EN: 1
; COMPUTE_PGM_RSRC2:TGID_Y_EN: 0
; COMPUTE_PGM_RSRC2:TGID_Z_EN: 0
; COMPUTE_PGM_RSRC2:TIDIG_COMP_CNT: 0
	.section	.text._ZN7rocprim17ROCPRIM_400000_NS6detail17trampoline_kernelINS0_14default_configENS1_38merge_sort_block_merge_config_selectorIsNS0_10empty_typeEEEZZNS1_27merge_sort_block_merge_implIS3_N6thrust23THRUST_200600_302600_NS6detail15normal_iteratorINS9_10device_ptrIsEEEEPS5_m9comp_mod3IsEEE10hipError_tT0_T1_T2_jT3_P12ihipStream_tbPNSt15iterator_traitsISJ_E10value_typeEPNSP_ISK_E10value_typeEPSL_NS1_7vsmem_tEENKUlT_SJ_SK_SL_E_clISE_PsSF_SF_EESI_SY_SJ_SK_SL_EUlSY_E0_NS1_11comp_targetILNS1_3genE10ELNS1_11target_archE1201ELNS1_3gpuE5ELNS1_3repE0EEENS1_38merge_mergepath_config_static_selectorELNS0_4arch9wavefront6targetE0EEEvSK_,"axG",@progbits,_ZN7rocprim17ROCPRIM_400000_NS6detail17trampoline_kernelINS0_14default_configENS1_38merge_sort_block_merge_config_selectorIsNS0_10empty_typeEEEZZNS1_27merge_sort_block_merge_implIS3_N6thrust23THRUST_200600_302600_NS6detail15normal_iteratorINS9_10device_ptrIsEEEEPS5_m9comp_mod3IsEEE10hipError_tT0_T1_T2_jT3_P12ihipStream_tbPNSt15iterator_traitsISJ_E10value_typeEPNSP_ISK_E10value_typeEPSL_NS1_7vsmem_tEENKUlT_SJ_SK_SL_E_clISE_PsSF_SF_EESI_SY_SJ_SK_SL_EUlSY_E0_NS1_11comp_targetILNS1_3genE10ELNS1_11target_archE1201ELNS1_3gpuE5ELNS1_3repE0EEENS1_38merge_mergepath_config_static_selectorELNS0_4arch9wavefront6targetE0EEEvSK_,comdat
	.protected	_ZN7rocprim17ROCPRIM_400000_NS6detail17trampoline_kernelINS0_14default_configENS1_38merge_sort_block_merge_config_selectorIsNS0_10empty_typeEEEZZNS1_27merge_sort_block_merge_implIS3_N6thrust23THRUST_200600_302600_NS6detail15normal_iteratorINS9_10device_ptrIsEEEEPS5_m9comp_mod3IsEEE10hipError_tT0_T1_T2_jT3_P12ihipStream_tbPNSt15iterator_traitsISJ_E10value_typeEPNSP_ISK_E10value_typeEPSL_NS1_7vsmem_tEENKUlT_SJ_SK_SL_E_clISE_PsSF_SF_EESI_SY_SJ_SK_SL_EUlSY_E0_NS1_11comp_targetILNS1_3genE10ELNS1_11target_archE1201ELNS1_3gpuE5ELNS1_3repE0EEENS1_38merge_mergepath_config_static_selectorELNS0_4arch9wavefront6targetE0EEEvSK_ ; -- Begin function _ZN7rocprim17ROCPRIM_400000_NS6detail17trampoline_kernelINS0_14default_configENS1_38merge_sort_block_merge_config_selectorIsNS0_10empty_typeEEEZZNS1_27merge_sort_block_merge_implIS3_N6thrust23THRUST_200600_302600_NS6detail15normal_iteratorINS9_10device_ptrIsEEEEPS5_m9comp_mod3IsEEE10hipError_tT0_T1_T2_jT3_P12ihipStream_tbPNSt15iterator_traitsISJ_E10value_typeEPNSP_ISK_E10value_typeEPSL_NS1_7vsmem_tEENKUlT_SJ_SK_SL_E_clISE_PsSF_SF_EESI_SY_SJ_SK_SL_EUlSY_E0_NS1_11comp_targetILNS1_3genE10ELNS1_11target_archE1201ELNS1_3gpuE5ELNS1_3repE0EEENS1_38merge_mergepath_config_static_selectorELNS0_4arch9wavefront6targetE0EEEvSK_
	.globl	_ZN7rocprim17ROCPRIM_400000_NS6detail17trampoline_kernelINS0_14default_configENS1_38merge_sort_block_merge_config_selectorIsNS0_10empty_typeEEEZZNS1_27merge_sort_block_merge_implIS3_N6thrust23THRUST_200600_302600_NS6detail15normal_iteratorINS9_10device_ptrIsEEEEPS5_m9comp_mod3IsEEE10hipError_tT0_T1_T2_jT3_P12ihipStream_tbPNSt15iterator_traitsISJ_E10value_typeEPNSP_ISK_E10value_typeEPSL_NS1_7vsmem_tEENKUlT_SJ_SK_SL_E_clISE_PsSF_SF_EESI_SY_SJ_SK_SL_EUlSY_E0_NS1_11comp_targetILNS1_3genE10ELNS1_11target_archE1201ELNS1_3gpuE5ELNS1_3repE0EEENS1_38merge_mergepath_config_static_selectorELNS0_4arch9wavefront6targetE0EEEvSK_
	.p2align	8
	.type	_ZN7rocprim17ROCPRIM_400000_NS6detail17trampoline_kernelINS0_14default_configENS1_38merge_sort_block_merge_config_selectorIsNS0_10empty_typeEEEZZNS1_27merge_sort_block_merge_implIS3_N6thrust23THRUST_200600_302600_NS6detail15normal_iteratorINS9_10device_ptrIsEEEEPS5_m9comp_mod3IsEEE10hipError_tT0_T1_T2_jT3_P12ihipStream_tbPNSt15iterator_traitsISJ_E10value_typeEPNSP_ISK_E10value_typeEPSL_NS1_7vsmem_tEENKUlT_SJ_SK_SL_E_clISE_PsSF_SF_EESI_SY_SJ_SK_SL_EUlSY_E0_NS1_11comp_targetILNS1_3genE10ELNS1_11target_archE1201ELNS1_3gpuE5ELNS1_3repE0EEENS1_38merge_mergepath_config_static_selectorELNS0_4arch9wavefront6targetE0EEEvSK_,@function
_ZN7rocprim17ROCPRIM_400000_NS6detail17trampoline_kernelINS0_14default_configENS1_38merge_sort_block_merge_config_selectorIsNS0_10empty_typeEEEZZNS1_27merge_sort_block_merge_implIS3_N6thrust23THRUST_200600_302600_NS6detail15normal_iteratorINS9_10device_ptrIsEEEEPS5_m9comp_mod3IsEEE10hipError_tT0_T1_T2_jT3_P12ihipStream_tbPNSt15iterator_traitsISJ_E10value_typeEPNSP_ISK_E10value_typeEPSL_NS1_7vsmem_tEENKUlT_SJ_SK_SL_E_clISE_PsSF_SF_EESI_SY_SJ_SK_SL_EUlSY_E0_NS1_11comp_targetILNS1_3genE10ELNS1_11target_archE1201ELNS1_3gpuE5ELNS1_3repE0EEENS1_38merge_mergepath_config_static_selectorELNS0_4arch9wavefront6targetE0EEEvSK_: ; @_ZN7rocprim17ROCPRIM_400000_NS6detail17trampoline_kernelINS0_14default_configENS1_38merge_sort_block_merge_config_selectorIsNS0_10empty_typeEEEZZNS1_27merge_sort_block_merge_implIS3_N6thrust23THRUST_200600_302600_NS6detail15normal_iteratorINS9_10device_ptrIsEEEEPS5_m9comp_mod3IsEEE10hipError_tT0_T1_T2_jT3_P12ihipStream_tbPNSt15iterator_traitsISJ_E10value_typeEPNSP_ISK_E10value_typeEPSL_NS1_7vsmem_tEENKUlT_SJ_SK_SL_E_clISE_PsSF_SF_EESI_SY_SJ_SK_SL_EUlSY_E0_NS1_11comp_targetILNS1_3genE10ELNS1_11target_archE1201ELNS1_3gpuE5ELNS1_3repE0EEENS1_38merge_mergepath_config_static_selectorELNS0_4arch9wavefront6targetE0EEEvSK_
; %bb.0:
	.section	.rodata,"a",@progbits
	.p2align	6, 0x0
	.amdhsa_kernel _ZN7rocprim17ROCPRIM_400000_NS6detail17trampoline_kernelINS0_14default_configENS1_38merge_sort_block_merge_config_selectorIsNS0_10empty_typeEEEZZNS1_27merge_sort_block_merge_implIS3_N6thrust23THRUST_200600_302600_NS6detail15normal_iteratorINS9_10device_ptrIsEEEEPS5_m9comp_mod3IsEEE10hipError_tT0_T1_T2_jT3_P12ihipStream_tbPNSt15iterator_traitsISJ_E10value_typeEPNSP_ISK_E10value_typeEPSL_NS1_7vsmem_tEENKUlT_SJ_SK_SL_E_clISE_PsSF_SF_EESI_SY_SJ_SK_SL_EUlSY_E0_NS1_11comp_targetILNS1_3genE10ELNS1_11target_archE1201ELNS1_3gpuE5ELNS1_3repE0EEENS1_38merge_mergepath_config_static_selectorELNS0_4arch9wavefront6targetE0EEEvSK_
		.amdhsa_group_segment_fixed_size 0
		.amdhsa_private_segment_fixed_size 0
		.amdhsa_kernarg_size 80
		.amdhsa_user_sgpr_count 6
		.amdhsa_user_sgpr_private_segment_buffer 1
		.amdhsa_user_sgpr_dispatch_ptr 0
		.amdhsa_user_sgpr_queue_ptr 0
		.amdhsa_user_sgpr_kernarg_segment_ptr 1
		.amdhsa_user_sgpr_dispatch_id 0
		.amdhsa_user_sgpr_flat_scratch_init 0
		.amdhsa_user_sgpr_private_segment_size 0
		.amdhsa_wavefront_size32 1
		.amdhsa_uses_dynamic_stack 0
		.amdhsa_system_sgpr_private_segment_wavefront_offset 0
		.amdhsa_system_sgpr_workgroup_id_x 1
		.amdhsa_system_sgpr_workgroup_id_y 0
		.amdhsa_system_sgpr_workgroup_id_z 0
		.amdhsa_system_sgpr_workgroup_info 0
		.amdhsa_system_vgpr_workitem_id 0
		.amdhsa_next_free_vgpr 1
		.amdhsa_next_free_sgpr 1
		.amdhsa_reserve_vcc 0
		.amdhsa_reserve_flat_scratch 0
		.amdhsa_float_round_mode_32 0
		.amdhsa_float_round_mode_16_64 0
		.amdhsa_float_denorm_mode_32 3
		.amdhsa_float_denorm_mode_16_64 3
		.amdhsa_dx10_clamp 1
		.amdhsa_ieee_mode 1
		.amdhsa_fp16_overflow 0
		.amdhsa_workgroup_processor_mode 1
		.amdhsa_memory_ordered 1
		.amdhsa_forward_progress 1
		.amdhsa_shared_vgpr_count 0
		.amdhsa_exception_fp_ieee_invalid_op 0
		.amdhsa_exception_fp_denorm_src 0
		.amdhsa_exception_fp_ieee_div_zero 0
		.amdhsa_exception_fp_ieee_overflow 0
		.amdhsa_exception_fp_ieee_underflow 0
		.amdhsa_exception_fp_ieee_inexact 0
		.amdhsa_exception_int_div_zero 0
	.end_amdhsa_kernel
	.section	.text._ZN7rocprim17ROCPRIM_400000_NS6detail17trampoline_kernelINS0_14default_configENS1_38merge_sort_block_merge_config_selectorIsNS0_10empty_typeEEEZZNS1_27merge_sort_block_merge_implIS3_N6thrust23THRUST_200600_302600_NS6detail15normal_iteratorINS9_10device_ptrIsEEEEPS5_m9comp_mod3IsEEE10hipError_tT0_T1_T2_jT3_P12ihipStream_tbPNSt15iterator_traitsISJ_E10value_typeEPNSP_ISK_E10value_typeEPSL_NS1_7vsmem_tEENKUlT_SJ_SK_SL_E_clISE_PsSF_SF_EESI_SY_SJ_SK_SL_EUlSY_E0_NS1_11comp_targetILNS1_3genE10ELNS1_11target_archE1201ELNS1_3gpuE5ELNS1_3repE0EEENS1_38merge_mergepath_config_static_selectorELNS0_4arch9wavefront6targetE0EEEvSK_,"axG",@progbits,_ZN7rocprim17ROCPRIM_400000_NS6detail17trampoline_kernelINS0_14default_configENS1_38merge_sort_block_merge_config_selectorIsNS0_10empty_typeEEEZZNS1_27merge_sort_block_merge_implIS3_N6thrust23THRUST_200600_302600_NS6detail15normal_iteratorINS9_10device_ptrIsEEEEPS5_m9comp_mod3IsEEE10hipError_tT0_T1_T2_jT3_P12ihipStream_tbPNSt15iterator_traitsISJ_E10value_typeEPNSP_ISK_E10value_typeEPSL_NS1_7vsmem_tEENKUlT_SJ_SK_SL_E_clISE_PsSF_SF_EESI_SY_SJ_SK_SL_EUlSY_E0_NS1_11comp_targetILNS1_3genE10ELNS1_11target_archE1201ELNS1_3gpuE5ELNS1_3repE0EEENS1_38merge_mergepath_config_static_selectorELNS0_4arch9wavefront6targetE0EEEvSK_,comdat
.Lfunc_end1079:
	.size	_ZN7rocprim17ROCPRIM_400000_NS6detail17trampoline_kernelINS0_14default_configENS1_38merge_sort_block_merge_config_selectorIsNS0_10empty_typeEEEZZNS1_27merge_sort_block_merge_implIS3_N6thrust23THRUST_200600_302600_NS6detail15normal_iteratorINS9_10device_ptrIsEEEEPS5_m9comp_mod3IsEEE10hipError_tT0_T1_T2_jT3_P12ihipStream_tbPNSt15iterator_traitsISJ_E10value_typeEPNSP_ISK_E10value_typeEPSL_NS1_7vsmem_tEENKUlT_SJ_SK_SL_E_clISE_PsSF_SF_EESI_SY_SJ_SK_SL_EUlSY_E0_NS1_11comp_targetILNS1_3genE10ELNS1_11target_archE1201ELNS1_3gpuE5ELNS1_3repE0EEENS1_38merge_mergepath_config_static_selectorELNS0_4arch9wavefront6targetE0EEEvSK_, .Lfunc_end1079-_ZN7rocprim17ROCPRIM_400000_NS6detail17trampoline_kernelINS0_14default_configENS1_38merge_sort_block_merge_config_selectorIsNS0_10empty_typeEEEZZNS1_27merge_sort_block_merge_implIS3_N6thrust23THRUST_200600_302600_NS6detail15normal_iteratorINS9_10device_ptrIsEEEEPS5_m9comp_mod3IsEEE10hipError_tT0_T1_T2_jT3_P12ihipStream_tbPNSt15iterator_traitsISJ_E10value_typeEPNSP_ISK_E10value_typeEPSL_NS1_7vsmem_tEENKUlT_SJ_SK_SL_E_clISE_PsSF_SF_EESI_SY_SJ_SK_SL_EUlSY_E0_NS1_11comp_targetILNS1_3genE10ELNS1_11target_archE1201ELNS1_3gpuE5ELNS1_3repE0EEENS1_38merge_mergepath_config_static_selectorELNS0_4arch9wavefront6targetE0EEEvSK_
                                        ; -- End function
	.set _ZN7rocprim17ROCPRIM_400000_NS6detail17trampoline_kernelINS0_14default_configENS1_38merge_sort_block_merge_config_selectorIsNS0_10empty_typeEEEZZNS1_27merge_sort_block_merge_implIS3_N6thrust23THRUST_200600_302600_NS6detail15normal_iteratorINS9_10device_ptrIsEEEEPS5_m9comp_mod3IsEEE10hipError_tT0_T1_T2_jT3_P12ihipStream_tbPNSt15iterator_traitsISJ_E10value_typeEPNSP_ISK_E10value_typeEPSL_NS1_7vsmem_tEENKUlT_SJ_SK_SL_E_clISE_PsSF_SF_EESI_SY_SJ_SK_SL_EUlSY_E0_NS1_11comp_targetILNS1_3genE10ELNS1_11target_archE1201ELNS1_3gpuE5ELNS1_3repE0EEENS1_38merge_mergepath_config_static_selectorELNS0_4arch9wavefront6targetE0EEEvSK_.num_vgpr, 0
	.set _ZN7rocprim17ROCPRIM_400000_NS6detail17trampoline_kernelINS0_14default_configENS1_38merge_sort_block_merge_config_selectorIsNS0_10empty_typeEEEZZNS1_27merge_sort_block_merge_implIS3_N6thrust23THRUST_200600_302600_NS6detail15normal_iteratorINS9_10device_ptrIsEEEEPS5_m9comp_mod3IsEEE10hipError_tT0_T1_T2_jT3_P12ihipStream_tbPNSt15iterator_traitsISJ_E10value_typeEPNSP_ISK_E10value_typeEPSL_NS1_7vsmem_tEENKUlT_SJ_SK_SL_E_clISE_PsSF_SF_EESI_SY_SJ_SK_SL_EUlSY_E0_NS1_11comp_targetILNS1_3genE10ELNS1_11target_archE1201ELNS1_3gpuE5ELNS1_3repE0EEENS1_38merge_mergepath_config_static_selectorELNS0_4arch9wavefront6targetE0EEEvSK_.num_agpr, 0
	.set _ZN7rocprim17ROCPRIM_400000_NS6detail17trampoline_kernelINS0_14default_configENS1_38merge_sort_block_merge_config_selectorIsNS0_10empty_typeEEEZZNS1_27merge_sort_block_merge_implIS3_N6thrust23THRUST_200600_302600_NS6detail15normal_iteratorINS9_10device_ptrIsEEEEPS5_m9comp_mod3IsEEE10hipError_tT0_T1_T2_jT3_P12ihipStream_tbPNSt15iterator_traitsISJ_E10value_typeEPNSP_ISK_E10value_typeEPSL_NS1_7vsmem_tEENKUlT_SJ_SK_SL_E_clISE_PsSF_SF_EESI_SY_SJ_SK_SL_EUlSY_E0_NS1_11comp_targetILNS1_3genE10ELNS1_11target_archE1201ELNS1_3gpuE5ELNS1_3repE0EEENS1_38merge_mergepath_config_static_selectorELNS0_4arch9wavefront6targetE0EEEvSK_.numbered_sgpr, 0
	.set _ZN7rocprim17ROCPRIM_400000_NS6detail17trampoline_kernelINS0_14default_configENS1_38merge_sort_block_merge_config_selectorIsNS0_10empty_typeEEEZZNS1_27merge_sort_block_merge_implIS3_N6thrust23THRUST_200600_302600_NS6detail15normal_iteratorINS9_10device_ptrIsEEEEPS5_m9comp_mod3IsEEE10hipError_tT0_T1_T2_jT3_P12ihipStream_tbPNSt15iterator_traitsISJ_E10value_typeEPNSP_ISK_E10value_typeEPSL_NS1_7vsmem_tEENKUlT_SJ_SK_SL_E_clISE_PsSF_SF_EESI_SY_SJ_SK_SL_EUlSY_E0_NS1_11comp_targetILNS1_3genE10ELNS1_11target_archE1201ELNS1_3gpuE5ELNS1_3repE0EEENS1_38merge_mergepath_config_static_selectorELNS0_4arch9wavefront6targetE0EEEvSK_.num_named_barrier, 0
	.set _ZN7rocprim17ROCPRIM_400000_NS6detail17trampoline_kernelINS0_14default_configENS1_38merge_sort_block_merge_config_selectorIsNS0_10empty_typeEEEZZNS1_27merge_sort_block_merge_implIS3_N6thrust23THRUST_200600_302600_NS6detail15normal_iteratorINS9_10device_ptrIsEEEEPS5_m9comp_mod3IsEEE10hipError_tT0_T1_T2_jT3_P12ihipStream_tbPNSt15iterator_traitsISJ_E10value_typeEPNSP_ISK_E10value_typeEPSL_NS1_7vsmem_tEENKUlT_SJ_SK_SL_E_clISE_PsSF_SF_EESI_SY_SJ_SK_SL_EUlSY_E0_NS1_11comp_targetILNS1_3genE10ELNS1_11target_archE1201ELNS1_3gpuE5ELNS1_3repE0EEENS1_38merge_mergepath_config_static_selectorELNS0_4arch9wavefront6targetE0EEEvSK_.private_seg_size, 0
	.set _ZN7rocprim17ROCPRIM_400000_NS6detail17trampoline_kernelINS0_14default_configENS1_38merge_sort_block_merge_config_selectorIsNS0_10empty_typeEEEZZNS1_27merge_sort_block_merge_implIS3_N6thrust23THRUST_200600_302600_NS6detail15normal_iteratorINS9_10device_ptrIsEEEEPS5_m9comp_mod3IsEEE10hipError_tT0_T1_T2_jT3_P12ihipStream_tbPNSt15iterator_traitsISJ_E10value_typeEPNSP_ISK_E10value_typeEPSL_NS1_7vsmem_tEENKUlT_SJ_SK_SL_E_clISE_PsSF_SF_EESI_SY_SJ_SK_SL_EUlSY_E0_NS1_11comp_targetILNS1_3genE10ELNS1_11target_archE1201ELNS1_3gpuE5ELNS1_3repE0EEENS1_38merge_mergepath_config_static_selectorELNS0_4arch9wavefront6targetE0EEEvSK_.uses_vcc, 0
	.set _ZN7rocprim17ROCPRIM_400000_NS6detail17trampoline_kernelINS0_14default_configENS1_38merge_sort_block_merge_config_selectorIsNS0_10empty_typeEEEZZNS1_27merge_sort_block_merge_implIS3_N6thrust23THRUST_200600_302600_NS6detail15normal_iteratorINS9_10device_ptrIsEEEEPS5_m9comp_mod3IsEEE10hipError_tT0_T1_T2_jT3_P12ihipStream_tbPNSt15iterator_traitsISJ_E10value_typeEPNSP_ISK_E10value_typeEPSL_NS1_7vsmem_tEENKUlT_SJ_SK_SL_E_clISE_PsSF_SF_EESI_SY_SJ_SK_SL_EUlSY_E0_NS1_11comp_targetILNS1_3genE10ELNS1_11target_archE1201ELNS1_3gpuE5ELNS1_3repE0EEENS1_38merge_mergepath_config_static_selectorELNS0_4arch9wavefront6targetE0EEEvSK_.uses_flat_scratch, 0
	.set _ZN7rocprim17ROCPRIM_400000_NS6detail17trampoline_kernelINS0_14default_configENS1_38merge_sort_block_merge_config_selectorIsNS0_10empty_typeEEEZZNS1_27merge_sort_block_merge_implIS3_N6thrust23THRUST_200600_302600_NS6detail15normal_iteratorINS9_10device_ptrIsEEEEPS5_m9comp_mod3IsEEE10hipError_tT0_T1_T2_jT3_P12ihipStream_tbPNSt15iterator_traitsISJ_E10value_typeEPNSP_ISK_E10value_typeEPSL_NS1_7vsmem_tEENKUlT_SJ_SK_SL_E_clISE_PsSF_SF_EESI_SY_SJ_SK_SL_EUlSY_E0_NS1_11comp_targetILNS1_3genE10ELNS1_11target_archE1201ELNS1_3gpuE5ELNS1_3repE0EEENS1_38merge_mergepath_config_static_selectorELNS0_4arch9wavefront6targetE0EEEvSK_.has_dyn_sized_stack, 0
	.set _ZN7rocprim17ROCPRIM_400000_NS6detail17trampoline_kernelINS0_14default_configENS1_38merge_sort_block_merge_config_selectorIsNS0_10empty_typeEEEZZNS1_27merge_sort_block_merge_implIS3_N6thrust23THRUST_200600_302600_NS6detail15normal_iteratorINS9_10device_ptrIsEEEEPS5_m9comp_mod3IsEEE10hipError_tT0_T1_T2_jT3_P12ihipStream_tbPNSt15iterator_traitsISJ_E10value_typeEPNSP_ISK_E10value_typeEPSL_NS1_7vsmem_tEENKUlT_SJ_SK_SL_E_clISE_PsSF_SF_EESI_SY_SJ_SK_SL_EUlSY_E0_NS1_11comp_targetILNS1_3genE10ELNS1_11target_archE1201ELNS1_3gpuE5ELNS1_3repE0EEENS1_38merge_mergepath_config_static_selectorELNS0_4arch9wavefront6targetE0EEEvSK_.has_recursion, 0
	.set _ZN7rocprim17ROCPRIM_400000_NS6detail17trampoline_kernelINS0_14default_configENS1_38merge_sort_block_merge_config_selectorIsNS0_10empty_typeEEEZZNS1_27merge_sort_block_merge_implIS3_N6thrust23THRUST_200600_302600_NS6detail15normal_iteratorINS9_10device_ptrIsEEEEPS5_m9comp_mod3IsEEE10hipError_tT0_T1_T2_jT3_P12ihipStream_tbPNSt15iterator_traitsISJ_E10value_typeEPNSP_ISK_E10value_typeEPSL_NS1_7vsmem_tEENKUlT_SJ_SK_SL_E_clISE_PsSF_SF_EESI_SY_SJ_SK_SL_EUlSY_E0_NS1_11comp_targetILNS1_3genE10ELNS1_11target_archE1201ELNS1_3gpuE5ELNS1_3repE0EEENS1_38merge_mergepath_config_static_selectorELNS0_4arch9wavefront6targetE0EEEvSK_.has_indirect_call, 0
	.section	.AMDGPU.csdata,"",@progbits
; Kernel info:
; codeLenInByte = 0
; TotalNumSgprs: 0
; NumVgprs: 0
; ScratchSize: 0
; MemoryBound: 0
; FloatMode: 240
; IeeeMode: 1
; LDSByteSize: 0 bytes/workgroup (compile time only)
; SGPRBlocks: 0
; VGPRBlocks: 0
; NumSGPRsForWavesPerEU: 1
; NumVGPRsForWavesPerEU: 1
; Occupancy: 16
; WaveLimiterHint : 0
; COMPUTE_PGM_RSRC2:SCRATCH_EN: 0
; COMPUTE_PGM_RSRC2:USER_SGPR: 6
; COMPUTE_PGM_RSRC2:TRAP_HANDLER: 0
; COMPUTE_PGM_RSRC2:TGID_X_EN: 1
; COMPUTE_PGM_RSRC2:TGID_Y_EN: 0
; COMPUTE_PGM_RSRC2:TGID_Z_EN: 0
; COMPUTE_PGM_RSRC2:TIDIG_COMP_CNT: 0
	.section	.text._ZN7rocprim17ROCPRIM_400000_NS6detail17trampoline_kernelINS0_14default_configENS1_38merge_sort_block_merge_config_selectorIsNS0_10empty_typeEEEZZNS1_27merge_sort_block_merge_implIS3_N6thrust23THRUST_200600_302600_NS6detail15normal_iteratorINS9_10device_ptrIsEEEEPS5_m9comp_mod3IsEEE10hipError_tT0_T1_T2_jT3_P12ihipStream_tbPNSt15iterator_traitsISJ_E10value_typeEPNSP_ISK_E10value_typeEPSL_NS1_7vsmem_tEENKUlT_SJ_SK_SL_E_clISE_PsSF_SF_EESI_SY_SJ_SK_SL_EUlSY_E0_NS1_11comp_targetILNS1_3genE5ELNS1_11target_archE942ELNS1_3gpuE9ELNS1_3repE0EEENS1_38merge_mergepath_config_static_selectorELNS0_4arch9wavefront6targetE0EEEvSK_,"axG",@progbits,_ZN7rocprim17ROCPRIM_400000_NS6detail17trampoline_kernelINS0_14default_configENS1_38merge_sort_block_merge_config_selectorIsNS0_10empty_typeEEEZZNS1_27merge_sort_block_merge_implIS3_N6thrust23THRUST_200600_302600_NS6detail15normal_iteratorINS9_10device_ptrIsEEEEPS5_m9comp_mod3IsEEE10hipError_tT0_T1_T2_jT3_P12ihipStream_tbPNSt15iterator_traitsISJ_E10value_typeEPNSP_ISK_E10value_typeEPSL_NS1_7vsmem_tEENKUlT_SJ_SK_SL_E_clISE_PsSF_SF_EESI_SY_SJ_SK_SL_EUlSY_E0_NS1_11comp_targetILNS1_3genE5ELNS1_11target_archE942ELNS1_3gpuE9ELNS1_3repE0EEENS1_38merge_mergepath_config_static_selectorELNS0_4arch9wavefront6targetE0EEEvSK_,comdat
	.protected	_ZN7rocprim17ROCPRIM_400000_NS6detail17trampoline_kernelINS0_14default_configENS1_38merge_sort_block_merge_config_selectorIsNS0_10empty_typeEEEZZNS1_27merge_sort_block_merge_implIS3_N6thrust23THRUST_200600_302600_NS6detail15normal_iteratorINS9_10device_ptrIsEEEEPS5_m9comp_mod3IsEEE10hipError_tT0_T1_T2_jT3_P12ihipStream_tbPNSt15iterator_traitsISJ_E10value_typeEPNSP_ISK_E10value_typeEPSL_NS1_7vsmem_tEENKUlT_SJ_SK_SL_E_clISE_PsSF_SF_EESI_SY_SJ_SK_SL_EUlSY_E0_NS1_11comp_targetILNS1_3genE5ELNS1_11target_archE942ELNS1_3gpuE9ELNS1_3repE0EEENS1_38merge_mergepath_config_static_selectorELNS0_4arch9wavefront6targetE0EEEvSK_ ; -- Begin function _ZN7rocprim17ROCPRIM_400000_NS6detail17trampoline_kernelINS0_14default_configENS1_38merge_sort_block_merge_config_selectorIsNS0_10empty_typeEEEZZNS1_27merge_sort_block_merge_implIS3_N6thrust23THRUST_200600_302600_NS6detail15normal_iteratorINS9_10device_ptrIsEEEEPS5_m9comp_mod3IsEEE10hipError_tT0_T1_T2_jT3_P12ihipStream_tbPNSt15iterator_traitsISJ_E10value_typeEPNSP_ISK_E10value_typeEPSL_NS1_7vsmem_tEENKUlT_SJ_SK_SL_E_clISE_PsSF_SF_EESI_SY_SJ_SK_SL_EUlSY_E0_NS1_11comp_targetILNS1_3genE5ELNS1_11target_archE942ELNS1_3gpuE9ELNS1_3repE0EEENS1_38merge_mergepath_config_static_selectorELNS0_4arch9wavefront6targetE0EEEvSK_
	.globl	_ZN7rocprim17ROCPRIM_400000_NS6detail17trampoline_kernelINS0_14default_configENS1_38merge_sort_block_merge_config_selectorIsNS0_10empty_typeEEEZZNS1_27merge_sort_block_merge_implIS3_N6thrust23THRUST_200600_302600_NS6detail15normal_iteratorINS9_10device_ptrIsEEEEPS5_m9comp_mod3IsEEE10hipError_tT0_T1_T2_jT3_P12ihipStream_tbPNSt15iterator_traitsISJ_E10value_typeEPNSP_ISK_E10value_typeEPSL_NS1_7vsmem_tEENKUlT_SJ_SK_SL_E_clISE_PsSF_SF_EESI_SY_SJ_SK_SL_EUlSY_E0_NS1_11comp_targetILNS1_3genE5ELNS1_11target_archE942ELNS1_3gpuE9ELNS1_3repE0EEENS1_38merge_mergepath_config_static_selectorELNS0_4arch9wavefront6targetE0EEEvSK_
	.p2align	8
	.type	_ZN7rocprim17ROCPRIM_400000_NS6detail17trampoline_kernelINS0_14default_configENS1_38merge_sort_block_merge_config_selectorIsNS0_10empty_typeEEEZZNS1_27merge_sort_block_merge_implIS3_N6thrust23THRUST_200600_302600_NS6detail15normal_iteratorINS9_10device_ptrIsEEEEPS5_m9comp_mod3IsEEE10hipError_tT0_T1_T2_jT3_P12ihipStream_tbPNSt15iterator_traitsISJ_E10value_typeEPNSP_ISK_E10value_typeEPSL_NS1_7vsmem_tEENKUlT_SJ_SK_SL_E_clISE_PsSF_SF_EESI_SY_SJ_SK_SL_EUlSY_E0_NS1_11comp_targetILNS1_3genE5ELNS1_11target_archE942ELNS1_3gpuE9ELNS1_3repE0EEENS1_38merge_mergepath_config_static_selectorELNS0_4arch9wavefront6targetE0EEEvSK_,@function
_ZN7rocprim17ROCPRIM_400000_NS6detail17trampoline_kernelINS0_14default_configENS1_38merge_sort_block_merge_config_selectorIsNS0_10empty_typeEEEZZNS1_27merge_sort_block_merge_implIS3_N6thrust23THRUST_200600_302600_NS6detail15normal_iteratorINS9_10device_ptrIsEEEEPS5_m9comp_mod3IsEEE10hipError_tT0_T1_T2_jT3_P12ihipStream_tbPNSt15iterator_traitsISJ_E10value_typeEPNSP_ISK_E10value_typeEPSL_NS1_7vsmem_tEENKUlT_SJ_SK_SL_E_clISE_PsSF_SF_EESI_SY_SJ_SK_SL_EUlSY_E0_NS1_11comp_targetILNS1_3genE5ELNS1_11target_archE942ELNS1_3gpuE9ELNS1_3repE0EEENS1_38merge_mergepath_config_static_selectorELNS0_4arch9wavefront6targetE0EEEvSK_: ; @_ZN7rocprim17ROCPRIM_400000_NS6detail17trampoline_kernelINS0_14default_configENS1_38merge_sort_block_merge_config_selectorIsNS0_10empty_typeEEEZZNS1_27merge_sort_block_merge_implIS3_N6thrust23THRUST_200600_302600_NS6detail15normal_iteratorINS9_10device_ptrIsEEEEPS5_m9comp_mod3IsEEE10hipError_tT0_T1_T2_jT3_P12ihipStream_tbPNSt15iterator_traitsISJ_E10value_typeEPNSP_ISK_E10value_typeEPSL_NS1_7vsmem_tEENKUlT_SJ_SK_SL_E_clISE_PsSF_SF_EESI_SY_SJ_SK_SL_EUlSY_E0_NS1_11comp_targetILNS1_3genE5ELNS1_11target_archE942ELNS1_3gpuE9ELNS1_3repE0EEENS1_38merge_mergepath_config_static_selectorELNS0_4arch9wavefront6targetE0EEEvSK_
; %bb.0:
	.section	.rodata,"a",@progbits
	.p2align	6, 0x0
	.amdhsa_kernel _ZN7rocprim17ROCPRIM_400000_NS6detail17trampoline_kernelINS0_14default_configENS1_38merge_sort_block_merge_config_selectorIsNS0_10empty_typeEEEZZNS1_27merge_sort_block_merge_implIS3_N6thrust23THRUST_200600_302600_NS6detail15normal_iteratorINS9_10device_ptrIsEEEEPS5_m9comp_mod3IsEEE10hipError_tT0_T1_T2_jT3_P12ihipStream_tbPNSt15iterator_traitsISJ_E10value_typeEPNSP_ISK_E10value_typeEPSL_NS1_7vsmem_tEENKUlT_SJ_SK_SL_E_clISE_PsSF_SF_EESI_SY_SJ_SK_SL_EUlSY_E0_NS1_11comp_targetILNS1_3genE5ELNS1_11target_archE942ELNS1_3gpuE9ELNS1_3repE0EEENS1_38merge_mergepath_config_static_selectorELNS0_4arch9wavefront6targetE0EEEvSK_
		.amdhsa_group_segment_fixed_size 0
		.amdhsa_private_segment_fixed_size 0
		.amdhsa_kernarg_size 80
		.amdhsa_user_sgpr_count 6
		.amdhsa_user_sgpr_private_segment_buffer 1
		.amdhsa_user_sgpr_dispatch_ptr 0
		.amdhsa_user_sgpr_queue_ptr 0
		.amdhsa_user_sgpr_kernarg_segment_ptr 1
		.amdhsa_user_sgpr_dispatch_id 0
		.amdhsa_user_sgpr_flat_scratch_init 0
		.amdhsa_user_sgpr_private_segment_size 0
		.amdhsa_wavefront_size32 1
		.amdhsa_uses_dynamic_stack 0
		.amdhsa_system_sgpr_private_segment_wavefront_offset 0
		.amdhsa_system_sgpr_workgroup_id_x 1
		.amdhsa_system_sgpr_workgroup_id_y 0
		.amdhsa_system_sgpr_workgroup_id_z 0
		.amdhsa_system_sgpr_workgroup_info 0
		.amdhsa_system_vgpr_workitem_id 0
		.amdhsa_next_free_vgpr 1
		.amdhsa_next_free_sgpr 1
		.amdhsa_reserve_vcc 0
		.amdhsa_reserve_flat_scratch 0
		.amdhsa_float_round_mode_32 0
		.amdhsa_float_round_mode_16_64 0
		.amdhsa_float_denorm_mode_32 3
		.amdhsa_float_denorm_mode_16_64 3
		.amdhsa_dx10_clamp 1
		.amdhsa_ieee_mode 1
		.amdhsa_fp16_overflow 0
		.amdhsa_workgroup_processor_mode 1
		.amdhsa_memory_ordered 1
		.amdhsa_forward_progress 1
		.amdhsa_shared_vgpr_count 0
		.amdhsa_exception_fp_ieee_invalid_op 0
		.amdhsa_exception_fp_denorm_src 0
		.amdhsa_exception_fp_ieee_div_zero 0
		.amdhsa_exception_fp_ieee_overflow 0
		.amdhsa_exception_fp_ieee_underflow 0
		.amdhsa_exception_fp_ieee_inexact 0
		.amdhsa_exception_int_div_zero 0
	.end_amdhsa_kernel
	.section	.text._ZN7rocprim17ROCPRIM_400000_NS6detail17trampoline_kernelINS0_14default_configENS1_38merge_sort_block_merge_config_selectorIsNS0_10empty_typeEEEZZNS1_27merge_sort_block_merge_implIS3_N6thrust23THRUST_200600_302600_NS6detail15normal_iteratorINS9_10device_ptrIsEEEEPS5_m9comp_mod3IsEEE10hipError_tT0_T1_T2_jT3_P12ihipStream_tbPNSt15iterator_traitsISJ_E10value_typeEPNSP_ISK_E10value_typeEPSL_NS1_7vsmem_tEENKUlT_SJ_SK_SL_E_clISE_PsSF_SF_EESI_SY_SJ_SK_SL_EUlSY_E0_NS1_11comp_targetILNS1_3genE5ELNS1_11target_archE942ELNS1_3gpuE9ELNS1_3repE0EEENS1_38merge_mergepath_config_static_selectorELNS0_4arch9wavefront6targetE0EEEvSK_,"axG",@progbits,_ZN7rocprim17ROCPRIM_400000_NS6detail17trampoline_kernelINS0_14default_configENS1_38merge_sort_block_merge_config_selectorIsNS0_10empty_typeEEEZZNS1_27merge_sort_block_merge_implIS3_N6thrust23THRUST_200600_302600_NS6detail15normal_iteratorINS9_10device_ptrIsEEEEPS5_m9comp_mod3IsEEE10hipError_tT0_T1_T2_jT3_P12ihipStream_tbPNSt15iterator_traitsISJ_E10value_typeEPNSP_ISK_E10value_typeEPSL_NS1_7vsmem_tEENKUlT_SJ_SK_SL_E_clISE_PsSF_SF_EESI_SY_SJ_SK_SL_EUlSY_E0_NS1_11comp_targetILNS1_3genE5ELNS1_11target_archE942ELNS1_3gpuE9ELNS1_3repE0EEENS1_38merge_mergepath_config_static_selectorELNS0_4arch9wavefront6targetE0EEEvSK_,comdat
.Lfunc_end1080:
	.size	_ZN7rocprim17ROCPRIM_400000_NS6detail17trampoline_kernelINS0_14default_configENS1_38merge_sort_block_merge_config_selectorIsNS0_10empty_typeEEEZZNS1_27merge_sort_block_merge_implIS3_N6thrust23THRUST_200600_302600_NS6detail15normal_iteratorINS9_10device_ptrIsEEEEPS5_m9comp_mod3IsEEE10hipError_tT0_T1_T2_jT3_P12ihipStream_tbPNSt15iterator_traitsISJ_E10value_typeEPNSP_ISK_E10value_typeEPSL_NS1_7vsmem_tEENKUlT_SJ_SK_SL_E_clISE_PsSF_SF_EESI_SY_SJ_SK_SL_EUlSY_E0_NS1_11comp_targetILNS1_3genE5ELNS1_11target_archE942ELNS1_3gpuE9ELNS1_3repE0EEENS1_38merge_mergepath_config_static_selectorELNS0_4arch9wavefront6targetE0EEEvSK_, .Lfunc_end1080-_ZN7rocprim17ROCPRIM_400000_NS6detail17trampoline_kernelINS0_14default_configENS1_38merge_sort_block_merge_config_selectorIsNS0_10empty_typeEEEZZNS1_27merge_sort_block_merge_implIS3_N6thrust23THRUST_200600_302600_NS6detail15normal_iteratorINS9_10device_ptrIsEEEEPS5_m9comp_mod3IsEEE10hipError_tT0_T1_T2_jT3_P12ihipStream_tbPNSt15iterator_traitsISJ_E10value_typeEPNSP_ISK_E10value_typeEPSL_NS1_7vsmem_tEENKUlT_SJ_SK_SL_E_clISE_PsSF_SF_EESI_SY_SJ_SK_SL_EUlSY_E0_NS1_11comp_targetILNS1_3genE5ELNS1_11target_archE942ELNS1_3gpuE9ELNS1_3repE0EEENS1_38merge_mergepath_config_static_selectorELNS0_4arch9wavefront6targetE0EEEvSK_
                                        ; -- End function
	.set _ZN7rocprim17ROCPRIM_400000_NS6detail17trampoline_kernelINS0_14default_configENS1_38merge_sort_block_merge_config_selectorIsNS0_10empty_typeEEEZZNS1_27merge_sort_block_merge_implIS3_N6thrust23THRUST_200600_302600_NS6detail15normal_iteratorINS9_10device_ptrIsEEEEPS5_m9comp_mod3IsEEE10hipError_tT0_T1_T2_jT3_P12ihipStream_tbPNSt15iterator_traitsISJ_E10value_typeEPNSP_ISK_E10value_typeEPSL_NS1_7vsmem_tEENKUlT_SJ_SK_SL_E_clISE_PsSF_SF_EESI_SY_SJ_SK_SL_EUlSY_E0_NS1_11comp_targetILNS1_3genE5ELNS1_11target_archE942ELNS1_3gpuE9ELNS1_3repE0EEENS1_38merge_mergepath_config_static_selectorELNS0_4arch9wavefront6targetE0EEEvSK_.num_vgpr, 0
	.set _ZN7rocprim17ROCPRIM_400000_NS6detail17trampoline_kernelINS0_14default_configENS1_38merge_sort_block_merge_config_selectorIsNS0_10empty_typeEEEZZNS1_27merge_sort_block_merge_implIS3_N6thrust23THRUST_200600_302600_NS6detail15normal_iteratorINS9_10device_ptrIsEEEEPS5_m9comp_mod3IsEEE10hipError_tT0_T1_T2_jT3_P12ihipStream_tbPNSt15iterator_traitsISJ_E10value_typeEPNSP_ISK_E10value_typeEPSL_NS1_7vsmem_tEENKUlT_SJ_SK_SL_E_clISE_PsSF_SF_EESI_SY_SJ_SK_SL_EUlSY_E0_NS1_11comp_targetILNS1_3genE5ELNS1_11target_archE942ELNS1_3gpuE9ELNS1_3repE0EEENS1_38merge_mergepath_config_static_selectorELNS0_4arch9wavefront6targetE0EEEvSK_.num_agpr, 0
	.set _ZN7rocprim17ROCPRIM_400000_NS6detail17trampoline_kernelINS0_14default_configENS1_38merge_sort_block_merge_config_selectorIsNS0_10empty_typeEEEZZNS1_27merge_sort_block_merge_implIS3_N6thrust23THRUST_200600_302600_NS6detail15normal_iteratorINS9_10device_ptrIsEEEEPS5_m9comp_mod3IsEEE10hipError_tT0_T1_T2_jT3_P12ihipStream_tbPNSt15iterator_traitsISJ_E10value_typeEPNSP_ISK_E10value_typeEPSL_NS1_7vsmem_tEENKUlT_SJ_SK_SL_E_clISE_PsSF_SF_EESI_SY_SJ_SK_SL_EUlSY_E0_NS1_11comp_targetILNS1_3genE5ELNS1_11target_archE942ELNS1_3gpuE9ELNS1_3repE0EEENS1_38merge_mergepath_config_static_selectorELNS0_4arch9wavefront6targetE0EEEvSK_.numbered_sgpr, 0
	.set _ZN7rocprim17ROCPRIM_400000_NS6detail17trampoline_kernelINS0_14default_configENS1_38merge_sort_block_merge_config_selectorIsNS0_10empty_typeEEEZZNS1_27merge_sort_block_merge_implIS3_N6thrust23THRUST_200600_302600_NS6detail15normal_iteratorINS9_10device_ptrIsEEEEPS5_m9comp_mod3IsEEE10hipError_tT0_T1_T2_jT3_P12ihipStream_tbPNSt15iterator_traitsISJ_E10value_typeEPNSP_ISK_E10value_typeEPSL_NS1_7vsmem_tEENKUlT_SJ_SK_SL_E_clISE_PsSF_SF_EESI_SY_SJ_SK_SL_EUlSY_E0_NS1_11comp_targetILNS1_3genE5ELNS1_11target_archE942ELNS1_3gpuE9ELNS1_3repE0EEENS1_38merge_mergepath_config_static_selectorELNS0_4arch9wavefront6targetE0EEEvSK_.num_named_barrier, 0
	.set _ZN7rocprim17ROCPRIM_400000_NS6detail17trampoline_kernelINS0_14default_configENS1_38merge_sort_block_merge_config_selectorIsNS0_10empty_typeEEEZZNS1_27merge_sort_block_merge_implIS3_N6thrust23THRUST_200600_302600_NS6detail15normal_iteratorINS9_10device_ptrIsEEEEPS5_m9comp_mod3IsEEE10hipError_tT0_T1_T2_jT3_P12ihipStream_tbPNSt15iterator_traitsISJ_E10value_typeEPNSP_ISK_E10value_typeEPSL_NS1_7vsmem_tEENKUlT_SJ_SK_SL_E_clISE_PsSF_SF_EESI_SY_SJ_SK_SL_EUlSY_E0_NS1_11comp_targetILNS1_3genE5ELNS1_11target_archE942ELNS1_3gpuE9ELNS1_3repE0EEENS1_38merge_mergepath_config_static_selectorELNS0_4arch9wavefront6targetE0EEEvSK_.private_seg_size, 0
	.set _ZN7rocprim17ROCPRIM_400000_NS6detail17trampoline_kernelINS0_14default_configENS1_38merge_sort_block_merge_config_selectorIsNS0_10empty_typeEEEZZNS1_27merge_sort_block_merge_implIS3_N6thrust23THRUST_200600_302600_NS6detail15normal_iteratorINS9_10device_ptrIsEEEEPS5_m9comp_mod3IsEEE10hipError_tT0_T1_T2_jT3_P12ihipStream_tbPNSt15iterator_traitsISJ_E10value_typeEPNSP_ISK_E10value_typeEPSL_NS1_7vsmem_tEENKUlT_SJ_SK_SL_E_clISE_PsSF_SF_EESI_SY_SJ_SK_SL_EUlSY_E0_NS1_11comp_targetILNS1_3genE5ELNS1_11target_archE942ELNS1_3gpuE9ELNS1_3repE0EEENS1_38merge_mergepath_config_static_selectorELNS0_4arch9wavefront6targetE0EEEvSK_.uses_vcc, 0
	.set _ZN7rocprim17ROCPRIM_400000_NS6detail17trampoline_kernelINS0_14default_configENS1_38merge_sort_block_merge_config_selectorIsNS0_10empty_typeEEEZZNS1_27merge_sort_block_merge_implIS3_N6thrust23THRUST_200600_302600_NS6detail15normal_iteratorINS9_10device_ptrIsEEEEPS5_m9comp_mod3IsEEE10hipError_tT0_T1_T2_jT3_P12ihipStream_tbPNSt15iterator_traitsISJ_E10value_typeEPNSP_ISK_E10value_typeEPSL_NS1_7vsmem_tEENKUlT_SJ_SK_SL_E_clISE_PsSF_SF_EESI_SY_SJ_SK_SL_EUlSY_E0_NS1_11comp_targetILNS1_3genE5ELNS1_11target_archE942ELNS1_3gpuE9ELNS1_3repE0EEENS1_38merge_mergepath_config_static_selectorELNS0_4arch9wavefront6targetE0EEEvSK_.uses_flat_scratch, 0
	.set _ZN7rocprim17ROCPRIM_400000_NS6detail17trampoline_kernelINS0_14default_configENS1_38merge_sort_block_merge_config_selectorIsNS0_10empty_typeEEEZZNS1_27merge_sort_block_merge_implIS3_N6thrust23THRUST_200600_302600_NS6detail15normal_iteratorINS9_10device_ptrIsEEEEPS5_m9comp_mod3IsEEE10hipError_tT0_T1_T2_jT3_P12ihipStream_tbPNSt15iterator_traitsISJ_E10value_typeEPNSP_ISK_E10value_typeEPSL_NS1_7vsmem_tEENKUlT_SJ_SK_SL_E_clISE_PsSF_SF_EESI_SY_SJ_SK_SL_EUlSY_E0_NS1_11comp_targetILNS1_3genE5ELNS1_11target_archE942ELNS1_3gpuE9ELNS1_3repE0EEENS1_38merge_mergepath_config_static_selectorELNS0_4arch9wavefront6targetE0EEEvSK_.has_dyn_sized_stack, 0
	.set _ZN7rocprim17ROCPRIM_400000_NS6detail17trampoline_kernelINS0_14default_configENS1_38merge_sort_block_merge_config_selectorIsNS0_10empty_typeEEEZZNS1_27merge_sort_block_merge_implIS3_N6thrust23THRUST_200600_302600_NS6detail15normal_iteratorINS9_10device_ptrIsEEEEPS5_m9comp_mod3IsEEE10hipError_tT0_T1_T2_jT3_P12ihipStream_tbPNSt15iterator_traitsISJ_E10value_typeEPNSP_ISK_E10value_typeEPSL_NS1_7vsmem_tEENKUlT_SJ_SK_SL_E_clISE_PsSF_SF_EESI_SY_SJ_SK_SL_EUlSY_E0_NS1_11comp_targetILNS1_3genE5ELNS1_11target_archE942ELNS1_3gpuE9ELNS1_3repE0EEENS1_38merge_mergepath_config_static_selectorELNS0_4arch9wavefront6targetE0EEEvSK_.has_recursion, 0
	.set _ZN7rocprim17ROCPRIM_400000_NS6detail17trampoline_kernelINS0_14default_configENS1_38merge_sort_block_merge_config_selectorIsNS0_10empty_typeEEEZZNS1_27merge_sort_block_merge_implIS3_N6thrust23THRUST_200600_302600_NS6detail15normal_iteratorINS9_10device_ptrIsEEEEPS5_m9comp_mod3IsEEE10hipError_tT0_T1_T2_jT3_P12ihipStream_tbPNSt15iterator_traitsISJ_E10value_typeEPNSP_ISK_E10value_typeEPSL_NS1_7vsmem_tEENKUlT_SJ_SK_SL_E_clISE_PsSF_SF_EESI_SY_SJ_SK_SL_EUlSY_E0_NS1_11comp_targetILNS1_3genE5ELNS1_11target_archE942ELNS1_3gpuE9ELNS1_3repE0EEENS1_38merge_mergepath_config_static_selectorELNS0_4arch9wavefront6targetE0EEEvSK_.has_indirect_call, 0
	.section	.AMDGPU.csdata,"",@progbits
; Kernel info:
; codeLenInByte = 0
; TotalNumSgprs: 0
; NumVgprs: 0
; ScratchSize: 0
; MemoryBound: 0
; FloatMode: 240
; IeeeMode: 1
; LDSByteSize: 0 bytes/workgroup (compile time only)
; SGPRBlocks: 0
; VGPRBlocks: 0
; NumSGPRsForWavesPerEU: 1
; NumVGPRsForWavesPerEU: 1
; Occupancy: 16
; WaveLimiterHint : 0
; COMPUTE_PGM_RSRC2:SCRATCH_EN: 0
; COMPUTE_PGM_RSRC2:USER_SGPR: 6
; COMPUTE_PGM_RSRC2:TRAP_HANDLER: 0
; COMPUTE_PGM_RSRC2:TGID_X_EN: 1
; COMPUTE_PGM_RSRC2:TGID_Y_EN: 0
; COMPUTE_PGM_RSRC2:TGID_Z_EN: 0
; COMPUTE_PGM_RSRC2:TIDIG_COMP_CNT: 0
	.section	.text._ZN7rocprim17ROCPRIM_400000_NS6detail17trampoline_kernelINS0_14default_configENS1_38merge_sort_block_merge_config_selectorIsNS0_10empty_typeEEEZZNS1_27merge_sort_block_merge_implIS3_N6thrust23THRUST_200600_302600_NS6detail15normal_iteratorINS9_10device_ptrIsEEEEPS5_m9comp_mod3IsEEE10hipError_tT0_T1_T2_jT3_P12ihipStream_tbPNSt15iterator_traitsISJ_E10value_typeEPNSP_ISK_E10value_typeEPSL_NS1_7vsmem_tEENKUlT_SJ_SK_SL_E_clISE_PsSF_SF_EESI_SY_SJ_SK_SL_EUlSY_E0_NS1_11comp_targetILNS1_3genE4ELNS1_11target_archE910ELNS1_3gpuE8ELNS1_3repE0EEENS1_38merge_mergepath_config_static_selectorELNS0_4arch9wavefront6targetE0EEEvSK_,"axG",@progbits,_ZN7rocprim17ROCPRIM_400000_NS6detail17trampoline_kernelINS0_14default_configENS1_38merge_sort_block_merge_config_selectorIsNS0_10empty_typeEEEZZNS1_27merge_sort_block_merge_implIS3_N6thrust23THRUST_200600_302600_NS6detail15normal_iteratorINS9_10device_ptrIsEEEEPS5_m9comp_mod3IsEEE10hipError_tT0_T1_T2_jT3_P12ihipStream_tbPNSt15iterator_traitsISJ_E10value_typeEPNSP_ISK_E10value_typeEPSL_NS1_7vsmem_tEENKUlT_SJ_SK_SL_E_clISE_PsSF_SF_EESI_SY_SJ_SK_SL_EUlSY_E0_NS1_11comp_targetILNS1_3genE4ELNS1_11target_archE910ELNS1_3gpuE8ELNS1_3repE0EEENS1_38merge_mergepath_config_static_selectorELNS0_4arch9wavefront6targetE0EEEvSK_,comdat
	.protected	_ZN7rocprim17ROCPRIM_400000_NS6detail17trampoline_kernelINS0_14default_configENS1_38merge_sort_block_merge_config_selectorIsNS0_10empty_typeEEEZZNS1_27merge_sort_block_merge_implIS3_N6thrust23THRUST_200600_302600_NS6detail15normal_iteratorINS9_10device_ptrIsEEEEPS5_m9comp_mod3IsEEE10hipError_tT0_T1_T2_jT3_P12ihipStream_tbPNSt15iterator_traitsISJ_E10value_typeEPNSP_ISK_E10value_typeEPSL_NS1_7vsmem_tEENKUlT_SJ_SK_SL_E_clISE_PsSF_SF_EESI_SY_SJ_SK_SL_EUlSY_E0_NS1_11comp_targetILNS1_3genE4ELNS1_11target_archE910ELNS1_3gpuE8ELNS1_3repE0EEENS1_38merge_mergepath_config_static_selectorELNS0_4arch9wavefront6targetE0EEEvSK_ ; -- Begin function _ZN7rocprim17ROCPRIM_400000_NS6detail17trampoline_kernelINS0_14default_configENS1_38merge_sort_block_merge_config_selectorIsNS0_10empty_typeEEEZZNS1_27merge_sort_block_merge_implIS3_N6thrust23THRUST_200600_302600_NS6detail15normal_iteratorINS9_10device_ptrIsEEEEPS5_m9comp_mod3IsEEE10hipError_tT0_T1_T2_jT3_P12ihipStream_tbPNSt15iterator_traitsISJ_E10value_typeEPNSP_ISK_E10value_typeEPSL_NS1_7vsmem_tEENKUlT_SJ_SK_SL_E_clISE_PsSF_SF_EESI_SY_SJ_SK_SL_EUlSY_E0_NS1_11comp_targetILNS1_3genE4ELNS1_11target_archE910ELNS1_3gpuE8ELNS1_3repE0EEENS1_38merge_mergepath_config_static_selectorELNS0_4arch9wavefront6targetE0EEEvSK_
	.globl	_ZN7rocprim17ROCPRIM_400000_NS6detail17trampoline_kernelINS0_14default_configENS1_38merge_sort_block_merge_config_selectorIsNS0_10empty_typeEEEZZNS1_27merge_sort_block_merge_implIS3_N6thrust23THRUST_200600_302600_NS6detail15normal_iteratorINS9_10device_ptrIsEEEEPS5_m9comp_mod3IsEEE10hipError_tT0_T1_T2_jT3_P12ihipStream_tbPNSt15iterator_traitsISJ_E10value_typeEPNSP_ISK_E10value_typeEPSL_NS1_7vsmem_tEENKUlT_SJ_SK_SL_E_clISE_PsSF_SF_EESI_SY_SJ_SK_SL_EUlSY_E0_NS1_11comp_targetILNS1_3genE4ELNS1_11target_archE910ELNS1_3gpuE8ELNS1_3repE0EEENS1_38merge_mergepath_config_static_selectorELNS0_4arch9wavefront6targetE0EEEvSK_
	.p2align	8
	.type	_ZN7rocprim17ROCPRIM_400000_NS6detail17trampoline_kernelINS0_14default_configENS1_38merge_sort_block_merge_config_selectorIsNS0_10empty_typeEEEZZNS1_27merge_sort_block_merge_implIS3_N6thrust23THRUST_200600_302600_NS6detail15normal_iteratorINS9_10device_ptrIsEEEEPS5_m9comp_mod3IsEEE10hipError_tT0_T1_T2_jT3_P12ihipStream_tbPNSt15iterator_traitsISJ_E10value_typeEPNSP_ISK_E10value_typeEPSL_NS1_7vsmem_tEENKUlT_SJ_SK_SL_E_clISE_PsSF_SF_EESI_SY_SJ_SK_SL_EUlSY_E0_NS1_11comp_targetILNS1_3genE4ELNS1_11target_archE910ELNS1_3gpuE8ELNS1_3repE0EEENS1_38merge_mergepath_config_static_selectorELNS0_4arch9wavefront6targetE0EEEvSK_,@function
_ZN7rocprim17ROCPRIM_400000_NS6detail17trampoline_kernelINS0_14default_configENS1_38merge_sort_block_merge_config_selectorIsNS0_10empty_typeEEEZZNS1_27merge_sort_block_merge_implIS3_N6thrust23THRUST_200600_302600_NS6detail15normal_iteratorINS9_10device_ptrIsEEEEPS5_m9comp_mod3IsEEE10hipError_tT0_T1_T2_jT3_P12ihipStream_tbPNSt15iterator_traitsISJ_E10value_typeEPNSP_ISK_E10value_typeEPSL_NS1_7vsmem_tEENKUlT_SJ_SK_SL_E_clISE_PsSF_SF_EESI_SY_SJ_SK_SL_EUlSY_E0_NS1_11comp_targetILNS1_3genE4ELNS1_11target_archE910ELNS1_3gpuE8ELNS1_3repE0EEENS1_38merge_mergepath_config_static_selectorELNS0_4arch9wavefront6targetE0EEEvSK_: ; @_ZN7rocprim17ROCPRIM_400000_NS6detail17trampoline_kernelINS0_14default_configENS1_38merge_sort_block_merge_config_selectorIsNS0_10empty_typeEEEZZNS1_27merge_sort_block_merge_implIS3_N6thrust23THRUST_200600_302600_NS6detail15normal_iteratorINS9_10device_ptrIsEEEEPS5_m9comp_mod3IsEEE10hipError_tT0_T1_T2_jT3_P12ihipStream_tbPNSt15iterator_traitsISJ_E10value_typeEPNSP_ISK_E10value_typeEPSL_NS1_7vsmem_tEENKUlT_SJ_SK_SL_E_clISE_PsSF_SF_EESI_SY_SJ_SK_SL_EUlSY_E0_NS1_11comp_targetILNS1_3genE4ELNS1_11target_archE910ELNS1_3gpuE8ELNS1_3repE0EEENS1_38merge_mergepath_config_static_selectorELNS0_4arch9wavefront6targetE0EEEvSK_
; %bb.0:
	.section	.rodata,"a",@progbits
	.p2align	6, 0x0
	.amdhsa_kernel _ZN7rocprim17ROCPRIM_400000_NS6detail17trampoline_kernelINS0_14default_configENS1_38merge_sort_block_merge_config_selectorIsNS0_10empty_typeEEEZZNS1_27merge_sort_block_merge_implIS3_N6thrust23THRUST_200600_302600_NS6detail15normal_iteratorINS9_10device_ptrIsEEEEPS5_m9comp_mod3IsEEE10hipError_tT0_T1_T2_jT3_P12ihipStream_tbPNSt15iterator_traitsISJ_E10value_typeEPNSP_ISK_E10value_typeEPSL_NS1_7vsmem_tEENKUlT_SJ_SK_SL_E_clISE_PsSF_SF_EESI_SY_SJ_SK_SL_EUlSY_E0_NS1_11comp_targetILNS1_3genE4ELNS1_11target_archE910ELNS1_3gpuE8ELNS1_3repE0EEENS1_38merge_mergepath_config_static_selectorELNS0_4arch9wavefront6targetE0EEEvSK_
		.amdhsa_group_segment_fixed_size 0
		.amdhsa_private_segment_fixed_size 0
		.amdhsa_kernarg_size 80
		.amdhsa_user_sgpr_count 6
		.amdhsa_user_sgpr_private_segment_buffer 1
		.amdhsa_user_sgpr_dispatch_ptr 0
		.amdhsa_user_sgpr_queue_ptr 0
		.amdhsa_user_sgpr_kernarg_segment_ptr 1
		.amdhsa_user_sgpr_dispatch_id 0
		.amdhsa_user_sgpr_flat_scratch_init 0
		.amdhsa_user_sgpr_private_segment_size 0
		.amdhsa_wavefront_size32 1
		.amdhsa_uses_dynamic_stack 0
		.amdhsa_system_sgpr_private_segment_wavefront_offset 0
		.amdhsa_system_sgpr_workgroup_id_x 1
		.amdhsa_system_sgpr_workgroup_id_y 0
		.amdhsa_system_sgpr_workgroup_id_z 0
		.amdhsa_system_sgpr_workgroup_info 0
		.amdhsa_system_vgpr_workitem_id 0
		.amdhsa_next_free_vgpr 1
		.amdhsa_next_free_sgpr 1
		.amdhsa_reserve_vcc 0
		.amdhsa_reserve_flat_scratch 0
		.amdhsa_float_round_mode_32 0
		.amdhsa_float_round_mode_16_64 0
		.amdhsa_float_denorm_mode_32 3
		.amdhsa_float_denorm_mode_16_64 3
		.amdhsa_dx10_clamp 1
		.amdhsa_ieee_mode 1
		.amdhsa_fp16_overflow 0
		.amdhsa_workgroup_processor_mode 1
		.amdhsa_memory_ordered 1
		.amdhsa_forward_progress 1
		.amdhsa_shared_vgpr_count 0
		.amdhsa_exception_fp_ieee_invalid_op 0
		.amdhsa_exception_fp_denorm_src 0
		.amdhsa_exception_fp_ieee_div_zero 0
		.amdhsa_exception_fp_ieee_overflow 0
		.amdhsa_exception_fp_ieee_underflow 0
		.amdhsa_exception_fp_ieee_inexact 0
		.amdhsa_exception_int_div_zero 0
	.end_amdhsa_kernel
	.section	.text._ZN7rocprim17ROCPRIM_400000_NS6detail17trampoline_kernelINS0_14default_configENS1_38merge_sort_block_merge_config_selectorIsNS0_10empty_typeEEEZZNS1_27merge_sort_block_merge_implIS3_N6thrust23THRUST_200600_302600_NS6detail15normal_iteratorINS9_10device_ptrIsEEEEPS5_m9comp_mod3IsEEE10hipError_tT0_T1_T2_jT3_P12ihipStream_tbPNSt15iterator_traitsISJ_E10value_typeEPNSP_ISK_E10value_typeEPSL_NS1_7vsmem_tEENKUlT_SJ_SK_SL_E_clISE_PsSF_SF_EESI_SY_SJ_SK_SL_EUlSY_E0_NS1_11comp_targetILNS1_3genE4ELNS1_11target_archE910ELNS1_3gpuE8ELNS1_3repE0EEENS1_38merge_mergepath_config_static_selectorELNS0_4arch9wavefront6targetE0EEEvSK_,"axG",@progbits,_ZN7rocprim17ROCPRIM_400000_NS6detail17trampoline_kernelINS0_14default_configENS1_38merge_sort_block_merge_config_selectorIsNS0_10empty_typeEEEZZNS1_27merge_sort_block_merge_implIS3_N6thrust23THRUST_200600_302600_NS6detail15normal_iteratorINS9_10device_ptrIsEEEEPS5_m9comp_mod3IsEEE10hipError_tT0_T1_T2_jT3_P12ihipStream_tbPNSt15iterator_traitsISJ_E10value_typeEPNSP_ISK_E10value_typeEPSL_NS1_7vsmem_tEENKUlT_SJ_SK_SL_E_clISE_PsSF_SF_EESI_SY_SJ_SK_SL_EUlSY_E0_NS1_11comp_targetILNS1_3genE4ELNS1_11target_archE910ELNS1_3gpuE8ELNS1_3repE0EEENS1_38merge_mergepath_config_static_selectorELNS0_4arch9wavefront6targetE0EEEvSK_,comdat
.Lfunc_end1081:
	.size	_ZN7rocprim17ROCPRIM_400000_NS6detail17trampoline_kernelINS0_14default_configENS1_38merge_sort_block_merge_config_selectorIsNS0_10empty_typeEEEZZNS1_27merge_sort_block_merge_implIS3_N6thrust23THRUST_200600_302600_NS6detail15normal_iteratorINS9_10device_ptrIsEEEEPS5_m9comp_mod3IsEEE10hipError_tT0_T1_T2_jT3_P12ihipStream_tbPNSt15iterator_traitsISJ_E10value_typeEPNSP_ISK_E10value_typeEPSL_NS1_7vsmem_tEENKUlT_SJ_SK_SL_E_clISE_PsSF_SF_EESI_SY_SJ_SK_SL_EUlSY_E0_NS1_11comp_targetILNS1_3genE4ELNS1_11target_archE910ELNS1_3gpuE8ELNS1_3repE0EEENS1_38merge_mergepath_config_static_selectorELNS0_4arch9wavefront6targetE0EEEvSK_, .Lfunc_end1081-_ZN7rocprim17ROCPRIM_400000_NS6detail17trampoline_kernelINS0_14default_configENS1_38merge_sort_block_merge_config_selectorIsNS0_10empty_typeEEEZZNS1_27merge_sort_block_merge_implIS3_N6thrust23THRUST_200600_302600_NS6detail15normal_iteratorINS9_10device_ptrIsEEEEPS5_m9comp_mod3IsEEE10hipError_tT0_T1_T2_jT3_P12ihipStream_tbPNSt15iterator_traitsISJ_E10value_typeEPNSP_ISK_E10value_typeEPSL_NS1_7vsmem_tEENKUlT_SJ_SK_SL_E_clISE_PsSF_SF_EESI_SY_SJ_SK_SL_EUlSY_E0_NS1_11comp_targetILNS1_3genE4ELNS1_11target_archE910ELNS1_3gpuE8ELNS1_3repE0EEENS1_38merge_mergepath_config_static_selectorELNS0_4arch9wavefront6targetE0EEEvSK_
                                        ; -- End function
	.set _ZN7rocprim17ROCPRIM_400000_NS6detail17trampoline_kernelINS0_14default_configENS1_38merge_sort_block_merge_config_selectorIsNS0_10empty_typeEEEZZNS1_27merge_sort_block_merge_implIS3_N6thrust23THRUST_200600_302600_NS6detail15normal_iteratorINS9_10device_ptrIsEEEEPS5_m9comp_mod3IsEEE10hipError_tT0_T1_T2_jT3_P12ihipStream_tbPNSt15iterator_traitsISJ_E10value_typeEPNSP_ISK_E10value_typeEPSL_NS1_7vsmem_tEENKUlT_SJ_SK_SL_E_clISE_PsSF_SF_EESI_SY_SJ_SK_SL_EUlSY_E0_NS1_11comp_targetILNS1_3genE4ELNS1_11target_archE910ELNS1_3gpuE8ELNS1_3repE0EEENS1_38merge_mergepath_config_static_selectorELNS0_4arch9wavefront6targetE0EEEvSK_.num_vgpr, 0
	.set _ZN7rocprim17ROCPRIM_400000_NS6detail17trampoline_kernelINS0_14default_configENS1_38merge_sort_block_merge_config_selectorIsNS0_10empty_typeEEEZZNS1_27merge_sort_block_merge_implIS3_N6thrust23THRUST_200600_302600_NS6detail15normal_iteratorINS9_10device_ptrIsEEEEPS5_m9comp_mod3IsEEE10hipError_tT0_T1_T2_jT3_P12ihipStream_tbPNSt15iterator_traitsISJ_E10value_typeEPNSP_ISK_E10value_typeEPSL_NS1_7vsmem_tEENKUlT_SJ_SK_SL_E_clISE_PsSF_SF_EESI_SY_SJ_SK_SL_EUlSY_E0_NS1_11comp_targetILNS1_3genE4ELNS1_11target_archE910ELNS1_3gpuE8ELNS1_3repE0EEENS1_38merge_mergepath_config_static_selectorELNS0_4arch9wavefront6targetE0EEEvSK_.num_agpr, 0
	.set _ZN7rocprim17ROCPRIM_400000_NS6detail17trampoline_kernelINS0_14default_configENS1_38merge_sort_block_merge_config_selectorIsNS0_10empty_typeEEEZZNS1_27merge_sort_block_merge_implIS3_N6thrust23THRUST_200600_302600_NS6detail15normal_iteratorINS9_10device_ptrIsEEEEPS5_m9comp_mod3IsEEE10hipError_tT0_T1_T2_jT3_P12ihipStream_tbPNSt15iterator_traitsISJ_E10value_typeEPNSP_ISK_E10value_typeEPSL_NS1_7vsmem_tEENKUlT_SJ_SK_SL_E_clISE_PsSF_SF_EESI_SY_SJ_SK_SL_EUlSY_E0_NS1_11comp_targetILNS1_3genE4ELNS1_11target_archE910ELNS1_3gpuE8ELNS1_3repE0EEENS1_38merge_mergepath_config_static_selectorELNS0_4arch9wavefront6targetE0EEEvSK_.numbered_sgpr, 0
	.set _ZN7rocprim17ROCPRIM_400000_NS6detail17trampoline_kernelINS0_14default_configENS1_38merge_sort_block_merge_config_selectorIsNS0_10empty_typeEEEZZNS1_27merge_sort_block_merge_implIS3_N6thrust23THRUST_200600_302600_NS6detail15normal_iteratorINS9_10device_ptrIsEEEEPS5_m9comp_mod3IsEEE10hipError_tT0_T1_T2_jT3_P12ihipStream_tbPNSt15iterator_traitsISJ_E10value_typeEPNSP_ISK_E10value_typeEPSL_NS1_7vsmem_tEENKUlT_SJ_SK_SL_E_clISE_PsSF_SF_EESI_SY_SJ_SK_SL_EUlSY_E0_NS1_11comp_targetILNS1_3genE4ELNS1_11target_archE910ELNS1_3gpuE8ELNS1_3repE0EEENS1_38merge_mergepath_config_static_selectorELNS0_4arch9wavefront6targetE0EEEvSK_.num_named_barrier, 0
	.set _ZN7rocprim17ROCPRIM_400000_NS6detail17trampoline_kernelINS0_14default_configENS1_38merge_sort_block_merge_config_selectorIsNS0_10empty_typeEEEZZNS1_27merge_sort_block_merge_implIS3_N6thrust23THRUST_200600_302600_NS6detail15normal_iteratorINS9_10device_ptrIsEEEEPS5_m9comp_mod3IsEEE10hipError_tT0_T1_T2_jT3_P12ihipStream_tbPNSt15iterator_traitsISJ_E10value_typeEPNSP_ISK_E10value_typeEPSL_NS1_7vsmem_tEENKUlT_SJ_SK_SL_E_clISE_PsSF_SF_EESI_SY_SJ_SK_SL_EUlSY_E0_NS1_11comp_targetILNS1_3genE4ELNS1_11target_archE910ELNS1_3gpuE8ELNS1_3repE0EEENS1_38merge_mergepath_config_static_selectorELNS0_4arch9wavefront6targetE0EEEvSK_.private_seg_size, 0
	.set _ZN7rocprim17ROCPRIM_400000_NS6detail17trampoline_kernelINS0_14default_configENS1_38merge_sort_block_merge_config_selectorIsNS0_10empty_typeEEEZZNS1_27merge_sort_block_merge_implIS3_N6thrust23THRUST_200600_302600_NS6detail15normal_iteratorINS9_10device_ptrIsEEEEPS5_m9comp_mod3IsEEE10hipError_tT0_T1_T2_jT3_P12ihipStream_tbPNSt15iterator_traitsISJ_E10value_typeEPNSP_ISK_E10value_typeEPSL_NS1_7vsmem_tEENKUlT_SJ_SK_SL_E_clISE_PsSF_SF_EESI_SY_SJ_SK_SL_EUlSY_E0_NS1_11comp_targetILNS1_3genE4ELNS1_11target_archE910ELNS1_3gpuE8ELNS1_3repE0EEENS1_38merge_mergepath_config_static_selectorELNS0_4arch9wavefront6targetE0EEEvSK_.uses_vcc, 0
	.set _ZN7rocprim17ROCPRIM_400000_NS6detail17trampoline_kernelINS0_14default_configENS1_38merge_sort_block_merge_config_selectorIsNS0_10empty_typeEEEZZNS1_27merge_sort_block_merge_implIS3_N6thrust23THRUST_200600_302600_NS6detail15normal_iteratorINS9_10device_ptrIsEEEEPS5_m9comp_mod3IsEEE10hipError_tT0_T1_T2_jT3_P12ihipStream_tbPNSt15iterator_traitsISJ_E10value_typeEPNSP_ISK_E10value_typeEPSL_NS1_7vsmem_tEENKUlT_SJ_SK_SL_E_clISE_PsSF_SF_EESI_SY_SJ_SK_SL_EUlSY_E0_NS1_11comp_targetILNS1_3genE4ELNS1_11target_archE910ELNS1_3gpuE8ELNS1_3repE0EEENS1_38merge_mergepath_config_static_selectorELNS0_4arch9wavefront6targetE0EEEvSK_.uses_flat_scratch, 0
	.set _ZN7rocprim17ROCPRIM_400000_NS6detail17trampoline_kernelINS0_14default_configENS1_38merge_sort_block_merge_config_selectorIsNS0_10empty_typeEEEZZNS1_27merge_sort_block_merge_implIS3_N6thrust23THRUST_200600_302600_NS6detail15normal_iteratorINS9_10device_ptrIsEEEEPS5_m9comp_mod3IsEEE10hipError_tT0_T1_T2_jT3_P12ihipStream_tbPNSt15iterator_traitsISJ_E10value_typeEPNSP_ISK_E10value_typeEPSL_NS1_7vsmem_tEENKUlT_SJ_SK_SL_E_clISE_PsSF_SF_EESI_SY_SJ_SK_SL_EUlSY_E0_NS1_11comp_targetILNS1_3genE4ELNS1_11target_archE910ELNS1_3gpuE8ELNS1_3repE0EEENS1_38merge_mergepath_config_static_selectorELNS0_4arch9wavefront6targetE0EEEvSK_.has_dyn_sized_stack, 0
	.set _ZN7rocprim17ROCPRIM_400000_NS6detail17trampoline_kernelINS0_14default_configENS1_38merge_sort_block_merge_config_selectorIsNS0_10empty_typeEEEZZNS1_27merge_sort_block_merge_implIS3_N6thrust23THRUST_200600_302600_NS6detail15normal_iteratorINS9_10device_ptrIsEEEEPS5_m9comp_mod3IsEEE10hipError_tT0_T1_T2_jT3_P12ihipStream_tbPNSt15iterator_traitsISJ_E10value_typeEPNSP_ISK_E10value_typeEPSL_NS1_7vsmem_tEENKUlT_SJ_SK_SL_E_clISE_PsSF_SF_EESI_SY_SJ_SK_SL_EUlSY_E0_NS1_11comp_targetILNS1_3genE4ELNS1_11target_archE910ELNS1_3gpuE8ELNS1_3repE0EEENS1_38merge_mergepath_config_static_selectorELNS0_4arch9wavefront6targetE0EEEvSK_.has_recursion, 0
	.set _ZN7rocprim17ROCPRIM_400000_NS6detail17trampoline_kernelINS0_14default_configENS1_38merge_sort_block_merge_config_selectorIsNS0_10empty_typeEEEZZNS1_27merge_sort_block_merge_implIS3_N6thrust23THRUST_200600_302600_NS6detail15normal_iteratorINS9_10device_ptrIsEEEEPS5_m9comp_mod3IsEEE10hipError_tT0_T1_T2_jT3_P12ihipStream_tbPNSt15iterator_traitsISJ_E10value_typeEPNSP_ISK_E10value_typeEPSL_NS1_7vsmem_tEENKUlT_SJ_SK_SL_E_clISE_PsSF_SF_EESI_SY_SJ_SK_SL_EUlSY_E0_NS1_11comp_targetILNS1_3genE4ELNS1_11target_archE910ELNS1_3gpuE8ELNS1_3repE0EEENS1_38merge_mergepath_config_static_selectorELNS0_4arch9wavefront6targetE0EEEvSK_.has_indirect_call, 0
	.section	.AMDGPU.csdata,"",@progbits
; Kernel info:
; codeLenInByte = 0
; TotalNumSgprs: 0
; NumVgprs: 0
; ScratchSize: 0
; MemoryBound: 0
; FloatMode: 240
; IeeeMode: 1
; LDSByteSize: 0 bytes/workgroup (compile time only)
; SGPRBlocks: 0
; VGPRBlocks: 0
; NumSGPRsForWavesPerEU: 1
; NumVGPRsForWavesPerEU: 1
; Occupancy: 16
; WaveLimiterHint : 0
; COMPUTE_PGM_RSRC2:SCRATCH_EN: 0
; COMPUTE_PGM_RSRC2:USER_SGPR: 6
; COMPUTE_PGM_RSRC2:TRAP_HANDLER: 0
; COMPUTE_PGM_RSRC2:TGID_X_EN: 1
; COMPUTE_PGM_RSRC2:TGID_Y_EN: 0
; COMPUTE_PGM_RSRC2:TGID_Z_EN: 0
; COMPUTE_PGM_RSRC2:TIDIG_COMP_CNT: 0
	.section	.text._ZN7rocprim17ROCPRIM_400000_NS6detail17trampoline_kernelINS0_14default_configENS1_38merge_sort_block_merge_config_selectorIsNS0_10empty_typeEEEZZNS1_27merge_sort_block_merge_implIS3_N6thrust23THRUST_200600_302600_NS6detail15normal_iteratorINS9_10device_ptrIsEEEEPS5_m9comp_mod3IsEEE10hipError_tT0_T1_T2_jT3_P12ihipStream_tbPNSt15iterator_traitsISJ_E10value_typeEPNSP_ISK_E10value_typeEPSL_NS1_7vsmem_tEENKUlT_SJ_SK_SL_E_clISE_PsSF_SF_EESI_SY_SJ_SK_SL_EUlSY_E0_NS1_11comp_targetILNS1_3genE3ELNS1_11target_archE908ELNS1_3gpuE7ELNS1_3repE0EEENS1_38merge_mergepath_config_static_selectorELNS0_4arch9wavefront6targetE0EEEvSK_,"axG",@progbits,_ZN7rocprim17ROCPRIM_400000_NS6detail17trampoline_kernelINS0_14default_configENS1_38merge_sort_block_merge_config_selectorIsNS0_10empty_typeEEEZZNS1_27merge_sort_block_merge_implIS3_N6thrust23THRUST_200600_302600_NS6detail15normal_iteratorINS9_10device_ptrIsEEEEPS5_m9comp_mod3IsEEE10hipError_tT0_T1_T2_jT3_P12ihipStream_tbPNSt15iterator_traitsISJ_E10value_typeEPNSP_ISK_E10value_typeEPSL_NS1_7vsmem_tEENKUlT_SJ_SK_SL_E_clISE_PsSF_SF_EESI_SY_SJ_SK_SL_EUlSY_E0_NS1_11comp_targetILNS1_3genE3ELNS1_11target_archE908ELNS1_3gpuE7ELNS1_3repE0EEENS1_38merge_mergepath_config_static_selectorELNS0_4arch9wavefront6targetE0EEEvSK_,comdat
	.protected	_ZN7rocprim17ROCPRIM_400000_NS6detail17trampoline_kernelINS0_14default_configENS1_38merge_sort_block_merge_config_selectorIsNS0_10empty_typeEEEZZNS1_27merge_sort_block_merge_implIS3_N6thrust23THRUST_200600_302600_NS6detail15normal_iteratorINS9_10device_ptrIsEEEEPS5_m9comp_mod3IsEEE10hipError_tT0_T1_T2_jT3_P12ihipStream_tbPNSt15iterator_traitsISJ_E10value_typeEPNSP_ISK_E10value_typeEPSL_NS1_7vsmem_tEENKUlT_SJ_SK_SL_E_clISE_PsSF_SF_EESI_SY_SJ_SK_SL_EUlSY_E0_NS1_11comp_targetILNS1_3genE3ELNS1_11target_archE908ELNS1_3gpuE7ELNS1_3repE0EEENS1_38merge_mergepath_config_static_selectorELNS0_4arch9wavefront6targetE0EEEvSK_ ; -- Begin function _ZN7rocprim17ROCPRIM_400000_NS6detail17trampoline_kernelINS0_14default_configENS1_38merge_sort_block_merge_config_selectorIsNS0_10empty_typeEEEZZNS1_27merge_sort_block_merge_implIS3_N6thrust23THRUST_200600_302600_NS6detail15normal_iteratorINS9_10device_ptrIsEEEEPS5_m9comp_mod3IsEEE10hipError_tT0_T1_T2_jT3_P12ihipStream_tbPNSt15iterator_traitsISJ_E10value_typeEPNSP_ISK_E10value_typeEPSL_NS1_7vsmem_tEENKUlT_SJ_SK_SL_E_clISE_PsSF_SF_EESI_SY_SJ_SK_SL_EUlSY_E0_NS1_11comp_targetILNS1_3genE3ELNS1_11target_archE908ELNS1_3gpuE7ELNS1_3repE0EEENS1_38merge_mergepath_config_static_selectorELNS0_4arch9wavefront6targetE0EEEvSK_
	.globl	_ZN7rocprim17ROCPRIM_400000_NS6detail17trampoline_kernelINS0_14default_configENS1_38merge_sort_block_merge_config_selectorIsNS0_10empty_typeEEEZZNS1_27merge_sort_block_merge_implIS3_N6thrust23THRUST_200600_302600_NS6detail15normal_iteratorINS9_10device_ptrIsEEEEPS5_m9comp_mod3IsEEE10hipError_tT0_T1_T2_jT3_P12ihipStream_tbPNSt15iterator_traitsISJ_E10value_typeEPNSP_ISK_E10value_typeEPSL_NS1_7vsmem_tEENKUlT_SJ_SK_SL_E_clISE_PsSF_SF_EESI_SY_SJ_SK_SL_EUlSY_E0_NS1_11comp_targetILNS1_3genE3ELNS1_11target_archE908ELNS1_3gpuE7ELNS1_3repE0EEENS1_38merge_mergepath_config_static_selectorELNS0_4arch9wavefront6targetE0EEEvSK_
	.p2align	8
	.type	_ZN7rocprim17ROCPRIM_400000_NS6detail17trampoline_kernelINS0_14default_configENS1_38merge_sort_block_merge_config_selectorIsNS0_10empty_typeEEEZZNS1_27merge_sort_block_merge_implIS3_N6thrust23THRUST_200600_302600_NS6detail15normal_iteratorINS9_10device_ptrIsEEEEPS5_m9comp_mod3IsEEE10hipError_tT0_T1_T2_jT3_P12ihipStream_tbPNSt15iterator_traitsISJ_E10value_typeEPNSP_ISK_E10value_typeEPSL_NS1_7vsmem_tEENKUlT_SJ_SK_SL_E_clISE_PsSF_SF_EESI_SY_SJ_SK_SL_EUlSY_E0_NS1_11comp_targetILNS1_3genE3ELNS1_11target_archE908ELNS1_3gpuE7ELNS1_3repE0EEENS1_38merge_mergepath_config_static_selectorELNS0_4arch9wavefront6targetE0EEEvSK_,@function
_ZN7rocprim17ROCPRIM_400000_NS6detail17trampoline_kernelINS0_14default_configENS1_38merge_sort_block_merge_config_selectorIsNS0_10empty_typeEEEZZNS1_27merge_sort_block_merge_implIS3_N6thrust23THRUST_200600_302600_NS6detail15normal_iteratorINS9_10device_ptrIsEEEEPS5_m9comp_mod3IsEEE10hipError_tT0_T1_T2_jT3_P12ihipStream_tbPNSt15iterator_traitsISJ_E10value_typeEPNSP_ISK_E10value_typeEPSL_NS1_7vsmem_tEENKUlT_SJ_SK_SL_E_clISE_PsSF_SF_EESI_SY_SJ_SK_SL_EUlSY_E0_NS1_11comp_targetILNS1_3genE3ELNS1_11target_archE908ELNS1_3gpuE7ELNS1_3repE0EEENS1_38merge_mergepath_config_static_selectorELNS0_4arch9wavefront6targetE0EEEvSK_: ; @_ZN7rocprim17ROCPRIM_400000_NS6detail17trampoline_kernelINS0_14default_configENS1_38merge_sort_block_merge_config_selectorIsNS0_10empty_typeEEEZZNS1_27merge_sort_block_merge_implIS3_N6thrust23THRUST_200600_302600_NS6detail15normal_iteratorINS9_10device_ptrIsEEEEPS5_m9comp_mod3IsEEE10hipError_tT0_T1_T2_jT3_P12ihipStream_tbPNSt15iterator_traitsISJ_E10value_typeEPNSP_ISK_E10value_typeEPSL_NS1_7vsmem_tEENKUlT_SJ_SK_SL_E_clISE_PsSF_SF_EESI_SY_SJ_SK_SL_EUlSY_E0_NS1_11comp_targetILNS1_3genE3ELNS1_11target_archE908ELNS1_3gpuE7ELNS1_3repE0EEENS1_38merge_mergepath_config_static_selectorELNS0_4arch9wavefront6targetE0EEEvSK_
; %bb.0:
	.section	.rodata,"a",@progbits
	.p2align	6, 0x0
	.amdhsa_kernel _ZN7rocprim17ROCPRIM_400000_NS6detail17trampoline_kernelINS0_14default_configENS1_38merge_sort_block_merge_config_selectorIsNS0_10empty_typeEEEZZNS1_27merge_sort_block_merge_implIS3_N6thrust23THRUST_200600_302600_NS6detail15normal_iteratorINS9_10device_ptrIsEEEEPS5_m9comp_mod3IsEEE10hipError_tT0_T1_T2_jT3_P12ihipStream_tbPNSt15iterator_traitsISJ_E10value_typeEPNSP_ISK_E10value_typeEPSL_NS1_7vsmem_tEENKUlT_SJ_SK_SL_E_clISE_PsSF_SF_EESI_SY_SJ_SK_SL_EUlSY_E0_NS1_11comp_targetILNS1_3genE3ELNS1_11target_archE908ELNS1_3gpuE7ELNS1_3repE0EEENS1_38merge_mergepath_config_static_selectorELNS0_4arch9wavefront6targetE0EEEvSK_
		.amdhsa_group_segment_fixed_size 0
		.amdhsa_private_segment_fixed_size 0
		.amdhsa_kernarg_size 80
		.amdhsa_user_sgpr_count 6
		.amdhsa_user_sgpr_private_segment_buffer 1
		.amdhsa_user_sgpr_dispatch_ptr 0
		.amdhsa_user_sgpr_queue_ptr 0
		.amdhsa_user_sgpr_kernarg_segment_ptr 1
		.amdhsa_user_sgpr_dispatch_id 0
		.amdhsa_user_sgpr_flat_scratch_init 0
		.amdhsa_user_sgpr_private_segment_size 0
		.amdhsa_wavefront_size32 1
		.amdhsa_uses_dynamic_stack 0
		.amdhsa_system_sgpr_private_segment_wavefront_offset 0
		.amdhsa_system_sgpr_workgroup_id_x 1
		.amdhsa_system_sgpr_workgroup_id_y 0
		.amdhsa_system_sgpr_workgroup_id_z 0
		.amdhsa_system_sgpr_workgroup_info 0
		.amdhsa_system_vgpr_workitem_id 0
		.amdhsa_next_free_vgpr 1
		.amdhsa_next_free_sgpr 1
		.amdhsa_reserve_vcc 0
		.amdhsa_reserve_flat_scratch 0
		.amdhsa_float_round_mode_32 0
		.amdhsa_float_round_mode_16_64 0
		.amdhsa_float_denorm_mode_32 3
		.amdhsa_float_denorm_mode_16_64 3
		.amdhsa_dx10_clamp 1
		.amdhsa_ieee_mode 1
		.amdhsa_fp16_overflow 0
		.amdhsa_workgroup_processor_mode 1
		.amdhsa_memory_ordered 1
		.amdhsa_forward_progress 1
		.amdhsa_shared_vgpr_count 0
		.amdhsa_exception_fp_ieee_invalid_op 0
		.amdhsa_exception_fp_denorm_src 0
		.amdhsa_exception_fp_ieee_div_zero 0
		.amdhsa_exception_fp_ieee_overflow 0
		.amdhsa_exception_fp_ieee_underflow 0
		.amdhsa_exception_fp_ieee_inexact 0
		.amdhsa_exception_int_div_zero 0
	.end_amdhsa_kernel
	.section	.text._ZN7rocprim17ROCPRIM_400000_NS6detail17trampoline_kernelINS0_14default_configENS1_38merge_sort_block_merge_config_selectorIsNS0_10empty_typeEEEZZNS1_27merge_sort_block_merge_implIS3_N6thrust23THRUST_200600_302600_NS6detail15normal_iteratorINS9_10device_ptrIsEEEEPS5_m9comp_mod3IsEEE10hipError_tT0_T1_T2_jT3_P12ihipStream_tbPNSt15iterator_traitsISJ_E10value_typeEPNSP_ISK_E10value_typeEPSL_NS1_7vsmem_tEENKUlT_SJ_SK_SL_E_clISE_PsSF_SF_EESI_SY_SJ_SK_SL_EUlSY_E0_NS1_11comp_targetILNS1_3genE3ELNS1_11target_archE908ELNS1_3gpuE7ELNS1_3repE0EEENS1_38merge_mergepath_config_static_selectorELNS0_4arch9wavefront6targetE0EEEvSK_,"axG",@progbits,_ZN7rocprim17ROCPRIM_400000_NS6detail17trampoline_kernelINS0_14default_configENS1_38merge_sort_block_merge_config_selectorIsNS0_10empty_typeEEEZZNS1_27merge_sort_block_merge_implIS3_N6thrust23THRUST_200600_302600_NS6detail15normal_iteratorINS9_10device_ptrIsEEEEPS5_m9comp_mod3IsEEE10hipError_tT0_T1_T2_jT3_P12ihipStream_tbPNSt15iterator_traitsISJ_E10value_typeEPNSP_ISK_E10value_typeEPSL_NS1_7vsmem_tEENKUlT_SJ_SK_SL_E_clISE_PsSF_SF_EESI_SY_SJ_SK_SL_EUlSY_E0_NS1_11comp_targetILNS1_3genE3ELNS1_11target_archE908ELNS1_3gpuE7ELNS1_3repE0EEENS1_38merge_mergepath_config_static_selectorELNS0_4arch9wavefront6targetE0EEEvSK_,comdat
.Lfunc_end1082:
	.size	_ZN7rocprim17ROCPRIM_400000_NS6detail17trampoline_kernelINS0_14default_configENS1_38merge_sort_block_merge_config_selectorIsNS0_10empty_typeEEEZZNS1_27merge_sort_block_merge_implIS3_N6thrust23THRUST_200600_302600_NS6detail15normal_iteratorINS9_10device_ptrIsEEEEPS5_m9comp_mod3IsEEE10hipError_tT0_T1_T2_jT3_P12ihipStream_tbPNSt15iterator_traitsISJ_E10value_typeEPNSP_ISK_E10value_typeEPSL_NS1_7vsmem_tEENKUlT_SJ_SK_SL_E_clISE_PsSF_SF_EESI_SY_SJ_SK_SL_EUlSY_E0_NS1_11comp_targetILNS1_3genE3ELNS1_11target_archE908ELNS1_3gpuE7ELNS1_3repE0EEENS1_38merge_mergepath_config_static_selectorELNS0_4arch9wavefront6targetE0EEEvSK_, .Lfunc_end1082-_ZN7rocprim17ROCPRIM_400000_NS6detail17trampoline_kernelINS0_14default_configENS1_38merge_sort_block_merge_config_selectorIsNS0_10empty_typeEEEZZNS1_27merge_sort_block_merge_implIS3_N6thrust23THRUST_200600_302600_NS6detail15normal_iteratorINS9_10device_ptrIsEEEEPS5_m9comp_mod3IsEEE10hipError_tT0_T1_T2_jT3_P12ihipStream_tbPNSt15iterator_traitsISJ_E10value_typeEPNSP_ISK_E10value_typeEPSL_NS1_7vsmem_tEENKUlT_SJ_SK_SL_E_clISE_PsSF_SF_EESI_SY_SJ_SK_SL_EUlSY_E0_NS1_11comp_targetILNS1_3genE3ELNS1_11target_archE908ELNS1_3gpuE7ELNS1_3repE0EEENS1_38merge_mergepath_config_static_selectorELNS0_4arch9wavefront6targetE0EEEvSK_
                                        ; -- End function
	.set _ZN7rocprim17ROCPRIM_400000_NS6detail17trampoline_kernelINS0_14default_configENS1_38merge_sort_block_merge_config_selectorIsNS0_10empty_typeEEEZZNS1_27merge_sort_block_merge_implIS3_N6thrust23THRUST_200600_302600_NS6detail15normal_iteratorINS9_10device_ptrIsEEEEPS5_m9comp_mod3IsEEE10hipError_tT0_T1_T2_jT3_P12ihipStream_tbPNSt15iterator_traitsISJ_E10value_typeEPNSP_ISK_E10value_typeEPSL_NS1_7vsmem_tEENKUlT_SJ_SK_SL_E_clISE_PsSF_SF_EESI_SY_SJ_SK_SL_EUlSY_E0_NS1_11comp_targetILNS1_3genE3ELNS1_11target_archE908ELNS1_3gpuE7ELNS1_3repE0EEENS1_38merge_mergepath_config_static_selectorELNS0_4arch9wavefront6targetE0EEEvSK_.num_vgpr, 0
	.set _ZN7rocprim17ROCPRIM_400000_NS6detail17trampoline_kernelINS0_14default_configENS1_38merge_sort_block_merge_config_selectorIsNS0_10empty_typeEEEZZNS1_27merge_sort_block_merge_implIS3_N6thrust23THRUST_200600_302600_NS6detail15normal_iteratorINS9_10device_ptrIsEEEEPS5_m9comp_mod3IsEEE10hipError_tT0_T1_T2_jT3_P12ihipStream_tbPNSt15iterator_traitsISJ_E10value_typeEPNSP_ISK_E10value_typeEPSL_NS1_7vsmem_tEENKUlT_SJ_SK_SL_E_clISE_PsSF_SF_EESI_SY_SJ_SK_SL_EUlSY_E0_NS1_11comp_targetILNS1_3genE3ELNS1_11target_archE908ELNS1_3gpuE7ELNS1_3repE0EEENS1_38merge_mergepath_config_static_selectorELNS0_4arch9wavefront6targetE0EEEvSK_.num_agpr, 0
	.set _ZN7rocprim17ROCPRIM_400000_NS6detail17trampoline_kernelINS0_14default_configENS1_38merge_sort_block_merge_config_selectorIsNS0_10empty_typeEEEZZNS1_27merge_sort_block_merge_implIS3_N6thrust23THRUST_200600_302600_NS6detail15normal_iteratorINS9_10device_ptrIsEEEEPS5_m9comp_mod3IsEEE10hipError_tT0_T1_T2_jT3_P12ihipStream_tbPNSt15iterator_traitsISJ_E10value_typeEPNSP_ISK_E10value_typeEPSL_NS1_7vsmem_tEENKUlT_SJ_SK_SL_E_clISE_PsSF_SF_EESI_SY_SJ_SK_SL_EUlSY_E0_NS1_11comp_targetILNS1_3genE3ELNS1_11target_archE908ELNS1_3gpuE7ELNS1_3repE0EEENS1_38merge_mergepath_config_static_selectorELNS0_4arch9wavefront6targetE0EEEvSK_.numbered_sgpr, 0
	.set _ZN7rocprim17ROCPRIM_400000_NS6detail17trampoline_kernelINS0_14default_configENS1_38merge_sort_block_merge_config_selectorIsNS0_10empty_typeEEEZZNS1_27merge_sort_block_merge_implIS3_N6thrust23THRUST_200600_302600_NS6detail15normal_iteratorINS9_10device_ptrIsEEEEPS5_m9comp_mod3IsEEE10hipError_tT0_T1_T2_jT3_P12ihipStream_tbPNSt15iterator_traitsISJ_E10value_typeEPNSP_ISK_E10value_typeEPSL_NS1_7vsmem_tEENKUlT_SJ_SK_SL_E_clISE_PsSF_SF_EESI_SY_SJ_SK_SL_EUlSY_E0_NS1_11comp_targetILNS1_3genE3ELNS1_11target_archE908ELNS1_3gpuE7ELNS1_3repE0EEENS1_38merge_mergepath_config_static_selectorELNS0_4arch9wavefront6targetE0EEEvSK_.num_named_barrier, 0
	.set _ZN7rocprim17ROCPRIM_400000_NS6detail17trampoline_kernelINS0_14default_configENS1_38merge_sort_block_merge_config_selectorIsNS0_10empty_typeEEEZZNS1_27merge_sort_block_merge_implIS3_N6thrust23THRUST_200600_302600_NS6detail15normal_iteratorINS9_10device_ptrIsEEEEPS5_m9comp_mod3IsEEE10hipError_tT0_T1_T2_jT3_P12ihipStream_tbPNSt15iterator_traitsISJ_E10value_typeEPNSP_ISK_E10value_typeEPSL_NS1_7vsmem_tEENKUlT_SJ_SK_SL_E_clISE_PsSF_SF_EESI_SY_SJ_SK_SL_EUlSY_E0_NS1_11comp_targetILNS1_3genE3ELNS1_11target_archE908ELNS1_3gpuE7ELNS1_3repE0EEENS1_38merge_mergepath_config_static_selectorELNS0_4arch9wavefront6targetE0EEEvSK_.private_seg_size, 0
	.set _ZN7rocprim17ROCPRIM_400000_NS6detail17trampoline_kernelINS0_14default_configENS1_38merge_sort_block_merge_config_selectorIsNS0_10empty_typeEEEZZNS1_27merge_sort_block_merge_implIS3_N6thrust23THRUST_200600_302600_NS6detail15normal_iteratorINS9_10device_ptrIsEEEEPS5_m9comp_mod3IsEEE10hipError_tT0_T1_T2_jT3_P12ihipStream_tbPNSt15iterator_traitsISJ_E10value_typeEPNSP_ISK_E10value_typeEPSL_NS1_7vsmem_tEENKUlT_SJ_SK_SL_E_clISE_PsSF_SF_EESI_SY_SJ_SK_SL_EUlSY_E0_NS1_11comp_targetILNS1_3genE3ELNS1_11target_archE908ELNS1_3gpuE7ELNS1_3repE0EEENS1_38merge_mergepath_config_static_selectorELNS0_4arch9wavefront6targetE0EEEvSK_.uses_vcc, 0
	.set _ZN7rocprim17ROCPRIM_400000_NS6detail17trampoline_kernelINS0_14default_configENS1_38merge_sort_block_merge_config_selectorIsNS0_10empty_typeEEEZZNS1_27merge_sort_block_merge_implIS3_N6thrust23THRUST_200600_302600_NS6detail15normal_iteratorINS9_10device_ptrIsEEEEPS5_m9comp_mod3IsEEE10hipError_tT0_T1_T2_jT3_P12ihipStream_tbPNSt15iterator_traitsISJ_E10value_typeEPNSP_ISK_E10value_typeEPSL_NS1_7vsmem_tEENKUlT_SJ_SK_SL_E_clISE_PsSF_SF_EESI_SY_SJ_SK_SL_EUlSY_E0_NS1_11comp_targetILNS1_3genE3ELNS1_11target_archE908ELNS1_3gpuE7ELNS1_3repE0EEENS1_38merge_mergepath_config_static_selectorELNS0_4arch9wavefront6targetE0EEEvSK_.uses_flat_scratch, 0
	.set _ZN7rocprim17ROCPRIM_400000_NS6detail17trampoline_kernelINS0_14default_configENS1_38merge_sort_block_merge_config_selectorIsNS0_10empty_typeEEEZZNS1_27merge_sort_block_merge_implIS3_N6thrust23THRUST_200600_302600_NS6detail15normal_iteratorINS9_10device_ptrIsEEEEPS5_m9comp_mod3IsEEE10hipError_tT0_T1_T2_jT3_P12ihipStream_tbPNSt15iterator_traitsISJ_E10value_typeEPNSP_ISK_E10value_typeEPSL_NS1_7vsmem_tEENKUlT_SJ_SK_SL_E_clISE_PsSF_SF_EESI_SY_SJ_SK_SL_EUlSY_E0_NS1_11comp_targetILNS1_3genE3ELNS1_11target_archE908ELNS1_3gpuE7ELNS1_3repE0EEENS1_38merge_mergepath_config_static_selectorELNS0_4arch9wavefront6targetE0EEEvSK_.has_dyn_sized_stack, 0
	.set _ZN7rocprim17ROCPRIM_400000_NS6detail17trampoline_kernelINS0_14default_configENS1_38merge_sort_block_merge_config_selectorIsNS0_10empty_typeEEEZZNS1_27merge_sort_block_merge_implIS3_N6thrust23THRUST_200600_302600_NS6detail15normal_iteratorINS9_10device_ptrIsEEEEPS5_m9comp_mod3IsEEE10hipError_tT0_T1_T2_jT3_P12ihipStream_tbPNSt15iterator_traitsISJ_E10value_typeEPNSP_ISK_E10value_typeEPSL_NS1_7vsmem_tEENKUlT_SJ_SK_SL_E_clISE_PsSF_SF_EESI_SY_SJ_SK_SL_EUlSY_E0_NS1_11comp_targetILNS1_3genE3ELNS1_11target_archE908ELNS1_3gpuE7ELNS1_3repE0EEENS1_38merge_mergepath_config_static_selectorELNS0_4arch9wavefront6targetE0EEEvSK_.has_recursion, 0
	.set _ZN7rocprim17ROCPRIM_400000_NS6detail17trampoline_kernelINS0_14default_configENS1_38merge_sort_block_merge_config_selectorIsNS0_10empty_typeEEEZZNS1_27merge_sort_block_merge_implIS3_N6thrust23THRUST_200600_302600_NS6detail15normal_iteratorINS9_10device_ptrIsEEEEPS5_m9comp_mod3IsEEE10hipError_tT0_T1_T2_jT3_P12ihipStream_tbPNSt15iterator_traitsISJ_E10value_typeEPNSP_ISK_E10value_typeEPSL_NS1_7vsmem_tEENKUlT_SJ_SK_SL_E_clISE_PsSF_SF_EESI_SY_SJ_SK_SL_EUlSY_E0_NS1_11comp_targetILNS1_3genE3ELNS1_11target_archE908ELNS1_3gpuE7ELNS1_3repE0EEENS1_38merge_mergepath_config_static_selectorELNS0_4arch9wavefront6targetE0EEEvSK_.has_indirect_call, 0
	.section	.AMDGPU.csdata,"",@progbits
; Kernel info:
; codeLenInByte = 0
; TotalNumSgprs: 0
; NumVgprs: 0
; ScratchSize: 0
; MemoryBound: 0
; FloatMode: 240
; IeeeMode: 1
; LDSByteSize: 0 bytes/workgroup (compile time only)
; SGPRBlocks: 0
; VGPRBlocks: 0
; NumSGPRsForWavesPerEU: 1
; NumVGPRsForWavesPerEU: 1
; Occupancy: 16
; WaveLimiterHint : 0
; COMPUTE_PGM_RSRC2:SCRATCH_EN: 0
; COMPUTE_PGM_RSRC2:USER_SGPR: 6
; COMPUTE_PGM_RSRC2:TRAP_HANDLER: 0
; COMPUTE_PGM_RSRC2:TGID_X_EN: 1
; COMPUTE_PGM_RSRC2:TGID_Y_EN: 0
; COMPUTE_PGM_RSRC2:TGID_Z_EN: 0
; COMPUTE_PGM_RSRC2:TIDIG_COMP_CNT: 0
	.section	.text._ZN7rocprim17ROCPRIM_400000_NS6detail17trampoline_kernelINS0_14default_configENS1_38merge_sort_block_merge_config_selectorIsNS0_10empty_typeEEEZZNS1_27merge_sort_block_merge_implIS3_N6thrust23THRUST_200600_302600_NS6detail15normal_iteratorINS9_10device_ptrIsEEEEPS5_m9comp_mod3IsEEE10hipError_tT0_T1_T2_jT3_P12ihipStream_tbPNSt15iterator_traitsISJ_E10value_typeEPNSP_ISK_E10value_typeEPSL_NS1_7vsmem_tEENKUlT_SJ_SK_SL_E_clISE_PsSF_SF_EESI_SY_SJ_SK_SL_EUlSY_E0_NS1_11comp_targetILNS1_3genE2ELNS1_11target_archE906ELNS1_3gpuE6ELNS1_3repE0EEENS1_38merge_mergepath_config_static_selectorELNS0_4arch9wavefront6targetE0EEEvSK_,"axG",@progbits,_ZN7rocprim17ROCPRIM_400000_NS6detail17trampoline_kernelINS0_14default_configENS1_38merge_sort_block_merge_config_selectorIsNS0_10empty_typeEEEZZNS1_27merge_sort_block_merge_implIS3_N6thrust23THRUST_200600_302600_NS6detail15normal_iteratorINS9_10device_ptrIsEEEEPS5_m9comp_mod3IsEEE10hipError_tT0_T1_T2_jT3_P12ihipStream_tbPNSt15iterator_traitsISJ_E10value_typeEPNSP_ISK_E10value_typeEPSL_NS1_7vsmem_tEENKUlT_SJ_SK_SL_E_clISE_PsSF_SF_EESI_SY_SJ_SK_SL_EUlSY_E0_NS1_11comp_targetILNS1_3genE2ELNS1_11target_archE906ELNS1_3gpuE6ELNS1_3repE0EEENS1_38merge_mergepath_config_static_selectorELNS0_4arch9wavefront6targetE0EEEvSK_,comdat
	.protected	_ZN7rocprim17ROCPRIM_400000_NS6detail17trampoline_kernelINS0_14default_configENS1_38merge_sort_block_merge_config_selectorIsNS0_10empty_typeEEEZZNS1_27merge_sort_block_merge_implIS3_N6thrust23THRUST_200600_302600_NS6detail15normal_iteratorINS9_10device_ptrIsEEEEPS5_m9comp_mod3IsEEE10hipError_tT0_T1_T2_jT3_P12ihipStream_tbPNSt15iterator_traitsISJ_E10value_typeEPNSP_ISK_E10value_typeEPSL_NS1_7vsmem_tEENKUlT_SJ_SK_SL_E_clISE_PsSF_SF_EESI_SY_SJ_SK_SL_EUlSY_E0_NS1_11comp_targetILNS1_3genE2ELNS1_11target_archE906ELNS1_3gpuE6ELNS1_3repE0EEENS1_38merge_mergepath_config_static_selectorELNS0_4arch9wavefront6targetE0EEEvSK_ ; -- Begin function _ZN7rocprim17ROCPRIM_400000_NS6detail17trampoline_kernelINS0_14default_configENS1_38merge_sort_block_merge_config_selectorIsNS0_10empty_typeEEEZZNS1_27merge_sort_block_merge_implIS3_N6thrust23THRUST_200600_302600_NS6detail15normal_iteratorINS9_10device_ptrIsEEEEPS5_m9comp_mod3IsEEE10hipError_tT0_T1_T2_jT3_P12ihipStream_tbPNSt15iterator_traitsISJ_E10value_typeEPNSP_ISK_E10value_typeEPSL_NS1_7vsmem_tEENKUlT_SJ_SK_SL_E_clISE_PsSF_SF_EESI_SY_SJ_SK_SL_EUlSY_E0_NS1_11comp_targetILNS1_3genE2ELNS1_11target_archE906ELNS1_3gpuE6ELNS1_3repE0EEENS1_38merge_mergepath_config_static_selectorELNS0_4arch9wavefront6targetE0EEEvSK_
	.globl	_ZN7rocprim17ROCPRIM_400000_NS6detail17trampoline_kernelINS0_14default_configENS1_38merge_sort_block_merge_config_selectorIsNS0_10empty_typeEEEZZNS1_27merge_sort_block_merge_implIS3_N6thrust23THRUST_200600_302600_NS6detail15normal_iteratorINS9_10device_ptrIsEEEEPS5_m9comp_mod3IsEEE10hipError_tT0_T1_T2_jT3_P12ihipStream_tbPNSt15iterator_traitsISJ_E10value_typeEPNSP_ISK_E10value_typeEPSL_NS1_7vsmem_tEENKUlT_SJ_SK_SL_E_clISE_PsSF_SF_EESI_SY_SJ_SK_SL_EUlSY_E0_NS1_11comp_targetILNS1_3genE2ELNS1_11target_archE906ELNS1_3gpuE6ELNS1_3repE0EEENS1_38merge_mergepath_config_static_selectorELNS0_4arch9wavefront6targetE0EEEvSK_
	.p2align	8
	.type	_ZN7rocprim17ROCPRIM_400000_NS6detail17trampoline_kernelINS0_14default_configENS1_38merge_sort_block_merge_config_selectorIsNS0_10empty_typeEEEZZNS1_27merge_sort_block_merge_implIS3_N6thrust23THRUST_200600_302600_NS6detail15normal_iteratorINS9_10device_ptrIsEEEEPS5_m9comp_mod3IsEEE10hipError_tT0_T1_T2_jT3_P12ihipStream_tbPNSt15iterator_traitsISJ_E10value_typeEPNSP_ISK_E10value_typeEPSL_NS1_7vsmem_tEENKUlT_SJ_SK_SL_E_clISE_PsSF_SF_EESI_SY_SJ_SK_SL_EUlSY_E0_NS1_11comp_targetILNS1_3genE2ELNS1_11target_archE906ELNS1_3gpuE6ELNS1_3repE0EEENS1_38merge_mergepath_config_static_selectorELNS0_4arch9wavefront6targetE0EEEvSK_,@function
_ZN7rocprim17ROCPRIM_400000_NS6detail17trampoline_kernelINS0_14default_configENS1_38merge_sort_block_merge_config_selectorIsNS0_10empty_typeEEEZZNS1_27merge_sort_block_merge_implIS3_N6thrust23THRUST_200600_302600_NS6detail15normal_iteratorINS9_10device_ptrIsEEEEPS5_m9comp_mod3IsEEE10hipError_tT0_T1_T2_jT3_P12ihipStream_tbPNSt15iterator_traitsISJ_E10value_typeEPNSP_ISK_E10value_typeEPSL_NS1_7vsmem_tEENKUlT_SJ_SK_SL_E_clISE_PsSF_SF_EESI_SY_SJ_SK_SL_EUlSY_E0_NS1_11comp_targetILNS1_3genE2ELNS1_11target_archE906ELNS1_3gpuE6ELNS1_3repE0EEENS1_38merge_mergepath_config_static_selectorELNS0_4arch9wavefront6targetE0EEEvSK_: ; @_ZN7rocprim17ROCPRIM_400000_NS6detail17trampoline_kernelINS0_14default_configENS1_38merge_sort_block_merge_config_selectorIsNS0_10empty_typeEEEZZNS1_27merge_sort_block_merge_implIS3_N6thrust23THRUST_200600_302600_NS6detail15normal_iteratorINS9_10device_ptrIsEEEEPS5_m9comp_mod3IsEEE10hipError_tT0_T1_T2_jT3_P12ihipStream_tbPNSt15iterator_traitsISJ_E10value_typeEPNSP_ISK_E10value_typeEPSL_NS1_7vsmem_tEENKUlT_SJ_SK_SL_E_clISE_PsSF_SF_EESI_SY_SJ_SK_SL_EUlSY_E0_NS1_11comp_targetILNS1_3genE2ELNS1_11target_archE906ELNS1_3gpuE6ELNS1_3repE0EEENS1_38merge_mergepath_config_static_selectorELNS0_4arch9wavefront6targetE0EEEvSK_
; %bb.0:
	.section	.rodata,"a",@progbits
	.p2align	6, 0x0
	.amdhsa_kernel _ZN7rocprim17ROCPRIM_400000_NS6detail17trampoline_kernelINS0_14default_configENS1_38merge_sort_block_merge_config_selectorIsNS0_10empty_typeEEEZZNS1_27merge_sort_block_merge_implIS3_N6thrust23THRUST_200600_302600_NS6detail15normal_iteratorINS9_10device_ptrIsEEEEPS5_m9comp_mod3IsEEE10hipError_tT0_T1_T2_jT3_P12ihipStream_tbPNSt15iterator_traitsISJ_E10value_typeEPNSP_ISK_E10value_typeEPSL_NS1_7vsmem_tEENKUlT_SJ_SK_SL_E_clISE_PsSF_SF_EESI_SY_SJ_SK_SL_EUlSY_E0_NS1_11comp_targetILNS1_3genE2ELNS1_11target_archE906ELNS1_3gpuE6ELNS1_3repE0EEENS1_38merge_mergepath_config_static_selectorELNS0_4arch9wavefront6targetE0EEEvSK_
		.amdhsa_group_segment_fixed_size 0
		.amdhsa_private_segment_fixed_size 0
		.amdhsa_kernarg_size 80
		.amdhsa_user_sgpr_count 6
		.amdhsa_user_sgpr_private_segment_buffer 1
		.amdhsa_user_sgpr_dispatch_ptr 0
		.amdhsa_user_sgpr_queue_ptr 0
		.amdhsa_user_sgpr_kernarg_segment_ptr 1
		.amdhsa_user_sgpr_dispatch_id 0
		.amdhsa_user_sgpr_flat_scratch_init 0
		.amdhsa_user_sgpr_private_segment_size 0
		.amdhsa_wavefront_size32 1
		.amdhsa_uses_dynamic_stack 0
		.amdhsa_system_sgpr_private_segment_wavefront_offset 0
		.amdhsa_system_sgpr_workgroup_id_x 1
		.amdhsa_system_sgpr_workgroup_id_y 0
		.amdhsa_system_sgpr_workgroup_id_z 0
		.amdhsa_system_sgpr_workgroup_info 0
		.amdhsa_system_vgpr_workitem_id 0
		.amdhsa_next_free_vgpr 1
		.amdhsa_next_free_sgpr 1
		.amdhsa_reserve_vcc 0
		.amdhsa_reserve_flat_scratch 0
		.amdhsa_float_round_mode_32 0
		.amdhsa_float_round_mode_16_64 0
		.amdhsa_float_denorm_mode_32 3
		.amdhsa_float_denorm_mode_16_64 3
		.amdhsa_dx10_clamp 1
		.amdhsa_ieee_mode 1
		.amdhsa_fp16_overflow 0
		.amdhsa_workgroup_processor_mode 1
		.amdhsa_memory_ordered 1
		.amdhsa_forward_progress 1
		.amdhsa_shared_vgpr_count 0
		.amdhsa_exception_fp_ieee_invalid_op 0
		.amdhsa_exception_fp_denorm_src 0
		.amdhsa_exception_fp_ieee_div_zero 0
		.amdhsa_exception_fp_ieee_overflow 0
		.amdhsa_exception_fp_ieee_underflow 0
		.amdhsa_exception_fp_ieee_inexact 0
		.amdhsa_exception_int_div_zero 0
	.end_amdhsa_kernel
	.section	.text._ZN7rocprim17ROCPRIM_400000_NS6detail17trampoline_kernelINS0_14default_configENS1_38merge_sort_block_merge_config_selectorIsNS0_10empty_typeEEEZZNS1_27merge_sort_block_merge_implIS3_N6thrust23THRUST_200600_302600_NS6detail15normal_iteratorINS9_10device_ptrIsEEEEPS5_m9comp_mod3IsEEE10hipError_tT0_T1_T2_jT3_P12ihipStream_tbPNSt15iterator_traitsISJ_E10value_typeEPNSP_ISK_E10value_typeEPSL_NS1_7vsmem_tEENKUlT_SJ_SK_SL_E_clISE_PsSF_SF_EESI_SY_SJ_SK_SL_EUlSY_E0_NS1_11comp_targetILNS1_3genE2ELNS1_11target_archE906ELNS1_3gpuE6ELNS1_3repE0EEENS1_38merge_mergepath_config_static_selectorELNS0_4arch9wavefront6targetE0EEEvSK_,"axG",@progbits,_ZN7rocprim17ROCPRIM_400000_NS6detail17trampoline_kernelINS0_14default_configENS1_38merge_sort_block_merge_config_selectorIsNS0_10empty_typeEEEZZNS1_27merge_sort_block_merge_implIS3_N6thrust23THRUST_200600_302600_NS6detail15normal_iteratorINS9_10device_ptrIsEEEEPS5_m9comp_mod3IsEEE10hipError_tT0_T1_T2_jT3_P12ihipStream_tbPNSt15iterator_traitsISJ_E10value_typeEPNSP_ISK_E10value_typeEPSL_NS1_7vsmem_tEENKUlT_SJ_SK_SL_E_clISE_PsSF_SF_EESI_SY_SJ_SK_SL_EUlSY_E0_NS1_11comp_targetILNS1_3genE2ELNS1_11target_archE906ELNS1_3gpuE6ELNS1_3repE0EEENS1_38merge_mergepath_config_static_selectorELNS0_4arch9wavefront6targetE0EEEvSK_,comdat
.Lfunc_end1083:
	.size	_ZN7rocprim17ROCPRIM_400000_NS6detail17trampoline_kernelINS0_14default_configENS1_38merge_sort_block_merge_config_selectorIsNS0_10empty_typeEEEZZNS1_27merge_sort_block_merge_implIS3_N6thrust23THRUST_200600_302600_NS6detail15normal_iteratorINS9_10device_ptrIsEEEEPS5_m9comp_mod3IsEEE10hipError_tT0_T1_T2_jT3_P12ihipStream_tbPNSt15iterator_traitsISJ_E10value_typeEPNSP_ISK_E10value_typeEPSL_NS1_7vsmem_tEENKUlT_SJ_SK_SL_E_clISE_PsSF_SF_EESI_SY_SJ_SK_SL_EUlSY_E0_NS1_11comp_targetILNS1_3genE2ELNS1_11target_archE906ELNS1_3gpuE6ELNS1_3repE0EEENS1_38merge_mergepath_config_static_selectorELNS0_4arch9wavefront6targetE0EEEvSK_, .Lfunc_end1083-_ZN7rocprim17ROCPRIM_400000_NS6detail17trampoline_kernelINS0_14default_configENS1_38merge_sort_block_merge_config_selectorIsNS0_10empty_typeEEEZZNS1_27merge_sort_block_merge_implIS3_N6thrust23THRUST_200600_302600_NS6detail15normal_iteratorINS9_10device_ptrIsEEEEPS5_m9comp_mod3IsEEE10hipError_tT0_T1_T2_jT3_P12ihipStream_tbPNSt15iterator_traitsISJ_E10value_typeEPNSP_ISK_E10value_typeEPSL_NS1_7vsmem_tEENKUlT_SJ_SK_SL_E_clISE_PsSF_SF_EESI_SY_SJ_SK_SL_EUlSY_E0_NS1_11comp_targetILNS1_3genE2ELNS1_11target_archE906ELNS1_3gpuE6ELNS1_3repE0EEENS1_38merge_mergepath_config_static_selectorELNS0_4arch9wavefront6targetE0EEEvSK_
                                        ; -- End function
	.set _ZN7rocprim17ROCPRIM_400000_NS6detail17trampoline_kernelINS0_14default_configENS1_38merge_sort_block_merge_config_selectorIsNS0_10empty_typeEEEZZNS1_27merge_sort_block_merge_implIS3_N6thrust23THRUST_200600_302600_NS6detail15normal_iteratorINS9_10device_ptrIsEEEEPS5_m9comp_mod3IsEEE10hipError_tT0_T1_T2_jT3_P12ihipStream_tbPNSt15iterator_traitsISJ_E10value_typeEPNSP_ISK_E10value_typeEPSL_NS1_7vsmem_tEENKUlT_SJ_SK_SL_E_clISE_PsSF_SF_EESI_SY_SJ_SK_SL_EUlSY_E0_NS1_11comp_targetILNS1_3genE2ELNS1_11target_archE906ELNS1_3gpuE6ELNS1_3repE0EEENS1_38merge_mergepath_config_static_selectorELNS0_4arch9wavefront6targetE0EEEvSK_.num_vgpr, 0
	.set _ZN7rocprim17ROCPRIM_400000_NS6detail17trampoline_kernelINS0_14default_configENS1_38merge_sort_block_merge_config_selectorIsNS0_10empty_typeEEEZZNS1_27merge_sort_block_merge_implIS3_N6thrust23THRUST_200600_302600_NS6detail15normal_iteratorINS9_10device_ptrIsEEEEPS5_m9comp_mod3IsEEE10hipError_tT0_T1_T2_jT3_P12ihipStream_tbPNSt15iterator_traitsISJ_E10value_typeEPNSP_ISK_E10value_typeEPSL_NS1_7vsmem_tEENKUlT_SJ_SK_SL_E_clISE_PsSF_SF_EESI_SY_SJ_SK_SL_EUlSY_E0_NS1_11comp_targetILNS1_3genE2ELNS1_11target_archE906ELNS1_3gpuE6ELNS1_3repE0EEENS1_38merge_mergepath_config_static_selectorELNS0_4arch9wavefront6targetE0EEEvSK_.num_agpr, 0
	.set _ZN7rocprim17ROCPRIM_400000_NS6detail17trampoline_kernelINS0_14default_configENS1_38merge_sort_block_merge_config_selectorIsNS0_10empty_typeEEEZZNS1_27merge_sort_block_merge_implIS3_N6thrust23THRUST_200600_302600_NS6detail15normal_iteratorINS9_10device_ptrIsEEEEPS5_m9comp_mod3IsEEE10hipError_tT0_T1_T2_jT3_P12ihipStream_tbPNSt15iterator_traitsISJ_E10value_typeEPNSP_ISK_E10value_typeEPSL_NS1_7vsmem_tEENKUlT_SJ_SK_SL_E_clISE_PsSF_SF_EESI_SY_SJ_SK_SL_EUlSY_E0_NS1_11comp_targetILNS1_3genE2ELNS1_11target_archE906ELNS1_3gpuE6ELNS1_3repE0EEENS1_38merge_mergepath_config_static_selectorELNS0_4arch9wavefront6targetE0EEEvSK_.numbered_sgpr, 0
	.set _ZN7rocprim17ROCPRIM_400000_NS6detail17trampoline_kernelINS0_14default_configENS1_38merge_sort_block_merge_config_selectorIsNS0_10empty_typeEEEZZNS1_27merge_sort_block_merge_implIS3_N6thrust23THRUST_200600_302600_NS6detail15normal_iteratorINS9_10device_ptrIsEEEEPS5_m9comp_mod3IsEEE10hipError_tT0_T1_T2_jT3_P12ihipStream_tbPNSt15iterator_traitsISJ_E10value_typeEPNSP_ISK_E10value_typeEPSL_NS1_7vsmem_tEENKUlT_SJ_SK_SL_E_clISE_PsSF_SF_EESI_SY_SJ_SK_SL_EUlSY_E0_NS1_11comp_targetILNS1_3genE2ELNS1_11target_archE906ELNS1_3gpuE6ELNS1_3repE0EEENS1_38merge_mergepath_config_static_selectorELNS0_4arch9wavefront6targetE0EEEvSK_.num_named_barrier, 0
	.set _ZN7rocprim17ROCPRIM_400000_NS6detail17trampoline_kernelINS0_14default_configENS1_38merge_sort_block_merge_config_selectorIsNS0_10empty_typeEEEZZNS1_27merge_sort_block_merge_implIS3_N6thrust23THRUST_200600_302600_NS6detail15normal_iteratorINS9_10device_ptrIsEEEEPS5_m9comp_mod3IsEEE10hipError_tT0_T1_T2_jT3_P12ihipStream_tbPNSt15iterator_traitsISJ_E10value_typeEPNSP_ISK_E10value_typeEPSL_NS1_7vsmem_tEENKUlT_SJ_SK_SL_E_clISE_PsSF_SF_EESI_SY_SJ_SK_SL_EUlSY_E0_NS1_11comp_targetILNS1_3genE2ELNS1_11target_archE906ELNS1_3gpuE6ELNS1_3repE0EEENS1_38merge_mergepath_config_static_selectorELNS0_4arch9wavefront6targetE0EEEvSK_.private_seg_size, 0
	.set _ZN7rocprim17ROCPRIM_400000_NS6detail17trampoline_kernelINS0_14default_configENS1_38merge_sort_block_merge_config_selectorIsNS0_10empty_typeEEEZZNS1_27merge_sort_block_merge_implIS3_N6thrust23THRUST_200600_302600_NS6detail15normal_iteratorINS9_10device_ptrIsEEEEPS5_m9comp_mod3IsEEE10hipError_tT0_T1_T2_jT3_P12ihipStream_tbPNSt15iterator_traitsISJ_E10value_typeEPNSP_ISK_E10value_typeEPSL_NS1_7vsmem_tEENKUlT_SJ_SK_SL_E_clISE_PsSF_SF_EESI_SY_SJ_SK_SL_EUlSY_E0_NS1_11comp_targetILNS1_3genE2ELNS1_11target_archE906ELNS1_3gpuE6ELNS1_3repE0EEENS1_38merge_mergepath_config_static_selectorELNS0_4arch9wavefront6targetE0EEEvSK_.uses_vcc, 0
	.set _ZN7rocprim17ROCPRIM_400000_NS6detail17trampoline_kernelINS0_14default_configENS1_38merge_sort_block_merge_config_selectorIsNS0_10empty_typeEEEZZNS1_27merge_sort_block_merge_implIS3_N6thrust23THRUST_200600_302600_NS6detail15normal_iteratorINS9_10device_ptrIsEEEEPS5_m9comp_mod3IsEEE10hipError_tT0_T1_T2_jT3_P12ihipStream_tbPNSt15iterator_traitsISJ_E10value_typeEPNSP_ISK_E10value_typeEPSL_NS1_7vsmem_tEENKUlT_SJ_SK_SL_E_clISE_PsSF_SF_EESI_SY_SJ_SK_SL_EUlSY_E0_NS1_11comp_targetILNS1_3genE2ELNS1_11target_archE906ELNS1_3gpuE6ELNS1_3repE0EEENS1_38merge_mergepath_config_static_selectorELNS0_4arch9wavefront6targetE0EEEvSK_.uses_flat_scratch, 0
	.set _ZN7rocprim17ROCPRIM_400000_NS6detail17trampoline_kernelINS0_14default_configENS1_38merge_sort_block_merge_config_selectorIsNS0_10empty_typeEEEZZNS1_27merge_sort_block_merge_implIS3_N6thrust23THRUST_200600_302600_NS6detail15normal_iteratorINS9_10device_ptrIsEEEEPS5_m9comp_mod3IsEEE10hipError_tT0_T1_T2_jT3_P12ihipStream_tbPNSt15iterator_traitsISJ_E10value_typeEPNSP_ISK_E10value_typeEPSL_NS1_7vsmem_tEENKUlT_SJ_SK_SL_E_clISE_PsSF_SF_EESI_SY_SJ_SK_SL_EUlSY_E0_NS1_11comp_targetILNS1_3genE2ELNS1_11target_archE906ELNS1_3gpuE6ELNS1_3repE0EEENS1_38merge_mergepath_config_static_selectorELNS0_4arch9wavefront6targetE0EEEvSK_.has_dyn_sized_stack, 0
	.set _ZN7rocprim17ROCPRIM_400000_NS6detail17trampoline_kernelINS0_14default_configENS1_38merge_sort_block_merge_config_selectorIsNS0_10empty_typeEEEZZNS1_27merge_sort_block_merge_implIS3_N6thrust23THRUST_200600_302600_NS6detail15normal_iteratorINS9_10device_ptrIsEEEEPS5_m9comp_mod3IsEEE10hipError_tT0_T1_T2_jT3_P12ihipStream_tbPNSt15iterator_traitsISJ_E10value_typeEPNSP_ISK_E10value_typeEPSL_NS1_7vsmem_tEENKUlT_SJ_SK_SL_E_clISE_PsSF_SF_EESI_SY_SJ_SK_SL_EUlSY_E0_NS1_11comp_targetILNS1_3genE2ELNS1_11target_archE906ELNS1_3gpuE6ELNS1_3repE0EEENS1_38merge_mergepath_config_static_selectorELNS0_4arch9wavefront6targetE0EEEvSK_.has_recursion, 0
	.set _ZN7rocprim17ROCPRIM_400000_NS6detail17trampoline_kernelINS0_14default_configENS1_38merge_sort_block_merge_config_selectorIsNS0_10empty_typeEEEZZNS1_27merge_sort_block_merge_implIS3_N6thrust23THRUST_200600_302600_NS6detail15normal_iteratorINS9_10device_ptrIsEEEEPS5_m9comp_mod3IsEEE10hipError_tT0_T1_T2_jT3_P12ihipStream_tbPNSt15iterator_traitsISJ_E10value_typeEPNSP_ISK_E10value_typeEPSL_NS1_7vsmem_tEENKUlT_SJ_SK_SL_E_clISE_PsSF_SF_EESI_SY_SJ_SK_SL_EUlSY_E0_NS1_11comp_targetILNS1_3genE2ELNS1_11target_archE906ELNS1_3gpuE6ELNS1_3repE0EEENS1_38merge_mergepath_config_static_selectorELNS0_4arch9wavefront6targetE0EEEvSK_.has_indirect_call, 0
	.section	.AMDGPU.csdata,"",@progbits
; Kernel info:
; codeLenInByte = 0
; TotalNumSgprs: 0
; NumVgprs: 0
; ScratchSize: 0
; MemoryBound: 0
; FloatMode: 240
; IeeeMode: 1
; LDSByteSize: 0 bytes/workgroup (compile time only)
; SGPRBlocks: 0
; VGPRBlocks: 0
; NumSGPRsForWavesPerEU: 1
; NumVGPRsForWavesPerEU: 1
; Occupancy: 16
; WaveLimiterHint : 0
; COMPUTE_PGM_RSRC2:SCRATCH_EN: 0
; COMPUTE_PGM_RSRC2:USER_SGPR: 6
; COMPUTE_PGM_RSRC2:TRAP_HANDLER: 0
; COMPUTE_PGM_RSRC2:TGID_X_EN: 1
; COMPUTE_PGM_RSRC2:TGID_Y_EN: 0
; COMPUTE_PGM_RSRC2:TGID_Z_EN: 0
; COMPUTE_PGM_RSRC2:TIDIG_COMP_CNT: 0
	.section	.text._ZN7rocprim17ROCPRIM_400000_NS6detail17trampoline_kernelINS0_14default_configENS1_38merge_sort_block_merge_config_selectorIsNS0_10empty_typeEEEZZNS1_27merge_sort_block_merge_implIS3_N6thrust23THRUST_200600_302600_NS6detail15normal_iteratorINS9_10device_ptrIsEEEEPS5_m9comp_mod3IsEEE10hipError_tT0_T1_T2_jT3_P12ihipStream_tbPNSt15iterator_traitsISJ_E10value_typeEPNSP_ISK_E10value_typeEPSL_NS1_7vsmem_tEENKUlT_SJ_SK_SL_E_clISE_PsSF_SF_EESI_SY_SJ_SK_SL_EUlSY_E0_NS1_11comp_targetILNS1_3genE9ELNS1_11target_archE1100ELNS1_3gpuE3ELNS1_3repE0EEENS1_38merge_mergepath_config_static_selectorELNS0_4arch9wavefront6targetE0EEEvSK_,"axG",@progbits,_ZN7rocprim17ROCPRIM_400000_NS6detail17trampoline_kernelINS0_14default_configENS1_38merge_sort_block_merge_config_selectorIsNS0_10empty_typeEEEZZNS1_27merge_sort_block_merge_implIS3_N6thrust23THRUST_200600_302600_NS6detail15normal_iteratorINS9_10device_ptrIsEEEEPS5_m9comp_mod3IsEEE10hipError_tT0_T1_T2_jT3_P12ihipStream_tbPNSt15iterator_traitsISJ_E10value_typeEPNSP_ISK_E10value_typeEPSL_NS1_7vsmem_tEENKUlT_SJ_SK_SL_E_clISE_PsSF_SF_EESI_SY_SJ_SK_SL_EUlSY_E0_NS1_11comp_targetILNS1_3genE9ELNS1_11target_archE1100ELNS1_3gpuE3ELNS1_3repE0EEENS1_38merge_mergepath_config_static_selectorELNS0_4arch9wavefront6targetE0EEEvSK_,comdat
	.protected	_ZN7rocprim17ROCPRIM_400000_NS6detail17trampoline_kernelINS0_14default_configENS1_38merge_sort_block_merge_config_selectorIsNS0_10empty_typeEEEZZNS1_27merge_sort_block_merge_implIS3_N6thrust23THRUST_200600_302600_NS6detail15normal_iteratorINS9_10device_ptrIsEEEEPS5_m9comp_mod3IsEEE10hipError_tT0_T1_T2_jT3_P12ihipStream_tbPNSt15iterator_traitsISJ_E10value_typeEPNSP_ISK_E10value_typeEPSL_NS1_7vsmem_tEENKUlT_SJ_SK_SL_E_clISE_PsSF_SF_EESI_SY_SJ_SK_SL_EUlSY_E0_NS1_11comp_targetILNS1_3genE9ELNS1_11target_archE1100ELNS1_3gpuE3ELNS1_3repE0EEENS1_38merge_mergepath_config_static_selectorELNS0_4arch9wavefront6targetE0EEEvSK_ ; -- Begin function _ZN7rocprim17ROCPRIM_400000_NS6detail17trampoline_kernelINS0_14default_configENS1_38merge_sort_block_merge_config_selectorIsNS0_10empty_typeEEEZZNS1_27merge_sort_block_merge_implIS3_N6thrust23THRUST_200600_302600_NS6detail15normal_iteratorINS9_10device_ptrIsEEEEPS5_m9comp_mod3IsEEE10hipError_tT0_T1_T2_jT3_P12ihipStream_tbPNSt15iterator_traitsISJ_E10value_typeEPNSP_ISK_E10value_typeEPSL_NS1_7vsmem_tEENKUlT_SJ_SK_SL_E_clISE_PsSF_SF_EESI_SY_SJ_SK_SL_EUlSY_E0_NS1_11comp_targetILNS1_3genE9ELNS1_11target_archE1100ELNS1_3gpuE3ELNS1_3repE0EEENS1_38merge_mergepath_config_static_selectorELNS0_4arch9wavefront6targetE0EEEvSK_
	.globl	_ZN7rocprim17ROCPRIM_400000_NS6detail17trampoline_kernelINS0_14default_configENS1_38merge_sort_block_merge_config_selectorIsNS0_10empty_typeEEEZZNS1_27merge_sort_block_merge_implIS3_N6thrust23THRUST_200600_302600_NS6detail15normal_iteratorINS9_10device_ptrIsEEEEPS5_m9comp_mod3IsEEE10hipError_tT0_T1_T2_jT3_P12ihipStream_tbPNSt15iterator_traitsISJ_E10value_typeEPNSP_ISK_E10value_typeEPSL_NS1_7vsmem_tEENKUlT_SJ_SK_SL_E_clISE_PsSF_SF_EESI_SY_SJ_SK_SL_EUlSY_E0_NS1_11comp_targetILNS1_3genE9ELNS1_11target_archE1100ELNS1_3gpuE3ELNS1_3repE0EEENS1_38merge_mergepath_config_static_selectorELNS0_4arch9wavefront6targetE0EEEvSK_
	.p2align	8
	.type	_ZN7rocprim17ROCPRIM_400000_NS6detail17trampoline_kernelINS0_14default_configENS1_38merge_sort_block_merge_config_selectorIsNS0_10empty_typeEEEZZNS1_27merge_sort_block_merge_implIS3_N6thrust23THRUST_200600_302600_NS6detail15normal_iteratorINS9_10device_ptrIsEEEEPS5_m9comp_mod3IsEEE10hipError_tT0_T1_T2_jT3_P12ihipStream_tbPNSt15iterator_traitsISJ_E10value_typeEPNSP_ISK_E10value_typeEPSL_NS1_7vsmem_tEENKUlT_SJ_SK_SL_E_clISE_PsSF_SF_EESI_SY_SJ_SK_SL_EUlSY_E0_NS1_11comp_targetILNS1_3genE9ELNS1_11target_archE1100ELNS1_3gpuE3ELNS1_3repE0EEENS1_38merge_mergepath_config_static_selectorELNS0_4arch9wavefront6targetE0EEEvSK_,@function
_ZN7rocprim17ROCPRIM_400000_NS6detail17trampoline_kernelINS0_14default_configENS1_38merge_sort_block_merge_config_selectorIsNS0_10empty_typeEEEZZNS1_27merge_sort_block_merge_implIS3_N6thrust23THRUST_200600_302600_NS6detail15normal_iteratorINS9_10device_ptrIsEEEEPS5_m9comp_mod3IsEEE10hipError_tT0_T1_T2_jT3_P12ihipStream_tbPNSt15iterator_traitsISJ_E10value_typeEPNSP_ISK_E10value_typeEPSL_NS1_7vsmem_tEENKUlT_SJ_SK_SL_E_clISE_PsSF_SF_EESI_SY_SJ_SK_SL_EUlSY_E0_NS1_11comp_targetILNS1_3genE9ELNS1_11target_archE1100ELNS1_3gpuE3ELNS1_3repE0EEENS1_38merge_mergepath_config_static_selectorELNS0_4arch9wavefront6targetE0EEEvSK_: ; @_ZN7rocprim17ROCPRIM_400000_NS6detail17trampoline_kernelINS0_14default_configENS1_38merge_sort_block_merge_config_selectorIsNS0_10empty_typeEEEZZNS1_27merge_sort_block_merge_implIS3_N6thrust23THRUST_200600_302600_NS6detail15normal_iteratorINS9_10device_ptrIsEEEEPS5_m9comp_mod3IsEEE10hipError_tT0_T1_T2_jT3_P12ihipStream_tbPNSt15iterator_traitsISJ_E10value_typeEPNSP_ISK_E10value_typeEPSL_NS1_7vsmem_tEENKUlT_SJ_SK_SL_E_clISE_PsSF_SF_EESI_SY_SJ_SK_SL_EUlSY_E0_NS1_11comp_targetILNS1_3genE9ELNS1_11target_archE1100ELNS1_3gpuE3ELNS1_3repE0EEENS1_38merge_mergepath_config_static_selectorELNS0_4arch9wavefront6targetE0EEEvSK_
; %bb.0:
	.section	.rodata,"a",@progbits
	.p2align	6, 0x0
	.amdhsa_kernel _ZN7rocprim17ROCPRIM_400000_NS6detail17trampoline_kernelINS0_14default_configENS1_38merge_sort_block_merge_config_selectorIsNS0_10empty_typeEEEZZNS1_27merge_sort_block_merge_implIS3_N6thrust23THRUST_200600_302600_NS6detail15normal_iteratorINS9_10device_ptrIsEEEEPS5_m9comp_mod3IsEEE10hipError_tT0_T1_T2_jT3_P12ihipStream_tbPNSt15iterator_traitsISJ_E10value_typeEPNSP_ISK_E10value_typeEPSL_NS1_7vsmem_tEENKUlT_SJ_SK_SL_E_clISE_PsSF_SF_EESI_SY_SJ_SK_SL_EUlSY_E0_NS1_11comp_targetILNS1_3genE9ELNS1_11target_archE1100ELNS1_3gpuE3ELNS1_3repE0EEENS1_38merge_mergepath_config_static_selectorELNS0_4arch9wavefront6targetE0EEEvSK_
		.amdhsa_group_segment_fixed_size 0
		.amdhsa_private_segment_fixed_size 0
		.amdhsa_kernarg_size 80
		.amdhsa_user_sgpr_count 6
		.amdhsa_user_sgpr_private_segment_buffer 1
		.amdhsa_user_sgpr_dispatch_ptr 0
		.amdhsa_user_sgpr_queue_ptr 0
		.amdhsa_user_sgpr_kernarg_segment_ptr 1
		.amdhsa_user_sgpr_dispatch_id 0
		.amdhsa_user_sgpr_flat_scratch_init 0
		.amdhsa_user_sgpr_private_segment_size 0
		.amdhsa_wavefront_size32 1
		.amdhsa_uses_dynamic_stack 0
		.amdhsa_system_sgpr_private_segment_wavefront_offset 0
		.amdhsa_system_sgpr_workgroup_id_x 1
		.amdhsa_system_sgpr_workgroup_id_y 0
		.amdhsa_system_sgpr_workgroup_id_z 0
		.amdhsa_system_sgpr_workgroup_info 0
		.amdhsa_system_vgpr_workitem_id 0
		.amdhsa_next_free_vgpr 1
		.amdhsa_next_free_sgpr 1
		.amdhsa_reserve_vcc 0
		.amdhsa_reserve_flat_scratch 0
		.amdhsa_float_round_mode_32 0
		.amdhsa_float_round_mode_16_64 0
		.amdhsa_float_denorm_mode_32 3
		.amdhsa_float_denorm_mode_16_64 3
		.amdhsa_dx10_clamp 1
		.amdhsa_ieee_mode 1
		.amdhsa_fp16_overflow 0
		.amdhsa_workgroup_processor_mode 1
		.amdhsa_memory_ordered 1
		.amdhsa_forward_progress 1
		.amdhsa_shared_vgpr_count 0
		.amdhsa_exception_fp_ieee_invalid_op 0
		.amdhsa_exception_fp_denorm_src 0
		.amdhsa_exception_fp_ieee_div_zero 0
		.amdhsa_exception_fp_ieee_overflow 0
		.amdhsa_exception_fp_ieee_underflow 0
		.amdhsa_exception_fp_ieee_inexact 0
		.amdhsa_exception_int_div_zero 0
	.end_amdhsa_kernel
	.section	.text._ZN7rocprim17ROCPRIM_400000_NS6detail17trampoline_kernelINS0_14default_configENS1_38merge_sort_block_merge_config_selectorIsNS0_10empty_typeEEEZZNS1_27merge_sort_block_merge_implIS3_N6thrust23THRUST_200600_302600_NS6detail15normal_iteratorINS9_10device_ptrIsEEEEPS5_m9comp_mod3IsEEE10hipError_tT0_T1_T2_jT3_P12ihipStream_tbPNSt15iterator_traitsISJ_E10value_typeEPNSP_ISK_E10value_typeEPSL_NS1_7vsmem_tEENKUlT_SJ_SK_SL_E_clISE_PsSF_SF_EESI_SY_SJ_SK_SL_EUlSY_E0_NS1_11comp_targetILNS1_3genE9ELNS1_11target_archE1100ELNS1_3gpuE3ELNS1_3repE0EEENS1_38merge_mergepath_config_static_selectorELNS0_4arch9wavefront6targetE0EEEvSK_,"axG",@progbits,_ZN7rocprim17ROCPRIM_400000_NS6detail17trampoline_kernelINS0_14default_configENS1_38merge_sort_block_merge_config_selectorIsNS0_10empty_typeEEEZZNS1_27merge_sort_block_merge_implIS3_N6thrust23THRUST_200600_302600_NS6detail15normal_iteratorINS9_10device_ptrIsEEEEPS5_m9comp_mod3IsEEE10hipError_tT0_T1_T2_jT3_P12ihipStream_tbPNSt15iterator_traitsISJ_E10value_typeEPNSP_ISK_E10value_typeEPSL_NS1_7vsmem_tEENKUlT_SJ_SK_SL_E_clISE_PsSF_SF_EESI_SY_SJ_SK_SL_EUlSY_E0_NS1_11comp_targetILNS1_3genE9ELNS1_11target_archE1100ELNS1_3gpuE3ELNS1_3repE0EEENS1_38merge_mergepath_config_static_selectorELNS0_4arch9wavefront6targetE0EEEvSK_,comdat
.Lfunc_end1084:
	.size	_ZN7rocprim17ROCPRIM_400000_NS6detail17trampoline_kernelINS0_14default_configENS1_38merge_sort_block_merge_config_selectorIsNS0_10empty_typeEEEZZNS1_27merge_sort_block_merge_implIS3_N6thrust23THRUST_200600_302600_NS6detail15normal_iteratorINS9_10device_ptrIsEEEEPS5_m9comp_mod3IsEEE10hipError_tT0_T1_T2_jT3_P12ihipStream_tbPNSt15iterator_traitsISJ_E10value_typeEPNSP_ISK_E10value_typeEPSL_NS1_7vsmem_tEENKUlT_SJ_SK_SL_E_clISE_PsSF_SF_EESI_SY_SJ_SK_SL_EUlSY_E0_NS1_11comp_targetILNS1_3genE9ELNS1_11target_archE1100ELNS1_3gpuE3ELNS1_3repE0EEENS1_38merge_mergepath_config_static_selectorELNS0_4arch9wavefront6targetE0EEEvSK_, .Lfunc_end1084-_ZN7rocprim17ROCPRIM_400000_NS6detail17trampoline_kernelINS0_14default_configENS1_38merge_sort_block_merge_config_selectorIsNS0_10empty_typeEEEZZNS1_27merge_sort_block_merge_implIS3_N6thrust23THRUST_200600_302600_NS6detail15normal_iteratorINS9_10device_ptrIsEEEEPS5_m9comp_mod3IsEEE10hipError_tT0_T1_T2_jT3_P12ihipStream_tbPNSt15iterator_traitsISJ_E10value_typeEPNSP_ISK_E10value_typeEPSL_NS1_7vsmem_tEENKUlT_SJ_SK_SL_E_clISE_PsSF_SF_EESI_SY_SJ_SK_SL_EUlSY_E0_NS1_11comp_targetILNS1_3genE9ELNS1_11target_archE1100ELNS1_3gpuE3ELNS1_3repE0EEENS1_38merge_mergepath_config_static_selectorELNS0_4arch9wavefront6targetE0EEEvSK_
                                        ; -- End function
	.set _ZN7rocprim17ROCPRIM_400000_NS6detail17trampoline_kernelINS0_14default_configENS1_38merge_sort_block_merge_config_selectorIsNS0_10empty_typeEEEZZNS1_27merge_sort_block_merge_implIS3_N6thrust23THRUST_200600_302600_NS6detail15normal_iteratorINS9_10device_ptrIsEEEEPS5_m9comp_mod3IsEEE10hipError_tT0_T1_T2_jT3_P12ihipStream_tbPNSt15iterator_traitsISJ_E10value_typeEPNSP_ISK_E10value_typeEPSL_NS1_7vsmem_tEENKUlT_SJ_SK_SL_E_clISE_PsSF_SF_EESI_SY_SJ_SK_SL_EUlSY_E0_NS1_11comp_targetILNS1_3genE9ELNS1_11target_archE1100ELNS1_3gpuE3ELNS1_3repE0EEENS1_38merge_mergepath_config_static_selectorELNS0_4arch9wavefront6targetE0EEEvSK_.num_vgpr, 0
	.set _ZN7rocprim17ROCPRIM_400000_NS6detail17trampoline_kernelINS0_14default_configENS1_38merge_sort_block_merge_config_selectorIsNS0_10empty_typeEEEZZNS1_27merge_sort_block_merge_implIS3_N6thrust23THRUST_200600_302600_NS6detail15normal_iteratorINS9_10device_ptrIsEEEEPS5_m9comp_mod3IsEEE10hipError_tT0_T1_T2_jT3_P12ihipStream_tbPNSt15iterator_traitsISJ_E10value_typeEPNSP_ISK_E10value_typeEPSL_NS1_7vsmem_tEENKUlT_SJ_SK_SL_E_clISE_PsSF_SF_EESI_SY_SJ_SK_SL_EUlSY_E0_NS1_11comp_targetILNS1_3genE9ELNS1_11target_archE1100ELNS1_3gpuE3ELNS1_3repE0EEENS1_38merge_mergepath_config_static_selectorELNS0_4arch9wavefront6targetE0EEEvSK_.num_agpr, 0
	.set _ZN7rocprim17ROCPRIM_400000_NS6detail17trampoline_kernelINS0_14default_configENS1_38merge_sort_block_merge_config_selectorIsNS0_10empty_typeEEEZZNS1_27merge_sort_block_merge_implIS3_N6thrust23THRUST_200600_302600_NS6detail15normal_iteratorINS9_10device_ptrIsEEEEPS5_m9comp_mod3IsEEE10hipError_tT0_T1_T2_jT3_P12ihipStream_tbPNSt15iterator_traitsISJ_E10value_typeEPNSP_ISK_E10value_typeEPSL_NS1_7vsmem_tEENKUlT_SJ_SK_SL_E_clISE_PsSF_SF_EESI_SY_SJ_SK_SL_EUlSY_E0_NS1_11comp_targetILNS1_3genE9ELNS1_11target_archE1100ELNS1_3gpuE3ELNS1_3repE0EEENS1_38merge_mergepath_config_static_selectorELNS0_4arch9wavefront6targetE0EEEvSK_.numbered_sgpr, 0
	.set _ZN7rocprim17ROCPRIM_400000_NS6detail17trampoline_kernelINS0_14default_configENS1_38merge_sort_block_merge_config_selectorIsNS0_10empty_typeEEEZZNS1_27merge_sort_block_merge_implIS3_N6thrust23THRUST_200600_302600_NS6detail15normal_iteratorINS9_10device_ptrIsEEEEPS5_m9comp_mod3IsEEE10hipError_tT0_T1_T2_jT3_P12ihipStream_tbPNSt15iterator_traitsISJ_E10value_typeEPNSP_ISK_E10value_typeEPSL_NS1_7vsmem_tEENKUlT_SJ_SK_SL_E_clISE_PsSF_SF_EESI_SY_SJ_SK_SL_EUlSY_E0_NS1_11comp_targetILNS1_3genE9ELNS1_11target_archE1100ELNS1_3gpuE3ELNS1_3repE0EEENS1_38merge_mergepath_config_static_selectorELNS0_4arch9wavefront6targetE0EEEvSK_.num_named_barrier, 0
	.set _ZN7rocprim17ROCPRIM_400000_NS6detail17trampoline_kernelINS0_14default_configENS1_38merge_sort_block_merge_config_selectorIsNS0_10empty_typeEEEZZNS1_27merge_sort_block_merge_implIS3_N6thrust23THRUST_200600_302600_NS6detail15normal_iteratorINS9_10device_ptrIsEEEEPS5_m9comp_mod3IsEEE10hipError_tT0_T1_T2_jT3_P12ihipStream_tbPNSt15iterator_traitsISJ_E10value_typeEPNSP_ISK_E10value_typeEPSL_NS1_7vsmem_tEENKUlT_SJ_SK_SL_E_clISE_PsSF_SF_EESI_SY_SJ_SK_SL_EUlSY_E0_NS1_11comp_targetILNS1_3genE9ELNS1_11target_archE1100ELNS1_3gpuE3ELNS1_3repE0EEENS1_38merge_mergepath_config_static_selectorELNS0_4arch9wavefront6targetE0EEEvSK_.private_seg_size, 0
	.set _ZN7rocprim17ROCPRIM_400000_NS6detail17trampoline_kernelINS0_14default_configENS1_38merge_sort_block_merge_config_selectorIsNS0_10empty_typeEEEZZNS1_27merge_sort_block_merge_implIS3_N6thrust23THRUST_200600_302600_NS6detail15normal_iteratorINS9_10device_ptrIsEEEEPS5_m9comp_mod3IsEEE10hipError_tT0_T1_T2_jT3_P12ihipStream_tbPNSt15iterator_traitsISJ_E10value_typeEPNSP_ISK_E10value_typeEPSL_NS1_7vsmem_tEENKUlT_SJ_SK_SL_E_clISE_PsSF_SF_EESI_SY_SJ_SK_SL_EUlSY_E0_NS1_11comp_targetILNS1_3genE9ELNS1_11target_archE1100ELNS1_3gpuE3ELNS1_3repE0EEENS1_38merge_mergepath_config_static_selectorELNS0_4arch9wavefront6targetE0EEEvSK_.uses_vcc, 0
	.set _ZN7rocprim17ROCPRIM_400000_NS6detail17trampoline_kernelINS0_14default_configENS1_38merge_sort_block_merge_config_selectorIsNS0_10empty_typeEEEZZNS1_27merge_sort_block_merge_implIS3_N6thrust23THRUST_200600_302600_NS6detail15normal_iteratorINS9_10device_ptrIsEEEEPS5_m9comp_mod3IsEEE10hipError_tT0_T1_T2_jT3_P12ihipStream_tbPNSt15iterator_traitsISJ_E10value_typeEPNSP_ISK_E10value_typeEPSL_NS1_7vsmem_tEENKUlT_SJ_SK_SL_E_clISE_PsSF_SF_EESI_SY_SJ_SK_SL_EUlSY_E0_NS1_11comp_targetILNS1_3genE9ELNS1_11target_archE1100ELNS1_3gpuE3ELNS1_3repE0EEENS1_38merge_mergepath_config_static_selectorELNS0_4arch9wavefront6targetE0EEEvSK_.uses_flat_scratch, 0
	.set _ZN7rocprim17ROCPRIM_400000_NS6detail17trampoline_kernelINS0_14default_configENS1_38merge_sort_block_merge_config_selectorIsNS0_10empty_typeEEEZZNS1_27merge_sort_block_merge_implIS3_N6thrust23THRUST_200600_302600_NS6detail15normal_iteratorINS9_10device_ptrIsEEEEPS5_m9comp_mod3IsEEE10hipError_tT0_T1_T2_jT3_P12ihipStream_tbPNSt15iterator_traitsISJ_E10value_typeEPNSP_ISK_E10value_typeEPSL_NS1_7vsmem_tEENKUlT_SJ_SK_SL_E_clISE_PsSF_SF_EESI_SY_SJ_SK_SL_EUlSY_E0_NS1_11comp_targetILNS1_3genE9ELNS1_11target_archE1100ELNS1_3gpuE3ELNS1_3repE0EEENS1_38merge_mergepath_config_static_selectorELNS0_4arch9wavefront6targetE0EEEvSK_.has_dyn_sized_stack, 0
	.set _ZN7rocprim17ROCPRIM_400000_NS6detail17trampoline_kernelINS0_14default_configENS1_38merge_sort_block_merge_config_selectorIsNS0_10empty_typeEEEZZNS1_27merge_sort_block_merge_implIS3_N6thrust23THRUST_200600_302600_NS6detail15normal_iteratorINS9_10device_ptrIsEEEEPS5_m9comp_mod3IsEEE10hipError_tT0_T1_T2_jT3_P12ihipStream_tbPNSt15iterator_traitsISJ_E10value_typeEPNSP_ISK_E10value_typeEPSL_NS1_7vsmem_tEENKUlT_SJ_SK_SL_E_clISE_PsSF_SF_EESI_SY_SJ_SK_SL_EUlSY_E0_NS1_11comp_targetILNS1_3genE9ELNS1_11target_archE1100ELNS1_3gpuE3ELNS1_3repE0EEENS1_38merge_mergepath_config_static_selectorELNS0_4arch9wavefront6targetE0EEEvSK_.has_recursion, 0
	.set _ZN7rocprim17ROCPRIM_400000_NS6detail17trampoline_kernelINS0_14default_configENS1_38merge_sort_block_merge_config_selectorIsNS0_10empty_typeEEEZZNS1_27merge_sort_block_merge_implIS3_N6thrust23THRUST_200600_302600_NS6detail15normal_iteratorINS9_10device_ptrIsEEEEPS5_m9comp_mod3IsEEE10hipError_tT0_T1_T2_jT3_P12ihipStream_tbPNSt15iterator_traitsISJ_E10value_typeEPNSP_ISK_E10value_typeEPSL_NS1_7vsmem_tEENKUlT_SJ_SK_SL_E_clISE_PsSF_SF_EESI_SY_SJ_SK_SL_EUlSY_E0_NS1_11comp_targetILNS1_3genE9ELNS1_11target_archE1100ELNS1_3gpuE3ELNS1_3repE0EEENS1_38merge_mergepath_config_static_selectorELNS0_4arch9wavefront6targetE0EEEvSK_.has_indirect_call, 0
	.section	.AMDGPU.csdata,"",@progbits
; Kernel info:
; codeLenInByte = 0
; TotalNumSgprs: 0
; NumVgprs: 0
; ScratchSize: 0
; MemoryBound: 0
; FloatMode: 240
; IeeeMode: 1
; LDSByteSize: 0 bytes/workgroup (compile time only)
; SGPRBlocks: 0
; VGPRBlocks: 0
; NumSGPRsForWavesPerEU: 1
; NumVGPRsForWavesPerEU: 1
; Occupancy: 16
; WaveLimiterHint : 0
; COMPUTE_PGM_RSRC2:SCRATCH_EN: 0
; COMPUTE_PGM_RSRC2:USER_SGPR: 6
; COMPUTE_PGM_RSRC2:TRAP_HANDLER: 0
; COMPUTE_PGM_RSRC2:TGID_X_EN: 1
; COMPUTE_PGM_RSRC2:TGID_Y_EN: 0
; COMPUTE_PGM_RSRC2:TGID_Z_EN: 0
; COMPUTE_PGM_RSRC2:TIDIG_COMP_CNT: 0
	.section	.text._ZN7rocprim17ROCPRIM_400000_NS6detail17trampoline_kernelINS0_14default_configENS1_38merge_sort_block_merge_config_selectorIsNS0_10empty_typeEEEZZNS1_27merge_sort_block_merge_implIS3_N6thrust23THRUST_200600_302600_NS6detail15normal_iteratorINS9_10device_ptrIsEEEEPS5_m9comp_mod3IsEEE10hipError_tT0_T1_T2_jT3_P12ihipStream_tbPNSt15iterator_traitsISJ_E10value_typeEPNSP_ISK_E10value_typeEPSL_NS1_7vsmem_tEENKUlT_SJ_SK_SL_E_clISE_PsSF_SF_EESI_SY_SJ_SK_SL_EUlSY_E0_NS1_11comp_targetILNS1_3genE8ELNS1_11target_archE1030ELNS1_3gpuE2ELNS1_3repE0EEENS1_38merge_mergepath_config_static_selectorELNS0_4arch9wavefront6targetE0EEEvSK_,"axG",@progbits,_ZN7rocprim17ROCPRIM_400000_NS6detail17trampoline_kernelINS0_14default_configENS1_38merge_sort_block_merge_config_selectorIsNS0_10empty_typeEEEZZNS1_27merge_sort_block_merge_implIS3_N6thrust23THRUST_200600_302600_NS6detail15normal_iteratorINS9_10device_ptrIsEEEEPS5_m9comp_mod3IsEEE10hipError_tT0_T1_T2_jT3_P12ihipStream_tbPNSt15iterator_traitsISJ_E10value_typeEPNSP_ISK_E10value_typeEPSL_NS1_7vsmem_tEENKUlT_SJ_SK_SL_E_clISE_PsSF_SF_EESI_SY_SJ_SK_SL_EUlSY_E0_NS1_11comp_targetILNS1_3genE8ELNS1_11target_archE1030ELNS1_3gpuE2ELNS1_3repE0EEENS1_38merge_mergepath_config_static_selectorELNS0_4arch9wavefront6targetE0EEEvSK_,comdat
	.protected	_ZN7rocprim17ROCPRIM_400000_NS6detail17trampoline_kernelINS0_14default_configENS1_38merge_sort_block_merge_config_selectorIsNS0_10empty_typeEEEZZNS1_27merge_sort_block_merge_implIS3_N6thrust23THRUST_200600_302600_NS6detail15normal_iteratorINS9_10device_ptrIsEEEEPS5_m9comp_mod3IsEEE10hipError_tT0_T1_T2_jT3_P12ihipStream_tbPNSt15iterator_traitsISJ_E10value_typeEPNSP_ISK_E10value_typeEPSL_NS1_7vsmem_tEENKUlT_SJ_SK_SL_E_clISE_PsSF_SF_EESI_SY_SJ_SK_SL_EUlSY_E0_NS1_11comp_targetILNS1_3genE8ELNS1_11target_archE1030ELNS1_3gpuE2ELNS1_3repE0EEENS1_38merge_mergepath_config_static_selectorELNS0_4arch9wavefront6targetE0EEEvSK_ ; -- Begin function _ZN7rocprim17ROCPRIM_400000_NS6detail17trampoline_kernelINS0_14default_configENS1_38merge_sort_block_merge_config_selectorIsNS0_10empty_typeEEEZZNS1_27merge_sort_block_merge_implIS3_N6thrust23THRUST_200600_302600_NS6detail15normal_iteratorINS9_10device_ptrIsEEEEPS5_m9comp_mod3IsEEE10hipError_tT0_T1_T2_jT3_P12ihipStream_tbPNSt15iterator_traitsISJ_E10value_typeEPNSP_ISK_E10value_typeEPSL_NS1_7vsmem_tEENKUlT_SJ_SK_SL_E_clISE_PsSF_SF_EESI_SY_SJ_SK_SL_EUlSY_E0_NS1_11comp_targetILNS1_3genE8ELNS1_11target_archE1030ELNS1_3gpuE2ELNS1_3repE0EEENS1_38merge_mergepath_config_static_selectorELNS0_4arch9wavefront6targetE0EEEvSK_
	.globl	_ZN7rocprim17ROCPRIM_400000_NS6detail17trampoline_kernelINS0_14default_configENS1_38merge_sort_block_merge_config_selectorIsNS0_10empty_typeEEEZZNS1_27merge_sort_block_merge_implIS3_N6thrust23THRUST_200600_302600_NS6detail15normal_iteratorINS9_10device_ptrIsEEEEPS5_m9comp_mod3IsEEE10hipError_tT0_T1_T2_jT3_P12ihipStream_tbPNSt15iterator_traitsISJ_E10value_typeEPNSP_ISK_E10value_typeEPSL_NS1_7vsmem_tEENKUlT_SJ_SK_SL_E_clISE_PsSF_SF_EESI_SY_SJ_SK_SL_EUlSY_E0_NS1_11comp_targetILNS1_3genE8ELNS1_11target_archE1030ELNS1_3gpuE2ELNS1_3repE0EEENS1_38merge_mergepath_config_static_selectorELNS0_4arch9wavefront6targetE0EEEvSK_
	.p2align	8
	.type	_ZN7rocprim17ROCPRIM_400000_NS6detail17trampoline_kernelINS0_14default_configENS1_38merge_sort_block_merge_config_selectorIsNS0_10empty_typeEEEZZNS1_27merge_sort_block_merge_implIS3_N6thrust23THRUST_200600_302600_NS6detail15normal_iteratorINS9_10device_ptrIsEEEEPS5_m9comp_mod3IsEEE10hipError_tT0_T1_T2_jT3_P12ihipStream_tbPNSt15iterator_traitsISJ_E10value_typeEPNSP_ISK_E10value_typeEPSL_NS1_7vsmem_tEENKUlT_SJ_SK_SL_E_clISE_PsSF_SF_EESI_SY_SJ_SK_SL_EUlSY_E0_NS1_11comp_targetILNS1_3genE8ELNS1_11target_archE1030ELNS1_3gpuE2ELNS1_3repE0EEENS1_38merge_mergepath_config_static_selectorELNS0_4arch9wavefront6targetE0EEEvSK_,@function
_ZN7rocprim17ROCPRIM_400000_NS6detail17trampoline_kernelINS0_14default_configENS1_38merge_sort_block_merge_config_selectorIsNS0_10empty_typeEEEZZNS1_27merge_sort_block_merge_implIS3_N6thrust23THRUST_200600_302600_NS6detail15normal_iteratorINS9_10device_ptrIsEEEEPS5_m9comp_mod3IsEEE10hipError_tT0_T1_T2_jT3_P12ihipStream_tbPNSt15iterator_traitsISJ_E10value_typeEPNSP_ISK_E10value_typeEPSL_NS1_7vsmem_tEENKUlT_SJ_SK_SL_E_clISE_PsSF_SF_EESI_SY_SJ_SK_SL_EUlSY_E0_NS1_11comp_targetILNS1_3genE8ELNS1_11target_archE1030ELNS1_3gpuE2ELNS1_3repE0EEENS1_38merge_mergepath_config_static_selectorELNS0_4arch9wavefront6targetE0EEEvSK_: ; @_ZN7rocprim17ROCPRIM_400000_NS6detail17trampoline_kernelINS0_14default_configENS1_38merge_sort_block_merge_config_selectorIsNS0_10empty_typeEEEZZNS1_27merge_sort_block_merge_implIS3_N6thrust23THRUST_200600_302600_NS6detail15normal_iteratorINS9_10device_ptrIsEEEEPS5_m9comp_mod3IsEEE10hipError_tT0_T1_T2_jT3_P12ihipStream_tbPNSt15iterator_traitsISJ_E10value_typeEPNSP_ISK_E10value_typeEPSL_NS1_7vsmem_tEENKUlT_SJ_SK_SL_E_clISE_PsSF_SF_EESI_SY_SJ_SK_SL_EUlSY_E0_NS1_11comp_targetILNS1_3genE8ELNS1_11target_archE1030ELNS1_3gpuE2ELNS1_3repE0EEENS1_38merge_mergepath_config_static_selectorELNS0_4arch9wavefront6targetE0EEEvSK_
; %bb.0:
	s_clause 0x1
	s_load_dwordx2 s[22:23], s[4:5], 0x50
	s_load_dword s0, s[4:5], 0x38
	s_add_u32 s20, s4, 0x50
	s_addc_u32 s21, s5, 0
	s_waitcnt lgkmcnt(0)
	s_mul_i32 s1, s23, s8
	s_add_i32 s1, s1, s7
	s_mul_i32 s1, s1, s22
	s_add_i32 s18, s1, s6
	s_cmp_ge_u32 s18, s0
	s_cbranch_scc1 .LBB1085_75
; %bb.1:
	s_clause 0x1
	s_load_dwordx2 s[0:1], s[4:5], 0x48
	s_load_dwordx4 s[8:11], s[4:5], 0x28
	s_mov_b32 s19, 0
	s_lshl_b64 s[2:3], s[18:19], 3
	s_waitcnt lgkmcnt(0)
	s_add_u32 s0, s0, s2
	s_addc_u32 s1, s1, s3
	s_lshr_b64 s[12:13], s[10:11], 9
	s_load_dwordx4 s[0:3], s[0:1], 0x0
	s_and_b32 s7, s12, -2
	s_mov_b32 s13, s19
	s_sub_i32 s29, 0, s7
	s_lshl_b64 s[16:17], s[18:19], 10
	s_and_b32 s12, s18, s29
	s_lshl_b64 s[24:25], s[12:13], 10
	s_sub_u32 s23, s16, s24
	s_subb_u32 s30, s17, s25
	s_lshl_b64 s[26:27], s[12:13], 11
	s_load_dwordx4 s[12:15], s[4:5], 0x8
	s_add_u32 s7, s26, s10
	s_addc_u32 s28, s27, s11
	s_add_u32 s23, s7, s23
	s_addc_u32 s26, s28, s30
	s_waitcnt lgkmcnt(0)
	s_sub_u32 s27, s23, s2
	s_subb_u32 s3, s26, s3
	s_add_u32 s30, s27, 0x400
	s_addc_u32 s31, s3, 0
	v_cmp_lt_u64_e64 s3, s[8:9], s[30:31]
	s_and_b32 s3, s3, exec_lo
	s_cselect_b32 s27, s8, s30
	s_or_b32 s3, s18, s29
	s_cmp_lg_u32 s3, -1
	s_mov_b32 s3, -1
	s_cbranch_scc1 .LBB1085_3
; %bb.2:
	s_sub_u32 s24, s7, s24
	s_subb_u32 s25, s28, s25
	v_cmp_lt_u64_e64 s2, s[8:9], s[24:25]
	s_and_b32 s2, s2, exec_lo
	s_cselect_b32 s2, s8, s24
	s_add_u32 s10, s24, s10
	s_addc_u32 s11, s25, s11
	v_cmp_lt_u64_e64 s7, s[8:9], s[10:11]
	s_and_b32 s7, s7, exec_lo
	s_cselect_b32 s27, s8, s10
.LBB1085_3:
	s_lshr_b64 s[28:29], s[8:9], 10
	v_mov_b32_e32 v10, 0
	s_cmp_lg_u64 s[28:29], s[18:19]
	v_lshlrev_b32_e32 v11, 1, v0
	s_cselect_b32 s7, -1, 0
	s_sub_u32 s10, s23, s0
	s_subb_u32 s11, s26, s1
	global_load_dword v1, v10, s[20:21] offset:14
	v_cmp_lt_u64_e64 s23, s[8:9], s[10:11]
	s_and_b32 s23, s23, exec_lo
	s_cselect_b32 s30, s8, s10
	s_cselect_b32 s31, s9, s11
	s_sub_i32 s9, s2, s0
	s_lshl_b64 s[0:1], s[0:1], 1
	s_sub_i32 s10, s27, s30
	s_add_u32 s23, s12, s0
	s_addc_u32 s24, s13, s1
	s_lshl_b64 s[0:1], s[30:31], 1
	s_add_u32 s11, s12, s0
	s_addc_u32 s12, s13, s1
	s_cmp_lt_u32 s6, s22
	s_cselect_b32 s0, 12, 18
	s_add_u32 s0, s20, s0
	s_addc_u32 s1, s21, 0
	s_cmp_eq_u64 s[28:29], s[18:19]
	global_load_ushort v2, v10, s[0:1]
	s_waitcnt vmcnt(1)
	v_lshrrev_b32_e32 v3, 16, v1
	v_and_b32_e32 v1, 0xffff, v1
	v_mul_lo_u32 v1, v1, v3
	s_waitcnt vmcnt(0)
	v_mul_lo_u32 v12, v1, v2
	v_add_nc_u32_e32 v7, v12, v0
	v_add_nc_u32_e32 v5, v7, v12
	s_cbranch_scc1 .LBB1085_5
; %bb.4:
	v_mov_b32_e32 v8, v10
	v_mov_b32_e32 v6, v10
	v_add_co_u32 v21, s0, s23, v11
	v_add_co_ci_u32_e64 v22, null, s24, 0, s0
	v_lshlrev_b64 v[1:2], 1, v[7:8]
	v_sub_co_u32 v9, vcc_lo, v0, s9
	v_mov_b32_e32 v20, v10
	s_mov_b32 s19, -1
	v_add_co_u32 v23, s0, s23, v1
	v_add_co_ci_u32_e64 v24, null, s24, v2, s0
	v_lshlrev_b64 v[1:2], 1, v[5:6]
	v_lshlrev_b64 v[3:4], 1, v[9:10]
	v_sub_co_u32 v9, s0, v7, s9
	v_add_co_u32 v6, s1, s23, v1
	v_add_co_ci_u32_e64 v8, null, s24, v2, s1
	v_add_nc_u32_e32 v1, v5, v12
	v_mov_b32_e32 v2, v10
	v_lshlrev_b64 v[13:14], 1, v[9:10]
	v_sub_co_u32 v9, s1, v5, s9
	v_add_nc_u32_e32 v19, v1, v12
	v_lshlrev_b64 v[15:16], 1, v[1:2]
	v_add_co_u32 v3, s6, s11, v3
	v_lshlrev_b64 v[17:18], 1, v[9:10]
	v_add_co_ci_u32_e64 v4, null, s12, v4, s6
	v_add_co_u32 v25, s2, s23, v15
	v_add_co_ci_u32_e64 v26, null, s24, v16, s2
	v_sub_co_u32 v9, s2, v1, s9
	v_lshlrev_b64 v[1:2], 1, v[19:20]
	v_lshlrev_b64 v[15:16], 1, v[9:10]
	v_add_co_u32 v20, s3, s23, v1
	v_add_co_ci_u32_e64 v27, null, s24, v2, s3
	v_sub_co_u32 v9, s3, v19, s9
	v_lshlrev_b64 v[1:2], 1, v[9:10]
	v_add_co_u32 v9, s6, s11, v17
	v_add_co_ci_u32_e64 v17, null, s12, v18, s6
	v_add_co_u32 v18, s6, s11, v1
	v_add_co_ci_u32_e64 v28, null, s12, v2, s6
	v_cndmask_b32_e32 v2, v4, v22, vcc_lo
	v_cndmask_b32_e32 v1, v3, v21, vcc_lo
	v_cndmask_b32_e64 v4, v17, v8, s1
	v_cndmask_b32_e64 v3, v9, v6, s1
	;; [unrolled: 1-line block ×4, first 2 shown]
	global_load_ushort v1, v[1:2], off
	global_load_ushort v2, v[3:4], off
	;; [unrolled: 1-line block ×3, first 2 shown]
	v_add_nc_u32_e32 v8, v19, v12
	v_mov_b32_e32 v9, v10
	v_mov_b32_e32 v20, v10
	v_add_co_u32 v13, s3, s11, v13
	v_add_nc_u32_e32 v19, v8, v12
	v_lshlrev_b64 v[17:18], 1, v[8:9]
	v_add_co_ci_u32_e64 v14, null, s12, v14, s3
	v_cndmask_b32_e64 v13, v13, v23, s0
	v_add_co_u32 v4, vcc_lo, s23, v17
	v_add_co_ci_u32_e64 v6, null, s24, v18, vcc_lo
	v_lshlrev_b64 v[17:18], 1, v[19:20]
	v_sub_co_u32 v9, vcc_lo, v8, s9
	v_cndmask_b32_e64 v14, v14, v24, s0
	s_add_i32 s0, s9, s10
	v_add_co_u32 v17, s1, s23, v17
	v_lshlrev_b64 v[20:21], 1, v[9:10]
	v_add_co_ci_u32_e64 v18, null, s24, v18, s1
	v_sub_co_u32 v9, s1, v19, s9
	v_lshlrev_b64 v[8:9], 1, v[9:10]
	v_add_co_u32 v8, s3, s11, v8
	v_add_co_ci_u32_e64 v9, null, s12, v9, s3
	v_add_co_u32 v15, s3, s11, v15
	v_cndmask_b32_e64 v8, v8, v17, s1
	v_cndmask_b32_e64 v9, v9, v18, s1
	v_add_co_u32 v17, s1, s11, v20
	v_add_co_ci_u32_e64 v16, null, s12, v16, s3
	v_add_co_ci_u32_e64 v18, null, s12, v21, s1
	global_load_short_d16 v10, v[8:9], off
	v_cndmask_b32_e64 v16, v16, v26, s2
	v_cndmask_b32_e64 v15, v15, v25, s2
	v_cndmask_b32_e32 v9, v18, v6, vcc_lo
	v_cndmask_b32_e32 v8, v17, v4, vcc_lo
	v_add_nc_u32_e32 v6, v19, v12
	global_load_short_d16_hi v1, v[13:14], off
	global_load_short_d16_hi v2, v[15:16], off
	;; [unrolled: 1-line block ×3, first 2 shown]
	v_mov_b32_e32 v8, s0
	s_waitcnt vmcnt(3)
	v_mov_b32_e32 v4, v10
	s_cbranch_execz .LBB1085_6
	s_branch .LBB1085_19
.LBB1085_5:
                                        ; implicit-def: $vgpr6
                                        ; implicit-def: $vgpr1_vgpr2_vgpr3_vgpr4
                                        ; implicit-def: $vgpr8
	s_andn2_b32 vcc_lo, exec_lo, s3
	s_cbranch_vccnz .LBB1085_19
.LBB1085_6:
	s_waitcnt vmcnt(2)
	v_mov_b32_e32 v1, 0
	s_add_i32 s1, s9, s10
	s_mov_b32 s2, exec_lo
	s_waitcnt vmcnt(1)
	v_mov_b32_e32 v2, v1
	s_waitcnt vmcnt(0)
	v_mov_b32_e32 v3, v1
	v_mov_b32_e32 v4, v1
	v_cmpx_gt_u32_e64 s1, v0
	s_cbranch_execnz .LBB1085_76
; %bb.7:
	s_or_b32 exec_lo, exec_lo, s2
	s_mov_b32 s2, exec_lo
	v_cmpx_gt_u32_e64 s1, v7
	s_cbranch_execnz .LBB1085_77
.LBB1085_8:
	s_or_b32 exec_lo, exec_lo, s2
	s_mov_b32 s2, exec_lo
	v_cmpx_gt_u32_e64 s1, v5
	s_cbranch_execz .LBB1085_10
.LBB1085_9:
	v_mov_b32_e32 v6, 0
	v_lshlrev_b64 v[7:8], 1, v[5:6]
	v_mov_b32_e32 v9, v6
	v_add_co_u32 v10, vcc_lo, s23, v7
	v_add_co_ci_u32_e64 v13, null, s24, v8, vcc_lo
	v_sub_co_u32 v8, vcc_lo, v5, s9
	v_lshlrev_b64 v[6:7], 1, v[8:9]
	v_add_co_u32 v6, s0, s11, v6
	v_add_co_ci_u32_e64 v7, null, s12, v7, s0
	v_cndmask_b32_e32 v6, v6, v10, vcc_lo
	v_cndmask_b32_e32 v7, v7, v13, vcc_lo
	global_load_short_d16 v2, v[6:7], off
.LBB1085_10:
	s_or_b32 exec_lo, exec_lo, s2
	v_add_nc_u32_e32 v5, v5, v12
	s_mov_b32 s2, exec_lo
	v_cmpx_gt_u32_e64 s1, v5
	s_cbranch_execz .LBB1085_12
; %bb.11:
	v_mov_b32_e32 v6, 0
	v_lshlrev_b64 v[7:8], 1, v[5:6]
	v_mov_b32_e32 v9, v6
	v_add_co_u32 v10, vcc_lo, s23, v7
	v_add_co_ci_u32_e64 v13, null, s24, v8, vcc_lo
	v_sub_co_u32 v8, vcc_lo, v5, s9
	v_lshlrev_b64 v[6:7], 1, v[8:9]
	v_add_co_u32 v6, s0, s11, v6
	v_add_co_ci_u32_e64 v7, null, s12, v7, s0
	v_cndmask_b32_e32 v6, v6, v10, vcc_lo
	v_cndmask_b32_e32 v7, v7, v13, vcc_lo
	global_load_short_d16_hi v2, v[6:7], off
.LBB1085_12:
	s_or_b32 exec_lo, exec_lo, s2
	v_add_nc_u32_e32 v5, v5, v12
	s_mov_b32 s2, exec_lo
	v_cmpx_gt_u32_e64 s1, v5
	s_cbranch_execz .LBB1085_14
; %bb.13:
	v_mov_b32_e32 v6, 0
	v_lshlrev_b64 v[7:8], 1, v[5:6]
	v_mov_b32_e32 v9, v6
	v_add_co_u32 v10, vcc_lo, s23, v7
	v_add_co_ci_u32_e64 v13, null, s24, v8, vcc_lo
	v_sub_co_u32 v8, vcc_lo, v5, s9
	v_lshlrev_b64 v[6:7], 1, v[8:9]
	v_add_co_u32 v6, s0, s11, v6
	v_add_co_ci_u32_e64 v7, null, s12, v7, s0
	v_cndmask_b32_e32 v6, v6, v10, vcc_lo
	v_cndmask_b32_e32 v7, v7, v13, vcc_lo
	global_load_short_d16 v3, v[6:7], off
.LBB1085_14:
	s_or_b32 exec_lo, exec_lo, s2
	v_add_nc_u32_e32 v5, v5, v12
	s_mov_b32 s2, exec_lo
	v_cmpx_gt_u32_e64 s1, v5
	s_cbranch_execz .LBB1085_16
; %bb.15:
	v_mov_b32_e32 v6, 0
	v_lshlrev_b64 v[7:8], 1, v[5:6]
	v_mov_b32_e32 v9, v6
	v_add_co_u32 v10, vcc_lo, s23, v7
	v_add_co_ci_u32_e64 v13, null, s24, v8, vcc_lo
	v_sub_co_u32 v8, vcc_lo, v5, s9
	v_lshlrev_b64 v[6:7], 1, v[8:9]
	v_add_co_u32 v6, s0, s11, v6
	v_add_co_ci_u32_e64 v7, null, s12, v7, s0
	v_cndmask_b32_e32 v6, v6, v10, vcc_lo
	v_cndmask_b32_e32 v7, v7, v13, vcc_lo
	global_load_short_d16_hi v3, v[6:7], off
.LBB1085_16:
	s_or_b32 exec_lo, exec_lo, s2
	v_add_nc_u32_e32 v5, v5, v12
	s_mov_b32 s2, exec_lo
	v_cmpx_gt_u32_e64 s1, v5
	s_cbranch_execz .LBB1085_18
; %bb.17:
	v_mov_b32_e32 v6, 0
	v_lshlrev_b64 v[7:8], 1, v[5:6]
	v_mov_b32_e32 v9, v6
	v_add_co_u32 v10, vcc_lo, s23, v7
	v_add_co_ci_u32_e64 v13, null, s24, v8, vcc_lo
	v_sub_co_u32 v8, vcc_lo, v5, s9
	v_lshlrev_b64 v[6:7], 1, v[8:9]
	v_add_co_u32 v6, s0, s11, v6
	v_add_co_ci_u32_e64 v7, null, s12, v7, s0
	v_cndmask_b32_e32 v6, v6, v10, vcc_lo
	v_cndmask_b32_e32 v7, v7, v13, vcc_lo
	global_load_short_d16 v4, v[6:7], off
.LBB1085_18:
	s_or_b32 exec_lo, exec_lo, s2
	v_add_nc_u32_e32 v6, v5, v12
	v_mov_b32_e32 v8, s1
	v_cmp_gt_u32_e64 s19, s1, v6
.LBB1085_19:
	s_load_dwordx2 s[2:3], s[4:5], 0x40
	s_and_saveexec_b32 s1, s19
	s_cbranch_execz .LBB1085_21
; %bb.20:
	v_mov_b32_e32 v10, 0
	v_mov_b32_e32 v7, v10
	v_lshlrev_b64 v[12:13], 1, v[6:7]
	v_add_co_u32 v7, vcc_lo, s23, v12
	v_add_co_ci_u32_e64 v12, null, s24, v13, vcc_lo
	v_sub_co_u32 v9, vcc_lo, v6, s9
	v_lshlrev_b64 v[5:6], 1, v[9:10]
	v_add_co_u32 v5, s0, s11, v5
	v_add_co_ci_u32_e64 v6, null, s12, v6, s0
	v_cndmask_b32_e32 v5, v5, v7, vcc_lo
	v_cndmask_b32_e32 v6, v6, v12, vcc_lo
	global_load_short_d16_hi v4, v[5:6], off
.LBB1085_21:
	s_or_b32 exec_lo, exec_lo, s1
	v_lshlrev_b32_e32 v5, 3, v0
	s_waitcnt vmcnt(0)
	v_lshrrev_b32_e32 v7, 16, v1
	v_lshrrev_b32_e32 v10, 16, v2
	;; [unrolled: 1-line block ×4, first 2 shown]
	v_min_u32_e32 v9, v8, v5
	s_mov_b32 s0, exec_lo
	ds_write_b16 v11, v1
	ds_write_b16 v11, v2 offset:512
	ds_write_b16 v11, v7 offset:256
	;; [unrolled: 1-line block ×3, first 2 shown]
	v_sub_nc_u32_e64 v6, v9, s10 clamp
	v_min_u32_e32 v12, s9, v9
	ds_write_b16 v11, v3 offset:1024
	ds_write_b16 v11, v15 offset:1280
	;; [unrolled: 1-line block ×4, first 2 shown]
	s_waitcnt lgkmcnt(0)
	s_barrier
	buffer_gl0_inv
	v_cmpx_lt_u32_e64 v6, v12
	s_cbranch_execz .LBB1085_25
; %bb.22:
	v_lshlrev_b32_e32 v13, 1, v9
	s_mov_b32 s1, 0
	v_lshl_add_u32 v13, s9, 1, v13
	s_inst_prefetch 0x1
	.p2align	6
.LBB1085_23:                            ; =>This Inner Loop Header: Depth=1
	v_add_nc_u32_e32 v16, v12, v6
	v_lshrrev_b32_e32 v20, 1, v16
	v_and_b32_e32 v16, -2, v16
	v_not_b32_e32 v17, v20
	v_lshl_add_u32 v17, v17, 1, v13
	ds_read_u16 v16, v16
	ds_read_u16 v18, v17
	s_waitcnt lgkmcnt(1)
	v_bfe_i32 v16, v16, 0, 16
	s_waitcnt lgkmcnt(0)
	v_bfe_i32 v18, v18, 0, 16
	v_ashrrev_i32_e32 v17, 31, v16
	v_ashrrev_i32_e32 v19, 31, v18
	v_lshlrev_b64 v[16:17], 1, v[16:17]
	v_lshlrev_b64 v[18:19], 1, v[18:19]
	v_add_co_u32 v16, vcc_lo, s2, v16
	v_add_co_ci_u32_e64 v17, null, s3, v17, vcc_lo
	v_add_co_u32 v18, vcc_lo, s2, v18
	v_add_co_ci_u32_e64 v19, null, s3, v19, vcc_lo
	s_clause 0x1
	global_load_ushort v18, v[18:19], off
	global_load_ushort v16, v[16:17], off
	v_add_nc_u32_e32 v17, 1, v20
	s_waitcnt vmcnt(0)
	v_cmp_lt_i16_e32 vcc_lo, v18, v16
	v_cndmask_b32_e32 v12, v12, v20, vcc_lo
	v_cndmask_b32_e32 v6, v17, v6, vcc_lo
	v_cmp_ge_u32_e32 vcc_lo, v6, v12
	s_or_b32 s1, vcc_lo, s1
	s_andn2_b32 exec_lo, exec_lo, s1
	s_cbranch_execnz .LBB1085_23
; %bb.24:
	s_inst_prefetch 0x2
	s_or_b32 exec_lo, exec_lo, s1
.LBB1085_25:
	s_or_b32 exec_lo, exec_lo, s0
	v_sub_nc_u32_e32 v9, v9, v6
	v_cmp_ge_u32_e32 vcc_lo, s9, v6
	v_add_nc_u32_e32 v9, s9, v9
	v_cmp_le_u32_e64 s0, v9, v8
	s_or_b32 s0, vcc_lo, s0
	s_and_saveexec_b32 s1, s0
	s_cbranch_execz .LBB1085_61
; %bb.26:
	s_mov_b32 s4, exec_lo
	v_cmp_le_u32_e32 vcc_lo, s9, v6
                                        ; implicit-def: $vgpr1
	v_cmpx_gt_u32_e64 s9, v6
; %bb.27:
	v_lshlrev_b32_e32 v1, 1, v6
	ds_read_u16 v1, v1
; %bb.28:
	s_or_b32 exec_lo, exec_lo, s4
	v_cmp_ge_u32_e64 s4, v9, v8
	s_mov_b32 s5, exec_lo
                                        ; implicit-def: $vgpr4
	v_cmpx_lt_u32_e64 v9, v8
; %bb.29:
	v_lshlrev_b32_e32 v2, 1, v9
	ds_read_u16 v4, v2
; %bb.30:
	s_or_b32 exec_lo, exec_lo, s5
	s_nor_b32 s5, vcc_lo, s4
	s_and_saveexec_b32 s0, s5
	s_cbranch_execz .LBB1085_32
; %bb.31:
	s_waitcnt lgkmcnt(0)
	v_bfe_i32 v2, v4, 0, 16
	v_bfe_i32 v12, v1, 0, 16
	s_andn2_b32 s4, s4, exec_lo
	v_ashrrev_i32_e32 v3, 31, v2
	v_ashrrev_i32_e32 v13, 31, v12
	v_lshlrev_b64 v[2:3], 1, v[2:3]
	v_lshlrev_b64 v[12:13], 1, v[12:13]
	v_add_co_u32 v2, vcc_lo, s2, v2
	v_add_co_ci_u32_e64 v3, null, s3, v3, vcc_lo
	v_add_co_u32 v12, vcc_lo, s2, v12
	v_add_co_ci_u32_e64 v13, null, s3, v13, vcc_lo
	s_clause 0x1
	global_load_ushort v2, v[2:3], off
	global_load_ushort v3, v[12:13], off
	s_waitcnt vmcnt(0)
	v_cmp_ge_i16_e32 vcc_lo, v2, v3
	s_and_b32 s5, vcc_lo, exec_lo
	s_or_b32 s4, s4, s5
.LBB1085_32:
	s_or_b32 exec_lo, exec_lo, s0
	v_cndmask_b32_e64 v2, v9, v6, s4
	v_cndmask_b32_e64 v3, v8, s9, s4
	s_mov_b32 s5, -1
	s_mov_b32 s0, -1
	s_mov_b32 s6, exec_lo
	v_add_nc_u32_e32 v7, 1, v2
	v_add_nc_u32_e32 v2, -1, v3
	v_cndmask_b32_e64 v3, v6, v7, s4
	v_min_u32_e32 v2, v7, v2
	v_lshlrev_b32_e32 v2, 1, v2
	ds_read_u16 v10, v2
	v_cndmask_b32_e64 v2, v7, v9, s4
	s_waitcnt lgkmcnt(0)
	v_cndmask_b32_e64 v6, v10, v4, s4
	v_cndmask_b32_e64 v7, v1, v10, s4
	v_cmpx_lt_u32_e64 v2, v8
	s_cbranch_execz .LBB1085_36
; %bb.33:
	s_mov_b32 s10, 0
	s_mov_b32 s0, exec_lo
	v_cmpx_gt_u32_e64 s9, v3
	s_cbranch_execz .LBB1085_35
; %bb.34:
	v_bfe_i32 v9, v6, 0, 16
	v_bfe_i32 v12, v7, 0, 16
	v_ashrrev_i32_e32 v10, 31, v9
	v_ashrrev_i32_e32 v13, 31, v12
	v_lshlrev_b64 v[9:10], 1, v[9:10]
	v_lshlrev_b64 v[12:13], 1, v[12:13]
	v_add_co_u32 v9, vcc_lo, s2, v9
	v_add_co_ci_u32_e64 v10, null, s3, v10, vcc_lo
	v_add_co_u32 v12, vcc_lo, s2, v12
	v_add_co_ci_u32_e64 v13, null, s3, v13, vcc_lo
	s_clause 0x1
	global_load_ushort v9, v[9:10], off
	global_load_ushort v10, v[12:13], off
	s_waitcnt vmcnt(0)
	v_cmp_ge_i16_e32 vcc_lo, v9, v10
	s_and_b32 s10, vcc_lo, exec_lo
.LBB1085_35:
	s_or_b32 exec_lo, exec_lo, s0
	s_orn2_b32 s0, s10, exec_lo
.LBB1085_36:
	s_or_b32 exec_lo, exec_lo, s6
	v_cndmask_b32_e64 v9, v2, v3, s0
	v_cndmask_b32_e64 v10, v8, s9, s0
	s_mov_b32 s6, exec_lo
	v_add_nc_u32_e32 v9, 1, v9
	v_add_nc_u32_e32 v10, -1, v10
	v_cndmask_b32_e64 v3, v3, v9, s0
	v_min_u32_e32 v10, v9, v10
	v_lshlrev_b32_e32 v10, 1, v10
	ds_read_u16 v12, v10
	v_cndmask_b32_e64 v10, v9, v2, s0
	s_waitcnt lgkmcnt(0)
	v_cndmask_b32_e64 v2, v12, v6, s0
	v_cndmask_b32_e64 v9, v7, v12, s0
	v_cmpx_lt_u32_e64 v10, v8
	s_cbranch_execz .LBB1085_40
; %bb.37:
	s_mov_b32 s10, 0
	s_mov_b32 s5, exec_lo
	v_cmpx_gt_u32_e64 s9, v3
	s_cbranch_execz .LBB1085_39
; %bb.38:
	v_bfe_i32 v12, v2, 0, 16
	v_bfe_i32 v14, v9, 0, 16
	v_ashrrev_i32_e32 v13, 31, v12
	v_ashrrev_i32_e32 v15, 31, v14
	v_lshlrev_b64 v[12:13], 1, v[12:13]
	v_lshlrev_b64 v[14:15], 1, v[14:15]
	v_add_co_u32 v12, vcc_lo, s2, v12
	v_add_co_ci_u32_e64 v13, null, s3, v13, vcc_lo
	v_add_co_u32 v14, vcc_lo, s2, v14
	v_add_co_ci_u32_e64 v15, null, s3, v15, vcc_lo
	s_clause 0x1
	global_load_ushort v12, v[12:13], off
	global_load_ushort v13, v[14:15], off
	s_waitcnt vmcnt(0)
	v_cmp_ge_i16_e32 vcc_lo, v12, v13
	s_and_b32 s10, vcc_lo, exec_lo
.LBB1085_39:
	s_or_b32 exec_lo, exec_lo, s5
	s_orn2_b32 s5, s10, exec_lo
.LBB1085_40:
	s_or_b32 exec_lo, exec_lo, s6
	v_cndmask_b32_e64 v12, v10, v3, s5
	v_cndmask_b32_e64 v13, v8, s9, s5
	s_mov_b32 s10, -1
	s_mov_b32 s6, -1
	s_mov_b32 s11, exec_lo
	v_add_nc_u32_e32 v12, 1, v12
	v_add_nc_u32_e32 v13, -1, v13
	v_cndmask_b32_e64 v3, v3, v12, s5
	v_min_u32_e32 v13, v12, v13
	v_lshlrev_b32_e32 v13, 1, v13
	ds_read_u16 v14, v13
	v_cndmask_b32_e64 v13, v12, v10, s5
	s_waitcnt lgkmcnt(0)
	v_cndmask_b32_e64 v10, v14, v2, s5
	v_cndmask_b32_e64 v12, v9, v14, s5
	v_cmpx_lt_u32_e64 v13, v8
	s_cbranch_execz .LBB1085_44
; %bb.41:
	s_mov_b32 s12, 0
	s_mov_b32 s6, exec_lo
	v_cmpx_gt_u32_e64 s9, v3
	s_cbranch_execz .LBB1085_43
; %bb.42:
	v_bfe_i32 v14, v10, 0, 16
	v_bfe_i32 v16, v12, 0, 16
	v_ashrrev_i32_e32 v15, 31, v14
	v_ashrrev_i32_e32 v17, 31, v16
	v_lshlrev_b64 v[14:15], 1, v[14:15]
	v_lshlrev_b64 v[16:17], 1, v[16:17]
	v_add_co_u32 v14, vcc_lo, s2, v14
	v_add_co_ci_u32_e64 v15, null, s3, v15, vcc_lo
	v_add_co_u32 v16, vcc_lo, s2, v16
	v_add_co_ci_u32_e64 v17, null, s3, v17, vcc_lo
	s_clause 0x1
	global_load_ushort v14, v[14:15], off
	global_load_ushort v15, v[16:17], off
	s_waitcnt vmcnt(0)
	v_cmp_ge_i16_e32 vcc_lo, v14, v15
	s_and_b32 s12, vcc_lo, exec_lo
.LBB1085_43:
	s_or_b32 exec_lo, exec_lo, s6
	s_orn2_b32 s6, s12, exec_lo
.LBB1085_44:
	s_or_b32 exec_lo, exec_lo, s11
	v_cndmask_b32_e64 v14, v13, v3, s6
	v_cndmask_b32_e64 v15, v8, s9, s6
	s_mov_b32 s11, exec_lo
	v_add_nc_u32_e32 v16, 1, v14
	v_add_nc_u32_e32 v14, -1, v15
	v_cndmask_b32_e64 v15, v3, v16, s6
	v_min_u32_e32 v14, v16, v14
	v_lshlrev_b32_e32 v14, 1, v14
	ds_read_u16 v17, v14
	v_cndmask_b32_e64 v14, v16, v13, s6
	s_waitcnt lgkmcnt(0)
	v_cndmask_b32_e64 v3, v17, v10, s6
	v_cndmask_b32_e64 v13, v12, v17, s6
	v_cmpx_lt_u32_e64 v14, v8
	s_cbranch_execz .LBB1085_48
; %bb.45:
	s_mov_b32 s12, 0
	s_mov_b32 s10, exec_lo
	v_cmpx_gt_u32_e64 s9, v15
	s_cbranch_execz .LBB1085_47
; %bb.46:
	v_bfe_i32 v16, v3, 0, 16
	v_bfe_i32 v18, v13, 0, 16
	v_ashrrev_i32_e32 v17, 31, v16
	v_ashrrev_i32_e32 v19, 31, v18
	v_lshlrev_b64 v[16:17], 1, v[16:17]
	v_lshlrev_b64 v[18:19], 1, v[18:19]
	v_add_co_u32 v16, vcc_lo, s2, v16
	v_add_co_ci_u32_e64 v17, null, s3, v17, vcc_lo
	v_add_co_u32 v18, vcc_lo, s2, v18
	v_add_co_ci_u32_e64 v19, null, s3, v19, vcc_lo
	s_clause 0x1
	global_load_ushort v16, v[16:17], off
	global_load_ushort v17, v[18:19], off
	s_waitcnt vmcnt(0)
	v_cmp_ge_i16_e32 vcc_lo, v16, v17
	s_and_b32 s12, vcc_lo, exec_lo
.LBB1085_47:
	s_or_b32 exec_lo, exec_lo, s10
	s_orn2_b32 s10, s12, exec_lo
.LBB1085_48:
	s_or_b32 exec_lo, exec_lo, s11
	v_cndmask_b32_e64 v16, v14, v15, s10
	v_cndmask_b32_e64 v17, v8, s9, s10
	s_mov_b32 s11, -1
	s_mov_b32 s12, -1
	s_mov_b32 s13, exec_lo
	v_add_nc_u32_e32 v16, 1, v16
	v_add_nc_u32_e32 v17, -1, v17
	v_cndmask_b32_e64 v14, v16, v14, s10
	v_min_u32_e32 v17, v16, v17
	v_lshlrev_b32_e32 v17, 1, v17
	ds_read_u16 v18, v17
	v_cndmask_b32_e64 v17, v15, v16, s10
	s_waitcnt lgkmcnt(0)
	v_cndmask_b32_e64 v15, v18, v3, s10
	v_cndmask_b32_e64 v16, v13, v18, s10
	v_cmpx_lt_u32_e64 v14, v8
	s_cbranch_execz .LBB1085_52
; %bb.49:
	s_mov_b32 s18, 0
	s_mov_b32 s12, exec_lo
	v_cmpx_gt_u32_e64 s9, v17
	s_cbranch_execz .LBB1085_51
; %bb.50:
	v_bfe_i32 v18, v15, 0, 16
	v_bfe_i32 v20, v16, 0, 16
	v_ashrrev_i32_e32 v19, 31, v18
	v_ashrrev_i32_e32 v21, 31, v20
	v_lshlrev_b64 v[18:19], 1, v[18:19]
	v_lshlrev_b64 v[20:21], 1, v[20:21]
	v_add_co_u32 v18, vcc_lo, s2, v18
	v_add_co_ci_u32_e64 v19, null, s3, v19, vcc_lo
	v_add_co_u32 v20, vcc_lo, s2, v20
	v_add_co_ci_u32_e64 v21, null, s3, v21, vcc_lo
	s_clause 0x1
	global_load_ushort v18, v[18:19], off
	global_load_ushort v19, v[20:21], off
	s_waitcnt vmcnt(0)
	v_cmp_ge_i16_e32 vcc_lo, v18, v19
	s_and_b32 s18, vcc_lo, exec_lo
.LBB1085_51:
	s_or_b32 exec_lo, exec_lo, s12
	s_orn2_b32 s12, s18, exec_lo
.LBB1085_52:
	s_or_b32 exec_lo, exec_lo, s13
	v_cndmask_b32_e64 v18, v14, v17, s12
	v_cndmask_b32_e64 v19, v8, s9, s12
	s_mov_b32 s13, exec_lo
	v_add_nc_u32_e32 v18, 1, v18
	v_add_nc_u32_e32 v19, -1, v19
	v_cndmask_b32_e64 v14, v18, v14, s12
	v_min_u32_e32 v19, v18, v19
	v_lshlrev_b32_e32 v19, 1, v19
	ds_read_u16 v20, v19
	v_cndmask_b32_e64 v19, v17, v18, s12
	s_waitcnt lgkmcnt(0)
	v_cndmask_b32_e64 v17, v20, v15, s12
	v_cndmask_b32_e64 v18, v16, v20, s12
	v_cmpx_lt_u32_e64 v14, v8
	s_cbranch_execz .LBB1085_56
; %bb.53:
	s_mov_b32 s18, 0
	s_mov_b32 s11, exec_lo
	v_cmpx_gt_u32_e64 s9, v19
	s_cbranch_execz .LBB1085_55
; %bb.54:
	v_bfe_i32 v20, v17, 0, 16
	v_bfe_i32 v22, v18, 0, 16
	v_ashrrev_i32_e32 v21, 31, v20
	v_ashrrev_i32_e32 v23, 31, v22
	v_lshlrev_b64 v[20:21], 1, v[20:21]
	v_lshlrev_b64 v[22:23], 1, v[22:23]
	v_add_co_u32 v20, vcc_lo, s2, v20
	v_add_co_ci_u32_e64 v21, null, s3, v21, vcc_lo
	v_add_co_u32 v22, vcc_lo, s2, v22
	v_add_co_ci_u32_e64 v23, null, s3, v23, vcc_lo
	s_clause 0x1
	global_load_ushort v20, v[20:21], off
	global_load_ushort v21, v[22:23], off
	s_waitcnt vmcnt(0)
	v_cmp_ge_i16_e32 vcc_lo, v20, v21
	s_and_b32 s18, vcc_lo, exec_lo
.LBB1085_55:
	s_or_b32 exec_lo, exec_lo, s11
	s_orn2_b32 s11, s18, exec_lo
.LBB1085_56:
	s_or_b32 exec_lo, exec_lo, s13
	v_cndmask_b32_e64 v20, v14, v19, s11
	v_cndmask_b32_e64 v21, v8, s9, s11
	s_mov_b32 s13, exec_lo
	v_add_nc_u32_e32 v20, 1, v20
	v_add_nc_u32_e32 v21, -1, v21
	v_cndmask_b32_e64 v22, v20, v14, s11
	v_min_u32_e32 v21, v20, v21
	v_lshlrev_b32_e32 v21, 1, v21
	ds_read_u16 v21, v21
	s_waitcnt lgkmcnt(0)
	v_cndmask_b32_e64 v14, v18, v21, s11
	v_cmpx_lt_u32_e64 v22, v8
	s_cbranch_execz .LBB1085_60
; %bb.57:
	v_cndmask_b32_e64 v19, v19, v20, s11
	v_cndmask_b32_e64 v8, v21, v17, s11
	v_cmp_gt_u32_e32 vcc_lo, s9, v19
	s_and_saveexec_b32 s9, vcc_lo
	s_cbranch_execz .LBB1085_59
; %bb.58:
	v_bfe_i32 v19, v8, 0, 16
	v_bfe_i32 v21, v14, 0, 16
	v_ashrrev_i32_e32 v20, 31, v19
	v_ashrrev_i32_e32 v22, 31, v21
	v_lshlrev_b64 v[19:20], 1, v[19:20]
	v_lshlrev_b64 v[21:22], 1, v[21:22]
	v_add_co_u32 v19, vcc_lo, s2, v19
	v_add_co_ci_u32_e64 v20, null, s3, v20, vcc_lo
	v_add_co_u32 v21, vcc_lo, s2, v21
	v_add_co_ci_u32_e64 v22, null, s3, v22, vcc_lo
	s_clause 0x1
	global_load_ushort v19, v[19:20], off
	global_load_ushort v20, v[21:22], off
	s_waitcnt vmcnt(0)
	v_cmp_lt_i16_e32 vcc_lo, v19, v20
	v_cndmask_b32_e32 v8, v14, v8, vcc_lo
.LBB1085_59:
	s_or_b32 exec_lo, exec_lo, s9
	v_mov_b32_e32 v14, v8
.LBB1085_60:
	s_or_b32 exec_lo, exec_lo, s13
	v_cndmask_b32_e64 v15, v15, v16, s12
	v_cndmask_b32_e64 v3, v3, v13, s10
	;; [unrolled: 1-line block ×7, first 2 shown]
.LBB1085_61:
	s_or_b32 exec_lo, exec_lo, s1
	v_lshrrev_b32_e32 v6, 1, v0
	v_or_b32_e32 v8, 0x80, v0
	v_perm_b32 v1, v7, v1, 0x5040100
	v_lshrrev_b32_e32 v7, 4, v0
	v_perm_b32 v2, v10, v2, 0x5040100
	v_and_b32_e32 v6, 60, v6
	v_lshrrev_b32_e32 v9, 4, v8
	v_perm_b32 v4, v14, v4, 0x5040100
	v_and_b32_e32 v7, 4, v7
	v_perm_b32 v3, v15, v3, 0x5040100
	v_lshl_add_u32 v5, v5, 1, v6
	v_or_b32_e32 v6, 0x100, v0
	v_and_b32_e32 v9, 12, v9
	s_barrier
	buffer_gl0_inv
	v_lshrrev_b32_e32 v10, 4, v6
	v_add_nc_u32_e32 v13, v9, v11
	v_or_b32_e32 v9, 0x180, v0
	s_barrier
	buffer_gl0_inv
	v_and_b32_e32 v10, 20, v10
	ds_write2_b32 v5, v1, v2 offset1:1
	ds_write2_b32 v5, v3, v4 offset0:2 offset1:3
	v_add_nc_u32_e32 v12, v7, v11
	v_or_b32_e32 v7, 0x200, v0
	v_or_b32_e32 v5, 0x280, v0
	;; [unrolled: 1-line block ×4, first 2 shown]
	v_lshrrev_b32_e32 v1, 4, v9
	v_add_nc_u32_e32 v14, v10, v11
	v_lshrrev_b32_e32 v2, 4, v7
	v_lshrrev_b32_e32 v10, 4, v5
	;; [unrolled: 1-line block ×4, first 2 shown]
	v_and_b32_e32 v1, 28, v1
	s_lshl_b64 s[0:1], s[16:17], 1
	v_and_b32_e32 v2, 36, v2
	v_and_b32_e32 v10, 44, v10
	;; [unrolled: 1-line block ×4, first 2 shown]
	s_add_u32 s0, s14, s0
	s_addc_u32 s1, s15, s1
	v_add_nc_u32_e32 v15, v1, v11
	v_add_co_u32 v1, s0, s0, v11
	v_add_nc_u32_e32 v16, v2, v11
	v_add_nc_u32_e32 v17, v10, v11
	v_add_nc_u32_e32 v18, v18, v11
	v_add_nc_u32_e32 v19, v19, v11
	v_add_co_ci_u32_e64 v2, null, s1, 0, s0
	s_and_b32 vcc_lo, exec_lo, s7
	s_waitcnt lgkmcnt(0)
	s_cbranch_vccz .LBB1085_63
; %bb.62:
	s_barrier
	buffer_gl0_inv
	ds_read_u16 v11, v12
	ds_read_u16 v20, v13 offset:256
	ds_read_u16 v21, v14 offset:512
	;; [unrolled: 1-line block ×7, first 2 shown]
	s_mov_b32 s0, -1
	s_waitcnt lgkmcnt(7)
	global_store_short v[1:2], v11, off
	s_waitcnt lgkmcnt(6)
	global_store_short v[1:2], v20, off offset:256
	s_waitcnt lgkmcnt(5)
	global_store_short v[1:2], v21, off offset:512
	;; [unrolled: 2-line block ×6, first 2 shown]
	s_cbranch_execz .LBB1085_64
	s_branch .LBB1085_73
.LBB1085_63:
	s_mov_b32 s0, 0
                                        ; implicit-def: $vgpr10
.LBB1085_64:
	s_barrier
	s_waitcnt lgkmcnt(0)
	s_waitcnt_vscnt null, 0x0
	buffer_gl0_inv
	ds_read_u16 v21, v13 offset:256
	ds_read_u16 v20, v14 offset:512
	;; [unrolled: 1-line block ×7, first 2 shown]
	s_sub_i32 s0, s8, s16
	s_mov_b32 s1, exec_lo
	v_cmpx_gt_u32_e64 s0, v0
	s_cbranch_execnz .LBB1085_78
; %bb.65:
	s_or_b32 exec_lo, exec_lo, s1
	s_mov_b32 s1, exec_lo
	v_cmpx_gt_u32_e64 s0, v8
	s_cbranch_execnz .LBB1085_79
.LBB1085_66:
	s_or_b32 exec_lo, exec_lo, s1
	s_mov_b32 s1, exec_lo
	v_cmpx_gt_u32_e64 s0, v6
	s_cbranch_execnz .LBB1085_80
.LBB1085_67:
	s_or_b32 exec_lo, exec_lo, s1
	s_mov_b32 s1, exec_lo
	v_cmpx_gt_u32_e64 s0, v9
	s_cbranch_execnz .LBB1085_81
.LBB1085_68:
	s_or_b32 exec_lo, exec_lo, s1
	s_mov_b32 s1, exec_lo
	v_cmpx_gt_u32_e64 s0, v7
	s_cbranch_execnz .LBB1085_82
.LBB1085_69:
	s_or_b32 exec_lo, exec_lo, s1
	s_mov_b32 s1, exec_lo
	v_cmpx_gt_u32_e64 s0, v5
	s_cbranch_execnz .LBB1085_83
.LBB1085_70:
	s_or_b32 exec_lo, exec_lo, s1
	s_mov_b32 s1, exec_lo
	v_cmpx_gt_u32_e64 s0, v4
	s_cbranch_execz .LBB1085_72
.LBB1085_71:
	s_waitcnt lgkmcnt(1)
	global_store_short v[1:2], v11, off offset:1536
.LBB1085_72:
	s_or_b32 exec_lo, exec_lo, s1
	v_cmp_gt_u32_e64 s0, s0, v3
.LBB1085_73:
	s_and_saveexec_b32 s1, s0
	s_cbranch_execz .LBB1085_75
; %bb.74:
	s_waitcnt lgkmcnt(0)
	global_store_short v[1:2], v10, off offset:1792
.LBB1085_75:
	s_endpgm
.LBB1085_76:
	v_sub_co_u32 v2, vcc_lo, v0, s9
	v_mov_b32_e32 v3, v1
	v_add_co_u32 v4, s0, s23, v11
	v_add_co_ci_u32_e64 v6, null, s24, 0, s0
	v_lshlrev_b64 v[2:3], 1, v[2:3]
	v_mov_b32_e32 v13, v1
	v_mov_b32_e32 v14, v1
	;; [unrolled: 1-line block ×4, first 2 shown]
	v_add_co_u32 v2, s0, s11, v2
	v_add_co_ci_u32_e64 v3, null, s12, v3, s0
	v_cndmask_b32_e32 v2, v2, v4, vcc_lo
	v_cndmask_b32_e32 v3, v3, v6, vcc_lo
	global_load_short_d16 v13, v[2:3], off
	s_waitcnt vmcnt(0)
	v_mov_b32_e32 v1, v13
	v_mov_b32_e32 v2, v14
	;; [unrolled: 1-line block ×4, first 2 shown]
	s_or_b32 exec_lo, exec_lo, s2
	s_mov_b32 s2, exec_lo
	v_cmpx_gt_u32_e64 s1, v7
	s_cbranch_execz .LBB1085_8
.LBB1085_77:
	v_mov_b32_e32 v8, 0
	v_lshlrev_b64 v[9:10], 1, v[7:8]
	v_add_co_u32 v9, vcc_lo, s23, v9
	v_add_co_ci_u32_e64 v10, null, s24, v10, vcc_lo
	v_sub_co_u32 v7, vcc_lo, v7, s9
	v_lshlrev_b64 v[6:7], 1, v[7:8]
	v_add_co_u32 v6, s0, s11, v6
	v_add_co_ci_u32_e64 v7, null, s12, v7, s0
	v_cndmask_b32_e32 v6, v6, v9, vcc_lo
	v_cndmask_b32_e32 v7, v7, v10, vcc_lo
	global_load_short_d16_hi v1, v[6:7], off
	s_or_b32 exec_lo, exec_lo, s2
	s_mov_b32 s2, exec_lo
	v_cmpx_gt_u32_e64 s1, v5
	s_cbranch_execnz .LBB1085_9
	s_branch .LBB1085_10
.LBB1085_78:
	ds_read_u16 v0, v12
	s_waitcnt lgkmcnt(0)
	global_store_short v[1:2], v0, off
	s_or_b32 exec_lo, exec_lo, s1
	s_mov_b32 s1, exec_lo
	v_cmpx_gt_u32_e64 s0, v8
	s_cbranch_execz .LBB1085_66
.LBB1085_79:
	s_waitcnt lgkmcnt(6)
	global_store_short v[1:2], v21, off offset:256
	s_or_b32 exec_lo, exec_lo, s1
	s_mov_b32 s1, exec_lo
	v_cmpx_gt_u32_e64 s0, v6
	s_cbranch_execz .LBB1085_67
.LBB1085_80:
	s_waitcnt lgkmcnt(5)
	global_store_short v[1:2], v20, off offset:512
	s_or_b32 exec_lo, exec_lo, s1
	s_mov_b32 s1, exec_lo
	v_cmpx_gt_u32_e64 s0, v9
	s_cbranch_execz .LBB1085_68
.LBB1085_81:
	s_waitcnt lgkmcnt(4)
	global_store_short v[1:2], v15, off offset:768
	s_or_b32 exec_lo, exec_lo, s1
	s_mov_b32 s1, exec_lo
	v_cmpx_gt_u32_e64 s0, v7
	s_cbranch_execz .LBB1085_69
.LBB1085_82:
	s_waitcnt lgkmcnt(3)
	global_store_short v[1:2], v14, off offset:1024
	s_or_b32 exec_lo, exec_lo, s1
	s_mov_b32 s1, exec_lo
	v_cmpx_gt_u32_e64 s0, v5
	s_cbranch_execz .LBB1085_70
.LBB1085_83:
	s_waitcnt lgkmcnt(2)
	global_store_short v[1:2], v13, off offset:1280
	s_or_b32 exec_lo, exec_lo, s1
	s_mov_b32 s1, exec_lo
	v_cmpx_gt_u32_e64 s0, v4
	s_cbranch_execnz .LBB1085_71
	s_branch .LBB1085_72
	.section	.rodata,"a",@progbits
	.p2align	6, 0x0
	.amdhsa_kernel _ZN7rocprim17ROCPRIM_400000_NS6detail17trampoline_kernelINS0_14default_configENS1_38merge_sort_block_merge_config_selectorIsNS0_10empty_typeEEEZZNS1_27merge_sort_block_merge_implIS3_N6thrust23THRUST_200600_302600_NS6detail15normal_iteratorINS9_10device_ptrIsEEEEPS5_m9comp_mod3IsEEE10hipError_tT0_T1_T2_jT3_P12ihipStream_tbPNSt15iterator_traitsISJ_E10value_typeEPNSP_ISK_E10value_typeEPSL_NS1_7vsmem_tEENKUlT_SJ_SK_SL_E_clISE_PsSF_SF_EESI_SY_SJ_SK_SL_EUlSY_E0_NS1_11comp_targetILNS1_3genE8ELNS1_11target_archE1030ELNS1_3gpuE2ELNS1_3repE0EEENS1_38merge_mergepath_config_static_selectorELNS0_4arch9wavefront6targetE0EEEvSK_
		.amdhsa_group_segment_fixed_size 2112
		.amdhsa_private_segment_fixed_size 0
		.amdhsa_kernarg_size 336
		.amdhsa_user_sgpr_count 6
		.amdhsa_user_sgpr_private_segment_buffer 1
		.amdhsa_user_sgpr_dispatch_ptr 0
		.amdhsa_user_sgpr_queue_ptr 0
		.amdhsa_user_sgpr_kernarg_segment_ptr 1
		.amdhsa_user_sgpr_dispatch_id 0
		.amdhsa_user_sgpr_flat_scratch_init 0
		.amdhsa_user_sgpr_private_segment_size 0
		.amdhsa_wavefront_size32 1
		.amdhsa_uses_dynamic_stack 0
		.amdhsa_system_sgpr_private_segment_wavefront_offset 0
		.amdhsa_system_sgpr_workgroup_id_x 1
		.amdhsa_system_sgpr_workgroup_id_y 1
		.amdhsa_system_sgpr_workgroup_id_z 1
		.amdhsa_system_sgpr_workgroup_info 0
		.amdhsa_system_vgpr_workitem_id 0
		.amdhsa_next_free_vgpr 29
		.amdhsa_next_free_sgpr 32
		.amdhsa_reserve_vcc 1
		.amdhsa_reserve_flat_scratch 0
		.amdhsa_float_round_mode_32 0
		.amdhsa_float_round_mode_16_64 0
		.amdhsa_float_denorm_mode_32 3
		.amdhsa_float_denorm_mode_16_64 3
		.amdhsa_dx10_clamp 1
		.amdhsa_ieee_mode 1
		.amdhsa_fp16_overflow 0
		.amdhsa_workgroup_processor_mode 1
		.amdhsa_memory_ordered 1
		.amdhsa_forward_progress 1
		.amdhsa_shared_vgpr_count 0
		.amdhsa_exception_fp_ieee_invalid_op 0
		.amdhsa_exception_fp_denorm_src 0
		.amdhsa_exception_fp_ieee_div_zero 0
		.amdhsa_exception_fp_ieee_overflow 0
		.amdhsa_exception_fp_ieee_underflow 0
		.amdhsa_exception_fp_ieee_inexact 0
		.amdhsa_exception_int_div_zero 0
	.end_amdhsa_kernel
	.section	.text._ZN7rocprim17ROCPRIM_400000_NS6detail17trampoline_kernelINS0_14default_configENS1_38merge_sort_block_merge_config_selectorIsNS0_10empty_typeEEEZZNS1_27merge_sort_block_merge_implIS3_N6thrust23THRUST_200600_302600_NS6detail15normal_iteratorINS9_10device_ptrIsEEEEPS5_m9comp_mod3IsEEE10hipError_tT0_T1_T2_jT3_P12ihipStream_tbPNSt15iterator_traitsISJ_E10value_typeEPNSP_ISK_E10value_typeEPSL_NS1_7vsmem_tEENKUlT_SJ_SK_SL_E_clISE_PsSF_SF_EESI_SY_SJ_SK_SL_EUlSY_E0_NS1_11comp_targetILNS1_3genE8ELNS1_11target_archE1030ELNS1_3gpuE2ELNS1_3repE0EEENS1_38merge_mergepath_config_static_selectorELNS0_4arch9wavefront6targetE0EEEvSK_,"axG",@progbits,_ZN7rocprim17ROCPRIM_400000_NS6detail17trampoline_kernelINS0_14default_configENS1_38merge_sort_block_merge_config_selectorIsNS0_10empty_typeEEEZZNS1_27merge_sort_block_merge_implIS3_N6thrust23THRUST_200600_302600_NS6detail15normal_iteratorINS9_10device_ptrIsEEEEPS5_m9comp_mod3IsEEE10hipError_tT0_T1_T2_jT3_P12ihipStream_tbPNSt15iterator_traitsISJ_E10value_typeEPNSP_ISK_E10value_typeEPSL_NS1_7vsmem_tEENKUlT_SJ_SK_SL_E_clISE_PsSF_SF_EESI_SY_SJ_SK_SL_EUlSY_E0_NS1_11comp_targetILNS1_3genE8ELNS1_11target_archE1030ELNS1_3gpuE2ELNS1_3repE0EEENS1_38merge_mergepath_config_static_selectorELNS0_4arch9wavefront6targetE0EEEvSK_,comdat
.Lfunc_end1085:
	.size	_ZN7rocprim17ROCPRIM_400000_NS6detail17trampoline_kernelINS0_14default_configENS1_38merge_sort_block_merge_config_selectorIsNS0_10empty_typeEEEZZNS1_27merge_sort_block_merge_implIS3_N6thrust23THRUST_200600_302600_NS6detail15normal_iteratorINS9_10device_ptrIsEEEEPS5_m9comp_mod3IsEEE10hipError_tT0_T1_T2_jT3_P12ihipStream_tbPNSt15iterator_traitsISJ_E10value_typeEPNSP_ISK_E10value_typeEPSL_NS1_7vsmem_tEENKUlT_SJ_SK_SL_E_clISE_PsSF_SF_EESI_SY_SJ_SK_SL_EUlSY_E0_NS1_11comp_targetILNS1_3genE8ELNS1_11target_archE1030ELNS1_3gpuE2ELNS1_3repE0EEENS1_38merge_mergepath_config_static_selectorELNS0_4arch9wavefront6targetE0EEEvSK_, .Lfunc_end1085-_ZN7rocprim17ROCPRIM_400000_NS6detail17trampoline_kernelINS0_14default_configENS1_38merge_sort_block_merge_config_selectorIsNS0_10empty_typeEEEZZNS1_27merge_sort_block_merge_implIS3_N6thrust23THRUST_200600_302600_NS6detail15normal_iteratorINS9_10device_ptrIsEEEEPS5_m9comp_mod3IsEEE10hipError_tT0_T1_T2_jT3_P12ihipStream_tbPNSt15iterator_traitsISJ_E10value_typeEPNSP_ISK_E10value_typeEPSL_NS1_7vsmem_tEENKUlT_SJ_SK_SL_E_clISE_PsSF_SF_EESI_SY_SJ_SK_SL_EUlSY_E0_NS1_11comp_targetILNS1_3genE8ELNS1_11target_archE1030ELNS1_3gpuE2ELNS1_3repE0EEENS1_38merge_mergepath_config_static_selectorELNS0_4arch9wavefront6targetE0EEEvSK_
                                        ; -- End function
	.set _ZN7rocprim17ROCPRIM_400000_NS6detail17trampoline_kernelINS0_14default_configENS1_38merge_sort_block_merge_config_selectorIsNS0_10empty_typeEEEZZNS1_27merge_sort_block_merge_implIS3_N6thrust23THRUST_200600_302600_NS6detail15normal_iteratorINS9_10device_ptrIsEEEEPS5_m9comp_mod3IsEEE10hipError_tT0_T1_T2_jT3_P12ihipStream_tbPNSt15iterator_traitsISJ_E10value_typeEPNSP_ISK_E10value_typeEPSL_NS1_7vsmem_tEENKUlT_SJ_SK_SL_E_clISE_PsSF_SF_EESI_SY_SJ_SK_SL_EUlSY_E0_NS1_11comp_targetILNS1_3genE8ELNS1_11target_archE1030ELNS1_3gpuE2ELNS1_3repE0EEENS1_38merge_mergepath_config_static_selectorELNS0_4arch9wavefront6targetE0EEEvSK_.num_vgpr, 29
	.set _ZN7rocprim17ROCPRIM_400000_NS6detail17trampoline_kernelINS0_14default_configENS1_38merge_sort_block_merge_config_selectorIsNS0_10empty_typeEEEZZNS1_27merge_sort_block_merge_implIS3_N6thrust23THRUST_200600_302600_NS6detail15normal_iteratorINS9_10device_ptrIsEEEEPS5_m9comp_mod3IsEEE10hipError_tT0_T1_T2_jT3_P12ihipStream_tbPNSt15iterator_traitsISJ_E10value_typeEPNSP_ISK_E10value_typeEPSL_NS1_7vsmem_tEENKUlT_SJ_SK_SL_E_clISE_PsSF_SF_EESI_SY_SJ_SK_SL_EUlSY_E0_NS1_11comp_targetILNS1_3genE8ELNS1_11target_archE1030ELNS1_3gpuE2ELNS1_3repE0EEENS1_38merge_mergepath_config_static_selectorELNS0_4arch9wavefront6targetE0EEEvSK_.num_agpr, 0
	.set _ZN7rocprim17ROCPRIM_400000_NS6detail17trampoline_kernelINS0_14default_configENS1_38merge_sort_block_merge_config_selectorIsNS0_10empty_typeEEEZZNS1_27merge_sort_block_merge_implIS3_N6thrust23THRUST_200600_302600_NS6detail15normal_iteratorINS9_10device_ptrIsEEEEPS5_m9comp_mod3IsEEE10hipError_tT0_T1_T2_jT3_P12ihipStream_tbPNSt15iterator_traitsISJ_E10value_typeEPNSP_ISK_E10value_typeEPSL_NS1_7vsmem_tEENKUlT_SJ_SK_SL_E_clISE_PsSF_SF_EESI_SY_SJ_SK_SL_EUlSY_E0_NS1_11comp_targetILNS1_3genE8ELNS1_11target_archE1030ELNS1_3gpuE2ELNS1_3repE0EEENS1_38merge_mergepath_config_static_selectorELNS0_4arch9wavefront6targetE0EEEvSK_.numbered_sgpr, 32
	.set _ZN7rocprim17ROCPRIM_400000_NS6detail17trampoline_kernelINS0_14default_configENS1_38merge_sort_block_merge_config_selectorIsNS0_10empty_typeEEEZZNS1_27merge_sort_block_merge_implIS3_N6thrust23THRUST_200600_302600_NS6detail15normal_iteratorINS9_10device_ptrIsEEEEPS5_m9comp_mod3IsEEE10hipError_tT0_T1_T2_jT3_P12ihipStream_tbPNSt15iterator_traitsISJ_E10value_typeEPNSP_ISK_E10value_typeEPSL_NS1_7vsmem_tEENKUlT_SJ_SK_SL_E_clISE_PsSF_SF_EESI_SY_SJ_SK_SL_EUlSY_E0_NS1_11comp_targetILNS1_3genE8ELNS1_11target_archE1030ELNS1_3gpuE2ELNS1_3repE0EEENS1_38merge_mergepath_config_static_selectorELNS0_4arch9wavefront6targetE0EEEvSK_.num_named_barrier, 0
	.set _ZN7rocprim17ROCPRIM_400000_NS6detail17trampoline_kernelINS0_14default_configENS1_38merge_sort_block_merge_config_selectorIsNS0_10empty_typeEEEZZNS1_27merge_sort_block_merge_implIS3_N6thrust23THRUST_200600_302600_NS6detail15normal_iteratorINS9_10device_ptrIsEEEEPS5_m9comp_mod3IsEEE10hipError_tT0_T1_T2_jT3_P12ihipStream_tbPNSt15iterator_traitsISJ_E10value_typeEPNSP_ISK_E10value_typeEPSL_NS1_7vsmem_tEENKUlT_SJ_SK_SL_E_clISE_PsSF_SF_EESI_SY_SJ_SK_SL_EUlSY_E0_NS1_11comp_targetILNS1_3genE8ELNS1_11target_archE1030ELNS1_3gpuE2ELNS1_3repE0EEENS1_38merge_mergepath_config_static_selectorELNS0_4arch9wavefront6targetE0EEEvSK_.private_seg_size, 0
	.set _ZN7rocprim17ROCPRIM_400000_NS6detail17trampoline_kernelINS0_14default_configENS1_38merge_sort_block_merge_config_selectorIsNS0_10empty_typeEEEZZNS1_27merge_sort_block_merge_implIS3_N6thrust23THRUST_200600_302600_NS6detail15normal_iteratorINS9_10device_ptrIsEEEEPS5_m9comp_mod3IsEEE10hipError_tT0_T1_T2_jT3_P12ihipStream_tbPNSt15iterator_traitsISJ_E10value_typeEPNSP_ISK_E10value_typeEPSL_NS1_7vsmem_tEENKUlT_SJ_SK_SL_E_clISE_PsSF_SF_EESI_SY_SJ_SK_SL_EUlSY_E0_NS1_11comp_targetILNS1_3genE8ELNS1_11target_archE1030ELNS1_3gpuE2ELNS1_3repE0EEENS1_38merge_mergepath_config_static_selectorELNS0_4arch9wavefront6targetE0EEEvSK_.uses_vcc, 1
	.set _ZN7rocprim17ROCPRIM_400000_NS6detail17trampoline_kernelINS0_14default_configENS1_38merge_sort_block_merge_config_selectorIsNS0_10empty_typeEEEZZNS1_27merge_sort_block_merge_implIS3_N6thrust23THRUST_200600_302600_NS6detail15normal_iteratorINS9_10device_ptrIsEEEEPS5_m9comp_mod3IsEEE10hipError_tT0_T1_T2_jT3_P12ihipStream_tbPNSt15iterator_traitsISJ_E10value_typeEPNSP_ISK_E10value_typeEPSL_NS1_7vsmem_tEENKUlT_SJ_SK_SL_E_clISE_PsSF_SF_EESI_SY_SJ_SK_SL_EUlSY_E0_NS1_11comp_targetILNS1_3genE8ELNS1_11target_archE1030ELNS1_3gpuE2ELNS1_3repE0EEENS1_38merge_mergepath_config_static_selectorELNS0_4arch9wavefront6targetE0EEEvSK_.uses_flat_scratch, 0
	.set _ZN7rocprim17ROCPRIM_400000_NS6detail17trampoline_kernelINS0_14default_configENS1_38merge_sort_block_merge_config_selectorIsNS0_10empty_typeEEEZZNS1_27merge_sort_block_merge_implIS3_N6thrust23THRUST_200600_302600_NS6detail15normal_iteratorINS9_10device_ptrIsEEEEPS5_m9comp_mod3IsEEE10hipError_tT0_T1_T2_jT3_P12ihipStream_tbPNSt15iterator_traitsISJ_E10value_typeEPNSP_ISK_E10value_typeEPSL_NS1_7vsmem_tEENKUlT_SJ_SK_SL_E_clISE_PsSF_SF_EESI_SY_SJ_SK_SL_EUlSY_E0_NS1_11comp_targetILNS1_3genE8ELNS1_11target_archE1030ELNS1_3gpuE2ELNS1_3repE0EEENS1_38merge_mergepath_config_static_selectorELNS0_4arch9wavefront6targetE0EEEvSK_.has_dyn_sized_stack, 0
	.set _ZN7rocprim17ROCPRIM_400000_NS6detail17trampoline_kernelINS0_14default_configENS1_38merge_sort_block_merge_config_selectorIsNS0_10empty_typeEEEZZNS1_27merge_sort_block_merge_implIS3_N6thrust23THRUST_200600_302600_NS6detail15normal_iteratorINS9_10device_ptrIsEEEEPS5_m9comp_mod3IsEEE10hipError_tT0_T1_T2_jT3_P12ihipStream_tbPNSt15iterator_traitsISJ_E10value_typeEPNSP_ISK_E10value_typeEPSL_NS1_7vsmem_tEENKUlT_SJ_SK_SL_E_clISE_PsSF_SF_EESI_SY_SJ_SK_SL_EUlSY_E0_NS1_11comp_targetILNS1_3genE8ELNS1_11target_archE1030ELNS1_3gpuE2ELNS1_3repE0EEENS1_38merge_mergepath_config_static_selectorELNS0_4arch9wavefront6targetE0EEEvSK_.has_recursion, 0
	.set _ZN7rocprim17ROCPRIM_400000_NS6detail17trampoline_kernelINS0_14default_configENS1_38merge_sort_block_merge_config_selectorIsNS0_10empty_typeEEEZZNS1_27merge_sort_block_merge_implIS3_N6thrust23THRUST_200600_302600_NS6detail15normal_iteratorINS9_10device_ptrIsEEEEPS5_m9comp_mod3IsEEE10hipError_tT0_T1_T2_jT3_P12ihipStream_tbPNSt15iterator_traitsISJ_E10value_typeEPNSP_ISK_E10value_typeEPSL_NS1_7vsmem_tEENKUlT_SJ_SK_SL_E_clISE_PsSF_SF_EESI_SY_SJ_SK_SL_EUlSY_E0_NS1_11comp_targetILNS1_3genE8ELNS1_11target_archE1030ELNS1_3gpuE2ELNS1_3repE0EEENS1_38merge_mergepath_config_static_selectorELNS0_4arch9wavefront6targetE0EEEvSK_.has_indirect_call, 0
	.section	.AMDGPU.csdata,"",@progbits
; Kernel info:
; codeLenInByte = 5176
; TotalNumSgprs: 34
; NumVgprs: 29
; ScratchSize: 0
; MemoryBound: 0
; FloatMode: 240
; IeeeMode: 1
; LDSByteSize: 2112 bytes/workgroup (compile time only)
; SGPRBlocks: 0
; VGPRBlocks: 3
; NumSGPRsForWavesPerEU: 34
; NumVGPRsForWavesPerEU: 29
; Occupancy: 16
; WaveLimiterHint : 1
; COMPUTE_PGM_RSRC2:SCRATCH_EN: 0
; COMPUTE_PGM_RSRC2:USER_SGPR: 6
; COMPUTE_PGM_RSRC2:TRAP_HANDLER: 0
; COMPUTE_PGM_RSRC2:TGID_X_EN: 1
; COMPUTE_PGM_RSRC2:TGID_Y_EN: 1
; COMPUTE_PGM_RSRC2:TGID_Z_EN: 1
; COMPUTE_PGM_RSRC2:TIDIG_COMP_CNT: 0
	.section	.text._ZN7rocprim17ROCPRIM_400000_NS6detail17trampoline_kernelINS0_14default_configENS1_38merge_sort_block_merge_config_selectorIsNS0_10empty_typeEEEZZNS1_27merge_sort_block_merge_implIS3_N6thrust23THRUST_200600_302600_NS6detail15normal_iteratorINS9_10device_ptrIsEEEEPS5_m9comp_mod3IsEEE10hipError_tT0_T1_T2_jT3_P12ihipStream_tbPNSt15iterator_traitsISJ_E10value_typeEPNSP_ISK_E10value_typeEPSL_NS1_7vsmem_tEENKUlT_SJ_SK_SL_E_clISE_PsSF_SF_EESI_SY_SJ_SK_SL_EUlSY_E1_NS1_11comp_targetILNS1_3genE0ELNS1_11target_archE4294967295ELNS1_3gpuE0ELNS1_3repE0EEENS1_36merge_oddeven_config_static_selectorELNS0_4arch9wavefront6targetE0EEEvSK_,"axG",@progbits,_ZN7rocprim17ROCPRIM_400000_NS6detail17trampoline_kernelINS0_14default_configENS1_38merge_sort_block_merge_config_selectorIsNS0_10empty_typeEEEZZNS1_27merge_sort_block_merge_implIS3_N6thrust23THRUST_200600_302600_NS6detail15normal_iteratorINS9_10device_ptrIsEEEEPS5_m9comp_mod3IsEEE10hipError_tT0_T1_T2_jT3_P12ihipStream_tbPNSt15iterator_traitsISJ_E10value_typeEPNSP_ISK_E10value_typeEPSL_NS1_7vsmem_tEENKUlT_SJ_SK_SL_E_clISE_PsSF_SF_EESI_SY_SJ_SK_SL_EUlSY_E1_NS1_11comp_targetILNS1_3genE0ELNS1_11target_archE4294967295ELNS1_3gpuE0ELNS1_3repE0EEENS1_36merge_oddeven_config_static_selectorELNS0_4arch9wavefront6targetE0EEEvSK_,comdat
	.protected	_ZN7rocprim17ROCPRIM_400000_NS6detail17trampoline_kernelINS0_14default_configENS1_38merge_sort_block_merge_config_selectorIsNS0_10empty_typeEEEZZNS1_27merge_sort_block_merge_implIS3_N6thrust23THRUST_200600_302600_NS6detail15normal_iteratorINS9_10device_ptrIsEEEEPS5_m9comp_mod3IsEEE10hipError_tT0_T1_T2_jT3_P12ihipStream_tbPNSt15iterator_traitsISJ_E10value_typeEPNSP_ISK_E10value_typeEPSL_NS1_7vsmem_tEENKUlT_SJ_SK_SL_E_clISE_PsSF_SF_EESI_SY_SJ_SK_SL_EUlSY_E1_NS1_11comp_targetILNS1_3genE0ELNS1_11target_archE4294967295ELNS1_3gpuE0ELNS1_3repE0EEENS1_36merge_oddeven_config_static_selectorELNS0_4arch9wavefront6targetE0EEEvSK_ ; -- Begin function _ZN7rocprim17ROCPRIM_400000_NS6detail17trampoline_kernelINS0_14default_configENS1_38merge_sort_block_merge_config_selectorIsNS0_10empty_typeEEEZZNS1_27merge_sort_block_merge_implIS3_N6thrust23THRUST_200600_302600_NS6detail15normal_iteratorINS9_10device_ptrIsEEEEPS5_m9comp_mod3IsEEE10hipError_tT0_T1_T2_jT3_P12ihipStream_tbPNSt15iterator_traitsISJ_E10value_typeEPNSP_ISK_E10value_typeEPSL_NS1_7vsmem_tEENKUlT_SJ_SK_SL_E_clISE_PsSF_SF_EESI_SY_SJ_SK_SL_EUlSY_E1_NS1_11comp_targetILNS1_3genE0ELNS1_11target_archE4294967295ELNS1_3gpuE0ELNS1_3repE0EEENS1_36merge_oddeven_config_static_selectorELNS0_4arch9wavefront6targetE0EEEvSK_
	.globl	_ZN7rocprim17ROCPRIM_400000_NS6detail17trampoline_kernelINS0_14default_configENS1_38merge_sort_block_merge_config_selectorIsNS0_10empty_typeEEEZZNS1_27merge_sort_block_merge_implIS3_N6thrust23THRUST_200600_302600_NS6detail15normal_iteratorINS9_10device_ptrIsEEEEPS5_m9comp_mod3IsEEE10hipError_tT0_T1_T2_jT3_P12ihipStream_tbPNSt15iterator_traitsISJ_E10value_typeEPNSP_ISK_E10value_typeEPSL_NS1_7vsmem_tEENKUlT_SJ_SK_SL_E_clISE_PsSF_SF_EESI_SY_SJ_SK_SL_EUlSY_E1_NS1_11comp_targetILNS1_3genE0ELNS1_11target_archE4294967295ELNS1_3gpuE0ELNS1_3repE0EEENS1_36merge_oddeven_config_static_selectorELNS0_4arch9wavefront6targetE0EEEvSK_
	.p2align	8
	.type	_ZN7rocprim17ROCPRIM_400000_NS6detail17trampoline_kernelINS0_14default_configENS1_38merge_sort_block_merge_config_selectorIsNS0_10empty_typeEEEZZNS1_27merge_sort_block_merge_implIS3_N6thrust23THRUST_200600_302600_NS6detail15normal_iteratorINS9_10device_ptrIsEEEEPS5_m9comp_mod3IsEEE10hipError_tT0_T1_T2_jT3_P12ihipStream_tbPNSt15iterator_traitsISJ_E10value_typeEPNSP_ISK_E10value_typeEPSL_NS1_7vsmem_tEENKUlT_SJ_SK_SL_E_clISE_PsSF_SF_EESI_SY_SJ_SK_SL_EUlSY_E1_NS1_11comp_targetILNS1_3genE0ELNS1_11target_archE4294967295ELNS1_3gpuE0ELNS1_3repE0EEENS1_36merge_oddeven_config_static_selectorELNS0_4arch9wavefront6targetE0EEEvSK_,@function
_ZN7rocprim17ROCPRIM_400000_NS6detail17trampoline_kernelINS0_14default_configENS1_38merge_sort_block_merge_config_selectorIsNS0_10empty_typeEEEZZNS1_27merge_sort_block_merge_implIS3_N6thrust23THRUST_200600_302600_NS6detail15normal_iteratorINS9_10device_ptrIsEEEEPS5_m9comp_mod3IsEEE10hipError_tT0_T1_T2_jT3_P12ihipStream_tbPNSt15iterator_traitsISJ_E10value_typeEPNSP_ISK_E10value_typeEPSL_NS1_7vsmem_tEENKUlT_SJ_SK_SL_E_clISE_PsSF_SF_EESI_SY_SJ_SK_SL_EUlSY_E1_NS1_11comp_targetILNS1_3genE0ELNS1_11target_archE4294967295ELNS1_3gpuE0ELNS1_3repE0EEENS1_36merge_oddeven_config_static_selectorELNS0_4arch9wavefront6targetE0EEEvSK_: ; @_ZN7rocprim17ROCPRIM_400000_NS6detail17trampoline_kernelINS0_14default_configENS1_38merge_sort_block_merge_config_selectorIsNS0_10empty_typeEEEZZNS1_27merge_sort_block_merge_implIS3_N6thrust23THRUST_200600_302600_NS6detail15normal_iteratorINS9_10device_ptrIsEEEEPS5_m9comp_mod3IsEEE10hipError_tT0_T1_T2_jT3_P12ihipStream_tbPNSt15iterator_traitsISJ_E10value_typeEPNSP_ISK_E10value_typeEPSL_NS1_7vsmem_tEENKUlT_SJ_SK_SL_E_clISE_PsSF_SF_EESI_SY_SJ_SK_SL_EUlSY_E1_NS1_11comp_targetILNS1_3genE0ELNS1_11target_archE4294967295ELNS1_3gpuE0ELNS1_3repE0EEENS1_36merge_oddeven_config_static_selectorELNS0_4arch9wavefront6targetE0EEEvSK_
; %bb.0:
	.section	.rodata,"a",@progbits
	.p2align	6, 0x0
	.amdhsa_kernel _ZN7rocprim17ROCPRIM_400000_NS6detail17trampoline_kernelINS0_14default_configENS1_38merge_sort_block_merge_config_selectorIsNS0_10empty_typeEEEZZNS1_27merge_sort_block_merge_implIS3_N6thrust23THRUST_200600_302600_NS6detail15normal_iteratorINS9_10device_ptrIsEEEEPS5_m9comp_mod3IsEEE10hipError_tT0_T1_T2_jT3_P12ihipStream_tbPNSt15iterator_traitsISJ_E10value_typeEPNSP_ISK_E10value_typeEPSL_NS1_7vsmem_tEENKUlT_SJ_SK_SL_E_clISE_PsSF_SF_EESI_SY_SJ_SK_SL_EUlSY_E1_NS1_11comp_targetILNS1_3genE0ELNS1_11target_archE4294967295ELNS1_3gpuE0ELNS1_3repE0EEENS1_36merge_oddeven_config_static_selectorELNS0_4arch9wavefront6targetE0EEEvSK_
		.amdhsa_group_segment_fixed_size 0
		.amdhsa_private_segment_fixed_size 0
		.amdhsa_kernarg_size 56
		.amdhsa_user_sgpr_count 6
		.amdhsa_user_sgpr_private_segment_buffer 1
		.amdhsa_user_sgpr_dispatch_ptr 0
		.amdhsa_user_sgpr_queue_ptr 0
		.amdhsa_user_sgpr_kernarg_segment_ptr 1
		.amdhsa_user_sgpr_dispatch_id 0
		.amdhsa_user_sgpr_flat_scratch_init 0
		.amdhsa_user_sgpr_private_segment_size 0
		.amdhsa_wavefront_size32 1
		.amdhsa_uses_dynamic_stack 0
		.amdhsa_system_sgpr_private_segment_wavefront_offset 0
		.amdhsa_system_sgpr_workgroup_id_x 1
		.amdhsa_system_sgpr_workgroup_id_y 0
		.amdhsa_system_sgpr_workgroup_id_z 0
		.amdhsa_system_sgpr_workgroup_info 0
		.amdhsa_system_vgpr_workitem_id 0
		.amdhsa_next_free_vgpr 1
		.amdhsa_next_free_sgpr 1
		.amdhsa_reserve_vcc 0
		.amdhsa_reserve_flat_scratch 0
		.amdhsa_float_round_mode_32 0
		.amdhsa_float_round_mode_16_64 0
		.amdhsa_float_denorm_mode_32 3
		.amdhsa_float_denorm_mode_16_64 3
		.amdhsa_dx10_clamp 1
		.amdhsa_ieee_mode 1
		.amdhsa_fp16_overflow 0
		.amdhsa_workgroup_processor_mode 1
		.amdhsa_memory_ordered 1
		.amdhsa_forward_progress 1
		.amdhsa_shared_vgpr_count 0
		.amdhsa_exception_fp_ieee_invalid_op 0
		.amdhsa_exception_fp_denorm_src 0
		.amdhsa_exception_fp_ieee_div_zero 0
		.amdhsa_exception_fp_ieee_overflow 0
		.amdhsa_exception_fp_ieee_underflow 0
		.amdhsa_exception_fp_ieee_inexact 0
		.amdhsa_exception_int_div_zero 0
	.end_amdhsa_kernel
	.section	.text._ZN7rocprim17ROCPRIM_400000_NS6detail17trampoline_kernelINS0_14default_configENS1_38merge_sort_block_merge_config_selectorIsNS0_10empty_typeEEEZZNS1_27merge_sort_block_merge_implIS3_N6thrust23THRUST_200600_302600_NS6detail15normal_iteratorINS9_10device_ptrIsEEEEPS5_m9comp_mod3IsEEE10hipError_tT0_T1_T2_jT3_P12ihipStream_tbPNSt15iterator_traitsISJ_E10value_typeEPNSP_ISK_E10value_typeEPSL_NS1_7vsmem_tEENKUlT_SJ_SK_SL_E_clISE_PsSF_SF_EESI_SY_SJ_SK_SL_EUlSY_E1_NS1_11comp_targetILNS1_3genE0ELNS1_11target_archE4294967295ELNS1_3gpuE0ELNS1_3repE0EEENS1_36merge_oddeven_config_static_selectorELNS0_4arch9wavefront6targetE0EEEvSK_,"axG",@progbits,_ZN7rocprim17ROCPRIM_400000_NS6detail17trampoline_kernelINS0_14default_configENS1_38merge_sort_block_merge_config_selectorIsNS0_10empty_typeEEEZZNS1_27merge_sort_block_merge_implIS3_N6thrust23THRUST_200600_302600_NS6detail15normal_iteratorINS9_10device_ptrIsEEEEPS5_m9comp_mod3IsEEE10hipError_tT0_T1_T2_jT3_P12ihipStream_tbPNSt15iterator_traitsISJ_E10value_typeEPNSP_ISK_E10value_typeEPSL_NS1_7vsmem_tEENKUlT_SJ_SK_SL_E_clISE_PsSF_SF_EESI_SY_SJ_SK_SL_EUlSY_E1_NS1_11comp_targetILNS1_3genE0ELNS1_11target_archE4294967295ELNS1_3gpuE0ELNS1_3repE0EEENS1_36merge_oddeven_config_static_selectorELNS0_4arch9wavefront6targetE0EEEvSK_,comdat
.Lfunc_end1086:
	.size	_ZN7rocprim17ROCPRIM_400000_NS6detail17trampoline_kernelINS0_14default_configENS1_38merge_sort_block_merge_config_selectorIsNS0_10empty_typeEEEZZNS1_27merge_sort_block_merge_implIS3_N6thrust23THRUST_200600_302600_NS6detail15normal_iteratorINS9_10device_ptrIsEEEEPS5_m9comp_mod3IsEEE10hipError_tT0_T1_T2_jT3_P12ihipStream_tbPNSt15iterator_traitsISJ_E10value_typeEPNSP_ISK_E10value_typeEPSL_NS1_7vsmem_tEENKUlT_SJ_SK_SL_E_clISE_PsSF_SF_EESI_SY_SJ_SK_SL_EUlSY_E1_NS1_11comp_targetILNS1_3genE0ELNS1_11target_archE4294967295ELNS1_3gpuE0ELNS1_3repE0EEENS1_36merge_oddeven_config_static_selectorELNS0_4arch9wavefront6targetE0EEEvSK_, .Lfunc_end1086-_ZN7rocprim17ROCPRIM_400000_NS6detail17trampoline_kernelINS0_14default_configENS1_38merge_sort_block_merge_config_selectorIsNS0_10empty_typeEEEZZNS1_27merge_sort_block_merge_implIS3_N6thrust23THRUST_200600_302600_NS6detail15normal_iteratorINS9_10device_ptrIsEEEEPS5_m9comp_mod3IsEEE10hipError_tT0_T1_T2_jT3_P12ihipStream_tbPNSt15iterator_traitsISJ_E10value_typeEPNSP_ISK_E10value_typeEPSL_NS1_7vsmem_tEENKUlT_SJ_SK_SL_E_clISE_PsSF_SF_EESI_SY_SJ_SK_SL_EUlSY_E1_NS1_11comp_targetILNS1_3genE0ELNS1_11target_archE4294967295ELNS1_3gpuE0ELNS1_3repE0EEENS1_36merge_oddeven_config_static_selectorELNS0_4arch9wavefront6targetE0EEEvSK_
                                        ; -- End function
	.set _ZN7rocprim17ROCPRIM_400000_NS6detail17trampoline_kernelINS0_14default_configENS1_38merge_sort_block_merge_config_selectorIsNS0_10empty_typeEEEZZNS1_27merge_sort_block_merge_implIS3_N6thrust23THRUST_200600_302600_NS6detail15normal_iteratorINS9_10device_ptrIsEEEEPS5_m9comp_mod3IsEEE10hipError_tT0_T1_T2_jT3_P12ihipStream_tbPNSt15iterator_traitsISJ_E10value_typeEPNSP_ISK_E10value_typeEPSL_NS1_7vsmem_tEENKUlT_SJ_SK_SL_E_clISE_PsSF_SF_EESI_SY_SJ_SK_SL_EUlSY_E1_NS1_11comp_targetILNS1_3genE0ELNS1_11target_archE4294967295ELNS1_3gpuE0ELNS1_3repE0EEENS1_36merge_oddeven_config_static_selectorELNS0_4arch9wavefront6targetE0EEEvSK_.num_vgpr, 0
	.set _ZN7rocprim17ROCPRIM_400000_NS6detail17trampoline_kernelINS0_14default_configENS1_38merge_sort_block_merge_config_selectorIsNS0_10empty_typeEEEZZNS1_27merge_sort_block_merge_implIS3_N6thrust23THRUST_200600_302600_NS6detail15normal_iteratorINS9_10device_ptrIsEEEEPS5_m9comp_mod3IsEEE10hipError_tT0_T1_T2_jT3_P12ihipStream_tbPNSt15iterator_traitsISJ_E10value_typeEPNSP_ISK_E10value_typeEPSL_NS1_7vsmem_tEENKUlT_SJ_SK_SL_E_clISE_PsSF_SF_EESI_SY_SJ_SK_SL_EUlSY_E1_NS1_11comp_targetILNS1_3genE0ELNS1_11target_archE4294967295ELNS1_3gpuE0ELNS1_3repE0EEENS1_36merge_oddeven_config_static_selectorELNS0_4arch9wavefront6targetE0EEEvSK_.num_agpr, 0
	.set _ZN7rocprim17ROCPRIM_400000_NS6detail17trampoline_kernelINS0_14default_configENS1_38merge_sort_block_merge_config_selectorIsNS0_10empty_typeEEEZZNS1_27merge_sort_block_merge_implIS3_N6thrust23THRUST_200600_302600_NS6detail15normal_iteratorINS9_10device_ptrIsEEEEPS5_m9comp_mod3IsEEE10hipError_tT0_T1_T2_jT3_P12ihipStream_tbPNSt15iterator_traitsISJ_E10value_typeEPNSP_ISK_E10value_typeEPSL_NS1_7vsmem_tEENKUlT_SJ_SK_SL_E_clISE_PsSF_SF_EESI_SY_SJ_SK_SL_EUlSY_E1_NS1_11comp_targetILNS1_3genE0ELNS1_11target_archE4294967295ELNS1_3gpuE0ELNS1_3repE0EEENS1_36merge_oddeven_config_static_selectorELNS0_4arch9wavefront6targetE0EEEvSK_.numbered_sgpr, 0
	.set _ZN7rocprim17ROCPRIM_400000_NS6detail17trampoline_kernelINS0_14default_configENS1_38merge_sort_block_merge_config_selectorIsNS0_10empty_typeEEEZZNS1_27merge_sort_block_merge_implIS3_N6thrust23THRUST_200600_302600_NS6detail15normal_iteratorINS9_10device_ptrIsEEEEPS5_m9comp_mod3IsEEE10hipError_tT0_T1_T2_jT3_P12ihipStream_tbPNSt15iterator_traitsISJ_E10value_typeEPNSP_ISK_E10value_typeEPSL_NS1_7vsmem_tEENKUlT_SJ_SK_SL_E_clISE_PsSF_SF_EESI_SY_SJ_SK_SL_EUlSY_E1_NS1_11comp_targetILNS1_3genE0ELNS1_11target_archE4294967295ELNS1_3gpuE0ELNS1_3repE0EEENS1_36merge_oddeven_config_static_selectorELNS0_4arch9wavefront6targetE0EEEvSK_.num_named_barrier, 0
	.set _ZN7rocprim17ROCPRIM_400000_NS6detail17trampoline_kernelINS0_14default_configENS1_38merge_sort_block_merge_config_selectorIsNS0_10empty_typeEEEZZNS1_27merge_sort_block_merge_implIS3_N6thrust23THRUST_200600_302600_NS6detail15normal_iteratorINS9_10device_ptrIsEEEEPS5_m9comp_mod3IsEEE10hipError_tT0_T1_T2_jT3_P12ihipStream_tbPNSt15iterator_traitsISJ_E10value_typeEPNSP_ISK_E10value_typeEPSL_NS1_7vsmem_tEENKUlT_SJ_SK_SL_E_clISE_PsSF_SF_EESI_SY_SJ_SK_SL_EUlSY_E1_NS1_11comp_targetILNS1_3genE0ELNS1_11target_archE4294967295ELNS1_3gpuE0ELNS1_3repE0EEENS1_36merge_oddeven_config_static_selectorELNS0_4arch9wavefront6targetE0EEEvSK_.private_seg_size, 0
	.set _ZN7rocprim17ROCPRIM_400000_NS6detail17trampoline_kernelINS0_14default_configENS1_38merge_sort_block_merge_config_selectorIsNS0_10empty_typeEEEZZNS1_27merge_sort_block_merge_implIS3_N6thrust23THRUST_200600_302600_NS6detail15normal_iteratorINS9_10device_ptrIsEEEEPS5_m9comp_mod3IsEEE10hipError_tT0_T1_T2_jT3_P12ihipStream_tbPNSt15iterator_traitsISJ_E10value_typeEPNSP_ISK_E10value_typeEPSL_NS1_7vsmem_tEENKUlT_SJ_SK_SL_E_clISE_PsSF_SF_EESI_SY_SJ_SK_SL_EUlSY_E1_NS1_11comp_targetILNS1_3genE0ELNS1_11target_archE4294967295ELNS1_3gpuE0ELNS1_3repE0EEENS1_36merge_oddeven_config_static_selectorELNS0_4arch9wavefront6targetE0EEEvSK_.uses_vcc, 0
	.set _ZN7rocprim17ROCPRIM_400000_NS6detail17trampoline_kernelINS0_14default_configENS1_38merge_sort_block_merge_config_selectorIsNS0_10empty_typeEEEZZNS1_27merge_sort_block_merge_implIS3_N6thrust23THRUST_200600_302600_NS6detail15normal_iteratorINS9_10device_ptrIsEEEEPS5_m9comp_mod3IsEEE10hipError_tT0_T1_T2_jT3_P12ihipStream_tbPNSt15iterator_traitsISJ_E10value_typeEPNSP_ISK_E10value_typeEPSL_NS1_7vsmem_tEENKUlT_SJ_SK_SL_E_clISE_PsSF_SF_EESI_SY_SJ_SK_SL_EUlSY_E1_NS1_11comp_targetILNS1_3genE0ELNS1_11target_archE4294967295ELNS1_3gpuE0ELNS1_3repE0EEENS1_36merge_oddeven_config_static_selectorELNS0_4arch9wavefront6targetE0EEEvSK_.uses_flat_scratch, 0
	.set _ZN7rocprim17ROCPRIM_400000_NS6detail17trampoline_kernelINS0_14default_configENS1_38merge_sort_block_merge_config_selectorIsNS0_10empty_typeEEEZZNS1_27merge_sort_block_merge_implIS3_N6thrust23THRUST_200600_302600_NS6detail15normal_iteratorINS9_10device_ptrIsEEEEPS5_m9comp_mod3IsEEE10hipError_tT0_T1_T2_jT3_P12ihipStream_tbPNSt15iterator_traitsISJ_E10value_typeEPNSP_ISK_E10value_typeEPSL_NS1_7vsmem_tEENKUlT_SJ_SK_SL_E_clISE_PsSF_SF_EESI_SY_SJ_SK_SL_EUlSY_E1_NS1_11comp_targetILNS1_3genE0ELNS1_11target_archE4294967295ELNS1_3gpuE0ELNS1_3repE0EEENS1_36merge_oddeven_config_static_selectorELNS0_4arch9wavefront6targetE0EEEvSK_.has_dyn_sized_stack, 0
	.set _ZN7rocprim17ROCPRIM_400000_NS6detail17trampoline_kernelINS0_14default_configENS1_38merge_sort_block_merge_config_selectorIsNS0_10empty_typeEEEZZNS1_27merge_sort_block_merge_implIS3_N6thrust23THRUST_200600_302600_NS6detail15normal_iteratorINS9_10device_ptrIsEEEEPS5_m9comp_mod3IsEEE10hipError_tT0_T1_T2_jT3_P12ihipStream_tbPNSt15iterator_traitsISJ_E10value_typeEPNSP_ISK_E10value_typeEPSL_NS1_7vsmem_tEENKUlT_SJ_SK_SL_E_clISE_PsSF_SF_EESI_SY_SJ_SK_SL_EUlSY_E1_NS1_11comp_targetILNS1_3genE0ELNS1_11target_archE4294967295ELNS1_3gpuE0ELNS1_3repE0EEENS1_36merge_oddeven_config_static_selectorELNS0_4arch9wavefront6targetE0EEEvSK_.has_recursion, 0
	.set _ZN7rocprim17ROCPRIM_400000_NS6detail17trampoline_kernelINS0_14default_configENS1_38merge_sort_block_merge_config_selectorIsNS0_10empty_typeEEEZZNS1_27merge_sort_block_merge_implIS3_N6thrust23THRUST_200600_302600_NS6detail15normal_iteratorINS9_10device_ptrIsEEEEPS5_m9comp_mod3IsEEE10hipError_tT0_T1_T2_jT3_P12ihipStream_tbPNSt15iterator_traitsISJ_E10value_typeEPNSP_ISK_E10value_typeEPSL_NS1_7vsmem_tEENKUlT_SJ_SK_SL_E_clISE_PsSF_SF_EESI_SY_SJ_SK_SL_EUlSY_E1_NS1_11comp_targetILNS1_3genE0ELNS1_11target_archE4294967295ELNS1_3gpuE0ELNS1_3repE0EEENS1_36merge_oddeven_config_static_selectorELNS0_4arch9wavefront6targetE0EEEvSK_.has_indirect_call, 0
	.section	.AMDGPU.csdata,"",@progbits
; Kernel info:
; codeLenInByte = 0
; TotalNumSgprs: 0
; NumVgprs: 0
; ScratchSize: 0
; MemoryBound: 0
; FloatMode: 240
; IeeeMode: 1
; LDSByteSize: 0 bytes/workgroup (compile time only)
; SGPRBlocks: 0
; VGPRBlocks: 0
; NumSGPRsForWavesPerEU: 1
; NumVGPRsForWavesPerEU: 1
; Occupancy: 16
; WaveLimiterHint : 0
; COMPUTE_PGM_RSRC2:SCRATCH_EN: 0
; COMPUTE_PGM_RSRC2:USER_SGPR: 6
; COMPUTE_PGM_RSRC2:TRAP_HANDLER: 0
; COMPUTE_PGM_RSRC2:TGID_X_EN: 1
; COMPUTE_PGM_RSRC2:TGID_Y_EN: 0
; COMPUTE_PGM_RSRC2:TGID_Z_EN: 0
; COMPUTE_PGM_RSRC2:TIDIG_COMP_CNT: 0
	.section	.text._ZN7rocprim17ROCPRIM_400000_NS6detail17trampoline_kernelINS0_14default_configENS1_38merge_sort_block_merge_config_selectorIsNS0_10empty_typeEEEZZNS1_27merge_sort_block_merge_implIS3_N6thrust23THRUST_200600_302600_NS6detail15normal_iteratorINS9_10device_ptrIsEEEEPS5_m9comp_mod3IsEEE10hipError_tT0_T1_T2_jT3_P12ihipStream_tbPNSt15iterator_traitsISJ_E10value_typeEPNSP_ISK_E10value_typeEPSL_NS1_7vsmem_tEENKUlT_SJ_SK_SL_E_clISE_PsSF_SF_EESI_SY_SJ_SK_SL_EUlSY_E1_NS1_11comp_targetILNS1_3genE10ELNS1_11target_archE1201ELNS1_3gpuE5ELNS1_3repE0EEENS1_36merge_oddeven_config_static_selectorELNS0_4arch9wavefront6targetE0EEEvSK_,"axG",@progbits,_ZN7rocprim17ROCPRIM_400000_NS6detail17trampoline_kernelINS0_14default_configENS1_38merge_sort_block_merge_config_selectorIsNS0_10empty_typeEEEZZNS1_27merge_sort_block_merge_implIS3_N6thrust23THRUST_200600_302600_NS6detail15normal_iteratorINS9_10device_ptrIsEEEEPS5_m9comp_mod3IsEEE10hipError_tT0_T1_T2_jT3_P12ihipStream_tbPNSt15iterator_traitsISJ_E10value_typeEPNSP_ISK_E10value_typeEPSL_NS1_7vsmem_tEENKUlT_SJ_SK_SL_E_clISE_PsSF_SF_EESI_SY_SJ_SK_SL_EUlSY_E1_NS1_11comp_targetILNS1_3genE10ELNS1_11target_archE1201ELNS1_3gpuE5ELNS1_3repE0EEENS1_36merge_oddeven_config_static_selectorELNS0_4arch9wavefront6targetE0EEEvSK_,comdat
	.protected	_ZN7rocprim17ROCPRIM_400000_NS6detail17trampoline_kernelINS0_14default_configENS1_38merge_sort_block_merge_config_selectorIsNS0_10empty_typeEEEZZNS1_27merge_sort_block_merge_implIS3_N6thrust23THRUST_200600_302600_NS6detail15normal_iteratorINS9_10device_ptrIsEEEEPS5_m9comp_mod3IsEEE10hipError_tT0_T1_T2_jT3_P12ihipStream_tbPNSt15iterator_traitsISJ_E10value_typeEPNSP_ISK_E10value_typeEPSL_NS1_7vsmem_tEENKUlT_SJ_SK_SL_E_clISE_PsSF_SF_EESI_SY_SJ_SK_SL_EUlSY_E1_NS1_11comp_targetILNS1_3genE10ELNS1_11target_archE1201ELNS1_3gpuE5ELNS1_3repE0EEENS1_36merge_oddeven_config_static_selectorELNS0_4arch9wavefront6targetE0EEEvSK_ ; -- Begin function _ZN7rocprim17ROCPRIM_400000_NS6detail17trampoline_kernelINS0_14default_configENS1_38merge_sort_block_merge_config_selectorIsNS0_10empty_typeEEEZZNS1_27merge_sort_block_merge_implIS3_N6thrust23THRUST_200600_302600_NS6detail15normal_iteratorINS9_10device_ptrIsEEEEPS5_m9comp_mod3IsEEE10hipError_tT0_T1_T2_jT3_P12ihipStream_tbPNSt15iterator_traitsISJ_E10value_typeEPNSP_ISK_E10value_typeEPSL_NS1_7vsmem_tEENKUlT_SJ_SK_SL_E_clISE_PsSF_SF_EESI_SY_SJ_SK_SL_EUlSY_E1_NS1_11comp_targetILNS1_3genE10ELNS1_11target_archE1201ELNS1_3gpuE5ELNS1_3repE0EEENS1_36merge_oddeven_config_static_selectorELNS0_4arch9wavefront6targetE0EEEvSK_
	.globl	_ZN7rocprim17ROCPRIM_400000_NS6detail17trampoline_kernelINS0_14default_configENS1_38merge_sort_block_merge_config_selectorIsNS0_10empty_typeEEEZZNS1_27merge_sort_block_merge_implIS3_N6thrust23THRUST_200600_302600_NS6detail15normal_iteratorINS9_10device_ptrIsEEEEPS5_m9comp_mod3IsEEE10hipError_tT0_T1_T2_jT3_P12ihipStream_tbPNSt15iterator_traitsISJ_E10value_typeEPNSP_ISK_E10value_typeEPSL_NS1_7vsmem_tEENKUlT_SJ_SK_SL_E_clISE_PsSF_SF_EESI_SY_SJ_SK_SL_EUlSY_E1_NS1_11comp_targetILNS1_3genE10ELNS1_11target_archE1201ELNS1_3gpuE5ELNS1_3repE0EEENS1_36merge_oddeven_config_static_selectorELNS0_4arch9wavefront6targetE0EEEvSK_
	.p2align	8
	.type	_ZN7rocprim17ROCPRIM_400000_NS6detail17trampoline_kernelINS0_14default_configENS1_38merge_sort_block_merge_config_selectorIsNS0_10empty_typeEEEZZNS1_27merge_sort_block_merge_implIS3_N6thrust23THRUST_200600_302600_NS6detail15normal_iteratorINS9_10device_ptrIsEEEEPS5_m9comp_mod3IsEEE10hipError_tT0_T1_T2_jT3_P12ihipStream_tbPNSt15iterator_traitsISJ_E10value_typeEPNSP_ISK_E10value_typeEPSL_NS1_7vsmem_tEENKUlT_SJ_SK_SL_E_clISE_PsSF_SF_EESI_SY_SJ_SK_SL_EUlSY_E1_NS1_11comp_targetILNS1_3genE10ELNS1_11target_archE1201ELNS1_3gpuE5ELNS1_3repE0EEENS1_36merge_oddeven_config_static_selectorELNS0_4arch9wavefront6targetE0EEEvSK_,@function
_ZN7rocprim17ROCPRIM_400000_NS6detail17trampoline_kernelINS0_14default_configENS1_38merge_sort_block_merge_config_selectorIsNS0_10empty_typeEEEZZNS1_27merge_sort_block_merge_implIS3_N6thrust23THRUST_200600_302600_NS6detail15normal_iteratorINS9_10device_ptrIsEEEEPS5_m9comp_mod3IsEEE10hipError_tT0_T1_T2_jT3_P12ihipStream_tbPNSt15iterator_traitsISJ_E10value_typeEPNSP_ISK_E10value_typeEPSL_NS1_7vsmem_tEENKUlT_SJ_SK_SL_E_clISE_PsSF_SF_EESI_SY_SJ_SK_SL_EUlSY_E1_NS1_11comp_targetILNS1_3genE10ELNS1_11target_archE1201ELNS1_3gpuE5ELNS1_3repE0EEENS1_36merge_oddeven_config_static_selectorELNS0_4arch9wavefront6targetE0EEEvSK_: ; @_ZN7rocprim17ROCPRIM_400000_NS6detail17trampoline_kernelINS0_14default_configENS1_38merge_sort_block_merge_config_selectorIsNS0_10empty_typeEEEZZNS1_27merge_sort_block_merge_implIS3_N6thrust23THRUST_200600_302600_NS6detail15normal_iteratorINS9_10device_ptrIsEEEEPS5_m9comp_mod3IsEEE10hipError_tT0_T1_T2_jT3_P12ihipStream_tbPNSt15iterator_traitsISJ_E10value_typeEPNSP_ISK_E10value_typeEPSL_NS1_7vsmem_tEENKUlT_SJ_SK_SL_E_clISE_PsSF_SF_EESI_SY_SJ_SK_SL_EUlSY_E1_NS1_11comp_targetILNS1_3genE10ELNS1_11target_archE1201ELNS1_3gpuE5ELNS1_3repE0EEENS1_36merge_oddeven_config_static_selectorELNS0_4arch9wavefront6targetE0EEEvSK_
; %bb.0:
	.section	.rodata,"a",@progbits
	.p2align	6, 0x0
	.amdhsa_kernel _ZN7rocprim17ROCPRIM_400000_NS6detail17trampoline_kernelINS0_14default_configENS1_38merge_sort_block_merge_config_selectorIsNS0_10empty_typeEEEZZNS1_27merge_sort_block_merge_implIS3_N6thrust23THRUST_200600_302600_NS6detail15normal_iteratorINS9_10device_ptrIsEEEEPS5_m9comp_mod3IsEEE10hipError_tT0_T1_T2_jT3_P12ihipStream_tbPNSt15iterator_traitsISJ_E10value_typeEPNSP_ISK_E10value_typeEPSL_NS1_7vsmem_tEENKUlT_SJ_SK_SL_E_clISE_PsSF_SF_EESI_SY_SJ_SK_SL_EUlSY_E1_NS1_11comp_targetILNS1_3genE10ELNS1_11target_archE1201ELNS1_3gpuE5ELNS1_3repE0EEENS1_36merge_oddeven_config_static_selectorELNS0_4arch9wavefront6targetE0EEEvSK_
		.amdhsa_group_segment_fixed_size 0
		.amdhsa_private_segment_fixed_size 0
		.amdhsa_kernarg_size 56
		.amdhsa_user_sgpr_count 6
		.amdhsa_user_sgpr_private_segment_buffer 1
		.amdhsa_user_sgpr_dispatch_ptr 0
		.amdhsa_user_sgpr_queue_ptr 0
		.amdhsa_user_sgpr_kernarg_segment_ptr 1
		.amdhsa_user_sgpr_dispatch_id 0
		.amdhsa_user_sgpr_flat_scratch_init 0
		.amdhsa_user_sgpr_private_segment_size 0
		.amdhsa_wavefront_size32 1
		.amdhsa_uses_dynamic_stack 0
		.amdhsa_system_sgpr_private_segment_wavefront_offset 0
		.amdhsa_system_sgpr_workgroup_id_x 1
		.amdhsa_system_sgpr_workgroup_id_y 0
		.amdhsa_system_sgpr_workgroup_id_z 0
		.amdhsa_system_sgpr_workgroup_info 0
		.amdhsa_system_vgpr_workitem_id 0
		.amdhsa_next_free_vgpr 1
		.amdhsa_next_free_sgpr 1
		.amdhsa_reserve_vcc 0
		.amdhsa_reserve_flat_scratch 0
		.amdhsa_float_round_mode_32 0
		.amdhsa_float_round_mode_16_64 0
		.amdhsa_float_denorm_mode_32 3
		.amdhsa_float_denorm_mode_16_64 3
		.amdhsa_dx10_clamp 1
		.amdhsa_ieee_mode 1
		.amdhsa_fp16_overflow 0
		.amdhsa_workgroup_processor_mode 1
		.amdhsa_memory_ordered 1
		.amdhsa_forward_progress 1
		.amdhsa_shared_vgpr_count 0
		.amdhsa_exception_fp_ieee_invalid_op 0
		.amdhsa_exception_fp_denorm_src 0
		.amdhsa_exception_fp_ieee_div_zero 0
		.amdhsa_exception_fp_ieee_overflow 0
		.amdhsa_exception_fp_ieee_underflow 0
		.amdhsa_exception_fp_ieee_inexact 0
		.amdhsa_exception_int_div_zero 0
	.end_amdhsa_kernel
	.section	.text._ZN7rocprim17ROCPRIM_400000_NS6detail17trampoline_kernelINS0_14default_configENS1_38merge_sort_block_merge_config_selectorIsNS0_10empty_typeEEEZZNS1_27merge_sort_block_merge_implIS3_N6thrust23THRUST_200600_302600_NS6detail15normal_iteratorINS9_10device_ptrIsEEEEPS5_m9comp_mod3IsEEE10hipError_tT0_T1_T2_jT3_P12ihipStream_tbPNSt15iterator_traitsISJ_E10value_typeEPNSP_ISK_E10value_typeEPSL_NS1_7vsmem_tEENKUlT_SJ_SK_SL_E_clISE_PsSF_SF_EESI_SY_SJ_SK_SL_EUlSY_E1_NS1_11comp_targetILNS1_3genE10ELNS1_11target_archE1201ELNS1_3gpuE5ELNS1_3repE0EEENS1_36merge_oddeven_config_static_selectorELNS0_4arch9wavefront6targetE0EEEvSK_,"axG",@progbits,_ZN7rocprim17ROCPRIM_400000_NS6detail17trampoline_kernelINS0_14default_configENS1_38merge_sort_block_merge_config_selectorIsNS0_10empty_typeEEEZZNS1_27merge_sort_block_merge_implIS3_N6thrust23THRUST_200600_302600_NS6detail15normal_iteratorINS9_10device_ptrIsEEEEPS5_m9comp_mod3IsEEE10hipError_tT0_T1_T2_jT3_P12ihipStream_tbPNSt15iterator_traitsISJ_E10value_typeEPNSP_ISK_E10value_typeEPSL_NS1_7vsmem_tEENKUlT_SJ_SK_SL_E_clISE_PsSF_SF_EESI_SY_SJ_SK_SL_EUlSY_E1_NS1_11comp_targetILNS1_3genE10ELNS1_11target_archE1201ELNS1_3gpuE5ELNS1_3repE0EEENS1_36merge_oddeven_config_static_selectorELNS0_4arch9wavefront6targetE0EEEvSK_,comdat
.Lfunc_end1087:
	.size	_ZN7rocprim17ROCPRIM_400000_NS6detail17trampoline_kernelINS0_14default_configENS1_38merge_sort_block_merge_config_selectorIsNS0_10empty_typeEEEZZNS1_27merge_sort_block_merge_implIS3_N6thrust23THRUST_200600_302600_NS6detail15normal_iteratorINS9_10device_ptrIsEEEEPS5_m9comp_mod3IsEEE10hipError_tT0_T1_T2_jT3_P12ihipStream_tbPNSt15iterator_traitsISJ_E10value_typeEPNSP_ISK_E10value_typeEPSL_NS1_7vsmem_tEENKUlT_SJ_SK_SL_E_clISE_PsSF_SF_EESI_SY_SJ_SK_SL_EUlSY_E1_NS1_11comp_targetILNS1_3genE10ELNS1_11target_archE1201ELNS1_3gpuE5ELNS1_3repE0EEENS1_36merge_oddeven_config_static_selectorELNS0_4arch9wavefront6targetE0EEEvSK_, .Lfunc_end1087-_ZN7rocprim17ROCPRIM_400000_NS6detail17trampoline_kernelINS0_14default_configENS1_38merge_sort_block_merge_config_selectorIsNS0_10empty_typeEEEZZNS1_27merge_sort_block_merge_implIS3_N6thrust23THRUST_200600_302600_NS6detail15normal_iteratorINS9_10device_ptrIsEEEEPS5_m9comp_mod3IsEEE10hipError_tT0_T1_T2_jT3_P12ihipStream_tbPNSt15iterator_traitsISJ_E10value_typeEPNSP_ISK_E10value_typeEPSL_NS1_7vsmem_tEENKUlT_SJ_SK_SL_E_clISE_PsSF_SF_EESI_SY_SJ_SK_SL_EUlSY_E1_NS1_11comp_targetILNS1_3genE10ELNS1_11target_archE1201ELNS1_3gpuE5ELNS1_3repE0EEENS1_36merge_oddeven_config_static_selectorELNS0_4arch9wavefront6targetE0EEEvSK_
                                        ; -- End function
	.set _ZN7rocprim17ROCPRIM_400000_NS6detail17trampoline_kernelINS0_14default_configENS1_38merge_sort_block_merge_config_selectorIsNS0_10empty_typeEEEZZNS1_27merge_sort_block_merge_implIS3_N6thrust23THRUST_200600_302600_NS6detail15normal_iteratorINS9_10device_ptrIsEEEEPS5_m9comp_mod3IsEEE10hipError_tT0_T1_T2_jT3_P12ihipStream_tbPNSt15iterator_traitsISJ_E10value_typeEPNSP_ISK_E10value_typeEPSL_NS1_7vsmem_tEENKUlT_SJ_SK_SL_E_clISE_PsSF_SF_EESI_SY_SJ_SK_SL_EUlSY_E1_NS1_11comp_targetILNS1_3genE10ELNS1_11target_archE1201ELNS1_3gpuE5ELNS1_3repE0EEENS1_36merge_oddeven_config_static_selectorELNS0_4arch9wavefront6targetE0EEEvSK_.num_vgpr, 0
	.set _ZN7rocprim17ROCPRIM_400000_NS6detail17trampoline_kernelINS0_14default_configENS1_38merge_sort_block_merge_config_selectorIsNS0_10empty_typeEEEZZNS1_27merge_sort_block_merge_implIS3_N6thrust23THRUST_200600_302600_NS6detail15normal_iteratorINS9_10device_ptrIsEEEEPS5_m9comp_mod3IsEEE10hipError_tT0_T1_T2_jT3_P12ihipStream_tbPNSt15iterator_traitsISJ_E10value_typeEPNSP_ISK_E10value_typeEPSL_NS1_7vsmem_tEENKUlT_SJ_SK_SL_E_clISE_PsSF_SF_EESI_SY_SJ_SK_SL_EUlSY_E1_NS1_11comp_targetILNS1_3genE10ELNS1_11target_archE1201ELNS1_3gpuE5ELNS1_3repE0EEENS1_36merge_oddeven_config_static_selectorELNS0_4arch9wavefront6targetE0EEEvSK_.num_agpr, 0
	.set _ZN7rocprim17ROCPRIM_400000_NS6detail17trampoline_kernelINS0_14default_configENS1_38merge_sort_block_merge_config_selectorIsNS0_10empty_typeEEEZZNS1_27merge_sort_block_merge_implIS3_N6thrust23THRUST_200600_302600_NS6detail15normal_iteratorINS9_10device_ptrIsEEEEPS5_m9comp_mod3IsEEE10hipError_tT0_T1_T2_jT3_P12ihipStream_tbPNSt15iterator_traitsISJ_E10value_typeEPNSP_ISK_E10value_typeEPSL_NS1_7vsmem_tEENKUlT_SJ_SK_SL_E_clISE_PsSF_SF_EESI_SY_SJ_SK_SL_EUlSY_E1_NS1_11comp_targetILNS1_3genE10ELNS1_11target_archE1201ELNS1_3gpuE5ELNS1_3repE0EEENS1_36merge_oddeven_config_static_selectorELNS0_4arch9wavefront6targetE0EEEvSK_.numbered_sgpr, 0
	.set _ZN7rocprim17ROCPRIM_400000_NS6detail17trampoline_kernelINS0_14default_configENS1_38merge_sort_block_merge_config_selectorIsNS0_10empty_typeEEEZZNS1_27merge_sort_block_merge_implIS3_N6thrust23THRUST_200600_302600_NS6detail15normal_iteratorINS9_10device_ptrIsEEEEPS5_m9comp_mod3IsEEE10hipError_tT0_T1_T2_jT3_P12ihipStream_tbPNSt15iterator_traitsISJ_E10value_typeEPNSP_ISK_E10value_typeEPSL_NS1_7vsmem_tEENKUlT_SJ_SK_SL_E_clISE_PsSF_SF_EESI_SY_SJ_SK_SL_EUlSY_E1_NS1_11comp_targetILNS1_3genE10ELNS1_11target_archE1201ELNS1_3gpuE5ELNS1_3repE0EEENS1_36merge_oddeven_config_static_selectorELNS0_4arch9wavefront6targetE0EEEvSK_.num_named_barrier, 0
	.set _ZN7rocprim17ROCPRIM_400000_NS6detail17trampoline_kernelINS0_14default_configENS1_38merge_sort_block_merge_config_selectorIsNS0_10empty_typeEEEZZNS1_27merge_sort_block_merge_implIS3_N6thrust23THRUST_200600_302600_NS6detail15normal_iteratorINS9_10device_ptrIsEEEEPS5_m9comp_mod3IsEEE10hipError_tT0_T1_T2_jT3_P12ihipStream_tbPNSt15iterator_traitsISJ_E10value_typeEPNSP_ISK_E10value_typeEPSL_NS1_7vsmem_tEENKUlT_SJ_SK_SL_E_clISE_PsSF_SF_EESI_SY_SJ_SK_SL_EUlSY_E1_NS1_11comp_targetILNS1_3genE10ELNS1_11target_archE1201ELNS1_3gpuE5ELNS1_3repE0EEENS1_36merge_oddeven_config_static_selectorELNS0_4arch9wavefront6targetE0EEEvSK_.private_seg_size, 0
	.set _ZN7rocprim17ROCPRIM_400000_NS6detail17trampoline_kernelINS0_14default_configENS1_38merge_sort_block_merge_config_selectorIsNS0_10empty_typeEEEZZNS1_27merge_sort_block_merge_implIS3_N6thrust23THRUST_200600_302600_NS6detail15normal_iteratorINS9_10device_ptrIsEEEEPS5_m9comp_mod3IsEEE10hipError_tT0_T1_T2_jT3_P12ihipStream_tbPNSt15iterator_traitsISJ_E10value_typeEPNSP_ISK_E10value_typeEPSL_NS1_7vsmem_tEENKUlT_SJ_SK_SL_E_clISE_PsSF_SF_EESI_SY_SJ_SK_SL_EUlSY_E1_NS1_11comp_targetILNS1_3genE10ELNS1_11target_archE1201ELNS1_3gpuE5ELNS1_3repE0EEENS1_36merge_oddeven_config_static_selectorELNS0_4arch9wavefront6targetE0EEEvSK_.uses_vcc, 0
	.set _ZN7rocprim17ROCPRIM_400000_NS6detail17trampoline_kernelINS0_14default_configENS1_38merge_sort_block_merge_config_selectorIsNS0_10empty_typeEEEZZNS1_27merge_sort_block_merge_implIS3_N6thrust23THRUST_200600_302600_NS6detail15normal_iteratorINS9_10device_ptrIsEEEEPS5_m9comp_mod3IsEEE10hipError_tT0_T1_T2_jT3_P12ihipStream_tbPNSt15iterator_traitsISJ_E10value_typeEPNSP_ISK_E10value_typeEPSL_NS1_7vsmem_tEENKUlT_SJ_SK_SL_E_clISE_PsSF_SF_EESI_SY_SJ_SK_SL_EUlSY_E1_NS1_11comp_targetILNS1_3genE10ELNS1_11target_archE1201ELNS1_3gpuE5ELNS1_3repE0EEENS1_36merge_oddeven_config_static_selectorELNS0_4arch9wavefront6targetE0EEEvSK_.uses_flat_scratch, 0
	.set _ZN7rocprim17ROCPRIM_400000_NS6detail17trampoline_kernelINS0_14default_configENS1_38merge_sort_block_merge_config_selectorIsNS0_10empty_typeEEEZZNS1_27merge_sort_block_merge_implIS3_N6thrust23THRUST_200600_302600_NS6detail15normal_iteratorINS9_10device_ptrIsEEEEPS5_m9comp_mod3IsEEE10hipError_tT0_T1_T2_jT3_P12ihipStream_tbPNSt15iterator_traitsISJ_E10value_typeEPNSP_ISK_E10value_typeEPSL_NS1_7vsmem_tEENKUlT_SJ_SK_SL_E_clISE_PsSF_SF_EESI_SY_SJ_SK_SL_EUlSY_E1_NS1_11comp_targetILNS1_3genE10ELNS1_11target_archE1201ELNS1_3gpuE5ELNS1_3repE0EEENS1_36merge_oddeven_config_static_selectorELNS0_4arch9wavefront6targetE0EEEvSK_.has_dyn_sized_stack, 0
	.set _ZN7rocprim17ROCPRIM_400000_NS6detail17trampoline_kernelINS0_14default_configENS1_38merge_sort_block_merge_config_selectorIsNS0_10empty_typeEEEZZNS1_27merge_sort_block_merge_implIS3_N6thrust23THRUST_200600_302600_NS6detail15normal_iteratorINS9_10device_ptrIsEEEEPS5_m9comp_mod3IsEEE10hipError_tT0_T1_T2_jT3_P12ihipStream_tbPNSt15iterator_traitsISJ_E10value_typeEPNSP_ISK_E10value_typeEPSL_NS1_7vsmem_tEENKUlT_SJ_SK_SL_E_clISE_PsSF_SF_EESI_SY_SJ_SK_SL_EUlSY_E1_NS1_11comp_targetILNS1_3genE10ELNS1_11target_archE1201ELNS1_3gpuE5ELNS1_3repE0EEENS1_36merge_oddeven_config_static_selectorELNS0_4arch9wavefront6targetE0EEEvSK_.has_recursion, 0
	.set _ZN7rocprim17ROCPRIM_400000_NS6detail17trampoline_kernelINS0_14default_configENS1_38merge_sort_block_merge_config_selectorIsNS0_10empty_typeEEEZZNS1_27merge_sort_block_merge_implIS3_N6thrust23THRUST_200600_302600_NS6detail15normal_iteratorINS9_10device_ptrIsEEEEPS5_m9comp_mod3IsEEE10hipError_tT0_T1_T2_jT3_P12ihipStream_tbPNSt15iterator_traitsISJ_E10value_typeEPNSP_ISK_E10value_typeEPSL_NS1_7vsmem_tEENKUlT_SJ_SK_SL_E_clISE_PsSF_SF_EESI_SY_SJ_SK_SL_EUlSY_E1_NS1_11comp_targetILNS1_3genE10ELNS1_11target_archE1201ELNS1_3gpuE5ELNS1_3repE0EEENS1_36merge_oddeven_config_static_selectorELNS0_4arch9wavefront6targetE0EEEvSK_.has_indirect_call, 0
	.section	.AMDGPU.csdata,"",@progbits
; Kernel info:
; codeLenInByte = 0
; TotalNumSgprs: 0
; NumVgprs: 0
; ScratchSize: 0
; MemoryBound: 0
; FloatMode: 240
; IeeeMode: 1
; LDSByteSize: 0 bytes/workgroup (compile time only)
; SGPRBlocks: 0
; VGPRBlocks: 0
; NumSGPRsForWavesPerEU: 1
; NumVGPRsForWavesPerEU: 1
; Occupancy: 16
; WaveLimiterHint : 0
; COMPUTE_PGM_RSRC2:SCRATCH_EN: 0
; COMPUTE_PGM_RSRC2:USER_SGPR: 6
; COMPUTE_PGM_RSRC2:TRAP_HANDLER: 0
; COMPUTE_PGM_RSRC2:TGID_X_EN: 1
; COMPUTE_PGM_RSRC2:TGID_Y_EN: 0
; COMPUTE_PGM_RSRC2:TGID_Z_EN: 0
; COMPUTE_PGM_RSRC2:TIDIG_COMP_CNT: 0
	.section	.text._ZN7rocprim17ROCPRIM_400000_NS6detail17trampoline_kernelINS0_14default_configENS1_38merge_sort_block_merge_config_selectorIsNS0_10empty_typeEEEZZNS1_27merge_sort_block_merge_implIS3_N6thrust23THRUST_200600_302600_NS6detail15normal_iteratorINS9_10device_ptrIsEEEEPS5_m9comp_mod3IsEEE10hipError_tT0_T1_T2_jT3_P12ihipStream_tbPNSt15iterator_traitsISJ_E10value_typeEPNSP_ISK_E10value_typeEPSL_NS1_7vsmem_tEENKUlT_SJ_SK_SL_E_clISE_PsSF_SF_EESI_SY_SJ_SK_SL_EUlSY_E1_NS1_11comp_targetILNS1_3genE5ELNS1_11target_archE942ELNS1_3gpuE9ELNS1_3repE0EEENS1_36merge_oddeven_config_static_selectorELNS0_4arch9wavefront6targetE0EEEvSK_,"axG",@progbits,_ZN7rocprim17ROCPRIM_400000_NS6detail17trampoline_kernelINS0_14default_configENS1_38merge_sort_block_merge_config_selectorIsNS0_10empty_typeEEEZZNS1_27merge_sort_block_merge_implIS3_N6thrust23THRUST_200600_302600_NS6detail15normal_iteratorINS9_10device_ptrIsEEEEPS5_m9comp_mod3IsEEE10hipError_tT0_T1_T2_jT3_P12ihipStream_tbPNSt15iterator_traitsISJ_E10value_typeEPNSP_ISK_E10value_typeEPSL_NS1_7vsmem_tEENKUlT_SJ_SK_SL_E_clISE_PsSF_SF_EESI_SY_SJ_SK_SL_EUlSY_E1_NS1_11comp_targetILNS1_3genE5ELNS1_11target_archE942ELNS1_3gpuE9ELNS1_3repE0EEENS1_36merge_oddeven_config_static_selectorELNS0_4arch9wavefront6targetE0EEEvSK_,comdat
	.protected	_ZN7rocprim17ROCPRIM_400000_NS6detail17trampoline_kernelINS0_14default_configENS1_38merge_sort_block_merge_config_selectorIsNS0_10empty_typeEEEZZNS1_27merge_sort_block_merge_implIS3_N6thrust23THRUST_200600_302600_NS6detail15normal_iteratorINS9_10device_ptrIsEEEEPS5_m9comp_mod3IsEEE10hipError_tT0_T1_T2_jT3_P12ihipStream_tbPNSt15iterator_traitsISJ_E10value_typeEPNSP_ISK_E10value_typeEPSL_NS1_7vsmem_tEENKUlT_SJ_SK_SL_E_clISE_PsSF_SF_EESI_SY_SJ_SK_SL_EUlSY_E1_NS1_11comp_targetILNS1_3genE5ELNS1_11target_archE942ELNS1_3gpuE9ELNS1_3repE0EEENS1_36merge_oddeven_config_static_selectorELNS0_4arch9wavefront6targetE0EEEvSK_ ; -- Begin function _ZN7rocprim17ROCPRIM_400000_NS6detail17trampoline_kernelINS0_14default_configENS1_38merge_sort_block_merge_config_selectorIsNS0_10empty_typeEEEZZNS1_27merge_sort_block_merge_implIS3_N6thrust23THRUST_200600_302600_NS6detail15normal_iteratorINS9_10device_ptrIsEEEEPS5_m9comp_mod3IsEEE10hipError_tT0_T1_T2_jT3_P12ihipStream_tbPNSt15iterator_traitsISJ_E10value_typeEPNSP_ISK_E10value_typeEPSL_NS1_7vsmem_tEENKUlT_SJ_SK_SL_E_clISE_PsSF_SF_EESI_SY_SJ_SK_SL_EUlSY_E1_NS1_11comp_targetILNS1_3genE5ELNS1_11target_archE942ELNS1_3gpuE9ELNS1_3repE0EEENS1_36merge_oddeven_config_static_selectorELNS0_4arch9wavefront6targetE0EEEvSK_
	.globl	_ZN7rocprim17ROCPRIM_400000_NS6detail17trampoline_kernelINS0_14default_configENS1_38merge_sort_block_merge_config_selectorIsNS0_10empty_typeEEEZZNS1_27merge_sort_block_merge_implIS3_N6thrust23THRUST_200600_302600_NS6detail15normal_iteratorINS9_10device_ptrIsEEEEPS5_m9comp_mod3IsEEE10hipError_tT0_T1_T2_jT3_P12ihipStream_tbPNSt15iterator_traitsISJ_E10value_typeEPNSP_ISK_E10value_typeEPSL_NS1_7vsmem_tEENKUlT_SJ_SK_SL_E_clISE_PsSF_SF_EESI_SY_SJ_SK_SL_EUlSY_E1_NS1_11comp_targetILNS1_3genE5ELNS1_11target_archE942ELNS1_3gpuE9ELNS1_3repE0EEENS1_36merge_oddeven_config_static_selectorELNS0_4arch9wavefront6targetE0EEEvSK_
	.p2align	8
	.type	_ZN7rocprim17ROCPRIM_400000_NS6detail17trampoline_kernelINS0_14default_configENS1_38merge_sort_block_merge_config_selectorIsNS0_10empty_typeEEEZZNS1_27merge_sort_block_merge_implIS3_N6thrust23THRUST_200600_302600_NS6detail15normal_iteratorINS9_10device_ptrIsEEEEPS5_m9comp_mod3IsEEE10hipError_tT0_T1_T2_jT3_P12ihipStream_tbPNSt15iterator_traitsISJ_E10value_typeEPNSP_ISK_E10value_typeEPSL_NS1_7vsmem_tEENKUlT_SJ_SK_SL_E_clISE_PsSF_SF_EESI_SY_SJ_SK_SL_EUlSY_E1_NS1_11comp_targetILNS1_3genE5ELNS1_11target_archE942ELNS1_3gpuE9ELNS1_3repE0EEENS1_36merge_oddeven_config_static_selectorELNS0_4arch9wavefront6targetE0EEEvSK_,@function
_ZN7rocprim17ROCPRIM_400000_NS6detail17trampoline_kernelINS0_14default_configENS1_38merge_sort_block_merge_config_selectorIsNS0_10empty_typeEEEZZNS1_27merge_sort_block_merge_implIS3_N6thrust23THRUST_200600_302600_NS6detail15normal_iteratorINS9_10device_ptrIsEEEEPS5_m9comp_mod3IsEEE10hipError_tT0_T1_T2_jT3_P12ihipStream_tbPNSt15iterator_traitsISJ_E10value_typeEPNSP_ISK_E10value_typeEPSL_NS1_7vsmem_tEENKUlT_SJ_SK_SL_E_clISE_PsSF_SF_EESI_SY_SJ_SK_SL_EUlSY_E1_NS1_11comp_targetILNS1_3genE5ELNS1_11target_archE942ELNS1_3gpuE9ELNS1_3repE0EEENS1_36merge_oddeven_config_static_selectorELNS0_4arch9wavefront6targetE0EEEvSK_: ; @_ZN7rocprim17ROCPRIM_400000_NS6detail17trampoline_kernelINS0_14default_configENS1_38merge_sort_block_merge_config_selectorIsNS0_10empty_typeEEEZZNS1_27merge_sort_block_merge_implIS3_N6thrust23THRUST_200600_302600_NS6detail15normal_iteratorINS9_10device_ptrIsEEEEPS5_m9comp_mod3IsEEE10hipError_tT0_T1_T2_jT3_P12ihipStream_tbPNSt15iterator_traitsISJ_E10value_typeEPNSP_ISK_E10value_typeEPSL_NS1_7vsmem_tEENKUlT_SJ_SK_SL_E_clISE_PsSF_SF_EESI_SY_SJ_SK_SL_EUlSY_E1_NS1_11comp_targetILNS1_3genE5ELNS1_11target_archE942ELNS1_3gpuE9ELNS1_3repE0EEENS1_36merge_oddeven_config_static_selectorELNS0_4arch9wavefront6targetE0EEEvSK_
; %bb.0:
	.section	.rodata,"a",@progbits
	.p2align	6, 0x0
	.amdhsa_kernel _ZN7rocprim17ROCPRIM_400000_NS6detail17trampoline_kernelINS0_14default_configENS1_38merge_sort_block_merge_config_selectorIsNS0_10empty_typeEEEZZNS1_27merge_sort_block_merge_implIS3_N6thrust23THRUST_200600_302600_NS6detail15normal_iteratorINS9_10device_ptrIsEEEEPS5_m9comp_mod3IsEEE10hipError_tT0_T1_T2_jT3_P12ihipStream_tbPNSt15iterator_traitsISJ_E10value_typeEPNSP_ISK_E10value_typeEPSL_NS1_7vsmem_tEENKUlT_SJ_SK_SL_E_clISE_PsSF_SF_EESI_SY_SJ_SK_SL_EUlSY_E1_NS1_11comp_targetILNS1_3genE5ELNS1_11target_archE942ELNS1_3gpuE9ELNS1_3repE0EEENS1_36merge_oddeven_config_static_selectorELNS0_4arch9wavefront6targetE0EEEvSK_
		.amdhsa_group_segment_fixed_size 0
		.amdhsa_private_segment_fixed_size 0
		.amdhsa_kernarg_size 56
		.amdhsa_user_sgpr_count 6
		.amdhsa_user_sgpr_private_segment_buffer 1
		.amdhsa_user_sgpr_dispatch_ptr 0
		.amdhsa_user_sgpr_queue_ptr 0
		.amdhsa_user_sgpr_kernarg_segment_ptr 1
		.amdhsa_user_sgpr_dispatch_id 0
		.amdhsa_user_sgpr_flat_scratch_init 0
		.amdhsa_user_sgpr_private_segment_size 0
		.amdhsa_wavefront_size32 1
		.amdhsa_uses_dynamic_stack 0
		.amdhsa_system_sgpr_private_segment_wavefront_offset 0
		.amdhsa_system_sgpr_workgroup_id_x 1
		.amdhsa_system_sgpr_workgroup_id_y 0
		.amdhsa_system_sgpr_workgroup_id_z 0
		.amdhsa_system_sgpr_workgroup_info 0
		.amdhsa_system_vgpr_workitem_id 0
		.amdhsa_next_free_vgpr 1
		.amdhsa_next_free_sgpr 1
		.amdhsa_reserve_vcc 0
		.amdhsa_reserve_flat_scratch 0
		.amdhsa_float_round_mode_32 0
		.amdhsa_float_round_mode_16_64 0
		.amdhsa_float_denorm_mode_32 3
		.amdhsa_float_denorm_mode_16_64 3
		.amdhsa_dx10_clamp 1
		.amdhsa_ieee_mode 1
		.amdhsa_fp16_overflow 0
		.amdhsa_workgroup_processor_mode 1
		.amdhsa_memory_ordered 1
		.amdhsa_forward_progress 1
		.amdhsa_shared_vgpr_count 0
		.amdhsa_exception_fp_ieee_invalid_op 0
		.amdhsa_exception_fp_denorm_src 0
		.amdhsa_exception_fp_ieee_div_zero 0
		.amdhsa_exception_fp_ieee_overflow 0
		.amdhsa_exception_fp_ieee_underflow 0
		.amdhsa_exception_fp_ieee_inexact 0
		.amdhsa_exception_int_div_zero 0
	.end_amdhsa_kernel
	.section	.text._ZN7rocprim17ROCPRIM_400000_NS6detail17trampoline_kernelINS0_14default_configENS1_38merge_sort_block_merge_config_selectorIsNS0_10empty_typeEEEZZNS1_27merge_sort_block_merge_implIS3_N6thrust23THRUST_200600_302600_NS6detail15normal_iteratorINS9_10device_ptrIsEEEEPS5_m9comp_mod3IsEEE10hipError_tT0_T1_T2_jT3_P12ihipStream_tbPNSt15iterator_traitsISJ_E10value_typeEPNSP_ISK_E10value_typeEPSL_NS1_7vsmem_tEENKUlT_SJ_SK_SL_E_clISE_PsSF_SF_EESI_SY_SJ_SK_SL_EUlSY_E1_NS1_11comp_targetILNS1_3genE5ELNS1_11target_archE942ELNS1_3gpuE9ELNS1_3repE0EEENS1_36merge_oddeven_config_static_selectorELNS0_4arch9wavefront6targetE0EEEvSK_,"axG",@progbits,_ZN7rocprim17ROCPRIM_400000_NS6detail17trampoline_kernelINS0_14default_configENS1_38merge_sort_block_merge_config_selectorIsNS0_10empty_typeEEEZZNS1_27merge_sort_block_merge_implIS3_N6thrust23THRUST_200600_302600_NS6detail15normal_iteratorINS9_10device_ptrIsEEEEPS5_m9comp_mod3IsEEE10hipError_tT0_T1_T2_jT3_P12ihipStream_tbPNSt15iterator_traitsISJ_E10value_typeEPNSP_ISK_E10value_typeEPSL_NS1_7vsmem_tEENKUlT_SJ_SK_SL_E_clISE_PsSF_SF_EESI_SY_SJ_SK_SL_EUlSY_E1_NS1_11comp_targetILNS1_3genE5ELNS1_11target_archE942ELNS1_3gpuE9ELNS1_3repE0EEENS1_36merge_oddeven_config_static_selectorELNS0_4arch9wavefront6targetE0EEEvSK_,comdat
.Lfunc_end1088:
	.size	_ZN7rocprim17ROCPRIM_400000_NS6detail17trampoline_kernelINS0_14default_configENS1_38merge_sort_block_merge_config_selectorIsNS0_10empty_typeEEEZZNS1_27merge_sort_block_merge_implIS3_N6thrust23THRUST_200600_302600_NS6detail15normal_iteratorINS9_10device_ptrIsEEEEPS5_m9comp_mod3IsEEE10hipError_tT0_T1_T2_jT3_P12ihipStream_tbPNSt15iterator_traitsISJ_E10value_typeEPNSP_ISK_E10value_typeEPSL_NS1_7vsmem_tEENKUlT_SJ_SK_SL_E_clISE_PsSF_SF_EESI_SY_SJ_SK_SL_EUlSY_E1_NS1_11comp_targetILNS1_3genE5ELNS1_11target_archE942ELNS1_3gpuE9ELNS1_3repE0EEENS1_36merge_oddeven_config_static_selectorELNS0_4arch9wavefront6targetE0EEEvSK_, .Lfunc_end1088-_ZN7rocprim17ROCPRIM_400000_NS6detail17trampoline_kernelINS0_14default_configENS1_38merge_sort_block_merge_config_selectorIsNS0_10empty_typeEEEZZNS1_27merge_sort_block_merge_implIS3_N6thrust23THRUST_200600_302600_NS6detail15normal_iteratorINS9_10device_ptrIsEEEEPS5_m9comp_mod3IsEEE10hipError_tT0_T1_T2_jT3_P12ihipStream_tbPNSt15iterator_traitsISJ_E10value_typeEPNSP_ISK_E10value_typeEPSL_NS1_7vsmem_tEENKUlT_SJ_SK_SL_E_clISE_PsSF_SF_EESI_SY_SJ_SK_SL_EUlSY_E1_NS1_11comp_targetILNS1_3genE5ELNS1_11target_archE942ELNS1_3gpuE9ELNS1_3repE0EEENS1_36merge_oddeven_config_static_selectorELNS0_4arch9wavefront6targetE0EEEvSK_
                                        ; -- End function
	.set _ZN7rocprim17ROCPRIM_400000_NS6detail17trampoline_kernelINS0_14default_configENS1_38merge_sort_block_merge_config_selectorIsNS0_10empty_typeEEEZZNS1_27merge_sort_block_merge_implIS3_N6thrust23THRUST_200600_302600_NS6detail15normal_iteratorINS9_10device_ptrIsEEEEPS5_m9comp_mod3IsEEE10hipError_tT0_T1_T2_jT3_P12ihipStream_tbPNSt15iterator_traitsISJ_E10value_typeEPNSP_ISK_E10value_typeEPSL_NS1_7vsmem_tEENKUlT_SJ_SK_SL_E_clISE_PsSF_SF_EESI_SY_SJ_SK_SL_EUlSY_E1_NS1_11comp_targetILNS1_3genE5ELNS1_11target_archE942ELNS1_3gpuE9ELNS1_3repE0EEENS1_36merge_oddeven_config_static_selectorELNS0_4arch9wavefront6targetE0EEEvSK_.num_vgpr, 0
	.set _ZN7rocprim17ROCPRIM_400000_NS6detail17trampoline_kernelINS0_14default_configENS1_38merge_sort_block_merge_config_selectorIsNS0_10empty_typeEEEZZNS1_27merge_sort_block_merge_implIS3_N6thrust23THRUST_200600_302600_NS6detail15normal_iteratorINS9_10device_ptrIsEEEEPS5_m9comp_mod3IsEEE10hipError_tT0_T1_T2_jT3_P12ihipStream_tbPNSt15iterator_traitsISJ_E10value_typeEPNSP_ISK_E10value_typeEPSL_NS1_7vsmem_tEENKUlT_SJ_SK_SL_E_clISE_PsSF_SF_EESI_SY_SJ_SK_SL_EUlSY_E1_NS1_11comp_targetILNS1_3genE5ELNS1_11target_archE942ELNS1_3gpuE9ELNS1_3repE0EEENS1_36merge_oddeven_config_static_selectorELNS0_4arch9wavefront6targetE0EEEvSK_.num_agpr, 0
	.set _ZN7rocprim17ROCPRIM_400000_NS6detail17trampoline_kernelINS0_14default_configENS1_38merge_sort_block_merge_config_selectorIsNS0_10empty_typeEEEZZNS1_27merge_sort_block_merge_implIS3_N6thrust23THRUST_200600_302600_NS6detail15normal_iteratorINS9_10device_ptrIsEEEEPS5_m9comp_mod3IsEEE10hipError_tT0_T1_T2_jT3_P12ihipStream_tbPNSt15iterator_traitsISJ_E10value_typeEPNSP_ISK_E10value_typeEPSL_NS1_7vsmem_tEENKUlT_SJ_SK_SL_E_clISE_PsSF_SF_EESI_SY_SJ_SK_SL_EUlSY_E1_NS1_11comp_targetILNS1_3genE5ELNS1_11target_archE942ELNS1_3gpuE9ELNS1_3repE0EEENS1_36merge_oddeven_config_static_selectorELNS0_4arch9wavefront6targetE0EEEvSK_.numbered_sgpr, 0
	.set _ZN7rocprim17ROCPRIM_400000_NS6detail17trampoline_kernelINS0_14default_configENS1_38merge_sort_block_merge_config_selectorIsNS0_10empty_typeEEEZZNS1_27merge_sort_block_merge_implIS3_N6thrust23THRUST_200600_302600_NS6detail15normal_iteratorINS9_10device_ptrIsEEEEPS5_m9comp_mod3IsEEE10hipError_tT0_T1_T2_jT3_P12ihipStream_tbPNSt15iterator_traitsISJ_E10value_typeEPNSP_ISK_E10value_typeEPSL_NS1_7vsmem_tEENKUlT_SJ_SK_SL_E_clISE_PsSF_SF_EESI_SY_SJ_SK_SL_EUlSY_E1_NS1_11comp_targetILNS1_3genE5ELNS1_11target_archE942ELNS1_3gpuE9ELNS1_3repE0EEENS1_36merge_oddeven_config_static_selectorELNS0_4arch9wavefront6targetE0EEEvSK_.num_named_barrier, 0
	.set _ZN7rocprim17ROCPRIM_400000_NS6detail17trampoline_kernelINS0_14default_configENS1_38merge_sort_block_merge_config_selectorIsNS0_10empty_typeEEEZZNS1_27merge_sort_block_merge_implIS3_N6thrust23THRUST_200600_302600_NS6detail15normal_iteratorINS9_10device_ptrIsEEEEPS5_m9comp_mod3IsEEE10hipError_tT0_T1_T2_jT3_P12ihipStream_tbPNSt15iterator_traitsISJ_E10value_typeEPNSP_ISK_E10value_typeEPSL_NS1_7vsmem_tEENKUlT_SJ_SK_SL_E_clISE_PsSF_SF_EESI_SY_SJ_SK_SL_EUlSY_E1_NS1_11comp_targetILNS1_3genE5ELNS1_11target_archE942ELNS1_3gpuE9ELNS1_3repE0EEENS1_36merge_oddeven_config_static_selectorELNS0_4arch9wavefront6targetE0EEEvSK_.private_seg_size, 0
	.set _ZN7rocprim17ROCPRIM_400000_NS6detail17trampoline_kernelINS0_14default_configENS1_38merge_sort_block_merge_config_selectorIsNS0_10empty_typeEEEZZNS1_27merge_sort_block_merge_implIS3_N6thrust23THRUST_200600_302600_NS6detail15normal_iteratorINS9_10device_ptrIsEEEEPS5_m9comp_mod3IsEEE10hipError_tT0_T1_T2_jT3_P12ihipStream_tbPNSt15iterator_traitsISJ_E10value_typeEPNSP_ISK_E10value_typeEPSL_NS1_7vsmem_tEENKUlT_SJ_SK_SL_E_clISE_PsSF_SF_EESI_SY_SJ_SK_SL_EUlSY_E1_NS1_11comp_targetILNS1_3genE5ELNS1_11target_archE942ELNS1_3gpuE9ELNS1_3repE0EEENS1_36merge_oddeven_config_static_selectorELNS0_4arch9wavefront6targetE0EEEvSK_.uses_vcc, 0
	.set _ZN7rocprim17ROCPRIM_400000_NS6detail17trampoline_kernelINS0_14default_configENS1_38merge_sort_block_merge_config_selectorIsNS0_10empty_typeEEEZZNS1_27merge_sort_block_merge_implIS3_N6thrust23THRUST_200600_302600_NS6detail15normal_iteratorINS9_10device_ptrIsEEEEPS5_m9comp_mod3IsEEE10hipError_tT0_T1_T2_jT3_P12ihipStream_tbPNSt15iterator_traitsISJ_E10value_typeEPNSP_ISK_E10value_typeEPSL_NS1_7vsmem_tEENKUlT_SJ_SK_SL_E_clISE_PsSF_SF_EESI_SY_SJ_SK_SL_EUlSY_E1_NS1_11comp_targetILNS1_3genE5ELNS1_11target_archE942ELNS1_3gpuE9ELNS1_3repE0EEENS1_36merge_oddeven_config_static_selectorELNS0_4arch9wavefront6targetE0EEEvSK_.uses_flat_scratch, 0
	.set _ZN7rocprim17ROCPRIM_400000_NS6detail17trampoline_kernelINS0_14default_configENS1_38merge_sort_block_merge_config_selectorIsNS0_10empty_typeEEEZZNS1_27merge_sort_block_merge_implIS3_N6thrust23THRUST_200600_302600_NS6detail15normal_iteratorINS9_10device_ptrIsEEEEPS5_m9comp_mod3IsEEE10hipError_tT0_T1_T2_jT3_P12ihipStream_tbPNSt15iterator_traitsISJ_E10value_typeEPNSP_ISK_E10value_typeEPSL_NS1_7vsmem_tEENKUlT_SJ_SK_SL_E_clISE_PsSF_SF_EESI_SY_SJ_SK_SL_EUlSY_E1_NS1_11comp_targetILNS1_3genE5ELNS1_11target_archE942ELNS1_3gpuE9ELNS1_3repE0EEENS1_36merge_oddeven_config_static_selectorELNS0_4arch9wavefront6targetE0EEEvSK_.has_dyn_sized_stack, 0
	.set _ZN7rocprim17ROCPRIM_400000_NS6detail17trampoline_kernelINS0_14default_configENS1_38merge_sort_block_merge_config_selectorIsNS0_10empty_typeEEEZZNS1_27merge_sort_block_merge_implIS3_N6thrust23THRUST_200600_302600_NS6detail15normal_iteratorINS9_10device_ptrIsEEEEPS5_m9comp_mod3IsEEE10hipError_tT0_T1_T2_jT3_P12ihipStream_tbPNSt15iterator_traitsISJ_E10value_typeEPNSP_ISK_E10value_typeEPSL_NS1_7vsmem_tEENKUlT_SJ_SK_SL_E_clISE_PsSF_SF_EESI_SY_SJ_SK_SL_EUlSY_E1_NS1_11comp_targetILNS1_3genE5ELNS1_11target_archE942ELNS1_3gpuE9ELNS1_3repE0EEENS1_36merge_oddeven_config_static_selectorELNS0_4arch9wavefront6targetE0EEEvSK_.has_recursion, 0
	.set _ZN7rocprim17ROCPRIM_400000_NS6detail17trampoline_kernelINS0_14default_configENS1_38merge_sort_block_merge_config_selectorIsNS0_10empty_typeEEEZZNS1_27merge_sort_block_merge_implIS3_N6thrust23THRUST_200600_302600_NS6detail15normal_iteratorINS9_10device_ptrIsEEEEPS5_m9comp_mod3IsEEE10hipError_tT0_T1_T2_jT3_P12ihipStream_tbPNSt15iterator_traitsISJ_E10value_typeEPNSP_ISK_E10value_typeEPSL_NS1_7vsmem_tEENKUlT_SJ_SK_SL_E_clISE_PsSF_SF_EESI_SY_SJ_SK_SL_EUlSY_E1_NS1_11comp_targetILNS1_3genE5ELNS1_11target_archE942ELNS1_3gpuE9ELNS1_3repE0EEENS1_36merge_oddeven_config_static_selectorELNS0_4arch9wavefront6targetE0EEEvSK_.has_indirect_call, 0
	.section	.AMDGPU.csdata,"",@progbits
; Kernel info:
; codeLenInByte = 0
; TotalNumSgprs: 0
; NumVgprs: 0
; ScratchSize: 0
; MemoryBound: 0
; FloatMode: 240
; IeeeMode: 1
; LDSByteSize: 0 bytes/workgroup (compile time only)
; SGPRBlocks: 0
; VGPRBlocks: 0
; NumSGPRsForWavesPerEU: 1
; NumVGPRsForWavesPerEU: 1
; Occupancy: 16
; WaveLimiterHint : 0
; COMPUTE_PGM_RSRC2:SCRATCH_EN: 0
; COMPUTE_PGM_RSRC2:USER_SGPR: 6
; COMPUTE_PGM_RSRC2:TRAP_HANDLER: 0
; COMPUTE_PGM_RSRC2:TGID_X_EN: 1
; COMPUTE_PGM_RSRC2:TGID_Y_EN: 0
; COMPUTE_PGM_RSRC2:TGID_Z_EN: 0
; COMPUTE_PGM_RSRC2:TIDIG_COMP_CNT: 0
	.section	.text._ZN7rocprim17ROCPRIM_400000_NS6detail17trampoline_kernelINS0_14default_configENS1_38merge_sort_block_merge_config_selectorIsNS0_10empty_typeEEEZZNS1_27merge_sort_block_merge_implIS3_N6thrust23THRUST_200600_302600_NS6detail15normal_iteratorINS9_10device_ptrIsEEEEPS5_m9comp_mod3IsEEE10hipError_tT0_T1_T2_jT3_P12ihipStream_tbPNSt15iterator_traitsISJ_E10value_typeEPNSP_ISK_E10value_typeEPSL_NS1_7vsmem_tEENKUlT_SJ_SK_SL_E_clISE_PsSF_SF_EESI_SY_SJ_SK_SL_EUlSY_E1_NS1_11comp_targetILNS1_3genE4ELNS1_11target_archE910ELNS1_3gpuE8ELNS1_3repE0EEENS1_36merge_oddeven_config_static_selectorELNS0_4arch9wavefront6targetE0EEEvSK_,"axG",@progbits,_ZN7rocprim17ROCPRIM_400000_NS6detail17trampoline_kernelINS0_14default_configENS1_38merge_sort_block_merge_config_selectorIsNS0_10empty_typeEEEZZNS1_27merge_sort_block_merge_implIS3_N6thrust23THRUST_200600_302600_NS6detail15normal_iteratorINS9_10device_ptrIsEEEEPS5_m9comp_mod3IsEEE10hipError_tT0_T1_T2_jT3_P12ihipStream_tbPNSt15iterator_traitsISJ_E10value_typeEPNSP_ISK_E10value_typeEPSL_NS1_7vsmem_tEENKUlT_SJ_SK_SL_E_clISE_PsSF_SF_EESI_SY_SJ_SK_SL_EUlSY_E1_NS1_11comp_targetILNS1_3genE4ELNS1_11target_archE910ELNS1_3gpuE8ELNS1_3repE0EEENS1_36merge_oddeven_config_static_selectorELNS0_4arch9wavefront6targetE0EEEvSK_,comdat
	.protected	_ZN7rocprim17ROCPRIM_400000_NS6detail17trampoline_kernelINS0_14default_configENS1_38merge_sort_block_merge_config_selectorIsNS0_10empty_typeEEEZZNS1_27merge_sort_block_merge_implIS3_N6thrust23THRUST_200600_302600_NS6detail15normal_iteratorINS9_10device_ptrIsEEEEPS5_m9comp_mod3IsEEE10hipError_tT0_T1_T2_jT3_P12ihipStream_tbPNSt15iterator_traitsISJ_E10value_typeEPNSP_ISK_E10value_typeEPSL_NS1_7vsmem_tEENKUlT_SJ_SK_SL_E_clISE_PsSF_SF_EESI_SY_SJ_SK_SL_EUlSY_E1_NS1_11comp_targetILNS1_3genE4ELNS1_11target_archE910ELNS1_3gpuE8ELNS1_3repE0EEENS1_36merge_oddeven_config_static_selectorELNS0_4arch9wavefront6targetE0EEEvSK_ ; -- Begin function _ZN7rocprim17ROCPRIM_400000_NS6detail17trampoline_kernelINS0_14default_configENS1_38merge_sort_block_merge_config_selectorIsNS0_10empty_typeEEEZZNS1_27merge_sort_block_merge_implIS3_N6thrust23THRUST_200600_302600_NS6detail15normal_iteratorINS9_10device_ptrIsEEEEPS5_m9comp_mod3IsEEE10hipError_tT0_T1_T2_jT3_P12ihipStream_tbPNSt15iterator_traitsISJ_E10value_typeEPNSP_ISK_E10value_typeEPSL_NS1_7vsmem_tEENKUlT_SJ_SK_SL_E_clISE_PsSF_SF_EESI_SY_SJ_SK_SL_EUlSY_E1_NS1_11comp_targetILNS1_3genE4ELNS1_11target_archE910ELNS1_3gpuE8ELNS1_3repE0EEENS1_36merge_oddeven_config_static_selectorELNS0_4arch9wavefront6targetE0EEEvSK_
	.globl	_ZN7rocprim17ROCPRIM_400000_NS6detail17trampoline_kernelINS0_14default_configENS1_38merge_sort_block_merge_config_selectorIsNS0_10empty_typeEEEZZNS1_27merge_sort_block_merge_implIS3_N6thrust23THRUST_200600_302600_NS6detail15normal_iteratorINS9_10device_ptrIsEEEEPS5_m9comp_mod3IsEEE10hipError_tT0_T1_T2_jT3_P12ihipStream_tbPNSt15iterator_traitsISJ_E10value_typeEPNSP_ISK_E10value_typeEPSL_NS1_7vsmem_tEENKUlT_SJ_SK_SL_E_clISE_PsSF_SF_EESI_SY_SJ_SK_SL_EUlSY_E1_NS1_11comp_targetILNS1_3genE4ELNS1_11target_archE910ELNS1_3gpuE8ELNS1_3repE0EEENS1_36merge_oddeven_config_static_selectorELNS0_4arch9wavefront6targetE0EEEvSK_
	.p2align	8
	.type	_ZN7rocprim17ROCPRIM_400000_NS6detail17trampoline_kernelINS0_14default_configENS1_38merge_sort_block_merge_config_selectorIsNS0_10empty_typeEEEZZNS1_27merge_sort_block_merge_implIS3_N6thrust23THRUST_200600_302600_NS6detail15normal_iteratorINS9_10device_ptrIsEEEEPS5_m9comp_mod3IsEEE10hipError_tT0_T1_T2_jT3_P12ihipStream_tbPNSt15iterator_traitsISJ_E10value_typeEPNSP_ISK_E10value_typeEPSL_NS1_7vsmem_tEENKUlT_SJ_SK_SL_E_clISE_PsSF_SF_EESI_SY_SJ_SK_SL_EUlSY_E1_NS1_11comp_targetILNS1_3genE4ELNS1_11target_archE910ELNS1_3gpuE8ELNS1_3repE0EEENS1_36merge_oddeven_config_static_selectorELNS0_4arch9wavefront6targetE0EEEvSK_,@function
_ZN7rocprim17ROCPRIM_400000_NS6detail17trampoline_kernelINS0_14default_configENS1_38merge_sort_block_merge_config_selectorIsNS0_10empty_typeEEEZZNS1_27merge_sort_block_merge_implIS3_N6thrust23THRUST_200600_302600_NS6detail15normal_iteratorINS9_10device_ptrIsEEEEPS5_m9comp_mod3IsEEE10hipError_tT0_T1_T2_jT3_P12ihipStream_tbPNSt15iterator_traitsISJ_E10value_typeEPNSP_ISK_E10value_typeEPSL_NS1_7vsmem_tEENKUlT_SJ_SK_SL_E_clISE_PsSF_SF_EESI_SY_SJ_SK_SL_EUlSY_E1_NS1_11comp_targetILNS1_3genE4ELNS1_11target_archE910ELNS1_3gpuE8ELNS1_3repE0EEENS1_36merge_oddeven_config_static_selectorELNS0_4arch9wavefront6targetE0EEEvSK_: ; @_ZN7rocprim17ROCPRIM_400000_NS6detail17trampoline_kernelINS0_14default_configENS1_38merge_sort_block_merge_config_selectorIsNS0_10empty_typeEEEZZNS1_27merge_sort_block_merge_implIS3_N6thrust23THRUST_200600_302600_NS6detail15normal_iteratorINS9_10device_ptrIsEEEEPS5_m9comp_mod3IsEEE10hipError_tT0_T1_T2_jT3_P12ihipStream_tbPNSt15iterator_traitsISJ_E10value_typeEPNSP_ISK_E10value_typeEPSL_NS1_7vsmem_tEENKUlT_SJ_SK_SL_E_clISE_PsSF_SF_EESI_SY_SJ_SK_SL_EUlSY_E1_NS1_11comp_targetILNS1_3genE4ELNS1_11target_archE910ELNS1_3gpuE8ELNS1_3repE0EEENS1_36merge_oddeven_config_static_selectorELNS0_4arch9wavefront6targetE0EEEvSK_
; %bb.0:
	.section	.rodata,"a",@progbits
	.p2align	6, 0x0
	.amdhsa_kernel _ZN7rocprim17ROCPRIM_400000_NS6detail17trampoline_kernelINS0_14default_configENS1_38merge_sort_block_merge_config_selectorIsNS0_10empty_typeEEEZZNS1_27merge_sort_block_merge_implIS3_N6thrust23THRUST_200600_302600_NS6detail15normal_iteratorINS9_10device_ptrIsEEEEPS5_m9comp_mod3IsEEE10hipError_tT0_T1_T2_jT3_P12ihipStream_tbPNSt15iterator_traitsISJ_E10value_typeEPNSP_ISK_E10value_typeEPSL_NS1_7vsmem_tEENKUlT_SJ_SK_SL_E_clISE_PsSF_SF_EESI_SY_SJ_SK_SL_EUlSY_E1_NS1_11comp_targetILNS1_3genE4ELNS1_11target_archE910ELNS1_3gpuE8ELNS1_3repE0EEENS1_36merge_oddeven_config_static_selectorELNS0_4arch9wavefront6targetE0EEEvSK_
		.amdhsa_group_segment_fixed_size 0
		.amdhsa_private_segment_fixed_size 0
		.amdhsa_kernarg_size 56
		.amdhsa_user_sgpr_count 6
		.amdhsa_user_sgpr_private_segment_buffer 1
		.amdhsa_user_sgpr_dispatch_ptr 0
		.amdhsa_user_sgpr_queue_ptr 0
		.amdhsa_user_sgpr_kernarg_segment_ptr 1
		.amdhsa_user_sgpr_dispatch_id 0
		.amdhsa_user_sgpr_flat_scratch_init 0
		.amdhsa_user_sgpr_private_segment_size 0
		.amdhsa_wavefront_size32 1
		.amdhsa_uses_dynamic_stack 0
		.amdhsa_system_sgpr_private_segment_wavefront_offset 0
		.amdhsa_system_sgpr_workgroup_id_x 1
		.amdhsa_system_sgpr_workgroup_id_y 0
		.amdhsa_system_sgpr_workgroup_id_z 0
		.amdhsa_system_sgpr_workgroup_info 0
		.amdhsa_system_vgpr_workitem_id 0
		.amdhsa_next_free_vgpr 1
		.amdhsa_next_free_sgpr 1
		.amdhsa_reserve_vcc 0
		.amdhsa_reserve_flat_scratch 0
		.amdhsa_float_round_mode_32 0
		.amdhsa_float_round_mode_16_64 0
		.amdhsa_float_denorm_mode_32 3
		.amdhsa_float_denorm_mode_16_64 3
		.amdhsa_dx10_clamp 1
		.amdhsa_ieee_mode 1
		.amdhsa_fp16_overflow 0
		.amdhsa_workgroup_processor_mode 1
		.amdhsa_memory_ordered 1
		.amdhsa_forward_progress 1
		.amdhsa_shared_vgpr_count 0
		.amdhsa_exception_fp_ieee_invalid_op 0
		.amdhsa_exception_fp_denorm_src 0
		.amdhsa_exception_fp_ieee_div_zero 0
		.amdhsa_exception_fp_ieee_overflow 0
		.amdhsa_exception_fp_ieee_underflow 0
		.amdhsa_exception_fp_ieee_inexact 0
		.amdhsa_exception_int_div_zero 0
	.end_amdhsa_kernel
	.section	.text._ZN7rocprim17ROCPRIM_400000_NS6detail17trampoline_kernelINS0_14default_configENS1_38merge_sort_block_merge_config_selectorIsNS0_10empty_typeEEEZZNS1_27merge_sort_block_merge_implIS3_N6thrust23THRUST_200600_302600_NS6detail15normal_iteratorINS9_10device_ptrIsEEEEPS5_m9comp_mod3IsEEE10hipError_tT0_T1_T2_jT3_P12ihipStream_tbPNSt15iterator_traitsISJ_E10value_typeEPNSP_ISK_E10value_typeEPSL_NS1_7vsmem_tEENKUlT_SJ_SK_SL_E_clISE_PsSF_SF_EESI_SY_SJ_SK_SL_EUlSY_E1_NS1_11comp_targetILNS1_3genE4ELNS1_11target_archE910ELNS1_3gpuE8ELNS1_3repE0EEENS1_36merge_oddeven_config_static_selectorELNS0_4arch9wavefront6targetE0EEEvSK_,"axG",@progbits,_ZN7rocprim17ROCPRIM_400000_NS6detail17trampoline_kernelINS0_14default_configENS1_38merge_sort_block_merge_config_selectorIsNS0_10empty_typeEEEZZNS1_27merge_sort_block_merge_implIS3_N6thrust23THRUST_200600_302600_NS6detail15normal_iteratorINS9_10device_ptrIsEEEEPS5_m9comp_mod3IsEEE10hipError_tT0_T1_T2_jT3_P12ihipStream_tbPNSt15iterator_traitsISJ_E10value_typeEPNSP_ISK_E10value_typeEPSL_NS1_7vsmem_tEENKUlT_SJ_SK_SL_E_clISE_PsSF_SF_EESI_SY_SJ_SK_SL_EUlSY_E1_NS1_11comp_targetILNS1_3genE4ELNS1_11target_archE910ELNS1_3gpuE8ELNS1_3repE0EEENS1_36merge_oddeven_config_static_selectorELNS0_4arch9wavefront6targetE0EEEvSK_,comdat
.Lfunc_end1089:
	.size	_ZN7rocprim17ROCPRIM_400000_NS6detail17trampoline_kernelINS0_14default_configENS1_38merge_sort_block_merge_config_selectorIsNS0_10empty_typeEEEZZNS1_27merge_sort_block_merge_implIS3_N6thrust23THRUST_200600_302600_NS6detail15normal_iteratorINS9_10device_ptrIsEEEEPS5_m9comp_mod3IsEEE10hipError_tT0_T1_T2_jT3_P12ihipStream_tbPNSt15iterator_traitsISJ_E10value_typeEPNSP_ISK_E10value_typeEPSL_NS1_7vsmem_tEENKUlT_SJ_SK_SL_E_clISE_PsSF_SF_EESI_SY_SJ_SK_SL_EUlSY_E1_NS1_11comp_targetILNS1_3genE4ELNS1_11target_archE910ELNS1_3gpuE8ELNS1_3repE0EEENS1_36merge_oddeven_config_static_selectorELNS0_4arch9wavefront6targetE0EEEvSK_, .Lfunc_end1089-_ZN7rocprim17ROCPRIM_400000_NS6detail17trampoline_kernelINS0_14default_configENS1_38merge_sort_block_merge_config_selectorIsNS0_10empty_typeEEEZZNS1_27merge_sort_block_merge_implIS3_N6thrust23THRUST_200600_302600_NS6detail15normal_iteratorINS9_10device_ptrIsEEEEPS5_m9comp_mod3IsEEE10hipError_tT0_T1_T2_jT3_P12ihipStream_tbPNSt15iterator_traitsISJ_E10value_typeEPNSP_ISK_E10value_typeEPSL_NS1_7vsmem_tEENKUlT_SJ_SK_SL_E_clISE_PsSF_SF_EESI_SY_SJ_SK_SL_EUlSY_E1_NS1_11comp_targetILNS1_3genE4ELNS1_11target_archE910ELNS1_3gpuE8ELNS1_3repE0EEENS1_36merge_oddeven_config_static_selectorELNS0_4arch9wavefront6targetE0EEEvSK_
                                        ; -- End function
	.set _ZN7rocprim17ROCPRIM_400000_NS6detail17trampoline_kernelINS0_14default_configENS1_38merge_sort_block_merge_config_selectorIsNS0_10empty_typeEEEZZNS1_27merge_sort_block_merge_implIS3_N6thrust23THRUST_200600_302600_NS6detail15normal_iteratorINS9_10device_ptrIsEEEEPS5_m9comp_mod3IsEEE10hipError_tT0_T1_T2_jT3_P12ihipStream_tbPNSt15iterator_traitsISJ_E10value_typeEPNSP_ISK_E10value_typeEPSL_NS1_7vsmem_tEENKUlT_SJ_SK_SL_E_clISE_PsSF_SF_EESI_SY_SJ_SK_SL_EUlSY_E1_NS1_11comp_targetILNS1_3genE4ELNS1_11target_archE910ELNS1_3gpuE8ELNS1_3repE0EEENS1_36merge_oddeven_config_static_selectorELNS0_4arch9wavefront6targetE0EEEvSK_.num_vgpr, 0
	.set _ZN7rocprim17ROCPRIM_400000_NS6detail17trampoline_kernelINS0_14default_configENS1_38merge_sort_block_merge_config_selectorIsNS0_10empty_typeEEEZZNS1_27merge_sort_block_merge_implIS3_N6thrust23THRUST_200600_302600_NS6detail15normal_iteratorINS9_10device_ptrIsEEEEPS5_m9comp_mod3IsEEE10hipError_tT0_T1_T2_jT3_P12ihipStream_tbPNSt15iterator_traitsISJ_E10value_typeEPNSP_ISK_E10value_typeEPSL_NS1_7vsmem_tEENKUlT_SJ_SK_SL_E_clISE_PsSF_SF_EESI_SY_SJ_SK_SL_EUlSY_E1_NS1_11comp_targetILNS1_3genE4ELNS1_11target_archE910ELNS1_3gpuE8ELNS1_3repE0EEENS1_36merge_oddeven_config_static_selectorELNS0_4arch9wavefront6targetE0EEEvSK_.num_agpr, 0
	.set _ZN7rocprim17ROCPRIM_400000_NS6detail17trampoline_kernelINS0_14default_configENS1_38merge_sort_block_merge_config_selectorIsNS0_10empty_typeEEEZZNS1_27merge_sort_block_merge_implIS3_N6thrust23THRUST_200600_302600_NS6detail15normal_iteratorINS9_10device_ptrIsEEEEPS5_m9comp_mod3IsEEE10hipError_tT0_T1_T2_jT3_P12ihipStream_tbPNSt15iterator_traitsISJ_E10value_typeEPNSP_ISK_E10value_typeEPSL_NS1_7vsmem_tEENKUlT_SJ_SK_SL_E_clISE_PsSF_SF_EESI_SY_SJ_SK_SL_EUlSY_E1_NS1_11comp_targetILNS1_3genE4ELNS1_11target_archE910ELNS1_3gpuE8ELNS1_3repE0EEENS1_36merge_oddeven_config_static_selectorELNS0_4arch9wavefront6targetE0EEEvSK_.numbered_sgpr, 0
	.set _ZN7rocprim17ROCPRIM_400000_NS6detail17trampoline_kernelINS0_14default_configENS1_38merge_sort_block_merge_config_selectorIsNS0_10empty_typeEEEZZNS1_27merge_sort_block_merge_implIS3_N6thrust23THRUST_200600_302600_NS6detail15normal_iteratorINS9_10device_ptrIsEEEEPS5_m9comp_mod3IsEEE10hipError_tT0_T1_T2_jT3_P12ihipStream_tbPNSt15iterator_traitsISJ_E10value_typeEPNSP_ISK_E10value_typeEPSL_NS1_7vsmem_tEENKUlT_SJ_SK_SL_E_clISE_PsSF_SF_EESI_SY_SJ_SK_SL_EUlSY_E1_NS1_11comp_targetILNS1_3genE4ELNS1_11target_archE910ELNS1_3gpuE8ELNS1_3repE0EEENS1_36merge_oddeven_config_static_selectorELNS0_4arch9wavefront6targetE0EEEvSK_.num_named_barrier, 0
	.set _ZN7rocprim17ROCPRIM_400000_NS6detail17trampoline_kernelINS0_14default_configENS1_38merge_sort_block_merge_config_selectorIsNS0_10empty_typeEEEZZNS1_27merge_sort_block_merge_implIS3_N6thrust23THRUST_200600_302600_NS6detail15normal_iteratorINS9_10device_ptrIsEEEEPS5_m9comp_mod3IsEEE10hipError_tT0_T1_T2_jT3_P12ihipStream_tbPNSt15iterator_traitsISJ_E10value_typeEPNSP_ISK_E10value_typeEPSL_NS1_7vsmem_tEENKUlT_SJ_SK_SL_E_clISE_PsSF_SF_EESI_SY_SJ_SK_SL_EUlSY_E1_NS1_11comp_targetILNS1_3genE4ELNS1_11target_archE910ELNS1_3gpuE8ELNS1_3repE0EEENS1_36merge_oddeven_config_static_selectorELNS0_4arch9wavefront6targetE0EEEvSK_.private_seg_size, 0
	.set _ZN7rocprim17ROCPRIM_400000_NS6detail17trampoline_kernelINS0_14default_configENS1_38merge_sort_block_merge_config_selectorIsNS0_10empty_typeEEEZZNS1_27merge_sort_block_merge_implIS3_N6thrust23THRUST_200600_302600_NS6detail15normal_iteratorINS9_10device_ptrIsEEEEPS5_m9comp_mod3IsEEE10hipError_tT0_T1_T2_jT3_P12ihipStream_tbPNSt15iterator_traitsISJ_E10value_typeEPNSP_ISK_E10value_typeEPSL_NS1_7vsmem_tEENKUlT_SJ_SK_SL_E_clISE_PsSF_SF_EESI_SY_SJ_SK_SL_EUlSY_E1_NS1_11comp_targetILNS1_3genE4ELNS1_11target_archE910ELNS1_3gpuE8ELNS1_3repE0EEENS1_36merge_oddeven_config_static_selectorELNS0_4arch9wavefront6targetE0EEEvSK_.uses_vcc, 0
	.set _ZN7rocprim17ROCPRIM_400000_NS6detail17trampoline_kernelINS0_14default_configENS1_38merge_sort_block_merge_config_selectorIsNS0_10empty_typeEEEZZNS1_27merge_sort_block_merge_implIS3_N6thrust23THRUST_200600_302600_NS6detail15normal_iteratorINS9_10device_ptrIsEEEEPS5_m9comp_mod3IsEEE10hipError_tT0_T1_T2_jT3_P12ihipStream_tbPNSt15iterator_traitsISJ_E10value_typeEPNSP_ISK_E10value_typeEPSL_NS1_7vsmem_tEENKUlT_SJ_SK_SL_E_clISE_PsSF_SF_EESI_SY_SJ_SK_SL_EUlSY_E1_NS1_11comp_targetILNS1_3genE4ELNS1_11target_archE910ELNS1_3gpuE8ELNS1_3repE0EEENS1_36merge_oddeven_config_static_selectorELNS0_4arch9wavefront6targetE0EEEvSK_.uses_flat_scratch, 0
	.set _ZN7rocprim17ROCPRIM_400000_NS6detail17trampoline_kernelINS0_14default_configENS1_38merge_sort_block_merge_config_selectorIsNS0_10empty_typeEEEZZNS1_27merge_sort_block_merge_implIS3_N6thrust23THRUST_200600_302600_NS6detail15normal_iteratorINS9_10device_ptrIsEEEEPS5_m9comp_mod3IsEEE10hipError_tT0_T1_T2_jT3_P12ihipStream_tbPNSt15iterator_traitsISJ_E10value_typeEPNSP_ISK_E10value_typeEPSL_NS1_7vsmem_tEENKUlT_SJ_SK_SL_E_clISE_PsSF_SF_EESI_SY_SJ_SK_SL_EUlSY_E1_NS1_11comp_targetILNS1_3genE4ELNS1_11target_archE910ELNS1_3gpuE8ELNS1_3repE0EEENS1_36merge_oddeven_config_static_selectorELNS0_4arch9wavefront6targetE0EEEvSK_.has_dyn_sized_stack, 0
	.set _ZN7rocprim17ROCPRIM_400000_NS6detail17trampoline_kernelINS0_14default_configENS1_38merge_sort_block_merge_config_selectorIsNS0_10empty_typeEEEZZNS1_27merge_sort_block_merge_implIS3_N6thrust23THRUST_200600_302600_NS6detail15normal_iteratorINS9_10device_ptrIsEEEEPS5_m9comp_mod3IsEEE10hipError_tT0_T1_T2_jT3_P12ihipStream_tbPNSt15iterator_traitsISJ_E10value_typeEPNSP_ISK_E10value_typeEPSL_NS1_7vsmem_tEENKUlT_SJ_SK_SL_E_clISE_PsSF_SF_EESI_SY_SJ_SK_SL_EUlSY_E1_NS1_11comp_targetILNS1_3genE4ELNS1_11target_archE910ELNS1_3gpuE8ELNS1_3repE0EEENS1_36merge_oddeven_config_static_selectorELNS0_4arch9wavefront6targetE0EEEvSK_.has_recursion, 0
	.set _ZN7rocprim17ROCPRIM_400000_NS6detail17trampoline_kernelINS0_14default_configENS1_38merge_sort_block_merge_config_selectorIsNS0_10empty_typeEEEZZNS1_27merge_sort_block_merge_implIS3_N6thrust23THRUST_200600_302600_NS6detail15normal_iteratorINS9_10device_ptrIsEEEEPS5_m9comp_mod3IsEEE10hipError_tT0_T1_T2_jT3_P12ihipStream_tbPNSt15iterator_traitsISJ_E10value_typeEPNSP_ISK_E10value_typeEPSL_NS1_7vsmem_tEENKUlT_SJ_SK_SL_E_clISE_PsSF_SF_EESI_SY_SJ_SK_SL_EUlSY_E1_NS1_11comp_targetILNS1_3genE4ELNS1_11target_archE910ELNS1_3gpuE8ELNS1_3repE0EEENS1_36merge_oddeven_config_static_selectorELNS0_4arch9wavefront6targetE0EEEvSK_.has_indirect_call, 0
	.section	.AMDGPU.csdata,"",@progbits
; Kernel info:
; codeLenInByte = 0
; TotalNumSgprs: 0
; NumVgprs: 0
; ScratchSize: 0
; MemoryBound: 0
; FloatMode: 240
; IeeeMode: 1
; LDSByteSize: 0 bytes/workgroup (compile time only)
; SGPRBlocks: 0
; VGPRBlocks: 0
; NumSGPRsForWavesPerEU: 1
; NumVGPRsForWavesPerEU: 1
; Occupancy: 16
; WaveLimiterHint : 0
; COMPUTE_PGM_RSRC2:SCRATCH_EN: 0
; COMPUTE_PGM_RSRC2:USER_SGPR: 6
; COMPUTE_PGM_RSRC2:TRAP_HANDLER: 0
; COMPUTE_PGM_RSRC2:TGID_X_EN: 1
; COMPUTE_PGM_RSRC2:TGID_Y_EN: 0
; COMPUTE_PGM_RSRC2:TGID_Z_EN: 0
; COMPUTE_PGM_RSRC2:TIDIG_COMP_CNT: 0
	.section	.text._ZN7rocprim17ROCPRIM_400000_NS6detail17trampoline_kernelINS0_14default_configENS1_38merge_sort_block_merge_config_selectorIsNS0_10empty_typeEEEZZNS1_27merge_sort_block_merge_implIS3_N6thrust23THRUST_200600_302600_NS6detail15normal_iteratorINS9_10device_ptrIsEEEEPS5_m9comp_mod3IsEEE10hipError_tT0_T1_T2_jT3_P12ihipStream_tbPNSt15iterator_traitsISJ_E10value_typeEPNSP_ISK_E10value_typeEPSL_NS1_7vsmem_tEENKUlT_SJ_SK_SL_E_clISE_PsSF_SF_EESI_SY_SJ_SK_SL_EUlSY_E1_NS1_11comp_targetILNS1_3genE3ELNS1_11target_archE908ELNS1_3gpuE7ELNS1_3repE0EEENS1_36merge_oddeven_config_static_selectorELNS0_4arch9wavefront6targetE0EEEvSK_,"axG",@progbits,_ZN7rocprim17ROCPRIM_400000_NS6detail17trampoline_kernelINS0_14default_configENS1_38merge_sort_block_merge_config_selectorIsNS0_10empty_typeEEEZZNS1_27merge_sort_block_merge_implIS3_N6thrust23THRUST_200600_302600_NS6detail15normal_iteratorINS9_10device_ptrIsEEEEPS5_m9comp_mod3IsEEE10hipError_tT0_T1_T2_jT3_P12ihipStream_tbPNSt15iterator_traitsISJ_E10value_typeEPNSP_ISK_E10value_typeEPSL_NS1_7vsmem_tEENKUlT_SJ_SK_SL_E_clISE_PsSF_SF_EESI_SY_SJ_SK_SL_EUlSY_E1_NS1_11comp_targetILNS1_3genE3ELNS1_11target_archE908ELNS1_3gpuE7ELNS1_3repE0EEENS1_36merge_oddeven_config_static_selectorELNS0_4arch9wavefront6targetE0EEEvSK_,comdat
	.protected	_ZN7rocprim17ROCPRIM_400000_NS6detail17trampoline_kernelINS0_14default_configENS1_38merge_sort_block_merge_config_selectorIsNS0_10empty_typeEEEZZNS1_27merge_sort_block_merge_implIS3_N6thrust23THRUST_200600_302600_NS6detail15normal_iteratorINS9_10device_ptrIsEEEEPS5_m9comp_mod3IsEEE10hipError_tT0_T1_T2_jT3_P12ihipStream_tbPNSt15iterator_traitsISJ_E10value_typeEPNSP_ISK_E10value_typeEPSL_NS1_7vsmem_tEENKUlT_SJ_SK_SL_E_clISE_PsSF_SF_EESI_SY_SJ_SK_SL_EUlSY_E1_NS1_11comp_targetILNS1_3genE3ELNS1_11target_archE908ELNS1_3gpuE7ELNS1_3repE0EEENS1_36merge_oddeven_config_static_selectorELNS0_4arch9wavefront6targetE0EEEvSK_ ; -- Begin function _ZN7rocprim17ROCPRIM_400000_NS6detail17trampoline_kernelINS0_14default_configENS1_38merge_sort_block_merge_config_selectorIsNS0_10empty_typeEEEZZNS1_27merge_sort_block_merge_implIS3_N6thrust23THRUST_200600_302600_NS6detail15normal_iteratorINS9_10device_ptrIsEEEEPS5_m9comp_mod3IsEEE10hipError_tT0_T1_T2_jT3_P12ihipStream_tbPNSt15iterator_traitsISJ_E10value_typeEPNSP_ISK_E10value_typeEPSL_NS1_7vsmem_tEENKUlT_SJ_SK_SL_E_clISE_PsSF_SF_EESI_SY_SJ_SK_SL_EUlSY_E1_NS1_11comp_targetILNS1_3genE3ELNS1_11target_archE908ELNS1_3gpuE7ELNS1_3repE0EEENS1_36merge_oddeven_config_static_selectorELNS0_4arch9wavefront6targetE0EEEvSK_
	.globl	_ZN7rocprim17ROCPRIM_400000_NS6detail17trampoline_kernelINS0_14default_configENS1_38merge_sort_block_merge_config_selectorIsNS0_10empty_typeEEEZZNS1_27merge_sort_block_merge_implIS3_N6thrust23THRUST_200600_302600_NS6detail15normal_iteratorINS9_10device_ptrIsEEEEPS5_m9comp_mod3IsEEE10hipError_tT0_T1_T2_jT3_P12ihipStream_tbPNSt15iterator_traitsISJ_E10value_typeEPNSP_ISK_E10value_typeEPSL_NS1_7vsmem_tEENKUlT_SJ_SK_SL_E_clISE_PsSF_SF_EESI_SY_SJ_SK_SL_EUlSY_E1_NS1_11comp_targetILNS1_3genE3ELNS1_11target_archE908ELNS1_3gpuE7ELNS1_3repE0EEENS1_36merge_oddeven_config_static_selectorELNS0_4arch9wavefront6targetE0EEEvSK_
	.p2align	8
	.type	_ZN7rocprim17ROCPRIM_400000_NS6detail17trampoline_kernelINS0_14default_configENS1_38merge_sort_block_merge_config_selectorIsNS0_10empty_typeEEEZZNS1_27merge_sort_block_merge_implIS3_N6thrust23THRUST_200600_302600_NS6detail15normal_iteratorINS9_10device_ptrIsEEEEPS5_m9comp_mod3IsEEE10hipError_tT0_T1_T2_jT3_P12ihipStream_tbPNSt15iterator_traitsISJ_E10value_typeEPNSP_ISK_E10value_typeEPSL_NS1_7vsmem_tEENKUlT_SJ_SK_SL_E_clISE_PsSF_SF_EESI_SY_SJ_SK_SL_EUlSY_E1_NS1_11comp_targetILNS1_3genE3ELNS1_11target_archE908ELNS1_3gpuE7ELNS1_3repE0EEENS1_36merge_oddeven_config_static_selectorELNS0_4arch9wavefront6targetE0EEEvSK_,@function
_ZN7rocprim17ROCPRIM_400000_NS6detail17trampoline_kernelINS0_14default_configENS1_38merge_sort_block_merge_config_selectorIsNS0_10empty_typeEEEZZNS1_27merge_sort_block_merge_implIS3_N6thrust23THRUST_200600_302600_NS6detail15normal_iteratorINS9_10device_ptrIsEEEEPS5_m9comp_mod3IsEEE10hipError_tT0_T1_T2_jT3_P12ihipStream_tbPNSt15iterator_traitsISJ_E10value_typeEPNSP_ISK_E10value_typeEPSL_NS1_7vsmem_tEENKUlT_SJ_SK_SL_E_clISE_PsSF_SF_EESI_SY_SJ_SK_SL_EUlSY_E1_NS1_11comp_targetILNS1_3genE3ELNS1_11target_archE908ELNS1_3gpuE7ELNS1_3repE0EEENS1_36merge_oddeven_config_static_selectorELNS0_4arch9wavefront6targetE0EEEvSK_: ; @_ZN7rocprim17ROCPRIM_400000_NS6detail17trampoline_kernelINS0_14default_configENS1_38merge_sort_block_merge_config_selectorIsNS0_10empty_typeEEEZZNS1_27merge_sort_block_merge_implIS3_N6thrust23THRUST_200600_302600_NS6detail15normal_iteratorINS9_10device_ptrIsEEEEPS5_m9comp_mod3IsEEE10hipError_tT0_T1_T2_jT3_P12ihipStream_tbPNSt15iterator_traitsISJ_E10value_typeEPNSP_ISK_E10value_typeEPSL_NS1_7vsmem_tEENKUlT_SJ_SK_SL_E_clISE_PsSF_SF_EESI_SY_SJ_SK_SL_EUlSY_E1_NS1_11comp_targetILNS1_3genE3ELNS1_11target_archE908ELNS1_3gpuE7ELNS1_3repE0EEENS1_36merge_oddeven_config_static_selectorELNS0_4arch9wavefront6targetE0EEEvSK_
; %bb.0:
	.section	.rodata,"a",@progbits
	.p2align	6, 0x0
	.amdhsa_kernel _ZN7rocprim17ROCPRIM_400000_NS6detail17trampoline_kernelINS0_14default_configENS1_38merge_sort_block_merge_config_selectorIsNS0_10empty_typeEEEZZNS1_27merge_sort_block_merge_implIS3_N6thrust23THRUST_200600_302600_NS6detail15normal_iteratorINS9_10device_ptrIsEEEEPS5_m9comp_mod3IsEEE10hipError_tT0_T1_T2_jT3_P12ihipStream_tbPNSt15iterator_traitsISJ_E10value_typeEPNSP_ISK_E10value_typeEPSL_NS1_7vsmem_tEENKUlT_SJ_SK_SL_E_clISE_PsSF_SF_EESI_SY_SJ_SK_SL_EUlSY_E1_NS1_11comp_targetILNS1_3genE3ELNS1_11target_archE908ELNS1_3gpuE7ELNS1_3repE0EEENS1_36merge_oddeven_config_static_selectorELNS0_4arch9wavefront6targetE0EEEvSK_
		.amdhsa_group_segment_fixed_size 0
		.amdhsa_private_segment_fixed_size 0
		.amdhsa_kernarg_size 56
		.amdhsa_user_sgpr_count 6
		.amdhsa_user_sgpr_private_segment_buffer 1
		.amdhsa_user_sgpr_dispatch_ptr 0
		.amdhsa_user_sgpr_queue_ptr 0
		.amdhsa_user_sgpr_kernarg_segment_ptr 1
		.amdhsa_user_sgpr_dispatch_id 0
		.amdhsa_user_sgpr_flat_scratch_init 0
		.amdhsa_user_sgpr_private_segment_size 0
		.amdhsa_wavefront_size32 1
		.amdhsa_uses_dynamic_stack 0
		.amdhsa_system_sgpr_private_segment_wavefront_offset 0
		.amdhsa_system_sgpr_workgroup_id_x 1
		.amdhsa_system_sgpr_workgroup_id_y 0
		.amdhsa_system_sgpr_workgroup_id_z 0
		.amdhsa_system_sgpr_workgroup_info 0
		.amdhsa_system_vgpr_workitem_id 0
		.amdhsa_next_free_vgpr 1
		.amdhsa_next_free_sgpr 1
		.amdhsa_reserve_vcc 0
		.amdhsa_reserve_flat_scratch 0
		.amdhsa_float_round_mode_32 0
		.amdhsa_float_round_mode_16_64 0
		.amdhsa_float_denorm_mode_32 3
		.amdhsa_float_denorm_mode_16_64 3
		.amdhsa_dx10_clamp 1
		.amdhsa_ieee_mode 1
		.amdhsa_fp16_overflow 0
		.amdhsa_workgroup_processor_mode 1
		.amdhsa_memory_ordered 1
		.amdhsa_forward_progress 1
		.amdhsa_shared_vgpr_count 0
		.amdhsa_exception_fp_ieee_invalid_op 0
		.amdhsa_exception_fp_denorm_src 0
		.amdhsa_exception_fp_ieee_div_zero 0
		.amdhsa_exception_fp_ieee_overflow 0
		.amdhsa_exception_fp_ieee_underflow 0
		.amdhsa_exception_fp_ieee_inexact 0
		.amdhsa_exception_int_div_zero 0
	.end_amdhsa_kernel
	.section	.text._ZN7rocprim17ROCPRIM_400000_NS6detail17trampoline_kernelINS0_14default_configENS1_38merge_sort_block_merge_config_selectorIsNS0_10empty_typeEEEZZNS1_27merge_sort_block_merge_implIS3_N6thrust23THRUST_200600_302600_NS6detail15normal_iteratorINS9_10device_ptrIsEEEEPS5_m9comp_mod3IsEEE10hipError_tT0_T1_T2_jT3_P12ihipStream_tbPNSt15iterator_traitsISJ_E10value_typeEPNSP_ISK_E10value_typeEPSL_NS1_7vsmem_tEENKUlT_SJ_SK_SL_E_clISE_PsSF_SF_EESI_SY_SJ_SK_SL_EUlSY_E1_NS1_11comp_targetILNS1_3genE3ELNS1_11target_archE908ELNS1_3gpuE7ELNS1_3repE0EEENS1_36merge_oddeven_config_static_selectorELNS0_4arch9wavefront6targetE0EEEvSK_,"axG",@progbits,_ZN7rocprim17ROCPRIM_400000_NS6detail17trampoline_kernelINS0_14default_configENS1_38merge_sort_block_merge_config_selectorIsNS0_10empty_typeEEEZZNS1_27merge_sort_block_merge_implIS3_N6thrust23THRUST_200600_302600_NS6detail15normal_iteratorINS9_10device_ptrIsEEEEPS5_m9comp_mod3IsEEE10hipError_tT0_T1_T2_jT3_P12ihipStream_tbPNSt15iterator_traitsISJ_E10value_typeEPNSP_ISK_E10value_typeEPSL_NS1_7vsmem_tEENKUlT_SJ_SK_SL_E_clISE_PsSF_SF_EESI_SY_SJ_SK_SL_EUlSY_E1_NS1_11comp_targetILNS1_3genE3ELNS1_11target_archE908ELNS1_3gpuE7ELNS1_3repE0EEENS1_36merge_oddeven_config_static_selectorELNS0_4arch9wavefront6targetE0EEEvSK_,comdat
.Lfunc_end1090:
	.size	_ZN7rocprim17ROCPRIM_400000_NS6detail17trampoline_kernelINS0_14default_configENS1_38merge_sort_block_merge_config_selectorIsNS0_10empty_typeEEEZZNS1_27merge_sort_block_merge_implIS3_N6thrust23THRUST_200600_302600_NS6detail15normal_iteratorINS9_10device_ptrIsEEEEPS5_m9comp_mod3IsEEE10hipError_tT0_T1_T2_jT3_P12ihipStream_tbPNSt15iterator_traitsISJ_E10value_typeEPNSP_ISK_E10value_typeEPSL_NS1_7vsmem_tEENKUlT_SJ_SK_SL_E_clISE_PsSF_SF_EESI_SY_SJ_SK_SL_EUlSY_E1_NS1_11comp_targetILNS1_3genE3ELNS1_11target_archE908ELNS1_3gpuE7ELNS1_3repE0EEENS1_36merge_oddeven_config_static_selectorELNS0_4arch9wavefront6targetE0EEEvSK_, .Lfunc_end1090-_ZN7rocprim17ROCPRIM_400000_NS6detail17trampoline_kernelINS0_14default_configENS1_38merge_sort_block_merge_config_selectorIsNS0_10empty_typeEEEZZNS1_27merge_sort_block_merge_implIS3_N6thrust23THRUST_200600_302600_NS6detail15normal_iteratorINS9_10device_ptrIsEEEEPS5_m9comp_mod3IsEEE10hipError_tT0_T1_T2_jT3_P12ihipStream_tbPNSt15iterator_traitsISJ_E10value_typeEPNSP_ISK_E10value_typeEPSL_NS1_7vsmem_tEENKUlT_SJ_SK_SL_E_clISE_PsSF_SF_EESI_SY_SJ_SK_SL_EUlSY_E1_NS1_11comp_targetILNS1_3genE3ELNS1_11target_archE908ELNS1_3gpuE7ELNS1_3repE0EEENS1_36merge_oddeven_config_static_selectorELNS0_4arch9wavefront6targetE0EEEvSK_
                                        ; -- End function
	.set _ZN7rocprim17ROCPRIM_400000_NS6detail17trampoline_kernelINS0_14default_configENS1_38merge_sort_block_merge_config_selectorIsNS0_10empty_typeEEEZZNS1_27merge_sort_block_merge_implIS3_N6thrust23THRUST_200600_302600_NS6detail15normal_iteratorINS9_10device_ptrIsEEEEPS5_m9comp_mod3IsEEE10hipError_tT0_T1_T2_jT3_P12ihipStream_tbPNSt15iterator_traitsISJ_E10value_typeEPNSP_ISK_E10value_typeEPSL_NS1_7vsmem_tEENKUlT_SJ_SK_SL_E_clISE_PsSF_SF_EESI_SY_SJ_SK_SL_EUlSY_E1_NS1_11comp_targetILNS1_3genE3ELNS1_11target_archE908ELNS1_3gpuE7ELNS1_3repE0EEENS1_36merge_oddeven_config_static_selectorELNS0_4arch9wavefront6targetE0EEEvSK_.num_vgpr, 0
	.set _ZN7rocprim17ROCPRIM_400000_NS6detail17trampoline_kernelINS0_14default_configENS1_38merge_sort_block_merge_config_selectorIsNS0_10empty_typeEEEZZNS1_27merge_sort_block_merge_implIS3_N6thrust23THRUST_200600_302600_NS6detail15normal_iteratorINS9_10device_ptrIsEEEEPS5_m9comp_mod3IsEEE10hipError_tT0_T1_T2_jT3_P12ihipStream_tbPNSt15iterator_traitsISJ_E10value_typeEPNSP_ISK_E10value_typeEPSL_NS1_7vsmem_tEENKUlT_SJ_SK_SL_E_clISE_PsSF_SF_EESI_SY_SJ_SK_SL_EUlSY_E1_NS1_11comp_targetILNS1_3genE3ELNS1_11target_archE908ELNS1_3gpuE7ELNS1_3repE0EEENS1_36merge_oddeven_config_static_selectorELNS0_4arch9wavefront6targetE0EEEvSK_.num_agpr, 0
	.set _ZN7rocprim17ROCPRIM_400000_NS6detail17trampoline_kernelINS0_14default_configENS1_38merge_sort_block_merge_config_selectorIsNS0_10empty_typeEEEZZNS1_27merge_sort_block_merge_implIS3_N6thrust23THRUST_200600_302600_NS6detail15normal_iteratorINS9_10device_ptrIsEEEEPS5_m9comp_mod3IsEEE10hipError_tT0_T1_T2_jT3_P12ihipStream_tbPNSt15iterator_traitsISJ_E10value_typeEPNSP_ISK_E10value_typeEPSL_NS1_7vsmem_tEENKUlT_SJ_SK_SL_E_clISE_PsSF_SF_EESI_SY_SJ_SK_SL_EUlSY_E1_NS1_11comp_targetILNS1_3genE3ELNS1_11target_archE908ELNS1_3gpuE7ELNS1_3repE0EEENS1_36merge_oddeven_config_static_selectorELNS0_4arch9wavefront6targetE0EEEvSK_.numbered_sgpr, 0
	.set _ZN7rocprim17ROCPRIM_400000_NS6detail17trampoline_kernelINS0_14default_configENS1_38merge_sort_block_merge_config_selectorIsNS0_10empty_typeEEEZZNS1_27merge_sort_block_merge_implIS3_N6thrust23THRUST_200600_302600_NS6detail15normal_iteratorINS9_10device_ptrIsEEEEPS5_m9comp_mod3IsEEE10hipError_tT0_T1_T2_jT3_P12ihipStream_tbPNSt15iterator_traitsISJ_E10value_typeEPNSP_ISK_E10value_typeEPSL_NS1_7vsmem_tEENKUlT_SJ_SK_SL_E_clISE_PsSF_SF_EESI_SY_SJ_SK_SL_EUlSY_E1_NS1_11comp_targetILNS1_3genE3ELNS1_11target_archE908ELNS1_3gpuE7ELNS1_3repE0EEENS1_36merge_oddeven_config_static_selectorELNS0_4arch9wavefront6targetE0EEEvSK_.num_named_barrier, 0
	.set _ZN7rocprim17ROCPRIM_400000_NS6detail17trampoline_kernelINS0_14default_configENS1_38merge_sort_block_merge_config_selectorIsNS0_10empty_typeEEEZZNS1_27merge_sort_block_merge_implIS3_N6thrust23THRUST_200600_302600_NS6detail15normal_iteratorINS9_10device_ptrIsEEEEPS5_m9comp_mod3IsEEE10hipError_tT0_T1_T2_jT3_P12ihipStream_tbPNSt15iterator_traitsISJ_E10value_typeEPNSP_ISK_E10value_typeEPSL_NS1_7vsmem_tEENKUlT_SJ_SK_SL_E_clISE_PsSF_SF_EESI_SY_SJ_SK_SL_EUlSY_E1_NS1_11comp_targetILNS1_3genE3ELNS1_11target_archE908ELNS1_3gpuE7ELNS1_3repE0EEENS1_36merge_oddeven_config_static_selectorELNS0_4arch9wavefront6targetE0EEEvSK_.private_seg_size, 0
	.set _ZN7rocprim17ROCPRIM_400000_NS6detail17trampoline_kernelINS0_14default_configENS1_38merge_sort_block_merge_config_selectorIsNS0_10empty_typeEEEZZNS1_27merge_sort_block_merge_implIS3_N6thrust23THRUST_200600_302600_NS6detail15normal_iteratorINS9_10device_ptrIsEEEEPS5_m9comp_mod3IsEEE10hipError_tT0_T1_T2_jT3_P12ihipStream_tbPNSt15iterator_traitsISJ_E10value_typeEPNSP_ISK_E10value_typeEPSL_NS1_7vsmem_tEENKUlT_SJ_SK_SL_E_clISE_PsSF_SF_EESI_SY_SJ_SK_SL_EUlSY_E1_NS1_11comp_targetILNS1_3genE3ELNS1_11target_archE908ELNS1_3gpuE7ELNS1_3repE0EEENS1_36merge_oddeven_config_static_selectorELNS0_4arch9wavefront6targetE0EEEvSK_.uses_vcc, 0
	.set _ZN7rocprim17ROCPRIM_400000_NS6detail17trampoline_kernelINS0_14default_configENS1_38merge_sort_block_merge_config_selectorIsNS0_10empty_typeEEEZZNS1_27merge_sort_block_merge_implIS3_N6thrust23THRUST_200600_302600_NS6detail15normal_iteratorINS9_10device_ptrIsEEEEPS5_m9comp_mod3IsEEE10hipError_tT0_T1_T2_jT3_P12ihipStream_tbPNSt15iterator_traitsISJ_E10value_typeEPNSP_ISK_E10value_typeEPSL_NS1_7vsmem_tEENKUlT_SJ_SK_SL_E_clISE_PsSF_SF_EESI_SY_SJ_SK_SL_EUlSY_E1_NS1_11comp_targetILNS1_3genE3ELNS1_11target_archE908ELNS1_3gpuE7ELNS1_3repE0EEENS1_36merge_oddeven_config_static_selectorELNS0_4arch9wavefront6targetE0EEEvSK_.uses_flat_scratch, 0
	.set _ZN7rocprim17ROCPRIM_400000_NS6detail17trampoline_kernelINS0_14default_configENS1_38merge_sort_block_merge_config_selectorIsNS0_10empty_typeEEEZZNS1_27merge_sort_block_merge_implIS3_N6thrust23THRUST_200600_302600_NS6detail15normal_iteratorINS9_10device_ptrIsEEEEPS5_m9comp_mod3IsEEE10hipError_tT0_T1_T2_jT3_P12ihipStream_tbPNSt15iterator_traitsISJ_E10value_typeEPNSP_ISK_E10value_typeEPSL_NS1_7vsmem_tEENKUlT_SJ_SK_SL_E_clISE_PsSF_SF_EESI_SY_SJ_SK_SL_EUlSY_E1_NS1_11comp_targetILNS1_3genE3ELNS1_11target_archE908ELNS1_3gpuE7ELNS1_3repE0EEENS1_36merge_oddeven_config_static_selectorELNS0_4arch9wavefront6targetE0EEEvSK_.has_dyn_sized_stack, 0
	.set _ZN7rocprim17ROCPRIM_400000_NS6detail17trampoline_kernelINS0_14default_configENS1_38merge_sort_block_merge_config_selectorIsNS0_10empty_typeEEEZZNS1_27merge_sort_block_merge_implIS3_N6thrust23THRUST_200600_302600_NS6detail15normal_iteratorINS9_10device_ptrIsEEEEPS5_m9comp_mod3IsEEE10hipError_tT0_T1_T2_jT3_P12ihipStream_tbPNSt15iterator_traitsISJ_E10value_typeEPNSP_ISK_E10value_typeEPSL_NS1_7vsmem_tEENKUlT_SJ_SK_SL_E_clISE_PsSF_SF_EESI_SY_SJ_SK_SL_EUlSY_E1_NS1_11comp_targetILNS1_3genE3ELNS1_11target_archE908ELNS1_3gpuE7ELNS1_3repE0EEENS1_36merge_oddeven_config_static_selectorELNS0_4arch9wavefront6targetE0EEEvSK_.has_recursion, 0
	.set _ZN7rocprim17ROCPRIM_400000_NS6detail17trampoline_kernelINS0_14default_configENS1_38merge_sort_block_merge_config_selectorIsNS0_10empty_typeEEEZZNS1_27merge_sort_block_merge_implIS3_N6thrust23THRUST_200600_302600_NS6detail15normal_iteratorINS9_10device_ptrIsEEEEPS5_m9comp_mod3IsEEE10hipError_tT0_T1_T2_jT3_P12ihipStream_tbPNSt15iterator_traitsISJ_E10value_typeEPNSP_ISK_E10value_typeEPSL_NS1_7vsmem_tEENKUlT_SJ_SK_SL_E_clISE_PsSF_SF_EESI_SY_SJ_SK_SL_EUlSY_E1_NS1_11comp_targetILNS1_3genE3ELNS1_11target_archE908ELNS1_3gpuE7ELNS1_3repE0EEENS1_36merge_oddeven_config_static_selectorELNS0_4arch9wavefront6targetE0EEEvSK_.has_indirect_call, 0
	.section	.AMDGPU.csdata,"",@progbits
; Kernel info:
; codeLenInByte = 0
; TotalNumSgprs: 0
; NumVgprs: 0
; ScratchSize: 0
; MemoryBound: 0
; FloatMode: 240
; IeeeMode: 1
; LDSByteSize: 0 bytes/workgroup (compile time only)
; SGPRBlocks: 0
; VGPRBlocks: 0
; NumSGPRsForWavesPerEU: 1
; NumVGPRsForWavesPerEU: 1
; Occupancy: 16
; WaveLimiterHint : 0
; COMPUTE_PGM_RSRC2:SCRATCH_EN: 0
; COMPUTE_PGM_RSRC2:USER_SGPR: 6
; COMPUTE_PGM_RSRC2:TRAP_HANDLER: 0
; COMPUTE_PGM_RSRC2:TGID_X_EN: 1
; COMPUTE_PGM_RSRC2:TGID_Y_EN: 0
; COMPUTE_PGM_RSRC2:TGID_Z_EN: 0
; COMPUTE_PGM_RSRC2:TIDIG_COMP_CNT: 0
	.section	.text._ZN7rocprim17ROCPRIM_400000_NS6detail17trampoline_kernelINS0_14default_configENS1_38merge_sort_block_merge_config_selectorIsNS0_10empty_typeEEEZZNS1_27merge_sort_block_merge_implIS3_N6thrust23THRUST_200600_302600_NS6detail15normal_iteratorINS9_10device_ptrIsEEEEPS5_m9comp_mod3IsEEE10hipError_tT0_T1_T2_jT3_P12ihipStream_tbPNSt15iterator_traitsISJ_E10value_typeEPNSP_ISK_E10value_typeEPSL_NS1_7vsmem_tEENKUlT_SJ_SK_SL_E_clISE_PsSF_SF_EESI_SY_SJ_SK_SL_EUlSY_E1_NS1_11comp_targetILNS1_3genE2ELNS1_11target_archE906ELNS1_3gpuE6ELNS1_3repE0EEENS1_36merge_oddeven_config_static_selectorELNS0_4arch9wavefront6targetE0EEEvSK_,"axG",@progbits,_ZN7rocprim17ROCPRIM_400000_NS6detail17trampoline_kernelINS0_14default_configENS1_38merge_sort_block_merge_config_selectorIsNS0_10empty_typeEEEZZNS1_27merge_sort_block_merge_implIS3_N6thrust23THRUST_200600_302600_NS6detail15normal_iteratorINS9_10device_ptrIsEEEEPS5_m9comp_mod3IsEEE10hipError_tT0_T1_T2_jT3_P12ihipStream_tbPNSt15iterator_traitsISJ_E10value_typeEPNSP_ISK_E10value_typeEPSL_NS1_7vsmem_tEENKUlT_SJ_SK_SL_E_clISE_PsSF_SF_EESI_SY_SJ_SK_SL_EUlSY_E1_NS1_11comp_targetILNS1_3genE2ELNS1_11target_archE906ELNS1_3gpuE6ELNS1_3repE0EEENS1_36merge_oddeven_config_static_selectorELNS0_4arch9wavefront6targetE0EEEvSK_,comdat
	.protected	_ZN7rocprim17ROCPRIM_400000_NS6detail17trampoline_kernelINS0_14default_configENS1_38merge_sort_block_merge_config_selectorIsNS0_10empty_typeEEEZZNS1_27merge_sort_block_merge_implIS3_N6thrust23THRUST_200600_302600_NS6detail15normal_iteratorINS9_10device_ptrIsEEEEPS5_m9comp_mod3IsEEE10hipError_tT0_T1_T2_jT3_P12ihipStream_tbPNSt15iterator_traitsISJ_E10value_typeEPNSP_ISK_E10value_typeEPSL_NS1_7vsmem_tEENKUlT_SJ_SK_SL_E_clISE_PsSF_SF_EESI_SY_SJ_SK_SL_EUlSY_E1_NS1_11comp_targetILNS1_3genE2ELNS1_11target_archE906ELNS1_3gpuE6ELNS1_3repE0EEENS1_36merge_oddeven_config_static_selectorELNS0_4arch9wavefront6targetE0EEEvSK_ ; -- Begin function _ZN7rocprim17ROCPRIM_400000_NS6detail17trampoline_kernelINS0_14default_configENS1_38merge_sort_block_merge_config_selectorIsNS0_10empty_typeEEEZZNS1_27merge_sort_block_merge_implIS3_N6thrust23THRUST_200600_302600_NS6detail15normal_iteratorINS9_10device_ptrIsEEEEPS5_m9comp_mod3IsEEE10hipError_tT0_T1_T2_jT3_P12ihipStream_tbPNSt15iterator_traitsISJ_E10value_typeEPNSP_ISK_E10value_typeEPSL_NS1_7vsmem_tEENKUlT_SJ_SK_SL_E_clISE_PsSF_SF_EESI_SY_SJ_SK_SL_EUlSY_E1_NS1_11comp_targetILNS1_3genE2ELNS1_11target_archE906ELNS1_3gpuE6ELNS1_3repE0EEENS1_36merge_oddeven_config_static_selectorELNS0_4arch9wavefront6targetE0EEEvSK_
	.globl	_ZN7rocprim17ROCPRIM_400000_NS6detail17trampoline_kernelINS0_14default_configENS1_38merge_sort_block_merge_config_selectorIsNS0_10empty_typeEEEZZNS1_27merge_sort_block_merge_implIS3_N6thrust23THRUST_200600_302600_NS6detail15normal_iteratorINS9_10device_ptrIsEEEEPS5_m9comp_mod3IsEEE10hipError_tT0_T1_T2_jT3_P12ihipStream_tbPNSt15iterator_traitsISJ_E10value_typeEPNSP_ISK_E10value_typeEPSL_NS1_7vsmem_tEENKUlT_SJ_SK_SL_E_clISE_PsSF_SF_EESI_SY_SJ_SK_SL_EUlSY_E1_NS1_11comp_targetILNS1_3genE2ELNS1_11target_archE906ELNS1_3gpuE6ELNS1_3repE0EEENS1_36merge_oddeven_config_static_selectorELNS0_4arch9wavefront6targetE0EEEvSK_
	.p2align	8
	.type	_ZN7rocprim17ROCPRIM_400000_NS6detail17trampoline_kernelINS0_14default_configENS1_38merge_sort_block_merge_config_selectorIsNS0_10empty_typeEEEZZNS1_27merge_sort_block_merge_implIS3_N6thrust23THRUST_200600_302600_NS6detail15normal_iteratorINS9_10device_ptrIsEEEEPS5_m9comp_mod3IsEEE10hipError_tT0_T1_T2_jT3_P12ihipStream_tbPNSt15iterator_traitsISJ_E10value_typeEPNSP_ISK_E10value_typeEPSL_NS1_7vsmem_tEENKUlT_SJ_SK_SL_E_clISE_PsSF_SF_EESI_SY_SJ_SK_SL_EUlSY_E1_NS1_11comp_targetILNS1_3genE2ELNS1_11target_archE906ELNS1_3gpuE6ELNS1_3repE0EEENS1_36merge_oddeven_config_static_selectorELNS0_4arch9wavefront6targetE0EEEvSK_,@function
_ZN7rocprim17ROCPRIM_400000_NS6detail17trampoline_kernelINS0_14default_configENS1_38merge_sort_block_merge_config_selectorIsNS0_10empty_typeEEEZZNS1_27merge_sort_block_merge_implIS3_N6thrust23THRUST_200600_302600_NS6detail15normal_iteratorINS9_10device_ptrIsEEEEPS5_m9comp_mod3IsEEE10hipError_tT0_T1_T2_jT3_P12ihipStream_tbPNSt15iterator_traitsISJ_E10value_typeEPNSP_ISK_E10value_typeEPSL_NS1_7vsmem_tEENKUlT_SJ_SK_SL_E_clISE_PsSF_SF_EESI_SY_SJ_SK_SL_EUlSY_E1_NS1_11comp_targetILNS1_3genE2ELNS1_11target_archE906ELNS1_3gpuE6ELNS1_3repE0EEENS1_36merge_oddeven_config_static_selectorELNS0_4arch9wavefront6targetE0EEEvSK_: ; @_ZN7rocprim17ROCPRIM_400000_NS6detail17trampoline_kernelINS0_14default_configENS1_38merge_sort_block_merge_config_selectorIsNS0_10empty_typeEEEZZNS1_27merge_sort_block_merge_implIS3_N6thrust23THRUST_200600_302600_NS6detail15normal_iteratorINS9_10device_ptrIsEEEEPS5_m9comp_mod3IsEEE10hipError_tT0_T1_T2_jT3_P12ihipStream_tbPNSt15iterator_traitsISJ_E10value_typeEPNSP_ISK_E10value_typeEPSL_NS1_7vsmem_tEENKUlT_SJ_SK_SL_E_clISE_PsSF_SF_EESI_SY_SJ_SK_SL_EUlSY_E1_NS1_11comp_targetILNS1_3genE2ELNS1_11target_archE906ELNS1_3gpuE6ELNS1_3repE0EEENS1_36merge_oddeven_config_static_selectorELNS0_4arch9wavefront6targetE0EEEvSK_
; %bb.0:
	.section	.rodata,"a",@progbits
	.p2align	6, 0x0
	.amdhsa_kernel _ZN7rocprim17ROCPRIM_400000_NS6detail17trampoline_kernelINS0_14default_configENS1_38merge_sort_block_merge_config_selectorIsNS0_10empty_typeEEEZZNS1_27merge_sort_block_merge_implIS3_N6thrust23THRUST_200600_302600_NS6detail15normal_iteratorINS9_10device_ptrIsEEEEPS5_m9comp_mod3IsEEE10hipError_tT0_T1_T2_jT3_P12ihipStream_tbPNSt15iterator_traitsISJ_E10value_typeEPNSP_ISK_E10value_typeEPSL_NS1_7vsmem_tEENKUlT_SJ_SK_SL_E_clISE_PsSF_SF_EESI_SY_SJ_SK_SL_EUlSY_E1_NS1_11comp_targetILNS1_3genE2ELNS1_11target_archE906ELNS1_3gpuE6ELNS1_3repE0EEENS1_36merge_oddeven_config_static_selectorELNS0_4arch9wavefront6targetE0EEEvSK_
		.amdhsa_group_segment_fixed_size 0
		.amdhsa_private_segment_fixed_size 0
		.amdhsa_kernarg_size 56
		.amdhsa_user_sgpr_count 6
		.amdhsa_user_sgpr_private_segment_buffer 1
		.amdhsa_user_sgpr_dispatch_ptr 0
		.amdhsa_user_sgpr_queue_ptr 0
		.amdhsa_user_sgpr_kernarg_segment_ptr 1
		.amdhsa_user_sgpr_dispatch_id 0
		.amdhsa_user_sgpr_flat_scratch_init 0
		.amdhsa_user_sgpr_private_segment_size 0
		.amdhsa_wavefront_size32 1
		.amdhsa_uses_dynamic_stack 0
		.amdhsa_system_sgpr_private_segment_wavefront_offset 0
		.amdhsa_system_sgpr_workgroup_id_x 1
		.amdhsa_system_sgpr_workgroup_id_y 0
		.amdhsa_system_sgpr_workgroup_id_z 0
		.amdhsa_system_sgpr_workgroup_info 0
		.amdhsa_system_vgpr_workitem_id 0
		.amdhsa_next_free_vgpr 1
		.amdhsa_next_free_sgpr 1
		.amdhsa_reserve_vcc 0
		.amdhsa_reserve_flat_scratch 0
		.amdhsa_float_round_mode_32 0
		.amdhsa_float_round_mode_16_64 0
		.amdhsa_float_denorm_mode_32 3
		.amdhsa_float_denorm_mode_16_64 3
		.amdhsa_dx10_clamp 1
		.amdhsa_ieee_mode 1
		.amdhsa_fp16_overflow 0
		.amdhsa_workgroup_processor_mode 1
		.amdhsa_memory_ordered 1
		.amdhsa_forward_progress 1
		.amdhsa_shared_vgpr_count 0
		.amdhsa_exception_fp_ieee_invalid_op 0
		.amdhsa_exception_fp_denorm_src 0
		.amdhsa_exception_fp_ieee_div_zero 0
		.amdhsa_exception_fp_ieee_overflow 0
		.amdhsa_exception_fp_ieee_underflow 0
		.amdhsa_exception_fp_ieee_inexact 0
		.amdhsa_exception_int_div_zero 0
	.end_amdhsa_kernel
	.section	.text._ZN7rocprim17ROCPRIM_400000_NS6detail17trampoline_kernelINS0_14default_configENS1_38merge_sort_block_merge_config_selectorIsNS0_10empty_typeEEEZZNS1_27merge_sort_block_merge_implIS3_N6thrust23THRUST_200600_302600_NS6detail15normal_iteratorINS9_10device_ptrIsEEEEPS5_m9comp_mod3IsEEE10hipError_tT0_T1_T2_jT3_P12ihipStream_tbPNSt15iterator_traitsISJ_E10value_typeEPNSP_ISK_E10value_typeEPSL_NS1_7vsmem_tEENKUlT_SJ_SK_SL_E_clISE_PsSF_SF_EESI_SY_SJ_SK_SL_EUlSY_E1_NS1_11comp_targetILNS1_3genE2ELNS1_11target_archE906ELNS1_3gpuE6ELNS1_3repE0EEENS1_36merge_oddeven_config_static_selectorELNS0_4arch9wavefront6targetE0EEEvSK_,"axG",@progbits,_ZN7rocprim17ROCPRIM_400000_NS6detail17trampoline_kernelINS0_14default_configENS1_38merge_sort_block_merge_config_selectorIsNS0_10empty_typeEEEZZNS1_27merge_sort_block_merge_implIS3_N6thrust23THRUST_200600_302600_NS6detail15normal_iteratorINS9_10device_ptrIsEEEEPS5_m9comp_mod3IsEEE10hipError_tT0_T1_T2_jT3_P12ihipStream_tbPNSt15iterator_traitsISJ_E10value_typeEPNSP_ISK_E10value_typeEPSL_NS1_7vsmem_tEENKUlT_SJ_SK_SL_E_clISE_PsSF_SF_EESI_SY_SJ_SK_SL_EUlSY_E1_NS1_11comp_targetILNS1_3genE2ELNS1_11target_archE906ELNS1_3gpuE6ELNS1_3repE0EEENS1_36merge_oddeven_config_static_selectorELNS0_4arch9wavefront6targetE0EEEvSK_,comdat
.Lfunc_end1091:
	.size	_ZN7rocprim17ROCPRIM_400000_NS6detail17trampoline_kernelINS0_14default_configENS1_38merge_sort_block_merge_config_selectorIsNS0_10empty_typeEEEZZNS1_27merge_sort_block_merge_implIS3_N6thrust23THRUST_200600_302600_NS6detail15normal_iteratorINS9_10device_ptrIsEEEEPS5_m9comp_mod3IsEEE10hipError_tT0_T1_T2_jT3_P12ihipStream_tbPNSt15iterator_traitsISJ_E10value_typeEPNSP_ISK_E10value_typeEPSL_NS1_7vsmem_tEENKUlT_SJ_SK_SL_E_clISE_PsSF_SF_EESI_SY_SJ_SK_SL_EUlSY_E1_NS1_11comp_targetILNS1_3genE2ELNS1_11target_archE906ELNS1_3gpuE6ELNS1_3repE0EEENS1_36merge_oddeven_config_static_selectorELNS0_4arch9wavefront6targetE0EEEvSK_, .Lfunc_end1091-_ZN7rocprim17ROCPRIM_400000_NS6detail17trampoline_kernelINS0_14default_configENS1_38merge_sort_block_merge_config_selectorIsNS0_10empty_typeEEEZZNS1_27merge_sort_block_merge_implIS3_N6thrust23THRUST_200600_302600_NS6detail15normal_iteratorINS9_10device_ptrIsEEEEPS5_m9comp_mod3IsEEE10hipError_tT0_T1_T2_jT3_P12ihipStream_tbPNSt15iterator_traitsISJ_E10value_typeEPNSP_ISK_E10value_typeEPSL_NS1_7vsmem_tEENKUlT_SJ_SK_SL_E_clISE_PsSF_SF_EESI_SY_SJ_SK_SL_EUlSY_E1_NS1_11comp_targetILNS1_3genE2ELNS1_11target_archE906ELNS1_3gpuE6ELNS1_3repE0EEENS1_36merge_oddeven_config_static_selectorELNS0_4arch9wavefront6targetE0EEEvSK_
                                        ; -- End function
	.set _ZN7rocprim17ROCPRIM_400000_NS6detail17trampoline_kernelINS0_14default_configENS1_38merge_sort_block_merge_config_selectorIsNS0_10empty_typeEEEZZNS1_27merge_sort_block_merge_implIS3_N6thrust23THRUST_200600_302600_NS6detail15normal_iteratorINS9_10device_ptrIsEEEEPS5_m9comp_mod3IsEEE10hipError_tT0_T1_T2_jT3_P12ihipStream_tbPNSt15iterator_traitsISJ_E10value_typeEPNSP_ISK_E10value_typeEPSL_NS1_7vsmem_tEENKUlT_SJ_SK_SL_E_clISE_PsSF_SF_EESI_SY_SJ_SK_SL_EUlSY_E1_NS1_11comp_targetILNS1_3genE2ELNS1_11target_archE906ELNS1_3gpuE6ELNS1_3repE0EEENS1_36merge_oddeven_config_static_selectorELNS0_4arch9wavefront6targetE0EEEvSK_.num_vgpr, 0
	.set _ZN7rocprim17ROCPRIM_400000_NS6detail17trampoline_kernelINS0_14default_configENS1_38merge_sort_block_merge_config_selectorIsNS0_10empty_typeEEEZZNS1_27merge_sort_block_merge_implIS3_N6thrust23THRUST_200600_302600_NS6detail15normal_iteratorINS9_10device_ptrIsEEEEPS5_m9comp_mod3IsEEE10hipError_tT0_T1_T2_jT3_P12ihipStream_tbPNSt15iterator_traitsISJ_E10value_typeEPNSP_ISK_E10value_typeEPSL_NS1_7vsmem_tEENKUlT_SJ_SK_SL_E_clISE_PsSF_SF_EESI_SY_SJ_SK_SL_EUlSY_E1_NS1_11comp_targetILNS1_3genE2ELNS1_11target_archE906ELNS1_3gpuE6ELNS1_3repE0EEENS1_36merge_oddeven_config_static_selectorELNS0_4arch9wavefront6targetE0EEEvSK_.num_agpr, 0
	.set _ZN7rocprim17ROCPRIM_400000_NS6detail17trampoline_kernelINS0_14default_configENS1_38merge_sort_block_merge_config_selectorIsNS0_10empty_typeEEEZZNS1_27merge_sort_block_merge_implIS3_N6thrust23THRUST_200600_302600_NS6detail15normal_iteratorINS9_10device_ptrIsEEEEPS5_m9comp_mod3IsEEE10hipError_tT0_T1_T2_jT3_P12ihipStream_tbPNSt15iterator_traitsISJ_E10value_typeEPNSP_ISK_E10value_typeEPSL_NS1_7vsmem_tEENKUlT_SJ_SK_SL_E_clISE_PsSF_SF_EESI_SY_SJ_SK_SL_EUlSY_E1_NS1_11comp_targetILNS1_3genE2ELNS1_11target_archE906ELNS1_3gpuE6ELNS1_3repE0EEENS1_36merge_oddeven_config_static_selectorELNS0_4arch9wavefront6targetE0EEEvSK_.numbered_sgpr, 0
	.set _ZN7rocprim17ROCPRIM_400000_NS6detail17trampoline_kernelINS0_14default_configENS1_38merge_sort_block_merge_config_selectorIsNS0_10empty_typeEEEZZNS1_27merge_sort_block_merge_implIS3_N6thrust23THRUST_200600_302600_NS6detail15normal_iteratorINS9_10device_ptrIsEEEEPS5_m9comp_mod3IsEEE10hipError_tT0_T1_T2_jT3_P12ihipStream_tbPNSt15iterator_traitsISJ_E10value_typeEPNSP_ISK_E10value_typeEPSL_NS1_7vsmem_tEENKUlT_SJ_SK_SL_E_clISE_PsSF_SF_EESI_SY_SJ_SK_SL_EUlSY_E1_NS1_11comp_targetILNS1_3genE2ELNS1_11target_archE906ELNS1_3gpuE6ELNS1_3repE0EEENS1_36merge_oddeven_config_static_selectorELNS0_4arch9wavefront6targetE0EEEvSK_.num_named_barrier, 0
	.set _ZN7rocprim17ROCPRIM_400000_NS6detail17trampoline_kernelINS0_14default_configENS1_38merge_sort_block_merge_config_selectorIsNS0_10empty_typeEEEZZNS1_27merge_sort_block_merge_implIS3_N6thrust23THRUST_200600_302600_NS6detail15normal_iteratorINS9_10device_ptrIsEEEEPS5_m9comp_mod3IsEEE10hipError_tT0_T1_T2_jT3_P12ihipStream_tbPNSt15iterator_traitsISJ_E10value_typeEPNSP_ISK_E10value_typeEPSL_NS1_7vsmem_tEENKUlT_SJ_SK_SL_E_clISE_PsSF_SF_EESI_SY_SJ_SK_SL_EUlSY_E1_NS1_11comp_targetILNS1_3genE2ELNS1_11target_archE906ELNS1_3gpuE6ELNS1_3repE0EEENS1_36merge_oddeven_config_static_selectorELNS0_4arch9wavefront6targetE0EEEvSK_.private_seg_size, 0
	.set _ZN7rocprim17ROCPRIM_400000_NS6detail17trampoline_kernelINS0_14default_configENS1_38merge_sort_block_merge_config_selectorIsNS0_10empty_typeEEEZZNS1_27merge_sort_block_merge_implIS3_N6thrust23THRUST_200600_302600_NS6detail15normal_iteratorINS9_10device_ptrIsEEEEPS5_m9comp_mod3IsEEE10hipError_tT0_T1_T2_jT3_P12ihipStream_tbPNSt15iterator_traitsISJ_E10value_typeEPNSP_ISK_E10value_typeEPSL_NS1_7vsmem_tEENKUlT_SJ_SK_SL_E_clISE_PsSF_SF_EESI_SY_SJ_SK_SL_EUlSY_E1_NS1_11comp_targetILNS1_3genE2ELNS1_11target_archE906ELNS1_3gpuE6ELNS1_3repE0EEENS1_36merge_oddeven_config_static_selectorELNS0_4arch9wavefront6targetE0EEEvSK_.uses_vcc, 0
	.set _ZN7rocprim17ROCPRIM_400000_NS6detail17trampoline_kernelINS0_14default_configENS1_38merge_sort_block_merge_config_selectorIsNS0_10empty_typeEEEZZNS1_27merge_sort_block_merge_implIS3_N6thrust23THRUST_200600_302600_NS6detail15normal_iteratorINS9_10device_ptrIsEEEEPS5_m9comp_mod3IsEEE10hipError_tT0_T1_T2_jT3_P12ihipStream_tbPNSt15iterator_traitsISJ_E10value_typeEPNSP_ISK_E10value_typeEPSL_NS1_7vsmem_tEENKUlT_SJ_SK_SL_E_clISE_PsSF_SF_EESI_SY_SJ_SK_SL_EUlSY_E1_NS1_11comp_targetILNS1_3genE2ELNS1_11target_archE906ELNS1_3gpuE6ELNS1_3repE0EEENS1_36merge_oddeven_config_static_selectorELNS0_4arch9wavefront6targetE0EEEvSK_.uses_flat_scratch, 0
	.set _ZN7rocprim17ROCPRIM_400000_NS6detail17trampoline_kernelINS0_14default_configENS1_38merge_sort_block_merge_config_selectorIsNS0_10empty_typeEEEZZNS1_27merge_sort_block_merge_implIS3_N6thrust23THRUST_200600_302600_NS6detail15normal_iteratorINS9_10device_ptrIsEEEEPS5_m9comp_mod3IsEEE10hipError_tT0_T1_T2_jT3_P12ihipStream_tbPNSt15iterator_traitsISJ_E10value_typeEPNSP_ISK_E10value_typeEPSL_NS1_7vsmem_tEENKUlT_SJ_SK_SL_E_clISE_PsSF_SF_EESI_SY_SJ_SK_SL_EUlSY_E1_NS1_11comp_targetILNS1_3genE2ELNS1_11target_archE906ELNS1_3gpuE6ELNS1_3repE0EEENS1_36merge_oddeven_config_static_selectorELNS0_4arch9wavefront6targetE0EEEvSK_.has_dyn_sized_stack, 0
	.set _ZN7rocprim17ROCPRIM_400000_NS6detail17trampoline_kernelINS0_14default_configENS1_38merge_sort_block_merge_config_selectorIsNS0_10empty_typeEEEZZNS1_27merge_sort_block_merge_implIS3_N6thrust23THRUST_200600_302600_NS6detail15normal_iteratorINS9_10device_ptrIsEEEEPS5_m9comp_mod3IsEEE10hipError_tT0_T1_T2_jT3_P12ihipStream_tbPNSt15iterator_traitsISJ_E10value_typeEPNSP_ISK_E10value_typeEPSL_NS1_7vsmem_tEENKUlT_SJ_SK_SL_E_clISE_PsSF_SF_EESI_SY_SJ_SK_SL_EUlSY_E1_NS1_11comp_targetILNS1_3genE2ELNS1_11target_archE906ELNS1_3gpuE6ELNS1_3repE0EEENS1_36merge_oddeven_config_static_selectorELNS0_4arch9wavefront6targetE0EEEvSK_.has_recursion, 0
	.set _ZN7rocprim17ROCPRIM_400000_NS6detail17trampoline_kernelINS0_14default_configENS1_38merge_sort_block_merge_config_selectorIsNS0_10empty_typeEEEZZNS1_27merge_sort_block_merge_implIS3_N6thrust23THRUST_200600_302600_NS6detail15normal_iteratorINS9_10device_ptrIsEEEEPS5_m9comp_mod3IsEEE10hipError_tT0_T1_T2_jT3_P12ihipStream_tbPNSt15iterator_traitsISJ_E10value_typeEPNSP_ISK_E10value_typeEPSL_NS1_7vsmem_tEENKUlT_SJ_SK_SL_E_clISE_PsSF_SF_EESI_SY_SJ_SK_SL_EUlSY_E1_NS1_11comp_targetILNS1_3genE2ELNS1_11target_archE906ELNS1_3gpuE6ELNS1_3repE0EEENS1_36merge_oddeven_config_static_selectorELNS0_4arch9wavefront6targetE0EEEvSK_.has_indirect_call, 0
	.section	.AMDGPU.csdata,"",@progbits
; Kernel info:
; codeLenInByte = 0
; TotalNumSgprs: 0
; NumVgprs: 0
; ScratchSize: 0
; MemoryBound: 0
; FloatMode: 240
; IeeeMode: 1
; LDSByteSize: 0 bytes/workgroup (compile time only)
; SGPRBlocks: 0
; VGPRBlocks: 0
; NumSGPRsForWavesPerEU: 1
; NumVGPRsForWavesPerEU: 1
; Occupancy: 16
; WaveLimiterHint : 0
; COMPUTE_PGM_RSRC2:SCRATCH_EN: 0
; COMPUTE_PGM_RSRC2:USER_SGPR: 6
; COMPUTE_PGM_RSRC2:TRAP_HANDLER: 0
; COMPUTE_PGM_RSRC2:TGID_X_EN: 1
; COMPUTE_PGM_RSRC2:TGID_Y_EN: 0
; COMPUTE_PGM_RSRC2:TGID_Z_EN: 0
; COMPUTE_PGM_RSRC2:TIDIG_COMP_CNT: 0
	.section	.text._ZN7rocprim17ROCPRIM_400000_NS6detail17trampoline_kernelINS0_14default_configENS1_38merge_sort_block_merge_config_selectorIsNS0_10empty_typeEEEZZNS1_27merge_sort_block_merge_implIS3_N6thrust23THRUST_200600_302600_NS6detail15normal_iteratorINS9_10device_ptrIsEEEEPS5_m9comp_mod3IsEEE10hipError_tT0_T1_T2_jT3_P12ihipStream_tbPNSt15iterator_traitsISJ_E10value_typeEPNSP_ISK_E10value_typeEPSL_NS1_7vsmem_tEENKUlT_SJ_SK_SL_E_clISE_PsSF_SF_EESI_SY_SJ_SK_SL_EUlSY_E1_NS1_11comp_targetILNS1_3genE9ELNS1_11target_archE1100ELNS1_3gpuE3ELNS1_3repE0EEENS1_36merge_oddeven_config_static_selectorELNS0_4arch9wavefront6targetE0EEEvSK_,"axG",@progbits,_ZN7rocprim17ROCPRIM_400000_NS6detail17trampoline_kernelINS0_14default_configENS1_38merge_sort_block_merge_config_selectorIsNS0_10empty_typeEEEZZNS1_27merge_sort_block_merge_implIS3_N6thrust23THRUST_200600_302600_NS6detail15normal_iteratorINS9_10device_ptrIsEEEEPS5_m9comp_mod3IsEEE10hipError_tT0_T1_T2_jT3_P12ihipStream_tbPNSt15iterator_traitsISJ_E10value_typeEPNSP_ISK_E10value_typeEPSL_NS1_7vsmem_tEENKUlT_SJ_SK_SL_E_clISE_PsSF_SF_EESI_SY_SJ_SK_SL_EUlSY_E1_NS1_11comp_targetILNS1_3genE9ELNS1_11target_archE1100ELNS1_3gpuE3ELNS1_3repE0EEENS1_36merge_oddeven_config_static_selectorELNS0_4arch9wavefront6targetE0EEEvSK_,comdat
	.protected	_ZN7rocprim17ROCPRIM_400000_NS6detail17trampoline_kernelINS0_14default_configENS1_38merge_sort_block_merge_config_selectorIsNS0_10empty_typeEEEZZNS1_27merge_sort_block_merge_implIS3_N6thrust23THRUST_200600_302600_NS6detail15normal_iteratorINS9_10device_ptrIsEEEEPS5_m9comp_mod3IsEEE10hipError_tT0_T1_T2_jT3_P12ihipStream_tbPNSt15iterator_traitsISJ_E10value_typeEPNSP_ISK_E10value_typeEPSL_NS1_7vsmem_tEENKUlT_SJ_SK_SL_E_clISE_PsSF_SF_EESI_SY_SJ_SK_SL_EUlSY_E1_NS1_11comp_targetILNS1_3genE9ELNS1_11target_archE1100ELNS1_3gpuE3ELNS1_3repE0EEENS1_36merge_oddeven_config_static_selectorELNS0_4arch9wavefront6targetE0EEEvSK_ ; -- Begin function _ZN7rocprim17ROCPRIM_400000_NS6detail17trampoline_kernelINS0_14default_configENS1_38merge_sort_block_merge_config_selectorIsNS0_10empty_typeEEEZZNS1_27merge_sort_block_merge_implIS3_N6thrust23THRUST_200600_302600_NS6detail15normal_iteratorINS9_10device_ptrIsEEEEPS5_m9comp_mod3IsEEE10hipError_tT0_T1_T2_jT3_P12ihipStream_tbPNSt15iterator_traitsISJ_E10value_typeEPNSP_ISK_E10value_typeEPSL_NS1_7vsmem_tEENKUlT_SJ_SK_SL_E_clISE_PsSF_SF_EESI_SY_SJ_SK_SL_EUlSY_E1_NS1_11comp_targetILNS1_3genE9ELNS1_11target_archE1100ELNS1_3gpuE3ELNS1_3repE0EEENS1_36merge_oddeven_config_static_selectorELNS0_4arch9wavefront6targetE0EEEvSK_
	.globl	_ZN7rocprim17ROCPRIM_400000_NS6detail17trampoline_kernelINS0_14default_configENS1_38merge_sort_block_merge_config_selectorIsNS0_10empty_typeEEEZZNS1_27merge_sort_block_merge_implIS3_N6thrust23THRUST_200600_302600_NS6detail15normal_iteratorINS9_10device_ptrIsEEEEPS5_m9comp_mod3IsEEE10hipError_tT0_T1_T2_jT3_P12ihipStream_tbPNSt15iterator_traitsISJ_E10value_typeEPNSP_ISK_E10value_typeEPSL_NS1_7vsmem_tEENKUlT_SJ_SK_SL_E_clISE_PsSF_SF_EESI_SY_SJ_SK_SL_EUlSY_E1_NS1_11comp_targetILNS1_3genE9ELNS1_11target_archE1100ELNS1_3gpuE3ELNS1_3repE0EEENS1_36merge_oddeven_config_static_selectorELNS0_4arch9wavefront6targetE0EEEvSK_
	.p2align	8
	.type	_ZN7rocprim17ROCPRIM_400000_NS6detail17trampoline_kernelINS0_14default_configENS1_38merge_sort_block_merge_config_selectorIsNS0_10empty_typeEEEZZNS1_27merge_sort_block_merge_implIS3_N6thrust23THRUST_200600_302600_NS6detail15normal_iteratorINS9_10device_ptrIsEEEEPS5_m9comp_mod3IsEEE10hipError_tT0_T1_T2_jT3_P12ihipStream_tbPNSt15iterator_traitsISJ_E10value_typeEPNSP_ISK_E10value_typeEPSL_NS1_7vsmem_tEENKUlT_SJ_SK_SL_E_clISE_PsSF_SF_EESI_SY_SJ_SK_SL_EUlSY_E1_NS1_11comp_targetILNS1_3genE9ELNS1_11target_archE1100ELNS1_3gpuE3ELNS1_3repE0EEENS1_36merge_oddeven_config_static_selectorELNS0_4arch9wavefront6targetE0EEEvSK_,@function
_ZN7rocprim17ROCPRIM_400000_NS6detail17trampoline_kernelINS0_14default_configENS1_38merge_sort_block_merge_config_selectorIsNS0_10empty_typeEEEZZNS1_27merge_sort_block_merge_implIS3_N6thrust23THRUST_200600_302600_NS6detail15normal_iteratorINS9_10device_ptrIsEEEEPS5_m9comp_mod3IsEEE10hipError_tT0_T1_T2_jT3_P12ihipStream_tbPNSt15iterator_traitsISJ_E10value_typeEPNSP_ISK_E10value_typeEPSL_NS1_7vsmem_tEENKUlT_SJ_SK_SL_E_clISE_PsSF_SF_EESI_SY_SJ_SK_SL_EUlSY_E1_NS1_11comp_targetILNS1_3genE9ELNS1_11target_archE1100ELNS1_3gpuE3ELNS1_3repE0EEENS1_36merge_oddeven_config_static_selectorELNS0_4arch9wavefront6targetE0EEEvSK_: ; @_ZN7rocprim17ROCPRIM_400000_NS6detail17trampoline_kernelINS0_14default_configENS1_38merge_sort_block_merge_config_selectorIsNS0_10empty_typeEEEZZNS1_27merge_sort_block_merge_implIS3_N6thrust23THRUST_200600_302600_NS6detail15normal_iteratorINS9_10device_ptrIsEEEEPS5_m9comp_mod3IsEEE10hipError_tT0_T1_T2_jT3_P12ihipStream_tbPNSt15iterator_traitsISJ_E10value_typeEPNSP_ISK_E10value_typeEPSL_NS1_7vsmem_tEENKUlT_SJ_SK_SL_E_clISE_PsSF_SF_EESI_SY_SJ_SK_SL_EUlSY_E1_NS1_11comp_targetILNS1_3genE9ELNS1_11target_archE1100ELNS1_3gpuE3ELNS1_3repE0EEENS1_36merge_oddeven_config_static_selectorELNS0_4arch9wavefront6targetE0EEEvSK_
; %bb.0:
	.section	.rodata,"a",@progbits
	.p2align	6, 0x0
	.amdhsa_kernel _ZN7rocprim17ROCPRIM_400000_NS6detail17trampoline_kernelINS0_14default_configENS1_38merge_sort_block_merge_config_selectorIsNS0_10empty_typeEEEZZNS1_27merge_sort_block_merge_implIS3_N6thrust23THRUST_200600_302600_NS6detail15normal_iteratorINS9_10device_ptrIsEEEEPS5_m9comp_mod3IsEEE10hipError_tT0_T1_T2_jT3_P12ihipStream_tbPNSt15iterator_traitsISJ_E10value_typeEPNSP_ISK_E10value_typeEPSL_NS1_7vsmem_tEENKUlT_SJ_SK_SL_E_clISE_PsSF_SF_EESI_SY_SJ_SK_SL_EUlSY_E1_NS1_11comp_targetILNS1_3genE9ELNS1_11target_archE1100ELNS1_3gpuE3ELNS1_3repE0EEENS1_36merge_oddeven_config_static_selectorELNS0_4arch9wavefront6targetE0EEEvSK_
		.amdhsa_group_segment_fixed_size 0
		.amdhsa_private_segment_fixed_size 0
		.amdhsa_kernarg_size 56
		.amdhsa_user_sgpr_count 6
		.amdhsa_user_sgpr_private_segment_buffer 1
		.amdhsa_user_sgpr_dispatch_ptr 0
		.amdhsa_user_sgpr_queue_ptr 0
		.amdhsa_user_sgpr_kernarg_segment_ptr 1
		.amdhsa_user_sgpr_dispatch_id 0
		.amdhsa_user_sgpr_flat_scratch_init 0
		.amdhsa_user_sgpr_private_segment_size 0
		.amdhsa_wavefront_size32 1
		.amdhsa_uses_dynamic_stack 0
		.amdhsa_system_sgpr_private_segment_wavefront_offset 0
		.amdhsa_system_sgpr_workgroup_id_x 1
		.amdhsa_system_sgpr_workgroup_id_y 0
		.amdhsa_system_sgpr_workgroup_id_z 0
		.amdhsa_system_sgpr_workgroup_info 0
		.amdhsa_system_vgpr_workitem_id 0
		.amdhsa_next_free_vgpr 1
		.amdhsa_next_free_sgpr 1
		.amdhsa_reserve_vcc 0
		.amdhsa_reserve_flat_scratch 0
		.amdhsa_float_round_mode_32 0
		.amdhsa_float_round_mode_16_64 0
		.amdhsa_float_denorm_mode_32 3
		.amdhsa_float_denorm_mode_16_64 3
		.amdhsa_dx10_clamp 1
		.amdhsa_ieee_mode 1
		.amdhsa_fp16_overflow 0
		.amdhsa_workgroup_processor_mode 1
		.amdhsa_memory_ordered 1
		.amdhsa_forward_progress 1
		.amdhsa_shared_vgpr_count 0
		.amdhsa_exception_fp_ieee_invalid_op 0
		.amdhsa_exception_fp_denorm_src 0
		.amdhsa_exception_fp_ieee_div_zero 0
		.amdhsa_exception_fp_ieee_overflow 0
		.amdhsa_exception_fp_ieee_underflow 0
		.amdhsa_exception_fp_ieee_inexact 0
		.amdhsa_exception_int_div_zero 0
	.end_amdhsa_kernel
	.section	.text._ZN7rocprim17ROCPRIM_400000_NS6detail17trampoline_kernelINS0_14default_configENS1_38merge_sort_block_merge_config_selectorIsNS0_10empty_typeEEEZZNS1_27merge_sort_block_merge_implIS3_N6thrust23THRUST_200600_302600_NS6detail15normal_iteratorINS9_10device_ptrIsEEEEPS5_m9comp_mod3IsEEE10hipError_tT0_T1_T2_jT3_P12ihipStream_tbPNSt15iterator_traitsISJ_E10value_typeEPNSP_ISK_E10value_typeEPSL_NS1_7vsmem_tEENKUlT_SJ_SK_SL_E_clISE_PsSF_SF_EESI_SY_SJ_SK_SL_EUlSY_E1_NS1_11comp_targetILNS1_3genE9ELNS1_11target_archE1100ELNS1_3gpuE3ELNS1_3repE0EEENS1_36merge_oddeven_config_static_selectorELNS0_4arch9wavefront6targetE0EEEvSK_,"axG",@progbits,_ZN7rocprim17ROCPRIM_400000_NS6detail17trampoline_kernelINS0_14default_configENS1_38merge_sort_block_merge_config_selectorIsNS0_10empty_typeEEEZZNS1_27merge_sort_block_merge_implIS3_N6thrust23THRUST_200600_302600_NS6detail15normal_iteratorINS9_10device_ptrIsEEEEPS5_m9comp_mod3IsEEE10hipError_tT0_T1_T2_jT3_P12ihipStream_tbPNSt15iterator_traitsISJ_E10value_typeEPNSP_ISK_E10value_typeEPSL_NS1_7vsmem_tEENKUlT_SJ_SK_SL_E_clISE_PsSF_SF_EESI_SY_SJ_SK_SL_EUlSY_E1_NS1_11comp_targetILNS1_3genE9ELNS1_11target_archE1100ELNS1_3gpuE3ELNS1_3repE0EEENS1_36merge_oddeven_config_static_selectorELNS0_4arch9wavefront6targetE0EEEvSK_,comdat
.Lfunc_end1092:
	.size	_ZN7rocprim17ROCPRIM_400000_NS6detail17trampoline_kernelINS0_14default_configENS1_38merge_sort_block_merge_config_selectorIsNS0_10empty_typeEEEZZNS1_27merge_sort_block_merge_implIS3_N6thrust23THRUST_200600_302600_NS6detail15normal_iteratorINS9_10device_ptrIsEEEEPS5_m9comp_mod3IsEEE10hipError_tT0_T1_T2_jT3_P12ihipStream_tbPNSt15iterator_traitsISJ_E10value_typeEPNSP_ISK_E10value_typeEPSL_NS1_7vsmem_tEENKUlT_SJ_SK_SL_E_clISE_PsSF_SF_EESI_SY_SJ_SK_SL_EUlSY_E1_NS1_11comp_targetILNS1_3genE9ELNS1_11target_archE1100ELNS1_3gpuE3ELNS1_3repE0EEENS1_36merge_oddeven_config_static_selectorELNS0_4arch9wavefront6targetE0EEEvSK_, .Lfunc_end1092-_ZN7rocprim17ROCPRIM_400000_NS6detail17trampoline_kernelINS0_14default_configENS1_38merge_sort_block_merge_config_selectorIsNS0_10empty_typeEEEZZNS1_27merge_sort_block_merge_implIS3_N6thrust23THRUST_200600_302600_NS6detail15normal_iteratorINS9_10device_ptrIsEEEEPS5_m9comp_mod3IsEEE10hipError_tT0_T1_T2_jT3_P12ihipStream_tbPNSt15iterator_traitsISJ_E10value_typeEPNSP_ISK_E10value_typeEPSL_NS1_7vsmem_tEENKUlT_SJ_SK_SL_E_clISE_PsSF_SF_EESI_SY_SJ_SK_SL_EUlSY_E1_NS1_11comp_targetILNS1_3genE9ELNS1_11target_archE1100ELNS1_3gpuE3ELNS1_3repE0EEENS1_36merge_oddeven_config_static_selectorELNS0_4arch9wavefront6targetE0EEEvSK_
                                        ; -- End function
	.set _ZN7rocprim17ROCPRIM_400000_NS6detail17trampoline_kernelINS0_14default_configENS1_38merge_sort_block_merge_config_selectorIsNS0_10empty_typeEEEZZNS1_27merge_sort_block_merge_implIS3_N6thrust23THRUST_200600_302600_NS6detail15normal_iteratorINS9_10device_ptrIsEEEEPS5_m9comp_mod3IsEEE10hipError_tT0_T1_T2_jT3_P12ihipStream_tbPNSt15iterator_traitsISJ_E10value_typeEPNSP_ISK_E10value_typeEPSL_NS1_7vsmem_tEENKUlT_SJ_SK_SL_E_clISE_PsSF_SF_EESI_SY_SJ_SK_SL_EUlSY_E1_NS1_11comp_targetILNS1_3genE9ELNS1_11target_archE1100ELNS1_3gpuE3ELNS1_3repE0EEENS1_36merge_oddeven_config_static_selectorELNS0_4arch9wavefront6targetE0EEEvSK_.num_vgpr, 0
	.set _ZN7rocprim17ROCPRIM_400000_NS6detail17trampoline_kernelINS0_14default_configENS1_38merge_sort_block_merge_config_selectorIsNS0_10empty_typeEEEZZNS1_27merge_sort_block_merge_implIS3_N6thrust23THRUST_200600_302600_NS6detail15normal_iteratorINS9_10device_ptrIsEEEEPS5_m9comp_mod3IsEEE10hipError_tT0_T1_T2_jT3_P12ihipStream_tbPNSt15iterator_traitsISJ_E10value_typeEPNSP_ISK_E10value_typeEPSL_NS1_7vsmem_tEENKUlT_SJ_SK_SL_E_clISE_PsSF_SF_EESI_SY_SJ_SK_SL_EUlSY_E1_NS1_11comp_targetILNS1_3genE9ELNS1_11target_archE1100ELNS1_3gpuE3ELNS1_3repE0EEENS1_36merge_oddeven_config_static_selectorELNS0_4arch9wavefront6targetE0EEEvSK_.num_agpr, 0
	.set _ZN7rocprim17ROCPRIM_400000_NS6detail17trampoline_kernelINS0_14default_configENS1_38merge_sort_block_merge_config_selectorIsNS0_10empty_typeEEEZZNS1_27merge_sort_block_merge_implIS3_N6thrust23THRUST_200600_302600_NS6detail15normal_iteratorINS9_10device_ptrIsEEEEPS5_m9comp_mod3IsEEE10hipError_tT0_T1_T2_jT3_P12ihipStream_tbPNSt15iterator_traitsISJ_E10value_typeEPNSP_ISK_E10value_typeEPSL_NS1_7vsmem_tEENKUlT_SJ_SK_SL_E_clISE_PsSF_SF_EESI_SY_SJ_SK_SL_EUlSY_E1_NS1_11comp_targetILNS1_3genE9ELNS1_11target_archE1100ELNS1_3gpuE3ELNS1_3repE0EEENS1_36merge_oddeven_config_static_selectorELNS0_4arch9wavefront6targetE0EEEvSK_.numbered_sgpr, 0
	.set _ZN7rocprim17ROCPRIM_400000_NS6detail17trampoline_kernelINS0_14default_configENS1_38merge_sort_block_merge_config_selectorIsNS0_10empty_typeEEEZZNS1_27merge_sort_block_merge_implIS3_N6thrust23THRUST_200600_302600_NS6detail15normal_iteratorINS9_10device_ptrIsEEEEPS5_m9comp_mod3IsEEE10hipError_tT0_T1_T2_jT3_P12ihipStream_tbPNSt15iterator_traitsISJ_E10value_typeEPNSP_ISK_E10value_typeEPSL_NS1_7vsmem_tEENKUlT_SJ_SK_SL_E_clISE_PsSF_SF_EESI_SY_SJ_SK_SL_EUlSY_E1_NS1_11comp_targetILNS1_3genE9ELNS1_11target_archE1100ELNS1_3gpuE3ELNS1_3repE0EEENS1_36merge_oddeven_config_static_selectorELNS0_4arch9wavefront6targetE0EEEvSK_.num_named_barrier, 0
	.set _ZN7rocprim17ROCPRIM_400000_NS6detail17trampoline_kernelINS0_14default_configENS1_38merge_sort_block_merge_config_selectorIsNS0_10empty_typeEEEZZNS1_27merge_sort_block_merge_implIS3_N6thrust23THRUST_200600_302600_NS6detail15normal_iteratorINS9_10device_ptrIsEEEEPS5_m9comp_mod3IsEEE10hipError_tT0_T1_T2_jT3_P12ihipStream_tbPNSt15iterator_traitsISJ_E10value_typeEPNSP_ISK_E10value_typeEPSL_NS1_7vsmem_tEENKUlT_SJ_SK_SL_E_clISE_PsSF_SF_EESI_SY_SJ_SK_SL_EUlSY_E1_NS1_11comp_targetILNS1_3genE9ELNS1_11target_archE1100ELNS1_3gpuE3ELNS1_3repE0EEENS1_36merge_oddeven_config_static_selectorELNS0_4arch9wavefront6targetE0EEEvSK_.private_seg_size, 0
	.set _ZN7rocprim17ROCPRIM_400000_NS6detail17trampoline_kernelINS0_14default_configENS1_38merge_sort_block_merge_config_selectorIsNS0_10empty_typeEEEZZNS1_27merge_sort_block_merge_implIS3_N6thrust23THRUST_200600_302600_NS6detail15normal_iteratorINS9_10device_ptrIsEEEEPS5_m9comp_mod3IsEEE10hipError_tT0_T1_T2_jT3_P12ihipStream_tbPNSt15iterator_traitsISJ_E10value_typeEPNSP_ISK_E10value_typeEPSL_NS1_7vsmem_tEENKUlT_SJ_SK_SL_E_clISE_PsSF_SF_EESI_SY_SJ_SK_SL_EUlSY_E1_NS1_11comp_targetILNS1_3genE9ELNS1_11target_archE1100ELNS1_3gpuE3ELNS1_3repE0EEENS1_36merge_oddeven_config_static_selectorELNS0_4arch9wavefront6targetE0EEEvSK_.uses_vcc, 0
	.set _ZN7rocprim17ROCPRIM_400000_NS6detail17trampoline_kernelINS0_14default_configENS1_38merge_sort_block_merge_config_selectorIsNS0_10empty_typeEEEZZNS1_27merge_sort_block_merge_implIS3_N6thrust23THRUST_200600_302600_NS6detail15normal_iteratorINS9_10device_ptrIsEEEEPS5_m9comp_mod3IsEEE10hipError_tT0_T1_T2_jT3_P12ihipStream_tbPNSt15iterator_traitsISJ_E10value_typeEPNSP_ISK_E10value_typeEPSL_NS1_7vsmem_tEENKUlT_SJ_SK_SL_E_clISE_PsSF_SF_EESI_SY_SJ_SK_SL_EUlSY_E1_NS1_11comp_targetILNS1_3genE9ELNS1_11target_archE1100ELNS1_3gpuE3ELNS1_3repE0EEENS1_36merge_oddeven_config_static_selectorELNS0_4arch9wavefront6targetE0EEEvSK_.uses_flat_scratch, 0
	.set _ZN7rocprim17ROCPRIM_400000_NS6detail17trampoline_kernelINS0_14default_configENS1_38merge_sort_block_merge_config_selectorIsNS0_10empty_typeEEEZZNS1_27merge_sort_block_merge_implIS3_N6thrust23THRUST_200600_302600_NS6detail15normal_iteratorINS9_10device_ptrIsEEEEPS5_m9comp_mod3IsEEE10hipError_tT0_T1_T2_jT3_P12ihipStream_tbPNSt15iterator_traitsISJ_E10value_typeEPNSP_ISK_E10value_typeEPSL_NS1_7vsmem_tEENKUlT_SJ_SK_SL_E_clISE_PsSF_SF_EESI_SY_SJ_SK_SL_EUlSY_E1_NS1_11comp_targetILNS1_3genE9ELNS1_11target_archE1100ELNS1_3gpuE3ELNS1_3repE0EEENS1_36merge_oddeven_config_static_selectorELNS0_4arch9wavefront6targetE0EEEvSK_.has_dyn_sized_stack, 0
	.set _ZN7rocprim17ROCPRIM_400000_NS6detail17trampoline_kernelINS0_14default_configENS1_38merge_sort_block_merge_config_selectorIsNS0_10empty_typeEEEZZNS1_27merge_sort_block_merge_implIS3_N6thrust23THRUST_200600_302600_NS6detail15normal_iteratorINS9_10device_ptrIsEEEEPS5_m9comp_mod3IsEEE10hipError_tT0_T1_T2_jT3_P12ihipStream_tbPNSt15iterator_traitsISJ_E10value_typeEPNSP_ISK_E10value_typeEPSL_NS1_7vsmem_tEENKUlT_SJ_SK_SL_E_clISE_PsSF_SF_EESI_SY_SJ_SK_SL_EUlSY_E1_NS1_11comp_targetILNS1_3genE9ELNS1_11target_archE1100ELNS1_3gpuE3ELNS1_3repE0EEENS1_36merge_oddeven_config_static_selectorELNS0_4arch9wavefront6targetE0EEEvSK_.has_recursion, 0
	.set _ZN7rocprim17ROCPRIM_400000_NS6detail17trampoline_kernelINS0_14default_configENS1_38merge_sort_block_merge_config_selectorIsNS0_10empty_typeEEEZZNS1_27merge_sort_block_merge_implIS3_N6thrust23THRUST_200600_302600_NS6detail15normal_iteratorINS9_10device_ptrIsEEEEPS5_m9comp_mod3IsEEE10hipError_tT0_T1_T2_jT3_P12ihipStream_tbPNSt15iterator_traitsISJ_E10value_typeEPNSP_ISK_E10value_typeEPSL_NS1_7vsmem_tEENKUlT_SJ_SK_SL_E_clISE_PsSF_SF_EESI_SY_SJ_SK_SL_EUlSY_E1_NS1_11comp_targetILNS1_3genE9ELNS1_11target_archE1100ELNS1_3gpuE3ELNS1_3repE0EEENS1_36merge_oddeven_config_static_selectorELNS0_4arch9wavefront6targetE0EEEvSK_.has_indirect_call, 0
	.section	.AMDGPU.csdata,"",@progbits
; Kernel info:
; codeLenInByte = 0
; TotalNumSgprs: 0
; NumVgprs: 0
; ScratchSize: 0
; MemoryBound: 0
; FloatMode: 240
; IeeeMode: 1
; LDSByteSize: 0 bytes/workgroup (compile time only)
; SGPRBlocks: 0
; VGPRBlocks: 0
; NumSGPRsForWavesPerEU: 1
; NumVGPRsForWavesPerEU: 1
; Occupancy: 16
; WaveLimiterHint : 0
; COMPUTE_PGM_RSRC2:SCRATCH_EN: 0
; COMPUTE_PGM_RSRC2:USER_SGPR: 6
; COMPUTE_PGM_RSRC2:TRAP_HANDLER: 0
; COMPUTE_PGM_RSRC2:TGID_X_EN: 1
; COMPUTE_PGM_RSRC2:TGID_Y_EN: 0
; COMPUTE_PGM_RSRC2:TGID_Z_EN: 0
; COMPUTE_PGM_RSRC2:TIDIG_COMP_CNT: 0
	.section	.text._ZN7rocprim17ROCPRIM_400000_NS6detail17trampoline_kernelINS0_14default_configENS1_38merge_sort_block_merge_config_selectorIsNS0_10empty_typeEEEZZNS1_27merge_sort_block_merge_implIS3_N6thrust23THRUST_200600_302600_NS6detail15normal_iteratorINS9_10device_ptrIsEEEEPS5_m9comp_mod3IsEEE10hipError_tT0_T1_T2_jT3_P12ihipStream_tbPNSt15iterator_traitsISJ_E10value_typeEPNSP_ISK_E10value_typeEPSL_NS1_7vsmem_tEENKUlT_SJ_SK_SL_E_clISE_PsSF_SF_EESI_SY_SJ_SK_SL_EUlSY_E1_NS1_11comp_targetILNS1_3genE8ELNS1_11target_archE1030ELNS1_3gpuE2ELNS1_3repE0EEENS1_36merge_oddeven_config_static_selectorELNS0_4arch9wavefront6targetE0EEEvSK_,"axG",@progbits,_ZN7rocprim17ROCPRIM_400000_NS6detail17trampoline_kernelINS0_14default_configENS1_38merge_sort_block_merge_config_selectorIsNS0_10empty_typeEEEZZNS1_27merge_sort_block_merge_implIS3_N6thrust23THRUST_200600_302600_NS6detail15normal_iteratorINS9_10device_ptrIsEEEEPS5_m9comp_mod3IsEEE10hipError_tT0_T1_T2_jT3_P12ihipStream_tbPNSt15iterator_traitsISJ_E10value_typeEPNSP_ISK_E10value_typeEPSL_NS1_7vsmem_tEENKUlT_SJ_SK_SL_E_clISE_PsSF_SF_EESI_SY_SJ_SK_SL_EUlSY_E1_NS1_11comp_targetILNS1_3genE8ELNS1_11target_archE1030ELNS1_3gpuE2ELNS1_3repE0EEENS1_36merge_oddeven_config_static_selectorELNS0_4arch9wavefront6targetE0EEEvSK_,comdat
	.protected	_ZN7rocprim17ROCPRIM_400000_NS6detail17trampoline_kernelINS0_14default_configENS1_38merge_sort_block_merge_config_selectorIsNS0_10empty_typeEEEZZNS1_27merge_sort_block_merge_implIS3_N6thrust23THRUST_200600_302600_NS6detail15normal_iteratorINS9_10device_ptrIsEEEEPS5_m9comp_mod3IsEEE10hipError_tT0_T1_T2_jT3_P12ihipStream_tbPNSt15iterator_traitsISJ_E10value_typeEPNSP_ISK_E10value_typeEPSL_NS1_7vsmem_tEENKUlT_SJ_SK_SL_E_clISE_PsSF_SF_EESI_SY_SJ_SK_SL_EUlSY_E1_NS1_11comp_targetILNS1_3genE8ELNS1_11target_archE1030ELNS1_3gpuE2ELNS1_3repE0EEENS1_36merge_oddeven_config_static_selectorELNS0_4arch9wavefront6targetE0EEEvSK_ ; -- Begin function _ZN7rocprim17ROCPRIM_400000_NS6detail17trampoline_kernelINS0_14default_configENS1_38merge_sort_block_merge_config_selectorIsNS0_10empty_typeEEEZZNS1_27merge_sort_block_merge_implIS3_N6thrust23THRUST_200600_302600_NS6detail15normal_iteratorINS9_10device_ptrIsEEEEPS5_m9comp_mod3IsEEE10hipError_tT0_T1_T2_jT3_P12ihipStream_tbPNSt15iterator_traitsISJ_E10value_typeEPNSP_ISK_E10value_typeEPSL_NS1_7vsmem_tEENKUlT_SJ_SK_SL_E_clISE_PsSF_SF_EESI_SY_SJ_SK_SL_EUlSY_E1_NS1_11comp_targetILNS1_3genE8ELNS1_11target_archE1030ELNS1_3gpuE2ELNS1_3repE0EEENS1_36merge_oddeven_config_static_selectorELNS0_4arch9wavefront6targetE0EEEvSK_
	.globl	_ZN7rocprim17ROCPRIM_400000_NS6detail17trampoline_kernelINS0_14default_configENS1_38merge_sort_block_merge_config_selectorIsNS0_10empty_typeEEEZZNS1_27merge_sort_block_merge_implIS3_N6thrust23THRUST_200600_302600_NS6detail15normal_iteratorINS9_10device_ptrIsEEEEPS5_m9comp_mod3IsEEE10hipError_tT0_T1_T2_jT3_P12ihipStream_tbPNSt15iterator_traitsISJ_E10value_typeEPNSP_ISK_E10value_typeEPSL_NS1_7vsmem_tEENKUlT_SJ_SK_SL_E_clISE_PsSF_SF_EESI_SY_SJ_SK_SL_EUlSY_E1_NS1_11comp_targetILNS1_3genE8ELNS1_11target_archE1030ELNS1_3gpuE2ELNS1_3repE0EEENS1_36merge_oddeven_config_static_selectorELNS0_4arch9wavefront6targetE0EEEvSK_
	.p2align	8
	.type	_ZN7rocprim17ROCPRIM_400000_NS6detail17trampoline_kernelINS0_14default_configENS1_38merge_sort_block_merge_config_selectorIsNS0_10empty_typeEEEZZNS1_27merge_sort_block_merge_implIS3_N6thrust23THRUST_200600_302600_NS6detail15normal_iteratorINS9_10device_ptrIsEEEEPS5_m9comp_mod3IsEEE10hipError_tT0_T1_T2_jT3_P12ihipStream_tbPNSt15iterator_traitsISJ_E10value_typeEPNSP_ISK_E10value_typeEPSL_NS1_7vsmem_tEENKUlT_SJ_SK_SL_E_clISE_PsSF_SF_EESI_SY_SJ_SK_SL_EUlSY_E1_NS1_11comp_targetILNS1_3genE8ELNS1_11target_archE1030ELNS1_3gpuE2ELNS1_3repE0EEENS1_36merge_oddeven_config_static_selectorELNS0_4arch9wavefront6targetE0EEEvSK_,@function
_ZN7rocprim17ROCPRIM_400000_NS6detail17trampoline_kernelINS0_14default_configENS1_38merge_sort_block_merge_config_selectorIsNS0_10empty_typeEEEZZNS1_27merge_sort_block_merge_implIS3_N6thrust23THRUST_200600_302600_NS6detail15normal_iteratorINS9_10device_ptrIsEEEEPS5_m9comp_mod3IsEEE10hipError_tT0_T1_T2_jT3_P12ihipStream_tbPNSt15iterator_traitsISJ_E10value_typeEPNSP_ISK_E10value_typeEPSL_NS1_7vsmem_tEENKUlT_SJ_SK_SL_E_clISE_PsSF_SF_EESI_SY_SJ_SK_SL_EUlSY_E1_NS1_11comp_targetILNS1_3genE8ELNS1_11target_archE1030ELNS1_3gpuE2ELNS1_3repE0EEENS1_36merge_oddeven_config_static_selectorELNS0_4arch9wavefront6targetE0EEEvSK_: ; @_ZN7rocprim17ROCPRIM_400000_NS6detail17trampoline_kernelINS0_14default_configENS1_38merge_sort_block_merge_config_selectorIsNS0_10empty_typeEEEZZNS1_27merge_sort_block_merge_implIS3_N6thrust23THRUST_200600_302600_NS6detail15normal_iteratorINS9_10device_ptrIsEEEEPS5_m9comp_mod3IsEEE10hipError_tT0_T1_T2_jT3_P12ihipStream_tbPNSt15iterator_traitsISJ_E10value_typeEPNSP_ISK_E10value_typeEPSL_NS1_7vsmem_tEENKUlT_SJ_SK_SL_E_clISE_PsSF_SF_EESI_SY_SJ_SK_SL_EUlSY_E1_NS1_11comp_targetILNS1_3genE8ELNS1_11target_archE1030ELNS1_3gpuE2ELNS1_3repE0EEENS1_36merge_oddeven_config_static_selectorELNS0_4arch9wavefront6targetE0EEEvSK_
; %bb.0:
	s_load_dword s7, s[4:5], 0x20
	s_waitcnt lgkmcnt(0)
	s_lshr_b32 s0, s7, 8
	s_cmp_lg_u32 s6, s0
	s_cselect_b32 s2, -1, 0
	s_cmp_eq_u32 s6, s0
	s_cselect_b32 s14, -1, 0
	s_lshl_b32 s12, s6, 8
	s_sub_i32 s0, s7, s12
	v_cmp_gt_u32_e64 s0, s0, v0
	s_or_b32 s1, s2, s0
	s_and_saveexec_b32 s3, s1
	s_cbranch_execz .LBB1093_28
; %bb.1:
	s_clause 0x1
	s_load_dwordx4 s[8:11], s[4:5], 0x0
	s_load_dword s15, s[4:5], 0x28
	s_mov_b32 s13, 0
	v_lshlrev_b32_e32 v1, 1, v0
	s_lshl_b64 s[16:17], s[12:13], 1
	v_add_nc_u32_e32 v2, s12, v0
	s_waitcnt lgkmcnt(0)
	s_add_u32 s16, s8, s16
	s_addc_u32 s17, s9, s17
	s_lshr_b32 s1, s15, 8
	global_load_ushort v4, v1, s[16:17]
	s_sub_i32 s3, 0, s1
	s_and_b32 s3, s6, s3
	s_and_b32 s6, s3, s1
	s_cmp_lg_u32 s6, 0
	s_cselect_b32 s1, -1, 0
	s_lshl_b32 s16, s3, 8
	s_sub_i32 s3, 0, s15
	s_cmp_eq_u32 s6, 0
	s_cselect_b32 s6, s15, s3
	s_add_i32 s6, s6, s16
	s_cmp_lt_u32 s6, s7
	s_cbranch_scc1 .LBB1093_3
; %bb.2:
	v_cmp_gt_u32_e32 vcc_lo, s7, v2
	s_or_b32 s3, vcc_lo, s2
	s_and_b32 s13, s3, exec_lo
	s_cbranch_execz .LBB1093_4
	s_branch .LBB1093_26
.LBB1093_3:
.LBB1093_4:
	s_load_dwordx2 s[2:3], s[4:5], 0x30
	s_waitcnt vmcnt(0)
	v_bfe_i32 v0, v4, 0, 16
	s_min_u32 s4, s6, s7
	s_add_i32 s5, s16, s4
	s_add_i32 s12, s4, s15
	v_ashrrev_i32_e32 v1, 31, v0
	v_subrev_nc_u32_e32 v2, s5, v2
	s_min_u32 s5, s16, s4
	v_lshlrev_b64 v[0:1], 1, v[0:1]
	v_add_nc_u32_e32 v5, s5, v2
	s_min_u32 s5, s12, s7
	s_waitcnt lgkmcnt(0)
	v_add_co_u32 v0, vcc_lo, s2, v0
	v_add_co_ci_u32_e64 v1, null, s3, v1, vcc_lo
	s_and_b32 vcc_lo, exec_lo, s14
	s_cbranch_vccz .LBB1093_13
; %bb.5:
                                        ; implicit-def: $vgpr2
	s_and_saveexec_b32 s7, s0
	s_cbranch_execz .LBB1093_16
; %bb.6:
	v_mov_b32_e32 v6, s4
	s_cmp_ge_u32 s6, s5
	s_cbranch_scc1 .LBB1093_15
; %bb.7:
	v_mov_b32_e32 v7, s5
	v_mov_b32_e32 v6, s4
	s_mov_b32 s0, 0
	s_branch .LBB1093_9
.LBB1093_8:                             ;   in Loop: Header=BB1093_9 Depth=1
	v_lshrrev_b32_e32 v2, 1, v8
	v_add_nc_u32_e32 v3, 1, v2
	v_cndmask_b32_e64 v7, v2, v7, s12
	v_cndmask_b32_e64 v6, v6, v3, s12
	v_cmp_ge_u32_e32 vcc_lo, v6, v7
	s_or_b32 s0, vcc_lo, s0
	s_andn2_b32 exec_lo, exec_lo, s0
	s_cbranch_execz .LBB1093_14
.LBB1093_9:                             ; =>This Inner Loop Header: Depth=1
	v_add_nc_u32_e32 v8, v6, v7
	s_andn2_b32 vcc_lo, exec_lo, s1
	s_mov_b32 s14, -1
                                        ; implicit-def: $sgpr12
	v_and_b32_e32 v2, -2, v8
	global_load_ushort v2, v2, s[8:9]
	s_waitcnt vmcnt(0)
	v_bfe_i32 v2, v2, 0, 16
	v_ashrrev_i32_e32 v3, 31, v2
	s_cbranch_vccnz .LBB1093_11
; %bb.10:                               ;   in Loop: Header=BB1093_9 Depth=1
	v_lshlrev_b64 v[9:10], 1, v[2:3]
	s_mov_b32 s14, 0
	v_add_co_u32 v9, vcc_lo, s2, v9
	v_add_co_ci_u32_e64 v10, null, s3, v10, vcc_lo
	s_clause 0x1
	global_load_ushort v11, v[0:1], off
	global_load_ushort v9, v[9:10], off
	s_waitcnt vmcnt(0)
	v_cmp_ge_i16_e64 s12, v11, v9
.LBB1093_11:                            ;   in Loop: Header=BB1093_9 Depth=1
	s_andn2_b32 vcc_lo, exec_lo, s14
	s_cbranch_vccnz .LBB1093_8
; %bb.12:                               ;   in Loop: Header=BB1093_9 Depth=1
	v_lshlrev_b64 v[2:3], 1, v[2:3]
	s_andn2_b32 s12, s12, exec_lo
	v_add_co_u32 v2, vcc_lo, s2, v2
	v_add_co_ci_u32_e64 v3, null, s3, v3, vcc_lo
	s_clause 0x1
	global_load_ushort v2, v[2:3], off
	global_load_ushort v3, v[0:1], off
	s_waitcnt vmcnt(0)
	v_cmp_lt_i16_e32 vcc_lo, v2, v3
	s_and_b32 s14, vcc_lo, exec_lo
	s_or_b32 s12, s12, s14
	s_branch .LBB1093_8
.LBB1093_13:
                                        ; implicit-def: $vgpr2
	s_cbranch_execnz .LBB1093_17
	s_branch .LBB1093_26
.LBB1093_14:
	s_or_b32 exec_lo, exec_lo, s0
.LBB1093_15:
	v_add_nc_u32_e32 v2, v6, v5
	s_or_b32 s13, s13, exec_lo
.LBB1093_16:
	s_or_b32 exec_lo, exec_lo, s7
	s_branch .LBB1093_26
.LBB1093_17:
	v_mov_b32_e32 v6, s4
	s_cmp_ge_u32 s6, s5
	s_cbranch_scc1 .LBB1093_25
; %bb.18:
	v_mov_b32_e32 v7, s5
	v_mov_b32_e32 v6, s4
	s_mov_b32 s0, 0
	s_branch .LBB1093_20
.LBB1093_19:                            ;   in Loop: Header=BB1093_20 Depth=1
	v_lshrrev_b32_e32 v2, 1, v8
	v_add_nc_u32_e32 v3, 1, v2
	v_cndmask_b32_e64 v7, v2, v7, s4
	v_cndmask_b32_e64 v6, v6, v3, s4
	v_cmp_ge_u32_e32 vcc_lo, v6, v7
	s_or_b32 s0, vcc_lo, s0
	s_andn2_b32 exec_lo, exec_lo, s0
	s_cbranch_execz .LBB1093_24
.LBB1093_20:                            ; =>This Inner Loop Header: Depth=1
	v_add_nc_u32_e32 v8, v6, v7
	s_andn2_b32 vcc_lo, exec_lo, s1
	s_mov_b32 s5, -1
                                        ; implicit-def: $sgpr4
	v_and_b32_e32 v2, -2, v8
	global_load_ushort v2, v2, s[8:9]
	s_waitcnt vmcnt(0)
	v_bfe_i32 v2, v2, 0, 16
	v_ashrrev_i32_e32 v3, 31, v2
	s_cbranch_vccnz .LBB1093_22
; %bb.21:                               ;   in Loop: Header=BB1093_20 Depth=1
	v_lshlrev_b64 v[9:10], 1, v[2:3]
	s_mov_b32 s5, 0
	v_add_co_u32 v9, vcc_lo, s2, v9
	v_add_co_ci_u32_e64 v10, null, s3, v10, vcc_lo
	s_clause 0x1
	global_load_ushort v11, v[0:1], off
	global_load_ushort v9, v[9:10], off
	s_waitcnt vmcnt(0)
	v_cmp_ge_i16_e64 s4, v11, v9
.LBB1093_22:                            ;   in Loop: Header=BB1093_20 Depth=1
	s_andn2_b32 vcc_lo, exec_lo, s5
	s_cbranch_vccnz .LBB1093_19
; %bb.23:                               ;   in Loop: Header=BB1093_20 Depth=1
	v_lshlrev_b64 v[2:3], 1, v[2:3]
	s_andn2_b32 s4, s4, exec_lo
	v_add_co_u32 v2, vcc_lo, s2, v2
	v_add_co_ci_u32_e64 v3, null, s3, v3, vcc_lo
	s_clause 0x1
	global_load_ushort v2, v[2:3], off
	global_load_ushort v3, v[0:1], off
	s_waitcnt vmcnt(0)
	v_cmp_lt_i16_e32 vcc_lo, v2, v3
	s_and_b32 s5, vcc_lo, exec_lo
	s_or_b32 s4, s4, s5
	s_branch .LBB1093_19
.LBB1093_24:
	s_or_b32 exec_lo, exec_lo, s0
.LBB1093_25:
	v_add_nc_u32_e32 v2, v6, v5
	s_mov_b32 s13, -1
.LBB1093_26:
	s_and_b32 exec_lo, exec_lo, s13
	s_cbranch_execz .LBB1093_28
; %bb.27:
	v_mov_b32_e32 v3, 0
	v_lshlrev_b64 v[0:1], 1, v[2:3]
	v_add_co_u32 v0, vcc_lo, s10, v0
	v_add_co_ci_u32_e64 v1, null, s11, v1, vcc_lo
	s_waitcnt vmcnt(0)
	global_store_short v[0:1], v4, off
.LBB1093_28:
	s_endpgm
	.section	.rodata,"a",@progbits
	.p2align	6, 0x0
	.amdhsa_kernel _ZN7rocprim17ROCPRIM_400000_NS6detail17trampoline_kernelINS0_14default_configENS1_38merge_sort_block_merge_config_selectorIsNS0_10empty_typeEEEZZNS1_27merge_sort_block_merge_implIS3_N6thrust23THRUST_200600_302600_NS6detail15normal_iteratorINS9_10device_ptrIsEEEEPS5_m9comp_mod3IsEEE10hipError_tT0_T1_T2_jT3_P12ihipStream_tbPNSt15iterator_traitsISJ_E10value_typeEPNSP_ISK_E10value_typeEPSL_NS1_7vsmem_tEENKUlT_SJ_SK_SL_E_clISE_PsSF_SF_EESI_SY_SJ_SK_SL_EUlSY_E1_NS1_11comp_targetILNS1_3genE8ELNS1_11target_archE1030ELNS1_3gpuE2ELNS1_3repE0EEENS1_36merge_oddeven_config_static_selectorELNS0_4arch9wavefront6targetE0EEEvSK_
		.amdhsa_group_segment_fixed_size 0
		.amdhsa_private_segment_fixed_size 0
		.amdhsa_kernarg_size 56
		.amdhsa_user_sgpr_count 6
		.amdhsa_user_sgpr_private_segment_buffer 1
		.amdhsa_user_sgpr_dispatch_ptr 0
		.amdhsa_user_sgpr_queue_ptr 0
		.amdhsa_user_sgpr_kernarg_segment_ptr 1
		.amdhsa_user_sgpr_dispatch_id 0
		.amdhsa_user_sgpr_flat_scratch_init 0
		.amdhsa_user_sgpr_private_segment_size 0
		.amdhsa_wavefront_size32 1
		.amdhsa_uses_dynamic_stack 0
		.amdhsa_system_sgpr_private_segment_wavefront_offset 0
		.amdhsa_system_sgpr_workgroup_id_x 1
		.amdhsa_system_sgpr_workgroup_id_y 0
		.amdhsa_system_sgpr_workgroup_id_z 0
		.amdhsa_system_sgpr_workgroup_info 0
		.amdhsa_system_vgpr_workitem_id 0
		.amdhsa_next_free_vgpr 12
		.amdhsa_next_free_sgpr 18
		.amdhsa_reserve_vcc 1
		.amdhsa_reserve_flat_scratch 0
		.amdhsa_float_round_mode_32 0
		.amdhsa_float_round_mode_16_64 0
		.amdhsa_float_denorm_mode_32 3
		.amdhsa_float_denorm_mode_16_64 3
		.amdhsa_dx10_clamp 1
		.amdhsa_ieee_mode 1
		.amdhsa_fp16_overflow 0
		.amdhsa_workgroup_processor_mode 1
		.amdhsa_memory_ordered 1
		.amdhsa_forward_progress 1
		.amdhsa_shared_vgpr_count 0
		.amdhsa_exception_fp_ieee_invalid_op 0
		.amdhsa_exception_fp_denorm_src 0
		.amdhsa_exception_fp_ieee_div_zero 0
		.amdhsa_exception_fp_ieee_overflow 0
		.amdhsa_exception_fp_ieee_underflow 0
		.amdhsa_exception_fp_ieee_inexact 0
		.amdhsa_exception_int_div_zero 0
	.end_amdhsa_kernel
	.section	.text._ZN7rocprim17ROCPRIM_400000_NS6detail17trampoline_kernelINS0_14default_configENS1_38merge_sort_block_merge_config_selectorIsNS0_10empty_typeEEEZZNS1_27merge_sort_block_merge_implIS3_N6thrust23THRUST_200600_302600_NS6detail15normal_iteratorINS9_10device_ptrIsEEEEPS5_m9comp_mod3IsEEE10hipError_tT0_T1_T2_jT3_P12ihipStream_tbPNSt15iterator_traitsISJ_E10value_typeEPNSP_ISK_E10value_typeEPSL_NS1_7vsmem_tEENKUlT_SJ_SK_SL_E_clISE_PsSF_SF_EESI_SY_SJ_SK_SL_EUlSY_E1_NS1_11comp_targetILNS1_3genE8ELNS1_11target_archE1030ELNS1_3gpuE2ELNS1_3repE0EEENS1_36merge_oddeven_config_static_selectorELNS0_4arch9wavefront6targetE0EEEvSK_,"axG",@progbits,_ZN7rocprim17ROCPRIM_400000_NS6detail17trampoline_kernelINS0_14default_configENS1_38merge_sort_block_merge_config_selectorIsNS0_10empty_typeEEEZZNS1_27merge_sort_block_merge_implIS3_N6thrust23THRUST_200600_302600_NS6detail15normal_iteratorINS9_10device_ptrIsEEEEPS5_m9comp_mod3IsEEE10hipError_tT0_T1_T2_jT3_P12ihipStream_tbPNSt15iterator_traitsISJ_E10value_typeEPNSP_ISK_E10value_typeEPSL_NS1_7vsmem_tEENKUlT_SJ_SK_SL_E_clISE_PsSF_SF_EESI_SY_SJ_SK_SL_EUlSY_E1_NS1_11comp_targetILNS1_3genE8ELNS1_11target_archE1030ELNS1_3gpuE2ELNS1_3repE0EEENS1_36merge_oddeven_config_static_selectorELNS0_4arch9wavefront6targetE0EEEvSK_,comdat
.Lfunc_end1093:
	.size	_ZN7rocprim17ROCPRIM_400000_NS6detail17trampoline_kernelINS0_14default_configENS1_38merge_sort_block_merge_config_selectorIsNS0_10empty_typeEEEZZNS1_27merge_sort_block_merge_implIS3_N6thrust23THRUST_200600_302600_NS6detail15normal_iteratorINS9_10device_ptrIsEEEEPS5_m9comp_mod3IsEEE10hipError_tT0_T1_T2_jT3_P12ihipStream_tbPNSt15iterator_traitsISJ_E10value_typeEPNSP_ISK_E10value_typeEPSL_NS1_7vsmem_tEENKUlT_SJ_SK_SL_E_clISE_PsSF_SF_EESI_SY_SJ_SK_SL_EUlSY_E1_NS1_11comp_targetILNS1_3genE8ELNS1_11target_archE1030ELNS1_3gpuE2ELNS1_3repE0EEENS1_36merge_oddeven_config_static_selectorELNS0_4arch9wavefront6targetE0EEEvSK_, .Lfunc_end1093-_ZN7rocprim17ROCPRIM_400000_NS6detail17trampoline_kernelINS0_14default_configENS1_38merge_sort_block_merge_config_selectorIsNS0_10empty_typeEEEZZNS1_27merge_sort_block_merge_implIS3_N6thrust23THRUST_200600_302600_NS6detail15normal_iteratorINS9_10device_ptrIsEEEEPS5_m9comp_mod3IsEEE10hipError_tT0_T1_T2_jT3_P12ihipStream_tbPNSt15iterator_traitsISJ_E10value_typeEPNSP_ISK_E10value_typeEPSL_NS1_7vsmem_tEENKUlT_SJ_SK_SL_E_clISE_PsSF_SF_EESI_SY_SJ_SK_SL_EUlSY_E1_NS1_11comp_targetILNS1_3genE8ELNS1_11target_archE1030ELNS1_3gpuE2ELNS1_3repE0EEENS1_36merge_oddeven_config_static_selectorELNS0_4arch9wavefront6targetE0EEEvSK_
                                        ; -- End function
	.set _ZN7rocprim17ROCPRIM_400000_NS6detail17trampoline_kernelINS0_14default_configENS1_38merge_sort_block_merge_config_selectorIsNS0_10empty_typeEEEZZNS1_27merge_sort_block_merge_implIS3_N6thrust23THRUST_200600_302600_NS6detail15normal_iteratorINS9_10device_ptrIsEEEEPS5_m9comp_mod3IsEEE10hipError_tT0_T1_T2_jT3_P12ihipStream_tbPNSt15iterator_traitsISJ_E10value_typeEPNSP_ISK_E10value_typeEPSL_NS1_7vsmem_tEENKUlT_SJ_SK_SL_E_clISE_PsSF_SF_EESI_SY_SJ_SK_SL_EUlSY_E1_NS1_11comp_targetILNS1_3genE8ELNS1_11target_archE1030ELNS1_3gpuE2ELNS1_3repE0EEENS1_36merge_oddeven_config_static_selectorELNS0_4arch9wavefront6targetE0EEEvSK_.num_vgpr, 12
	.set _ZN7rocprim17ROCPRIM_400000_NS6detail17trampoline_kernelINS0_14default_configENS1_38merge_sort_block_merge_config_selectorIsNS0_10empty_typeEEEZZNS1_27merge_sort_block_merge_implIS3_N6thrust23THRUST_200600_302600_NS6detail15normal_iteratorINS9_10device_ptrIsEEEEPS5_m9comp_mod3IsEEE10hipError_tT0_T1_T2_jT3_P12ihipStream_tbPNSt15iterator_traitsISJ_E10value_typeEPNSP_ISK_E10value_typeEPSL_NS1_7vsmem_tEENKUlT_SJ_SK_SL_E_clISE_PsSF_SF_EESI_SY_SJ_SK_SL_EUlSY_E1_NS1_11comp_targetILNS1_3genE8ELNS1_11target_archE1030ELNS1_3gpuE2ELNS1_3repE0EEENS1_36merge_oddeven_config_static_selectorELNS0_4arch9wavefront6targetE0EEEvSK_.num_agpr, 0
	.set _ZN7rocprim17ROCPRIM_400000_NS6detail17trampoline_kernelINS0_14default_configENS1_38merge_sort_block_merge_config_selectorIsNS0_10empty_typeEEEZZNS1_27merge_sort_block_merge_implIS3_N6thrust23THRUST_200600_302600_NS6detail15normal_iteratorINS9_10device_ptrIsEEEEPS5_m9comp_mod3IsEEE10hipError_tT0_T1_T2_jT3_P12ihipStream_tbPNSt15iterator_traitsISJ_E10value_typeEPNSP_ISK_E10value_typeEPSL_NS1_7vsmem_tEENKUlT_SJ_SK_SL_E_clISE_PsSF_SF_EESI_SY_SJ_SK_SL_EUlSY_E1_NS1_11comp_targetILNS1_3genE8ELNS1_11target_archE1030ELNS1_3gpuE2ELNS1_3repE0EEENS1_36merge_oddeven_config_static_selectorELNS0_4arch9wavefront6targetE0EEEvSK_.numbered_sgpr, 18
	.set _ZN7rocprim17ROCPRIM_400000_NS6detail17trampoline_kernelINS0_14default_configENS1_38merge_sort_block_merge_config_selectorIsNS0_10empty_typeEEEZZNS1_27merge_sort_block_merge_implIS3_N6thrust23THRUST_200600_302600_NS6detail15normal_iteratorINS9_10device_ptrIsEEEEPS5_m9comp_mod3IsEEE10hipError_tT0_T1_T2_jT3_P12ihipStream_tbPNSt15iterator_traitsISJ_E10value_typeEPNSP_ISK_E10value_typeEPSL_NS1_7vsmem_tEENKUlT_SJ_SK_SL_E_clISE_PsSF_SF_EESI_SY_SJ_SK_SL_EUlSY_E1_NS1_11comp_targetILNS1_3genE8ELNS1_11target_archE1030ELNS1_3gpuE2ELNS1_3repE0EEENS1_36merge_oddeven_config_static_selectorELNS0_4arch9wavefront6targetE0EEEvSK_.num_named_barrier, 0
	.set _ZN7rocprim17ROCPRIM_400000_NS6detail17trampoline_kernelINS0_14default_configENS1_38merge_sort_block_merge_config_selectorIsNS0_10empty_typeEEEZZNS1_27merge_sort_block_merge_implIS3_N6thrust23THRUST_200600_302600_NS6detail15normal_iteratorINS9_10device_ptrIsEEEEPS5_m9comp_mod3IsEEE10hipError_tT0_T1_T2_jT3_P12ihipStream_tbPNSt15iterator_traitsISJ_E10value_typeEPNSP_ISK_E10value_typeEPSL_NS1_7vsmem_tEENKUlT_SJ_SK_SL_E_clISE_PsSF_SF_EESI_SY_SJ_SK_SL_EUlSY_E1_NS1_11comp_targetILNS1_3genE8ELNS1_11target_archE1030ELNS1_3gpuE2ELNS1_3repE0EEENS1_36merge_oddeven_config_static_selectorELNS0_4arch9wavefront6targetE0EEEvSK_.private_seg_size, 0
	.set _ZN7rocprim17ROCPRIM_400000_NS6detail17trampoline_kernelINS0_14default_configENS1_38merge_sort_block_merge_config_selectorIsNS0_10empty_typeEEEZZNS1_27merge_sort_block_merge_implIS3_N6thrust23THRUST_200600_302600_NS6detail15normal_iteratorINS9_10device_ptrIsEEEEPS5_m9comp_mod3IsEEE10hipError_tT0_T1_T2_jT3_P12ihipStream_tbPNSt15iterator_traitsISJ_E10value_typeEPNSP_ISK_E10value_typeEPSL_NS1_7vsmem_tEENKUlT_SJ_SK_SL_E_clISE_PsSF_SF_EESI_SY_SJ_SK_SL_EUlSY_E1_NS1_11comp_targetILNS1_3genE8ELNS1_11target_archE1030ELNS1_3gpuE2ELNS1_3repE0EEENS1_36merge_oddeven_config_static_selectorELNS0_4arch9wavefront6targetE0EEEvSK_.uses_vcc, 1
	.set _ZN7rocprim17ROCPRIM_400000_NS6detail17trampoline_kernelINS0_14default_configENS1_38merge_sort_block_merge_config_selectorIsNS0_10empty_typeEEEZZNS1_27merge_sort_block_merge_implIS3_N6thrust23THRUST_200600_302600_NS6detail15normal_iteratorINS9_10device_ptrIsEEEEPS5_m9comp_mod3IsEEE10hipError_tT0_T1_T2_jT3_P12ihipStream_tbPNSt15iterator_traitsISJ_E10value_typeEPNSP_ISK_E10value_typeEPSL_NS1_7vsmem_tEENKUlT_SJ_SK_SL_E_clISE_PsSF_SF_EESI_SY_SJ_SK_SL_EUlSY_E1_NS1_11comp_targetILNS1_3genE8ELNS1_11target_archE1030ELNS1_3gpuE2ELNS1_3repE0EEENS1_36merge_oddeven_config_static_selectorELNS0_4arch9wavefront6targetE0EEEvSK_.uses_flat_scratch, 0
	.set _ZN7rocprim17ROCPRIM_400000_NS6detail17trampoline_kernelINS0_14default_configENS1_38merge_sort_block_merge_config_selectorIsNS0_10empty_typeEEEZZNS1_27merge_sort_block_merge_implIS3_N6thrust23THRUST_200600_302600_NS6detail15normal_iteratorINS9_10device_ptrIsEEEEPS5_m9comp_mod3IsEEE10hipError_tT0_T1_T2_jT3_P12ihipStream_tbPNSt15iterator_traitsISJ_E10value_typeEPNSP_ISK_E10value_typeEPSL_NS1_7vsmem_tEENKUlT_SJ_SK_SL_E_clISE_PsSF_SF_EESI_SY_SJ_SK_SL_EUlSY_E1_NS1_11comp_targetILNS1_3genE8ELNS1_11target_archE1030ELNS1_3gpuE2ELNS1_3repE0EEENS1_36merge_oddeven_config_static_selectorELNS0_4arch9wavefront6targetE0EEEvSK_.has_dyn_sized_stack, 0
	.set _ZN7rocprim17ROCPRIM_400000_NS6detail17trampoline_kernelINS0_14default_configENS1_38merge_sort_block_merge_config_selectorIsNS0_10empty_typeEEEZZNS1_27merge_sort_block_merge_implIS3_N6thrust23THRUST_200600_302600_NS6detail15normal_iteratorINS9_10device_ptrIsEEEEPS5_m9comp_mod3IsEEE10hipError_tT0_T1_T2_jT3_P12ihipStream_tbPNSt15iterator_traitsISJ_E10value_typeEPNSP_ISK_E10value_typeEPSL_NS1_7vsmem_tEENKUlT_SJ_SK_SL_E_clISE_PsSF_SF_EESI_SY_SJ_SK_SL_EUlSY_E1_NS1_11comp_targetILNS1_3genE8ELNS1_11target_archE1030ELNS1_3gpuE2ELNS1_3repE0EEENS1_36merge_oddeven_config_static_selectorELNS0_4arch9wavefront6targetE0EEEvSK_.has_recursion, 0
	.set _ZN7rocprim17ROCPRIM_400000_NS6detail17trampoline_kernelINS0_14default_configENS1_38merge_sort_block_merge_config_selectorIsNS0_10empty_typeEEEZZNS1_27merge_sort_block_merge_implIS3_N6thrust23THRUST_200600_302600_NS6detail15normal_iteratorINS9_10device_ptrIsEEEEPS5_m9comp_mod3IsEEE10hipError_tT0_T1_T2_jT3_P12ihipStream_tbPNSt15iterator_traitsISJ_E10value_typeEPNSP_ISK_E10value_typeEPSL_NS1_7vsmem_tEENKUlT_SJ_SK_SL_E_clISE_PsSF_SF_EESI_SY_SJ_SK_SL_EUlSY_E1_NS1_11comp_targetILNS1_3genE8ELNS1_11target_archE1030ELNS1_3gpuE2ELNS1_3repE0EEENS1_36merge_oddeven_config_static_selectorELNS0_4arch9wavefront6targetE0EEEvSK_.has_indirect_call, 0
	.section	.AMDGPU.csdata,"",@progbits
; Kernel info:
; codeLenInByte = 872
; TotalNumSgprs: 20
; NumVgprs: 12
; ScratchSize: 0
; MemoryBound: 0
; FloatMode: 240
; IeeeMode: 1
; LDSByteSize: 0 bytes/workgroup (compile time only)
; SGPRBlocks: 0
; VGPRBlocks: 1
; NumSGPRsForWavesPerEU: 20
; NumVGPRsForWavesPerEU: 12
; Occupancy: 16
; WaveLimiterHint : 1
; COMPUTE_PGM_RSRC2:SCRATCH_EN: 0
; COMPUTE_PGM_RSRC2:USER_SGPR: 6
; COMPUTE_PGM_RSRC2:TRAP_HANDLER: 0
; COMPUTE_PGM_RSRC2:TGID_X_EN: 1
; COMPUTE_PGM_RSRC2:TGID_Y_EN: 0
; COMPUTE_PGM_RSRC2:TGID_Z_EN: 0
; COMPUTE_PGM_RSRC2:TIDIG_COMP_CNT: 0
	.section	.text._ZN7rocprim17ROCPRIM_400000_NS6detail17trampoline_kernelINS0_13kernel_configILj256ELj4ELj4294967295EEENS1_37radix_sort_block_sort_config_selectorIiNS0_10empty_typeEEEZNS1_21radix_sort_block_sortIS4_Lb0EN6thrust23THRUST_200600_302600_NS10device_ptrIiEESC_PS6_SD_NS0_19identity_decomposerEEE10hipError_tT1_T2_T3_T4_jRjT5_jjP12ihipStream_tbEUlT_E_NS1_11comp_targetILNS1_3genE0ELNS1_11target_archE4294967295ELNS1_3gpuE0ELNS1_3repE0EEENS1_44radix_sort_block_sort_config_static_selectorELNS0_4arch9wavefront6targetE0EEEvSG_,"axG",@progbits,_ZN7rocprim17ROCPRIM_400000_NS6detail17trampoline_kernelINS0_13kernel_configILj256ELj4ELj4294967295EEENS1_37radix_sort_block_sort_config_selectorIiNS0_10empty_typeEEEZNS1_21radix_sort_block_sortIS4_Lb0EN6thrust23THRUST_200600_302600_NS10device_ptrIiEESC_PS6_SD_NS0_19identity_decomposerEEE10hipError_tT1_T2_T3_T4_jRjT5_jjP12ihipStream_tbEUlT_E_NS1_11comp_targetILNS1_3genE0ELNS1_11target_archE4294967295ELNS1_3gpuE0ELNS1_3repE0EEENS1_44radix_sort_block_sort_config_static_selectorELNS0_4arch9wavefront6targetE0EEEvSG_,comdat
	.protected	_ZN7rocprim17ROCPRIM_400000_NS6detail17trampoline_kernelINS0_13kernel_configILj256ELj4ELj4294967295EEENS1_37radix_sort_block_sort_config_selectorIiNS0_10empty_typeEEEZNS1_21radix_sort_block_sortIS4_Lb0EN6thrust23THRUST_200600_302600_NS10device_ptrIiEESC_PS6_SD_NS0_19identity_decomposerEEE10hipError_tT1_T2_T3_T4_jRjT5_jjP12ihipStream_tbEUlT_E_NS1_11comp_targetILNS1_3genE0ELNS1_11target_archE4294967295ELNS1_3gpuE0ELNS1_3repE0EEENS1_44radix_sort_block_sort_config_static_selectorELNS0_4arch9wavefront6targetE0EEEvSG_ ; -- Begin function _ZN7rocprim17ROCPRIM_400000_NS6detail17trampoline_kernelINS0_13kernel_configILj256ELj4ELj4294967295EEENS1_37radix_sort_block_sort_config_selectorIiNS0_10empty_typeEEEZNS1_21radix_sort_block_sortIS4_Lb0EN6thrust23THRUST_200600_302600_NS10device_ptrIiEESC_PS6_SD_NS0_19identity_decomposerEEE10hipError_tT1_T2_T3_T4_jRjT5_jjP12ihipStream_tbEUlT_E_NS1_11comp_targetILNS1_3genE0ELNS1_11target_archE4294967295ELNS1_3gpuE0ELNS1_3repE0EEENS1_44radix_sort_block_sort_config_static_selectorELNS0_4arch9wavefront6targetE0EEEvSG_
	.globl	_ZN7rocprim17ROCPRIM_400000_NS6detail17trampoline_kernelINS0_13kernel_configILj256ELj4ELj4294967295EEENS1_37radix_sort_block_sort_config_selectorIiNS0_10empty_typeEEEZNS1_21radix_sort_block_sortIS4_Lb0EN6thrust23THRUST_200600_302600_NS10device_ptrIiEESC_PS6_SD_NS0_19identity_decomposerEEE10hipError_tT1_T2_T3_T4_jRjT5_jjP12ihipStream_tbEUlT_E_NS1_11comp_targetILNS1_3genE0ELNS1_11target_archE4294967295ELNS1_3gpuE0ELNS1_3repE0EEENS1_44radix_sort_block_sort_config_static_selectorELNS0_4arch9wavefront6targetE0EEEvSG_
	.p2align	8
	.type	_ZN7rocprim17ROCPRIM_400000_NS6detail17trampoline_kernelINS0_13kernel_configILj256ELj4ELj4294967295EEENS1_37radix_sort_block_sort_config_selectorIiNS0_10empty_typeEEEZNS1_21radix_sort_block_sortIS4_Lb0EN6thrust23THRUST_200600_302600_NS10device_ptrIiEESC_PS6_SD_NS0_19identity_decomposerEEE10hipError_tT1_T2_T3_T4_jRjT5_jjP12ihipStream_tbEUlT_E_NS1_11comp_targetILNS1_3genE0ELNS1_11target_archE4294967295ELNS1_3gpuE0ELNS1_3repE0EEENS1_44radix_sort_block_sort_config_static_selectorELNS0_4arch9wavefront6targetE0EEEvSG_,@function
_ZN7rocprim17ROCPRIM_400000_NS6detail17trampoline_kernelINS0_13kernel_configILj256ELj4ELj4294967295EEENS1_37radix_sort_block_sort_config_selectorIiNS0_10empty_typeEEEZNS1_21radix_sort_block_sortIS4_Lb0EN6thrust23THRUST_200600_302600_NS10device_ptrIiEESC_PS6_SD_NS0_19identity_decomposerEEE10hipError_tT1_T2_T3_T4_jRjT5_jjP12ihipStream_tbEUlT_E_NS1_11comp_targetILNS1_3genE0ELNS1_11target_archE4294967295ELNS1_3gpuE0ELNS1_3repE0EEENS1_44radix_sort_block_sort_config_static_selectorELNS0_4arch9wavefront6targetE0EEEvSG_: ; @_ZN7rocprim17ROCPRIM_400000_NS6detail17trampoline_kernelINS0_13kernel_configILj256ELj4ELj4294967295EEENS1_37radix_sort_block_sort_config_selectorIiNS0_10empty_typeEEEZNS1_21radix_sort_block_sortIS4_Lb0EN6thrust23THRUST_200600_302600_NS10device_ptrIiEESC_PS6_SD_NS0_19identity_decomposerEEE10hipError_tT1_T2_T3_T4_jRjT5_jjP12ihipStream_tbEUlT_E_NS1_11comp_targetILNS1_3genE0ELNS1_11target_archE4294967295ELNS1_3gpuE0ELNS1_3repE0EEENS1_44radix_sort_block_sort_config_static_selectorELNS0_4arch9wavefront6targetE0EEEvSG_
; %bb.0:
	.section	.rodata,"a",@progbits
	.p2align	6, 0x0
	.amdhsa_kernel _ZN7rocprim17ROCPRIM_400000_NS6detail17trampoline_kernelINS0_13kernel_configILj256ELj4ELj4294967295EEENS1_37radix_sort_block_sort_config_selectorIiNS0_10empty_typeEEEZNS1_21radix_sort_block_sortIS4_Lb0EN6thrust23THRUST_200600_302600_NS10device_ptrIiEESC_PS6_SD_NS0_19identity_decomposerEEE10hipError_tT1_T2_T3_T4_jRjT5_jjP12ihipStream_tbEUlT_E_NS1_11comp_targetILNS1_3genE0ELNS1_11target_archE4294967295ELNS1_3gpuE0ELNS1_3repE0EEENS1_44radix_sort_block_sort_config_static_selectorELNS0_4arch9wavefront6targetE0EEEvSG_
		.amdhsa_group_segment_fixed_size 0
		.amdhsa_private_segment_fixed_size 0
		.amdhsa_kernarg_size 48
		.amdhsa_user_sgpr_count 6
		.amdhsa_user_sgpr_private_segment_buffer 1
		.amdhsa_user_sgpr_dispatch_ptr 0
		.amdhsa_user_sgpr_queue_ptr 0
		.amdhsa_user_sgpr_kernarg_segment_ptr 1
		.amdhsa_user_sgpr_dispatch_id 0
		.amdhsa_user_sgpr_flat_scratch_init 0
		.amdhsa_user_sgpr_private_segment_size 0
		.amdhsa_wavefront_size32 1
		.amdhsa_uses_dynamic_stack 0
		.amdhsa_system_sgpr_private_segment_wavefront_offset 0
		.amdhsa_system_sgpr_workgroup_id_x 1
		.amdhsa_system_sgpr_workgroup_id_y 0
		.amdhsa_system_sgpr_workgroup_id_z 0
		.amdhsa_system_sgpr_workgroup_info 0
		.amdhsa_system_vgpr_workitem_id 0
		.amdhsa_next_free_vgpr 1
		.amdhsa_next_free_sgpr 1
		.amdhsa_reserve_vcc 0
		.amdhsa_reserve_flat_scratch 0
		.amdhsa_float_round_mode_32 0
		.amdhsa_float_round_mode_16_64 0
		.amdhsa_float_denorm_mode_32 3
		.amdhsa_float_denorm_mode_16_64 3
		.amdhsa_dx10_clamp 1
		.amdhsa_ieee_mode 1
		.amdhsa_fp16_overflow 0
		.amdhsa_workgroup_processor_mode 1
		.amdhsa_memory_ordered 1
		.amdhsa_forward_progress 1
		.amdhsa_shared_vgpr_count 0
		.amdhsa_exception_fp_ieee_invalid_op 0
		.amdhsa_exception_fp_denorm_src 0
		.amdhsa_exception_fp_ieee_div_zero 0
		.amdhsa_exception_fp_ieee_overflow 0
		.amdhsa_exception_fp_ieee_underflow 0
		.amdhsa_exception_fp_ieee_inexact 0
		.amdhsa_exception_int_div_zero 0
	.end_amdhsa_kernel
	.section	.text._ZN7rocprim17ROCPRIM_400000_NS6detail17trampoline_kernelINS0_13kernel_configILj256ELj4ELj4294967295EEENS1_37radix_sort_block_sort_config_selectorIiNS0_10empty_typeEEEZNS1_21radix_sort_block_sortIS4_Lb0EN6thrust23THRUST_200600_302600_NS10device_ptrIiEESC_PS6_SD_NS0_19identity_decomposerEEE10hipError_tT1_T2_T3_T4_jRjT5_jjP12ihipStream_tbEUlT_E_NS1_11comp_targetILNS1_3genE0ELNS1_11target_archE4294967295ELNS1_3gpuE0ELNS1_3repE0EEENS1_44radix_sort_block_sort_config_static_selectorELNS0_4arch9wavefront6targetE0EEEvSG_,"axG",@progbits,_ZN7rocprim17ROCPRIM_400000_NS6detail17trampoline_kernelINS0_13kernel_configILj256ELj4ELj4294967295EEENS1_37radix_sort_block_sort_config_selectorIiNS0_10empty_typeEEEZNS1_21radix_sort_block_sortIS4_Lb0EN6thrust23THRUST_200600_302600_NS10device_ptrIiEESC_PS6_SD_NS0_19identity_decomposerEEE10hipError_tT1_T2_T3_T4_jRjT5_jjP12ihipStream_tbEUlT_E_NS1_11comp_targetILNS1_3genE0ELNS1_11target_archE4294967295ELNS1_3gpuE0ELNS1_3repE0EEENS1_44radix_sort_block_sort_config_static_selectorELNS0_4arch9wavefront6targetE0EEEvSG_,comdat
.Lfunc_end1094:
	.size	_ZN7rocprim17ROCPRIM_400000_NS6detail17trampoline_kernelINS0_13kernel_configILj256ELj4ELj4294967295EEENS1_37radix_sort_block_sort_config_selectorIiNS0_10empty_typeEEEZNS1_21radix_sort_block_sortIS4_Lb0EN6thrust23THRUST_200600_302600_NS10device_ptrIiEESC_PS6_SD_NS0_19identity_decomposerEEE10hipError_tT1_T2_T3_T4_jRjT5_jjP12ihipStream_tbEUlT_E_NS1_11comp_targetILNS1_3genE0ELNS1_11target_archE4294967295ELNS1_3gpuE0ELNS1_3repE0EEENS1_44radix_sort_block_sort_config_static_selectorELNS0_4arch9wavefront6targetE0EEEvSG_, .Lfunc_end1094-_ZN7rocprim17ROCPRIM_400000_NS6detail17trampoline_kernelINS0_13kernel_configILj256ELj4ELj4294967295EEENS1_37radix_sort_block_sort_config_selectorIiNS0_10empty_typeEEEZNS1_21radix_sort_block_sortIS4_Lb0EN6thrust23THRUST_200600_302600_NS10device_ptrIiEESC_PS6_SD_NS0_19identity_decomposerEEE10hipError_tT1_T2_T3_T4_jRjT5_jjP12ihipStream_tbEUlT_E_NS1_11comp_targetILNS1_3genE0ELNS1_11target_archE4294967295ELNS1_3gpuE0ELNS1_3repE0EEENS1_44radix_sort_block_sort_config_static_selectorELNS0_4arch9wavefront6targetE0EEEvSG_
                                        ; -- End function
	.set _ZN7rocprim17ROCPRIM_400000_NS6detail17trampoline_kernelINS0_13kernel_configILj256ELj4ELj4294967295EEENS1_37radix_sort_block_sort_config_selectorIiNS0_10empty_typeEEEZNS1_21radix_sort_block_sortIS4_Lb0EN6thrust23THRUST_200600_302600_NS10device_ptrIiEESC_PS6_SD_NS0_19identity_decomposerEEE10hipError_tT1_T2_T3_T4_jRjT5_jjP12ihipStream_tbEUlT_E_NS1_11comp_targetILNS1_3genE0ELNS1_11target_archE4294967295ELNS1_3gpuE0ELNS1_3repE0EEENS1_44radix_sort_block_sort_config_static_selectorELNS0_4arch9wavefront6targetE0EEEvSG_.num_vgpr, 0
	.set _ZN7rocprim17ROCPRIM_400000_NS6detail17trampoline_kernelINS0_13kernel_configILj256ELj4ELj4294967295EEENS1_37radix_sort_block_sort_config_selectorIiNS0_10empty_typeEEEZNS1_21radix_sort_block_sortIS4_Lb0EN6thrust23THRUST_200600_302600_NS10device_ptrIiEESC_PS6_SD_NS0_19identity_decomposerEEE10hipError_tT1_T2_T3_T4_jRjT5_jjP12ihipStream_tbEUlT_E_NS1_11comp_targetILNS1_3genE0ELNS1_11target_archE4294967295ELNS1_3gpuE0ELNS1_3repE0EEENS1_44radix_sort_block_sort_config_static_selectorELNS0_4arch9wavefront6targetE0EEEvSG_.num_agpr, 0
	.set _ZN7rocprim17ROCPRIM_400000_NS6detail17trampoline_kernelINS0_13kernel_configILj256ELj4ELj4294967295EEENS1_37radix_sort_block_sort_config_selectorIiNS0_10empty_typeEEEZNS1_21radix_sort_block_sortIS4_Lb0EN6thrust23THRUST_200600_302600_NS10device_ptrIiEESC_PS6_SD_NS0_19identity_decomposerEEE10hipError_tT1_T2_T3_T4_jRjT5_jjP12ihipStream_tbEUlT_E_NS1_11comp_targetILNS1_3genE0ELNS1_11target_archE4294967295ELNS1_3gpuE0ELNS1_3repE0EEENS1_44radix_sort_block_sort_config_static_selectorELNS0_4arch9wavefront6targetE0EEEvSG_.numbered_sgpr, 0
	.set _ZN7rocprim17ROCPRIM_400000_NS6detail17trampoline_kernelINS0_13kernel_configILj256ELj4ELj4294967295EEENS1_37radix_sort_block_sort_config_selectorIiNS0_10empty_typeEEEZNS1_21radix_sort_block_sortIS4_Lb0EN6thrust23THRUST_200600_302600_NS10device_ptrIiEESC_PS6_SD_NS0_19identity_decomposerEEE10hipError_tT1_T2_T3_T4_jRjT5_jjP12ihipStream_tbEUlT_E_NS1_11comp_targetILNS1_3genE0ELNS1_11target_archE4294967295ELNS1_3gpuE0ELNS1_3repE0EEENS1_44radix_sort_block_sort_config_static_selectorELNS0_4arch9wavefront6targetE0EEEvSG_.num_named_barrier, 0
	.set _ZN7rocprim17ROCPRIM_400000_NS6detail17trampoline_kernelINS0_13kernel_configILj256ELj4ELj4294967295EEENS1_37radix_sort_block_sort_config_selectorIiNS0_10empty_typeEEEZNS1_21radix_sort_block_sortIS4_Lb0EN6thrust23THRUST_200600_302600_NS10device_ptrIiEESC_PS6_SD_NS0_19identity_decomposerEEE10hipError_tT1_T2_T3_T4_jRjT5_jjP12ihipStream_tbEUlT_E_NS1_11comp_targetILNS1_3genE0ELNS1_11target_archE4294967295ELNS1_3gpuE0ELNS1_3repE0EEENS1_44radix_sort_block_sort_config_static_selectorELNS0_4arch9wavefront6targetE0EEEvSG_.private_seg_size, 0
	.set _ZN7rocprim17ROCPRIM_400000_NS6detail17trampoline_kernelINS0_13kernel_configILj256ELj4ELj4294967295EEENS1_37radix_sort_block_sort_config_selectorIiNS0_10empty_typeEEEZNS1_21radix_sort_block_sortIS4_Lb0EN6thrust23THRUST_200600_302600_NS10device_ptrIiEESC_PS6_SD_NS0_19identity_decomposerEEE10hipError_tT1_T2_T3_T4_jRjT5_jjP12ihipStream_tbEUlT_E_NS1_11comp_targetILNS1_3genE0ELNS1_11target_archE4294967295ELNS1_3gpuE0ELNS1_3repE0EEENS1_44radix_sort_block_sort_config_static_selectorELNS0_4arch9wavefront6targetE0EEEvSG_.uses_vcc, 0
	.set _ZN7rocprim17ROCPRIM_400000_NS6detail17trampoline_kernelINS0_13kernel_configILj256ELj4ELj4294967295EEENS1_37radix_sort_block_sort_config_selectorIiNS0_10empty_typeEEEZNS1_21radix_sort_block_sortIS4_Lb0EN6thrust23THRUST_200600_302600_NS10device_ptrIiEESC_PS6_SD_NS0_19identity_decomposerEEE10hipError_tT1_T2_T3_T4_jRjT5_jjP12ihipStream_tbEUlT_E_NS1_11comp_targetILNS1_3genE0ELNS1_11target_archE4294967295ELNS1_3gpuE0ELNS1_3repE0EEENS1_44radix_sort_block_sort_config_static_selectorELNS0_4arch9wavefront6targetE0EEEvSG_.uses_flat_scratch, 0
	.set _ZN7rocprim17ROCPRIM_400000_NS6detail17trampoline_kernelINS0_13kernel_configILj256ELj4ELj4294967295EEENS1_37radix_sort_block_sort_config_selectorIiNS0_10empty_typeEEEZNS1_21radix_sort_block_sortIS4_Lb0EN6thrust23THRUST_200600_302600_NS10device_ptrIiEESC_PS6_SD_NS0_19identity_decomposerEEE10hipError_tT1_T2_T3_T4_jRjT5_jjP12ihipStream_tbEUlT_E_NS1_11comp_targetILNS1_3genE0ELNS1_11target_archE4294967295ELNS1_3gpuE0ELNS1_3repE0EEENS1_44radix_sort_block_sort_config_static_selectorELNS0_4arch9wavefront6targetE0EEEvSG_.has_dyn_sized_stack, 0
	.set _ZN7rocprim17ROCPRIM_400000_NS6detail17trampoline_kernelINS0_13kernel_configILj256ELj4ELj4294967295EEENS1_37radix_sort_block_sort_config_selectorIiNS0_10empty_typeEEEZNS1_21radix_sort_block_sortIS4_Lb0EN6thrust23THRUST_200600_302600_NS10device_ptrIiEESC_PS6_SD_NS0_19identity_decomposerEEE10hipError_tT1_T2_T3_T4_jRjT5_jjP12ihipStream_tbEUlT_E_NS1_11comp_targetILNS1_3genE0ELNS1_11target_archE4294967295ELNS1_3gpuE0ELNS1_3repE0EEENS1_44radix_sort_block_sort_config_static_selectorELNS0_4arch9wavefront6targetE0EEEvSG_.has_recursion, 0
	.set _ZN7rocprim17ROCPRIM_400000_NS6detail17trampoline_kernelINS0_13kernel_configILj256ELj4ELj4294967295EEENS1_37radix_sort_block_sort_config_selectorIiNS0_10empty_typeEEEZNS1_21radix_sort_block_sortIS4_Lb0EN6thrust23THRUST_200600_302600_NS10device_ptrIiEESC_PS6_SD_NS0_19identity_decomposerEEE10hipError_tT1_T2_T3_T4_jRjT5_jjP12ihipStream_tbEUlT_E_NS1_11comp_targetILNS1_3genE0ELNS1_11target_archE4294967295ELNS1_3gpuE0ELNS1_3repE0EEENS1_44radix_sort_block_sort_config_static_selectorELNS0_4arch9wavefront6targetE0EEEvSG_.has_indirect_call, 0
	.section	.AMDGPU.csdata,"",@progbits
; Kernel info:
; codeLenInByte = 0
; TotalNumSgprs: 0
; NumVgprs: 0
; ScratchSize: 0
; MemoryBound: 0
; FloatMode: 240
; IeeeMode: 1
; LDSByteSize: 0 bytes/workgroup (compile time only)
; SGPRBlocks: 0
; VGPRBlocks: 0
; NumSGPRsForWavesPerEU: 1
; NumVGPRsForWavesPerEU: 1
; Occupancy: 16
; WaveLimiterHint : 0
; COMPUTE_PGM_RSRC2:SCRATCH_EN: 0
; COMPUTE_PGM_RSRC2:USER_SGPR: 6
; COMPUTE_PGM_RSRC2:TRAP_HANDLER: 0
; COMPUTE_PGM_RSRC2:TGID_X_EN: 1
; COMPUTE_PGM_RSRC2:TGID_Y_EN: 0
; COMPUTE_PGM_RSRC2:TGID_Z_EN: 0
; COMPUTE_PGM_RSRC2:TIDIG_COMP_CNT: 0
	.section	.text._ZN7rocprim17ROCPRIM_400000_NS6detail17trampoline_kernelINS0_13kernel_configILj256ELj4ELj4294967295EEENS1_37radix_sort_block_sort_config_selectorIiNS0_10empty_typeEEEZNS1_21radix_sort_block_sortIS4_Lb0EN6thrust23THRUST_200600_302600_NS10device_ptrIiEESC_PS6_SD_NS0_19identity_decomposerEEE10hipError_tT1_T2_T3_T4_jRjT5_jjP12ihipStream_tbEUlT_E_NS1_11comp_targetILNS1_3genE5ELNS1_11target_archE942ELNS1_3gpuE9ELNS1_3repE0EEENS1_44radix_sort_block_sort_config_static_selectorELNS0_4arch9wavefront6targetE0EEEvSG_,"axG",@progbits,_ZN7rocprim17ROCPRIM_400000_NS6detail17trampoline_kernelINS0_13kernel_configILj256ELj4ELj4294967295EEENS1_37radix_sort_block_sort_config_selectorIiNS0_10empty_typeEEEZNS1_21radix_sort_block_sortIS4_Lb0EN6thrust23THRUST_200600_302600_NS10device_ptrIiEESC_PS6_SD_NS0_19identity_decomposerEEE10hipError_tT1_T2_T3_T4_jRjT5_jjP12ihipStream_tbEUlT_E_NS1_11comp_targetILNS1_3genE5ELNS1_11target_archE942ELNS1_3gpuE9ELNS1_3repE0EEENS1_44radix_sort_block_sort_config_static_selectorELNS0_4arch9wavefront6targetE0EEEvSG_,comdat
	.protected	_ZN7rocprim17ROCPRIM_400000_NS6detail17trampoline_kernelINS0_13kernel_configILj256ELj4ELj4294967295EEENS1_37radix_sort_block_sort_config_selectorIiNS0_10empty_typeEEEZNS1_21radix_sort_block_sortIS4_Lb0EN6thrust23THRUST_200600_302600_NS10device_ptrIiEESC_PS6_SD_NS0_19identity_decomposerEEE10hipError_tT1_T2_T3_T4_jRjT5_jjP12ihipStream_tbEUlT_E_NS1_11comp_targetILNS1_3genE5ELNS1_11target_archE942ELNS1_3gpuE9ELNS1_3repE0EEENS1_44radix_sort_block_sort_config_static_selectorELNS0_4arch9wavefront6targetE0EEEvSG_ ; -- Begin function _ZN7rocprim17ROCPRIM_400000_NS6detail17trampoline_kernelINS0_13kernel_configILj256ELj4ELj4294967295EEENS1_37radix_sort_block_sort_config_selectorIiNS0_10empty_typeEEEZNS1_21radix_sort_block_sortIS4_Lb0EN6thrust23THRUST_200600_302600_NS10device_ptrIiEESC_PS6_SD_NS0_19identity_decomposerEEE10hipError_tT1_T2_T3_T4_jRjT5_jjP12ihipStream_tbEUlT_E_NS1_11comp_targetILNS1_3genE5ELNS1_11target_archE942ELNS1_3gpuE9ELNS1_3repE0EEENS1_44radix_sort_block_sort_config_static_selectorELNS0_4arch9wavefront6targetE0EEEvSG_
	.globl	_ZN7rocprim17ROCPRIM_400000_NS6detail17trampoline_kernelINS0_13kernel_configILj256ELj4ELj4294967295EEENS1_37radix_sort_block_sort_config_selectorIiNS0_10empty_typeEEEZNS1_21radix_sort_block_sortIS4_Lb0EN6thrust23THRUST_200600_302600_NS10device_ptrIiEESC_PS6_SD_NS0_19identity_decomposerEEE10hipError_tT1_T2_T3_T4_jRjT5_jjP12ihipStream_tbEUlT_E_NS1_11comp_targetILNS1_3genE5ELNS1_11target_archE942ELNS1_3gpuE9ELNS1_3repE0EEENS1_44radix_sort_block_sort_config_static_selectorELNS0_4arch9wavefront6targetE0EEEvSG_
	.p2align	8
	.type	_ZN7rocprim17ROCPRIM_400000_NS6detail17trampoline_kernelINS0_13kernel_configILj256ELj4ELj4294967295EEENS1_37radix_sort_block_sort_config_selectorIiNS0_10empty_typeEEEZNS1_21radix_sort_block_sortIS4_Lb0EN6thrust23THRUST_200600_302600_NS10device_ptrIiEESC_PS6_SD_NS0_19identity_decomposerEEE10hipError_tT1_T2_T3_T4_jRjT5_jjP12ihipStream_tbEUlT_E_NS1_11comp_targetILNS1_3genE5ELNS1_11target_archE942ELNS1_3gpuE9ELNS1_3repE0EEENS1_44radix_sort_block_sort_config_static_selectorELNS0_4arch9wavefront6targetE0EEEvSG_,@function
_ZN7rocprim17ROCPRIM_400000_NS6detail17trampoline_kernelINS0_13kernel_configILj256ELj4ELj4294967295EEENS1_37radix_sort_block_sort_config_selectorIiNS0_10empty_typeEEEZNS1_21radix_sort_block_sortIS4_Lb0EN6thrust23THRUST_200600_302600_NS10device_ptrIiEESC_PS6_SD_NS0_19identity_decomposerEEE10hipError_tT1_T2_T3_T4_jRjT5_jjP12ihipStream_tbEUlT_E_NS1_11comp_targetILNS1_3genE5ELNS1_11target_archE942ELNS1_3gpuE9ELNS1_3repE0EEENS1_44radix_sort_block_sort_config_static_selectorELNS0_4arch9wavefront6targetE0EEEvSG_: ; @_ZN7rocprim17ROCPRIM_400000_NS6detail17trampoline_kernelINS0_13kernel_configILj256ELj4ELj4294967295EEENS1_37radix_sort_block_sort_config_selectorIiNS0_10empty_typeEEEZNS1_21radix_sort_block_sortIS4_Lb0EN6thrust23THRUST_200600_302600_NS10device_ptrIiEESC_PS6_SD_NS0_19identity_decomposerEEE10hipError_tT1_T2_T3_T4_jRjT5_jjP12ihipStream_tbEUlT_E_NS1_11comp_targetILNS1_3genE5ELNS1_11target_archE942ELNS1_3gpuE9ELNS1_3repE0EEENS1_44radix_sort_block_sort_config_static_selectorELNS0_4arch9wavefront6targetE0EEEvSG_
; %bb.0:
	.section	.rodata,"a",@progbits
	.p2align	6, 0x0
	.amdhsa_kernel _ZN7rocprim17ROCPRIM_400000_NS6detail17trampoline_kernelINS0_13kernel_configILj256ELj4ELj4294967295EEENS1_37radix_sort_block_sort_config_selectorIiNS0_10empty_typeEEEZNS1_21radix_sort_block_sortIS4_Lb0EN6thrust23THRUST_200600_302600_NS10device_ptrIiEESC_PS6_SD_NS0_19identity_decomposerEEE10hipError_tT1_T2_T3_T4_jRjT5_jjP12ihipStream_tbEUlT_E_NS1_11comp_targetILNS1_3genE5ELNS1_11target_archE942ELNS1_3gpuE9ELNS1_3repE0EEENS1_44radix_sort_block_sort_config_static_selectorELNS0_4arch9wavefront6targetE0EEEvSG_
		.amdhsa_group_segment_fixed_size 0
		.amdhsa_private_segment_fixed_size 0
		.amdhsa_kernarg_size 48
		.amdhsa_user_sgpr_count 6
		.amdhsa_user_sgpr_private_segment_buffer 1
		.amdhsa_user_sgpr_dispatch_ptr 0
		.amdhsa_user_sgpr_queue_ptr 0
		.amdhsa_user_sgpr_kernarg_segment_ptr 1
		.amdhsa_user_sgpr_dispatch_id 0
		.amdhsa_user_sgpr_flat_scratch_init 0
		.amdhsa_user_sgpr_private_segment_size 0
		.amdhsa_wavefront_size32 1
		.amdhsa_uses_dynamic_stack 0
		.amdhsa_system_sgpr_private_segment_wavefront_offset 0
		.amdhsa_system_sgpr_workgroup_id_x 1
		.amdhsa_system_sgpr_workgroup_id_y 0
		.amdhsa_system_sgpr_workgroup_id_z 0
		.amdhsa_system_sgpr_workgroup_info 0
		.amdhsa_system_vgpr_workitem_id 0
		.amdhsa_next_free_vgpr 1
		.amdhsa_next_free_sgpr 1
		.amdhsa_reserve_vcc 0
		.amdhsa_reserve_flat_scratch 0
		.amdhsa_float_round_mode_32 0
		.amdhsa_float_round_mode_16_64 0
		.amdhsa_float_denorm_mode_32 3
		.amdhsa_float_denorm_mode_16_64 3
		.amdhsa_dx10_clamp 1
		.amdhsa_ieee_mode 1
		.amdhsa_fp16_overflow 0
		.amdhsa_workgroup_processor_mode 1
		.amdhsa_memory_ordered 1
		.amdhsa_forward_progress 1
		.amdhsa_shared_vgpr_count 0
		.amdhsa_exception_fp_ieee_invalid_op 0
		.amdhsa_exception_fp_denorm_src 0
		.amdhsa_exception_fp_ieee_div_zero 0
		.amdhsa_exception_fp_ieee_overflow 0
		.amdhsa_exception_fp_ieee_underflow 0
		.amdhsa_exception_fp_ieee_inexact 0
		.amdhsa_exception_int_div_zero 0
	.end_amdhsa_kernel
	.section	.text._ZN7rocprim17ROCPRIM_400000_NS6detail17trampoline_kernelINS0_13kernel_configILj256ELj4ELj4294967295EEENS1_37radix_sort_block_sort_config_selectorIiNS0_10empty_typeEEEZNS1_21radix_sort_block_sortIS4_Lb0EN6thrust23THRUST_200600_302600_NS10device_ptrIiEESC_PS6_SD_NS0_19identity_decomposerEEE10hipError_tT1_T2_T3_T4_jRjT5_jjP12ihipStream_tbEUlT_E_NS1_11comp_targetILNS1_3genE5ELNS1_11target_archE942ELNS1_3gpuE9ELNS1_3repE0EEENS1_44radix_sort_block_sort_config_static_selectorELNS0_4arch9wavefront6targetE0EEEvSG_,"axG",@progbits,_ZN7rocprim17ROCPRIM_400000_NS6detail17trampoline_kernelINS0_13kernel_configILj256ELj4ELj4294967295EEENS1_37radix_sort_block_sort_config_selectorIiNS0_10empty_typeEEEZNS1_21radix_sort_block_sortIS4_Lb0EN6thrust23THRUST_200600_302600_NS10device_ptrIiEESC_PS6_SD_NS0_19identity_decomposerEEE10hipError_tT1_T2_T3_T4_jRjT5_jjP12ihipStream_tbEUlT_E_NS1_11comp_targetILNS1_3genE5ELNS1_11target_archE942ELNS1_3gpuE9ELNS1_3repE0EEENS1_44radix_sort_block_sort_config_static_selectorELNS0_4arch9wavefront6targetE0EEEvSG_,comdat
.Lfunc_end1095:
	.size	_ZN7rocprim17ROCPRIM_400000_NS6detail17trampoline_kernelINS0_13kernel_configILj256ELj4ELj4294967295EEENS1_37radix_sort_block_sort_config_selectorIiNS0_10empty_typeEEEZNS1_21radix_sort_block_sortIS4_Lb0EN6thrust23THRUST_200600_302600_NS10device_ptrIiEESC_PS6_SD_NS0_19identity_decomposerEEE10hipError_tT1_T2_T3_T4_jRjT5_jjP12ihipStream_tbEUlT_E_NS1_11comp_targetILNS1_3genE5ELNS1_11target_archE942ELNS1_3gpuE9ELNS1_3repE0EEENS1_44radix_sort_block_sort_config_static_selectorELNS0_4arch9wavefront6targetE0EEEvSG_, .Lfunc_end1095-_ZN7rocprim17ROCPRIM_400000_NS6detail17trampoline_kernelINS0_13kernel_configILj256ELj4ELj4294967295EEENS1_37radix_sort_block_sort_config_selectorIiNS0_10empty_typeEEEZNS1_21radix_sort_block_sortIS4_Lb0EN6thrust23THRUST_200600_302600_NS10device_ptrIiEESC_PS6_SD_NS0_19identity_decomposerEEE10hipError_tT1_T2_T3_T4_jRjT5_jjP12ihipStream_tbEUlT_E_NS1_11comp_targetILNS1_3genE5ELNS1_11target_archE942ELNS1_3gpuE9ELNS1_3repE0EEENS1_44radix_sort_block_sort_config_static_selectorELNS0_4arch9wavefront6targetE0EEEvSG_
                                        ; -- End function
	.set _ZN7rocprim17ROCPRIM_400000_NS6detail17trampoline_kernelINS0_13kernel_configILj256ELj4ELj4294967295EEENS1_37radix_sort_block_sort_config_selectorIiNS0_10empty_typeEEEZNS1_21radix_sort_block_sortIS4_Lb0EN6thrust23THRUST_200600_302600_NS10device_ptrIiEESC_PS6_SD_NS0_19identity_decomposerEEE10hipError_tT1_T2_T3_T4_jRjT5_jjP12ihipStream_tbEUlT_E_NS1_11comp_targetILNS1_3genE5ELNS1_11target_archE942ELNS1_3gpuE9ELNS1_3repE0EEENS1_44radix_sort_block_sort_config_static_selectorELNS0_4arch9wavefront6targetE0EEEvSG_.num_vgpr, 0
	.set _ZN7rocprim17ROCPRIM_400000_NS6detail17trampoline_kernelINS0_13kernel_configILj256ELj4ELj4294967295EEENS1_37radix_sort_block_sort_config_selectorIiNS0_10empty_typeEEEZNS1_21radix_sort_block_sortIS4_Lb0EN6thrust23THRUST_200600_302600_NS10device_ptrIiEESC_PS6_SD_NS0_19identity_decomposerEEE10hipError_tT1_T2_T3_T4_jRjT5_jjP12ihipStream_tbEUlT_E_NS1_11comp_targetILNS1_3genE5ELNS1_11target_archE942ELNS1_3gpuE9ELNS1_3repE0EEENS1_44radix_sort_block_sort_config_static_selectorELNS0_4arch9wavefront6targetE0EEEvSG_.num_agpr, 0
	.set _ZN7rocprim17ROCPRIM_400000_NS6detail17trampoline_kernelINS0_13kernel_configILj256ELj4ELj4294967295EEENS1_37radix_sort_block_sort_config_selectorIiNS0_10empty_typeEEEZNS1_21radix_sort_block_sortIS4_Lb0EN6thrust23THRUST_200600_302600_NS10device_ptrIiEESC_PS6_SD_NS0_19identity_decomposerEEE10hipError_tT1_T2_T3_T4_jRjT5_jjP12ihipStream_tbEUlT_E_NS1_11comp_targetILNS1_3genE5ELNS1_11target_archE942ELNS1_3gpuE9ELNS1_3repE0EEENS1_44radix_sort_block_sort_config_static_selectorELNS0_4arch9wavefront6targetE0EEEvSG_.numbered_sgpr, 0
	.set _ZN7rocprim17ROCPRIM_400000_NS6detail17trampoline_kernelINS0_13kernel_configILj256ELj4ELj4294967295EEENS1_37radix_sort_block_sort_config_selectorIiNS0_10empty_typeEEEZNS1_21radix_sort_block_sortIS4_Lb0EN6thrust23THRUST_200600_302600_NS10device_ptrIiEESC_PS6_SD_NS0_19identity_decomposerEEE10hipError_tT1_T2_T3_T4_jRjT5_jjP12ihipStream_tbEUlT_E_NS1_11comp_targetILNS1_3genE5ELNS1_11target_archE942ELNS1_3gpuE9ELNS1_3repE0EEENS1_44radix_sort_block_sort_config_static_selectorELNS0_4arch9wavefront6targetE0EEEvSG_.num_named_barrier, 0
	.set _ZN7rocprim17ROCPRIM_400000_NS6detail17trampoline_kernelINS0_13kernel_configILj256ELj4ELj4294967295EEENS1_37radix_sort_block_sort_config_selectorIiNS0_10empty_typeEEEZNS1_21radix_sort_block_sortIS4_Lb0EN6thrust23THRUST_200600_302600_NS10device_ptrIiEESC_PS6_SD_NS0_19identity_decomposerEEE10hipError_tT1_T2_T3_T4_jRjT5_jjP12ihipStream_tbEUlT_E_NS1_11comp_targetILNS1_3genE5ELNS1_11target_archE942ELNS1_3gpuE9ELNS1_3repE0EEENS1_44radix_sort_block_sort_config_static_selectorELNS0_4arch9wavefront6targetE0EEEvSG_.private_seg_size, 0
	.set _ZN7rocprim17ROCPRIM_400000_NS6detail17trampoline_kernelINS0_13kernel_configILj256ELj4ELj4294967295EEENS1_37radix_sort_block_sort_config_selectorIiNS0_10empty_typeEEEZNS1_21radix_sort_block_sortIS4_Lb0EN6thrust23THRUST_200600_302600_NS10device_ptrIiEESC_PS6_SD_NS0_19identity_decomposerEEE10hipError_tT1_T2_T3_T4_jRjT5_jjP12ihipStream_tbEUlT_E_NS1_11comp_targetILNS1_3genE5ELNS1_11target_archE942ELNS1_3gpuE9ELNS1_3repE0EEENS1_44radix_sort_block_sort_config_static_selectorELNS0_4arch9wavefront6targetE0EEEvSG_.uses_vcc, 0
	.set _ZN7rocprim17ROCPRIM_400000_NS6detail17trampoline_kernelINS0_13kernel_configILj256ELj4ELj4294967295EEENS1_37radix_sort_block_sort_config_selectorIiNS0_10empty_typeEEEZNS1_21radix_sort_block_sortIS4_Lb0EN6thrust23THRUST_200600_302600_NS10device_ptrIiEESC_PS6_SD_NS0_19identity_decomposerEEE10hipError_tT1_T2_T3_T4_jRjT5_jjP12ihipStream_tbEUlT_E_NS1_11comp_targetILNS1_3genE5ELNS1_11target_archE942ELNS1_3gpuE9ELNS1_3repE0EEENS1_44radix_sort_block_sort_config_static_selectorELNS0_4arch9wavefront6targetE0EEEvSG_.uses_flat_scratch, 0
	.set _ZN7rocprim17ROCPRIM_400000_NS6detail17trampoline_kernelINS0_13kernel_configILj256ELj4ELj4294967295EEENS1_37radix_sort_block_sort_config_selectorIiNS0_10empty_typeEEEZNS1_21radix_sort_block_sortIS4_Lb0EN6thrust23THRUST_200600_302600_NS10device_ptrIiEESC_PS6_SD_NS0_19identity_decomposerEEE10hipError_tT1_T2_T3_T4_jRjT5_jjP12ihipStream_tbEUlT_E_NS1_11comp_targetILNS1_3genE5ELNS1_11target_archE942ELNS1_3gpuE9ELNS1_3repE0EEENS1_44radix_sort_block_sort_config_static_selectorELNS0_4arch9wavefront6targetE0EEEvSG_.has_dyn_sized_stack, 0
	.set _ZN7rocprim17ROCPRIM_400000_NS6detail17trampoline_kernelINS0_13kernel_configILj256ELj4ELj4294967295EEENS1_37radix_sort_block_sort_config_selectorIiNS0_10empty_typeEEEZNS1_21radix_sort_block_sortIS4_Lb0EN6thrust23THRUST_200600_302600_NS10device_ptrIiEESC_PS6_SD_NS0_19identity_decomposerEEE10hipError_tT1_T2_T3_T4_jRjT5_jjP12ihipStream_tbEUlT_E_NS1_11comp_targetILNS1_3genE5ELNS1_11target_archE942ELNS1_3gpuE9ELNS1_3repE0EEENS1_44radix_sort_block_sort_config_static_selectorELNS0_4arch9wavefront6targetE0EEEvSG_.has_recursion, 0
	.set _ZN7rocprim17ROCPRIM_400000_NS6detail17trampoline_kernelINS0_13kernel_configILj256ELj4ELj4294967295EEENS1_37radix_sort_block_sort_config_selectorIiNS0_10empty_typeEEEZNS1_21radix_sort_block_sortIS4_Lb0EN6thrust23THRUST_200600_302600_NS10device_ptrIiEESC_PS6_SD_NS0_19identity_decomposerEEE10hipError_tT1_T2_T3_T4_jRjT5_jjP12ihipStream_tbEUlT_E_NS1_11comp_targetILNS1_3genE5ELNS1_11target_archE942ELNS1_3gpuE9ELNS1_3repE0EEENS1_44radix_sort_block_sort_config_static_selectorELNS0_4arch9wavefront6targetE0EEEvSG_.has_indirect_call, 0
	.section	.AMDGPU.csdata,"",@progbits
; Kernel info:
; codeLenInByte = 0
; TotalNumSgprs: 0
; NumVgprs: 0
; ScratchSize: 0
; MemoryBound: 0
; FloatMode: 240
; IeeeMode: 1
; LDSByteSize: 0 bytes/workgroup (compile time only)
; SGPRBlocks: 0
; VGPRBlocks: 0
; NumSGPRsForWavesPerEU: 1
; NumVGPRsForWavesPerEU: 1
; Occupancy: 16
; WaveLimiterHint : 0
; COMPUTE_PGM_RSRC2:SCRATCH_EN: 0
; COMPUTE_PGM_RSRC2:USER_SGPR: 6
; COMPUTE_PGM_RSRC2:TRAP_HANDLER: 0
; COMPUTE_PGM_RSRC2:TGID_X_EN: 1
; COMPUTE_PGM_RSRC2:TGID_Y_EN: 0
; COMPUTE_PGM_RSRC2:TGID_Z_EN: 0
; COMPUTE_PGM_RSRC2:TIDIG_COMP_CNT: 0
	.section	.text._ZN7rocprim17ROCPRIM_400000_NS6detail17trampoline_kernelINS0_13kernel_configILj256ELj4ELj4294967295EEENS1_37radix_sort_block_sort_config_selectorIiNS0_10empty_typeEEEZNS1_21radix_sort_block_sortIS4_Lb0EN6thrust23THRUST_200600_302600_NS10device_ptrIiEESC_PS6_SD_NS0_19identity_decomposerEEE10hipError_tT1_T2_T3_T4_jRjT5_jjP12ihipStream_tbEUlT_E_NS1_11comp_targetILNS1_3genE4ELNS1_11target_archE910ELNS1_3gpuE8ELNS1_3repE0EEENS1_44radix_sort_block_sort_config_static_selectorELNS0_4arch9wavefront6targetE0EEEvSG_,"axG",@progbits,_ZN7rocprim17ROCPRIM_400000_NS6detail17trampoline_kernelINS0_13kernel_configILj256ELj4ELj4294967295EEENS1_37radix_sort_block_sort_config_selectorIiNS0_10empty_typeEEEZNS1_21radix_sort_block_sortIS4_Lb0EN6thrust23THRUST_200600_302600_NS10device_ptrIiEESC_PS6_SD_NS0_19identity_decomposerEEE10hipError_tT1_T2_T3_T4_jRjT5_jjP12ihipStream_tbEUlT_E_NS1_11comp_targetILNS1_3genE4ELNS1_11target_archE910ELNS1_3gpuE8ELNS1_3repE0EEENS1_44radix_sort_block_sort_config_static_selectorELNS0_4arch9wavefront6targetE0EEEvSG_,comdat
	.protected	_ZN7rocprim17ROCPRIM_400000_NS6detail17trampoline_kernelINS0_13kernel_configILj256ELj4ELj4294967295EEENS1_37radix_sort_block_sort_config_selectorIiNS0_10empty_typeEEEZNS1_21radix_sort_block_sortIS4_Lb0EN6thrust23THRUST_200600_302600_NS10device_ptrIiEESC_PS6_SD_NS0_19identity_decomposerEEE10hipError_tT1_T2_T3_T4_jRjT5_jjP12ihipStream_tbEUlT_E_NS1_11comp_targetILNS1_3genE4ELNS1_11target_archE910ELNS1_3gpuE8ELNS1_3repE0EEENS1_44radix_sort_block_sort_config_static_selectorELNS0_4arch9wavefront6targetE0EEEvSG_ ; -- Begin function _ZN7rocprim17ROCPRIM_400000_NS6detail17trampoline_kernelINS0_13kernel_configILj256ELj4ELj4294967295EEENS1_37radix_sort_block_sort_config_selectorIiNS0_10empty_typeEEEZNS1_21radix_sort_block_sortIS4_Lb0EN6thrust23THRUST_200600_302600_NS10device_ptrIiEESC_PS6_SD_NS0_19identity_decomposerEEE10hipError_tT1_T2_T3_T4_jRjT5_jjP12ihipStream_tbEUlT_E_NS1_11comp_targetILNS1_3genE4ELNS1_11target_archE910ELNS1_3gpuE8ELNS1_3repE0EEENS1_44radix_sort_block_sort_config_static_selectorELNS0_4arch9wavefront6targetE0EEEvSG_
	.globl	_ZN7rocprim17ROCPRIM_400000_NS6detail17trampoline_kernelINS0_13kernel_configILj256ELj4ELj4294967295EEENS1_37radix_sort_block_sort_config_selectorIiNS0_10empty_typeEEEZNS1_21radix_sort_block_sortIS4_Lb0EN6thrust23THRUST_200600_302600_NS10device_ptrIiEESC_PS6_SD_NS0_19identity_decomposerEEE10hipError_tT1_T2_T3_T4_jRjT5_jjP12ihipStream_tbEUlT_E_NS1_11comp_targetILNS1_3genE4ELNS1_11target_archE910ELNS1_3gpuE8ELNS1_3repE0EEENS1_44radix_sort_block_sort_config_static_selectorELNS0_4arch9wavefront6targetE0EEEvSG_
	.p2align	8
	.type	_ZN7rocprim17ROCPRIM_400000_NS6detail17trampoline_kernelINS0_13kernel_configILj256ELj4ELj4294967295EEENS1_37radix_sort_block_sort_config_selectorIiNS0_10empty_typeEEEZNS1_21radix_sort_block_sortIS4_Lb0EN6thrust23THRUST_200600_302600_NS10device_ptrIiEESC_PS6_SD_NS0_19identity_decomposerEEE10hipError_tT1_T2_T3_T4_jRjT5_jjP12ihipStream_tbEUlT_E_NS1_11comp_targetILNS1_3genE4ELNS1_11target_archE910ELNS1_3gpuE8ELNS1_3repE0EEENS1_44radix_sort_block_sort_config_static_selectorELNS0_4arch9wavefront6targetE0EEEvSG_,@function
_ZN7rocprim17ROCPRIM_400000_NS6detail17trampoline_kernelINS0_13kernel_configILj256ELj4ELj4294967295EEENS1_37radix_sort_block_sort_config_selectorIiNS0_10empty_typeEEEZNS1_21radix_sort_block_sortIS4_Lb0EN6thrust23THRUST_200600_302600_NS10device_ptrIiEESC_PS6_SD_NS0_19identity_decomposerEEE10hipError_tT1_T2_T3_T4_jRjT5_jjP12ihipStream_tbEUlT_E_NS1_11comp_targetILNS1_3genE4ELNS1_11target_archE910ELNS1_3gpuE8ELNS1_3repE0EEENS1_44radix_sort_block_sort_config_static_selectorELNS0_4arch9wavefront6targetE0EEEvSG_: ; @_ZN7rocprim17ROCPRIM_400000_NS6detail17trampoline_kernelINS0_13kernel_configILj256ELj4ELj4294967295EEENS1_37radix_sort_block_sort_config_selectorIiNS0_10empty_typeEEEZNS1_21radix_sort_block_sortIS4_Lb0EN6thrust23THRUST_200600_302600_NS10device_ptrIiEESC_PS6_SD_NS0_19identity_decomposerEEE10hipError_tT1_T2_T3_T4_jRjT5_jjP12ihipStream_tbEUlT_E_NS1_11comp_targetILNS1_3genE4ELNS1_11target_archE910ELNS1_3gpuE8ELNS1_3repE0EEENS1_44radix_sort_block_sort_config_static_selectorELNS0_4arch9wavefront6targetE0EEEvSG_
; %bb.0:
	.section	.rodata,"a",@progbits
	.p2align	6, 0x0
	.amdhsa_kernel _ZN7rocprim17ROCPRIM_400000_NS6detail17trampoline_kernelINS0_13kernel_configILj256ELj4ELj4294967295EEENS1_37radix_sort_block_sort_config_selectorIiNS0_10empty_typeEEEZNS1_21radix_sort_block_sortIS4_Lb0EN6thrust23THRUST_200600_302600_NS10device_ptrIiEESC_PS6_SD_NS0_19identity_decomposerEEE10hipError_tT1_T2_T3_T4_jRjT5_jjP12ihipStream_tbEUlT_E_NS1_11comp_targetILNS1_3genE4ELNS1_11target_archE910ELNS1_3gpuE8ELNS1_3repE0EEENS1_44radix_sort_block_sort_config_static_selectorELNS0_4arch9wavefront6targetE0EEEvSG_
		.amdhsa_group_segment_fixed_size 0
		.amdhsa_private_segment_fixed_size 0
		.amdhsa_kernarg_size 48
		.amdhsa_user_sgpr_count 6
		.amdhsa_user_sgpr_private_segment_buffer 1
		.amdhsa_user_sgpr_dispatch_ptr 0
		.amdhsa_user_sgpr_queue_ptr 0
		.amdhsa_user_sgpr_kernarg_segment_ptr 1
		.amdhsa_user_sgpr_dispatch_id 0
		.amdhsa_user_sgpr_flat_scratch_init 0
		.amdhsa_user_sgpr_private_segment_size 0
		.amdhsa_wavefront_size32 1
		.amdhsa_uses_dynamic_stack 0
		.amdhsa_system_sgpr_private_segment_wavefront_offset 0
		.amdhsa_system_sgpr_workgroup_id_x 1
		.amdhsa_system_sgpr_workgroup_id_y 0
		.amdhsa_system_sgpr_workgroup_id_z 0
		.amdhsa_system_sgpr_workgroup_info 0
		.amdhsa_system_vgpr_workitem_id 0
		.amdhsa_next_free_vgpr 1
		.amdhsa_next_free_sgpr 1
		.amdhsa_reserve_vcc 0
		.amdhsa_reserve_flat_scratch 0
		.amdhsa_float_round_mode_32 0
		.amdhsa_float_round_mode_16_64 0
		.amdhsa_float_denorm_mode_32 3
		.amdhsa_float_denorm_mode_16_64 3
		.amdhsa_dx10_clamp 1
		.amdhsa_ieee_mode 1
		.amdhsa_fp16_overflow 0
		.amdhsa_workgroup_processor_mode 1
		.amdhsa_memory_ordered 1
		.amdhsa_forward_progress 1
		.amdhsa_shared_vgpr_count 0
		.amdhsa_exception_fp_ieee_invalid_op 0
		.amdhsa_exception_fp_denorm_src 0
		.amdhsa_exception_fp_ieee_div_zero 0
		.amdhsa_exception_fp_ieee_overflow 0
		.amdhsa_exception_fp_ieee_underflow 0
		.amdhsa_exception_fp_ieee_inexact 0
		.amdhsa_exception_int_div_zero 0
	.end_amdhsa_kernel
	.section	.text._ZN7rocprim17ROCPRIM_400000_NS6detail17trampoline_kernelINS0_13kernel_configILj256ELj4ELj4294967295EEENS1_37radix_sort_block_sort_config_selectorIiNS0_10empty_typeEEEZNS1_21radix_sort_block_sortIS4_Lb0EN6thrust23THRUST_200600_302600_NS10device_ptrIiEESC_PS6_SD_NS0_19identity_decomposerEEE10hipError_tT1_T2_T3_T4_jRjT5_jjP12ihipStream_tbEUlT_E_NS1_11comp_targetILNS1_3genE4ELNS1_11target_archE910ELNS1_3gpuE8ELNS1_3repE0EEENS1_44radix_sort_block_sort_config_static_selectorELNS0_4arch9wavefront6targetE0EEEvSG_,"axG",@progbits,_ZN7rocprim17ROCPRIM_400000_NS6detail17trampoline_kernelINS0_13kernel_configILj256ELj4ELj4294967295EEENS1_37radix_sort_block_sort_config_selectorIiNS0_10empty_typeEEEZNS1_21radix_sort_block_sortIS4_Lb0EN6thrust23THRUST_200600_302600_NS10device_ptrIiEESC_PS6_SD_NS0_19identity_decomposerEEE10hipError_tT1_T2_T3_T4_jRjT5_jjP12ihipStream_tbEUlT_E_NS1_11comp_targetILNS1_3genE4ELNS1_11target_archE910ELNS1_3gpuE8ELNS1_3repE0EEENS1_44radix_sort_block_sort_config_static_selectorELNS0_4arch9wavefront6targetE0EEEvSG_,comdat
.Lfunc_end1096:
	.size	_ZN7rocprim17ROCPRIM_400000_NS6detail17trampoline_kernelINS0_13kernel_configILj256ELj4ELj4294967295EEENS1_37radix_sort_block_sort_config_selectorIiNS0_10empty_typeEEEZNS1_21radix_sort_block_sortIS4_Lb0EN6thrust23THRUST_200600_302600_NS10device_ptrIiEESC_PS6_SD_NS0_19identity_decomposerEEE10hipError_tT1_T2_T3_T4_jRjT5_jjP12ihipStream_tbEUlT_E_NS1_11comp_targetILNS1_3genE4ELNS1_11target_archE910ELNS1_3gpuE8ELNS1_3repE0EEENS1_44radix_sort_block_sort_config_static_selectorELNS0_4arch9wavefront6targetE0EEEvSG_, .Lfunc_end1096-_ZN7rocprim17ROCPRIM_400000_NS6detail17trampoline_kernelINS0_13kernel_configILj256ELj4ELj4294967295EEENS1_37radix_sort_block_sort_config_selectorIiNS0_10empty_typeEEEZNS1_21radix_sort_block_sortIS4_Lb0EN6thrust23THRUST_200600_302600_NS10device_ptrIiEESC_PS6_SD_NS0_19identity_decomposerEEE10hipError_tT1_T2_T3_T4_jRjT5_jjP12ihipStream_tbEUlT_E_NS1_11comp_targetILNS1_3genE4ELNS1_11target_archE910ELNS1_3gpuE8ELNS1_3repE0EEENS1_44radix_sort_block_sort_config_static_selectorELNS0_4arch9wavefront6targetE0EEEvSG_
                                        ; -- End function
	.set _ZN7rocprim17ROCPRIM_400000_NS6detail17trampoline_kernelINS0_13kernel_configILj256ELj4ELj4294967295EEENS1_37radix_sort_block_sort_config_selectorIiNS0_10empty_typeEEEZNS1_21radix_sort_block_sortIS4_Lb0EN6thrust23THRUST_200600_302600_NS10device_ptrIiEESC_PS6_SD_NS0_19identity_decomposerEEE10hipError_tT1_T2_T3_T4_jRjT5_jjP12ihipStream_tbEUlT_E_NS1_11comp_targetILNS1_3genE4ELNS1_11target_archE910ELNS1_3gpuE8ELNS1_3repE0EEENS1_44radix_sort_block_sort_config_static_selectorELNS0_4arch9wavefront6targetE0EEEvSG_.num_vgpr, 0
	.set _ZN7rocprim17ROCPRIM_400000_NS6detail17trampoline_kernelINS0_13kernel_configILj256ELj4ELj4294967295EEENS1_37radix_sort_block_sort_config_selectorIiNS0_10empty_typeEEEZNS1_21radix_sort_block_sortIS4_Lb0EN6thrust23THRUST_200600_302600_NS10device_ptrIiEESC_PS6_SD_NS0_19identity_decomposerEEE10hipError_tT1_T2_T3_T4_jRjT5_jjP12ihipStream_tbEUlT_E_NS1_11comp_targetILNS1_3genE4ELNS1_11target_archE910ELNS1_3gpuE8ELNS1_3repE0EEENS1_44radix_sort_block_sort_config_static_selectorELNS0_4arch9wavefront6targetE0EEEvSG_.num_agpr, 0
	.set _ZN7rocprim17ROCPRIM_400000_NS6detail17trampoline_kernelINS0_13kernel_configILj256ELj4ELj4294967295EEENS1_37radix_sort_block_sort_config_selectorIiNS0_10empty_typeEEEZNS1_21radix_sort_block_sortIS4_Lb0EN6thrust23THRUST_200600_302600_NS10device_ptrIiEESC_PS6_SD_NS0_19identity_decomposerEEE10hipError_tT1_T2_T3_T4_jRjT5_jjP12ihipStream_tbEUlT_E_NS1_11comp_targetILNS1_3genE4ELNS1_11target_archE910ELNS1_3gpuE8ELNS1_3repE0EEENS1_44radix_sort_block_sort_config_static_selectorELNS0_4arch9wavefront6targetE0EEEvSG_.numbered_sgpr, 0
	.set _ZN7rocprim17ROCPRIM_400000_NS6detail17trampoline_kernelINS0_13kernel_configILj256ELj4ELj4294967295EEENS1_37radix_sort_block_sort_config_selectorIiNS0_10empty_typeEEEZNS1_21radix_sort_block_sortIS4_Lb0EN6thrust23THRUST_200600_302600_NS10device_ptrIiEESC_PS6_SD_NS0_19identity_decomposerEEE10hipError_tT1_T2_T3_T4_jRjT5_jjP12ihipStream_tbEUlT_E_NS1_11comp_targetILNS1_3genE4ELNS1_11target_archE910ELNS1_3gpuE8ELNS1_3repE0EEENS1_44radix_sort_block_sort_config_static_selectorELNS0_4arch9wavefront6targetE0EEEvSG_.num_named_barrier, 0
	.set _ZN7rocprim17ROCPRIM_400000_NS6detail17trampoline_kernelINS0_13kernel_configILj256ELj4ELj4294967295EEENS1_37radix_sort_block_sort_config_selectorIiNS0_10empty_typeEEEZNS1_21radix_sort_block_sortIS4_Lb0EN6thrust23THRUST_200600_302600_NS10device_ptrIiEESC_PS6_SD_NS0_19identity_decomposerEEE10hipError_tT1_T2_T3_T4_jRjT5_jjP12ihipStream_tbEUlT_E_NS1_11comp_targetILNS1_3genE4ELNS1_11target_archE910ELNS1_3gpuE8ELNS1_3repE0EEENS1_44radix_sort_block_sort_config_static_selectorELNS0_4arch9wavefront6targetE0EEEvSG_.private_seg_size, 0
	.set _ZN7rocprim17ROCPRIM_400000_NS6detail17trampoline_kernelINS0_13kernel_configILj256ELj4ELj4294967295EEENS1_37radix_sort_block_sort_config_selectorIiNS0_10empty_typeEEEZNS1_21radix_sort_block_sortIS4_Lb0EN6thrust23THRUST_200600_302600_NS10device_ptrIiEESC_PS6_SD_NS0_19identity_decomposerEEE10hipError_tT1_T2_T3_T4_jRjT5_jjP12ihipStream_tbEUlT_E_NS1_11comp_targetILNS1_3genE4ELNS1_11target_archE910ELNS1_3gpuE8ELNS1_3repE0EEENS1_44radix_sort_block_sort_config_static_selectorELNS0_4arch9wavefront6targetE0EEEvSG_.uses_vcc, 0
	.set _ZN7rocprim17ROCPRIM_400000_NS6detail17trampoline_kernelINS0_13kernel_configILj256ELj4ELj4294967295EEENS1_37radix_sort_block_sort_config_selectorIiNS0_10empty_typeEEEZNS1_21radix_sort_block_sortIS4_Lb0EN6thrust23THRUST_200600_302600_NS10device_ptrIiEESC_PS6_SD_NS0_19identity_decomposerEEE10hipError_tT1_T2_T3_T4_jRjT5_jjP12ihipStream_tbEUlT_E_NS1_11comp_targetILNS1_3genE4ELNS1_11target_archE910ELNS1_3gpuE8ELNS1_3repE0EEENS1_44radix_sort_block_sort_config_static_selectorELNS0_4arch9wavefront6targetE0EEEvSG_.uses_flat_scratch, 0
	.set _ZN7rocprim17ROCPRIM_400000_NS6detail17trampoline_kernelINS0_13kernel_configILj256ELj4ELj4294967295EEENS1_37radix_sort_block_sort_config_selectorIiNS0_10empty_typeEEEZNS1_21radix_sort_block_sortIS4_Lb0EN6thrust23THRUST_200600_302600_NS10device_ptrIiEESC_PS6_SD_NS0_19identity_decomposerEEE10hipError_tT1_T2_T3_T4_jRjT5_jjP12ihipStream_tbEUlT_E_NS1_11comp_targetILNS1_3genE4ELNS1_11target_archE910ELNS1_3gpuE8ELNS1_3repE0EEENS1_44radix_sort_block_sort_config_static_selectorELNS0_4arch9wavefront6targetE0EEEvSG_.has_dyn_sized_stack, 0
	.set _ZN7rocprim17ROCPRIM_400000_NS6detail17trampoline_kernelINS0_13kernel_configILj256ELj4ELj4294967295EEENS1_37radix_sort_block_sort_config_selectorIiNS0_10empty_typeEEEZNS1_21radix_sort_block_sortIS4_Lb0EN6thrust23THRUST_200600_302600_NS10device_ptrIiEESC_PS6_SD_NS0_19identity_decomposerEEE10hipError_tT1_T2_T3_T4_jRjT5_jjP12ihipStream_tbEUlT_E_NS1_11comp_targetILNS1_3genE4ELNS1_11target_archE910ELNS1_3gpuE8ELNS1_3repE0EEENS1_44radix_sort_block_sort_config_static_selectorELNS0_4arch9wavefront6targetE0EEEvSG_.has_recursion, 0
	.set _ZN7rocprim17ROCPRIM_400000_NS6detail17trampoline_kernelINS0_13kernel_configILj256ELj4ELj4294967295EEENS1_37radix_sort_block_sort_config_selectorIiNS0_10empty_typeEEEZNS1_21radix_sort_block_sortIS4_Lb0EN6thrust23THRUST_200600_302600_NS10device_ptrIiEESC_PS6_SD_NS0_19identity_decomposerEEE10hipError_tT1_T2_T3_T4_jRjT5_jjP12ihipStream_tbEUlT_E_NS1_11comp_targetILNS1_3genE4ELNS1_11target_archE910ELNS1_3gpuE8ELNS1_3repE0EEENS1_44radix_sort_block_sort_config_static_selectorELNS0_4arch9wavefront6targetE0EEEvSG_.has_indirect_call, 0
	.section	.AMDGPU.csdata,"",@progbits
; Kernel info:
; codeLenInByte = 0
; TotalNumSgprs: 0
; NumVgprs: 0
; ScratchSize: 0
; MemoryBound: 0
; FloatMode: 240
; IeeeMode: 1
; LDSByteSize: 0 bytes/workgroup (compile time only)
; SGPRBlocks: 0
; VGPRBlocks: 0
; NumSGPRsForWavesPerEU: 1
; NumVGPRsForWavesPerEU: 1
; Occupancy: 16
; WaveLimiterHint : 0
; COMPUTE_PGM_RSRC2:SCRATCH_EN: 0
; COMPUTE_PGM_RSRC2:USER_SGPR: 6
; COMPUTE_PGM_RSRC2:TRAP_HANDLER: 0
; COMPUTE_PGM_RSRC2:TGID_X_EN: 1
; COMPUTE_PGM_RSRC2:TGID_Y_EN: 0
; COMPUTE_PGM_RSRC2:TGID_Z_EN: 0
; COMPUTE_PGM_RSRC2:TIDIG_COMP_CNT: 0
	.section	.text._ZN7rocprim17ROCPRIM_400000_NS6detail17trampoline_kernelINS0_13kernel_configILj256ELj4ELj4294967295EEENS1_37radix_sort_block_sort_config_selectorIiNS0_10empty_typeEEEZNS1_21radix_sort_block_sortIS4_Lb0EN6thrust23THRUST_200600_302600_NS10device_ptrIiEESC_PS6_SD_NS0_19identity_decomposerEEE10hipError_tT1_T2_T3_T4_jRjT5_jjP12ihipStream_tbEUlT_E_NS1_11comp_targetILNS1_3genE3ELNS1_11target_archE908ELNS1_3gpuE7ELNS1_3repE0EEENS1_44radix_sort_block_sort_config_static_selectorELNS0_4arch9wavefront6targetE0EEEvSG_,"axG",@progbits,_ZN7rocprim17ROCPRIM_400000_NS6detail17trampoline_kernelINS0_13kernel_configILj256ELj4ELj4294967295EEENS1_37radix_sort_block_sort_config_selectorIiNS0_10empty_typeEEEZNS1_21radix_sort_block_sortIS4_Lb0EN6thrust23THRUST_200600_302600_NS10device_ptrIiEESC_PS6_SD_NS0_19identity_decomposerEEE10hipError_tT1_T2_T3_T4_jRjT5_jjP12ihipStream_tbEUlT_E_NS1_11comp_targetILNS1_3genE3ELNS1_11target_archE908ELNS1_3gpuE7ELNS1_3repE0EEENS1_44radix_sort_block_sort_config_static_selectorELNS0_4arch9wavefront6targetE0EEEvSG_,comdat
	.protected	_ZN7rocprim17ROCPRIM_400000_NS6detail17trampoline_kernelINS0_13kernel_configILj256ELj4ELj4294967295EEENS1_37radix_sort_block_sort_config_selectorIiNS0_10empty_typeEEEZNS1_21radix_sort_block_sortIS4_Lb0EN6thrust23THRUST_200600_302600_NS10device_ptrIiEESC_PS6_SD_NS0_19identity_decomposerEEE10hipError_tT1_T2_T3_T4_jRjT5_jjP12ihipStream_tbEUlT_E_NS1_11comp_targetILNS1_3genE3ELNS1_11target_archE908ELNS1_3gpuE7ELNS1_3repE0EEENS1_44radix_sort_block_sort_config_static_selectorELNS0_4arch9wavefront6targetE0EEEvSG_ ; -- Begin function _ZN7rocprim17ROCPRIM_400000_NS6detail17trampoline_kernelINS0_13kernel_configILj256ELj4ELj4294967295EEENS1_37radix_sort_block_sort_config_selectorIiNS0_10empty_typeEEEZNS1_21radix_sort_block_sortIS4_Lb0EN6thrust23THRUST_200600_302600_NS10device_ptrIiEESC_PS6_SD_NS0_19identity_decomposerEEE10hipError_tT1_T2_T3_T4_jRjT5_jjP12ihipStream_tbEUlT_E_NS1_11comp_targetILNS1_3genE3ELNS1_11target_archE908ELNS1_3gpuE7ELNS1_3repE0EEENS1_44radix_sort_block_sort_config_static_selectorELNS0_4arch9wavefront6targetE0EEEvSG_
	.globl	_ZN7rocprim17ROCPRIM_400000_NS6detail17trampoline_kernelINS0_13kernel_configILj256ELj4ELj4294967295EEENS1_37radix_sort_block_sort_config_selectorIiNS0_10empty_typeEEEZNS1_21radix_sort_block_sortIS4_Lb0EN6thrust23THRUST_200600_302600_NS10device_ptrIiEESC_PS6_SD_NS0_19identity_decomposerEEE10hipError_tT1_T2_T3_T4_jRjT5_jjP12ihipStream_tbEUlT_E_NS1_11comp_targetILNS1_3genE3ELNS1_11target_archE908ELNS1_3gpuE7ELNS1_3repE0EEENS1_44radix_sort_block_sort_config_static_selectorELNS0_4arch9wavefront6targetE0EEEvSG_
	.p2align	8
	.type	_ZN7rocprim17ROCPRIM_400000_NS6detail17trampoline_kernelINS0_13kernel_configILj256ELj4ELj4294967295EEENS1_37radix_sort_block_sort_config_selectorIiNS0_10empty_typeEEEZNS1_21radix_sort_block_sortIS4_Lb0EN6thrust23THRUST_200600_302600_NS10device_ptrIiEESC_PS6_SD_NS0_19identity_decomposerEEE10hipError_tT1_T2_T3_T4_jRjT5_jjP12ihipStream_tbEUlT_E_NS1_11comp_targetILNS1_3genE3ELNS1_11target_archE908ELNS1_3gpuE7ELNS1_3repE0EEENS1_44radix_sort_block_sort_config_static_selectorELNS0_4arch9wavefront6targetE0EEEvSG_,@function
_ZN7rocprim17ROCPRIM_400000_NS6detail17trampoline_kernelINS0_13kernel_configILj256ELj4ELj4294967295EEENS1_37radix_sort_block_sort_config_selectorIiNS0_10empty_typeEEEZNS1_21radix_sort_block_sortIS4_Lb0EN6thrust23THRUST_200600_302600_NS10device_ptrIiEESC_PS6_SD_NS0_19identity_decomposerEEE10hipError_tT1_T2_T3_T4_jRjT5_jjP12ihipStream_tbEUlT_E_NS1_11comp_targetILNS1_3genE3ELNS1_11target_archE908ELNS1_3gpuE7ELNS1_3repE0EEENS1_44radix_sort_block_sort_config_static_selectorELNS0_4arch9wavefront6targetE0EEEvSG_: ; @_ZN7rocprim17ROCPRIM_400000_NS6detail17trampoline_kernelINS0_13kernel_configILj256ELj4ELj4294967295EEENS1_37radix_sort_block_sort_config_selectorIiNS0_10empty_typeEEEZNS1_21radix_sort_block_sortIS4_Lb0EN6thrust23THRUST_200600_302600_NS10device_ptrIiEESC_PS6_SD_NS0_19identity_decomposerEEE10hipError_tT1_T2_T3_T4_jRjT5_jjP12ihipStream_tbEUlT_E_NS1_11comp_targetILNS1_3genE3ELNS1_11target_archE908ELNS1_3gpuE7ELNS1_3repE0EEENS1_44radix_sort_block_sort_config_static_selectorELNS0_4arch9wavefront6targetE0EEEvSG_
; %bb.0:
	.section	.rodata,"a",@progbits
	.p2align	6, 0x0
	.amdhsa_kernel _ZN7rocprim17ROCPRIM_400000_NS6detail17trampoline_kernelINS0_13kernel_configILj256ELj4ELj4294967295EEENS1_37radix_sort_block_sort_config_selectorIiNS0_10empty_typeEEEZNS1_21radix_sort_block_sortIS4_Lb0EN6thrust23THRUST_200600_302600_NS10device_ptrIiEESC_PS6_SD_NS0_19identity_decomposerEEE10hipError_tT1_T2_T3_T4_jRjT5_jjP12ihipStream_tbEUlT_E_NS1_11comp_targetILNS1_3genE3ELNS1_11target_archE908ELNS1_3gpuE7ELNS1_3repE0EEENS1_44radix_sort_block_sort_config_static_selectorELNS0_4arch9wavefront6targetE0EEEvSG_
		.amdhsa_group_segment_fixed_size 0
		.amdhsa_private_segment_fixed_size 0
		.amdhsa_kernarg_size 48
		.amdhsa_user_sgpr_count 6
		.amdhsa_user_sgpr_private_segment_buffer 1
		.amdhsa_user_sgpr_dispatch_ptr 0
		.amdhsa_user_sgpr_queue_ptr 0
		.amdhsa_user_sgpr_kernarg_segment_ptr 1
		.amdhsa_user_sgpr_dispatch_id 0
		.amdhsa_user_sgpr_flat_scratch_init 0
		.amdhsa_user_sgpr_private_segment_size 0
		.amdhsa_wavefront_size32 1
		.amdhsa_uses_dynamic_stack 0
		.amdhsa_system_sgpr_private_segment_wavefront_offset 0
		.amdhsa_system_sgpr_workgroup_id_x 1
		.amdhsa_system_sgpr_workgroup_id_y 0
		.amdhsa_system_sgpr_workgroup_id_z 0
		.amdhsa_system_sgpr_workgroup_info 0
		.amdhsa_system_vgpr_workitem_id 0
		.amdhsa_next_free_vgpr 1
		.amdhsa_next_free_sgpr 1
		.amdhsa_reserve_vcc 0
		.amdhsa_reserve_flat_scratch 0
		.amdhsa_float_round_mode_32 0
		.amdhsa_float_round_mode_16_64 0
		.amdhsa_float_denorm_mode_32 3
		.amdhsa_float_denorm_mode_16_64 3
		.amdhsa_dx10_clamp 1
		.amdhsa_ieee_mode 1
		.amdhsa_fp16_overflow 0
		.amdhsa_workgroup_processor_mode 1
		.amdhsa_memory_ordered 1
		.amdhsa_forward_progress 1
		.amdhsa_shared_vgpr_count 0
		.amdhsa_exception_fp_ieee_invalid_op 0
		.amdhsa_exception_fp_denorm_src 0
		.amdhsa_exception_fp_ieee_div_zero 0
		.amdhsa_exception_fp_ieee_overflow 0
		.amdhsa_exception_fp_ieee_underflow 0
		.amdhsa_exception_fp_ieee_inexact 0
		.amdhsa_exception_int_div_zero 0
	.end_amdhsa_kernel
	.section	.text._ZN7rocprim17ROCPRIM_400000_NS6detail17trampoline_kernelINS0_13kernel_configILj256ELj4ELj4294967295EEENS1_37radix_sort_block_sort_config_selectorIiNS0_10empty_typeEEEZNS1_21radix_sort_block_sortIS4_Lb0EN6thrust23THRUST_200600_302600_NS10device_ptrIiEESC_PS6_SD_NS0_19identity_decomposerEEE10hipError_tT1_T2_T3_T4_jRjT5_jjP12ihipStream_tbEUlT_E_NS1_11comp_targetILNS1_3genE3ELNS1_11target_archE908ELNS1_3gpuE7ELNS1_3repE0EEENS1_44radix_sort_block_sort_config_static_selectorELNS0_4arch9wavefront6targetE0EEEvSG_,"axG",@progbits,_ZN7rocprim17ROCPRIM_400000_NS6detail17trampoline_kernelINS0_13kernel_configILj256ELj4ELj4294967295EEENS1_37radix_sort_block_sort_config_selectorIiNS0_10empty_typeEEEZNS1_21radix_sort_block_sortIS4_Lb0EN6thrust23THRUST_200600_302600_NS10device_ptrIiEESC_PS6_SD_NS0_19identity_decomposerEEE10hipError_tT1_T2_T3_T4_jRjT5_jjP12ihipStream_tbEUlT_E_NS1_11comp_targetILNS1_3genE3ELNS1_11target_archE908ELNS1_3gpuE7ELNS1_3repE0EEENS1_44radix_sort_block_sort_config_static_selectorELNS0_4arch9wavefront6targetE0EEEvSG_,comdat
.Lfunc_end1097:
	.size	_ZN7rocprim17ROCPRIM_400000_NS6detail17trampoline_kernelINS0_13kernel_configILj256ELj4ELj4294967295EEENS1_37radix_sort_block_sort_config_selectorIiNS0_10empty_typeEEEZNS1_21radix_sort_block_sortIS4_Lb0EN6thrust23THRUST_200600_302600_NS10device_ptrIiEESC_PS6_SD_NS0_19identity_decomposerEEE10hipError_tT1_T2_T3_T4_jRjT5_jjP12ihipStream_tbEUlT_E_NS1_11comp_targetILNS1_3genE3ELNS1_11target_archE908ELNS1_3gpuE7ELNS1_3repE0EEENS1_44radix_sort_block_sort_config_static_selectorELNS0_4arch9wavefront6targetE0EEEvSG_, .Lfunc_end1097-_ZN7rocprim17ROCPRIM_400000_NS6detail17trampoline_kernelINS0_13kernel_configILj256ELj4ELj4294967295EEENS1_37radix_sort_block_sort_config_selectorIiNS0_10empty_typeEEEZNS1_21radix_sort_block_sortIS4_Lb0EN6thrust23THRUST_200600_302600_NS10device_ptrIiEESC_PS6_SD_NS0_19identity_decomposerEEE10hipError_tT1_T2_T3_T4_jRjT5_jjP12ihipStream_tbEUlT_E_NS1_11comp_targetILNS1_3genE3ELNS1_11target_archE908ELNS1_3gpuE7ELNS1_3repE0EEENS1_44radix_sort_block_sort_config_static_selectorELNS0_4arch9wavefront6targetE0EEEvSG_
                                        ; -- End function
	.set _ZN7rocprim17ROCPRIM_400000_NS6detail17trampoline_kernelINS0_13kernel_configILj256ELj4ELj4294967295EEENS1_37radix_sort_block_sort_config_selectorIiNS0_10empty_typeEEEZNS1_21radix_sort_block_sortIS4_Lb0EN6thrust23THRUST_200600_302600_NS10device_ptrIiEESC_PS6_SD_NS0_19identity_decomposerEEE10hipError_tT1_T2_T3_T4_jRjT5_jjP12ihipStream_tbEUlT_E_NS1_11comp_targetILNS1_3genE3ELNS1_11target_archE908ELNS1_3gpuE7ELNS1_3repE0EEENS1_44radix_sort_block_sort_config_static_selectorELNS0_4arch9wavefront6targetE0EEEvSG_.num_vgpr, 0
	.set _ZN7rocprim17ROCPRIM_400000_NS6detail17trampoline_kernelINS0_13kernel_configILj256ELj4ELj4294967295EEENS1_37radix_sort_block_sort_config_selectorIiNS0_10empty_typeEEEZNS1_21radix_sort_block_sortIS4_Lb0EN6thrust23THRUST_200600_302600_NS10device_ptrIiEESC_PS6_SD_NS0_19identity_decomposerEEE10hipError_tT1_T2_T3_T4_jRjT5_jjP12ihipStream_tbEUlT_E_NS1_11comp_targetILNS1_3genE3ELNS1_11target_archE908ELNS1_3gpuE7ELNS1_3repE0EEENS1_44radix_sort_block_sort_config_static_selectorELNS0_4arch9wavefront6targetE0EEEvSG_.num_agpr, 0
	.set _ZN7rocprim17ROCPRIM_400000_NS6detail17trampoline_kernelINS0_13kernel_configILj256ELj4ELj4294967295EEENS1_37radix_sort_block_sort_config_selectorIiNS0_10empty_typeEEEZNS1_21radix_sort_block_sortIS4_Lb0EN6thrust23THRUST_200600_302600_NS10device_ptrIiEESC_PS6_SD_NS0_19identity_decomposerEEE10hipError_tT1_T2_T3_T4_jRjT5_jjP12ihipStream_tbEUlT_E_NS1_11comp_targetILNS1_3genE3ELNS1_11target_archE908ELNS1_3gpuE7ELNS1_3repE0EEENS1_44radix_sort_block_sort_config_static_selectorELNS0_4arch9wavefront6targetE0EEEvSG_.numbered_sgpr, 0
	.set _ZN7rocprim17ROCPRIM_400000_NS6detail17trampoline_kernelINS0_13kernel_configILj256ELj4ELj4294967295EEENS1_37radix_sort_block_sort_config_selectorIiNS0_10empty_typeEEEZNS1_21radix_sort_block_sortIS4_Lb0EN6thrust23THRUST_200600_302600_NS10device_ptrIiEESC_PS6_SD_NS0_19identity_decomposerEEE10hipError_tT1_T2_T3_T4_jRjT5_jjP12ihipStream_tbEUlT_E_NS1_11comp_targetILNS1_3genE3ELNS1_11target_archE908ELNS1_3gpuE7ELNS1_3repE0EEENS1_44radix_sort_block_sort_config_static_selectorELNS0_4arch9wavefront6targetE0EEEvSG_.num_named_barrier, 0
	.set _ZN7rocprim17ROCPRIM_400000_NS6detail17trampoline_kernelINS0_13kernel_configILj256ELj4ELj4294967295EEENS1_37radix_sort_block_sort_config_selectorIiNS0_10empty_typeEEEZNS1_21radix_sort_block_sortIS4_Lb0EN6thrust23THRUST_200600_302600_NS10device_ptrIiEESC_PS6_SD_NS0_19identity_decomposerEEE10hipError_tT1_T2_T3_T4_jRjT5_jjP12ihipStream_tbEUlT_E_NS1_11comp_targetILNS1_3genE3ELNS1_11target_archE908ELNS1_3gpuE7ELNS1_3repE0EEENS1_44radix_sort_block_sort_config_static_selectorELNS0_4arch9wavefront6targetE0EEEvSG_.private_seg_size, 0
	.set _ZN7rocprim17ROCPRIM_400000_NS6detail17trampoline_kernelINS0_13kernel_configILj256ELj4ELj4294967295EEENS1_37radix_sort_block_sort_config_selectorIiNS0_10empty_typeEEEZNS1_21radix_sort_block_sortIS4_Lb0EN6thrust23THRUST_200600_302600_NS10device_ptrIiEESC_PS6_SD_NS0_19identity_decomposerEEE10hipError_tT1_T2_T3_T4_jRjT5_jjP12ihipStream_tbEUlT_E_NS1_11comp_targetILNS1_3genE3ELNS1_11target_archE908ELNS1_3gpuE7ELNS1_3repE0EEENS1_44radix_sort_block_sort_config_static_selectorELNS0_4arch9wavefront6targetE0EEEvSG_.uses_vcc, 0
	.set _ZN7rocprim17ROCPRIM_400000_NS6detail17trampoline_kernelINS0_13kernel_configILj256ELj4ELj4294967295EEENS1_37radix_sort_block_sort_config_selectorIiNS0_10empty_typeEEEZNS1_21radix_sort_block_sortIS4_Lb0EN6thrust23THRUST_200600_302600_NS10device_ptrIiEESC_PS6_SD_NS0_19identity_decomposerEEE10hipError_tT1_T2_T3_T4_jRjT5_jjP12ihipStream_tbEUlT_E_NS1_11comp_targetILNS1_3genE3ELNS1_11target_archE908ELNS1_3gpuE7ELNS1_3repE0EEENS1_44radix_sort_block_sort_config_static_selectorELNS0_4arch9wavefront6targetE0EEEvSG_.uses_flat_scratch, 0
	.set _ZN7rocprim17ROCPRIM_400000_NS6detail17trampoline_kernelINS0_13kernel_configILj256ELj4ELj4294967295EEENS1_37radix_sort_block_sort_config_selectorIiNS0_10empty_typeEEEZNS1_21radix_sort_block_sortIS4_Lb0EN6thrust23THRUST_200600_302600_NS10device_ptrIiEESC_PS6_SD_NS0_19identity_decomposerEEE10hipError_tT1_T2_T3_T4_jRjT5_jjP12ihipStream_tbEUlT_E_NS1_11comp_targetILNS1_3genE3ELNS1_11target_archE908ELNS1_3gpuE7ELNS1_3repE0EEENS1_44radix_sort_block_sort_config_static_selectorELNS0_4arch9wavefront6targetE0EEEvSG_.has_dyn_sized_stack, 0
	.set _ZN7rocprim17ROCPRIM_400000_NS6detail17trampoline_kernelINS0_13kernel_configILj256ELj4ELj4294967295EEENS1_37radix_sort_block_sort_config_selectorIiNS0_10empty_typeEEEZNS1_21radix_sort_block_sortIS4_Lb0EN6thrust23THRUST_200600_302600_NS10device_ptrIiEESC_PS6_SD_NS0_19identity_decomposerEEE10hipError_tT1_T2_T3_T4_jRjT5_jjP12ihipStream_tbEUlT_E_NS1_11comp_targetILNS1_3genE3ELNS1_11target_archE908ELNS1_3gpuE7ELNS1_3repE0EEENS1_44radix_sort_block_sort_config_static_selectorELNS0_4arch9wavefront6targetE0EEEvSG_.has_recursion, 0
	.set _ZN7rocprim17ROCPRIM_400000_NS6detail17trampoline_kernelINS0_13kernel_configILj256ELj4ELj4294967295EEENS1_37radix_sort_block_sort_config_selectorIiNS0_10empty_typeEEEZNS1_21radix_sort_block_sortIS4_Lb0EN6thrust23THRUST_200600_302600_NS10device_ptrIiEESC_PS6_SD_NS0_19identity_decomposerEEE10hipError_tT1_T2_T3_T4_jRjT5_jjP12ihipStream_tbEUlT_E_NS1_11comp_targetILNS1_3genE3ELNS1_11target_archE908ELNS1_3gpuE7ELNS1_3repE0EEENS1_44radix_sort_block_sort_config_static_selectorELNS0_4arch9wavefront6targetE0EEEvSG_.has_indirect_call, 0
	.section	.AMDGPU.csdata,"",@progbits
; Kernel info:
; codeLenInByte = 0
; TotalNumSgprs: 0
; NumVgprs: 0
; ScratchSize: 0
; MemoryBound: 0
; FloatMode: 240
; IeeeMode: 1
; LDSByteSize: 0 bytes/workgroup (compile time only)
; SGPRBlocks: 0
; VGPRBlocks: 0
; NumSGPRsForWavesPerEU: 1
; NumVGPRsForWavesPerEU: 1
; Occupancy: 16
; WaveLimiterHint : 0
; COMPUTE_PGM_RSRC2:SCRATCH_EN: 0
; COMPUTE_PGM_RSRC2:USER_SGPR: 6
; COMPUTE_PGM_RSRC2:TRAP_HANDLER: 0
; COMPUTE_PGM_RSRC2:TGID_X_EN: 1
; COMPUTE_PGM_RSRC2:TGID_Y_EN: 0
; COMPUTE_PGM_RSRC2:TGID_Z_EN: 0
; COMPUTE_PGM_RSRC2:TIDIG_COMP_CNT: 0
	.section	.text._ZN7rocprim17ROCPRIM_400000_NS6detail17trampoline_kernelINS0_13kernel_configILj256ELj4ELj4294967295EEENS1_37radix_sort_block_sort_config_selectorIiNS0_10empty_typeEEEZNS1_21radix_sort_block_sortIS4_Lb0EN6thrust23THRUST_200600_302600_NS10device_ptrIiEESC_PS6_SD_NS0_19identity_decomposerEEE10hipError_tT1_T2_T3_T4_jRjT5_jjP12ihipStream_tbEUlT_E_NS1_11comp_targetILNS1_3genE2ELNS1_11target_archE906ELNS1_3gpuE6ELNS1_3repE0EEENS1_44radix_sort_block_sort_config_static_selectorELNS0_4arch9wavefront6targetE0EEEvSG_,"axG",@progbits,_ZN7rocprim17ROCPRIM_400000_NS6detail17trampoline_kernelINS0_13kernel_configILj256ELj4ELj4294967295EEENS1_37radix_sort_block_sort_config_selectorIiNS0_10empty_typeEEEZNS1_21radix_sort_block_sortIS4_Lb0EN6thrust23THRUST_200600_302600_NS10device_ptrIiEESC_PS6_SD_NS0_19identity_decomposerEEE10hipError_tT1_T2_T3_T4_jRjT5_jjP12ihipStream_tbEUlT_E_NS1_11comp_targetILNS1_3genE2ELNS1_11target_archE906ELNS1_3gpuE6ELNS1_3repE0EEENS1_44radix_sort_block_sort_config_static_selectorELNS0_4arch9wavefront6targetE0EEEvSG_,comdat
	.protected	_ZN7rocprim17ROCPRIM_400000_NS6detail17trampoline_kernelINS0_13kernel_configILj256ELj4ELj4294967295EEENS1_37radix_sort_block_sort_config_selectorIiNS0_10empty_typeEEEZNS1_21radix_sort_block_sortIS4_Lb0EN6thrust23THRUST_200600_302600_NS10device_ptrIiEESC_PS6_SD_NS0_19identity_decomposerEEE10hipError_tT1_T2_T3_T4_jRjT5_jjP12ihipStream_tbEUlT_E_NS1_11comp_targetILNS1_3genE2ELNS1_11target_archE906ELNS1_3gpuE6ELNS1_3repE0EEENS1_44radix_sort_block_sort_config_static_selectorELNS0_4arch9wavefront6targetE0EEEvSG_ ; -- Begin function _ZN7rocprim17ROCPRIM_400000_NS6detail17trampoline_kernelINS0_13kernel_configILj256ELj4ELj4294967295EEENS1_37radix_sort_block_sort_config_selectorIiNS0_10empty_typeEEEZNS1_21radix_sort_block_sortIS4_Lb0EN6thrust23THRUST_200600_302600_NS10device_ptrIiEESC_PS6_SD_NS0_19identity_decomposerEEE10hipError_tT1_T2_T3_T4_jRjT5_jjP12ihipStream_tbEUlT_E_NS1_11comp_targetILNS1_3genE2ELNS1_11target_archE906ELNS1_3gpuE6ELNS1_3repE0EEENS1_44radix_sort_block_sort_config_static_selectorELNS0_4arch9wavefront6targetE0EEEvSG_
	.globl	_ZN7rocprim17ROCPRIM_400000_NS6detail17trampoline_kernelINS0_13kernel_configILj256ELj4ELj4294967295EEENS1_37radix_sort_block_sort_config_selectorIiNS0_10empty_typeEEEZNS1_21radix_sort_block_sortIS4_Lb0EN6thrust23THRUST_200600_302600_NS10device_ptrIiEESC_PS6_SD_NS0_19identity_decomposerEEE10hipError_tT1_T2_T3_T4_jRjT5_jjP12ihipStream_tbEUlT_E_NS1_11comp_targetILNS1_3genE2ELNS1_11target_archE906ELNS1_3gpuE6ELNS1_3repE0EEENS1_44radix_sort_block_sort_config_static_selectorELNS0_4arch9wavefront6targetE0EEEvSG_
	.p2align	8
	.type	_ZN7rocprim17ROCPRIM_400000_NS6detail17trampoline_kernelINS0_13kernel_configILj256ELj4ELj4294967295EEENS1_37radix_sort_block_sort_config_selectorIiNS0_10empty_typeEEEZNS1_21radix_sort_block_sortIS4_Lb0EN6thrust23THRUST_200600_302600_NS10device_ptrIiEESC_PS6_SD_NS0_19identity_decomposerEEE10hipError_tT1_T2_T3_T4_jRjT5_jjP12ihipStream_tbEUlT_E_NS1_11comp_targetILNS1_3genE2ELNS1_11target_archE906ELNS1_3gpuE6ELNS1_3repE0EEENS1_44radix_sort_block_sort_config_static_selectorELNS0_4arch9wavefront6targetE0EEEvSG_,@function
_ZN7rocprim17ROCPRIM_400000_NS6detail17trampoline_kernelINS0_13kernel_configILj256ELj4ELj4294967295EEENS1_37radix_sort_block_sort_config_selectorIiNS0_10empty_typeEEEZNS1_21radix_sort_block_sortIS4_Lb0EN6thrust23THRUST_200600_302600_NS10device_ptrIiEESC_PS6_SD_NS0_19identity_decomposerEEE10hipError_tT1_T2_T3_T4_jRjT5_jjP12ihipStream_tbEUlT_E_NS1_11comp_targetILNS1_3genE2ELNS1_11target_archE906ELNS1_3gpuE6ELNS1_3repE0EEENS1_44radix_sort_block_sort_config_static_selectorELNS0_4arch9wavefront6targetE0EEEvSG_: ; @_ZN7rocprim17ROCPRIM_400000_NS6detail17trampoline_kernelINS0_13kernel_configILj256ELj4ELj4294967295EEENS1_37radix_sort_block_sort_config_selectorIiNS0_10empty_typeEEEZNS1_21radix_sort_block_sortIS4_Lb0EN6thrust23THRUST_200600_302600_NS10device_ptrIiEESC_PS6_SD_NS0_19identity_decomposerEEE10hipError_tT1_T2_T3_T4_jRjT5_jjP12ihipStream_tbEUlT_E_NS1_11comp_targetILNS1_3genE2ELNS1_11target_archE906ELNS1_3gpuE6ELNS1_3repE0EEENS1_44radix_sort_block_sort_config_static_selectorELNS0_4arch9wavefront6targetE0EEEvSG_
; %bb.0:
	.section	.rodata,"a",@progbits
	.p2align	6, 0x0
	.amdhsa_kernel _ZN7rocprim17ROCPRIM_400000_NS6detail17trampoline_kernelINS0_13kernel_configILj256ELj4ELj4294967295EEENS1_37radix_sort_block_sort_config_selectorIiNS0_10empty_typeEEEZNS1_21radix_sort_block_sortIS4_Lb0EN6thrust23THRUST_200600_302600_NS10device_ptrIiEESC_PS6_SD_NS0_19identity_decomposerEEE10hipError_tT1_T2_T3_T4_jRjT5_jjP12ihipStream_tbEUlT_E_NS1_11comp_targetILNS1_3genE2ELNS1_11target_archE906ELNS1_3gpuE6ELNS1_3repE0EEENS1_44radix_sort_block_sort_config_static_selectorELNS0_4arch9wavefront6targetE0EEEvSG_
		.amdhsa_group_segment_fixed_size 0
		.amdhsa_private_segment_fixed_size 0
		.amdhsa_kernarg_size 48
		.amdhsa_user_sgpr_count 6
		.amdhsa_user_sgpr_private_segment_buffer 1
		.amdhsa_user_sgpr_dispatch_ptr 0
		.amdhsa_user_sgpr_queue_ptr 0
		.amdhsa_user_sgpr_kernarg_segment_ptr 1
		.amdhsa_user_sgpr_dispatch_id 0
		.amdhsa_user_sgpr_flat_scratch_init 0
		.amdhsa_user_sgpr_private_segment_size 0
		.amdhsa_wavefront_size32 1
		.amdhsa_uses_dynamic_stack 0
		.amdhsa_system_sgpr_private_segment_wavefront_offset 0
		.amdhsa_system_sgpr_workgroup_id_x 1
		.amdhsa_system_sgpr_workgroup_id_y 0
		.amdhsa_system_sgpr_workgroup_id_z 0
		.amdhsa_system_sgpr_workgroup_info 0
		.amdhsa_system_vgpr_workitem_id 0
		.amdhsa_next_free_vgpr 1
		.amdhsa_next_free_sgpr 1
		.amdhsa_reserve_vcc 0
		.amdhsa_reserve_flat_scratch 0
		.amdhsa_float_round_mode_32 0
		.amdhsa_float_round_mode_16_64 0
		.amdhsa_float_denorm_mode_32 3
		.amdhsa_float_denorm_mode_16_64 3
		.amdhsa_dx10_clamp 1
		.amdhsa_ieee_mode 1
		.amdhsa_fp16_overflow 0
		.amdhsa_workgroup_processor_mode 1
		.amdhsa_memory_ordered 1
		.amdhsa_forward_progress 1
		.amdhsa_shared_vgpr_count 0
		.amdhsa_exception_fp_ieee_invalid_op 0
		.amdhsa_exception_fp_denorm_src 0
		.amdhsa_exception_fp_ieee_div_zero 0
		.amdhsa_exception_fp_ieee_overflow 0
		.amdhsa_exception_fp_ieee_underflow 0
		.amdhsa_exception_fp_ieee_inexact 0
		.amdhsa_exception_int_div_zero 0
	.end_amdhsa_kernel
	.section	.text._ZN7rocprim17ROCPRIM_400000_NS6detail17trampoline_kernelINS0_13kernel_configILj256ELj4ELj4294967295EEENS1_37radix_sort_block_sort_config_selectorIiNS0_10empty_typeEEEZNS1_21radix_sort_block_sortIS4_Lb0EN6thrust23THRUST_200600_302600_NS10device_ptrIiEESC_PS6_SD_NS0_19identity_decomposerEEE10hipError_tT1_T2_T3_T4_jRjT5_jjP12ihipStream_tbEUlT_E_NS1_11comp_targetILNS1_3genE2ELNS1_11target_archE906ELNS1_3gpuE6ELNS1_3repE0EEENS1_44radix_sort_block_sort_config_static_selectorELNS0_4arch9wavefront6targetE0EEEvSG_,"axG",@progbits,_ZN7rocprim17ROCPRIM_400000_NS6detail17trampoline_kernelINS0_13kernel_configILj256ELj4ELj4294967295EEENS1_37radix_sort_block_sort_config_selectorIiNS0_10empty_typeEEEZNS1_21radix_sort_block_sortIS4_Lb0EN6thrust23THRUST_200600_302600_NS10device_ptrIiEESC_PS6_SD_NS0_19identity_decomposerEEE10hipError_tT1_T2_T3_T4_jRjT5_jjP12ihipStream_tbEUlT_E_NS1_11comp_targetILNS1_3genE2ELNS1_11target_archE906ELNS1_3gpuE6ELNS1_3repE0EEENS1_44radix_sort_block_sort_config_static_selectorELNS0_4arch9wavefront6targetE0EEEvSG_,comdat
.Lfunc_end1098:
	.size	_ZN7rocprim17ROCPRIM_400000_NS6detail17trampoline_kernelINS0_13kernel_configILj256ELj4ELj4294967295EEENS1_37radix_sort_block_sort_config_selectorIiNS0_10empty_typeEEEZNS1_21radix_sort_block_sortIS4_Lb0EN6thrust23THRUST_200600_302600_NS10device_ptrIiEESC_PS6_SD_NS0_19identity_decomposerEEE10hipError_tT1_T2_T3_T4_jRjT5_jjP12ihipStream_tbEUlT_E_NS1_11comp_targetILNS1_3genE2ELNS1_11target_archE906ELNS1_3gpuE6ELNS1_3repE0EEENS1_44radix_sort_block_sort_config_static_selectorELNS0_4arch9wavefront6targetE0EEEvSG_, .Lfunc_end1098-_ZN7rocprim17ROCPRIM_400000_NS6detail17trampoline_kernelINS0_13kernel_configILj256ELj4ELj4294967295EEENS1_37radix_sort_block_sort_config_selectorIiNS0_10empty_typeEEEZNS1_21radix_sort_block_sortIS4_Lb0EN6thrust23THRUST_200600_302600_NS10device_ptrIiEESC_PS6_SD_NS0_19identity_decomposerEEE10hipError_tT1_T2_T3_T4_jRjT5_jjP12ihipStream_tbEUlT_E_NS1_11comp_targetILNS1_3genE2ELNS1_11target_archE906ELNS1_3gpuE6ELNS1_3repE0EEENS1_44radix_sort_block_sort_config_static_selectorELNS0_4arch9wavefront6targetE0EEEvSG_
                                        ; -- End function
	.set _ZN7rocprim17ROCPRIM_400000_NS6detail17trampoline_kernelINS0_13kernel_configILj256ELj4ELj4294967295EEENS1_37radix_sort_block_sort_config_selectorIiNS0_10empty_typeEEEZNS1_21radix_sort_block_sortIS4_Lb0EN6thrust23THRUST_200600_302600_NS10device_ptrIiEESC_PS6_SD_NS0_19identity_decomposerEEE10hipError_tT1_T2_T3_T4_jRjT5_jjP12ihipStream_tbEUlT_E_NS1_11comp_targetILNS1_3genE2ELNS1_11target_archE906ELNS1_3gpuE6ELNS1_3repE0EEENS1_44radix_sort_block_sort_config_static_selectorELNS0_4arch9wavefront6targetE0EEEvSG_.num_vgpr, 0
	.set _ZN7rocprim17ROCPRIM_400000_NS6detail17trampoline_kernelINS0_13kernel_configILj256ELj4ELj4294967295EEENS1_37radix_sort_block_sort_config_selectorIiNS0_10empty_typeEEEZNS1_21radix_sort_block_sortIS4_Lb0EN6thrust23THRUST_200600_302600_NS10device_ptrIiEESC_PS6_SD_NS0_19identity_decomposerEEE10hipError_tT1_T2_T3_T4_jRjT5_jjP12ihipStream_tbEUlT_E_NS1_11comp_targetILNS1_3genE2ELNS1_11target_archE906ELNS1_3gpuE6ELNS1_3repE0EEENS1_44radix_sort_block_sort_config_static_selectorELNS0_4arch9wavefront6targetE0EEEvSG_.num_agpr, 0
	.set _ZN7rocprim17ROCPRIM_400000_NS6detail17trampoline_kernelINS0_13kernel_configILj256ELj4ELj4294967295EEENS1_37radix_sort_block_sort_config_selectorIiNS0_10empty_typeEEEZNS1_21radix_sort_block_sortIS4_Lb0EN6thrust23THRUST_200600_302600_NS10device_ptrIiEESC_PS6_SD_NS0_19identity_decomposerEEE10hipError_tT1_T2_T3_T4_jRjT5_jjP12ihipStream_tbEUlT_E_NS1_11comp_targetILNS1_3genE2ELNS1_11target_archE906ELNS1_3gpuE6ELNS1_3repE0EEENS1_44radix_sort_block_sort_config_static_selectorELNS0_4arch9wavefront6targetE0EEEvSG_.numbered_sgpr, 0
	.set _ZN7rocprim17ROCPRIM_400000_NS6detail17trampoline_kernelINS0_13kernel_configILj256ELj4ELj4294967295EEENS1_37radix_sort_block_sort_config_selectorIiNS0_10empty_typeEEEZNS1_21radix_sort_block_sortIS4_Lb0EN6thrust23THRUST_200600_302600_NS10device_ptrIiEESC_PS6_SD_NS0_19identity_decomposerEEE10hipError_tT1_T2_T3_T4_jRjT5_jjP12ihipStream_tbEUlT_E_NS1_11comp_targetILNS1_3genE2ELNS1_11target_archE906ELNS1_3gpuE6ELNS1_3repE0EEENS1_44radix_sort_block_sort_config_static_selectorELNS0_4arch9wavefront6targetE0EEEvSG_.num_named_barrier, 0
	.set _ZN7rocprim17ROCPRIM_400000_NS6detail17trampoline_kernelINS0_13kernel_configILj256ELj4ELj4294967295EEENS1_37radix_sort_block_sort_config_selectorIiNS0_10empty_typeEEEZNS1_21radix_sort_block_sortIS4_Lb0EN6thrust23THRUST_200600_302600_NS10device_ptrIiEESC_PS6_SD_NS0_19identity_decomposerEEE10hipError_tT1_T2_T3_T4_jRjT5_jjP12ihipStream_tbEUlT_E_NS1_11comp_targetILNS1_3genE2ELNS1_11target_archE906ELNS1_3gpuE6ELNS1_3repE0EEENS1_44radix_sort_block_sort_config_static_selectorELNS0_4arch9wavefront6targetE0EEEvSG_.private_seg_size, 0
	.set _ZN7rocprim17ROCPRIM_400000_NS6detail17trampoline_kernelINS0_13kernel_configILj256ELj4ELj4294967295EEENS1_37radix_sort_block_sort_config_selectorIiNS0_10empty_typeEEEZNS1_21radix_sort_block_sortIS4_Lb0EN6thrust23THRUST_200600_302600_NS10device_ptrIiEESC_PS6_SD_NS0_19identity_decomposerEEE10hipError_tT1_T2_T3_T4_jRjT5_jjP12ihipStream_tbEUlT_E_NS1_11comp_targetILNS1_3genE2ELNS1_11target_archE906ELNS1_3gpuE6ELNS1_3repE0EEENS1_44radix_sort_block_sort_config_static_selectorELNS0_4arch9wavefront6targetE0EEEvSG_.uses_vcc, 0
	.set _ZN7rocprim17ROCPRIM_400000_NS6detail17trampoline_kernelINS0_13kernel_configILj256ELj4ELj4294967295EEENS1_37radix_sort_block_sort_config_selectorIiNS0_10empty_typeEEEZNS1_21radix_sort_block_sortIS4_Lb0EN6thrust23THRUST_200600_302600_NS10device_ptrIiEESC_PS6_SD_NS0_19identity_decomposerEEE10hipError_tT1_T2_T3_T4_jRjT5_jjP12ihipStream_tbEUlT_E_NS1_11comp_targetILNS1_3genE2ELNS1_11target_archE906ELNS1_3gpuE6ELNS1_3repE0EEENS1_44radix_sort_block_sort_config_static_selectorELNS0_4arch9wavefront6targetE0EEEvSG_.uses_flat_scratch, 0
	.set _ZN7rocprim17ROCPRIM_400000_NS6detail17trampoline_kernelINS0_13kernel_configILj256ELj4ELj4294967295EEENS1_37radix_sort_block_sort_config_selectorIiNS0_10empty_typeEEEZNS1_21radix_sort_block_sortIS4_Lb0EN6thrust23THRUST_200600_302600_NS10device_ptrIiEESC_PS6_SD_NS0_19identity_decomposerEEE10hipError_tT1_T2_T3_T4_jRjT5_jjP12ihipStream_tbEUlT_E_NS1_11comp_targetILNS1_3genE2ELNS1_11target_archE906ELNS1_3gpuE6ELNS1_3repE0EEENS1_44radix_sort_block_sort_config_static_selectorELNS0_4arch9wavefront6targetE0EEEvSG_.has_dyn_sized_stack, 0
	.set _ZN7rocprim17ROCPRIM_400000_NS6detail17trampoline_kernelINS0_13kernel_configILj256ELj4ELj4294967295EEENS1_37radix_sort_block_sort_config_selectorIiNS0_10empty_typeEEEZNS1_21radix_sort_block_sortIS4_Lb0EN6thrust23THRUST_200600_302600_NS10device_ptrIiEESC_PS6_SD_NS0_19identity_decomposerEEE10hipError_tT1_T2_T3_T4_jRjT5_jjP12ihipStream_tbEUlT_E_NS1_11comp_targetILNS1_3genE2ELNS1_11target_archE906ELNS1_3gpuE6ELNS1_3repE0EEENS1_44radix_sort_block_sort_config_static_selectorELNS0_4arch9wavefront6targetE0EEEvSG_.has_recursion, 0
	.set _ZN7rocprim17ROCPRIM_400000_NS6detail17trampoline_kernelINS0_13kernel_configILj256ELj4ELj4294967295EEENS1_37radix_sort_block_sort_config_selectorIiNS0_10empty_typeEEEZNS1_21radix_sort_block_sortIS4_Lb0EN6thrust23THRUST_200600_302600_NS10device_ptrIiEESC_PS6_SD_NS0_19identity_decomposerEEE10hipError_tT1_T2_T3_T4_jRjT5_jjP12ihipStream_tbEUlT_E_NS1_11comp_targetILNS1_3genE2ELNS1_11target_archE906ELNS1_3gpuE6ELNS1_3repE0EEENS1_44radix_sort_block_sort_config_static_selectorELNS0_4arch9wavefront6targetE0EEEvSG_.has_indirect_call, 0
	.section	.AMDGPU.csdata,"",@progbits
; Kernel info:
; codeLenInByte = 0
; TotalNumSgprs: 0
; NumVgprs: 0
; ScratchSize: 0
; MemoryBound: 0
; FloatMode: 240
; IeeeMode: 1
; LDSByteSize: 0 bytes/workgroup (compile time only)
; SGPRBlocks: 0
; VGPRBlocks: 0
; NumSGPRsForWavesPerEU: 1
; NumVGPRsForWavesPerEU: 1
; Occupancy: 16
; WaveLimiterHint : 0
; COMPUTE_PGM_RSRC2:SCRATCH_EN: 0
; COMPUTE_PGM_RSRC2:USER_SGPR: 6
; COMPUTE_PGM_RSRC2:TRAP_HANDLER: 0
; COMPUTE_PGM_RSRC2:TGID_X_EN: 1
; COMPUTE_PGM_RSRC2:TGID_Y_EN: 0
; COMPUTE_PGM_RSRC2:TGID_Z_EN: 0
; COMPUTE_PGM_RSRC2:TIDIG_COMP_CNT: 0
	.section	.text._ZN7rocprim17ROCPRIM_400000_NS6detail17trampoline_kernelINS0_13kernel_configILj256ELj4ELj4294967295EEENS1_37radix_sort_block_sort_config_selectorIiNS0_10empty_typeEEEZNS1_21radix_sort_block_sortIS4_Lb0EN6thrust23THRUST_200600_302600_NS10device_ptrIiEESC_PS6_SD_NS0_19identity_decomposerEEE10hipError_tT1_T2_T3_T4_jRjT5_jjP12ihipStream_tbEUlT_E_NS1_11comp_targetILNS1_3genE10ELNS1_11target_archE1201ELNS1_3gpuE5ELNS1_3repE0EEENS1_44radix_sort_block_sort_config_static_selectorELNS0_4arch9wavefront6targetE0EEEvSG_,"axG",@progbits,_ZN7rocprim17ROCPRIM_400000_NS6detail17trampoline_kernelINS0_13kernel_configILj256ELj4ELj4294967295EEENS1_37radix_sort_block_sort_config_selectorIiNS0_10empty_typeEEEZNS1_21radix_sort_block_sortIS4_Lb0EN6thrust23THRUST_200600_302600_NS10device_ptrIiEESC_PS6_SD_NS0_19identity_decomposerEEE10hipError_tT1_T2_T3_T4_jRjT5_jjP12ihipStream_tbEUlT_E_NS1_11comp_targetILNS1_3genE10ELNS1_11target_archE1201ELNS1_3gpuE5ELNS1_3repE0EEENS1_44radix_sort_block_sort_config_static_selectorELNS0_4arch9wavefront6targetE0EEEvSG_,comdat
	.protected	_ZN7rocprim17ROCPRIM_400000_NS6detail17trampoline_kernelINS0_13kernel_configILj256ELj4ELj4294967295EEENS1_37radix_sort_block_sort_config_selectorIiNS0_10empty_typeEEEZNS1_21radix_sort_block_sortIS4_Lb0EN6thrust23THRUST_200600_302600_NS10device_ptrIiEESC_PS6_SD_NS0_19identity_decomposerEEE10hipError_tT1_T2_T3_T4_jRjT5_jjP12ihipStream_tbEUlT_E_NS1_11comp_targetILNS1_3genE10ELNS1_11target_archE1201ELNS1_3gpuE5ELNS1_3repE0EEENS1_44radix_sort_block_sort_config_static_selectorELNS0_4arch9wavefront6targetE0EEEvSG_ ; -- Begin function _ZN7rocprim17ROCPRIM_400000_NS6detail17trampoline_kernelINS0_13kernel_configILj256ELj4ELj4294967295EEENS1_37radix_sort_block_sort_config_selectorIiNS0_10empty_typeEEEZNS1_21radix_sort_block_sortIS4_Lb0EN6thrust23THRUST_200600_302600_NS10device_ptrIiEESC_PS6_SD_NS0_19identity_decomposerEEE10hipError_tT1_T2_T3_T4_jRjT5_jjP12ihipStream_tbEUlT_E_NS1_11comp_targetILNS1_3genE10ELNS1_11target_archE1201ELNS1_3gpuE5ELNS1_3repE0EEENS1_44radix_sort_block_sort_config_static_selectorELNS0_4arch9wavefront6targetE0EEEvSG_
	.globl	_ZN7rocprim17ROCPRIM_400000_NS6detail17trampoline_kernelINS0_13kernel_configILj256ELj4ELj4294967295EEENS1_37radix_sort_block_sort_config_selectorIiNS0_10empty_typeEEEZNS1_21radix_sort_block_sortIS4_Lb0EN6thrust23THRUST_200600_302600_NS10device_ptrIiEESC_PS6_SD_NS0_19identity_decomposerEEE10hipError_tT1_T2_T3_T4_jRjT5_jjP12ihipStream_tbEUlT_E_NS1_11comp_targetILNS1_3genE10ELNS1_11target_archE1201ELNS1_3gpuE5ELNS1_3repE0EEENS1_44radix_sort_block_sort_config_static_selectorELNS0_4arch9wavefront6targetE0EEEvSG_
	.p2align	8
	.type	_ZN7rocprim17ROCPRIM_400000_NS6detail17trampoline_kernelINS0_13kernel_configILj256ELj4ELj4294967295EEENS1_37radix_sort_block_sort_config_selectorIiNS0_10empty_typeEEEZNS1_21radix_sort_block_sortIS4_Lb0EN6thrust23THRUST_200600_302600_NS10device_ptrIiEESC_PS6_SD_NS0_19identity_decomposerEEE10hipError_tT1_T2_T3_T4_jRjT5_jjP12ihipStream_tbEUlT_E_NS1_11comp_targetILNS1_3genE10ELNS1_11target_archE1201ELNS1_3gpuE5ELNS1_3repE0EEENS1_44radix_sort_block_sort_config_static_selectorELNS0_4arch9wavefront6targetE0EEEvSG_,@function
_ZN7rocprim17ROCPRIM_400000_NS6detail17trampoline_kernelINS0_13kernel_configILj256ELj4ELj4294967295EEENS1_37radix_sort_block_sort_config_selectorIiNS0_10empty_typeEEEZNS1_21radix_sort_block_sortIS4_Lb0EN6thrust23THRUST_200600_302600_NS10device_ptrIiEESC_PS6_SD_NS0_19identity_decomposerEEE10hipError_tT1_T2_T3_T4_jRjT5_jjP12ihipStream_tbEUlT_E_NS1_11comp_targetILNS1_3genE10ELNS1_11target_archE1201ELNS1_3gpuE5ELNS1_3repE0EEENS1_44radix_sort_block_sort_config_static_selectorELNS0_4arch9wavefront6targetE0EEEvSG_: ; @_ZN7rocprim17ROCPRIM_400000_NS6detail17trampoline_kernelINS0_13kernel_configILj256ELj4ELj4294967295EEENS1_37radix_sort_block_sort_config_selectorIiNS0_10empty_typeEEEZNS1_21radix_sort_block_sortIS4_Lb0EN6thrust23THRUST_200600_302600_NS10device_ptrIiEESC_PS6_SD_NS0_19identity_decomposerEEE10hipError_tT1_T2_T3_T4_jRjT5_jjP12ihipStream_tbEUlT_E_NS1_11comp_targetILNS1_3genE10ELNS1_11target_archE1201ELNS1_3gpuE5ELNS1_3repE0EEENS1_44radix_sort_block_sort_config_static_selectorELNS0_4arch9wavefront6targetE0EEEvSG_
; %bb.0:
	.section	.rodata,"a",@progbits
	.p2align	6, 0x0
	.amdhsa_kernel _ZN7rocprim17ROCPRIM_400000_NS6detail17trampoline_kernelINS0_13kernel_configILj256ELj4ELj4294967295EEENS1_37radix_sort_block_sort_config_selectorIiNS0_10empty_typeEEEZNS1_21radix_sort_block_sortIS4_Lb0EN6thrust23THRUST_200600_302600_NS10device_ptrIiEESC_PS6_SD_NS0_19identity_decomposerEEE10hipError_tT1_T2_T3_T4_jRjT5_jjP12ihipStream_tbEUlT_E_NS1_11comp_targetILNS1_3genE10ELNS1_11target_archE1201ELNS1_3gpuE5ELNS1_3repE0EEENS1_44radix_sort_block_sort_config_static_selectorELNS0_4arch9wavefront6targetE0EEEvSG_
		.amdhsa_group_segment_fixed_size 0
		.amdhsa_private_segment_fixed_size 0
		.amdhsa_kernarg_size 48
		.amdhsa_user_sgpr_count 6
		.amdhsa_user_sgpr_private_segment_buffer 1
		.amdhsa_user_sgpr_dispatch_ptr 0
		.amdhsa_user_sgpr_queue_ptr 0
		.amdhsa_user_sgpr_kernarg_segment_ptr 1
		.amdhsa_user_sgpr_dispatch_id 0
		.amdhsa_user_sgpr_flat_scratch_init 0
		.amdhsa_user_sgpr_private_segment_size 0
		.amdhsa_wavefront_size32 1
		.amdhsa_uses_dynamic_stack 0
		.amdhsa_system_sgpr_private_segment_wavefront_offset 0
		.amdhsa_system_sgpr_workgroup_id_x 1
		.amdhsa_system_sgpr_workgroup_id_y 0
		.amdhsa_system_sgpr_workgroup_id_z 0
		.amdhsa_system_sgpr_workgroup_info 0
		.amdhsa_system_vgpr_workitem_id 0
		.amdhsa_next_free_vgpr 1
		.amdhsa_next_free_sgpr 1
		.amdhsa_reserve_vcc 0
		.amdhsa_reserve_flat_scratch 0
		.amdhsa_float_round_mode_32 0
		.amdhsa_float_round_mode_16_64 0
		.amdhsa_float_denorm_mode_32 3
		.amdhsa_float_denorm_mode_16_64 3
		.amdhsa_dx10_clamp 1
		.amdhsa_ieee_mode 1
		.amdhsa_fp16_overflow 0
		.amdhsa_workgroup_processor_mode 1
		.amdhsa_memory_ordered 1
		.amdhsa_forward_progress 1
		.amdhsa_shared_vgpr_count 0
		.amdhsa_exception_fp_ieee_invalid_op 0
		.amdhsa_exception_fp_denorm_src 0
		.amdhsa_exception_fp_ieee_div_zero 0
		.amdhsa_exception_fp_ieee_overflow 0
		.amdhsa_exception_fp_ieee_underflow 0
		.amdhsa_exception_fp_ieee_inexact 0
		.amdhsa_exception_int_div_zero 0
	.end_amdhsa_kernel
	.section	.text._ZN7rocprim17ROCPRIM_400000_NS6detail17trampoline_kernelINS0_13kernel_configILj256ELj4ELj4294967295EEENS1_37radix_sort_block_sort_config_selectorIiNS0_10empty_typeEEEZNS1_21radix_sort_block_sortIS4_Lb0EN6thrust23THRUST_200600_302600_NS10device_ptrIiEESC_PS6_SD_NS0_19identity_decomposerEEE10hipError_tT1_T2_T3_T4_jRjT5_jjP12ihipStream_tbEUlT_E_NS1_11comp_targetILNS1_3genE10ELNS1_11target_archE1201ELNS1_3gpuE5ELNS1_3repE0EEENS1_44radix_sort_block_sort_config_static_selectorELNS0_4arch9wavefront6targetE0EEEvSG_,"axG",@progbits,_ZN7rocprim17ROCPRIM_400000_NS6detail17trampoline_kernelINS0_13kernel_configILj256ELj4ELj4294967295EEENS1_37radix_sort_block_sort_config_selectorIiNS0_10empty_typeEEEZNS1_21radix_sort_block_sortIS4_Lb0EN6thrust23THRUST_200600_302600_NS10device_ptrIiEESC_PS6_SD_NS0_19identity_decomposerEEE10hipError_tT1_T2_T3_T4_jRjT5_jjP12ihipStream_tbEUlT_E_NS1_11comp_targetILNS1_3genE10ELNS1_11target_archE1201ELNS1_3gpuE5ELNS1_3repE0EEENS1_44radix_sort_block_sort_config_static_selectorELNS0_4arch9wavefront6targetE0EEEvSG_,comdat
.Lfunc_end1099:
	.size	_ZN7rocprim17ROCPRIM_400000_NS6detail17trampoline_kernelINS0_13kernel_configILj256ELj4ELj4294967295EEENS1_37radix_sort_block_sort_config_selectorIiNS0_10empty_typeEEEZNS1_21radix_sort_block_sortIS4_Lb0EN6thrust23THRUST_200600_302600_NS10device_ptrIiEESC_PS6_SD_NS0_19identity_decomposerEEE10hipError_tT1_T2_T3_T4_jRjT5_jjP12ihipStream_tbEUlT_E_NS1_11comp_targetILNS1_3genE10ELNS1_11target_archE1201ELNS1_3gpuE5ELNS1_3repE0EEENS1_44radix_sort_block_sort_config_static_selectorELNS0_4arch9wavefront6targetE0EEEvSG_, .Lfunc_end1099-_ZN7rocprim17ROCPRIM_400000_NS6detail17trampoline_kernelINS0_13kernel_configILj256ELj4ELj4294967295EEENS1_37radix_sort_block_sort_config_selectorIiNS0_10empty_typeEEEZNS1_21radix_sort_block_sortIS4_Lb0EN6thrust23THRUST_200600_302600_NS10device_ptrIiEESC_PS6_SD_NS0_19identity_decomposerEEE10hipError_tT1_T2_T3_T4_jRjT5_jjP12ihipStream_tbEUlT_E_NS1_11comp_targetILNS1_3genE10ELNS1_11target_archE1201ELNS1_3gpuE5ELNS1_3repE0EEENS1_44radix_sort_block_sort_config_static_selectorELNS0_4arch9wavefront6targetE0EEEvSG_
                                        ; -- End function
	.set _ZN7rocprim17ROCPRIM_400000_NS6detail17trampoline_kernelINS0_13kernel_configILj256ELj4ELj4294967295EEENS1_37radix_sort_block_sort_config_selectorIiNS0_10empty_typeEEEZNS1_21radix_sort_block_sortIS4_Lb0EN6thrust23THRUST_200600_302600_NS10device_ptrIiEESC_PS6_SD_NS0_19identity_decomposerEEE10hipError_tT1_T2_T3_T4_jRjT5_jjP12ihipStream_tbEUlT_E_NS1_11comp_targetILNS1_3genE10ELNS1_11target_archE1201ELNS1_3gpuE5ELNS1_3repE0EEENS1_44radix_sort_block_sort_config_static_selectorELNS0_4arch9wavefront6targetE0EEEvSG_.num_vgpr, 0
	.set _ZN7rocprim17ROCPRIM_400000_NS6detail17trampoline_kernelINS0_13kernel_configILj256ELj4ELj4294967295EEENS1_37radix_sort_block_sort_config_selectorIiNS0_10empty_typeEEEZNS1_21radix_sort_block_sortIS4_Lb0EN6thrust23THRUST_200600_302600_NS10device_ptrIiEESC_PS6_SD_NS0_19identity_decomposerEEE10hipError_tT1_T2_T3_T4_jRjT5_jjP12ihipStream_tbEUlT_E_NS1_11comp_targetILNS1_3genE10ELNS1_11target_archE1201ELNS1_3gpuE5ELNS1_3repE0EEENS1_44radix_sort_block_sort_config_static_selectorELNS0_4arch9wavefront6targetE0EEEvSG_.num_agpr, 0
	.set _ZN7rocprim17ROCPRIM_400000_NS6detail17trampoline_kernelINS0_13kernel_configILj256ELj4ELj4294967295EEENS1_37radix_sort_block_sort_config_selectorIiNS0_10empty_typeEEEZNS1_21radix_sort_block_sortIS4_Lb0EN6thrust23THRUST_200600_302600_NS10device_ptrIiEESC_PS6_SD_NS0_19identity_decomposerEEE10hipError_tT1_T2_T3_T4_jRjT5_jjP12ihipStream_tbEUlT_E_NS1_11comp_targetILNS1_3genE10ELNS1_11target_archE1201ELNS1_3gpuE5ELNS1_3repE0EEENS1_44radix_sort_block_sort_config_static_selectorELNS0_4arch9wavefront6targetE0EEEvSG_.numbered_sgpr, 0
	.set _ZN7rocprim17ROCPRIM_400000_NS6detail17trampoline_kernelINS0_13kernel_configILj256ELj4ELj4294967295EEENS1_37radix_sort_block_sort_config_selectorIiNS0_10empty_typeEEEZNS1_21radix_sort_block_sortIS4_Lb0EN6thrust23THRUST_200600_302600_NS10device_ptrIiEESC_PS6_SD_NS0_19identity_decomposerEEE10hipError_tT1_T2_T3_T4_jRjT5_jjP12ihipStream_tbEUlT_E_NS1_11comp_targetILNS1_3genE10ELNS1_11target_archE1201ELNS1_3gpuE5ELNS1_3repE0EEENS1_44radix_sort_block_sort_config_static_selectorELNS0_4arch9wavefront6targetE0EEEvSG_.num_named_barrier, 0
	.set _ZN7rocprim17ROCPRIM_400000_NS6detail17trampoline_kernelINS0_13kernel_configILj256ELj4ELj4294967295EEENS1_37radix_sort_block_sort_config_selectorIiNS0_10empty_typeEEEZNS1_21radix_sort_block_sortIS4_Lb0EN6thrust23THRUST_200600_302600_NS10device_ptrIiEESC_PS6_SD_NS0_19identity_decomposerEEE10hipError_tT1_T2_T3_T4_jRjT5_jjP12ihipStream_tbEUlT_E_NS1_11comp_targetILNS1_3genE10ELNS1_11target_archE1201ELNS1_3gpuE5ELNS1_3repE0EEENS1_44radix_sort_block_sort_config_static_selectorELNS0_4arch9wavefront6targetE0EEEvSG_.private_seg_size, 0
	.set _ZN7rocprim17ROCPRIM_400000_NS6detail17trampoline_kernelINS0_13kernel_configILj256ELj4ELj4294967295EEENS1_37radix_sort_block_sort_config_selectorIiNS0_10empty_typeEEEZNS1_21radix_sort_block_sortIS4_Lb0EN6thrust23THRUST_200600_302600_NS10device_ptrIiEESC_PS6_SD_NS0_19identity_decomposerEEE10hipError_tT1_T2_T3_T4_jRjT5_jjP12ihipStream_tbEUlT_E_NS1_11comp_targetILNS1_3genE10ELNS1_11target_archE1201ELNS1_3gpuE5ELNS1_3repE0EEENS1_44radix_sort_block_sort_config_static_selectorELNS0_4arch9wavefront6targetE0EEEvSG_.uses_vcc, 0
	.set _ZN7rocprim17ROCPRIM_400000_NS6detail17trampoline_kernelINS0_13kernel_configILj256ELj4ELj4294967295EEENS1_37radix_sort_block_sort_config_selectorIiNS0_10empty_typeEEEZNS1_21radix_sort_block_sortIS4_Lb0EN6thrust23THRUST_200600_302600_NS10device_ptrIiEESC_PS6_SD_NS0_19identity_decomposerEEE10hipError_tT1_T2_T3_T4_jRjT5_jjP12ihipStream_tbEUlT_E_NS1_11comp_targetILNS1_3genE10ELNS1_11target_archE1201ELNS1_3gpuE5ELNS1_3repE0EEENS1_44radix_sort_block_sort_config_static_selectorELNS0_4arch9wavefront6targetE0EEEvSG_.uses_flat_scratch, 0
	.set _ZN7rocprim17ROCPRIM_400000_NS6detail17trampoline_kernelINS0_13kernel_configILj256ELj4ELj4294967295EEENS1_37radix_sort_block_sort_config_selectorIiNS0_10empty_typeEEEZNS1_21radix_sort_block_sortIS4_Lb0EN6thrust23THRUST_200600_302600_NS10device_ptrIiEESC_PS6_SD_NS0_19identity_decomposerEEE10hipError_tT1_T2_T3_T4_jRjT5_jjP12ihipStream_tbEUlT_E_NS1_11comp_targetILNS1_3genE10ELNS1_11target_archE1201ELNS1_3gpuE5ELNS1_3repE0EEENS1_44radix_sort_block_sort_config_static_selectorELNS0_4arch9wavefront6targetE0EEEvSG_.has_dyn_sized_stack, 0
	.set _ZN7rocprim17ROCPRIM_400000_NS6detail17trampoline_kernelINS0_13kernel_configILj256ELj4ELj4294967295EEENS1_37radix_sort_block_sort_config_selectorIiNS0_10empty_typeEEEZNS1_21radix_sort_block_sortIS4_Lb0EN6thrust23THRUST_200600_302600_NS10device_ptrIiEESC_PS6_SD_NS0_19identity_decomposerEEE10hipError_tT1_T2_T3_T4_jRjT5_jjP12ihipStream_tbEUlT_E_NS1_11comp_targetILNS1_3genE10ELNS1_11target_archE1201ELNS1_3gpuE5ELNS1_3repE0EEENS1_44radix_sort_block_sort_config_static_selectorELNS0_4arch9wavefront6targetE0EEEvSG_.has_recursion, 0
	.set _ZN7rocprim17ROCPRIM_400000_NS6detail17trampoline_kernelINS0_13kernel_configILj256ELj4ELj4294967295EEENS1_37radix_sort_block_sort_config_selectorIiNS0_10empty_typeEEEZNS1_21radix_sort_block_sortIS4_Lb0EN6thrust23THRUST_200600_302600_NS10device_ptrIiEESC_PS6_SD_NS0_19identity_decomposerEEE10hipError_tT1_T2_T3_T4_jRjT5_jjP12ihipStream_tbEUlT_E_NS1_11comp_targetILNS1_3genE10ELNS1_11target_archE1201ELNS1_3gpuE5ELNS1_3repE0EEENS1_44radix_sort_block_sort_config_static_selectorELNS0_4arch9wavefront6targetE0EEEvSG_.has_indirect_call, 0
	.section	.AMDGPU.csdata,"",@progbits
; Kernel info:
; codeLenInByte = 0
; TotalNumSgprs: 0
; NumVgprs: 0
; ScratchSize: 0
; MemoryBound: 0
; FloatMode: 240
; IeeeMode: 1
; LDSByteSize: 0 bytes/workgroup (compile time only)
; SGPRBlocks: 0
; VGPRBlocks: 0
; NumSGPRsForWavesPerEU: 1
; NumVGPRsForWavesPerEU: 1
; Occupancy: 16
; WaveLimiterHint : 0
; COMPUTE_PGM_RSRC2:SCRATCH_EN: 0
; COMPUTE_PGM_RSRC2:USER_SGPR: 6
; COMPUTE_PGM_RSRC2:TRAP_HANDLER: 0
; COMPUTE_PGM_RSRC2:TGID_X_EN: 1
; COMPUTE_PGM_RSRC2:TGID_Y_EN: 0
; COMPUTE_PGM_RSRC2:TGID_Z_EN: 0
; COMPUTE_PGM_RSRC2:TIDIG_COMP_CNT: 0
	.section	.text._ZN7rocprim17ROCPRIM_400000_NS6detail17trampoline_kernelINS0_13kernel_configILj256ELj4ELj4294967295EEENS1_37radix_sort_block_sort_config_selectorIiNS0_10empty_typeEEEZNS1_21radix_sort_block_sortIS4_Lb0EN6thrust23THRUST_200600_302600_NS10device_ptrIiEESC_PS6_SD_NS0_19identity_decomposerEEE10hipError_tT1_T2_T3_T4_jRjT5_jjP12ihipStream_tbEUlT_E_NS1_11comp_targetILNS1_3genE10ELNS1_11target_archE1200ELNS1_3gpuE4ELNS1_3repE0EEENS1_44radix_sort_block_sort_config_static_selectorELNS0_4arch9wavefront6targetE0EEEvSG_,"axG",@progbits,_ZN7rocprim17ROCPRIM_400000_NS6detail17trampoline_kernelINS0_13kernel_configILj256ELj4ELj4294967295EEENS1_37radix_sort_block_sort_config_selectorIiNS0_10empty_typeEEEZNS1_21radix_sort_block_sortIS4_Lb0EN6thrust23THRUST_200600_302600_NS10device_ptrIiEESC_PS6_SD_NS0_19identity_decomposerEEE10hipError_tT1_T2_T3_T4_jRjT5_jjP12ihipStream_tbEUlT_E_NS1_11comp_targetILNS1_3genE10ELNS1_11target_archE1200ELNS1_3gpuE4ELNS1_3repE0EEENS1_44radix_sort_block_sort_config_static_selectorELNS0_4arch9wavefront6targetE0EEEvSG_,comdat
	.protected	_ZN7rocprim17ROCPRIM_400000_NS6detail17trampoline_kernelINS0_13kernel_configILj256ELj4ELj4294967295EEENS1_37radix_sort_block_sort_config_selectorIiNS0_10empty_typeEEEZNS1_21radix_sort_block_sortIS4_Lb0EN6thrust23THRUST_200600_302600_NS10device_ptrIiEESC_PS6_SD_NS0_19identity_decomposerEEE10hipError_tT1_T2_T3_T4_jRjT5_jjP12ihipStream_tbEUlT_E_NS1_11comp_targetILNS1_3genE10ELNS1_11target_archE1200ELNS1_3gpuE4ELNS1_3repE0EEENS1_44radix_sort_block_sort_config_static_selectorELNS0_4arch9wavefront6targetE0EEEvSG_ ; -- Begin function _ZN7rocprim17ROCPRIM_400000_NS6detail17trampoline_kernelINS0_13kernel_configILj256ELj4ELj4294967295EEENS1_37radix_sort_block_sort_config_selectorIiNS0_10empty_typeEEEZNS1_21radix_sort_block_sortIS4_Lb0EN6thrust23THRUST_200600_302600_NS10device_ptrIiEESC_PS6_SD_NS0_19identity_decomposerEEE10hipError_tT1_T2_T3_T4_jRjT5_jjP12ihipStream_tbEUlT_E_NS1_11comp_targetILNS1_3genE10ELNS1_11target_archE1200ELNS1_3gpuE4ELNS1_3repE0EEENS1_44radix_sort_block_sort_config_static_selectorELNS0_4arch9wavefront6targetE0EEEvSG_
	.globl	_ZN7rocprim17ROCPRIM_400000_NS6detail17trampoline_kernelINS0_13kernel_configILj256ELj4ELj4294967295EEENS1_37radix_sort_block_sort_config_selectorIiNS0_10empty_typeEEEZNS1_21radix_sort_block_sortIS4_Lb0EN6thrust23THRUST_200600_302600_NS10device_ptrIiEESC_PS6_SD_NS0_19identity_decomposerEEE10hipError_tT1_T2_T3_T4_jRjT5_jjP12ihipStream_tbEUlT_E_NS1_11comp_targetILNS1_3genE10ELNS1_11target_archE1200ELNS1_3gpuE4ELNS1_3repE0EEENS1_44radix_sort_block_sort_config_static_selectorELNS0_4arch9wavefront6targetE0EEEvSG_
	.p2align	8
	.type	_ZN7rocprim17ROCPRIM_400000_NS6detail17trampoline_kernelINS0_13kernel_configILj256ELj4ELj4294967295EEENS1_37radix_sort_block_sort_config_selectorIiNS0_10empty_typeEEEZNS1_21radix_sort_block_sortIS4_Lb0EN6thrust23THRUST_200600_302600_NS10device_ptrIiEESC_PS6_SD_NS0_19identity_decomposerEEE10hipError_tT1_T2_T3_T4_jRjT5_jjP12ihipStream_tbEUlT_E_NS1_11comp_targetILNS1_3genE10ELNS1_11target_archE1200ELNS1_3gpuE4ELNS1_3repE0EEENS1_44radix_sort_block_sort_config_static_selectorELNS0_4arch9wavefront6targetE0EEEvSG_,@function
_ZN7rocprim17ROCPRIM_400000_NS6detail17trampoline_kernelINS0_13kernel_configILj256ELj4ELj4294967295EEENS1_37radix_sort_block_sort_config_selectorIiNS0_10empty_typeEEEZNS1_21radix_sort_block_sortIS4_Lb0EN6thrust23THRUST_200600_302600_NS10device_ptrIiEESC_PS6_SD_NS0_19identity_decomposerEEE10hipError_tT1_T2_T3_T4_jRjT5_jjP12ihipStream_tbEUlT_E_NS1_11comp_targetILNS1_3genE10ELNS1_11target_archE1200ELNS1_3gpuE4ELNS1_3repE0EEENS1_44radix_sort_block_sort_config_static_selectorELNS0_4arch9wavefront6targetE0EEEvSG_: ; @_ZN7rocprim17ROCPRIM_400000_NS6detail17trampoline_kernelINS0_13kernel_configILj256ELj4ELj4294967295EEENS1_37radix_sort_block_sort_config_selectorIiNS0_10empty_typeEEEZNS1_21radix_sort_block_sortIS4_Lb0EN6thrust23THRUST_200600_302600_NS10device_ptrIiEESC_PS6_SD_NS0_19identity_decomposerEEE10hipError_tT1_T2_T3_T4_jRjT5_jjP12ihipStream_tbEUlT_E_NS1_11comp_targetILNS1_3genE10ELNS1_11target_archE1200ELNS1_3gpuE4ELNS1_3repE0EEENS1_44radix_sort_block_sort_config_static_selectorELNS0_4arch9wavefront6targetE0EEEvSG_
; %bb.0:
	.section	.rodata,"a",@progbits
	.p2align	6, 0x0
	.amdhsa_kernel _ZN7rocprim17ROCPRIM_400000_NS6detail17trampoline_kernelINS0_13kernel_configILj256ELj4ELj4294967295EEENS1_37radix_sort_block_sort_config_selectorIiNS0_10empty_typeEEEZNS1_21radix_sort_block_sortIS4_Lb0EN6thrust23THRUST_200600_302600_NS10device_ptrIiEESC_PS6_SD_NS0_19identity_decomposerEEE10hipError_tT1_T2_T3_T4_jRjT5_jjP12ihipStream_tbEUlT_E_NS1_11comp_targetILNS1_3genE10ELNS1_11target_archE1200ELNS1_3gpuE4ELNS1_3repE0EEENS1_44radix_sort_block_sort_config_static_selectorELNS0_4arch9wavefront6targetE0EEEvSG_
		.amdhsa_group_segment_fixed_size 0
		.amdhsa_private_segment_fixed_size 0
		.amdhsa_kernarg_size 48
		.amdhsa_user_sgpr_count 6
		.amdhsa_user_sgpr_private_segment_buffer 1
		.amdhsa_user_sgpr_dispatch_ptr 0
		.amdhsa_user_sgpr_queue_ptr 0
		.amdhsa_user_sgpr_kernarg_segment_ptr 1
		.amdhsa_user_sgpr_dispatch_id 0
		.amdhsa_user_sgpr_flat_scratch_init 0
		.amdhsa_user_sgpr_private_segment_size 0
		.amdhsa_wavefront_size32 1
		.amdhsa_uses_dynamic_stack 0
		.amdhsa_system_sgpr_private_segment_wavefront_offset 0
		.amdhsa_system_sgpr_workgroup_id_x 1
		.amdhsa_system_sgpr_workgroup_id_y 0
		.amdhsa_system_sgpr_workgroup_id_z 0
		.amdhsa_system_sgpr_workgroup_info 0
		.amdhsa_system_vgpr_workitem_id 0
		.amdhsa_next_free_vgpr 1
		.amdhsa_next_free_sgpr 1
		.amdhsa_reserve_vcc 0
		.amdhsa_reserve_flat_scratch 0
		.amdhsa_float_round_mode_32 0
		.amdhsa_float_round_mode_16_64 0
		.amdhsa_float_denorm_mode_32 3
		.amdhsa_float_denorm_mode_16_64 3
		.amdhsa_dx10_clamp 1
		.amdhsa_ieee_mode 1
		.amdhsa_fp16_overflow 0
		.amdhsa_workgroup_processor_mode 1
		.amdhsa_memory_ordered 1
		.amdhsa_forward_progress 1
		.amdhsa_shared_vgpr_count 0
		.amdhsa_exception_fp_ieee_invalid_op 0
		.amdhsa_exception_fp_denorm_src 0
		.amdhsa_exception_fp_ieee_div_zero 0
		.amdhsa_exception_fp_ieee_overflow 0
		.amdhsa_exception_fp_ieee_underflow 0
		.amdhsa_exception_fp_ieee_inexact 0
		.amdhsa_exception_int_div_zero 0
	.end_amdhsa_kernel
	.section	.text._ZN7rocprim17ROCPRIM_400000_NS6detail17trampoline_kernelINS0_13kernel_configILj256ELj4ELj4294967295EEENS1_37radix_sort_block_sort_config_selectorIiNS0_10empty_typeEEEZNS1_21radix_sort_block_sortIS4_Lb0EN6thrust23THRUST_200600_302600_NS10device_ptrIiEESC_PS6_SD_NS0_19identity_decomposerEEE10hipError_tT1_T2_T3_T4_jRjT5_jjP12ihipStream_tbEUlT_E_NS1_11comp_targetILNS1_3genE10ELNS1_11target_archE1200ELNS1_3gpuE4ELNS1_3repE0EEENS1_44radix_sort_block_sort_config_static_selectorELNS0_4arch9wavefront6targetE0EEEvSG_,"axG",@progbits,_ZN7rocprim17ROCPRIM_400000_NS6detail17trampoline_kernelINS0_13kernel_configILj256ELj4ELj4294967295EEENS1_37radix_sort_block_sort_config_selectorIiNS0_10empty_typeEEEZNS1_21radix_sort_block_sortIS4_Lb0EN6thrust23THRUST_200600_302600_NS10device_ptrIiEESC_PS6_SD_NS0_19identity_decomposerEEE10hipError_tT1_T2_T3_T4_jRjT5_jjP12ihipStream_tbEUlT_E_NS1_11comp_targetILNS1_3genE10ELNS1_11target_archE1200ELNS1_3gpuE4ELNS1_3repE0EEENS1_44radix_sort_block_sort_config_static_selectorELNS0_4arch9wavefront6targetE0EEEvSG_,comdat
.Lfunc_end1100:
	.size	_ZN7rocprim17ROCPRIM_400000_NS6detail17trampoline_kernelINS0_13kernel_configILj256ELj4ELj4294967295EEENS1_37radix_sort_block_sort_config_selectorIiNS0_10empty_typeEEEZNS1_21radix_sort_block_sortIS4_Lb0EN6thrust23THRUST_200600_302600_NS10device_ptrIiEESC_PS6_SD_NS0_19identity_decomposerEEE10hipError_tT1_T2_T3_T4_jRjT5_jjP12ihipStream_tbEUlT_E_NS1_11comp_targetILNS1_3genE10ELNS1_11target_archE1200ELNS1_3gpuE4ELNS1_3repE0EEENS1_44radix_sort_block_sort_config_static_selectorELNS0_4arch9wavefront6targetE0EEEvSG_, .Lfunc_end1100-_ZN7rocprim17ROCPRIM_400000_NS6detail17trampoline_kernelINS0_13kernel_configILj256ELj4ELj4294967295EEENS1_37radix_sort_block_sort_config_selectorIiNS0_10empty_typeEEEZNS1_21radix_sort_block_sortIS4_Lb0EN6thrust23THRUST_200600_302600_NS10device_ptrIiEESC_PS6_SD_NS0_19identity_decomposerEEE10hipError_tT1_T2_T3_T4_jRjT5_jjP12ihipStream_tbEUlT_E_NS1_11comp_targetILNS1_3genE10ELNS1_11target_archE1200ELNS1_3gpuE4ELNS1_3repE0EEENS1_44radix_sort_block_sort_config_static_selectorELNS0_4arch9wavefront6targetE0EEEvSG_
                                        ; -- End function
	.set _ZN7rocprim17ROCPRIM_400000_NS6detail17trampoline_kernelINS0_13kernel_configILj256ELj4ELj4294967295EEENS1_37radix_sort_block_sort_config_selectorIiNS0_10empty_typeEEEZNS1_21radix_sort_block_sortIS4_Lb0EN6thrust23THRUST_200600_302600_NS10device_ptrIiEESC_PS6_SD_NS0_19identity_decomposerEEE10hipError_tT1_T2_T3_T4_jRjT5_jjP12ihipStream_tbEUlT_E_NS1_11comp_targetILNS1_3genE10ELNS1_11target_archE1200ELNS1_3gpuE4ELNS1_3repE0EEENS1_44radix_sort_block_sort_config_static_selectorELNS0_4arch9wavefront6targetE0EEEvSG_.num_vgpr, 0
	.set _ZN7rocprim17ROCPRIM_400000_NS6detail17trampoline_kernelINS0_13kernel_configILj256ELj4ELj4294967295EEENS1_37radix_sort_block_sort_config_selectorIiNS0_10empty_typeEEEZNS1_21radix_sort_block_sortIS4_Lb0EN6thrust23THRUST_200600_302600_NS10device_ptrIiEESC_PS6_SD_NS0_19identity_decomposerEEE10hipError_tT1_T2_T3_T4_jRjT5_jjP12ihipStream_tbEUlT_E_NS1_11comp_targetILNS1_3genE10ELNS1_11target_archE1200ELNS1_3gpuE4ELNS1_3repE0EEENS1_44radix_sort_block_sort_config_static_selectorELNS0_4arch9wavefront6targetE0EEEvSG_.num_agpr, 0
	.set _ZN7rocprim17ROCPRIM_400000_NS6detail17trampoline_kernelINS0_13kernel_configILj256ELj4ELj4294967295EEENS1_37radix_sort_block_sort_config_selectorIiNS0_10empty_typeEEEZNS1_21radix_sort_block_sortIS4_Lb0EN6thrust23THRUST_200600_302600_NS10device_ptrIiEESC_PS6_SD_NS0_19identity_decomposerEEE10hipError_tT1_T2_T3_T4_jRjT5_jjP12ihipStream_tbEUlT_E_NS1_11comp_targetILNS1_3genE10ELNS1_11target_archE1200ELNS1_3gpuE4ELNS1_3repE0EEENS1_44radix_sort_block_sort_config_static_selectorELNS0_4arch9wavefront6targetE0EEEvSG_.numbered_sgpr, 0
	.set _ZN7rocprim17ROCPRIM_400000_NS6detail17trampoline_kernelINS0_13kernel_configILj256ELj4ELj4294967295EEENS1_37radix_sort_block_sort_config_selectorIiNS0_10empty_typeEEEZNS1_21radix_sort_block_sortIS4_Lb0EN6thrust23THRUST_200600_302600_NS10device_ptrIiEESC_PS6_SD_NS0_19identity_decomposerEEE10hipError_tT1_T2_T3_T4_jRjT5_jjP12ihipStream_tbEUlT_E_NS1_11comp_targetILNS1_3genE10ELNS1_11target_archE1200ELNS1_3gpuE4ELNS1_3repE0EEENS1_44radix_sort_block_sort_config_static_selectorELNS0_4arch9wavefront6targetE0EEEvSG_.num_named_barrier, 0
	.set _ZN7rocprim17ROCPRIM_400000_NS6detail17trampoline_kernelINS0_13kernel_configILj256ELj4ELj4294967295EEENS1_37radix_sort_block_sort_config_selectorIiNS0_10empty_typeEEEZNS1_21radix_sort_block_sortIS4_Lb0EN6thrust23THRUST_200600_302600_NS10device_ptrIiEESC_PS6_SD_NS0_19identity_decomposerEEE10hipError_tT1_T2_T3_T4_jRjT5_jjP12ihipStream_tbEUlT_E_NS1_11comp_targetILNS1_3genE10ELNS1_11target_archE1200ELNS1_3gpuE4ELNS1_3repE0EEENS1_44radix_sort_block_sort_config_static_selectorELNS0_4arch9wavefront6targetE0EEEvSG_.private_seg_size, 0
	.set _ZN7rocprim17ROCPRIM_400000_NS6detail17trampoline_kernelINS0_13kernel_configILj256ELj4ELj4294967295EEENS1_37radix_sort_block_sort_config_selectorIiNS0_10empty_typeEEEZNS1_21radix_sort_block_sortIS4_Lb0EN6thrust23THRUST_200600_302600_NS10device_ptrIiEESC_PS6_SD_NS0_19identity_decomposerEEE10hipError_tT1_T2_T3_T4_jRjT5_jjP12ihipStream_tbEUlT_E_NS1_11comp_targetILNS1_3genE10ELNS1_11target_archE1200ELNS1_3gpuE4ELNS1_3repE0EEENS1_44radix_sort_block_sort_config_static_selectorELNS0_4arch9wavefront6targetE0EEEvSG_.uses_vcc, 0
	.set _ZN7rocprim17ROCPRIM_400000_NS6detail17trampoline_kernelINS0_13kernel_configILj256ELj4ELj4294967295EEENS1_37radix_sort_block_sort_config_selectorIiNS0_10empty_typeEEEZNS1_21radix_sort_block_sortIS4_Lb0EN6thrust23THRUST_200600_302600_NS10device_ptrIiEESC_PS6_SD_NS0_19identity_decomposerEEE10hipError_tT1_T2_T3_T4_jRjT5_jjP12ihipStream_tbEUlT_E_NS1_11comp_targetILNS1_3genE10ELNS1_11target_archE1200ELNS1_3gpuE4ELNS1_3repE0EEENS1_44radix_sort_block_sort_config_static_selectorELNS0_4arch9wavefront6targetE0EEEvSG_.uses_flat_scratch, 0
	.set _ZN7rocprim17ROCPRIM_400000_NS6detail17trampoline_kernelINS0_13kernel_configILj256ELj4ELj4294967295EEENS1_37radix_sort_block_sort_config_selectorIiNS0_10empty_typeEEEZNS1_21radix_sort_block_sortIS4_Lb0EN6thrust23THRUST_200600_302600_NS10device_ptrIiEESC_PS6_SD_NS0_19identity_decomposerEEE10hipError_tT1_T2_T3_T4_jRjT5_jjP12ihipStream_tbEUlT_E_NS1_11comp_targetILNS1_3genE10ELNS1_11target_archE1200ELNS1_3gpuE4ELNS1_3repE0EEENS1_44radix_sort_block_sort_config_static_selectorELNS0_4arch9wavefront6targetE0EEEvSG_.has_dyn_sized_stack, 0
	.set _ZN7rocprim17ROCPRIM_400000_NS6detail17trampoline_kernelINS0_13kernel_configILj256ELj4ELj4294967295EEENS1_37radix_sort_block_sort_config_selectorIiNS0_10empty_typeEEEZNS1_21radix_sort_block_sortIS4_Lb0EN6thrust23THRUST_200600_302600_NS10device_ptrIiEESC_PS6_SD_NS0_19identity_decomposerEEE10hipError_tT1_T2_T3_T4_jRjT5_jjP12ihipStream_tbEUlT_E_NS1_11comp_targetILNS1_3genE10ELNS1_11target_archE1200ELNS1_3gpuE4ELNS1_3repE0EEENS1_44radix_sort_block_sort_config_static_selectorELNS0_4arch9wavefront6targetE0EEEvSG_.has_recursion, 0
	.set _ZN7rocprim17ROCPRIM_400000_NS6detail17trampoline_kernelINS0_13kernel_configILj256ELj4ELj4294967295EEENS1_37radix_sort_block_sort_config_selectorIiNS0_10empty_typeEEEZNS1_21radix_sort_block_sortIS4_Lb0EN6thrust23THRUST_200600_302600_NS10device_ptrIiEESC_PS6_SD_NS0_19identity_decomposerEEE10hipError_tT1_T2_T3_T4_jRjT5_jjP12ihipStream_tbEUlT_E_NS1_11comp_targetILNS1_3genE10ELNS1_11target_archE1200ELNS1_3gpuE4ELNS1_3repE0EEENS1_44radix_sort_block_sort_config_static_selectorELNS0_4arch9wavefront6targetE0EEEvSG_.has_indirect_call, 0
	.section	.AMDGPU.csdata,"",@progbits
; Kernel info:
; codeLenInByte = 0
; TotalNumSgprs: 0
; NumVgprs: 0
; ScratchSize: 0
; MemoryBound: 0
; FloatMode: 240
; IeeeMode: 1
; LDSByteSize: 0 bytes/workgroup (compile time only)
; SGPRBlocks: 0
; VGPRBlocks: 0
; NumSGPRsForWavesPerEU: 1
; NumVGPRsForWavesPerEU: 1
; Occupancy: 16
; WaveLimiterHint : 0
; COMPUTE_PGM_RSRC2:SCRATCH_EN: 0
; COMPUTE_PGM_RSRC2:USER_SGPR: 6
; COMPUTE_PGM_RSRC2:TRAP_HANDLER: 0
; COMPUTE_PGM_RSRC2:TGID_X_EN: 1
; COMPUTE_PGM_RSRC2:TGID_Y_EN: 0
; COMPUTE_PGM_RSRC2:TGID_Z_EN: 0
; COMPUTE_PGM_RSRC2:TIDIG_COMP_CNT: 0
	.section	.text._ZN7rocprim17ROCPRIM_400000_NS6detail17trampoline_kernelINS0_13kernel_configILj256ELj4ELj4294967295EEENS1_37radix_sort_block_sort_config_selectorIiNS0_10empty_typeEEEZNS1_21radix_sort_block_sortIS4_Lb0EN6thrust23THRUST_200600_302600_NS10device_ptrIiEESC_PS6_SD_NS0_19identity_decomposerEEE10hipError_tT1_T2_T3_T4_jRjT5_jjP12ihipStream_tbEUlT_E_NS1_11comp_targetILNS1_3genE9ELNS1_11target_archE1100ELNS1_3gpuE3ELNS1_3repE0EEENS1_44radix_sort_block_sort_config_static_selectorELNS0_4arch9wavefront6targetE0EEEvSG_,"axG",@progbits,_ZN7rocprim17ROCPRIM_400000_NS6detail17trampoline_kernelINS0_13kernel_configILj256ELj4ELj4294967295EEENS1_37radix_sort_block_sort_config_selectorIiNS0_10empty_typeEEEZNS1_21radix_sort_block_sortIS4_Lb0EN6thrust23THRUST_200600_302600_NS10device_ptrIiEESC_PS6_SD_NS0_19identity_decomposerEEE10hipError_tT1_T2_T3_T4_jRjT5_jjP12ihipStream_tbEUlT_E_NS1_11comp_targetILNS1_3genE9ELNS1_11target_archE1100ELNS1_3gpuE3ELNS1_3repE0EEENS1_44radix_sort_block_sort_config_static_selectorELNS0_4arch9wavefront6targetE0EEEvSG_,comdat
	.protected	_ZN7rocprim17ROCPRIM_400000_NS6detail17trampoline_kernelINS0_13kernel_configILj256ELj4ELj4294967295EEENS1_37radix_sort_block_sort_config_selectorIiNS0_10empty_typeEEEZNS1_21radix_sort_block_sortIS4_Lb0EN6thrust23THRUST_200600_302600_NS10device_ptrIiEESC_PS6_SD_NS0_19identity_decomposerEEE10hipError_tT1_T2_T3_T4_jRjT5_jjP12ihipStream_tbEUlT_E_NS1_11comp_targetILNS1_3genE9ELNS1_11target_archE1100ELNS1_3gpuE3ELNS1_3repE0EEENS1_44radix_sort_block_sort_config_static_selectorELNS0_4arch9wavefront6targetE0EEEvSG_ ; -- Begin function _ZN7rocprim17ROCPRIM_400000_NS6detail17trampoline_kernelINS0_13kernel_configILj256ELj4ELj4294967295EEENS1_37radix_sort_block_sort_config_selectorIiNS0_10empty_typeEEEZNS1_21radix_sort_block_sortIS4_Lb0EN6thrust23THRUST_200600_302600_NS10device_ptrIiEESC_PS6_SD_NS0_19identity_decomposerEEE10hipError_tT1_T2_T3_T4_jRjT5_jjP12ihipStream_tbEUlT_E_NS1_11comp_targetILNS1_3genE9ELNS1_11target_archE1100ELNS1_3gpuE3ELNS1_3repE0EEENS1_44radix_sort_block_sort_config_static_selectorELNS0_4arch9wavefront6targetE0EEEvSG_
	.globl	_ZN7rocprim17ROCPRIM_400000_NS6detail17trampoline_kernelINS0_13kernel_configILj256ELj4ELj4294967295EEENS1_37radix_sort_block_sort_config_selectorIiNS0_10empty_typeEEEZNS1_21radix_sort_block_sortIS4_Lb0EN6thrust23THRUST_200600_302600_NS10device_ptrIiEESC_PS6_SD_NS0_19identity_decomposerEEE10hipError_tT1_T2_T3_T4_jRjT5_jjP12ihipStream_tbEUlT_E_NS1_11comp_targetILNS1_3genE9ELNS1_11target_archE1100ELNS1_3gpuE3ELNS1_3repE0EEENS1_44radix_sort_block_sort_config_static_selectorELNS0_4arch9wavefront6targetE0EEEvSG_
	.p2align	8
	.type	_ZN7rocprim17ROCPRIM_400000_NS6detail17trampoline_kernelINS0_13kernel_configILj256ELj4ELj4294967295EEENS1_37radix_sort_block_sort_config_selectorIiNS0_10empty_typeEEEZNS1_21radix_sort_block_sortIS4_Lb0EN6thrust23THRUST_200600_302600_NS10device_ptrIiEESC_PS6_SD_NS0_19identity_decomposerEEE10hipError_tT1_T2_T3_T4_jRjT5_jjP12ihipStream_tbEUlT_E_NS1_11comp_targetILNS1_3genE9ELNS1_11target_archE1100ELNS1_3gpuE3ELNS1_3repE0EEENS1_44radix_sort_block_sort_config_static_selectorELNS0_4arch9wavefront6targetE0EEEvSG_,@function
_ZN7rocprim17ROCPRIM_400000_NS6detail17trampoline_kernelINS0_13kernel_configILj256ELj4ELj4294967295EEENS1_37radix_sort_block_sort_config_selectorIiNS0_10empty_typeEEEZNS1_21radix_sort_block_sortIS4_Lb0EN6thrust23THRUST_200600_302600_NS10device_ptrIiEESC_PS6_SD_NS0_19identity_decomposerEEE10hipError_tT1_T2_T3_T4_jRjT5_jjP12ihipStream_tbEUlT_E_NS1_11comp_targetILNS1_3genE9ELNS1_11target_archE1100ELNS1_3gpuE3ELNS1_3repE0EEENS1_44radix_sort_block_sort_config_static_selectorELNS0_4arch9wavefront6targetE0EEEvSG_: ; @_ZN7rocprim17ROCPRIM_400000_NS6detail17trampoline_kernelINS0_13kernel_configILj256ELj4ELj4294967295EEENS1_37radix_sort_block_sort_config_selectorIiNS0_10empty_typeEEEZNS1_21radix_sort_block_sortIS4_Lb0EN6thrust23THRUST_200600_302600_NS10device_ptrIiEESC_PS6_SD_NS0_19identity_decomposerEEE10hipError_tT1_T2_T3_T4_jRjT5_jjP12ihipStream_tbEUlT_E_NS1_11comp_targetILNS1_3genE9ELNS1_11target_archE1100ELNS1_3gpuE3ELNS1_3repE0EEENS1_44radix_sort_block_sort_config_static_selectorELNS0_4arch9wavefront6targetE0EEEvSG_
; %bb.0:
	.section	.rodata,"a",@progbits
	.p2align	6, 0x0
	.amdhsa_kernel _ZN7rocprim17ROCPRIM_400000_NS6detail17trampoline_kernelINS0_13kernel_configILj256ELj4ELj4294967295EEENS1_37radix_sort_block_sort_config_selectorIiNS0_10empty_typeEEEZNS1_21radix_sort_block_sortIS4_Lb0EN6thrust23THRUST_200600_302600_NS10device_ptrIiEESC_PS6_SD_NS0_19identity_decomposerEEE10hipError_tT1_T2_T3_T4_jRjT5_jjP12ihipStream_tbEUlT_E_NS1_11comp_targetILNS1_3genE9ELNS1_11target_archE1100ELNS1_3gpuE3ELNS1_3repE0EEENS1_44radix_sort_block_sort_config_static_selectorELNS0_4arch9wavefront6targetE0EEEvSG_
		.amdhsa_group_segment_fixed_size 0
		.amdhsa_private_segment_fixed_size 0
		.amdhsa_kernarg_size 48
		.amdhsa_user_sgpr_count 6
		.amdhsa_user_sgpr_private_segment_buffer 1
		.amdhsa_user_sgpr_dispatch_ptr 0
		.amdhsa_user_sgpr_queue_ptr 0
		.amdhsa_user_sgpr_kernarg_segment_ptr 1
		.amdhsa_user_sgpr_dispatch_id 0
		.amdhsa_user_sgpr_flat_scratch_init 0
		.amdhsa_user_sgpr_private_segment_size 0
		.amdhsa_wavefront_size32 1
		.amdhsa_uses_dynamic_stack 0
		.amdhsa_system_sgpr_private_segment_wavefront_offset 0
		.amdhsa_system_sgpr_workgroup_id_x 1
		.amdhsa_system_sgpr_workgroup_id_y 0
		.amdhsa_system_sgpr_workgroup_id_z 0
		.amdhsa_system_sgpr_workgroup_info 0
		.amdhsa_system_vgpr_workitem_id 0
		.amdhsa_next_free_vgpr 1
		.amdhsa_next_free_sgpr 1
		.amdhsa_reserve_vcc 0
		.amdhsa_reserve_flat_scratch 0
		.amdhsa_float_round_mode_32 0
		.amdhsa_float_round_mode_16_64 0
		.amdhsa_float_denorm_mode_32 3
		.amdhsa_float_denorm_mode_16_64 3
		.amdhsa_dx10_clamp 1
		.amdhsa_ieee_mode 1
		.amdhsa_fp16_overflow 0
		.amdhsa_workgroup_processor_mode 1
		.amdhsa_memory_ordered 1
		.amdhsa_forward_progress 1
		.amdhsa_shared_vgpr_count 0
		.amdhsa_exception_fp_ieee_invalid_op 0
		.amdhsa_exception_fp_denorm_src 0
		.amdhsa_exception_fp_ieee_div_zero 0
		.amdhsa_exception_fp_ieee_overflow 0
		.amdhsa_exception_fp_ieee_underflow 0
		.amdhsa_exception_fp_ieee_inexact 0
		.amdhsa_exception_int_div_zero 0
	.end_amdhsa_kernel
	.section	.text._ZN7rocprim17ROCPRIM_400000_NS6detail17trampoline_kernelINS0_13kernel_configILj256ELj4ELj4294967295EEENS1_37radix_sort_block_sort_config_selectorIiNS0_10empty_typeEEEZNS1_21radix_sort_block_sortIS4_Lb0EN6thrust23THRUST_200600_302600_NS10device_ptrIiEESC_PS6_SD_NS0_19identity_decomposerEEE10hipError_tT1_T2_T3_T4_jRjT5_jjP12ihipStream_tbEUlT_E_NS1_11comp_targetILNS1_3genE9ELNS1_11target_archE1100ELNS1_3gpuE3ELNS1_3repE0EEENS1_44radix_sort_block_sort_config_static_selectorELNS0_4arch9wavefront6targetE0EEEvSG_,"axG",@progbits,_ZN7rocprim17ROCPRIM_400000_NS6detail17trampoline_kernelINS0_13kernel_configILj256ELj4ELj4294967295EEENS1_37radix_sort_block_sort_config_selectorIiNS0_10empty_typeEEEZNS1_21radix_sort_block_sortIS4_Lb0EN6thrust23THRUST_200600_302600_NS10device_ptrIiEESC_PS6_SD_NS0_19identity_decomposerEEE10hipError_tT1_T2_T3_T4_jRjT5_jjP12ihipStream_tbEUlT_E_NS1_11comp_targetILNS1_3genE9ELNS1_11target_archE1100ELNS1_3gpuE3ELNS1_3repE0EEENS1_44radix_sort_block_sort_config_static_selectorELNS0_4arch9wavefront6targetE0EEEvSG_,comdat
.Lfunc_end1101:
	.size	_ZN7rocprim17ROCPRIM_400000_NS6detail17trampoline_kernelINS0_13kernel_configILj256ELj4ELj4294967295EEENS1_37radix_sort_block_sort_config_selectorIiNS0_10empty_typeEEEZNS1_21radix_sort_block_sortIS4_Lb0EN6thrust23THRUST_200600_302600_NS10device_ptrIiEESC_PS6_SD_NS0_19identity_decomposerEEE10hipError_tT1_T2_T3_T4_jRjT5_jjP12ihipStream_tbEUlT_E_NS1_11comp_targetILNS1_3genE9ELNS1_11target_archE1100ELNS1_3gpuE3ELNS1_3repE0EEENS1_44radix_sort_block_sort_config_static_selectorELNS0_4arch9wavefront6targetE0EEEvSG_, .Lfunc_end1101-_ZN7rocprim17ROCPRIM_400000_NS6detail17trampoline_kernelINS0_13kernel_configILj256ELj4ELj4294967295EEENS1_37radix_sort_block_sort_config_selectorIiNS0_10empty_typeEEEZNS1_21radix_sort_block_sortIS4_Lb0EN6thrust23THRUST_200600_302600_NS10device_ptrIiEESC_PS6_SD_NS0_19identity_decomposerEEE10hipError_tT1_T2_T3_T4_jRjT5_jjP12ihipStream_tbEUlT_E_NS1_11comp_targetILNS1_3genE9ELNS1_11target_archE1100ELNS1_3gpuE3ELNS1_3repE0EEENS1_44radix_sort_block_sort_config_static_selectorELNS0_4arch9wavefront6targetE0EEEvSG_
                                        ; -- End function
	.set _ZN7rocprim17ROCPRIM_400000_NS6detail17trampoline_kernelINS0_13kernel_configILj256ELj4ELj4294967295EEENS1_37radix_sort_block_sort_config_selectorIiNS0_10empty_typeEEEZNS1_21radix_sort_block_sortIS4_Lb0EN6thrust23THRUST_200600_302600_NS10device_ptrIiEESC_PS6_SD_NS0_19identity_decomposerEEE10hipError_tT1_T2_T3_T4_jRjT5_jjP12ihipStream_tbEUlT_E_NS1_11comp_targetILNS1_3genE9ELNS1_11target_archE1100ELNS1_3gpuE3ELNS1_3repE0EEENS1_44radix_sort_block_sort_config_static_selectorELNS0_4arch9wavefront6targetE0EEEvSG_.num_vgpr, 0
	.set _ZN7rocprim17ROCPRIM_400000_NS6detail17trampoline_kernelINS0_13kernel_configILj256ELj4ELj4294967295EEENS1_37radix_sort_block_sort_config_selectorIiNS0_10empty_typeEEEZNS1_21radix_sort_block_sortIS4_Lb0EN6thrust23THRUST_200600_302600_NS10device_ptrIiEESC_PS6_SD_NS0_19identity_decomposerEEE10hipError_tT1_T2_T3_T4_jRjT5_jjP12ihipStream_tbEUlT_E_NS1_11comp_targetILNS1_3genE9ELNS1_11target_archE1100ELNS1_3gpuE3ELNS1_3repE0EEENS1_44radix_sort_block_sort_config_static_selectorELNS0_4arch9wavefront6targetE0EEEvSG_.num_agpr, 0
	.set _ZN7rocprim17ROCPRIM_400000_NS6detail17trampoline_kernelINS0_13kernel_configILj256ELj4ELj4294967295EEENS1_37radix_sort_block_sort_config_selectorIiNS0_10empty_typeEEEZNS1_21radix_sort_block_sortIS4_Lb0EN6thrust23THRUST_200600_302600_NS10device_ptrIiEESC_PS6_SD_NS0_19identity_decomposerEEE10hipError_tT1_T2_T3_T4_jRjT5_jjP12ihipStream_tbEUlT_E_NS1_11comp_targetILNS1_3genE9ELNS1_11target_archE1100ELNS1_3gpuE3ELNS1_3repE0EEENS1_44radix_sort_block_sort_config_static_selectorELNS0_4arch9wavefront6targetE0EEEvSG_.numbered_sgpr, 0
	.set _ZN7rocprim17ROCPRIM_400000_NS6detail17trampoline_kernelINS0_13kernel_configILj256ELj4ELj4294967295EEENS1_37radix_sort_block_sort_config_selectorIiNS0_10empty_typeEEEZNS1_21radix_sort_block_sortIS4_Lb0EN6thrust23THRUST_200600_302600_NS10device_ptrIiEESC_PS6_SD_NS0_19identity_decomposerEEE10hipError_tT1_T2_T3_T4_jRjT5_jjP12ihipStream_tbEUlT_E_NS1_11comp_targetILNS1_3genE9ELNS1_11target_archE1100ELNS1_3gpuE3ELNS1_3repE0EEENS1_44radix_sort_block_sort_config_static_selectorELNS0_4arch9wavefront6targetE0EEEvSG_.num_named_barrier, 0
	.set _ZN7rocprim17ROCPRIM_400000_NS6detail17trampoline_kernelINS0_13kernel_configILj256ELj4ELj4294967295EEENS1_37radix_sort_block_sort_config_selectorIiNS0_10empty_typeEEEZNS1_21radix_sort_block_sortIS4_Lb0EN6thrust23THRUST_200600_302600_NS10device_ptrIiEESC_PS6_SD_NS0_19identity_decomposerEEE10hipError_tT1_T2_T3_T4_jRjT5_jjP12ihipStream_tbEUlT_E_NS1_11comp_targetILNS1_3genE9ELNS1_11target_archE1100ELNS1_3gpuE3ELNS1_3repE0EEENS1_44radix_sort_block_sort_config_static_selectorELNS0_4arch9wavefront6targetE0EEEvSG_.private_seg_size, 0
	.set _ZN7rocprim17ROCPRIM_400000_NS6detail17trampoline_kernelINS0_13kernel_configILj256ELj4ELj4294967295EEENS1_37radix_sort_block_sort_config_selectorIiNS0_10empty_typeEEEZNS1_21radix_sort_block_sortIS4_Lb0EN6thrust23THRUST_200600_302600_NS10device_ptrIiEESC_PS6_SD_NS0_19identity_decomposerEEE10hipError_tT1_T2_T3_T4_jRjT5_jjP12ihipStream_tbEUlT_E_NS1_11comp_targetILNS1_3genE9ELNS1_11target_archE1100ELNS1_3gpuE3ELNS1_3repE0EEENS1_44radix_sort_block_sort_config_static_selectorELNS0_4arch9wavefront6targetE0EEEvSG_.uses_vcc, 0
	.set _ZN7rocprim17ROCPRIM_400000_NS6detail17trampoline_kernelINS0_13kernel_configILj256ELj4ELj4294967295EEENS1_37radix_sort_block_sort_config_selectorIiNS0_10empty_typeEEEZNS1_21radix_sort_block_sortIS4_Lb0EN6thrust23THRUST_200600_302600_NS10device_ptrIiEESC_PS6_SD_NS0_19identity_decomposerEEE10hipError_tT1_T2_T3_T4_jRjT5_jjP12ihipStream_tbEUlT_E_NS1_11comp_targetILNS1_3genE9ELNS1_11target_archE1100ELNS1_3gpuE3ELNS1_3repE0EEENS1_44radix_sort_block_sort_config_static_selectorELNS0_4arch9wavefront6targetE0EEEvSG_.uses_flat_scratch, 0
	.set _ZN7rocprim17ROCPRIM_400000_NS6detail17trampoline_kernelINS0_13kernel_configILj256ELj4ELj4294967295EEENS1_37radix_sort_block_sort_config_selectorIiNS0_10empty_typeEEEZNS1_21radix_sort_block_sortIS4_Lb0EN6thrust23THRUST_200600_302600_NS10device_ptrIiEESC_PS6_SD_NS0_19identity_decomposerEEE10hipError_tT1_T2_T3_T4_jRjT5_jjP12ihipStream_tbEUlT_E_NS1_11comp_targetILNS1_3genE9ELNS1_11target_archE1100ELNS1_3gpuE3ELNS1_3repE0EEENS1_44radix_sort_block_sort_config_static_selectorELNS0_4arch9wavefront6targetE0EEEvSG_.has_dyn_sized_stack, 0
	.set _ZN7rocprim17ROCPRIM_400000_NS6detail17trampoline_kernelINS0_13kernel_configILj256ELj4ELj4294967295EEENS1_37radix_sort_block_sort_config_selectorIiNS0_10empty_typeEEEZNS1_21radix_sort_block_sortIS4_Lb0EN6thrust23THRUST_200600_302600_NS10device_ptrIiEESC_PS6_SD_NS0_19identity_decomposerEEE10hipError_tT1_T2_T3_T4_jRjT5_jjP12ihipStream_tbEUlT_E_NS1_11comp_targetILNS1_3genE9ELNS1_11target_archE1100ELNS1_3gpuE3ELNS1_3repE0EEENS1_44radix_sort_block_sort_config_static_selectorELNS0_4arch9wavefront6targetE0EEEvSG_.has_recursion, 0
	.set _ZN7rocprim17ROCPRIM_400000_NS6detail17trampoline_kernelINS0_13kernel_configILj256ELj4ELj4294967295EEENS1_37radix_sort_block_sort_config_selectorIiNS0_10empty_typeEEEZNS1_21radix_sort_block_sortIS4_Lb0EN6thrust23THRUST_200600_302600_NS10device_ptrIiEESC_PS6_SD_NS0_19identity_decomposerEEE10hipError_tT1_T2_T3_T4_jRjT5_jjP12ihipStream_tbEUlT_E_NS1_11comp_targetILNS1_3genE9ELNS1_11target_archE1100ELNS1_3gpuE3ELNS1_3repE0EEENS1_44radix_sort_block_sort_config_static_selectorELNS0_4arch9wavefront6targetE0EEEvSG_.has_indirect_call, 0
	.section	.AMDGPU.csdata,"",@progbits
; Kernel info:
; codeLenInByte = 0
; TotalNumSgprs: 0
; NumVgprs: 0
; ScratchSize: 0
; MemoryBound: 0
; FloatMode: 240
; IeeeMode: 1
; LDSByteSize: 0 bytes/workgroup (compile time only)
; SGPRBlocks: 0
; VGPRBlocks: 0
; NumSGPRsForWavesPerEU: 1
; NumVGPRsForWavesPerEU: 1
; Occupancy: 16
; WaveLimiterHint : 0
; COMPUTE_PGM_RSRC2:SCRATCH_EN: 0
; COMPUTE_PGM_RSRC2:USER_SGPR: 6
; COMPUTE_PGM_RSRC2:TRAP_HANDLER: 0
; COMPUTE_PGM_RSRC2:TGID_X_EN: 1
; COMPUTE_PGM_RSRC2:TGID_Y_EN: 0
; COMPUTE_PGM_RSRC2:TGID_Z_EN: 0
; COMPUTE_PGM_RSRC2:TIDIG_COMP_CNT: 0
	.section	.text._ZN7rocprim17ROCPRIM_400000_NS6detail17trampoline_kernelINS0_13kernel_configILj256ELj4ELj4294967295EEENS1_37radix_sort_block_sort_config_selectorIiNS0_10empty_typeEEEZNS1_21radix_sort_block_sortIS4_Lb0EN6thrust23THRUST_200600_302600_NS10device_ptrIiEESC_PS6_SD_NS0_19identity_decomposerEEE10hipError_tT1_T2_T3_T4_jRjT5_jjP12ihipStream_tbEUlT_E_NS1_11comp_targetILNS1_3genE8ELNS1_11target_archE1030ELNS1_3gpuE2ELNS1_3repE0EEENS1_44radix_sort_block_sort_config_static_selectorELNS0_4arch9wavefront6targetE0EEEvSG_,"axG",@progbits,_ZN7rocprim17ROCPRIM_400000_NS6detail17trampoline_kernelINS0_13kernel_configILj256ELj4ELj4294967295EEENS1_37radix_sort_block_sort_config_selectorIiNS0_10empty_typeEEEZNS1_21radix_sort_block_sortIS4_Lb0EN6thrust23THRUST_200600_302600_NS10device_ptrIiEESC_PS6_SD_NS0_19identity_decomposerEEE10hipError_tT1_T2_T3_T4_jRjT5_jjP12ihipStream_tbEUlT_E_NS1_11comp_targetILNS1_3genE8ELNS1_11target_archE1030ELNS1_3gpuE2ELNS1_3repE0EEENS1_44radix_sort_block_sort_config_static_selectorELNS0_4arch9wavefront6targetE0EEEvSG_,comdat
	.protected	_ZN7rocprim17ROCPRIM_400000_NS6detail17trampoline_kernelINS0_13kernel_configILj256ELj4ELj4294967295EEENS1_37radix_sort_block_sort_config_selectorIiNS0_10empty_typeEEEZNS1_21radix_sort_block_sortIS4_Lb0EN6thrust23THRUST_200600_302600_NS10device_ptrIiEESC_PS6_SD_NS0_19identity_decomposerEEE10hipError_tT1_T2_T3_T4_jRjT5_jjP12ihipStream_tbEUlT_E_NS1_11comp_targetILNS1_3genE8ELNS1_11target_archE1030ELNS1_3gpuE2ELNS1_3repE0EEENS1_44radix_sort_block_sort_config_static_selectorELNS0_4arch9wavefront6targetE0EEEvSG_ ; -- Begin function _ZN7rocprim17ROCPRIM_400000_NS6detail17trampoline_kernelINS0_13kernel_configILj256ELj4ELj4294967295EEENS1_37radix_sort_block_sort_config_selectorIiNS0_10empty_typeEEEZNS1_21radix_sort_block_sortIS4_Lb0EN6thrust23THRUST_200600_302600_NS10device_ptrIiEESC_PS6_SD_NS0_19identity_decomposerEEE10hipError_tT1_T2_T3_T4_jRjT5_jjP12ihipStream_tbEUlT_E_NS1_11comp_targetILNS1_3genE8ELNS1_11target_archE1030ELNS1_3gpuE2ELNS1_3repE0EEENS1_44radix_sort_block_sort_config_static_selectorELNS0_4arch9wavefront6targetE0EEEvSG_
	.globl	_ZN7rocprim17ROCPRIM_400000_NS6detail17trampoline_kernelINS0_13kernel_configILj256ELj4ELj4294967295EEENS1_37radix_sort_block_sort_config_selectorIiNS0_10empty_typeEEEZNS1_21radix_sort_block_sortIS4_Lb0EN6thrust23THRUST_200600_302600_NS10device_ptrIiEESC_PS6_SD_NS0_19identity_decomposerEEE10hipError_tT1_T2_T3_T4_jRjT5_jjP12ihipStream_tbEUlT_E_NS1_11comp_targetILNS1_3genE8ELNS1_11target_archE1030ELNS1_3gpuE2ELNS1_3repE0EEENS1_44radix_sort_block_sort_config_static_selectorELNS0_4arch9wavefront6targetE0EEEvSG_
	.p2align	8
	.type	_ZN7rocprim17ROCPRIM_400000_NS6detail17trampoline_kernelINS0_13kernel_configILj256ELj4ELj4294967295EEENS1_37radix_sort_block_sort_config_selectorIiNS0_10empty_typeEEEZNS1_21radix_sort_block_sortIS4_Lb0EN6thrust23THRUST_200600_302600_NS10device_ptrIiEESC_PS6_SD_NS0_19identity_decomposerEEE10hipError_tT1_T2_T3_T4_jRjT5_jjP12ihipStream_tbEUlT_E_NS1_11comp_targetILNS1_3genE8ELNS1_11target_archE1030ELNS1_3gpuE2ELNS1_3repE0EEENS1_44radix_sort_block_sort_config_static_selectorELNS0_4arch9wavefront6targetE0EEEvSG_,@function
_ZN7rocprim17ROCPRIM_400000_NS6detail17trampoline_kernelINS0_13kernel_configILj256ELj4ELj4294967295EEENS1_37radix_sort_block_sort_config_selectorIiNS0_10empty_typeEEEZNS1_21radix_sort_block_sortIS4_Lb0EN6thrust23THRUST_200600_302600_NS10device_ptrIiEESC_PS6_SD_NS0_19identity_decomposerEEE10hipError_tT1_T2_T3_T4_jRjT5_jjP12ihipStream_tbEUlT_E_NS1_11comp_targetILNS1_3genE8ELNS1_11target_archE1030ELNS1_3gpuE2ELNS1_3repE0EEENS1_44radix_sort_block_sort_config_static_selectorELNS0_4arch9wavefront6targetE0EEEvSG_: ; @_ZN7rocprim17ROCPRIM_400000_NS6detail17trampoline_kernelINS0_13kernel_configILj256ELj4ELj4294967295EEENS1_37radix_sort_block_sort_config_selectorIiNS0_10empty_typeEEEZNS1_21radix_sort_block_sortIS4_Lb0EN6thrust23THRUST_200600_302600_NS10device_ptrIiEESC_PS6_SD_NS0_19identity_decomposerEEE10hipError_tT1_T2_T3_T4_jRjT5_jjP12ihipStream_tbEUlT_E_NS1_11comp_targetILNS1_3genE8ELNS1_11target_archE1030ELNS1_3gpuE2ELNS1_3repE0EEENS1_44radix_sort_block_sort_config_static_selectorELNS0_4arch9wavefront6targetE0EEEvSG_
; %bb.0:
	s_clause 0x1
	s_load_dword s2, s[4:5], 0x20
	s_load_dwordx4 s[12:15], s[4:5], 0x0
	v_lshlrev_b32_e32 v13, 2, v0
	v_mbcnt_lo_u32_b32 v9, -1, 0
	s_lshl_b32 s0, s6, 10
	s_mov_b32 s1, 0
	v_and_b32_e32 v11, 0x380, v13
	v_lshlrev_b32_e32 v3, 2, v9
	v_lshlrev_b32_e32 v10, 2, v11
	s_waitcnt lgkmcnt(0)
	s_lshr_b32 s3, s2, 10
	s_cmp_lg_u32 s6, s3
	s_cselect_b32 s21, -1, 0
	s_lshl_b64 s[16:17], s[0:1], 2
	s_add_u32 s7, s12, s16
	s_addc_u32 s8, s13, s17
	v_add_co_u32 v3, s7, s7, v3
	v_add_co_ci_u32_e64 v4, null, s8, 0, s7
	s_cmp_eq_u32 s6, s3
	v_add_co_u32 v7, vcc_lo, v3, v10
	v_add_co_ci_u32_e64 v8, null, 0, v4, vcc_lo
	s_mov_b32 s3, -1
                                        ; implicit-def: $vgpr3_vgpr4_vgpr5_vgpr6
	s_cbranch_scc0 .LBB1102_24
; %bb.1:
	s_load_dwordx2 s[18:19], s[4:5], 0x28
	s_andn2_b32 vcc_lo, exec_lo, s3
	s_sub_i32 s20, s2, s0
	s_cbranch_vccz .LBB1102_25
.LBB1102_2:
	s_and_saveexec_b32 s0, s1
	s_cbranch_execz .LBB1102_4
.LBB1102_3:
	global_load_dword v6, v[7:8], off offset:384
.LBB1102_4:
	s_or_b32 exec_lo, exec_lo, s0
	s_load_dword s7, s[4:5], 0x3c
	s_getpc_b64 s[4:5]
	s_add_u32 s4, s4, _ZN7rocprim17ROCPRIM_400000_NS16block_radix_sortIiLj256ELj4ENS0_10empty_typeELj1ELj1ELj0ELNS0_26block_radix_rank_algorithmE1ELNS0_18block_padding_hintE2ELNS0_4arch9wavefront6targetE0EE19radix_bits_per_passE@rel32@lo+4
	s_addc_u32 s5, s5, _ZN7rocprim17ROCPRIM_400000_NS16block_radix_sortIiLj256ELj4ENS0_10empty_typeELj1ELj1ELj0ELNS0_26block_radix_rank_algorithmE1ELNS0_18block_padding_hintE2ELNS0_4arch9wavefront6targetE0EE19radix_bits_per_passE@rel32@hi+12
	v_sub_co_u32 v12, s2, v9, 1
	s_load_dword s22, s[4:5], 0x0
	v_lshrrev_b32_e32 v15, 3, v0
	v_or_b32_e32 v11, 31, v0
	v_cmp_gt_i32_e32 vcc_lo, 0, v12
	v_lshlrev_b32_e32 v14, 5, v0
	v_and_b32_e32 v7, 15, v9
	s_mov_b32 s24, 0
	v_and_b32_e32 v8, 16, v9
	v_mul_i32_i24_e32 v16, 0xffffffe4, v0
	v_and_b32_e32 v17, 7, v9
	v_and_b32_e32 v15, 28, v15
	s_mov_b32 s26, s24
	s_mov_b32 s25, s24
	s_mov_b32 s27, s24
	v_cmp_eq_u32_e64 s9, v0, v11
	v_lshl_add_u32 v20, v9, 2, v10
	s_waitcnt lgkmcnt(0)
	s_lshr_b32 s5, s7, 16
	s_and_b32 s7, s7, 0xffff
	v_mad_u32_u24 v1, v2, s5, v1
	s_waitcnt vmcnt(2)
	v_xor_b32_e32 v3, 0x80000000, v3
	s_waitcnt vmcnt(0)
	v_xor_b32_e32 v4, 0x80000000, v4
	v_xor_b32_e32 v5, 0x80000000, v5
	;; [unrolled: 1-line block ×3, first 2 shown]
	v_mad_u64_u32 v[1:2], null, v1, s7, v[0:1]
	v_cndmask_b32_e32 v2, v12, v9, vcc_lo
	v_mov_b32_e32 v9, s24
	v_mov_b32_e32 v11, s26
	v_cmp_gt_u32_e64 s0, 8, v0
	v_cmp_lt_u32_e64 s1, 31, v0
	v_cmp_eq_u32_e64 s3, 0, v0
	v_lshrrev_b32_e32 v1, 3, v1
	v_cmp_eq_u32_e64 s4, 0, v7
	v_cmp_lt_u32_e64 s5, 1, v7
	v_cmp_lt_u32_e64 s6, 3, v7
	;; [unrolled: 1-line block ×3, first 2 shown]
	v_cmp_eq_u32_e64 s8, 0, v8
	v_cmp_eq_u32_e64 s10, 0, v17
	v_cmp_lt_u32_e64 s11, 1, v17
	v_cmp_lt_u32_e64 s12, 3, v17
	v_lshlrev_b32_e32 v17, 2, v2
	v_add_nc_u32_e32 v18, -4, v15
	v_and_b32_e32 v19, 0x1ffffffc, v1
	v_mov_b32_e32 v10, s25
	v_mov_b32_e32 v12, s27
	v_add_nc_u32_e32 v16, v14, v16
	s_add_i32 s23, s19, s18
	s_branch .LBB1102_6
.LBB1102_5:                             ;   in Loop: Header=BB1102_6 Depth=1
	s_andn2_b32 vcc_lo, exec_lo, s24
	s_mov_b32 s19, s13
	s_cbranch_vccz .LBB1102_22
.LBB1102_6:                             ; =>This Inner Loop Header: Depth=1
	v_mov_b32_e32 v21, v3
	s_min_u32 s13, s22, s19
	ds_write2_b64 v14, v[9:10], v[11:12] offset0:4 offset1:5
	ds_write2_b64 v14, v[9:10], v[11:12] offset0:6 offset1:7
	s_lshl_b32 s13, -1, s13
	s_waitcnt lgkmcnt(0)
	v_lshrrev_b32_e32 v1, s18, v21
	s_not_b32 s24, s13
	s_barrier
	buffer_gl0_inv
	v_and_b32_e32 v2, s24, v1
	; wave barrier
	v_and_b32_e32 v1, 1, v2
	v_lshlrev_b32_e32 v3, 30, v2
	v_lshlrev_b32_e32 v7, 29, v2
	;; [unrolled: 1-line block ×4, first 2 shown]
	v_add_co_u32 v1, s13, v1, -1
	v_cndmask_b32_e64 v22, 0, 1, s13
	v_not_b32_e32 v26, v3
	v_cmp_gt_i32_e64 s13, 0, v3
	v_not_b32_e32 v3, v7
	v_lshlrev_b32_e32 v24, 26, v2
	v_cmp_ne_u32_e32 vcc_lo, 0, v22
	v_ashrrev_i32_e32 v26, 31, v26
	v_lshlrev_b32_e32 v25, 25, v2
	v_ashrrev_i32_e32 v3, 31, v3
	v_lshlrev_b32_e32 v22, 24, v2
	v_xor_b32_e32 v1, vcc_lo, v1
	v_cmp_gt_i32_e32 vcc_lo, 0, v7
	v_not_b32_e32 v7, v8
	v_xor_b32_e32 v26, s13, v26
	v_cmp_gt_i32_e64 s13, 0, v8
	v_and_b32_e32 v1, exec_lo, v1
	v_not_b32_e32 v8, v23
	v_ashrrev_i32_e32 v7, 31, v7
	v_xor_b32_e32 v3, vcc_lo, v3
	v_cmp_gt_i32_e32 vcc_lo, 0, v23
	v_and_b32_e32 v1, v1, v26
	v_not_b32_e32 v23, v24
	v_ashrrev_i32_e32 v8, 31, v8
	v_xor_b32_e32 v7, s13, v7
	v_cmp_gt_i32_e64 s13, 0, v24
	v_and_b32_e32 v1, v1, v3
	v_not_b32_e32 v3, v25
	v_ashrrev_i32_e32 v23, 31, v23
	v_xor_b32_e32 v8, vcc_lo, v8
	v_cmp_gt_i32_e32 vcc_lo, 0, v25
	v_and_b32_e32 v1, v1, v7
	v_not_b32_e32 v7, v22
	v_ashrrev_i32_e32 v3, 31, v3
	v_xor_b32_e32 v23, s13, v23
	v_cmp_gt_i32_e64 s13, 0, v22
	v_and_b32_e32 v1, v1, v8
	v_ashrrev_i32_e32 v7, 31, v7
	v_xor_b32_e32 v3, vcc_lo, v3
	v_lshlrev_b32_e32 v2, 5, v2
	v_mov_b32_e32 v22, v6
	v_and_b32_e32 v1, v1, v23
	v_xor_b32_e32 v7, s13, v7
	v_mov_b32_e32 v23, v5
	v_mov_b32_e32 v24, v4
	v_add_nc_u32_e32 v26, v19, v2
	v_and_b32_e32 v1, v1, v3
	v_and_b32_e32 v1, v1, v7
	v_mbcnt_lo_u32_b32 v25, v1, 0
	v_cmp_ne_u32_e64 s13, 0, v1
	v_cmp_eq_u32_e32 vcc_lo, 0, v25
	s_and_b32 s25, s13, vcc_lo
	s_and_saveexec_b32 s13, s25
; %bb.7:                                ;   in Loop: Header=BB1102_6 Depth=1
	v_bcnt_u32_b32 v1, v1, 0
	ds_write_b32 v26, v1 offset:32
; %bb.8:                                ;   in Loop: Header=BB1102_6 Depth=1
	s_or_b32 exec_lo, exec_lo, s13
	v_lshrrev_b32_e32 v1, s18, v24
	; wave barrier
	v_and_b32_e32 v1, s24, v1
	v_and_b32_e32 v2, 1, v1
	v_lshlrev_b32_e32 v3, 30, v1
	v_lshlrev_b32_e32 v4, 29, v1
	v_lshlrev_b32_e32 v5, 28, v1
	v_lshlrev_b32_e32 v7, 27, v1
	v_add_co_u32 v2, s13, v2, -1
	v_cndmask_b32_e64 v6, 0, 1, s13
	v_not_b32_e32 v28, v3
	v_cmp_gt_i32_e64 s13, 0, v3
	v_not_b32_e32 v3, v4
	v_lshlrev_b32_e32 v8, 26, v1
	v_cmp_ne_u32_e32 vcc_lo, 0, v6
	v_ashrrev_i32_e32 v28, 31, v28
	v_lshlrev_b32_e32 v27, 25, v1
	v_ashrrev_i32_e32 v3, 31, v3
	v_lshlrev_b32_e32 v6, 24, v1
	v_xor_b32_e32 v2, vcc_lo, v2
	v_cmp_gt_i32_e32 vcc_lo, 0, v4
	v_not_b32_e32 v4, v5
	v_xor_b32_e32 v28, s13, v28
	v_cmp_gt_i32_e64 s13, 0, v5
	v_and_b32_e32 v2, exec_lo, v2
	v_not_b32_e32 v5, v7
	v_ashrrev_i32_e32 v4, 31, v4
	v_xor_b32_e32 v3, vcc_lo, v3
	v_cmp_gt_i32_e32 vcc_lo, 0, v7
	v_and_b32_e32 v2, v2, v28
	v_not_b32_e32 v7, v8
	v_ashrrev_i32_e32 v5, 31, v5
	v_xor_b32_e32 v4, s13, v4
	v_cmp_gt_i32_e64 s13, 0, v8
	v_and_b32_e32 v2, v2, v3
	v_not_b32_e32 v3, v27
	v_ashrrev_i32_e32 v7, 31, v7
	v_xor_b32_e32 v5, vcc_lo, v5
	v_cmp_gt_i32_e32 vcc_lo, 0, v27
	v_and_b32_e32 v2, v2, v4
	v_not_b32_e32 v4, v6
	v_ashrrev_i32_e32 v3, 31, v3
	v_xor_b32_e32 v7, s13, v7
	v_lshlrev_b32_e32 v1, 5, v1
	v_and_b32_e32 v2, v2, v5
	v_cmp_gt_i32_e64 s13, 0, v6
	v_ashrrev_i32_e32 v4, 31, v4
	v_xor_b32_e32 v3, vcc_lo, v3
	v_add_nc_u32_e32 v28, v19, v1
	v_and_b32_e32 v2, v2, v7
	v_xor_b32_e32 v1, s13, v4
	ds_read_b32 v27, v28 offset:32
	v_and_b32_e32 v2, v2, v3
	; wave barrier
	v_and_b32_e32 v1, v2, v1
	v_mbcnt_lo_u32_b32 v29, v1, 0
	v_cmp_ne_u32_e64 s13, 0, v1
	v_cmp_eq_u32_e32 vcc_lo, 0, v29
	s_and_b32 s25, s13, vcc_lo
	s_and_saveexec_b32 s13, s25
	s_cbranch_execz .LBB1102_10
; %bb.9:                                ;   in Loop: Header=BB1102_6 Depth=1
	s_waitcnt lgkmcnt(0)
	v_bcnt_u32_b32 v1, v1, v27
	ds_write_b32 v28, v1 offset:32
.LBB1102_10:                            ;   in Loop: Header=BB1102_6 Depth=1
	s_or_b32 exec_lo, exec_lo, s13
	v_lshrrev_b32_e32 v1, s18, v23
	; wave barrier
	v_and_b32_e32 v1, s24, v1
	v_and_b32_e32 v2, 1, v1
	v_lshlrev_b32_e32 v3, 30, v1
	v_lshlrev_b32_e32 v4, 29, v1
	;; [unrolled: 1-line block ×4, first 2 shown]
	v_add_co_u32 v2, s13, v2, -1
	v_cndmask_b32_e64 v6, 0, 1, s13
	v_not_b32_e32 v31, v3
	v_cmp_gt_i32_e64 s13, 0, v3
	v_not_b32_e32 v3, v4
	v_lshlrev_b32_e32 v8, 26, v1
	v_cmp_ne_u32_e32 vcc_lo, 0, v6
	v_ashrrev_i32_e32 v31, 31, v31
	v_lshlrev_b32_e32 v30, 25, v1
	v_ashrrev_i32_e32 v3, 31, v3
	v_lshlrev_b32_e32 v6, 24, v1
	v_xor_b32_e32 v2, vcc_lo, v2
	v_cmp_gt_i32_e32 vcc_lo, 0, v4
	v_not_b32_e32 v4, v5
	v_xor_b32_e32 v31, s13, v31
	v_cmp_gt_i32_e64 s13, 0, v5
	v_and_b32_e32 v2, exec_lo, v2
	v_not_b32_e32 v5, v7
	v_ashrrev_i32_e32 v4, 31, v4
	v_xor_b32_e32 v3, vcc_lo, v3
	v_cmp_gt_i32_e32 vcc_lo, 0, v7
	v_and_b32_e32 v2, v2, v31
	v_not_b32_e32 v7, v8
	v_ashrrev_i32_e32 v5, 31, v5
	v_xor_b32_e32 v4, s13, v4
	v_cmp_gt_i32_e64 s13, 0, v8
	v_and_b32_e32 v2, v2, v3
	v_not_b32_e32 v3, v30
	v_ashrrev_i32_e32 v7, 31, v7
	v_xor_b32_e32 v5, vcc_lo, v5
	v_cmp_gt_i32_e32 vcc_lo, 0, v30
	v_and_b32_e32 v2, v2, v4
	v_not_b32_e32 v4, v6
	v_ashrrev_i32_e32 v3, 31, v3
	v_xor_b32_e32 v7, s13, v7
	v_lshlrev_b32_e32 v1, 5, v1
	v_and_b32_e32 v2, v2, v5
	v_cmp_gt_i32_e64 s13, 0, v6
	v_ashrrev_i32_e32 v4, 31, v4
	v_xor_b32_e32 v3, vcc_lo, v3
	v_add_nc_u32_e32 v32, v19, v1
	v_and_b32_e32 v2, v2, v7
	v_xor_b32_e32 v1, s13, v4
	ds_read_b32 v30, v32 offset:32
	v_and_b32_e32 v2, v2, v3
	; wave barrier
	v_and_b32_e32 v1, v2, v1
	v_mbcnt_lo_u32_b32 v31, v1, 0
	v_cmp_ne_u32_e64 s13, 0, v1
	v_cmp_eq_u32_e32 vcc_lo, 0, v31
	s_and_b32 s25, s13, vcc_lo
	s_and_saveexec_b32 s13, s25
	s_cbranch_execz .LBB1102_12
; %bb.11:                               ;   in Loop: Header=BB1102_6 Depth=1
	s_waitcnt lgkmcnt(0)
	v_bcnt_u32_b32 v1, v1, v30
	ds_write_b32 v32, v1 offset:32
.LBB1102_12:                            ;   in Loop: Header=BB1102_6 Depth=1
	s_or_b32 exec_lo, exec_lo, s13
	v_lshrrev_b32_e32 v1, s18, v22
	; wave barrier
	v_and_b32_e32 v1, s24, v1
	v_and_b32_e32 v2, 1, v1
	v_lshlrev_b32_e32 v3, 30, v1
	v_lshlrev_b32_e32 v4, 29, v1
	;; [unrolled: 1-line block ×4, first 2 shown]
	v_add_co_u32 v2, s13, v2, -1
	v_cndmask_b32_e64 v6, 0, 1, s13
	v_not_b32_e32 v34, v3
	v_cmp_gt_i32_e64 s13, 0, v3
	v_not_b32_e32 v3, v4
	v_lshlrev_b32_e32 v8, 26, v1
	v_cmp_ne_u32_e32 vcc_lo, 0, v6
	v_ashrrev_i32_e32 v34, 31, v34
	v_lshlrev_b32_e32 v33, 25, v1
	v_ashrrev_i32_e32 v3, 31, v3
	v_lshlrev_b32_e32 v6, 24, v1
	v_xor_b32_e32 v2, vcc_lo, v2
	v_cmp_gt_i32_e32 vcc_lo, 0, v4
	v_not_b32_e32 v4, v5
	v_xor_b32_e32 v34, s13, v34
	v_cmp_gt_i32_e64 s13, 0, v5
	v_and_b32_e32 v2, exec_lo, v2
	v_not_b32_e32 v5, v7
	v_ashrrev_i32_e32 v4, 31, v4
	v_xor_b32_e32 v3, vcc_lo, v3
	v_cmp_gt_i32_e32 vcc_lo, 0, v7
	v_and_b32_e32 v2, v2, v34
	v_not_b32_e32 v7, v8
	v_ashrrev_i32_e32 v5, 31, v5
	v_xor_b32_e32 v4, s13, v4
	v_cmp_gt_i32_e64 s13, 0, v8
	v_and_b32_e32 v2, v2, v3
	v_not_b32_e32 v3, v33
	v_ashrrev_i32_e32 v7, 31, v7
	v_xor_b32_e32 v5, vcc_lo, v5
	v_cmp_gt_i32_e32 vcc_lo, 0, v33
	v_and_b32_e32 v2, v2, v4
	v_not_b32_e32 v4, v6
	v_ashrrev_i32_e32 v3, 31, v3
	v_xor_b32_e32 v7, s13, v7
	v_lshlrev_b32_e32 v1, 5, v1
	v_and_b32_e32 v2, v2, v5
	v_cmp_gt_i32_e64 s13, 0, v6
	v_ashrrev_i32_e32 v4, 31, v4
	v_xor_b32_e32 v3, vcc_lo, v3
	v_add_nc_u32_e32 v35, v19, v1
	v_and_b32_e32 v2, v2, v7
	v_xor_b32_e32 v1, s13, v4
	ds_read_b32 v33, v35 offset:32
	v_and_b32_e32 v2, v2, v3
	; wave barrier
	v_and_b32_e32 v1, v2, v1
	v_mbcnt_lo_u32_b32 v34, v1, 0
	v_cmp_ne_u32_e64 s13, 0, v1
	v_cmp_eq_u32_e32 vcc_lo, 0, v34
	s_and_b32 s24, s13, vcc_lo
	s_and_saveexec_b32 s13, s24
	s_cbranch_execz .LBB1102_14
; %bb.13:                               ;   in Loop: Header=BB1102_6 Depth=1
	s_waitcnt lgkmcnt(0)
	v_bcnt_u32_b32 v1, v1, v33
	ds_write_b32 v35, v1 offset:32
.LBB1102_14:                            ;   in Loop: Header=BB1102_6 Depth=1
	s_or_b32 exec_lo, exec_lo, s13
	; wave barrier
	s_waitcnt lgkmcnt(0)
	s_barrier
	buffer_gl0_inv
	ds_read2_b64 v[5:8], v14 offset0:4 offset1:5
	ds_read2_b64 v[1:4], v14 offset0:6 offset1:7
	s_waitcnt lgkmcnt(1)
	v_add_nc_u32_e32 v36, v6, v5
	v_add3_u32 v36, v36, v7, v8
	s_waitcnt lgkmcnt(0)
	v_add3_u32 v36, v36, v1, v2
	v_add3_u32 v4, v36, v3, v4
	v_mov_b32_dpp v36, v4 row_shr:1 row_mask:0xf bank_mask:0xf
	v_cndmask_b32_e64 v36, v36, 0, s4
	v_add_nc_u32_e32 v4, v36, v4
	v_mov_b32_dpp v36, v4 row_shr:2 row_mask:0xf bank_mask:0xf
	v_cndmask_b32_e64 v36, 0, v36, s5
	v_add_nc_u32_e32 v4, v4, v36
	;; [unrolled: 3-line block ×4, first 2 shown]
	ds_swizzle_b32 v36, v4 offset:swizzle(BROADCAST,32,15)
	s_waitcnt lgkmcnt(0)
	v_cndmask_b32_e64 v36, v36, 0, s8
	v_add_nc_u32_e32 v4, v4, v36
	s_and_saveexec_b32 s13, s9
; %bb.15:                               ;   in Loop: Header=BB1102_6 Depth=1
	ds_write_b32 v15, v4
; %bb.16:                               ;   in Loop: Header=BB1102_6 Depth=1
	s_or_b32 exec_lo, exec_lo, s13
	s_waitcnt lgkmcnt(0)
	s_barrier
	buffer_gl0_inv
	s_and_saveexec_b32 s13, s0
	s_cbranch_execz .LBB1102_18
; %bb.17:                               ;   in Loop: Header=BB1102_6 Depth=1
	ds_read_b32 v36, v16
	s_waitcnt lgkmcnt(0)
	v_mov_b32_dpp v37, v36 row_shr:1 row_mask:0xf bank_mask:0xf
	v_cndmask_b32_e64 v37, v37, 0, s10
	v_add_nc_u32_e32 v36, v37, v36
	v_mov_b32_dpp v37, v36 row_shr:2 row_mask:0xf bank_mask:0xf
	v_cndmask_b32_e64 v37, 0, v37, s11
	v_add_nc_u32_e32 v36, v36, v37
	;; [unrolled: 3-line block ×3, first 2 shown]
	ds_write_b32 v16, v36
.LBB1102_18:                            ;   in Loop: Header=BB1102_6 Depth=1
	s_or_b32 exec_lo, exec_lo, s13
	v_mov_b32_e32 v36, 0
	s_waitcnt lgkmcnt(0)
	s_barrier
	buffer_gl0_inv
	s_and_saveexec_b32 s13, s1
; %bb.19:                               ;   in Loop: Header=BB1102_6 Depth=1
	ds_read_b32 v36, v18
; %bb.20:                               ;   in Loop: Header=BB1102_6 Depth=1
	s_or_b32 exec_lo, exec_lo, s13
	s_waitcnt lgkmcnt(0)
	v_add_nc_u32_e32 v4, v36, v4
	v_readfirstlane_b32 s13, v0
	s_add_i32 s18, s18, 8
	s_mov_b32 s24, -1
	s_cmp_ge_u32 s18, s23
	ds_bpermute_b32 v4, v17, v4
	s_waitcnt lgkmcnt(0)
	v_cndmask_b32_e64 v4, v4, v36, s2
	v_cndmask_b32_e64 v4, v4, 0, s3
	v_add_nc_u32_e32 v5, v4, v5
	v_add_nc_u32_e32 v6, v5, v6
	;; [unrolled: 1-line block ×4, first 2 shown]
	v_lshlrev_b32_e32 v8, 2, v31
	v_add_nc_u32_e32 v37, v36, v1
	v_add_nc_u32_e32 v1, v37, v2
	;; [unrolled: 1-line block ×3, first 2 shown]
	ds_write2_b64 v14, v[4:5], v[6:7] offset0:4 offset1:5
	ds_write2_b64 v14, v[36:37], v[1:2] offset0:6 offset1:7
	s_waitcnt lgkmcnt(0)
	s_barrier
	buffer_gl0_inv
	ds_read_b32 v1, v28 offset:32
	ds_read_b32 v2, v32 offset:32
	;; [unrolled: 1-line block ×4, first 2 shown]
	v_lshlrev_b32_e32 v5, 2, v25
	v_lshlrev_b32_e32 v6, 2, v29
	;; [unrolled: 1-line block ×6, first 2 shown]
	s_waitcnt lgkmcnt(0)
	v_lshlrev_b32_e32 v28, 2, v1
	v_lshlrev_b32_e32 v29, 2, v2
	;; [unrolled: 1-line block ×3, first 2 shown]
	v_lshl_add_u32 v1, v4, 2, v5
	v_add3_u32 v2, v6, v7, v28
	v_add3_u32 v7, v8, v25, v29
	;; [unrolled: 1-line block ×3, first 2 shown]
                                        ; implicit-def: $vgpr6
                                        ; implicit-def: $vgpr4
	s_cbranch_scc1 .LBB1102_5
; %bb.21:                               ;   in Loop: Header=BB1102_6 Depth=1
	s_barrier
	buffer_gl0_inv
	ds_write_b32 v1, v21
	ds_write_b32 v2, v24
	;; [unrolled: 1-line block ×4, first 2 shown]
	s_waitcnt lgkmcnt(0)
	s_barrier
	buffer_gl0_inv
	ds_read2_b32 v[3:4], v20 offset1:32
	ds_read2_b32 v[5:6], v20 offset0:64 offset1:96
	s_add_i32 s13, s19, -8
	s_mov_b32 s24, 0
	s_waitcnt lgkmcnt(0)
	s_barrier
	buffer_gl0_inv
	s_branch .LBB1102_5
.LBB1102_22:
	s_barrier
	buffer_gl0_inv
	ds_write_b32 v1, v21
	ds_write_b32 v2, v24
	;; [unrolled: 1-line block ×4, first 2 shown]
	s_waitcnt lgkmcnt(0)
	s_barrier
	buffer_gl0_inv
	ds_read2st64_b32 v[3:4], v16 offset1:4
	ds_read2st64_b32 v[1:2], v16 offset0:8 offset1:12
	s_add_u32 s0, s14, s16
	s_addc_u32 s1, s15, s17
	s_andn2_b32 vcc_lo, exec_lo, s21
	s_waitcnt lgkmcnt(1)
	v_xor_b32_e32 v6, 0x80000000, v3
	v_add_co_u32 v3, s0, s0, v13
	v_xor_b32_e32 v5, 0x80000000, v4
	s_waitcnt lgkmcnt(0)
	v_xor_b32_e32 v1, 0x80000000, v1
	v_add_co_ci_u32_e64 v4, null, s1, 0, s0
	s_cbranch_vccnz .LBB1102_32
; %bb.23:
	v_add_co_u32 v7, vcc_lo, 0x800, v3
	v_add_co_ci_u32_e64 v8, null, 0, v4, vcc_lo
	s_mov_b32 s0, -1
	global_store_dword v[3:4], v6, off
	global_store_dword v[3:4], v5, off offset:1024
	global_store_dword v[7:8], v1, off
	s_cbranch_execz .LBB1102_33
	s_branch .LBB1102_40
.LBB1102_24:
	s_clause 0x2
	global_load_dword v3, v[7:8], off
	global_load_dword v4, v[7:8], off offset:128
	global_load_dword v5, v[7:8], off offset:256
	s_mov_b32 s1, -1
	s_load_dwordx2 s[18:19], s[4:5], 0x28
	s_sub_i32 s20, s2, s0
	s_cbranch_execnz .LBB1102_2
.LBB1102_25:
	s_waitcnt vmcnt(2)
	v_bfrev_b32_e32 v3, -2
	v_or_b32_e32 v11, v9, v11
	s_mov_b32 s0, exec_lo
	s_waitcnt vmcnt(1)
	v_mov_b32_e32 v4, v3
	s_waitcnt vmcnt(0)
	v_mov_b32_e32 v5, v3
	v_mov_b32_e32 v6, v3
	v_cmpx_gt_u32_e64 s20, v11
	s_cbranch_execz .LBB1102_27
; %bb.26:
	global_load_dword v14, v[7:8], off
	v_mov_b32_e32 v15, v3
	v_mov_b32_e32 v16, v3
	;; [unrolled: 1-line block ×3, first 2 shown]
	s_waitcnt vmcnt(0)
	v_mov_b32_e32 v3, v14
	v_mov_b32_e32 v4, v15
	;; [unrolled: 1-line block ×4, first 2 shown]
.LBB1102_27:
	s_or_b32 exec_lo, exec_lo, s0
	v_or_b32_e32 v12, 32, v11
	s_mov_b32 s0, exec_lo
	v_cmpx_gt_u32_e64 s20, v12
	s_cbranch_execz .LBB1102_29
; %bb.28:
	global_load_dword v4, v[7:8], off offset:128
.LBB1102_29:
	s_or_b32 exec_lo, exec_lo, s0
	v_or_b32_e32 v12, 64, v11
	s_mov_b32 s0, exec_lo
	v_cmpx_gt_u32_e64 s20, v12
	s_cbranch_execz .LBB1102_31
; %bb.30:
	global_load_dword v5, v[7:8], off offset:256
.LBB1102_31:
	s_or_b32 exec_lo, exec_lo, s0
	v_or_b32_e32 v11, 0x60, v11
	v_cmp_gt_u32_e64 s1, s20, v11
	s_and_saveexec_b32 s0, s1
	s_cbranch_execnz .LBB1102_3
	s_branch .LBB1102_4
.LBB1102_32:
	s_mov_b32 s0, 0
.LBB1102_33:
	s_mov_b32 s0, exec_lo
	v_cmpx_gt_u32_e64 s20, v0
	s_cbranch_execz .LBB1102_35
; %bb.34:
	global_store_dword v[3:4], v6, off
.LBB1102_35:
	s_or_b32 exec_lo, exec_lo, s0
	v_or_b32_e32 v6, 0x100, v0
	s_mov_b32 s0, exec_lo
	v_cmpx_gt_u32_e64 s20, v6
	s_cbranch_execz .LBB1102_37
; %bb.36:
	global_store_dword v[3:4], v5, off offset:1024
.LBB1102_37:
	s_or_b32 exec_lo, exec_lo, s0
	v_or_b32_e32 v5, 0x200, v0
	s_mov_b32 s0, exec_lo
	v_cmpx_gt_u32_e64 s20, v5
	s_cbranch_execz .LBB1102_39
; %bb.38:
	v_add_co_u32 v5, vcc_lo, 0x800, v3
	v_add_co_ci_u32_e64 v6, null, 0, v4, vcc_lo
	global_store_dword v[5:6], v1, off
.LBB1102_39:
	s_or_b32 exec_lo, exec_lo, s0
	v_or_b32_e32 v0, 0x300, v0
	v_cmp_gt_u32_e64 s0, s20, v0
.LBB1102_40:
	s_and_saveexec_b32 s1, s0
	s_cbranch_execnz .LBB1102_42
; %bb.41:
	s_endpgm
.LBB1102_42:
	v_add_co_u32 v0, vcc_lo, 0x800, v3
	v_xor_b32_e32 v2, 0x80000000, v2
	v_add_co_ci_u32_e64 v1, null, 0, v4, vcc_lo
	global_store_dword v[0:1], v2, off offset:1024
	s_endpgm
	.section	.rodata,"a",@progbits
	.p2align	6, 0x0
	.amdhsa_kernel _ZN7rocprim17ROCPRIM_400000_NS6detail17trampoline_kernelINS0_13kernel_configILj256ELj4ELj4294967295EEENS1_37radix_sort_block_sort_config_selectorIiNS0_10empty_typeEEEZNS1_21radix_sort_block_sortIS4_Lb0EN6thrust23THRUST_200600_302600_NS10device_ptrIiEESC_PS6_SD_NS0_19identity_decomposerEEE10hipError_tT1_T2_T3_T4_jRjT5_jjP12ihipStream_tbEUlT_E_NS1_11comp_targetILNS1_3genE8ELNS1_11target_archE1030ELNS1_3gpuE2ELNS1_3repE0EEENS1_44radix_sort_block_sort_config_static_selectorELNS0_4arch9wavefront6targetE0EEEvSG_
		.amdhsa_group_segment_fixed_size 8224
		.amdhsa_private_segment_fixed_size 0
		.amdhsa_kernarg_size 304
		.amdhsa_user_sgpr_count 6
		.amdhsa_user_sgpr_private_segment_buffer 1
		.amdhsa_user_sgpr_dispatch_ptr 0
		.amdhsa_user_sgpr_queue_ptr 0
		.amdhsa_user_sgpr_kernarg_segment_ptr 1
		.amdhsa_user_sgpr_dispatch_id 0
		.amdhsa_user_sgpr_flat_scratch_init 0
		.amdhsa_user_sgpr_private_segment_size 0
		.amdhsa_wavefront_size32 1
		.amdhsa_uses_dynamic_stack 0
		.amdhsa_system_sgpr_private_segment_wavefront_offset 0
		.amdhsa_system_sgpr_workgroup_id_x 1
		.amdhsa_system_sgpr_workgroup_id_y 0
		.amdhsa_system_sgpr_workgroup_id_z 0
		.amdhsa_system_sgpr_workgroup_info 0
		.amdhsa_system_vgpr_workitem_id 2
		.amdhsa_next_free_vgpr 38
		.amdhsa_next_free_sgpr 28
		.amdhsa_reserve_vcc 1
		.amdhsa_reserve_flat_scratch 0
		.amdhsa_float_round_mode_32 0
		.amdhsa_float_round_mode_16_64 0
		.amdhsa_float_denorm_mode_32 3
		.amdhsa_float_denorm_mode_16_64 3
		.amdhsa_dx10_clamp 1
		.amdhsa_ieee_mode 1
		.amdhsa_fp16_overflow 0
		.amdhsa_workgroup_processor_mode 1
		.amdhsa_memory_ordered 1
		.amdhsa_forward_progress 1
		.amdhsa_shared_vgpr_count 0
		.amdhsa_exception_fp_ieee_invalid_op 0
		.amdhsa_exception_fp_denorm_src 0
		.amdhsa_exception_fp_ieee_div_zero 0
		.amdhsa_exception_fp_ieee_overflow 0
		.amdhsa_exception_fp_ieee_underflow 0
		.amdhsa_exception_fp_ieee_inexact 0
		.amdhsa_exception_int_div_zero 0
	.end_amdhsa_kernel
	.section	.text._ZN7rocprim17ROCPRIM_400000_NS6detail17trampoline_kernelINS0_13kernel_configILj256ELj4ELj4294967295EEENS1_37radix_sort_block_sort_config_selectorIiNS0_10empty_typeEEEZNS1_21radix_sort_block_sortIS4_Lb0EN6thrust23THRUST_200600_302600_NS10device_ptrIiEESC_PS6_SD_NS0_19identity_decomposerEEE10hipError_tT1_T2_T3_T4_jRjT5_jjP12ihipStream_tbEUlT_E_NS1_11comp_targetILNS1_3genE8ELNS1_11target_archE1030ELNS1_3gpuE2ELNS1_3repE0EEENS1_44radix_sort_block_sort_config_static_selectorELNS0_4arch9wavefront6targetE0EEEvSG_,"axG",@progbits,_ZN7rocprim17ROCPRIM_400000_NS6detail17trampoline_kernelINS0_13kernel_configILj256ELj4ELj4294967295EEENS1_37radix_sort_block_sort_config_selectorIiNS0_10empty_typeEEEZNS1_21radix_sort_block_sortIS4_Lb0EN6thrust23THRUST_200600_302600_NS10device_ptrIiEESC_PS6_SD_NS0_19identity_decomposerEEE10hipError_tT1_T2_T3_T4_jRjT5_jjP12ihipStream_tbEUlT_E_NS1_11comp_targetILNS1_3genE8ELNS1_11target_archE1030ELNS1_3gpuE2ELNS1_3repE0EEENS1_44radix_sort_block_sort_config_static_selectorELNS0_4arch9wavefront6targetE0EEEvSG_,comdat
.Lfunc_end1102:
	.size	_ZN7rocprim17ROCPRIM_400000_NS6detail17trampoline_kernelINS0_13kernel_configILj256ELj4ELj4294967295EEENS1_37radix_sort_block_sort_config_selectorIiNS0_10empty_typeEEEZNS1_21radix_sort_block_sortIS4_Lb0EN6thrust23THRUST_200600_302600_NS10device_ptrIiEESC_PS6_SD_NS0_19identity_decomposerEEE10hipError_tT1_T2_T3_T4_jRjT5_jjP12ihipStream_tbEUlT_E_NS1_11comp_targetILNS1_3genE8ELNS1_11target_archE1030ELNS1_3gpuE2ELNS1_3repE0EEENS1_44radix_sort_block_sort_config_static_selectorELNS0_4arch9wavefront6targetE0EEEvSG_, .Lfunc_end1102-_ZN7rocprim17ROCPRIM_400000_NS6detail17trampoline_kernelINS0_13kernel_configILj256ELj4ELj4294967295EEENS1_37radix_sort_block_sort_config_selectorIiNS0_10empty_typeEEEZNS1_21radix_sort_block_sortIS4_Lb0EN6thrust23THRUST_200600_302600_NS10device_ptrIiEESC_PS6_SD_NS0_19identity_decomposerEEE10hipError_tT1_T2_T3_T4_jRjT5_jjP12ihipStream_tbEUlT_E_NS1_11comp_targetILNS1_3genE8ELNS1_11target_archE1030ELNS1_3gpuE2ELNS1_3repE0EEENS1_44radix_sort_block_sort_config_static_selectorELNS0_4arch9wavefront6targetE0EEEvSG_
                                        ; -- End function
	.set _ZN7rocprim17ROCPRIM_400000_NS6detail17trampoline_kernelINS0_13kernel_configILj256ELj4ELj4294967295EEENS1_37radix_sort_block_sort_config_selectorIiNS0_10empty_typeEEEZNS1_21radix_sort_block_sortIS4_Lb0EN6thrust23THRUST_200600_302600_NS10device_ptrIiEESC_PS6_SD_NS0_19identity_decomposerEEE10hipError_tT1_T2_T3_T4_jRjT5_jjP12ihipStream_tbEUlT_E_NS1_11comp_targetILNS1_3genE8ELNS1_11target_archE1030ELNS1_3gpuE2ELNS1_3repE0EEENS1_44radix_sort_block_sort_config_static_selectorELNS0_4arch9wavefront6targetE0EEEvSG_.num_vgpr, 38
	.set _ZN7rocprim17ROCPRIM_400000_NS6detail17trampoline_kernelINS0_13kernel_configILj256ELj4ELj4294967295EEENS1_37radix_sort_block_sort_config_selectorIiNS0_10empty_typeEEEZNS1_21radix_sort_block_sortIS4_Lb0EN6thrust23THRUST_200600_302600_NS10device_ptrIiEESC_PS6_SD_NS0_19identity_decomposerEEE10hipError_tT1_T2_T3_T4_jRjT5_jjP12ihipStream_tbEUlT_E_NS1_11comp_targetILNS1_3genE8ELNS1_11target_archE1030ELNS1_3gpuE2ELNS1_3repE0EEENS1_44radix_sort_block_sort_config_static_selectorELNS0_4arch9wavefront6targetE0EEEvSG_.num_agpr, 0
	.set _ZN7rocprim17ROCPRIM_400000_NS6detail17trampoline_kernelINS0_13kernel_configILj256ELj4ELj4294967295EEENS1_37radix_sort_block_sort_config_selectorIiNS0_10empty_typeEEEZNS1_21radix_sort_block_sortIS4_Lb0EN6thrust23THRUST_200600_302600_NS10device_ptrIiEESC_PS6_SD_NS0_19identity_decomposerEEE10hipError_tT1_T2_T3_T4_jRjT5_jjP12ihipStream_tbEUlT_E_NS1_11comp_targetILNS1_3genE8ELNS1_11target_archE1030ELNS1_3gpuE2ELNS1_3repE0EEENS1_44radix_sort_block_sort_config_static_selectorELNS0_4arch9wavefront6targetE0EEEvSG_.numbered_sgpr, 28
	.set _ZN7rocprim17ROCPRIM_400000_NS6detail17trampoline_kernelINS0_13kernel_configILj256ELj4ELj4294967295EEENS1_37radix_sort_block_sort_config_selectorIiNS0_10empty_typeEEEZNS1_21radix_sort_block_sortIS4_Lb0EN6thrust23THRUST_200600_302600_NS10device_ptrIiEESC_PS6_SD_NS0_19identity_decomposerEEE10hipError_tT1_T2_T3_T4_jRjT5_jjP12ihipStream_tbEUlT_E_NS1_11comp_targetILNS1_3genE8ELNS1_11target_archE1030ELNS1_3gpuE2ELNS1_3repE0EEENS1_44radix_sort_block_sort_config_static_selectorELNS0_4arch9wavefront6targetE0EEEvSG_.num_named_barrier, 0
	.set _ZN7rocprim17ROCPRIM_400000_NS6detail17trampoline_kernelINS0_13kernel_configILj256ELj4ELj4294967295EEENS1_37radix_sort_block_sort_config_selectorIiNS0_10empty_typeEEEZNS1_21radix_sort_block_sortIS4_Lb0EN6thrust23THRUST_200600_302600_NS10device_ptrIiEESC_PS6_SD_NS0_19identity_decomposerEEE10hipError_tT1_T2_T3_T4_jRjT5_jjP12ihipStream_tbEUlT_E_NS1_11comp_targetILNS1_3genE8ELNS1_11target_archE1030ELNS1_3gpuE2ELNS1_3repE0EEENS1_44radix_sort_block_sort_config_static_selectorELNS0_4arch9wavefront6targetE0EEEvSG_.private_seg_size, 0
	.set _ZN7rocprim17ROCPRIM_400000_NS6detail17trampoline_kernelINS0_13kernel_configILj256ELj4ELj4294967295EEENS1_37radix_sort_block_sort_config_selectorIiNS0_10empty_typeEEEZNS1_21radix_sort_block_sortIS4_Lb0EN6thrust23THRUST_200600_302600_NS10device_ptrIiEESC_PS6_SD_NS0_19identity_decomposerEEE10hipError_tT1_T2_T3_T4_jRjT5_jjP12ihipStream_tbEUlT_E_NS1_11comp_targetILNS1_3genE8ELNS1_11target_archE1030ELNS1_3gpuE2ELNS1_3repE0EEENS1_44radix_sort_block_sort_config_static_selectorELNS0_4arch9wavefront6targetE0EEEvSG_.uses_vcc, 1
	.set _ZN7rocprim17ROCPRIM_400000_NS6detail17trampoline_kernelINS0_13kernel_configILj256ELj4ELj4294967295EEENS1_37radix_sort_block_sort_config_selectorIiNS0_10empty_typeEEEZNS1_21radix_sort_block_sortIS4_Lb0EN6thrust23THRUST_200600_302600_NS10device_ptrIiEESC_PS6_SD_NS0_19identity_decomposerEEE10hipError_tT1_T2_T3_T4_jRjT5_jjP12ihipStream_tbEUlT_E_NS1_11comp_targetILNS1_3genE8ELNS1_11target_archE1030ELNS1_3gpuE2ELNS1_3repE0EEENS1_44radix_sort_block_sort_config_static_selectorELNS0_4arch9wavefront6targetE0EEEvSG_.uses_flat_scratch, 0
	.set _ZN7rocprim17ROCPRIM_400000_NS6detail17trampoline_kernelINS0_13kernel_configILj256ELj4ELj4294967295EEENS1_37radix_sort_block_sort_config_selectorIiNS0_10empty_typeEEEZNS1_21radix_sort_block_sortIS4_Lb0EN6thrust23THRUST_200600_302600_NS10device_ptrIiEESC_PS6_SD_NS0_19identity_decomposerEEE10hipError_tT1_T2_T3_T4_jRjT5_jjP12ihipStream_tbEUlT_E_NS1_11comp_targetILNS1_3genE8ELNS1_11target_archE1030ELNS1_3gpuE2ELNS1_3repE0EEENS1_44radix_sort_block_sort_config_static_selectorELNS0_4arch9wavefront6targetE0EEEvSG_.has_dyn_sized_stack, 0
	.set _ZN7rocprim17ROCPRIM_400000_NS6detail17trampoline_kernelINS0_13kernel_configILj256ELj4ELj4294967295EEENS1_37radix_sort_block_sort_config_selectorIiNS0_10empty_typeEEEZNS1_21radix_sort_block_sortIS4_Lb0EN6thrust23THRUST_200600_302600_NS10device_ptrIiEESC_PS6_SD_NS0_19identity_decomposerEEE10hipError_tT1_T2_T3_T4_jRjT5_jjP12ihipStream_tbEUlT_E_NS1_11comp_targetILNS1_3genE8ELNS1_11target_archE1030ELNS1_3gpuE2ELNS1_3repE0EEENS1_44radix_sort_block_sort_config_static_selectorELNS0_4arch9wavefront6targetE0EEEvSG_.has_recursion, 0
	.set _ZN7rocprim17ROCPRIM_400000_NS6detail17trampoline_kernelINS0_13kernel_configILj256ELj4ELj4294967295EEENS1_37radix_sort_block_sort_config_selectorIiNS0_10empty_typeEEEZNS1_21radix_sort_block_sortIS4_Lb0EN6thrust23THRUST_200600_302600_NS10device_ptrIiEESC_PS6_SD_NS0_19identity_decomposerEEE10hipError_tT1_T2_T3_T4_jRjT5_jjP12ihipStream_tbEUlT_E_NS1_11comp_targetILNS1_3genE8ELNS1_11target_archE1030ELNS1_3gpuE2ELNS1_3repE0EEENS1_44radix_sort_block_sort_config_static_selectorELNS0_4arch9wavefront6targetE0EEEvSG_.has_indirect_call, 0
	.section	.AMDGPU.csdata,"",@progbits
; Kernel info:
; codeLenInByte = 3016
; TotalNumSgprs: 30
; NumVgprs: 38
; ScratchSize: 0
; MemoryBound: 0
; FloatMode: 240
; IeeeMode: 1
; LDSByteSize: 8224 bytes/workgroup (compile time only)
; SGPRBlocks: 0
; VGPRBlocks: 4
; NumSGPRsForWavesPerEU: 30
; NumVGPRsForWavesPerEU: 38
; Occupancy: 16
; WaveLimiterHint : 1
; COMPUTE_PGM_RSRC2:SCRATCH_EN: 0
; COMPUTE_PGM_RSRC2:USER_SGPR: 6
; COMPUTE_PGM_RSRC2:TRAP_HANDLER: 0
; COMPUTE_PGM_RSRC2:TGID_X_EN: 1
; COMPUTE_PGM_RSRC2:TGID_Y_EN: 0
; COMPUTE_PGM_RSRC2:TGID_Z_EN: 0
; COMPUTE_PGM_RSRC2:TIDIG_COMP_CNT: 2
	.section	.text._ZN7rocprim17ROCPRIM_400000_NS6detail44device_merge_sort_compile_time_verifier_archINS1_11comp_targetILNS1_3genE0ELNS1_11target_archE4294967295ELNS1_3gpuE0ELNS1_3repE0EEES8_NS1_28merge_sort_block_sort_configILj256ELj4ELNS0_20block_sort_algorithmE0EEENS0_14default_configENS1_37merge_sort_block_sort_config_selectorIiNS0_10empty_typeEEENS1_38merge_sort_block_merge_config_selectorIiSE_EEEEvv,"axG",@progbits,_ZN7rocprim17ROCPRIM_400000_NS6detail44device_merge_sort_compile_time_verifier_archINS1_11comp_targetILNS1_3genE0ELNS1_11target_archE4294967295ELNS1_3gpuE0ELNS1_3repE0EEES8_NS1_28merge_sort_block_sort_configILj256ELj4ELNS0_20block_sort_algorithmE0EEENS0_14default_configENS1_37merge_sort_block_sort_config_selectorIiNS0_10empty_typeEEENS1_38merge_sort_block_merge_config_selectorIiSE_EEEEvv,comdat
	.protected	_ZN7rocprim17ROCPRIM_400000_NS6detail44device_merge_sort_compile_time_verifier_archINS1_11comp_targetILNS1_3genE0ELNS1_11target_archE4294967295ELNS1_3gpuE0ELNS1_3repE0EEES8_NS1_28merge_sort_block_sort_configILj256ELj4ELNS0_20block_sort_algorithmE0EEENS0_14default_configENS1_37merge_sort_block_sort_config_selectorIiNS0_10empty_typeEEENS1_38merge_sort_block_merge_config_selectorIiSE_EEEEvv ; -- Begin function _ZN7rocprim17ROCPRIM_400000_NS6detail44device_merge_sort_compile_time_verifier_archINS1_11comp_targetILNS1_3genE0ELNS1_11target_archE4294967295ELNS1_3gpuE0ELNS1_3repE0EEES8_NS1_28merge_sort_block_sort_configILj256ELj4ELNS0_20block_sort_algorithmE0EEENS0_14default_configENS1_37merge_sort_block_sort_config_selectorIiNS0_10empty_typeEEENS1_38merge_sort_block_merge_config_selectorIiSE_EEEEvv
	.globl	_ZN7rocprim17ROCPRIM_400000_NS6detail44device_merge_sort_compile_time_verifier_archINS1_11comp_targetILNS1_3genE0ELNS1_11target_archE4294967295ELNS1_3gpuE0ELNS1_3repE0EEES8_NS1_28merge_sort_block_sort_configILj256ELj4ELNS0_20block_sort_algorithmE0EEENS0_14default_configENS1_37merge_sort_block_sort_config_selectorIiNS0_10empty_typeEEENS1_38merge_sort_block_merge_config_selectorIiSE_EEEEvv
	.p2align	8
	.type	_ZN7rocprim17ROCPRIM_400000_NS6detail44device_merge_sort_compile_time_verifier_archINS1_11comp_targetILNS1_3genE0ELNS1_11target_archE4294967295ELNS1_3gpuE0ELNS1_3repE0EEES8_NS1_28merge_sort_block_sort_configILj256ELj4ELNS0_20block_sort_algorithmE0EEENS0_14default_configENS1_37merge_sort_block_sort_config_selectorIiNS0_10empty_typeEEENS1_38merge_sort_block_merge_config_selectorIiSE_EEEEvv,@function
_ZN7rocprim17ROCPRIM_400000_NS6detail44device_merge_sort_compile_time_verifier_archINS1_11comp_targetILNS1_3genE0ELNS1_11target_archE4294967295ELNS1_3gpuE0ELNS1_3repE0EEES8_NS1_28merge_sort_block_sort_configILj256ELj4ELNS0_20block_sort_algorithmE0EEENS0_14default_configENS1_37merge_sort_block_sort_config_selectorIiNS0_10empty_typeEEENS1_38merge_sort_block_merge_config_selectorIiSE_EEEEvv: ; @_ZN7rocprim17ROCPRIM_400000_NS6detail44device_merge_sort_compile_time_verifier_archINS1_11comp_targetILNS1_3genE0ELNS1_11target_archE4294967295ELNS1_3gpuE0ELNS1_3repE0EEES8_NS1_28merge_sort_block_sort_configILj256ELj4ELNS0_20block_sort_algorithmE0EEENS0_14default_configENS1_37merge_sort_block_sort_config_selectorIiNS0_10empty_typeEEENS1_38merge_sort_block_merge_config_selectorIiSE_EEEEvv
; %bb.0:
	s_endpgm
	.section	.rodata,"a",@progbits
	.p2align	6, 0x0
	.amdhsa_kernel _ZN7rocprim17ROCPRIM_400000_NS6detail44device_merge_sort_compile_time_verifier_archINS1_11comp_targetILNS1_3genE0ELNS1_11target_archE4294967295ELNS1_3gpuE0ELNS1_3repE0EEES8_NS1_28merge_sort_block_sort_configILj256ELj4ELNS0_20block_sort_algorithmE0EEENS0_14default_configENS1_37merge_sort_block_sort_config_selectorIiNS0_10empty_typeEEENS1_38merge_sort_block_merge_config_selectorIiSE_EEEEvv
		.amdhsa_group_segment_fixed_size 0
		.amdhsa_private_segment_fixed_size 0
		.amdhsa_kernarg_size 0
		.amdhsa_user_sgpr_count 4
		.amdhsa_user_sgpr_private_segment_buffer 1
		.amdhsa_user_sgpr_dispatch_ptr 0
		.amdhsa_user_sgpr_queue_ptr 0
		.amdhsa_user_sgpr_kernarg_segment_ptr 0
		.amdhsa_user_sgpr_dispatch_id 0
		.amdhsa_user_sgpr_flat_scratch_init 0
		.amdhsa_user_sgpr_private_segment_size 0
		.amdhsa_wavefront_size32 1
		.amdhsa_uses_dynamic_stack 0
		.amdhsa_system_sgpr_private_segment_wavefront_offset 0
		.amdhsa_system_sgpr_workgroup_id_x 1
		.amdhsa_system_sgpr_workgroup_id_y 0
		.amdhsa_system_sgpr_workgroup_id_z 0
		.amdhsa_system_sgpr_workgroup_info 0
		.amdhsa_system_vgpr_workitem_id 0
		.amdhsa_next_free_vgpr 1
		.amdhsa_next_free_sgpr 1
		.amdhsa_reserve_vcc 0
		.amdhsa_reserve_flat_scratch 0
		.amdhsa_float_round_mode_32 0
		.amdhsa_float_round_mode_16_64 0
		.amdhsa_float_denorm_mode_32 3
		.amdhsa_float_denorm_mode_16_64 3
		.amdhsa_dx10_clamp 1
		.amdhsa_ieee_mode 1
		.amdhsa_fp16_overflow 0
		.amdhsa_workgroup_processor_mode 1
		.amdhsa_memory_ordered 1
		.amdhsa_forward_progress 1
		.amdhsa_shared_vgpr_count 0
		.amdhsa_exception_fp_ieee_invalid_op 0
		.amdhsa_exception_fp_denorm_src 0
		.amdhsa_exception_fp_ieee_div_zero 0
		.amdhsa_exception_fp_ieee_overflow 0
		.amdhsa_exception_fp_ieee_underflow 0
		.amdhsa_exception_fp_ieee_inexact 0
		.amdhsa_exception_int_div_zero 0
	.end_amdhsa_kernel
	.section	.text._ZN7rocprim17ROCPRIM_400000_NS6detail44device_merge_sort_compile_time_verifier_archINS1_11comp_targetILNS1_3genE0ELNS1_11target_archE4294967295ELNS1_3gpuE0ELNS1_3repE0EEES8_NS1_28merge_sort_block_sort_configILj256ELj4ELNS0_20block_sort_algorithmE0EEENS0_14default_configENS1_37merge_sort_block_sort_config_selectorIiNS0_10empty_typeEEENS1_38merge_sort_block_merge_config_selectorIiSE_EEEEvv,"axG",@progbits,_ZN7rocprim17ROCPRIM_400000_NS6detail44device_merge_sort_compile_time_verifier_archINS1_11comp_targetILNS1_3genE0ELNS1_11target_archE4294967295ELNS1_3gpuE0ELNS1_3repE0EEES8_NS1_28merge_sort_block_sort_configILj256ELj4ELNS0_20block_sort_algorithmE0EEENS0_14default_configENS1_37merge_sort_block_sort_config_selectorIiNS0_10empty_typeEEENS1_38merge_sort_block_merge_config_selectorIiSE_EEEEvv,comdat
.Lfunc_end1103:
	.size	_ZN7rocprim17ROCPRIM_400000_NS6detail44device_merge_sort_compile_time_verifier_archINS1_11comp_targetILNS1_3genE0ELNS1_11target_archE4294967295ELNS1_3gpuE0ELNS1_3repE0EEES8_NS1_28merge_sort_block_sort_configILj256ELj4ELNS0_20block_sort_algorithmE0EEENS0_14default_configENS1_37merge_sort_block_sort_config_selectorIiNS0_10empty_typeEEENS1_38merge_sort_block_merge_config_selectorIiSE_EEEEvv, .Lfunc_end1103-_ZN7rocprim17ROCPRIM_400000_NS6detail44device_merge_sort_compile_time_verifier_archINS1_11comp_targetILNS1_3genE0ELNS1_11target_archE4294967295ELNS1_3gpuE0ELNS1_3repE0EEES8_NS1_28merge_sort_block_sort_configILj256ELj4ELNS0_20block_sort_algorithmE0EEENS0_14default_configENS1_37merge_sort_block_sort_config_selectorIiNS0_10empty_typeEEENS1_38merge_sort_block_merge_config_selectorIiSE_EEEEvv
                                        ; -- End function
	.set _ZN7rocprim17ROCPRIM_400000_NS6detail44device_merge_sort_compile_time_verifier_archINS1_11comp_targetILNS1_3genE0ELNS1_11target_archE4294967295ELNS1_3gpuE0ELNS1_3repE0EEES8_NS1_28merge_sort_block_sort_configILj256ELj4ELNS0_20block_sort_algorithmE0EEENS0_14default_configENS1_37merge_sort_block_sort_config_selectorIiNS0_10empty_typeEEENS1_38merge_sort_block_merge_config_selectorIiSE_EEEEvv.num_vgpr, 0
	.set _ZN7rocprim17ROCPRIM_400000_NS6detail44device_merge_sort_compile_time_verifier_archINS1_11comp_targetILNS1_3genE0ELNS1_11target_archE4294967295ELNS1_3gpuE0ELNS1_3repE0EEES8_NS1_28merge_sort_block_sort_configILj256ELj4ELNS0_20block_sort_algorithmE0EEENS0_14default_configENS1_37merge_sort_block_sort_config_selectorIiNS0_10empty_typeEEENS1_38merge_sort_block_merge_config_selectorIiSE_EEEEvv.num_agpr, 0
	.set _ZN7rocprim17ROCPRIM_400000_NS6detail44device_merge_sort_compile_time_verifier_archINS1_11comp_targetILNS1_3genE0ELNS1_11target_archE4294967295ELNS1_3gpuE0ELNS1_3repE0EEES8_NS1_28merge_sort_block_sort_configILj256ELj4ELNS0_20block_sort_algorithmE0EEENS0_14default_configENS1_37merge_sort_block_sort_config_selectorIiNS0_10empty_typeEEENS1_38merge_sort_block_merge_config_selectorIiSE_EEEEvv.numbered_sgpr, 0
	.set _ZN7rocprim17ROCPRIM_400000_NS6detail44device_merge_sort_compile_time_verifier_archINS1_11comp_targetILNS1_3genE0ELNS1_11target_archE4294967295ELNS1_3gpuE0ELNS1_3repE0EEES8_NS1_28merge_sort_block_sort_configILj256ELj4ELNS0_20block_sort_algorithmE0EEENS0_14default_configENS1_37merge_sort_block_sort_config_selectorIiNS0_10empty_typeEEENS1_38merge_sort_block_merge_config_selectorIiSE_EEEEvv.num_named_barrier, 0
	.set _ZN7rocprim17ROCPRIM_400000_NS6detail44device_merge_sort_compile_time_verifier_archINS1_11comp_targetILNS1_3genE0ELNS1_11target_archE4294967295ELNS1_3gpuE0ELNS1_3repE0EEES8_NS1_28merge_sort_block_sort_configILj256ELj4ELNS0_20block_sort_algorithmE0EEENS0_14default_configENS1_37merge_sort_block_sort_config_selectorIiNS0_10empty_typeEEENS1_38merge_sort_block_merge_config_selectorIiSE_EEEEvv.private_seg_size, 0
	.set _ZN7rocprim17ROCPRIM_400000_NS6detail44device_merge_sort_compile_time_verifier_archINS1_11comp_targetILNS1_3genE0ELNS1_11target_archE4294967295ELNS1_3gpuE0ELNS1_3repE0EEES8_NS1_28merge_sort_block_sort_configILj256ELj4ELNS0_20block_sort_algorithmE0EEENS0_14default_configENS1_37merge_sort_block_sort_config_selectorIiNS0_10empty_typeEEENS1_38merge_sort_block_merge_config_selectorIiSE_EEEEvv.uses_vcc, 0
	.set _ZN7rocprim17ROCPRIM_400000_NS6detail44device_merge_sort_compile_time_verifier_archINS1_11comp_targetILNS1_3genE0ELNS1_11target_archE4294967295ELNS1_3gpuE0ELNS1_3repE0EEES8_NS1_28merge_sort_block_sort_configILj256ELj4ELNS0_20block_sort_algorithmE0EEENS0_14default_configENS1_37merge_sort_block_sort_config_selectorIiNS0_10empty_typeEEENS1_38merge_sort_block_merge_config_selectorIiSE_EEEEvv.uses_flat_scratch, 0
	.set _ZN7rocprim17ROCPRIM_400000_NS6detail44device_merge_sort_compile_time_verifier_archINS1_11comp_targetILNS1_3genE0ELNS1_11target_archE4294967295ELNS1_3gpuE0ELNS1_3repE0EEES8_NS1_28merge_sort_block_sort_configILj256ELj4ELNS0_20block_sort_algorithmE0EEENS0_14default_configENS1_37merge_sort_block_sort_config_selectorIiNS0_10empty_typeEEENS1_38merge_sort_block_merge_config_selectorIiSE_EEEEvv.has_dyn_sized_stack, 0
	.set _ZN7rocprim17ROCPRIM_400000_NS6detail44device_merge_sort_compile_time_verifier_archINS1_11comp_targetILNS1_3genE0ELNS1_11target_archE4294967295ELNS1_3gpuE0ELNS1_3repE0EEES8_NS1_28merge_sort_block_sort_configILj256ELj4ELNS0_20block_sort_algorithmE0EEENS0_14default_configENS1_37merge_sort_block_sort_config_selectorIiNS0_10empty_typeEEENS1_38merge_sort_block_merge_config_selectorIiSE_EEEEvv.has_recursion, 0
	.set _ZN7rocprim17ROCPRIM_400000_NS6detail44device_merge_sort_compile_time_verifier_archINS1_11comp_targetILNS1_3genE0ELNS1_11target_archE4294967295ELNS1_3gpuE0ELNS1_3repE0EEES8_NS1_28merge_sort_block_sort_configILj256ELj4ELNS0_20block_sort_algorithmE0EEENS0_14default_configENS1_37merge_sort_block_sort_config_selectorIiNS0_10empty_typeEEENS1_38merge_sort_block_merge_config_selectorIiSE_EEEEvv.has_indirect_call, 0
	.section	.AMDGPU.csdata,"",@progbits
; Kernel info:
; codeLenInByte = 4
; TotalNumSgprs: 0
; NumVgprs: 0
; ScratchSize: 0
; MemoryBound: 0
; FloatMode: 240
; IeeeMode: 1
; LDSByteSize: 0 bytes/workgroup (compile time only)
; SGPRBlocks: 0
; VGPRBlocks: 0
; NumSGPRsForWavesPerEU: 1
; NumVGPRsForWavesPerEU: 1
; Occupancy: 16
; WaveLimiterHint : 0
; COMPUTE_PGM_RSRC2:SCRATCH_EN: 0
; COMPUTE_PGM_RSRC2:USER_SGPR: 4
; COMPUTE_PGM_RSRC2:TRAP_HANDLER: 0
; COMPUTE_PGM_RSRC2:TGID_X_EN: 1
; COMPUTE_PGM_RSRC2:TGID_Y_EN: 0
; COMPUTE_PGM_RSRC2:TGID_Z_EN: 0
; COMPUTE_PGM_RSRC2:TIDIG_COMP_CNT: 0
	.section	.text._ZN7rocprim17ROCPRIM_400000_NS6detail44device_merge_sort_compile_time_verifier_archINS1_11comp_targetILNS1_3genE5ELNS1_11target_archE942ELNS1_3gpuE9ELNS1_3repE0EEES8_NS1_28merge_sort_block_sort_configILj256ELj4ELNS0_20block_sort_algorithmE0EEENS0_14default_configENS1_37merge_sort_block_sort_config_selectorIiNS0_10empty_typeEEENS1_38merge_sort_block_merge_config_selectorIiSE_EEEEvv,"axG",@progbits,_ZN7rocprim17ROCPRIM_400000_NS6detail44device_merge_sort_compile_time_verifier_archINS1_11comp_targetILNS1_3genE5ELNS1_11target_archE942ELNS1_3gpuE9ELNS1_3repE0EEES8_NS1_28merge_sort_block_sort_configILj256ELj4ELNS0_20block_sort_algorithmE0EEENS0_14default_configENS1_37merge_sort_block_sort_config_selectorIiNS0_10empty_typeEEENS1_38merge_sort_block_merge_config_selectorIiSE_EEEEvv,comdat
	.protected	_ZN7rocprim17ROCPRIM_400000_NS6detail44device_merge_sort_compile_time_verifier_archINS1_11comp_targetILNS1_3genE5ELNS1_11target_archE942ELNS1_3gpuE9ELNS1_3repE0EEES8_NS1_28merge_sort_block_sort_configILj256ELj4ELNS0_20block_sort_algorithmE0EEENS0_14default_configENS1_37merge_sort_block_sort_config_selectorIiNS0_10empty_typeEEENS1_38merge_sort_block_merge_config_selectorIiSE_EEEEvv ; -- Begin function _ZN7rocprim17ROCPRIM_400000_NS6detail44device_merge_sort_compile_time_verifier_archINS1_11comp_targetILNS1_3genE5ELNS1_11target_archE942ELNS1_3gpuE9ELNS1_3repE0EEES8_NS1_28merge_sort_block_sort_configILj256ELj4ELNS0_20block_sort_algorithmE0EEENS0_14default_configENS1_37merge_sort_block_sort_config_selectorIiNS0_10empty_typeEEENS1_38merge_sort_block_merge_config_selectorIiSE_EEEEvv
	.globl	_ZN7rocprim17ROCPRIM_400000_NS6detail44device_merge_sort_compile_time_verifier_archINS1_11comp_targetILNS1_3genE5ELNS1_11target_archE942ELNS1_3gpuE9ELNS1_3repE0EEES8_NS1_28merge_sort_block_sort_configILj256ELj4ELNS0_20block_sort_algorithmE0EEENS0_14default_configENS1_37merge_sort_block_sort_config_selectorIiNS0_10empty_typeEEENS1_38merge_sort_block_merge_config_selectorIiSE_EEEEvv
	.p2align	8
	.type	_ZN7rocprim17ROCPRIM_400000_NS6detail44device_merge_sort_compile_time_verifier_archINS1_11comp_targetILNS1_3genE5ELNS1_11target_archE942ELNS1_3gpuE9ELNS1_3repE0EEES8_NS1_28merge_sort_block_sort_configILj256ELj4ELNS0_20block_sort_algorithmE0EEENS0_14default_configENS1_37merge_sort_block_sort_config_selectorIiNS0_10empty_typeEEENS1_38merge_sort_block_merge_config_selectorIiSE_EEEEvv,@function
_ZN7rocprim17ROCPRIM_400000_NS6detail44device_merge_sort_compile_time_verifier_archINS1_11comp_targetILNS1_3genE5ELNS1_11target_archE942ELNS1_3gpuE9ELNS1_3repE0EEES8_NS1_28merge_sort_block_sort_configILj256ELj4ELNS0_20block_sort_algorithmE0EEENS0_14default_configENS1_37merge_sort_block_sort_config_selectorIiNS0_10empty_typeEEENS1_38merge_sort_block_merge_config_selectorIiSE_EEEEvv: ; @_ZN7rocprim17ROCPRIM_400000_NS6detail44device_merge_sort_compile_time_verifier_archINS1_11comp_targetILNS1_3genE5ELNS1_11target_archE942ELNS1_3gpuE9ELNS1_3repE0EEES8_NS1_28merge_sort_block_sort_configILj256ELj4ELNS0_20block_sort_algorithmE0EEENS0_14default_configENS1_37merge_sort_block_sort_config_selectorIiNS0_10empty_typeEEENS1_38merge_sort_block_merge_config_selectorIiSE_EEEEvv
; %bb.0:
	s_endpgm
	.section	.rodata,"a",@progbits
	.p2align	6, 0x0
	.amdhsa_kernel _ZN7rocprim17ROCPRIM_400000_NS6detail44device_merge_sort_compile_time_verifier_archINS1_11comp_targetILNS1_3genE5ELNS1_11target_archE942ELNS1_3gpuE9ELNS1_3repE0EEES8_NS1_28merge_sort_block_sort_configILj256ELj4ELNS0_20block_sort_algorithmE0EEENS0_14default_configENS1_37merge_sort_block_sort_config_selectorIiNS0_10empty_typeEEENS1_38merge_sort_block_merge_config_selectorIiSE_EEEEvv
		.amdhsa_group_segment_fixed_size 0
		.amdhsa_private_segment_fixed_size 0
		.amdhsa_kernarg_size 0
		.amdhsa_user_sgpr_count 4
		.amdhsa_user_sgpr_private_segment_buffer 1
		.amdhsa_user_sgpr_dispatch_ptr 0
		.amdhsa_user_sgpr_queue_ptr 0
		.amdhsa_user_sgpr_kernarg_segment_ptr 0
		.amdhsa_user_sgpr_dispatch_id 0
		.amdhsa_user_sgpr_flat_scratch_init 0
		.amdhsa_user_sgpr_private_segment_size 0
		.amdhsa_wavefront_size32 1
		.amdhsa_uses_dynamic_stack 0
		.amdhsa_system_sgpr_private_segment_wavefront_offset 0
		.amdhsa_system_sgpr_workgroup_id_x 1
		.amdhsa_system_sgpr_workgroup_id_y 0
		.amdhsa_system_sgpr_workgroup_id_z 0
		.amdhsa_system_sgpr_workgroup_info 0
		.amdhsa_system_vgpr_workitem_id 0
		.amdhsa_next_free_vgpr 1
		.amdhsa_next_free_sgpr 1
		.amdhsa_reserve_vcc 0
		.amdhsa_reserve_flat_scratch 0
		.amdhsa_float_round_mode_32 0
		.amdhsa_float_round_mode_16_64 0
		.amdhsa_float_denorm_mode_32 3
		.amdhsa_float_denorm_mode_16_64 3
		.amdhsa_dx10_clamp 1
		.amdhsa_ieee_mode 1
		.amdhsa_fp16_overflow 0
		.amdhsa_workgroup_processor_mode 1
		.amdhsa_memory_ordered 1
		.amdhsa_forward_progress 1
		.amdhsa_shared_vgpr_count 0
		.amdhsa_exception_fp_ieee_invalid_op 0
		.amdhsa_exception_fp_denorm_src 0
		.amdhsa_exception_fp_ieee_div_zero 0
		.amdhsa_exception_fp_ieee_overflow 0
		.amdhsa_exception_fp_ieee_underflow 0
		.amdhsa_exception_fp_ieee_inexact 0
		.amdhsa_exception_int_div_zero 0
	.end_amdhsa_kernel
	.section	.text._ZN7rocprim17ROCPRIM_400000_NS6detail44device_merge_sort_compile_time_verifier_archINS1_11comp_targetILNS1_3genE5ELNS1_11target_archE942ELNS1_3gpuE9ELNS1_3repE0EEES8_NS1_28merge_sort_block_sort_configILj256ELj4ELNS0_20block_sort_algorithmE0EEENS0_14default_configENS1_37merge_sort_block_sort_config_selectorIiNS0_10empty_typeEEENS1_38merge_sort_block_merge_config_selectorIiSE_EEEEvv,"axG",@progbits,_ZN7rocprim17ROCPRIM_400000_NS6detail44device_merge_sort_compile_time_verifier_archINS1_11comp_targetILNS1_3genE5ELNS1_11target_archE942ELNS1_3gpuE9ELNS1_3repE0EEES8_NS1_28merge_sort_block_sort_configILj256ELj4ELNS0_20block_sort_algorithmE0EEENS0_14default_configENS1_37merge_sort_block_sort_config_selectorIiNS0_10empty_typeEEENS1_38merge_sort_block_merge_config_selectorIiSE_EEEEvv,comdat
.Lfunc_end1104:
	.size	_ZN7rocprim17ROCPRIM_400000_NS6detail44device_merge_sort_compile_time_verifier_archINS1_11comp_targetILNS1_3genE5ELNS1_11target_archE942ELNS1_3gpuE9ELNS1_3repE0EEES8_NS1_28merge_sort_block_sort_configILj256ELj4ELNS0_20block_sort_algorithmE0EEENS0_14default_configENS1_37merge_sort_block_sort_config_selectorIiNS0_10empty_typeEEENS1_38merge_sort_block_merge_config_selectorIiSE_EEEEvv, .Lfunc_end1104-_ZN7rocprim17ROCPRIM_400000_NS6detail44device_merge_sort_compile_time_verifier_archINS1_11comp_targetILNS1_3genE5ELNS1_11target_archE942ELNS1_3gpuE9ELNS1_3repE0EEES8_NS1_28merge_sort_block_sort_configILj256ELj4ELNS0_20block_sort_algorithmE0EEENS0_14default_configENS1_37merge_sort_block_sort_config_selectorIiNS0_10empty_typeEEENS1_38merge_sort_block_merge_config_selectorIiSE_EEEEvv
                                        ; -- End function
	.set _ZN7rocprim17ROCPRIM_400000_NS6detail44device_merge_sort_compile_time_verifier_archINS1_11comp_targetILNS1_3genE5ELNS1_11target_archE942ELNS1_3gpuE9ELNS1_3repE0EEES8_NS1_28merge_sort_block_sort_configILj256ELj4ELNS0_20block_sort_algorithmE0EEENS0_14default_configENS1_37merge_sort_block_sort_config_selectorIiNS0_10empty_typeEEENS1_38merge_sort_block_merge_config_selectorIiSE_EEEEvv.num_vgpr, 0
	.set _ZN7rocprim17ROCPRIM_400000_NS6detail44device_merge_sort_compile_time_verifier_archINS1_11comp_targetILNS1_3genE5ELNS1_11target_archE942ELNS1_3gpuE9ELNS1_3repE0EEES8_NS1_28merge_sort_block_sort_configILj256ELj4ELNS0_20block_sort_algorithmE0EEENS0_14default_configENS1_37merge_sort_block_sort_config_selectorIiNS0_10empty_typeEEENS1_38merge_sort_block_merge_config_selectorIiSE_EEEEvv.num_agpr, 0
	.set _ZN7rocprim17ROCPRIM_400000_NS6detail44device_merge_sort_compile_time_verifier_archINS1_11comp_targetILNS1_3genE5ELNS1_11target_archE942ELNS1_3gpuE9ELNS1_3repE0EEES8_NS1_28merge_sort_block_sort_configILj256ELj4ELNS0_20block_sort_algorithmE0EEENS0_14default_configENS1_37merge_sort_block_sort_config_selectorIiNS0_10empty_typeEEENS1_38merge_sort_block_merge_config_selectorIiSE_EEEEvv.numbered_sgpr, 0
	.set _ZN7rocprim17ROCPRIM_400000_NS6detail44device_merge_sort_compile_time_verifier_archINS1_11comp_targetILNS1_3genE5ELNS1_11target_archE942ELNS1_3gpuE9ELNS1_3repE0EEES8_NS1_28merge_sort_block_sort_configILj256ELj4ELNS0_20block_sort_algorithmE0EEENS0_14default_configENS1_37merge_sort_block_sort_config_selectorIiNS0_10empty_typeEEENS1_38merge_sort_block_merge_config_selectorIiSE_EEEEvv.num_named_barrier, 0
	.set _ZN7rocprim17ROCPRIM_400000_NS6detail44device_merge_sort_compile_time_verifier_archINS1_11comp_targetILNS1_3genE5ELNS1_11target_archE942ELNS1_3gpuE9ELNS1_3repE0EEES8_NS1_28merge_sort_block_sort_configILj256ELj4ELNS0_20block_sort_algorithmE0EEENS0_14default_configENS1_37merge_sort_block_sort_config_selectorIiNS0_10empty_typeEEENS1_38merge_sort_block_merge_config_selectorIiSE_EEEEvv.private_seg_size, 0
	.set _ZN7rocprim17ROCPRIM_400000_NS6detail44device_merge_sort_compile_time_verifier_archINS1_11comp_targetILNS1_3genE5ELNS1_11target_archE942ELNS1_3gpuE9ELNS1_3repE0EEES8_NS1_28merge_sort_block_sort_configILj256ELj4ELNS0_20block_sort_algorithmE0EEENS0_14default_configENS1_37merge_sort_block_sort_config_selectorIiNS0_10empty_typeEEENS1_38merge_sort_block_merge_config_selectorIiSE_EEEEvv.uses_vcc, 0
	.set _ZN7rocprim17ROCPRIM_400000_NS6detail44device_merge_sort_compile_time_verifier_archINS1_11comp_targetILNS1_3genE5ELNS1_11target_archE942ELNS1_3gpuE9ELNS1_3repE0EEES8_NS1_28merge_sort_block_sort_configILj256ELj4ELNS0_20block_sort_algorithmE0EEENS0_14default_configENS1_37merge_sort_block_sort_config_selectorIiNS0_10empty_typeEEENS1_38merge_sort_block_merge_config_selectorIiSE_EEEEvv.uses_flat_scratch, 0
	.set _ZN7rocprim17ROCPRIM_400000_NS6detail44device_merge_sort_compile_time_verifier_archINS1_11comp_targetILNS1_3genE5ELNS1_11target_archE942ELNS1_3gpuE9ELNS1_3repE0EEES8_NS1_28merge_sort_block_sort_configILj256ELj4ELNS0_20block_sort_algorithmE0EEENS0_14default_configENS1_37merge_sort_block_sort_config_selectorIiNS0_10empty_typeEEENS1_38merge_sort_block_merge_config_selectorIiSE_EEEEvv.has_dyn_sized_stack, 0
	.set _ZN7rocprim17ROCPRIM_400000_NS6detail44device_merge_sort_compile_time_verifier_archINS1_11comp_targetILNS1_3genE5ELNS1_11target_archE942ELNS1_3gpuE9ELNS1_3repE0EEES8_NS1_28merge_sort_block_sort_configILj256ELj4ELNS0_20block_sort_algorithmE0EEENS0_14default_configENS1_37merge_sort_block_sort_config_selectorIiNS0_10empty_typeEEENS1_38merge_sort_block_merge_config_selectorIiSE_EEEEvv.has_recursion, 0
	.set _ZN7rocprim17ROCPRIM_400000_NS6detail44device_merge_sort_compile_time_verifier_archINS1_11comp_targetILNS1_3genE5ELNS1_11target_archE942ELNS1_3gpuE9ELNS1_3repE0EEES8_NS1_28merge_sort_block_sort_configILj256ELj4ELNS0_20block_sort_algorithmE0EEENS0_14default_configENS1_37merge_sort_block_sort_config_selectorIiNS0_10empty_typeEEENS1_38merge_sort_block_merge_config_selectorIiSE_EEEEvv.has_indirect_call, 0
	.section	.AMDGPU.csdata,"",@progbits
; Kernel info:
; codeLenInByte = 4
; TotalNumSgprs: 0
; NumVgprs: 0
; ScratchSize: 0
; MemoryBound: 0
; FloatMode: 240
; IeeeMode: 1
; LDSByteSize: 0 bytes/workgroup (compile time only)
; SGPRBlocks: 0
; VGPRBlocks: 0
; NumSGPRsForWavesPerEU: 1
; NumVGPRsForWavesPerEU: 1
; Occupancy: 16
; WaveLimiterHint : 0
; COMPUTE_PGM_RSRC2:SCRATCH_EN: 0
; COMPUTE_PGM_RSRC2:USER_SGPR: 4
; COMPUTE_PGM_RSRC2:TRAP_HANDLER: 0
; COMPUTE_PGM_RSRC2:TGID_X_EN: 1
; COMPUTE_PGM_RSRC2:TGID_Y_EN: 0
; COMPUTE_PGM_RSRC2:TGID_Z_EN: 0
; COMPUTE_PGM_RSRC2:TIDIG_COMP_CNT: 0
	.section	.text._ZN7rocprim17ROCPRIM_400000_NS6detail44device_merge_sort_compile_time_verifier_archINS1_11comp_targetILNS1_3genE4ELNS1_11target_archE910ELNS1_3gpuE8ELNS1_3repE0EEES8_NS1_28merge_sort_block_sort_configILj256ELj4ELNS0_20block_sort_algorithmE0EEENS0_14default_configENS1_37merge_sort_block_sort_config_selectorIiNS0_10empty_typeEEENS1_38merge_sort_block_merge_config_selectorIiSE_EEEEvv,"axG",@progbits,_ZN7rocprim17ROCPRIM_400000_NS6detail44device_merge_sort_compile_time_verifier_archINS1_11comp_targetILNS1_3genE4ELNS1_11target_archE910ELNS1_3gpuE8ELNS1_3repE0EEES8_NS1_28merge_sort_block_sort_configILj256ELj4ELNS0_20block_sort_algorithmE0EEENS0_14default_configENS1_37merge_sort_block_sort_config_selectorIiNS0_10empty_typeEEENS1_38merge_sort_block_merge_config_selectorIiSE_EEEEvv,comdat
	.protected	_ZN7rocprim17ROCPRIM_400000_NS6detail44device_merge_sort_compile_time_verifier_archINS1_11comp_targetILNS1_3genE4ELNS1_11target_archE910ELNS1_3gpuE8ELNS1_3repE0EEES8_NS1_28merge_sort_block_sort_configILj256ELj4ELNS0_20block_sort_algorithmE0EEENS0_14default_configENS1_37merge_sort_block_sort_config_selectorIiNS0_10empty_typeEEENS1_38merge_sort_block_merge_config_selectorIiSE_EEEEvv ; -- Begin function _ZN7rocprim17ROCPRIM_400000_NS6detail44device_merge_sort_compile_time_verifier_archINS1_11comp_targetILNS1_3genE4ELNS1_11target_archE910ELNS1_3gpuE8ELNS1_3repE0EEES8_NS1_28merge_sort_block_sort_configILj256ELj4ELNS0_20block_sort_algorithmE0EEENS0_14default_configENS1_37merge_sort_block_sort_config_selectorIiNS0_10empty_typeEEENS1_38merge_sort_block_merge_config_selectorIiSE_EEEEvv
	.globl	_ZN7rocprim17ROCPRIM_400000_NS6detail44device_merge_sort_compile_time_verifier_archINS1_11comp_targetILNS1_3genE4ELNS1_11target_archE910ELNS1_3gpuE8ELNS1_3repE0EEES8_NS1_28merge_sort_block_sort_configILj256ELj4ELNS0_20block_sort_algorithmE0EEENS0_14default_configENS1_37merge_sort_block_sort_config_selectorIiNS0_10empty_typeEEENS1_38merge_sort_block_merge_config_selectorIiSE_EEEEvv
	.p2align	8
	.type	_ZN7rocprim17ROCPRIM_400000_NS6detail44device_merge_sort_compile_time_verifier_archINS1_11comp_targetILNS1_3genE4ELNS1_11target_archE910ELNS1_3gpuE8ELNS1_3repE0EEES8_NS1_28merge_sort_block_sort_configILj256ELj4ELNS0_20block_sort_algorithmE0EEENS0_14default_configENS1_37merge_sort_block_sort_config_selectorIiNS0_10empty_typeEEENS1_38merge_sort_block_merge_config_selectorIiSE_EEEEvv,@function
_ZN7rocprim17ROCPRIM_400000_NS6detail44device_merge_sort_compile_time_verifier_archINS1_11comp_targetILNS1_3genE4ELNS1_11target_archE910ELNS1_3gpuE8ELNS1_3repE0EEES8_NS1_28merge_sort_block_sort_configILj256ELj4ELNS0_20block_sort_algorithmE0EEENS0_14default_configENS1_37merge_sort_block_sort_config_selectorIiNS0_10empty_typeEEENS1_38merge_sort_block_merge_config_selectorIiSE_EEEEvv: ; @_ZN7rocprim17ROCPRIM_400000_NS6detail44device_merge_sort_compile_time_verifier_archINS1_11comp_targetILNS1_3genE4ELNS1_11target_archE910ELNS1_3gpuE8ELNS1_3repE0EEES8_NS1_28merge_sort_block_sort_configILj256ELj4ELNS0_20block_sort_algorithmE0EEENS0_14default_configENS1_37merge_sort_block_sort_config_selectorIiNS0_10empty_typeEEENS1_38merge_sort_block_merge_config_selectorIiSE_EEEEvv
; %bb.0:
	s_endpgm
	.section	.rodata,"a",@progbits
	.p2align	6, 0x0
	.amdhsa_kernel _ZN7rocprim17ROCPRIM_400000_NS6detail44device_merge_sort_compile_time_verifier_archINS1_11comp_targetILNS1_3genE4ELNS1_11target_archE910ELNS1_3gpuE8ELNS1_3repE0EEES8_NS1_28merge_sort_block_sort_configILj256ELj4ELNS0_20block_sort_algorithmE0EEENS0_14default_configENS1_37merge_sort_block_sort_config_selectorIiNS0_10empty_typeEEENS1_38merge_sort_block_merge_config_selectorIiSE_EEEEvv
		.amdhsa_group_segment_fixed_size 0
		.amdhsa_private_segment_fixed_size 0
		.amdhsa_kernarg_size 0
		.amdhsa_user_sgpr_count 4
		.amdhsa_user_sgpr_private_segment_buffer 1
		.amdhsa_user_sgpr_dispatch_ptr 0
		.amdhsa_user_sgpr_queue_ptr 0
		.amdhsa_user_sgpr_kernarg_segment_ptr 0
		.amdhsa_user_sgpr_dispatch_id 0
		.amdhsa_user_sgpr_flat_scratch_init 0
		.amdhsa_user_sgpr_private_segment_size 0
		.amdhsa_wavefront_size32 1
		.amdhsa_uses_dynamic_stack 0
		.amdhsa_system_sgpr_private_segment_wavefront_offset 0
		.amdhsa_system_sgpr_workgroup_id_x 1
		.amdhsa_system_sgpr_workgroup_id_y 0
		.amdhsa_system_sgpr_workgroup_id_z 0
		.amdhsa_system_sgpr_workgroup_info 0
		.amdhsa_system_vgpr_workitem_id 0
		.amdhsa_next_free_vgpr 1
		.amdhsa_next_free_sgpr 1
		.amdhsa_reserve_vcc 0
		.amdhsa_reserve_flat_scratch 0
		.amdhsa_float_round_mode_32 0
		.amdhsa_float_round_mode_16_64 0
		.amdhsa_float_denorm_mode_32 3
		.amdhsa_float_denorm_mode_16_64 3
		.amdhsa_dx10_clamp 1
		.amdhsa_ieee_mode 1
		.amdhsa_fp16_overflow 0
		.amdhsa_workgroup_processor_mode 1
		.amdhsa_memory_ordered 1
		.amdhsa_forward_progress 1
		.amdhsa_shared_vgpr_count 0
		.amdhsa_exception_fp_ieee_invalid_op 0
		.amdhsa_exception_fp_denorm_src 0
		.amdhsa_exception_fp_ieee_div_zero 0
		.amdhsa_exception_fp_ieee_overflow 0
		.amdhsa_exception_fp_ieee_underflow 0
		.amdhsa_exception_fp_ieee_inexact 0
		.amdhsa_exception_int_div_zero 0
	.end_amdhsa_kernel
	.section	.text._ZN7rocprim17ROCPRIM_400000_NS6detail44device_merge_sort_compile_time_verifier_archINS1_11comp_targetILNS1_3genE4ELNS1_11target_archE910ELNS1_3gpuE8ELNS1_3repE0EEES8_NS1_28merge_sort_block_sort_configILj256ELj4ELNS0_20block_sort_algorithmE0EEENS0_14default_configENS1_37merge_sort_block_sort_config_selectorIiNS0_10empty_typeEEENS1_38merge_sort_block_merge_config_selectorIiSE_EEEEvv,"axG",@progbits,_ZN7rocprim17ROCPRIM_400000_NS6detail44device_merge_sort_compile_time_verifier_archINS1_11comp_targetILNS1_3genE4ELNS1_11target_archE910ELNS1_3gpuE8ELNS1_3repE0EEES8_NS1_28merge_sort_block_sort_configILj256ELj4ELNS0_20block_sort_algorithmE0EEENS0_14default_configENS1_37merge_sort_block_sort_config_selectorIiNS0_10empty_typeEEENS1_38merge_sort_block_merge_config_selectorIiSE_EEEEvv,comdat
.Lfunc_end1105:
	.size	_ZN7rocprim17ROCPRIM_400000_NS6detail44device_merge_sort_compile_time_verifier_archINS1_11comp_targetILNS1_3genE4ELNS1_11target_archE910ELNS1_3gpuE8ELNS1_3repE0EEES8_NS1_28merge_sort_block_sort_configILj256ELj4ELNS0_20block_sort_algorithmE0EEENS0_14default_configENS1_37merge_sort_block_sort_config_selectorIiNS0_10empty_typeEEENS1_38merge_sort_block_merge_config_selectorIiSE_EEEEvv, .Lfunc_end1105-_ZN7rocprim17ROCPRIM_400000_NS6detail44device_merge_sort_compile_time_verifier_archINS1_11comp_targetILNS1_3genE4ELNS1_11target_archE910ELNS1_3gpuE8ELNS1_3repE0EEES8_NS1_28merge_sort_block_sort_configILj256ELj4ELNS0_20block_sort_algorithmE0EEENS0_14default_configENS1_37merge_sort_block_sort_config_selectorIiNS0_10empty_typeEEENS1_38merge_sort_block_merge_config_selectorIiSE_EEEEvv
                                        ; -- End function
	.set _ZN7rocprim17ROCPRIM_400000_NS6detail44device_merge_sort_compile_time_verifier_archINS1_11comp_targetILNS1_3genE4ELNS1_11target_archE910ELNS1_3gpuE8ELNS1_3repE0EEES8_NS1_28merge_sort_block_sort_configILj256ELj4ELNS0_20block_sort_algorithmE0EEENS0_14default_configENS1_37merge_sort_block_sort_config_selectorIiNS0_10empty_typeEEENS1_38merge_sort_block_merge_config_selectorIiSE_EEEEvv.num_vgpr, 0
	.set _ZN7rocprim17ROCPRIM_400000_NS6detail44device_merge_sort_compile_time_verifier_archINS1_11comp_targetILNS1_3genE4ELNS1_11target_archE910ELNS1_3gpuE8ELNS1_3repE0EEES8_NS1_28merge_sort_block_sort_configILj256ELj4ELNS0_20block_sort_algorithmE0EEENS0_14default_configENS1_37merge_sort_block_sort_config_selectorIiNS0_10empty_typeEEENS1_38merge_sort_block_merge_config_selectorIiSE_EEEEvv.num_agpr, 0
	.set _ZN7rocprim17ROCPRIM_400000_NS6detail44device_merge_sort_compile_time_verifier_archINS1_11comp_targetILNS1_3genE4ELNS1_11target_archE910ELNS1_3gpuE8ELNS1_3repE0EEES8_NS1_28merge_sort_block_sort_configILj256ELj4ELNS0_20block_sort_algorithmE0EEENS0_14default_configENS1_37merge_sort_block_sort_config_selectorIiNS0_10empty_typeEEENS1_38merge_sort_block_merge_config_selectorIiSE_EEEEvv.numbered_sgpr, 0
	.set _ZN7rocprim17ROCPRIM_400000_NS6detail44device_merge_sort_compile_time_verifier_archINS1_11comp_targetILNS1_3genE4ELNS1_11target_archE910ELNS1_3gpuE8ELNS1_3repE0EEES8_NS1_28merge_sort_block_sort_configILj256ELj4ELNS0_20block_sort_algorithmE0EEENS0_14default_configENS1_37merge_sort_block_sort_config_selectorIiNS0_10empty_typeEEENS1_38merge_sort_block_merge_config_selectorIiSE_EEEEvv.num_named_barrier, 0
	.set _ZN7rocprim17ROCPRIM_400000_NS6detail44device_merge_sort_compile_time_verifier_archINS1_11comp_targetILNS1_3genE4ELNS1_11target_archE910ELNS1_3gpuE8ELNS1_3repE0EEES8_NS1_28merge_sort_block_sort_configILj256ELj4ELNS0_20block_sort_algorithmE0EEENS0_14default_configENS1_37merge_sort_block_sort_config_selectorIiNS0_10empty_typeEEENS1_38merge_sort_block_merge_config_selectorIiSE_EEEEvv.private_seg_size, 0
	.set _ZN7rocprim17ROCPRIM_400000_NS6detail44device_merge_sort_compile_time_verifier_archINS1_11comp_targetILNS1_3genE4ELNS1_11target_archE910ELNS1_3gpuE8ELNS1_3repE0EEES8_NS1_28merge_sort_block_sort_configILj256ELj4ELNS0_20block_sort_algorithmE0EEENS0_14default_configENS1_37merge_sort_block_sort_config_selectorIiNS0_10empty_typeEEENS1_38merge_sort_block_merge_config_selectorIiSE_EEEEvv.uses_vcc, 0
	.set _ZN7rocprim17ROCPRIM_400000_NS6detail44device_merge_sort_compile_time_verifier_archINS1_11comp_targetILNS1_3genE4ELNS1_11target_archE910ELNS1_3gpuE8ELNS1_3repE0EEES8_NS1_28merge_sort_block_sort_configILj256ELj4ELNS0_20block_sort_algorithmE0EEENS0_14default_configENS1_37merge_sort_block_sort_config_selectorIiNS0_10empty_typeEEENS1_38merge_sort_block_merge_config_selectorIiSE_EEEEvv.uses_flat_scratch, 0
	.set _ZN7rocprim17ROCPRIM_400000_NS6detail44device_merge_sort_compile_time_verifier_archINS1_11comp_targetILNS1_3genE4ELNS1_11target_archE910ELNS1_3gpuE8ELNS1_3repE0EEES8_NS1_28merge_sort_block_sort_configILj256ELj4ELNS0_20block_sort_algorithmE0EEENS0_14default_configENS1_37merge_sort_block_sort_config_selectorIiNS0_10empty_typeEEENS1_38merge_sort_block_merge_config_selectorIiSE_EEEEvv.has_dyn_sized_stack, 0
	.set _ZN7rocprim17ROCPRIM_400000_NS6detail44device_merge_sort_compile_time_verifier_archINS1_11comp_targetILNS1_3genE4ELNS1_11target_archE910ELNS1_3gpuE8ELNS1_3repE0EEES8_NS1_28merge_sort_block_sort_configILj256ELj4ELNS0_20block_sort_algorithmE0EEENS0_14default_configENS1_37merge_sort_block_sort_config_selectorIiNS0_10empty_typeEEENS1_38merge_sort_block_merge_config_selectorIiSE_EEEEvv.has_recursion, 0
	.set _ZN7rocprim17ROCPRIM_400000_NS6detail44device_merge_sort_compile_time_verifier_archINS1_11comp_targetILNS1_3genE4ELNS1_11target_archE910ELNS1_3gpuE8ELNS1_3repE0EEES8_NS1_28merge_sort_block_sort_configILj256ELj4ELNS0_20block_sort_algorithmE0EEENS0_14default_configENS1_37merge_sort_block_sort_config_selectorIiNS0_10empty_typeEEENS1_38merge_sort_block_merge_config_selectorIiSE_EEEEvv.has_indirect_call, 0
	.section	.AMDGPU.csdata,"",@progbits
; Kernel info:
; codeLenInByte = 4
; TotalNumSgprs: 0
; NumVgprs: 0
; ScratchSize: 0
; MemoryBound: 0
; FloatMode: 240
; IeeeMode: 1
; LDSByteSize: 0 bytes/workgroup (compile time only)
; SGPRBlocks: 0
; VGPRBlocks: 0
; NumSGPRsForWavesPerEU: 1
; NumVGPRsForWavesPerEU: 1
; Occupancy: 16
; WaveLimiterHint : 0
; COMPUTE_PGM_RSRC2:SCRATCH_EN: 0
; COMPUTE_PGM_RSRC2:USER_SGPR: 4
; COMPUTE_PGM_RSRC2:TRAP_HANDLER: 0
; COMPUTE_PGM_RSRC2:TGID_X_EN: 1
; COMPUTE_PGM_RSRC2:TGID_Y_EN: 0
; COMPUTE_PGM_RSRC2:TGID_Z_EN: 0
; COMPUTE_PGM_RSRC2:TIDIG_COMP_CNT: 0
	.section	.text._ZN7rocprim17ROCPRIM_400000_NS6detail44device_merge_sort_compile_time_verifier_archINS1_11comp_targetILNS1_3genE3ELNS1_11target_archE908ELNS1_3gpuE7ELNS1_3repE0EEES8_NS1_28merge_sort_block_sort_configILj256ELj4ELNS0_20block_sort_algorithmE0EEENS0_14default_configENS1_37merge_sort_block_sort_config_selectorIiNS0_10empty_typeEEENS1_38merge_sort_block_merge_config_selectorIiSE_EEEEvv,"axG",@progbits,_ZN7rocprim17ROCPRIM_400000_NS6detail44device_merge_sort_compile_time_verifier_archINS1_11comp_targetILNS1_3genE3ELNS1_11target_archE908ELNS1_3gpuE7ELNS1_3repE0EEES8_NS1_28merge_sort_block_sort_configILj256ELj4ELNS0_20block_sort_algorithmE0EEENS0_14default_configENS1_37merge_sort_block_sort_config_selectorIiNS0_10empty_typeEEENS1_38merge_sort_block_merge_config_selectorIiSE_EEEEvv,comdat
	.protected	_ZN7rocprim17ROCPRIM_400000_NS6detail44device_merge_sort_compile_time_verifier_archINS1_11comp_targetILNS1_3genE3ELNS1_11target_archE908ELNS1_3gpuE7ELNS1_3repE0EEES8_NS1_28merge_sort_block_sort_configILj256ELj4ELNS0_20block_sort_algorithmE0EEENS0_14default_configENS1_37merge_sort_block_sort_config_selectorIiNS0_10empty_typeEEENS1_38merge_sort_block_merge_config_selectorIiSE_EEEEvv ; -- Begin function _ZN7rocprim17ROCPRIM_400000_NS6detail44device_merge_sort_compile_time_verifier_archINS1_11comp_targetILNS1_3genE3ELNS1_11target_archE908ELNS1_3gpuE7ELNS1_3repE0EEES8_NS1_28merge_sort_block_sort_configILj256ELj4ELNS0_20block_sort_algorithmE0EEENS0_14default_configENS1_37merge_sort_block_sort_config_selectorIiNS0_10empty_typeEEENS1_38merge_sort_block_merge_config_selectorIiSE_EEEEvv
	.globl	_ZN7rocprim17ROCPRIM_400000_NS6detail44device_merge_sort_compile_time_verifier_archINS1_11comp_targetILNS1_3genE3ELNS1_11target_archE908ELNS1_3gpuE7ELNS1_3repE0EEES8_NS1_28merge_sort_block_sort_configILj256ELj4ELNS0_20block_sort_algorithmE0EEENS0_14default_configENS1_37merge_sort_block_sort_config_selectorIiNS0_10empty_typeEEENS1_38merge_sort_block_merge_config_selectorIiSE_EEEEvv
	.p2align	8
	.type	_ZN7rocprim17ROCPRIM_400000_NS6detail44device_merge_sort_compile_time_verifier_archINS1_11comp_targetILNS1_3genE3ELNS1_11target_archE908ELNS1_3gpuE7ELNS1_3repE0EEES8_NS1_28merge_sort_block_sort_configILj256ELj4ELNS0_20block_sort_algorithmE0EEENS0_14default_configENS1_37merge_sort_block_sort_config_selectorIiNS0_10empty_typeEEENS1_38merge_sort_block_merge_config_selectorIiSE_EEEEvv,@function
_ZN7rocprim17ROCPRIM_400000_NS6detail44device_merge_sort_compile_time_verifier_archINS1_11comp_targetILNS1_3genE3ELNS1_11target_archE908ELNS1_3gpuE7ELNS1_3repE0EEES8_NS1_28merge_sort_block_sort_configILj256ELj4ELNS0_20block_sort_algorithmE0EEENS0_14default_configENS1_37merge_sort_block_sort_config_selectorIiNS0_10empty_typeEEENS1_38merge_sort_block_merge_config_selectorIiSE_EEEEvv: ; @_ZN7rocprim17ROCPRIM_400000_NS6detail44device_merge_sort_compile_time_verifier_archINS1_11comp_targetILNS1_3genE3ELNS1_11target_archE908ELNS1_3gpuE7ELNS1_3repE0EEES8_NS1_28merge_sort_block_sort_configILj256ELj4ELNS0_20block_sort_algorithmE0EEENS0_14default_configENS1_37merge_sort_block_sort_config_selectorIiNS0_10empty_typeEEENS1_38merge_sort_block_merge_config_selectorIiSE_EEEEvv
; %bb.0:
	s_endpgm
	.section	.rodata,"a",@progbits
	.p2align	6, 0x0
	.amdhsa_kernel _ZN7rocprim17ROCPRIM_400000_NS6detail44device_merge_sort_compile_time_verifier_archINS1_11comp_targetILNS1_3genE3ELNS1_11target_archE908ELNS1_3gpuE7ELNS1_3repE0EEES8_NS1_28merge_sort_block_sort_configILj256ELj4ELNS0_20block_sort_algorithmE0EEENS0_14default_configENS1_37merge_sort_block_sort_config_selectorIiNS0_10empty_typeEEENS1_38merge_sort_block_merge_config_selectorIiSE_EEEEvv
		.amdhsa_group_segment_fixed_size 0
		.amdhsa_private_segment_fixed_size 0
		.amdhsa_kernarg_size 0
		.amdhsa_user_sgpr_count 4
		.amdhsa_user_sgpr_private_segment_buffer 1
		.amdhsa_user_sgpr_dispatch_ptr 0
		.amdhsa_user_sgpr_queue_ptr 0
		.amdhsa_user_sgpr_kernarg_segment_ptr 0
		.amdhsa_user_sgpr_dispatch_id 0
		.amdhsa_user_sgpr_flat_scratch_init 0
		.amdhsa_user_sgpr_private_segment_size 0
		.amdhsa_wavefront_size32 1
		.amdhsa_uses_dynamic_stack 0
		.amdhsa_system_sgpr_private_segment_wavefront_offset 0
		.amdhsa_system_sgpr_workgroup_id_x 1
		.amdhsa_system_sgpr_workgroup_id_y 0
		.amdhsa_system_sgpr_workgroup_id_z 0
		.amdhsa_system_sgpr_workgroup_info 0
		.amdhsa_system_vgpr_workitem_id 0
		.amdhsa_next_free_vgpr 1
		.amdhsa_next_free_sgpr 1
		.amdhsa_reserve_vcc 0
		.amdhsa_reserve_flat_scratch 0
		.amdhsa_float_round_mode_32 0
		.amdhsa_float_round_mode_16_64 0
		.amdhsa_float_denorm_mode_32 3
		.amdhsa_float_denorm_mode_16_64 3
		.amdhsa_dx10_clamp 1
		.amdhsa_ieee_mode 1
		.amdhsa_fp16_overflow 0
		.amdhsa_workgroup_processor_mode 1
		.amdhsa_memory_ordered 1
		.amdhsa_forward_progress 1
		.amdhsa_shared_vgpr_count 0
		.amdhsa_exception_fp_ieee_invalid_op 0
		.amdhsa_exception_fp_denorm_src 0
		.amdhsa_exception_fp_ieee_div_zero 0
		.amdhsa_exception_fp_ieee_overflow 0
		.amdhsa_exception_fp_ieee_underflow 0
		.amdhsa_exception_fp_ieee_inexact 0
		.amdhsa_exception_int_div_zero 0
	.end_amdhsa_kernel
	.section	.text._ZN7rocprim17ROCPRIM_400000_NS6detail44device_merge_sort_compile_time_verifier_archINS1_11comp_targetILNS1_3genE3ELNS1_11target_archE908ELNS1_3gpuE7ELNS1_3repE0EEES8_NS1_28merge_sort_block_sort_configILj256ELj4ELNS0_20block_sort_algorithmE0EEENS0_14default_configENS1_37merge_sort_block_sort_config_selectorIiNS0_10empty_typeEEENS1_38merge_sort_block_merge_config_selectorIiSE_EEEEvv,"axG",@progbits,_ZN7rocprim17ROCPRIM_400000_NS6detail44device_merge_sort_compile_time_verifier_archINS1_11comp_targetILNS1_3genE3ELNS1_11target_archE908ELNS1_3gpuE7ELNS1_3repE0EEES8_NS1_28merge_sort_block_sort_configILj256ELj4ELNS0_20block_sort_algorithmE0EEENS0_14default_configENS1_37merge_sort_block_sort_config_selectorIiNS0_10empty_typeEEENS1_38merge_sort_block_merge_config_selectorIiSE_EEEEvv,comdat
.Lfunc_end1106:
	.size	_ZN7rocprim17ROCPRIM_400000_NS6detail44device_merge_sort_compile_time_verifier_archINS1_11comp_targetILNS1_3genE3ELNS1_11target_archE908ELNS1_3gpuE7ELNS1_3repE0EEES8_NS1_28merge_sort_block_sort_configILj256ELj4ELNS0_20block_sort_algorithmE0EEENS0_14default_configENS1_37merge_sort_block_sort_config_selectorIiNS0_10empty_typeEEENS1_38merge_sort_block_merge_config_selectorIiSE_EEEEvv, .Lfunc_end1106-_ZN7rocprim17ROCPRIM_400000_NS6detail44device_merge_sort_compile_time_verifier_archINS1_11comp_targetILNS1_3genE3ELNS1_11target_archE908ELNS1_3gpuE7ELNS1_3repE0EEES8_NS1_28merge_sort_block_sort_configILj256ELj4ELNS0_20block_sort_algorithmE0EEENS0_14default_configENS1_37merge_sort_block_sort_config_selectorIiNS0_10empty_typeEEENS1_38merge_sort_block_merge_config_selectorIiSE_EEEEvv
                                        ; -- End function
	.set _ZN7rocprim17ROCPRIM_400000_NS6detail44device_merge_sort_compile_time_verifier_archINS1_11comp_targetILNS1_3genE3ELNS1_11target_archE908ELNS1_3gpuE7ELNS1_3repE0EEES8_NS1_28merge_sort_block_sort_configILj256ELj4ELNS0_20block_sort_algorithmE0EEENS0_14default_configENS1_37merge_sort_block_sort_config_selectorIiNS0_10empty_typeEEENS1_38merge_sort_block_merge_config_selectorIiSE_EEEEvv.num_vgpr, 0
	.set _ZN7rocprim17ROCPRIM_400000_NS6detail44device_merge_sort_compile_time_verifier_archINS1_11comp_targetILNS1_3genE3ELNS1_11target_archE908ELNS1_3gpuE7ELNS1_3repE0EEES8_NS1_28merge_sort_block_sort_configILj256ELj4ELNS0_20block_sort_algorithmE0EEENS0_14default_configENS1_37merge_sort_block_sort_config_selectorIiNS0_10empty_typeEEENS1_38merge_sort_block_merge_config_selectorIiSE_EEEEvv.num_agpr, 0
	.set _ZN7rocprim17ROCPRIM_400000_NS6detail44device_merge_sort_compile_time_verifier_archINS1_11comp_targetILNS1_3genE3ELNS1_11target_archE908ELNS1_3gpuE7ELNS1_3repE0EEES8_NS1_28merge_sort_block_sort_configILj256ELj4ELNS0_20block_sort_algorithmE0EEENS0_14default_configENS1_37merge_sort_block_sort_config_selectorIiNS0_10empty_typeEEENS1_38merge_sort_block_merge_config_selectorIiSE_EEEEvv.numbered_sgpr, 0
	.set _ZN7rocprim17ROCPRIM_400000_NS6detail44device_merge_sort_compile_time_verifier_archINS1_11comp_targetILNS1_3genE3ELNS1_11target_archE908ELNS1_3gpuE7ELNS1_3repE0EEES8_NS1_28merge_sort_block_sort_configILj256ELj4ELNS0_20block_sort_algorithmE0EEENS0_14default_configENS1_37merge_sort_block_sort_config_selectorIiNS0_10empty_typeEEENS1_38merge_sort_block_merge_config_selectorIiSE_EEEEvv.num_named_barrier, 0
	.set _ZN7rocprim17ROCPRIM_400000_NS6detail44device_merge_sort_compile_time_verifier_archINS1_11comp_targetILNS1_3genE3ELNS1_11target_archE908ELNS1_3gpuE7ELNS1_3repE0EEES8_NS1_28merge_sort_block_sort_configILj256ELj4ELNS0_20block_sort_algorithmE0EEENS0_14default_configENS1_37merge_sort_block_sort_config_selectorIiNS0_10empty_typeEEENS1_38merge_sort_block_merge_config_selectorIiSE_EEEEvv.private_seg_size, 0
	.set _ZN7rocprim17ROCPRIM_400000_NS6detail44device_merge_sort_compile_time_verifier_archINS1_11comp_targetILNS1_3genE3ELNS1_11target_archE908ELNS1_3gpuE7ELNS1_3repE0EEES8_NS1_28merge_sort_block_sort_configILj256ELj4ELNS0_20block_sort_algorithmE0EEENS0_14default_configENS1_37merge_sort_block_sort_config_selectorIiNS0_10empty_typeEEENS1_38merge_sort_block_merge_config_selectorIiSE_EEEEvv.uses_vcc, 0
	.set _ZN7rocprim17ROCPRIM_400000_NS6detail44device_merge_sort_compile_time_verifier_archINS1_11comp_targetILNS1_3genE3ELNS1_11target_archE908ELNS1_3gpuE7ELNS1_3repE0EEES8_NS1_28merge_sort_block_sort_configILj256ELj4ELNS0_20block_sort_algorithmE0EEENS0_14default_configENS1_37merge_sort_block_sort_config_selectorIiNS0_10empty_typeEEENS1_38merge_sort_block_merge_config_selectorIiSE_EEEEvv.uses_flat_scratch, 0
	.set _ZN7rocprim17ROCPRIM_400000_NS6detail44device_merge_sort_compile_time_verifier_archINS1_11comp_targetILNS1_3genE3ELNS1_11target_archE908ELNS1_3gpuE7ELNS1_3repE0EEES8_NS1_28merge_sort_block_sort_configILj256ELj4ELNS0_20block_sort_algorithmE0EEENS0_14default_configENS1_37merge_sort_block_sort_config_selectorIiNS0_10empty_typeEEENS1_38merge_sort_block_merge_config_selectorIiSE_EEEEvv.has_dyn_sized_stack, 0
	.set _ZN7rocprim17ROCPRIM_400000_NS6detail44device_merge_sort_compile_time_verifier_archINS1_11comp_targetILNS1_3genE3ELNS1_11target_archE908ELNS1_3gpuE7ELNS1_3repE0EEES8_NS1_28merge_sort_block_sort_configILj256ELj4ELNS0_20block_sort_algorithmE0EEENS0_14default_configENS1_37merge_sort_block_sort_config_selectorIiNS0_10empty_typeEEENS1_38merge_sort_block_merge_config_selectorIiSE_EEEEvv.has_recursion, 0
	.set _ZN7rocprim17ROCPRIM_400000_NS6detail44device_merge_sort_compile_time_verifier_archINS1_11comp_targetILNS1_3genE3ELNS1_11target_archE908ELNS1_3gpuE7ELNS1_3repE0EEES8_NS1_28merge_sort_block_sort_configILj256ELj4ELNS0_20block_sort_algorithmE0EEENS0_14default_configENS1_37merge_sort_block_sort_config_selectorIiNS0_10empty_typeEEENS1_38merge_sort_block_merge_config_selectorIiSE_EEEEvv.has_indirect_call, 0
	.section	.AMDGPU.csdata,"",@progbits
; Kernel info:
; codeLenInByte = 4
; TotalNumSgprs: 0
; NumVgprs: 0
; ScratchSize: 0
; MemoryBound: 0
; FloatMode: 240
; IeeeMode: 1
; LDSByteSize: 0 bytes/workgroup (compile time only)
; SGPRBlocks: 0
; VGPRBlocks: 0
; NumSGPRsForWavesPerEU: 1
; NumVGPRsForWavesPerEU: 1
; Occupancy: 16
; WaveLimiterHint : 0
; COMPUTE_PGM_RSRC2:SCRATCH_EN: 0
; COMPUTE_PGM_RSRC2:USER_SGPR: 4
; COMPUTE_PGM_RSRC2:TRAP_HANDLER: 0
; COMPUTE_PGM_RSRC2:TGID_X_EN: 1
; COMPUTE_PGM_RSRC2:TGID_Y_EN: 0
; COMPUTE_PGM_RSRC2:TGID_Z_EN: 0
; COMPUTE_PGM_RSRC2:TIDIG_COMP_CNT: 0
	.section	.text._ZN7rocprim17ROCPRIM_400000_NS6detail44device_merge_sort_compile_time_verifier_archINS1_11comp_targetILNS1_3genE2ELNS1_11target_archE906ELNS1_3gpuE6ELNS1_3repE0EEES8_NS1_28merge_sort_block_sort_configILj256ELj4ELNS0_20block_sort_algorithmE0EEENS0_14default_configENS1_37merge_sort_block_sort_config_selectorIiNS0_10empty_typeEEENS1_38merge_sort_block_merge_config_selectorIiSE_EEEEvv,"axG",@progbits,_ZN7rocprim17ROCPRIM_400000_NS6detail44device_merge_sort_compile_time_verifier_archINS1_11comp_targetILNS1_3genE2ELNS1_11target_archE906ELNS1_3gpuE6ELNS1_3repE0EEES8_NS1_28merge_sort_block_sort_configILj256ELj4ELNS0_20block_sort_algorithmE0EEENS0_14default_configENS1_37merge_sort_block_sort_config_selectorIiNS0_10empty_typeEEENS1_38merge_sort_block_merge_config_selectorIiSE_EEEEvv,comdat
	.protected	_ZN7rocprim17ROCPRIM_400000_NS6detail44device_merge_sort_compile_time_verifier_archINS1_11comp_targetILNS1_3genE2ELNS1_11target_archE906ELNS1_3gpuE6ELNS1_3repE0EEES8_NS1_28merge_sort_block_sort_configILj256ELj4ELNS0_20block_sort_algorithmE0EEENS0_14default_configENS1_37merge_sort_block_sort_config_selectorIiNS0_10empty_typeEEENS1_38merge_sort_block_merge_config_selectorIiSE_EEEEvv ; -- Begin function _ZN7rocprim17ROCPRIM_400000_NS6detail44device_merge_sort_compile_time_verifier_archINS1_11comp_targetILNS1_3genE2ELNS1_11target_archE906ELNS1_3gpuE6ELNS1_3repE0EEES8_NS1_28merge_sort_block_sort_configILj256ELj4ELNS0_20block_sort_algorithmE0EEENS0_14default_configENS1_37merge_sort_block_sort_config_selectorIiNS0_10empty_typeEEENS1_38merge_sort_block_merge_config_selectorIiSE_EEEEvv
	.globl	_ZN7rocprim17ROCPRIM_400000_NS6detail44device_merge_sort_compile_time_verifier_archINS1_11comp_targetILNS1_3genE2ELNS1_11target_archE906ELNS1_3gpuE6ELNS1_3repE0EEES8_NS1_28merge_sort_block_sort_configILj256ELj4ELNS0_20block_sort_algorithmE0EEENS0_14default_configENS1_37merge_sort_block_sort_config_selectorIiNS0_10empty_typeEEENS1_38merge_sort_block_merge_config_selectorIiSE_EEEEvv
	.p2align	8
	.type	_ZN7rocprim17ROCPRIM_400000_NS6detail44device_merge_sort_compile_time_verifier_archINS1_11comp_targetILNS1_3genE2ELNS1_11target_archE906ELNS1_3gpuE6ELNS1_3repE0EEES8_NS1_28merge_sort_block_sort_configILj256ELj4ELNS0_20block_sort_algorithmE0EEENS0_14default_configENS1_37merge_sort_block_sort_config_selectorIiNS0_10empty_typeEEENS1_38merge_sort_block_merge_config_selectorIiSE_EEEEvv,@function
_ZN7rocprim17ROCPRIM_400000_NS6detail44device_merge_sort_compile_time_verifier_archINS1_11comp_targetILNS1_3genE2ELNS1_11target_archE906ELNS1_3gpuE6ELNS1_3repE0EEES8_NS1_28merge_sort_block_sort_configILj256ELj4ELNS0_20block_sort_algorithmE0EEENS0_14default_configENS1_37merge_sort_block_sort_config_selectorIiNS0_10empty_typeEEENS1_38merge_sort_block_merge_config_selectorIiSE_EEEEvv: ; @_ZN7rocprim17ROCPRIM_400000_NS6detail44device_merge_sort_compile_time_verifier_archINS1_11comp_targetILNS1_3genE2ELNS1_11target_archE906ELNS1_3gpuE6ELNS1_3repE0EEES8_NS1_28merge_sort_block_sort_configILj256ELj4ELNS0_20block_sort_algorithmE0EEENS0_14default_configENS1_37merge_sort_block_sort_config_selectorIiNS0_10empty_typeEEENS1_38merge_sort_block_merge_config_selectorIiSE_EEEEvv
; %bb.0:
	s_endpgm
	.section	.rodata,"a",@progbits
	.p2align	6, 0x0
	.amdhsa_kernel _ZN7rocprim17ROCPRIM_400000_NS6detail44device_merge_sort_compile_time_verifier_archINS1_11comp_targetILNS1_3genE2ELNS1_11target_archE906ELNS1_3gpuE6ELNS1_3repE0EEES8_NS1_28merge_sort_block_sort_configILj256ELj4ELNS0_20block_sort_algorithmE0EEENS0_14default_configENS1_37merge_sort_block_sort_config_selectorIiNS0_10empty_typeEEENS1_38merge_sort_block_merge_config_selectorIiSE_EEEEvv
		.amdhsa_group_segment_fixed_size 0
		.amdhsa_private_segment_fixed_size 0
		.amdhsa_kernarg_size 0
		.amdhsa_user_sgpr_count 4
		.amdhsa_user_sgpr_private_segment_buffer 1
		.amdhsa_user_sgpr_dispatch_ptr 0
		.amdhsa_user_sgpr_queue_ptr 0
		.amdhsa_user_sgpr_kernarg_segment_ptr 0
		.amdhsa_user_sgpr_dispatch_id 0
		.amdhsa_user_sgpr_flat_scratch_init 0
		.amdhsa_user_sgpr_private_segment_size 0
		.amdhsa_wavefront_size32 1
		.amdhsa_uses_dynamic_stack 0
		.amdhsa_system_sgpr_private_segment_wavefront_offset 0
		.amdhsa_system_sgpr_workgroup_id_x 1
		.amdhsa_system_sgpr_workgroup_id_y 0
		.amdhsa_system_sgpr_workgroup_id_z 0
		.amdhsa_system_sgpr_workgroup_info 0
		.amdhsa_system_vgpr_workitem_id 0
		.amdhsa_next_free_vgpr 1
		.amdhsa_next_free_sgpr 1
		.amdhsa_reserve_vcc 0
		.amdhsa_reserve_flat_scratch 0
		.amdhsa_float_round_mode_32 0
		.amdhsa_float_round_mode_16_64 0
		.amdhsa_float_denorm_mode_32 3
		.amdhsa_float_denorm_mode_16_64 3
		.amdhsa_dx10_clamp 1
		.amdhsa_ieee_mode 1
		.amdhsa_fp16_overflow 0
		.amdhsa_workgroup_processor_mode 1
		.amdhsa_memory_ordered 1
		.amdhsa_forward_progress 1
		.amdhsa_shared_vgpr_count 0
		.amdhsa_exception_fp_ieee_invalid_op 0
		.amdhsa_exception_fp_denorm_src 0
		.amdhsa_exception_fp_ieee_div_zero 0
		.amdhsa_exception_fp_ieee_overflow 0
		.amdhsa_exception_fp_ieee_underflow 0
		.amdhsa_exception_fp_ieee_inexact 0
		.amdhsa_exception_int_div_zero 0
	.end_amdhsa_kernel
	.section	.text._ZN7rocprim17ROCPRIM_400000_NS6detail44device_merge_sort_compile_time_verifier_archINS1_11comp_targetILNS1_3genE2ELNS1_11target_archE906ELNS1_3gpuE6ELNS1_3repE0EEES8_NS1_28merge_sort_block_sort_configILj256ELj4ELNS0_20block_sort_algorithmE0EEENS0_14default_configENS1_37merge_sort_block_sort_config_selectorIiNS0_10empty_typeEEENS1_38merge_sort_block_merge_config_selectorIiSE_EEEEvv,"axG",@progbits,_ZN7rocprim17ROCPRIM_400000_NS6detail44device_merge_sort_compile_time_verifier_archINS1_11comp_targetILNS1_3genE2ELNS1_11target_archE906ELNS1_3gpuE6ELNS1_3repE0EEES8_NS1_28merge_sort_block_sort_configILj256ELj4ELNS0_20block_sort_algorithmE0EEENS0_14default_configENS1_37merge_sort_block_sort_config_selectorIiNS0_10empty_typeEEENS1_38merge_sort_block_merge_config_selectorIiSE_EEEEvv,comdat
.Lfunc_end1107:
	.size	_ZN7rocprim17ROCPRIM_400000_NS6detail44device_merge_sort_compile_time_verifier_archINS1_11comp_targetILNS1_3genE2ELNS1_11target_archE906ELNS1_3gpuE6ELNS1_3repE0EEES8_NS1_28merge_sort_block_sort_configILj256ELj4ELNS0_20block_sort_algorithmE0EEENS0_14default_configENS1_37merge_sort_block_sort_config_selectorIiNS0_10empty_typeEEENS1_38merge_sort_block_merge_config_selectorIiSE_EEEEvv, .Lfunc_end1107-_ZN7rocprim17ROCPRIM_400000_NS6detail44device_merge_sort_compile_time_verifier_archINS1_11comp_targetILNS1_3genE2ELNS1_11target_archE906ELNS1_3gpuE6ELNS1_3repE0EEES8_NS1_28merge_sort_block_sort_configILj256ELj4ELNS0_20block_sort_algorithmE0EEENS0_14default_configENS1_37merge_sort_block_sort_config_selectorIiNS0_10empty_typeEEENS1_38merge_sort_block_merge_config_selectorIiSE_EEEEvv
                                        ; -- End function
	.set _ZN7rocprim17ROCPRIM_400000_NS6detail44device_merge_sort_compile_time_verifier_archINS1_11comp_targetILNS1_3genE2ELNS1_11target_archE906ELNS1_3gpuE6ELNS1_3repE0EEES8_NS1_28merge_sort_block_sort_configILj256ELj4ELNS0_20block_sort_algorithmE0EEENS0_14default_configENS1_37merge_sort_block_sort_config_selectorIiNS0_10empty_typeEEENS1_38merge_sort_block_merge_config_selectorIiSE_EEEEvv.num_vgpr, 0
	.set _ZN7rocprim17ROCPRIM_400000_NS6detail44device_merge_sort_compile_time_verifier_archINS1_11comp_targetILNS1_3genE2ELNS1_11target_archE906ELNS1_3gpuE6ELNS1_3repE0EEES8_NS1_28merge_sort_block_sort_configILj256ELj4ELNS0_20block_sort_algorithmE0EEENS0_14default_configENS1_37merge_sort_block_sort_config_selectorIiNS0_10empty_typeEEENS1_38merge_sort_block_merge_config_selectorIiSE_EEEEvv.num_agpr, 0
	.set _ZN7rocprim17ROCPRIM_400000_NS6detail44device_merge_sort_compile_time_verifier_archINS1_11comp_targetILNS1_3genE2ELNS1_11target_archE906ELNS1_3gpuE6ELNS1_3repE0EEES8_NS1_28merge_sort_block_sort_configILj256ELj4ELNS0_20block_sort_algorithmE0EEENS0_14default_configENS1_37merge_sort_block_sort_config_selectorIiNS0_10empty_typeEEENS1_38merge_sort_block_merge_config_selectorIiSE_EEEEvv.numbered_sgpr, 0
	.set _ZN7rocprim17ROCPRIM_400000_NS6detail44device_merge_sort_compile_time_verifier_archINS1_11comp_targetILNS1_3genE2ELNS1_11target_archE906ELNS1_3gpuE6ELNS1_3repE0EEES8_NS1_28merge_sort_block_sort_configILj256ELj4ELNS0_20block_sort_algorithmE0EEENS0_14default_configENS1_37merge_sort_block_sort_config_selectorIiNS0_10empty_typeEEENS1_38merge_sort_block_merge_config_selectorIiSE_EEEEvv.num_named_barrier, 0
	.set _ZN7rocprim17ROCPRIM_400000_NS6detail44device_merge_sort_compile_time_verifier_archINS1_11comp_targetILNS1_3genE2ELNS1_11target_archE906ELNS1_3gpuE6ELNS1_3repE0EEES8_NS1_28merge_sort_block_sort_configILj256ELj4ELNS0_20block_sort_algorithmE0EEENS0_14default_configENS1_37merge_sort_block_sort_config_selectorIiNS0_10empty_typeEEENS1_38merge_sort_block_merge_config_selectorIiSE_EEEEvv.private_seg_size, 0
	.set _ZN7rocprim17ROCPRIM_400000_NS6detail44device_merge_sort_compile_time_verifier_archINS1_11comp_targetILNS1_3genE2ELNS1_11target_archE906ELNS1_3gpuE6ELNS1_3repE0EEES8_NS1_28merge_sort_block_sort_configILj256ELj4ELNS0_20block_sort_algorithmE0EEENS0_14default_configENS1_37merge_sort_block_sort_config_selectorIiNS0_10empty_typeEEENS1_38merge_sort_block_merge_config_selectorIiSE_EEEEvv.uses_vcc, 0
	.set _ZN7rocprim17ROCPRIM_400000_NS6detail44device_merge_sort_compile_time_verifier_archINS1_11comp_targetILNS1_3genE2ELNS1_11target_archE906ELNS1_3gpuE6ELNS1_3repE0EEES8_NS1_28merge_sort_block_sort_configILj256ELj4ELNS0_20block_sort_algorithmE0EEENS0_14default_configENS1_37merge_sort_block_sort_config_selectorIiNS0_10empty_typeEEENS1_38merge_sort_block_merge_config_selectorIiSE_EEEEvv.uses_flat_scratch, 0
	.set _ZN7rocprim17ROCPRIM_400000_NS6detail44device_merge_sort_compile_time_verifier_archINS1_11comp_targetILNS1_3genE2ELNS1_11target_archE906ELNS1_3gpuE6ELNS1_3repE0EEES8_NS1_28merge_sort_block_sort_configILj256ELj4ELNS0_20block_sort_algorithmE0EEENS0_14default_configENS1_37merge_sort_block_sort_config_selectorIiNS0_10empty_typeEEENS1_38merge_sort_block_merge_config_selectorIiSE_EEEEvv.has_dyn_sized_stack, 0
	.set _ZN7rocprim17ROCPRIM_400000_NS6detail44device_merge_sort_compile_time_verifier_archINS1_11comp_targetILNS1_3genE2ELNS1_11target_archE906ELNS1_3gpuE6ELNS1_3repE0EEES8_NS1_28merge_sort_block_sort_configILj256ELj4ELNS0_20block_sort_algorithmE0EEENS0_14default_configENS1_37merge_sort_block_sort_config_selectorIiNS0_10empty_typeEEENS1_38merge_sort_block_merge_config_selectorIiSE_EEEEvv.has_recursion, 0
	.set _ZN7rocprim17ROCPRIM_400000_NS6detail44device_merge_sort_compile_time_verifier_archINS1_11comp_targetILNS1_3genE2ELNS1_11target_archE906ELNS1_3gpuE6ELNS1_3repE0EEES8_NS1_28merge_sort_block_sort_configILj256ELj4ELNS0_20block_sort_algorithmE0EEENS0_14default_configENS1_37merge_sort_block_sort_config_selectorIiNS0_10empty_typeEEENS1_38merge_sort_block_merge_config_selectorIiSE_EEEEvv.has_indirect_call, 0
	.section	.AMDGPU.csdata,"",@progbits
; Kernel info:
; codeLenInByte = 4
; TotalNumSgprs: 0
; NumVgprs: 0
; ScratchSize: 0
; MemoryBound: 0
; FloatMode: 240
; IeeeMode: 1
; LDSByteSize: 0 bytes/workgroup (compile time only)
; SGPRBlocks: 0
; VGPRBlocks: 0
; NumSGPRsForWavesPerEU: 1
; NumVGPRsForWavesPerEU: 1
; Occupancy: 16
; WaveLimiterHint : 0
; COMPUTE_PGM_RSRC2:SCRATCH_EN: 0
; COMPUTE_PGM_RSRC2:USER_SGPR: 4
; COMPUTE_PGM_RSRC2:TRAP_HANDLER: 0
; COMPUTE_PGM_RSRC2:TGID_X_EN: 1
; COMPUTE_PGM_RSRC2:TGID_Y_EN: 0
; COMPUTE_PGM_RSRC2:TGID_Z_EN: 0
; COMPUTE_PGM_RSRC2:TIDIG_COMP_CNT: 0
	.section	.text._ZN7rocprim17ROCPRIM_400000_NS6detail44device_merge_sort_compile_time_verifier_archINS1_11comp_targetILNS1_3genE10ELNS1_11target_archE1201ELNS1_3gpuE5ELNS1_3repE0EEES8_NS1_28merge_sort_block_sort_configILj256ELj4ELNS0_20block_sort_algorithmE0EEENS0_14default_configENS1_37merge_sort_block_sort_config_selectorIiNS0_10empty_typeEEENS1_38merge_sort_block_merge_config_selectorIiSE_EEEEvv,"axG",@progbits,_ZN7rocprim17ROCPRIM_400000_NS6detail44device_merge_sort_compile_time_verifier_archINS1_11comp_targetILNS1_3genE10ELNS1_11target_archE1201ELNS1_3gpuE5ELNS1_3repE0EEES8_NS1_28merge_sort_block_sort_configILj256ELj4ELNS0_20block_sort_algorithmE0EEENS0_14default_configENS1_37merge_sort_block_sort_config_selectorIiNS0_10empty_typeEEENS1_38merge_sort_block_merge_config_selectorIiSE_EEEEvv,comdat
	.protected	_ZN7rocprim17ROCPRIM_400000_NS6detail44device_merge_sort_compile_time_verifier_archINS1_11comp_targetILNS1_3genE10ELNS1_11target_archE1201ELNS1_3gpuE5ELNS1_3repE0EEES8_NS1_28merge_sort_block_sort_configILj256ELj4ELNS0_20block_sort_algorithmE0EEENS0_14default_configENS1_37merge_sort_block_sort_config_selectorIiNS0_10empty_typeEEENS1_38merge_sort_block_merge_config_selectorIiSE_EEEEvv ; -- Begin function _ZN7rocprim17ROCPRIM_400000_NS6detail44device_merge_sort_compile_time_verifier_archINS1_11comp_targetILNS1_3genE10ELNS1_11target_archE1201ELNS1_3gpuE5ELNS1_3repE0EEES8_NS1_28merge_sort_block_sort_configILj256ELj4ELNS0_20block_sort_algorithmE0EEENS0_14default_configENS1_37merge_sort_block_sort_config_selectorIiNS0_10empty_typeEEENS1_38merge_sort_block_merge_config_selectorIiSE_EEEEvv
	.globl	_ZN7rocprim17ROCPRIM_400000_NS6detail44device_merge_sort_compile_time_verifier_archINS1_11comp_targetILNS1_3genE10ELNS1_11target_archE1201ELNS1_3gpuE5ELNS1_3repE0EEES8_NS1_28merge_sort_block_sort_configILj256ELj4ELNS0_20block_sort_algorithmE0EEENS0_14default_configENS1_37merge_sort_block_sort_config_selectorIiNS0_10empty_typeEEENS1_38merge_sort_block_merge_config_selectorIiSE_EEEEvv
	.p2align	8
	.type	_ZN7rocprim17ROCPRIM_400000_NS6detail44device_merge_sort_compile_time_verifier_archINS1_11comp_targetILNS1_3genE10ELNS1_11target_archE1201ELNS1_3gpuE5ELNS1_3repE0EEES8_NS1_28merge_sort_block_sort_configILj256ELj4ELNS0_20block_sort_algorithmE0EEENS0_14default_configENS1_37merge_sort_block_sort_config_selectorIiNS0_10empty_typeEEENS1_38merge_sort_block_merge_config_selectorIiSE_EEEEvv,@function
_ZN7rocprim17ROCPRIM_400000_NS6detail44device_merge_sort_compile_time_verifier_archINS1_11comp_targetILNS1_3genE10ELNS1_11target_archE1201ELNS1_3gpuE5ELNS1_3repE0EEES8_NS1_28merge_sort_block_sort_configILj256ELj4ELNS0_20block_sort_algorithmE0EEENS0_14default_configENS1_37merge_sort_block_sort_config_selectorIiNS0_10empty_typeEEENS1_38merge_sort_block_merge_config_selectorIiSE_EEEEvv: ; @_ZN7rocprim17ROCPRIM_400000_NS6detail44device_merge_sort_compile_time_verifier_archINS1_11comp_targetILNS1_3genE10ELNS1_11target_archE1201ELNS1_3gpuE5ELNS1_3repE0EEES8_NS1_28merge_sort_block_sort_configILj256ELj4ELNS0_20block_sort_algorithmE0EEENS0_14default_configENS1_37merge_sort_block_sort_config_selectorIiNS0_10empty_typeEEENS1_38merge_sort_block_merge_config_selectorIiSE_EEEEvv
; %bb.0:
	s_endpgm
	.section	.rodata,"a",@progbits
	.p2align	6, 0x0
	.amdhsa_kernel _ZN7rocprim17ROCPRIM_400000_NS6detail44device_merge_sort_compile_time_verifier_archINS1_11comp_targetILNS1_3genE10ELNS1_11target_archE1201ELNS1_3gpuE5ELNS1_3repE0EEES8_NS1_28merge_sort_block_sort_configILj256ELj4ELNS0_20block_sort_algorithmE0EEENS0_14default_configENS1_37merge_sort_block_sort_config_selectorIiNS0_10empty_typeEEENS1_38merge_sort_block_merge_config_selectorIiSE_EEEEvv
		.amdhsa_group_segment_fixed_size 0
		.amdhsa_private_segment_fixed_size 0
		.amdhsa_kernarg_size 0
		.amdhsa_user_sgpr_count 4
		.amdhsa_user_sgpr_private_segment_buffer 1
		.amdhsa_user_sgpr_dispatch_ptr 0
		.amdhsa_user_sgpr_queue_ptr 0
		.amdhsa_user_sgpr_kernarg_segment_ptr 0
		.amdhsa_user_sgpr_dispatch_id 0
		.amdhsa_user_sgpr_flat_scratch_init 0
		.amdhsa_user_sgpr_private_segment_size 0
		.amdhsa_wavefront_size32 1
		.amdhsa_uses_dynamic_stack 0
		.amdhsa_system_sgpr_private_segment_wavefront_offset 0
		.amdhsa_system_sgpr_workgroup_id_x 1
		.amdhsa_system_sgpr_workgroup_id_y 0
		.amdhsa_system_sgpr_workgroup_id_z 0
		.amdhsa_system_sgpr_workgroup_info 0
		.amdhsa_system_vgpr_workitem_id 0
		.amdhsa_next_free_vgpr 1
		.amdhsa_next_free_sgpr 1
		.amdhsa_reserve_vcc 0
		.amdhsa_reserve_flat_scratch 0
		.amdhsa_float_round_mode_32 0
		.amdhsa_float_round_mode_16_64 0
		.amdhsa_float_denorm_mode_32 3
		.amdhsa_float_denorm_mode_16_64 3
		.amdhsa_dx10_clamp 1
		.amdhsa_ieee_mode 1
		.amdhsa_fp16_overflow 0
		.amdhsa_workgroup_processor_mode 1
		.amdhsa_memory_ordered 1
		.amdhsa_forward_progress 1
		.amdhsa_shared_vgpr_count 0
		.amdhsa_exception_fp_ieee_invalid_op 0
		.amdhsa_exception_fp_denorm_src 0
		.amdhsa_exception_fp_ieee_div_zero 0
		.amdhsa_exception_fp_ieee_overflow 0
		.amdhsa_exception_fp_ieee_underflow 0
		.amdhsa_exception_fp_ieee_inexact 0
		.amdhsa_exception_int_div_zero 0
	.end_amdhsa_kernel
	.section	.text._ZN7rocprim17ROCPRIM_400000_NS6detail44device_merge_sort_compile_time_verifier_archINS1_11comp_targetILNS1_3genE10ELNS1_11target_archE1201ELNS1_3gpuE5ELNS1_3repE0EEES8_NS1_28merge_sort_block_sort_configILj256ELj4ELNS0_20block_sort_algorithmE0EEENS0_14default_configENS1_37merge_sort_block_sort_config_selectorIiNS0_10empty_typeEEENS1_38merge_sort_block_merge_config_selectorIiSE_EEEEvv,"axG",@progbits,_ZN7rocprim17ROCPRIM_400000_NS6detail44device_merge_sort_compile_time_verifier_archINS1_11comp_targetILNS1_3genE10ELNS1_11target_archE1201ELNS1_3gpuE5ELNS1_3repE0EEES8_NS1_28merge_sort_block_sort_configILj256ELj4ELNS0_20block_sort_algorithmE0EEENS0_14default_configENS1_37merge_sort_block_sort_config_selectorIiNS0_10empty_typeEEENS1_38merge_sort_block_merge_config_selectorIiSE_EEEEvv,comdat
.Lfunc_end1108:
	.size	_ZN7rocprim17ROCPRIM_400000_NS6detail44device_merge_sort_compile_time_verifier_archINS1_11comp_targetILNS1_3genE10ELNS1_11target_archE1201ELNS1_3gpuE5ELNS1_3repE0EEES8_NS1_28merge_sort_block_sort_configILj256ELj4ELNS0_20block_sort_algorithmE0EEENS0_14default_configENS1_37merge_sort_block_sort_config_selectorIiNS0_10empty_typeEEENS1_38merge_sort_block_merge_config_selectorIiSE_EEEEvv, .Lfunc_end1108-_ZN7rocprim17ROCPRIM_400000_NS6detail44device_merge_sort_compile_time_verifier_archINS1_11comp_targetILNS1_3genE10ELNS1_11target_archE1201ELNS1_3gpuE5ELNS1_3repE0EEES8_NS1_28merge_sort_block_sort_configILj256ELj4ELNS0_20block_sort_algorithmE0EEENS0_14default_configENS1_37merge_sort_block_sort_config_selectorIiNS0_10empty_typeEEENS1_38merge_sort_block_merge_config_selectorIiSE_EEEEvv
                                        ; -- End function
	.set _ZN7rocprim17ROCPRIM_400000_NS6detail44device_merge_sort_compile_time_verifier_archINS1_11comp_targetILNS1_3genE10ELNS1_11target_archE1201ELNS1_3gpuE5ELNS1_3repE0EEES8_NS1_28merge_sort_block_sort_configILj256ELj4ELNS0_20block_sort_algorithmE0EEENS0_14default_configENS1_37merge_sort_block_sort_config_selectorIiNS0_10empty_typeEEENS1_38merge_sort_block_merge_config_selectorIiSE_EEEEvv.num_vgpr, 0
	.set _ZN7rocprim17ROCPRIM_400000_NS6detail44device_merge_sort_compile_time_verifier_archINS1_11comp_targetILNS1_3genE10ELNS1_11target_archE1201ELNS1_3gpuE5ELNS1_3repE0EEES8_NS1_28merge_sort_block_sort_configILj256ELj4ELNS0_20block_sort_algorithmE0EEENS0_14default_configENS1_37merge_sort_block_sort_config_selectorIiNS0_10empty_typeEEENS1_38merge_sort_block_merge_config_selectorIiSE_EEEEvv.num_agpr, 0
	.set _ZN7rocprim17ROCPRIM_400000_NS6detail44device_merge_sort_compile_time_verifier_archINS1_11comp_targetILNS1_3genE10ELNS1_11target_archE1201ELNS1_3gpuE5ELNS1_3repE0EEES8_NS1_28merge_sort_block_sort_configILj256ELj4ELNS0_20block_sort_algorithmE0EEENS0_14default_configENS1_37merge_sort_block_sort_config_selectorIiNS0_10empty_typeEEENS1_38merge_sort_block_merge_config_selectorIiSE_EEEEvv.numbered_sgpr, 0
	.set _ZN7rocprim17ROCPRIM_400000_NS6detail44device_merge_sort_compile_time_verifier_archINS1_11comp_targetILNS1_3genE10ELNS1_11target_archE1201ELNS1_3gpuE5ELNS1_3repE0EEES8_NS1_28merge_sort_block_sort_configILj256ELj4ELNS0_20block_sort_algorithmE0EEENS0_14default_configENS1_37merge_sort_block_sort_config_selectorIiNS0_10empty_typeEEENS1_38merge_sort_block_merge_config_selectorIiSE_EEEEvv.num_named_barrier, 0
	.set _ZN7rocprim17ROCPRIM_400000_NS6detail44device_merge_sort_compile_time_verifier_archINS1_11comp_targetILNS1_3genE10ELNS1_11target_archE1201ELNS1_3gpuE5ELNS1_3repE0EEES8_NS1_28merge_sort_block_sort_configILj256ELj4ELNS0_20block_sort_algorithmE0EEENS0_14default_configENS1_37merge_sort_block_sort_config_selectorIiNS0_10empty_typeEEENS1_38merge_sort_block_merge_config_selectorIiSE_EEEEvv.private_seg_size, 0
	.set _ZN7rocprim17ROCPRIM_400000_NS6detail44device_merge_sort_compile_time_verifier_archINS1_11comp_targetILNS1_3genE10ELNS1_11target_archE1201ELNS1_3gpuE5ELNS1_3repE0EEES8_NS1_28merge_sort_block_sort_configILj256ELj4ELNS0_20block_sort_algorithmE0EEENS0_14default_configENS1_37merge_sort_block_sort_config_selectorIiNS0_10empty_typeEEENS1_38merge_sort_block_merge_config_selectorIiSE_EEEEvv.uses_vcc, 0
	.set _ZN7rocprim17ROCPRIM_400000_NS6detail44device_merge_sort_compile_time_verifier_archINS1_11comp_targetILNS1_3genE10ELNS1_11target_archE1201ELNS1_3gpuE5ELNS1_3repE0EEES8_NS1_28merge_sort_block_sort_configILj256ELj4ELNS0_20block_sort_algorithmE0EEENS0_14default_configENS1_37merge_sort_block_sort_config_selectorIiNS0_10empty_typeEEENS1_38merge_sort_block_merge_config_selectorIiSE_EEEEvv.uses_flat_scratch, 0
	.set _ZN7rocprim17ROCPRIM_400000_NS6detail44device_merge_sort_compile_time_verifier_archINS1_11comp_targetILNS1_3genE10ELNS1_11target_archE1201ELNS1_3gpuE5ELNS1_3repE0EEES8_NS1_28merge_sort_block_sort_configILj256ELj4ELNS0_20block_sort_algorithmE0EEENS0_14default_configENS1_37merge_sort_block_sort_config_selectorIiNS0_10empty_typeEEENS1_38merge_sort_block_merge_config_selectorIiSE_EEEEvv.has_dyn_sized_stack, 0
	.set _ZN7rocprim17ROCPRIM_400000_NS6detail44device_merge_sort_compile_time_verifier_archINS1_11comp_targetILNS1_3genE10ELNS1_11target_archE1201ELNS1_3gpuE5ELNS1_3repE0EEES8_NS1_28merge_sort_block_sort_configILj256ELj4ELNS0_20block_sort_algorithmE0EEENS0_14default_configENS1_37merge_sort_block_sort_config_selectorIiNS0_10empty_typeEEENS1_38merge_sort_block_merge_config_selectorIiSE_EEEEvv.has_recursion, 0
	.set _ZN7rocprim17ROCPRIM_400000_NS6detail44device_merge_sort_compile_time_verifier_archINS1_11comp_targetILNS1_3genE10ELNS1_11target_archE1201ELNS1_3gpuE5ELNS1_3repE0EEES8_NS1_28merge_sort_block_sort_configILj256ELj4ELNS0_20block_sort_algorithmE0EEENS0_14default_configENS1_37merge_sort_block_sort_config_selectorIiNS0_10empty_typeEEENS1_38merge_sort_block_merge_config_selectorIiSE_EEEEvv.has_indirect_call, 0
	.section	.AMDGPU.csdata,"",@progbits
; Kernel info:
; codeLenInByte = 4
; TotalNumSgprs: 0
; NumVgprs: 0
; ScratchSize: 0
; MemoryBound: 0
; FloatMode: 240
; IeeeMode: 1
; LDSByteSize: 0 bytes/workgroup (compile time only)
; SGPRBlocks: 0
; VGPRBlocks: 0
; NumSGPRsForWavesPerEU: 1
; NumVGPRsForWavesPerEU: 1
; Occupancy: 16
; WaveLimiterHint : 0
; COMPUTE_PGM_RSRC2:SCRATCH_EN: 0
; COMPUTE_PGM_RSRC2:USER_SGPR: 4
; COMPUTE_PGM_RSRC2:TRAP_HANDLER: 0
; COMPUTE_PGM_RSRC2:TGID_X_EN: 1
; COMPUTE_PGM_RSRC2:TGID_Y_EN: 0
; COMPUTE_PGM_RSRC2:TGID_Z_EN: 0
; COMPUTE_PGM_RSRC2:TIDIG_COMP_CNT: 0
	.section	.text._ZN7rocprim17ROCPRIM_400000_NS6detail44device_merge_sort_compile_time_verifier_archINS1_11comp_targetILNS1_3genE10ELNS1_11target_archE1200ELNS1_3gpuE4ELNS1_3repE0EEENS3_ILS4_10ELS5_1201ELS6_5ELS7_0EEENS1_28merge_sort_block_sort_configILj256ELj4ELNS0_20block_sort_algorithmE0EEENS0_14default_configENS1_37merge_sort_block_sort_config_selectorIiNS0_10empty_typeEEENS1_38merge_sort_block_merge_config_selectorIiSF_EEEEvv,"axG",@progbits,_ZN7rocprim17ROCPRIM_400000_NS6detail44device_merge_sort_compile_time_verifier_archINS1_11comp_targetILNS1_3genE10ELNS1_11target_archE1200ELNS1_3gpuE4ELNS1_3repE0EEENS3_ILS4_10ELS5_1201ELS6_5ELS7_0EEENS1_28merge_sort_block_sort_configILj256ELj4ELNS0_20block_sort_algorithmE0EEENS0_14default_configENS1_37merge_sort_block_sort_config_selectorIiNS0_10empty_typeEEENS1_38merge_sort_block_merge_config_selectorIiSF_EEEEvv,comdat
	.protected	_ZN7rocprim17ROCPRIM_400000_NS6detail44device_merge_sort_compile_time_verifier_archINS1_11comp_targetILNS1_3genE10ELNS1_11target_archE1200ELNS1_3gpuE4ELNS1_3repE0EEENS3_ILS4_10ELS5_1201ELS6_5ELS7_0EEENS1_28merge_sort_block_sort_configILj256ELj4ELNS0_20block_sort_algorithmE0EEENS0_14default_configENS1_37merge_sort_block_sort_config_selectorIiNS0_10empty_typeEEENS1_38merge_sort_block_merge_config_selectorIiSF_EEEEvv ; -- Begin function _ZN7rocprim17ROCPRIM_400000_NS6detail44device_merge_sort_compile_time_verifier_archINS1_11comp_targetILNS1_3genE10ELNS1_11target_archE1200ELNS1_3gpuE4ELNS1_3repE0EEENS3_ILS4_10ELS5_1201ELS6_5ELS7_0EEENS1_28merge_sort_block_sort_configILj256ELj4ELNS0_20block_sort_algorithmE0EEENS0_14default_configENS1_37merge_sort_block_sort_config_selectorIiNS0_10empty_typeEEENS1_38merge_sort_block_merge_config_selectorIiSF_EEEEvv
	.globl	_ZN7rocprim17ROCPRIM_400000_NS6detail44device_merge_sort_compile_time_verifier_archINS1_11comp_targetILNS1_3genE10ELNS1_11target_archE1200ELNS1_3gpuE4ELNS1_3repE0EEENS3_ILS4_10ELS5_1201ELS6_5ELS7_0EEENS1_28merge_sort_block_sort_configILj256ELj4ELNS0_20block_sort_algorithmE0EEENS0_14default_configENS1_37merge_sort_block_sort_config_selectorIiNS0_10empty_typeEEENS1_38merge_sort_block_merge_config_selectorIiSF_EEEEvv
	.p2align	8
	.type	_ZN7rocprim17ROCPRIM_400000_NS6detail44device_merge_sort_compile_time_verifier_archINS1_11comp_targetILNS1_3genE10ELNS1_11target_archE1200ELNS1_3gpuE4ELNS1_3repE0EEENS3_ILS4_10ELS5_1201ELS6_5ELS7_0EEENS1_28merge_sort_block_sort_configILj256ELj4ELNS0_20block_sort_algorithmE0EEENS0_14default_configENS1_37merge_sort_block_sort_config_selectorIiNS0_10empty_typeEEENS1_38merge_sort_block_merge_config_selectorIiSF_EEEEvv,@function
_ZN7rocprim17ROCPRIM_400000_NS6detail44device_merge_sort_compile_time_verifier_archINS1_11comp_targetILNS1_3genE10ELNS1_11target_archE1200ELNS1_3gpuE4ELNS1_3repE0EEENS3_ILS4_10ELS5_1201ELS6_5ELS7_0EEENS1_28merge_sort_block_sort_configILj256ELj4ELNS0_20block_sort_algorithmE0EEENS0_14default_configENS1_37merge_sort_block_sort_config_selectorIiNS0_10empty_typeEEENS1_38merge_sort_block_merge_config_selectorIiSF_EEEEvv: ; @_ZN7rocprim17ROCPRIM_400000_NS6detail44device_merge_sort_compile_time_verifier_archINS1_11comp_targetILNS1_3genE10ELNS1_11target_archE1200ELNS1_3gpuE4ELNS1_3repE0EEENS3_ILS4_10ELS5_1201ELS6_5ELS7_0EEENS1_28merge_sort_block_sort_configILj256ELj4ELNS0_20block_sort_algorithmE0EEENS0_14default_configENS1_37merge_sort_block_sort_config_selectorIiNS0_10empty_typeEEENS1_38merge_sort_block_merge_config_selectorIiSF_EEEEvv
; %bb.0:
	s_endpgm
	.section	.rodata,"a",@progbits
	.p2align	6, 0x0
	.amdhsa_kernel _ZN7rocprim17ROCPRIM_400000_NS6detail44device_merge_sort_compile_time_verifier_archINS1_11comp_targetILNS1_3genE10ELNS1_11target_archE1200ELNS1_3gpuE4ELNS1_3repE0EEENS3_ILS4_10ELS5_1201ELS6_5ELS7_0EEENS1_28merge_sort_block_sort_configILj256ELj4ELNS0_20block_sort_algorithmE0EEENS0_14default_configENS1_37merge_sort_block_sort_config_selectorIiNS0_10empty_typeEEENS1_38merge_sort_block_merge_config_selectorIiSF_EEEEvv
		.amdhsa_group_segment_fixed_size 0
		.amdhsa_private_segment_fixed_size 0
		.amdhsa_kernarg_size 0
		.amdhsa_user_sgpr_count 4
		.amdhsa_user_sgpr_private_segment_buffer 1
		.amdhsa_user_sgpr_dispatch_ptr 0
		.amdhsa_user_sgpr_queue_ptr 0
		.amdhsa_user_sgpr_kernarg_segment_ptr 0
		.amdhsa_user_sgpr_dispatch_id 0
		.amdhsa_user_sgpr_flat_scratch_init 0
		.amdhsa_user_sgpr_private_segment_size 0
		.amdhsa_wavefront_size32 1
		.amdhsa_uses_dynamic_stack 0
		.amdhsa_system_sgpr_private_segment_wavefront_offset 0
		.amdhsa_system_sgpr_workgroup_id_x 1
		.amdhsa_system_sgpr_workgroup_id_y 0
		.amdhsa_system_sgpr_workgroup_id_z 0
		.amdhsa_system_sgpr_workgroup_info 0
		.amdhsa_system_vgpr_workitem_id 0
		.amdhsa_next_free_vgpr 1
		.amdhsa_next_free_sgpr 1
		.amdhsa_reserve_vcc 0
		.amdhsa_reserve_flat_scratch 0
		.amdhsa_float_round_mode_32 0
		.amdhsa_float_round_mode_16_64 0
		.amdhsa_float_denorm_mode_32 3
		.amdhsa_float_denorm_mode_16_64 3
		.amdhsa_dx10_clamp 1
		.amdhsa_ieee_mode 1
		.amdhsa_fp16_overflow 0
		.amdhsa_workgroup_processor_mode 1
		.amdhsa_memory_ordered 1
		.amdhsa_forward_progress 1
		.amdhsa_shared_vgpr_count 0
		.amdhsa_exception_fp_ieee_invalid_op 0
		.amdhsa_exception_fp_denorm_src 0
		.amdhsa_exception_fp_ieee_div_zero 0
		.amdhsa_exception_fp_ieee_overflow 0
		.amdhsa_exception_fp_ieee_underflow 0
		.amdhsa_exception_fp_ieee_inexact 0
		.amdhsa_exception_int_div_zero 0
	.end_amdhsa_kernel
	.section	.text._ZN7rocprim17ROCPRIM_400000_NS6detail44device_merge_sort_compile_time_verifier_archINS1_11comp_targetILNS1_3genE10ELNS1_11target_archE1200ELNS1_3gpuE4ELNS1_3repE0EEENS3_ILS4_10ELS5_1201ELS6_5ELS7_0EEENS1_28merge_sort_block_sort_configILj256ELj4ELNS0_20block_sort_algorithmE0EEENS0_14default_configENS1_37merge_sort_block_sort_config_selectorIiNS0_10empty_typeEEENS1_38merge_sort_block_merge_config_selectorIiSF_EEEEvv,"axG",@progbits,_ZN7rocprim17ROCPRIM_400000_NS6detail44device_merge_sort_compile_time_verifier_archINS1_11comp_targetILNS1_3genE10ELNS1_11target_archE1200ELNS1_3gpuE4ELNS1_3repE0EEENS3_ILS4_10ELS5_1201ELS6_5ELS7_0EEENS1_28merge_sort_block_sort_configILj256ELj4ELNS0_20block_sort_algorithmE0EEENS0_14default_configENS1_37merge_sort_block_sort_config_selectorIiNS0_10empty_typeEEENS1_38merge_sort_block_merge_config_selectorIiSF_EEEEvv,comdat
.Lfunc_end1109:
	.size	_ZN7rocprim17ROCPRIM_400000_NS6detail44device_merge_sort_compile_time_verifier_archINS1_11comp_targetILNS1_3genE10ELNS1_11target_archE1200ELNS1_3gpuE4ELNS1_3repE0EEENS3_ILS4_10ELS5_1201ELS6_5ELS7_0EEENS1_28merge_sort_block_sort_configILj256ELj4ELNS0_20block_sort_algorithmE0EEENS0_14default_configENS1_37merge_sort_block_sort_config_selectorIiNS0_10empty_typeEEENS1_38merge_sort_block_merge_config_selectorIiSF_EEEEvv, .Lfunc_end1109-_ZN7rocprim17ROCPRIM_400000_NS6detail44device_merge_sort_compile_time_verifier_archINS1_11comp_targetILNS1_3genE10ELNS1_11target_archE1200ELNS1_3gpuE4ELNS1_3repE0EEENS3_ILS4_10ELS5_1201ELS6_5ELS7_0EEENS1_28merge_sort_block_sort_configILj256ELj4ELNS0_20block_sort_algorithmE0EEENS0_14default_configENS1_37merge_sort_block_sort_config_selectorIiNS0_10empty_typeEEENS1_38merge_sort_block_merge_config_selectorIiSF_EEEEvv
                                        ; -- End function
	.set _ZN7rocprim17ROCPRIM_400000_NS6detail44device_merge_sort_compile_time_verifier_archINS1_11comp_targetILNS1_3genE10ELNS1_11target_archE1200ELNS1_3gpuE4ELNS1_3repE0EEENS3_ILS4_10ELS5_1201ELS6_5ELS7_0EEENS1_28merge_sort_block_sort_configILj256ELj4ELNS0_20block_sort_algorithmE0EEENS0_14default_configENS1_37merge_sort_block_sort_config_selectorIiNS0_10empty_typeEEENS1_38merge_sort_block_merge_config_selectorIiSF_EEEEvv.num_vgpr, 0
	.set _ZN7rocprim17ROCPRIM_400000_NS6detail44device_merge_sort_compile_time_verifier_archINS1_11comp_targetILNS1_3genE10ELNS1_11target_archE1200ELNS1_3gpuE4ELNS1_3repE0EEENS3_ILS4_10ELS5_1201ELS6_5ELS7_0EEENS1_28merge_sort_block_sort_configILj256ELj4ELNS0_20block_sort_algorithmE0EEENS0_14default_configENS1_37merge_sort_block_sort_config_selectorIiNS0_10empty_typeEEENS1_38merge_sort_block_merge_config_selectorIiSF_EEEEvv.num_agpr, 0
	.set _ZN7rocprim17ROCPRIM_400000_NS6detail44device_merge_sort_compile_time_verifier_archINS1_11comp_targetILNS1_3genE10ELNS1_11target_archE1200ELNS1_3gpuE4ELNS1_3repE0EEENS3_ILS4_10ELS5_1201ELS6_5ELS7_0EEENS1_28merge_sort_block_sort_configILj256ELj4ELNS0_20block_sort_algorithmE0EEENS0_14default_configENS1_37merge_sort_block_sort_config_selectorIiNS0_10empty_typeEEENS1_38merge_sort_block_merge_config_selectorIiSF_EEEEvv.numbered_sgpr, 0
	.set _ZN7rocprim17ROCPRIM_400000_NS6detail44device_merge_sort_compile_time_verifier_archINS1_11comp_targetILNS1_3genE10ELNS1_11target_archE1200ELNS1_3gpuE4ELNS1_3repE0EEENS3_ILS4_10ELS5_1201ELS6_5ELS7_0EEENS1_28merge_sort_block_sort_configILj256ELj4ELNS0_20block_sort_algorithmE0EEENS0_14default_configENS1_37merge_sort_block_sort_config_selectorIiNS0_10empty_typeEEENS1_38merge_sort_block_merge_config_selectorIiSF_EEEEvv.num_named_barrier, 0
	.set _ZN7rocprim17ROCPRIM_400000_NS6detail44device_merge_sort_compile_time_verifier_archINS1_11comp_targetILNS1_3genE10ELNS1_11target_archE1200ELNS1_3gpuE4ELNS1_3repE0EEENS3_ILS4_10ELS5_1201ELS6_5ELS7_0EEENS1_28merge_sort_block_sort_configILj256ELj4ELNS0_20block_sort_algorithmE0EEENS0_14default_configENS1_37merge_sort_block_sort_config_selectorIiNS0_10empty_typeEEENS1_38merge_sort_block_merge_config_selectorIiSF_EEEEvv.private_seg_size, 0
	.set _ZN7rocprim17ROCPRIM_400000_NS6detail44device_merge_sort_compile_time_verifier_archINS1_11comp_targetILNS1_3genE10ELNS1_11target_archE1200ELNS1_3gpuE4ELNS1_3repE0EEENS3_ILS4_10ELS5_1201ELS6_5ELS7_0EEENS1_28merge_sort_block_sort_configILj256ELj4ELNS0_20block_sort_algorithmE0EEENS0_14default_configENS1_37merge_sort_block_sort_config_selectorIiNS0_10empty_typeEEENS1_38merge_sort_block_merge_config_selectorIiSF_EEEEvv.uses_vcc, 0
	.set _ZN7rocprim17ROCPRIM_400000_NS6detail44device_merge_sort_compile_time_verifier_archINS1_11comp_targetILNS1_3genE10ELNS1_11target_archE1200ELNS1_3gpuE4ELNS1_3repE0EEENS3_ILS4_10ELS5_1201ELS6_5ELS7_0EEENS1_28merge_sort_block_sort_configILj256ELj4ELNS0_20block_sort_algorithmE0EEENS0_14default_configENS1_37merge_sort_block_sort_config_selectorIiNS0_10empty_typeEEENS1_38merge_sort_block_merge_config_selectorIiSF_EEEEvv.uses_flat_scratch, 0
	.set _ZN7rocprim17ROCPRIM_400000_NS6detail44device_merge_sort_compile_time_verifier_archINS1_11comp_targetILNS1_3genE10ELNS1_11target_archE1200ELNS1_3gpuE4ELNS1_3repE0EEENS3_ILS4_10ELS5_1201ELS6_5ELS7_0EEENS1_28merge_sort_block_sort_configILj256ELj4ELNS0_20block_sort_algorithmE0EEENS0_14default_configENS1_37merge_sort_block_sort_config_selectorIiNS0_10empty_typeEEENS1_38merge_sort_block_merge_config_selectorIiSF_EEEEvv.has_dyn_sized_stack, 0
	.set _ZN7rocprim17ROCPRIM_400000_NS6detail44device_merge_sort_compile_time_verifier_archINS1_11comp_targetILNS1_3genE10ELNS1_11target_archE1200ELNS1_3gpuE4ELNS1_3repE0EEENS3_ILS4_10ELS5_1201ELS6_5ELS7_0EEENS1_28merge_sort_block_sort_configILj256ELj4ELNS0_20block_sort_algorithmE0EEENS0_14default_configENS1_37merge_sort_block_sort_config_selectorIiNS0_10empty_typeEEENS1_38merge_sort_block_merge_config_selectorIiSF_EEEEvv.has_recursion, 0
	.set _ZN7rocprim17ROCPRIM_400000_NS6detail44device_merge_sort_compile_time_verifier_archINS1_11comp_targetILNS1_3genE10ELNS1_11target_archE1200ELNS1_3gpuE4ELNS1_3repE0EEENS3_ILS4_10ELS5_1201ELS6_5ELS7_0EEENS1_28merge_sort_block_sort_configILj256ELj4ELNS0_20block_sort_algorithmE0EEENS0_14default_configENS1_37merge_sort_block_sort_config_selectorIiNS0_10empty_typeEEENS1_38merge_sort_block_merge_config_selectorIiSF_EEEEvv.has_indirect_call, 0
	.section	.AMDGPU.csdata,"",@progbits
; Kernel info:
; codeLenInByte = 4
; TotalNumSgprs: 0
; NumVgprs: 0
; ScratchSize: 0
; MemoryBound: 0
; FloatMode: 240
; IeeeMode: 1
; LDSByteSize: 0 bytes/workgroup (compile time only)
; SGPRBlocks: 0
; VGPRBlocks: 0
; NumSGPRsForWavesPerEU: 1
; NumVGPRsForWavesPerEU: 1
; Occupancy: 16
; WaveLimiterHint : 0
; COMPUTE_PGM_RSRC2:SCRATCH_EN: 0
; COMPUTE_PGM_RSRC2:USER_SGPR: 4
; COMPUTE_PGM_RSRC2:TRAP_HANDLER: 0
; COMPUTE_PGM_RSRC2:TGID_X_EN: 1
; COMPUTE_PGM_RSRC2:TGID_Y_EN: 0
; COMPUTE_PGM_RSRC2:TGID_Z_EN: 0
; COMPUTE_PGM_RSRC2:TIDIG_COMP_CNT: 0
	.section	.text._ZN7rocprim17ROCPRIM_400000_NS6detail44device_merge_sort_compile_time_verifier_archINS1_11comp_targetILNS1_3genE9ELNS1_11target_archE1100ELNS1_3gpuE3ELNS1_3repE0EEES8_NS1_28merge_sort_block_sort_configILj256ELj4ELNS0_20block_sort_algorithmE0EEENS0_14default_configENS1_37merge_sort_block_sort_config_selectorIiNS0_10empty_typeEEENS1_38merge_sort_block_merge_config_selectorIiSE_EEEEvv,"axG",@progbits,_ZN7rocprim17ROCPRIM_400000_NS6detail44device_merge_sort_compile_time_verifier_archINS1_11comp_targetILNS1_3genE9ELNS1_11target_archE1100ELNS1_3gpuE3ELNS1_3repE0EEES8_NS1_28merge_sort_block_sort_configILj256ELj4ELNS0_20block_sort_algorithmE0EEENS0_14default_configENS1_37merge_sort_block_sort_config_selectorIiNS0_10empty_typeEEENS1_38merge_sort_block_merge_config_selectorIiSE_EEEEvv,comdat
	.protected	_ZN7rocprim17ROCPRIM_400000_NS6detail44device_merge_sort_compile_time_verifier_archINS1_11comp_targetILNS1_3genE9ELNS1_11target_archE1100ELNS1_3gpuE3ELNS1_3repE0EEES8_NS1_28merge_sort_block_sort_configILj256ELj4ELNS0_20block_sort_algorithmE0EEENS0_14default_configENS1_37merge_sort_block_sort_config_selectorIiNS0_10empty_typeEEENS1_38merge_sort_block_merge_config_selectorIiSE_EEEEvv ; -- Begin function _ZN7rocprim17ROCPRIM_400000_NS6detail44device_merge_sort_compile_time_verifier_archINS1_11comp_targetILNS1_3genE9ELNS1_11target_archE1100ELNS1_3gpuE3ELNS1_3repE0EEES8_NS1_28merge_sort_block_sort_configILj256ELj4ELNS0_20block_sort_algorithmE0EEENS0_14default_configENS1_37merge_sort_block_sort_config_selectorIiNS0_10empty_typeEEENS1_38merge_sort_block_merge_config_selectorIiSE_EEEEvv
	.globl	_ZN7rocprim17ROCPRIM_400000_NS6detail44device_merge_sort_compile_time_verifier_archINS1_11comp_targetILNS1_3genE9ELNS1_11target_archE1100ELNS1_3gpuE3ELNS1_3repE0EEES8_NS1_28merge_sort_block_sort_configILj256ELj4ELNS0_20block_sort_algorithmE0EEENS0_14default_configENS1_37merge_sort_block_sort_config_selectorIiNS0_10empty_typeEEENS1_38merge_sort_block_merge_config_selectorIiSE_EEEEvv
	.p2align	8
	.type	_ZN7rocprim17ROCPRIM_400000_NS6detail44device_merge_sort_compile_time_verifier_archINS1_11comp_targetILNS1_3genE9ELNS1_11target_archE1100ELNS1_3gpuE3ELNS1_3repE0EEES8_NS1_28merge_sort_block_sort_configILj256ELj4ELNS0_20block_sort_algorithmE0EEENS0_14default_configENS1_37merge_sort_block_sort_config_selectorIiNS0_10empty_typeEEENS1_38merge_sort_block_merge_config_selectorIiSE_EEEEvv,@function
_ZN7rocprim17ROCPRIM_400000_NS6detail44device_merge_sort_compile_time_verifier_archINS1_11comp_targetILNS1_3genE9ELNS1_11target_archE1100ELNS1_3gpuE3ELNS1_3repE0EEES8_NS1_28merge_sort_block_sort_configILj256ELj4ELNS0_20block_sort_algorithmE0EEENS0_14default_configENS1_37merge_sort_block_sort_config_selectorIiNS0_10empty_typeEEENS1_38merge_sort_block_merge_config_selectorIiSE_EEEEvv: ; @_ZN7rocprim17ROCPRIM_400000_NS6detail44device_merge_sort_compile_time_verifier_archINS1_11comp_targetILNS1_3genE9ELNS1_11target_archE1100ELNS1_3gpuE3ELNS1_3repE0EEES8_NS1_28merge_sort_block_sort_configILj256ELj4ELNS0_20block_sort_algorithmE0EEENS0_14default_configENS1_37merge_sort_block_sort_config_selectorIiNS0_10empty_typeEEENS1_38merge_sort_block_merge_config_selectorIiSE_EEEEvv
; %bb.0:
	s_endpgm
	.section	.rodata,"a",@progbits
	.p2align	6, 0x0
	.amdhsa_kernel _ZN7rocprim17ROCPRIM_400000_NS6detail44device_merge_sort_compile_time_verifier_archINS1_11comp_targetILNS1_3genE9ELNS1_11target_archE1100ELNS1_3gpuE3ELNS1_3repE0EEES8_NS1_28merge_sort_block_sort_configILj256ELj4ELNS0_20block_sort_algorithmE0EEENS0_14default_configENS1_37merge_sort_block_sort_config_selectorIiNS0_10empty_typeEEENS1_38merge_sort_block_merge_config_selectorIiSE_EEEEvv
		.amdhsa_group_segment_fixed_size 0
		.amdhsa_private_segment_fixed_size 0
		.amdhsa_kernarg_size 0
		.amdhsa_user_sgpr_count 4
		.amdhsa_user_sgpr_private_segment_buffer 1
		.amdhsa_user_sgpr_dispatch_ptr 0
		.amdhsa_user_sgpr_queue_ptr 0
		.amdhsa_user_sgpr_kernarg_segment_ptr 0
		.amdhsa_user_sgpr_dispatch_id 0
		.amdhsa_user_sgpr_flat_scratch_init 0
		.amdhsa_user_sgpr_private_segment_size 0
		.amdhsa_wavefront_size32 1
		.amdhsa_uses_dynamic_stack 0
		.amdhsa_system_sgpr_private_segment_wavefront_offset 0
		.amdhsa_system_sgpr_workgroup_id_x 1
		.amdhsa_system_sgpr_workgroup_id_y 0
		.amdhsa_system_sgpr_workgroup_id_z 0
		.amdhsa_system_sgpr_workgroup_info 0
		.amdhsa_system_vgpr_workitem_id 0
		.amdhsa_next_free_vgpr 1
		.amdhsa_next_free_sgpr 1
		.amdhsa_reserve_vcc 0
		.amdhsa_reserve_flat_scratch 0
		.amdhsa_float_round_mode_32 0
		.amdhsa_float_round_mode_16_64 0
		.amdhsa_float_denorm_mode_32 3
		.amdhsa_float_denorm_mode_16_64 3
		.amdhsa_dx10_clamp 1
		.amdhsa_ieee_mode 1
		.amdhsa_fp16_overflow 0
		.amdhsa_workgroup_processor_mode 1
		.amdhsa_memory_ordered 1
		.amdhsa_forward_progress 1
		.amdhsa_shared_vgpr_count 0
		.amdhsa_exception_fp_ieee_invalid_op 0
		.amdhsa_exception_fp_denorm_src 0
		.amdhsa_exception_fp_ieee_div_zero 0
		.amdhsa_exception_fp_ieee_overflow 0
		.amdhsa_exception_fp_ieee_underflow 0
		.amdhsa_exception_fp_ieee_inexact 0
		.amdhsa_exception_int_div_zero 0
	.end_amdhsa_kernel
	.section	.text._ZN7rocprim17ROCPRIM_400000_NS6detail44device_merge_sort_compile_time_verifier_archINS1_11comp_targetILNS1_3genE9ELNS1_11target_archE1100ELNS1_3gpuE3ELNS1_3repE0EEES8_NS1_28merge_sort_block_sort_configILj256ELj4ELNS0_20block_sort_algorithmE0EEENS0_14default_configENS1_37merge_sort_block_sort_config_selectorIiNS0_10empty_typeEEENS1_38merge_sort_block_merge_config_selectorIiSE_EEEEvv,"axG",@progbits,_ZN7rocprim17ROCPRIM_400000_NS6detail44device_merge_sort_compile_time_verifier_archINS1_11comp_targetILNS1_3genE9ELNS1_11target_archE1100ELNS1_3gpuE3ELNS1_3repE0EEES8_NS1_28merge_sort_block_sort_configILj256ELj4ELNS0_20block_sort_algorithmE0EEENS0_14default_configENS1_37merge_sort_block_sort_config_selectorIiNS0_10empty_typeEEENS1_38merge_sort_block_merge_config_selectorIiSE_EEEEvv,comdat
.Lfunc_end1110:
	.size	_ZN7rocprim17ROCPRIM_400000_NS6detail44device_merge_sort_compile_time_verifier_archINS1_11comp_targetILNS1_3genE9ELNS1_11target_archE1100ELNS1_3gpuE3ELNS1_3repE0EEES8_NS1_28merge_sort_block_sort_configILj256ELj4ELNS0_20block_sort_algorithmE0EEENS0_14default_configENS1_37merge_sort_block_sort_config_selectorIiNS0_10empty_typeEEENS1_38merge_sort_block_merge_config_selectorIiSE_EEEEvv, .Lfunc_end1110-_ZN7rocprim17ROCPRIM_400000_NS6detail44device_merge_sort_compile_time_verifier_archINS1_11comp_targetILNS1_3genE9ELNS1_11target_archE1100ELNS1_3gpuE3ELNS1_3repE0EEES8_NS1_28merge_sort_block_sort_configILj256ELj4ELNS0_20block_sort_algorithmE0EEENS0_14default_configENS1_37merge_sort_block_sort_config_selectorIiNS0_10empty_typeEEENS1_38merge_sort_block_merge_config_selectorIiSE_EEEEvv
                                        ; -- End function
	.set _ZN7rocprim17ROCPRIM_400000_NS6detail44device_merge_sort_compile_time_verifier_archINS1_11comp_targetILNS1_3genE9ELNS1_11target_archE1100ELNS1_3gpuE3ELNS1_3repE0EEES8_NS1_28merge_sort_block_sort_configILj256ELj4ELNS0_20block_sort_algorithmE0EEENS0_14default_configENS1_37merge_sort_block_sort_config_selectorIiNS0_10empty_typeEEENS1_38merge_sort_block_merge_config_selectorIiSE_EEEEvv.num_vgpr, 0
	.set _ZN7rocprim17ROCPRIM_400000_NS6detail44device_merge_sort_compile_time_verifier_archINS1_11comp_targetILNS1_3genE9ELNS1_11target_archE1100ELNS1_3gpuE3ELNS1_3repE0EEES8_NS1_28merge_sort_block_sort_configILj256ELj4ELNS0_20block_sort_algorithmE0EEENS0_14default_configENS1_37merge_sort_block_sort_config_selectorIiNS0_10empty_typeEEENS1_38merge_sort_block_merge_config_selectorIiSE_EEEEvv.num_agpr, 0
	.set _ZN7rocprim17ROCPRIM_400000_NS6detail44device_merge_sort_compile_time_verifier_archINS1_11comp_targetILNS1_3genE9ELNS1_11target_archE1100ELNS1_3gpuE3ELNS1_3repE0EEES8_NS1_28merge_sort_block_sort_configILj256ELj4ELNS0_20block_sort_algorithmE0EEENS0_14default_configENS1_37merge_sort_block_sort_config_selectorIiNS0_10empty_typeEEENS1_38merge_sort_block_merge_config_selectorIiSE_EEEEvv.numbered_sgpr, 0
	.set _ZN7rocprim17ROCPRIM_400000_NS6detail44device_merge_sort_compile_time_verifier_archINS1_11comp_targetILNS1_3genE9ELNS1_11target_archE1100ELNS1_3gpuE3ELNS1_3repE0EEES8_NS1_28merge_sort_block_sort_configILj256ELj4ELNS0_20block_sort_algorithmE0EEENS0_14default_configENS1_37merge_sort_block_sort_config_selectorIiNS0_10empty_typeEEENS1_38merge_sort_block_merge_config_selectorIiSE_EEEEvv.num_named_barrier, 0
	.set _ZN7rocprim17ROCPRIM_400000_NS6detail44device_merge_sort_compile_time_verifier_archINS1_11comp_targetILNS1_3genE9ELNS1_11target_archE1100ELNS1_3gpuE3ELNS1_3repE0EEES8_NS1_28merge_sort_block_sort_configILj256ELj4ELNS0_20block_sort_algorithmE0EEENS0_14default_configENS1_37merge_sort_block_sort_config_selectorIiNS0_10empty_typeEEENS1_38merge_sort_block_merge_config_selectorIiSE_EEEEvv.private_seg_size, 0
	.set _ZN7rocprim17ROCPRIM_400000_NS6detail44device_merge_sort_compile_time_verifier_archINS1_11comp_targetILNS1_3genE9ELNS1_11target_archE1100ELNS1_3gpuE3ELNS1_3repE0EEES8_NS1_28merge_sort_block_sort_configILj256ELj4ELNS0_20block_sort_algorithmE0EEENS0_14default_configENS1_37merge_sort_block_sort_config_selectorIiNS0_10empty_typeEEENS1_38merge_sort_block_merge_config_selectorIiSE_EEEEvv.uses_vcc, 0
	.set _ZN7rocprim17ROCPRIM_400000_NS6detail44device_merge_sort_compile_time_verifier_archINS1_11comp_targetILNS1_3genE9ELNS1_11target_archE1100ELNS1_3gpuE3ELNS1_3repE0EEES8_NS1_28merge_sort_block_sort_configILj256ELj4ELNS0_20block_sort_algorithmE0EEENS0_14default_configENS1_37merge_sort_block_sort_config_selectorIiNS0_10empty_typeEEENS1_38merge_sort_block_merge_config_selectorIiSE_EEEEvv.uses_flat_scratch, 0
	.set _ZN7rocprim17ROCPRIM_400000_NS6detail44device_merge_sort_compile_time_verifier_archINS1_11comp_targetILNS1_3genE9ELNS1_11target_archE1100ELNS1_3gpuE3ELNS1_3repE0EEES8_NS1_28merge_sort_block_sort_configILj256ELj4ELNS0_20block_sort_algorithmE0EEENS0_14default_configENS1_37merge_sort_block_sort_config_selectorIiNS0_10empty_typeEEENS1_38merge_sort_block_merge_config_selectorIiSE_EEEEvv.has_dyn_sized_stack, 0
	.set _ZN7rocprim17ROCPRIM_400000_NS6detail44device_merge_sort_compile_time_verifier_archINS1_11comp_targetILNS1_3genE9ELNS1_11target_archE1100ELNS1_3gpuE3ELNS1_3repE0EEES8_NS1_28merge_sort_block_sort_configILj256ELj4ELNS0_20block_sort_algorithmE0EEENS0_14default_configENS1_37merge_sort_block_sort_config_selectorIiNS0_10empty_typeEEENS1_38merge_sort_block_merge_config_selectorIiSE_EEEEvv.has_recursion, 0
	.set _ZN7rocprim17ROCPRIM_400000_NS6detail44device_merge_sort_compile_time_verifier_archINS1_11comp_targetILNS1_3genE9ELNS1_11target_archE1100ELNS1_3gpuE3ELNS1_3repE0EEES8_NS1_28merge_sort_block_sort_configILj256ELj4ELNS0_20block_sort_algorithmE0EEENS0_14default_configENS1_37merge_sort_block_sort_config_selectorIiNS0_10empty_typeEEENS1_38merge_sort_block_merge_config_selectorIiSE_EEEEvv.has_indirect_call, 0
	.section	.AMDGPU.csdata,"",@progbits
; Kernel info:
; codeLenInByte = 4
; TotalNumSgprs: 0
; NumVgprs: 0
; ScratchSize: 0
; MemoryBound: 0
; FloatMode: 240
; IeeeMode: 1
; LDSByteSize: 0 bytes/workgroup (compile time only)
; SGPRBlocks: 0
; VGPRBlocks: 0
; NumSGPRsForWavesPerEU: 1
; NumVGPRsForWavesPerEU: 1
; Occupancy: 16
; WaveLimiterHint : 0
; COMPUTE_PGM_RSRC2:SCRATCH_EN: 0
; COMPUTE_PGM_RSRC2:USER_SGPR: 4
; COMPUTE_PGM_RSRC2:TRAP_HANDLER: 0
; COMPUTE_PGM_RSRC2:TGID_X_EN: 1
; COMPUTE_PGM_RSRC2:TGID_Y_EN: 0
; COMPUTE_PGM_RSRC2:TGID_Z_EN: 0
; COMPUTE_PGM_RSRC2:TIDIG_COMP_CNT: 0
	.section	.text._ZN7rocprim17ROCPRIM_400000_NS6detail44device_merge_sort_compile_time_verifier_archINS1_11comp_targetILNS1_3genE8ELNS1_11target_archE1030ELNS1_3gpuE2ELNS1_3repE0EEES8_NS1_28merge_sort_block_sort_configILj256ELj4ELNS0_20block_sort_algorithmE0EEENS0_14default_configENS1_37merge_sort_block_sort_config_selectorIiNS0_10empty_typeEEENS1_38merge_sort_block_merge_config_selectorIiSE_EEEEvv,"axG",@progbits,_ZN7rocprim17ROCPRIM_400000_NS6detail44device_merge_sort_compile_time_verifier_archINS1_11comp_targetILNS1_3genE8ELNS1_11target_archE1030ELNS1_3gpuE2ELNS1_3repE0EEES8_NS1_28merge_sort_block_sort_configILj256ELj4ELNS0_20block_sort_algorithmE0EEENS0_14default_configENS1_37merge_sort_block_sort_config_selectorIiNS0_10empty_typeEEENS1_38merge_sort_block_merge_config_selectorIiSE_EEEEvv,comdat
	.protected	_ZN7rocprim17ROCPRIM_400000_NS6detail44device_merge_sort_compile_time_verifier_archINS1_11comp_targetILNS1_3genE8ELNS1_11target_archE1030ELNS1_3gpuE2ELNS1_3repE0EEES8_NS1_28merge_sort_block_sort_configILj256ELj4ELNS0_20block_sort_algorithmE0EEENS0_14default_configENS1_37merge_sort_block_sort_config_selectorIiNS0_10empty_typeEEENS1_38merge_sort_block_merge_config_selectorIiSE_EEEEvv ; -- Begin function _ZN7rocprim17ROCPRIM_400000_NS6detail44device_merge_sort_compile_time_verifier_archINS1_11comp_targetILNS1_3genE8ELNS1_11target_archE1030ELNS1_3gpuE2ELNS1_3repE0EEES8_NS1_28merge_sort_block_sort_configILj256ELj4ELNS0_20block_sort_algorithmE0EEENS0_14default_configENS1_37merge_sort_block_sort_config_selectorIiNS0_10empty_typeEEENS1_38merge_sort_block_merge_config_selectorIiSE_EEEEvv
	.globl	_ZN7rocprim17ROCPRIM_400000_NS6detail44device_merge_sort_compile_time_verifier_archINS1_11comp_targetILNS1_3genE8ELNS1_11target_archE1030ELNS1_3gpuE2ELNS1_3repE0EEES8_NS1_28merge_sort_block_sort_configILj256ELj4ELNS0_20block_sort_algorithmE0EEENS0_14default_configENS1_37merge_sort_block_sort_config_selectorIiNS0_10empty_typeEEENS1_38merge_sort_block_merge_config_selectorIiSE_EEEEvv
	.p2align	8
	.type	_ZN7rocprim17ROCPRIM_400000_NS6detail44device_merge_sort_compile_time_verifier_archINS1_11comp_targetILNS1_3genE8ELNS1_11target_archE1030ELNS1_3gpuE2ELNS1_3repE0EEES8_NS1_28merge_sort_block_sort_configILj256ELj4ELNS0_20block_sort_algorithmE0EEENS0_14default_configENS1_37merge_sort_block_sort_config_selectorIiNS0_10empty_typeEEENS1_38merge_sort_block_merge_config_selectorIiSE_EEEEvv,@function
_ZN7rocprim17ROCPRIM_400000_NS6detail44device_merge_sort_compile_time_verifier_archINS1_11comp_targetILNS1_3genE8ELNS1_11target_archE1030ELNS1_3gpuE2ELNS1_3repE0EEES8_NS1_28merge_sort_block_sort_configILj256ELj4ELNS0_20block_sort_algorithmE0EEENS0_14default_configENS1_37merge_sort_block_sort_config_selectorIiNS0_10empty_typeEEENS1_38merge_sort_block_merge_config_selectorIiSE_EEEEvv: ; @_ZN7rocprim17ROCPRIM_400000_NS6detail44device_merge_sort_compile_time_verifier_archINS1_11comp_targetILNS1_3genE8ELNS1_11target_archE1030ELNS1_3gpuE2ELNS1_3repE0EEES8_NS1_28merge_sort_block_sort_configILj256ELj4ELNS0_20block_sort_algorithmE0EEENS0_14default_configENS1_37merge_sort_block_sort_config_selectorIiNS0_10empty_typeEEENS1_38merge_sort_block_merge_config_selectorIiSE_EEEEvv
; %bb.0:
	s_endpgm
	.section	.rodata,"a",@progbits
	.p2align	6, 0x0
	.amdhsa_kernel _ZN7rocprim17ROCPRIM_400000_NS6detail44device_merge_sort_compile_time_verifier_archINS1_11comp_targetILNS1_3genE8ELNS1_11target_archE1030ELNS1_3gpuE2ELNS1_3repE0EEES8_NS1_28merge_sort_block_sort_configILj256ELj4ELNS0_20block_sort_algorithmE0EEENS0_14default_configENS1_37merge_sort_block_sort_config_selectorIiNS0_10empty_typeEEENS1_38merge_sort_block_merge_config_selectorIiSE_EEEEvv
		.amdhsa_group_segment_fixed_size 0
		.amdhsa_private_segment_fixed_size 0
		.amdhsa_kernarg_size 0
		.amdhsa_user_sgpr_count 4
		.amdhsa_user_sgpr_private_segment_buffer 1
		.amdhsa_user_sgpr_dispatch_ptr 0
		.amdhsa_user_sgpr_queue_ptr 0
		.amdhsa_user_sgpr_kernarg_segment_ptr 0
		.amdhsa_user_sgpr_dispatch_id 0
		.amdhsa_user_sgpr_flat_scratch_init 0
		.amdhsa_user_sgpr_private_segment_size 0
		.amdhsa_wavefront_size32 1
		.amdhsa_uses_dynamic_stack 0
		.amdhsa_system_sgpr_private_segment_wavefront_offset 0
		.amdhsa_system_sgpr_workgroup_id_x 1
		.amdhsa_system_sgpr_workgroup_id_y 0
		.amdhsa_system_sgpr_workgroup_id_z 0
		.amdhsa_system_sgpr_workgroup_info 0
		.amdhsa_system_vgpr_workitem_id 0
		.amdhsa_next_free_vgpr 1
		.amdhsa_next_free_sgpr 1
		.amdhsa_reserve_vcc 0
		.amdhsa_reserve_flat_scratch 0
		.amdhsa_float_round_mode_32 0
		.amdhsa_float_round_mode_16_64 0
		.amdhsa_float_denorm_mode_32 3
		.amdhsa_float_denorm_mode_16_64 3
		.amdhsa_dx10_clamp 1
		.amdhsa_ieee_mode 1
		.amdhsa_fp16_overflow 0
		.amdhsa_workgroup_processor_mode 1
		.amdhsa_memory_ordered 1
		.amdhsa_forward_progress 1
		.amdhsa_shared_vgpr_count 0
		.amdhsa_exception_fp_ieee_invalid_op 0
		.amdhsa_exception_fp_denorm_src 0
		.amdhsa_exception_fp_ieee_div_zero 0
		.amdhsa_exception_fp_ieee_overflow 0
		.amdhsa_exception_fp_ieee_underflow 0
		.amdhsa_exception_fp_ieee_inexact 0
		.amdhsa_exception_int_div_zero 0
	.end_amdhsa_kernel
	.section	.text._ZN7rocprim17ROCPRIM_400000_NS6detail44device_merge_sort_compile_time_verifier_archINS1_11comp_targetILNS1_3genE8ELNS1_11target_archE1030ELNS1_3gpuE2ELNS1_3repE0EEES8_NS1_28merge_sort_block_sort_configILj256ELj4ELNS0_20block_sort_algorithmE0EEENS0_14default_configENS1_37merge_sort_block_sort_config_selectorIiNS0_10empty_typeEEENS1_38merge_sort_block_merge_config_selectorIiSE_EEEEvv,"axG",@progbits,_ZN7rocprim17ROCPRIM_400000_NS6detail44device_merge_sort_compile_time_verifier_archINS1_11comp_targetILNS1_3genE8ELNS1_11target_archE1030ELNS1_3gpuE2ELNS1_3repE0EEES8_NS1_28merge_sort_block_sort_configILj256ELj4ELNS0_20block_sort_algorithmE0EEENS0_14default_configENS1_37merge_sort_block_sort_config_selectorIiNS0_10empty_typeEEENS1_38merge_sort_block_merge_config_selectorIiSE_EEEEvv,comdat
.Lfunc_end1111:
	.size	_ZN7rocprim17ROCPRIM_400000_NS6detail44device_merge_sort_compile_time_verifier_archINS1_11comp_targetILNS1_3genE8ELNS1_11target_archE1030ELNS1_3gpuE2ELNS1_3repE0EEES8_NS1_28merge_sort_block_sort_configILj256ELj4ELNS0_20block_sort_algorithmE0EEENS0_14default_configENS1_37merge_sort_block_sort_config_selectorIiNS0_10empty_typeEEENS1_38merge_sort_block_merge_config_selectorIiSE_EEEEvv, .Lfunc_end1111-_ZN7rocprim17ROCPRIM_400000_NS6detail44device_merge_sort_compile_time_verifier_archINS1_11comp_targetILNS1_3genE8ELNS1_11target_archE1030ELNS1_3gpuE2ELNS1_3repE0EEES8_NS1_28merge_sort_block_sort_configILj256ELj4ELNS0_20block_sort_algorithmE0EEENS0_14default_configENS1_37merge_sort_block_sort_config_selectorIiNS0_10empty_typeEEENS1_38merge_sort_block_merge_config_selectorIiSE_EEEEvv
                                        ; -- End function
	.set _ZN7rocprim17ROCPRIM_400000_NS6detail44device_merge_sort_compile_time_verifier_archINS1_11comp_targetILNS1_3genE8ELNS1_11target_archE1030ELNS1_3gpuE2ELNS1_3repE0EEES8_NS1_28merge_sort_block_sort_configILj256ELj4ELNS0_20block_sort_algorithmE0EEENS0_14default_configENS1_37merge_sort_block_sort_config_selectorIiNS0_10empty_typeEEENS1_38merge_sort_block_merge_config_selectorIiSE_EEEEvv.num_vgpr, 0
	.set _ZN7rocprim17ROCPRIM_400000_NS6detail44device_merge_sort_compile_time_verifier_archINS1_11comp_targetILNS1_3genE8ELNS1_11target_archE1030ELNS1_3gpuE2ELNS1_3repE0EEES8_NS1_28merge_sort_block_sort_configILj256ELj4ELNS0_20block_sort_algorithmE0EEENS0_14default_configENS1_37merge_sort_block_sort_config_selectorIiNS0_10empty_typeEEENS1_38merge_sort_block_merge_config_selectorIiSE_EEEEvv.num_agpr, 0
	.set _ZN7rocprim17ROCPRIM_400000_NS6detail44device_merge_sort_compile_time_verifier_archINS1_11comp_targetILNS1_3genE8ELNS1_11target_archE1030ELNS1_3gpuE2ELNS1_3repE0EEES8_NS1_28merge_sort_block_sort_configILj256ELj4ELNS0_20block_sort_algorithmE0EEENS0_14default_configENS1_37merge_sort_block_sort_config_selectorIiNS0_10empty_typeEEENS1_38merge_sort_block_merge_config_selectorIiSE_EEEEvv.numbered_sgpr, 0
	.set _ZN7rocprim17ROCPRIM_400000_NS6detail44device_merge_sort_compile_time_verifier_archINS1_11comp_targetILNS1_3genE8ELNS1_11target_archE1030ELNS1_3gpuE2ELNS1_3repE0EEES8_NS1_28merge_sort_block_sort_configILj256ELj4ELNS0_20block_sort_algorithmE0EEENS0_14default_configENS1_37merge_sort_block_sort_config_selectorIiNS0_10empty_typeEEENS1_38merge_sort_block_merge_config_selectorIiSE_EEEEvv.num_named_barrier, 0
	.set _ZN7rocprim17ROCPRIM_400000_NS6detail44device_merge_sort_compile_time_verifier_archINS1_11comp_targetILNS1_3genE8ELNS1_11target_archE1030ELNS1_3gpuE2ELNS1_3repE0EEES8_NS1_28merge_sort_block_sort_configILj256ELj4ELNS0_20block_sort_algorithmE0EEENS0_14default_configENS1_37merge_sort_block_sort_config_selectorIiNS0_10empty_typeEEENS1_38merge_sort_block_merge_config_selectorIiSE_EEEEvv.private_seg_size, 0
	.set _ZN7rocprim17ROCPRIM_400000_NS6detail44device_merge_sort_compile_time_verifier_archINS1_11comp_targetILNS1_3genE8ELNS1_11target_archE1030ELNS1_3gpuE2ELNS1_3repE0EEES8_NS1_28merge_sort_block_sort_configILj256ELj4ELNS0_20block_sort_algorithmE0EEENS0_14default_configENS1_37merge_sort_block_sort_config_selectorIiNS0_10empty_typeEEENS1_38merge_sort_block_merge_config_selectorIiSE_EEEEvv.uses_vcc, 0
	.set _ZN7rocprim17ROCPRIM_400000_NS6detail44device_merge_sort_compile_time_verifier_archINS1_11comp_targetILNS1_3genE8ELNS1_11target_archE1030ELNS1_3gpuE2ELNS1_3repE0EEES8_NS1_28merge_sort_block_sort_configILj256ELj4ELNS0_20block_sort_algorithmE0EEENS0_14default_configENS1_37merge_sort_block_sort_config_selectorIiNS0_10empty_typeEEENS1_38merge_sort_block_merge_config_selectorIiSE_EEEEvv.uses_flat_scratch, 0
	.set _ZN7rocprim17ROCPRIM_400000_NS6detail44device_merge_sort_compile_time_verifier_archINS1_11comp_targetILNS1_3genE8ELNS1_11target_archE1030ELNS1_3gpuE2ELNS1_3repE0EEES8_NS1_28merge_sort_block_sort_configILj256ELj4ELNS0_20block_sort_algorithmE0EEENS0_14default_configENS1_37merge_sort_block_sort_config_selectorIiNS0_10empty_typeEEENS1_38merge_sort_block_merge_config_selectorIiSE_EEEEvv.has_dyn_sized_stack, 0
	.set _ZN7rocprim17ROCPRIM_400000_NS6detail44device_merge_sort_compile_time_verifier_archINS1_11comp_targetILNS1_3genE8ELNS1_11target_archE1030ELNS1_3gpuE2ELNS1_3repE0EEES8_NS1_28merge_sort_block_sort_configILj256ELj4ELNS0_20block_sort_algorithmE0EEENS0_14default_configENS1_37merge_sort_block_sort_config_selectorIiNS0_10empty_typeEEENS1_38merge_sort_block_merge_config_selectorIiSE_EEEEvv.has_recursion, 0
	.set _ZN7rocprim17ROCPRIM_400000_NS6detail44device_merge_sort_compile_time_verifier_archINS1_11comp_targetILNS1_3genE8ELNS1_11target_archE1030ELNS1_3gpuE2ELNS1_3repE0EEES8_NS1_28merge_sort_block_sort_configILj256ELj4ELNS0_20block_sort_algorithmE0EEENS0_14default_configENS1_37merge_sort_block_sort_config_selectorIiNS0_10empty_typeEEENS1_38merge_sort_block_merge_config_selectorIiSE_EEEEvv.has_indirect_call, 0
	.section	.AMDGPU.csdata,"",@progbits
; Kernel info:
; codeLenInByte = 4
; TotalNumSgprs: 0
; NumVgprs: 0
; ScratchSize: 0
; MemoryBound: 0
; FloatMode: 240
; IeeeMode: 1
; LDSByteSize: 0 bytes/workgroup (compile time only)
; SGPRBlocks: 0
; VGPRBlocks: 0
; NumSGPRsForWavesPerEU: 1
; NumVGPRsForWavesPerEU: 1
; Occupancy: 16
; WaveLimiterHint : 0
; COMPUTE_PGM_RSRC2:SCRATCH_EN: 0
; COMPUTE_PGM_RSRC2:USER_SGPR: 4
; COMPUTE_PGM_RSRC2:TRAP_HANDLER: 0
; COMPUTE_PGM_RSRC2:TGID_X_EN: 1
; COMPUTE_PGM_RSRC2:TGID_Y_EN: 0
; COMPUTE_PGM_RSRC2:TGID_Z_EN: 0
; COMPUTE_PGM_RSRC2:TIDIG_COMP_CNT: 0
	.section	.text._ZN7rocprim17ROCPRIM_400000_NS6detail17trampoline_kernelINS0_14default_configENS1_38merge_sort_block_merge_config_selectorIiNS0_10empty_typeEEEZZNS1_27merge_sort_block_merge_implIS3_N6thrust23THRUST_200600_302600_NS10device_ptrIiEEPS5_jNS1_19radix_merge_compareILb0ELb0EiNS0_19identity_decomposerEEEEE10hipError_tT0_T1_T2_jT3_P12ihipStream_tbPNSt15iterator_traitsISH_E10value_typeEPNSN_ISI_E10value_typeEPSJ_NS1_7vsmem_tEENKUlT_SH_SI_SJ_E_clIPiSB_SC_SC_EESG_SW_SH_SI_SJ_EUlSW_E_NS1_11comp_targetILNS1_3genE0ELNS1_11target_archE4294967295ELNS1_3gpuE0ELNS1_3repE0EEENS1_48merge_mergepath_partition_config_static_selectorELNS0_4arch9wavefront6targetE0EEEvSI_,"axG",@progbits,_ZN7rocprim17ROCPRIM_400000_NS6detail17trampoline_kernelINS0_14default_configENS1_38merge_sort_block_merge_config_selectorIiNS0_10empty_typeEEEZZNS1_27merge_sort_block_merge_implIS3_N6thrust23THRUST_200600_302600_NS10device_ptrIiEEPS5_jNS1_19radix_merge_compareILb0ELb0EiNS0_19identity_decomposerEEEEE10hipError_tT0_T1_T2_jT3_P12ihipStream_tbPNSt15iterator_traitsISH_E10value_typeEPNSN_ISI_E10value_typeEPSJ_NS1_7vsmem_tEENKUlT_SH_SI_SJ_E_clIPiSB_SC_SC_EESG_SW_SH_SI_SJ_EUlSW_E_NS1_11comp_targetILNS1_3genE0ELNS1_11target_archE4294967295ELNS1_3gpuE0ELNS1_3repE0EEENS1_48merge_mergepath_partition_config_static_selectorELNS0_4arch9wavefront6targetE0EEEvSI_,comdat
	.protected	_ZN7rocprim17ROCPRIM_400000_NS6detail17trampoline_kernelINS0_14default_configENS1_38merge_sort_block_merge_config_selectorIiNS0_10empty_typeEEEZZNS1_27merge_sort_block_merge_implIS3_N6thrust23THRUST_200600_302600_NS10device_ptrIiEEPS5_jNS1_19radix_merge_compareILb0ELb0EiNS0_19identity_decomposerEEEEE10hipError_tT0_T1_T2_jT3_P12ihipStream_tbPNSt15iterator_traitsISH_E10value_typeEPNSN_ISI_E10value_typeEPSJ_NS1_7vsmem_tEENKUlT_SH_SI_SJ_E_clIPiSB_SC_SC_EESG_SW_SH_SI_SJ_EUlSW_E_NS1_11comp_targetILNS1_3genE0ELNS1_11target_archE4294967295ELNS1_3gpuE0ELNS1_3repE0EEENS1_48merge_mergepath_partition_config_static_selectorELNS0_4arch9wavefront6targetE0EEEvSI_ ; -- Begin function _ZN7rocprim17ROCPRIM_400000_NS6detail17trampoline_kernelINS0_14default_configENS1_38merge_sort_block_merge_config_selectorIiNS0_10empty_typeEEEZZNS1_27merge_sort_block_merge_implIS3_N6thrust23THRUST_200600_302600_NS10device_ptrIiEEPS5_jNS1_19radix_merge_compareILb0ELb0EiNS0_19identity_decomposerEEEEE10hipError_tT0_T1_T2_jT3_P12ihipStream_tbPNSt15iterator_traitsISH_E10value_typeEPNSN_ISI_E10value_typeEPSJ_NS1_7vsmem_tEENKUlT_SH_SI_SJ_E_clIPiSB_SC_SC_EESG_SW_SH_SI_SJ_EUlSW_E_NS1_11comp_targetILNS1_3genE0ELNS1_11target_archE4294967295ELNS1_3gpuE0ELNS1_3repE0EEENS1_48merge_mergepath_partition_config_static_selectorELNS0_4arch9wavefront6targetE0EEEvSI_
	.globl	_ZN7rocprim17ROCPRIM_400000_NS6detail17trampoline_kernelINS0_14default_configENS1_38merge_sort_block_merge_config_selectorIiNS0_10empty_typeEEEZZNS1_27merge_sort_block_merge_implIS3_N6thrust23THRUST_200600_302600_NS10device_ptrIiEEPS5_jNS1_19radix_merge_compareILb0ELb0EiNS0_19identity_decomposerEEEEE10hipError_tT0_T1_T2_jT3_P12ihipStream_tbPNSt15iterator_traitsISH_E10value_typeEPNSN_ISI_E10value_typeEPSJ_NS1_7vsmem_tEENKUlT_SH_SI_SJ_E_clIPiSB_SC_SC_EESG_SW_SH_SI_SJ_EUlSW_E_NS1_11comp_targetILNS1_3genE0ELNS1_11target_archE4294967295ELNS1_3gpuE0ELNS1_3repE0EEENS1_48merge_mergepath_partition_config_static_selectorELNS0_4arch9wavefront6targetE0EEEvSI_
	.p2align	8
	.type	_ZN7rocprim17ROCPRIM_400000_NS6detail17trampoline_kernelINS0_14default_configENS1_38merge_sort_block_merge_config_selectorIiNS0_10empty_typeEEEZZNS1_27merge_sort_block_merge_implIS3_N6thrust23THRUST_200600_302600_NS10device_ptrIiEEPS5_jNS1_19radix_merge_compareILb0ELb0EiNS0_19identity_decomposerEEEEE10hipError_tT0_T1_T2_jT3_P12ihipStream_tbPNSt15iterator_traitsISH_E10value_typeEPNSN_ISI_E10value_typeEPSJ_NS1_7vsmem_tEENKUlT_SH_SI_SJ_E_clIPiSB_SC_SC_EESG_SW_SH_SI_SJ_EUlSW_E_NS1_11comp_targetILNS1_3genE0ELNS1_11target_archE4294967295ELNS1_3gpuE0ELNS1_3repE0EEENS1_48merge_mergepath_partition_config_static_selectorELNS0_4arch9wavefront6targetE0EEEvSI_,@function
_ZN7rocprim17ROCPRIM_400000_NS6detail17trampoline_kernelINS0_14default_configENS1_38merge_sort_block_merge_config_selectorIiNS0_10empty_typeEEEZZNS1_27merge_sort_block_merge_implIS3_N6thrust23THRUST_200600_302600_NS10device_ptrIiEEPS5_jNS1_19radix_merge_compareILb0ELb0EiNS0_19identity_decomposerEEEEE10hipError_tT0_T1_T2_jT3_P12ihipStream_tbPNSt15iterator_traitsISH_E10value_typeEPNSN_ISI_E10value_typeEPSJ_NS1_7vsmem_tEENKUlT_SH_SI_SJ_E_clIPiSB_SC_SC_EESG_SW_SH_SI_SJ_EUlSW_E_NS1_11comp_targetILNS1_3genE0ELNS1_11target_archE4294967295ELNS1_3gpuE0ELNS1_3repE0EEENS1_48merge_mergepath_partition_config_static_selectorELNS0_4arch9wavefront6targetE0EEEvSI_: ; @_ZN7rocprim17ROCPRIM_400000_NS6detail17trampoline_kernelINS0_14default_configENS1_38merge_sort_block_merge_config_selectorIiNS0_10empty_typeEEEZZNS1_27merge_sort_block_merge_implIS3_N6thrust23THRUST_200600_302600_NS10device_ptrIiEEPS5_jNS1_19radix_merge_compareILb0ELb0EiNS0_19identity_decomposerEEEEE10hipError_tT0_T1_T2_jT3_P12ihipStream_tbPNSt15iterator_traitsISH_E10value_typeEPNSN_ISI_E10value_typeEPSJ_NS1_7vsmem_tEENKUlT_SH_SI_SJ_E_clIPiSB_SC_SC_EESG_SW_SH_SI_SJ_EUlSW_E_NS1_11comp_targetILNS1_3genE0ELNS1_11target_archE4294967295ELNS1_3gpuE0ELNS1_3repE0EEENS1_48merge_mergepath_partition_config_static_selectorELNS0_4arch9wavefront6targetE0EEEvSI_
; %bb.0:
	.section	.rodata,"a",@progbits
	.p2align	6, 0x0
	.amdhsa_kernel _ZN7rocprim17ROCPRIM_400000_NS6detail17trampoline_kernelINS0_14default_configENS1_38merge_sort_block_merge_config_selectorIiNS0_10empty_typeEEEZZNS1_27merge_sort_block_merge_implIS3_N6thrust23THRUST_200600_302600_NS10device_ptrIiEEPS5_jNS1_19radix_merge_compareILb0ELb0EiNS0_19identity_decomposerEEEEE10hipError_tT0_T1_T2_jT3_P12ihipStream_tbPNSt15iterator_traitsISH_E10value_typeEPNSN_ISI_E10value_typeEPSJ_NS1_7vsmem_tEENKUlT_SH_SI_SJ_E_clIPiSB_SC_SC_EESG_SW_SH_SI_SJ_EUlSW_E_NS1_11comp_targetILNS1_3genE0ELNS1_11target_archE4294967295ELNS1_3gpuE0ELNS1_3repE0EEENS1_48merge_mergepath_partition_config_static_selectorELNS0_4arch9wavefront6targetE0EEEvSI_
		.amdhsa_group_segment_fixed_size 0
		.amdhsa_private_segment_fixed_size 0
		.amdhsa_kernarg_size 40
		.amdhsa_user_sgpr_count 6
		.amdhsa_user_sgpr_private_segment_buffer 1
		.amdhsa_user_sgpr_dispatch_ptr 0
		.amdhsa_user_sgpr_queue_ptr 0
		.amdhsa_user_sgpr_kernarg_segment_ptr 1
		.amdhsa_user_sgpr_dispatch_id 0
		.amdhsa_user_sgpr_flat_scratch_init 0
		.amdhsa_user_sgpr_private_segment_size 0
		.amdhsa_wavefront_size32 1
		.amdhsa_uses_dynamic_stack 0
		.amdhsa_system_sgpr_private_segment_wavefront_offset 0
		.amdhsa_system_sgpr_workgroup_id_x 1
		.amdhsa_system_sgpr_workgroup_id_y 0
		.amdhsa_system_sgpr_workgroup_id_z 0
		.amdhsa_system_sgpr_workgroup_info 0
		.amdhsa_system_vgpr_workitem_id 0
		.amdhsa_next_free_vgpr 1
		.amdhsa_next_free_sgpr 1
		.amdhsa_reserve_vcc 0
		.amdhsa_reserve_flat_scratch 0
		.amdhsa_float_round_mode_32 0
		.amdhsa_float_round_mode_16_64 0
		.amdhsa_float_denorm_mode_32 3
		.amdhsa_float_denorm_mode_16_64 3
		.amdhsa_dx10_clamp 1
		.amdhsa_ieee_mode 1
		.amdhsa_fp16_overflow 0
		.amdhsa_workgroup_processor_mode 1
		.amdhsa_memory_ordered 1
		.amdhsa_forward_progress 1
		.amdhsa_shared_vgpr_count 0
		.amdhsa_exception_fp_ieee_invalid_op 0
		.amdhsa_exception_fp_denorm_src 0
		.amdhsa_exception_fp_ieee_div_zero 0
		.amdhsa_exception_fp_ieee_overflow 0
		.amdhsa_exception_fp_ieee_underflow 0
		.amdhsa_exception_fp_ieee_inexact 0
		.amdhsa_exception_int_div_zero 0
	.end_amdhsa_kernel
	.section	.text._ZN7rocprim17ROCPRIM_400000_NS6detail17trampoline_kernelINS0_14default_configENS1_38merge_sort_block_merge_config_selectorIiNS0_10empty_typeEEEZZNS1_27merge_sort_block_merge_implIS3_N6thrust23THRUST_200600_302600_NS10device_ptrIiEEPS5_jNS1_19radix_merge_compareILb0ELb0EiNS0_19identity_decomposerEEEEE10hipError_tT0_T1_T2_jT3_P12ihipStream_tbPNSt15iterator_traitsISH_E10value_typeEPNSN_ISI_E10value_typeEPSJ_NS1_7vsmem_tEENKUlT_SH_SI_SJ_E_clIPiSB_SC_SC_EESG_SW_SH_SI_SJ_EUlSW_E_NS1_11comp_targetILNS1_3genE0ELNS1_11target_archE4294967295ELNS1_3gpuE0ELNS1_3repE0EEENS1_48merge_mergepath_partition_config_static_selectorELNS0_4arch9wavefront6targetE0EEEvSI_,"axG",@progbits,_ZN7rocprim17ROCPRIM_400000_NS6detail17trampoline_kernelINS0_14default_configENS1_38merge_sort_block_merge_config_selectorIiNS0_10empty_typeEEEZZNS1_27merge_sort_block_merge_implIS3_N6thrust23THRUST_200600_302600_NS10device_ptrIiEEPS5_jNS1_19radix_merge_compareILb0ELb0EiNS0_19identity_decomposerEEEEE10hipError_tT0_T1_T2_jT3_P12ihipStream_tbPNSt15iterator_traitsISH_E10value_typeEPNSN_ISI_E10value_typeEPSJ_NS1_7vsmem_tEENKUlT_SH_SI_SJ_E_clIPiSB_SC_SC_EESG_SW_SH_SI_SJ_EUlSW_E_NS1_11comp_targetILNS1_3genE0ELNS1_11target_archE4294967295ELNS1_3gpuE0ELNS1_3repE0EEENS1_48merge_mergepath_partition_config_static_selectorELNS0_4arch9wavefront6targetE0EEEvSI_,comdat
.Lfunc_end1112:
	.size	_ZN7rocprim17ROCPRIM_400000_NS6detail17trampoline_kernelINS0_14default_configENS1_38merge_sort_block_merge_config_selectorIiNS0_10empty_typeEEEZZNS1_27merge_sort_block_merge_implIS3_N6thrust23THRUST_200600_302600_NS10device_ptrIiEEPS5_jNS1_19radix_merge_compareILb0ELb0EiNS0_19identity_decomposerEEEEE10hipError_tT0_T1_T2_jT3_P12ihipStream_tbPNSt15iterator_traitsISH_E10value_typeEPNSN_ISI_E10value_typeEPSJ_NS1_7vsmem_tEENKUlT_SH_SI_SJ_E_clIPiSB_SC_SC_EESG_SW_SH_SI_SJ_EUlSW_E_NS1_11comp_targetILNS1_3genE0ELNS1_11target_archE4294967295ELNS1_3gpuE0ELNS1_3repE0EEENS1_48merge_mergepath_partition_config_static_selectorELNS0_4arch9wavefront6targetE0EEEvSI_, .Lfunc_end1112-_ZN7rocprim17ROCPRIM_400000_NS6detail17trampoline_kernelINS0_14default_configENS1_38merge_sort_block_merge_config_selectorIiNS0_10empty_typeEEEZZNS1_27merge_sort_block_merge_implIS3_N6thrust23THRUST_200600_302600_NS10device_ptrIiEEPS5_jNS1_19radix_merge_compareILb0ELb0EiNS0_19identity_decomposerEEEEE10hipError_tT0_T1_T2_jT3_P12ihipStream_tbPNSt15iterator_traitsISH_E10value_typeEPNSN_ISI_E10value_typeEPSJ_NS1_7vsmem_tEENKUlT_SH_SI_SJ_E_clIPiSB_SC_SC_EESG_SW_SH_SI_SJ_EUlSW_E_NS1_11comp_targetILNS1_3genE0ELNS1_11target_archE4294967295ELNS1_3gpuE0ELNS1_3repE0EEENS1_48merge_mergepath_partition_config_static_selectorELNS0_4arch9wavefront6targetE0EEEvSI_
                                        ; -- End function
	.set _ZN7rocprim17ROCPRIM_400000_NS6detail17trampoline_kernelINS0_14default_configENS1_38merge_sort_block_merge_config_selectorIiNS0_10empty_typeEEEZZNS1_27merge_sort_block_merge_implIS3_N6thrust23THRUST_200600_302600_NS10device_ptrIiEEPS5_jNS1_19radix_merge_compareILb0ELb0EiNS0_19identity_decomposerEEEEE10hipError_tT0_T1_T2_jT3_P12ihipStream_tbPNSt15iterator_traitsISH_E10value_typeEPNSN_ISI_E10value_typeEPSJ_NS1_7vsmem_tEENKUlT_SH_SI_SJ_E_clIPiSB_SC_SC_EESG_SW_SH_SI_SJ_EUlSW_E_NS1_11comp_targetILNS1_3genE0ELNS1_11target_archE4294967295ELNS1_3gpuE0ELNS1_3repE0EEENS1_48merge_mergepath_partition_config_static_selectorELNS0_4arch9wavefront6targetE0EEEvSI_.num_vgpr, 0
	.set _ZN7rocprim17ROCPRIM_400000_NS6detail17trampoline_kernelINS0_14default_configENS1_38merge_sort_block_merge_config_selectorIiNS0_10empty_typeEEEZZNS1_27merge_sort_block_merge_implIS3_N6thrust23THRUST_200600_302600_NS10device_ptrIiEEPS5_jNS1_19radix_merge_compareILb0ELb0EiNS0_19identity_decomposerEEEEE10hipError_tT0_T1_T2_jT3_P12ihipStream_tbPNSt15iterator_traitsISH_E10value_typeEPNSN_ISI_E10value_typeEPSJ_NS1_7vsmem_tEENKUlT_SH_SI_SJ_E_clIPiSB_SC_SC_EESG_SW_SH_SI_SJ_EUlSW_E_NS1_11comp_targetILNS1_3genE0ELNS1_11target_archE4294967295ELNS1_3gpuE0ELNS1_3repE0EEENS1_48merge_mergepath_partition_config_static_selectorELNS0_4arch9wavefront6targetE0EEEvSI_.num_agpr, 0
	.set _ZN7rocprim17ROCPRIM_400000_NS6detail17trampoline_kernelINS0_14default_configENS1_38merge_sort_block_merge_config_selectorIiNS0_10empty_typeEEEZZNS1_27merge_sort_block_merge_implIS3_N6thrust23THRUST_200600_302600_NS10device_ptrIiEEPS5_jNS1_19radix_merge_compareILb0ELb0EiNS0_19identity_decomposerEEEEE10hipError_tT0_T1_T2_jT3_P12ihipStream_tbPNSt15iterator_traitsISH_E10value_typeEPNSN_ISI_E10value_typeEPSJ_NS1_7vsmem_tEENKUlT_SH_SI_SJ_E_clIPiSB_SC_SC_EESG_SW_SH_SI_SJ_EUlSW_E_NS1_11comp_targetILNS1_3genE0ELNS1_11target_archE4294967295ELNS1_3gpuE0ELNS1_3repE0EEENS1_48merge_mergepath_partition_config_static_selectorELNS0_4arch9wavefront6targetE0EEEvSI_.numbered_sgpr, 0
	.set _ZN7rocprim17ROCPRIM_400000_NS6detail17trampoline_kernelINS0_14default_configENS1_38merge_sort_block_merge_config_selectorIiNS0_10empty_typeEEEZZNS1_27merge_sort_block_merge_implIS3_N6thrust23THRUST_200600_302600_NS10device_ptrIiEEPS5_jNS1_19radix_merge_compareILb0ELb0EiNS0_19identity_decomposerEEEEE10hipError_tT0_T1_T2_jT3_P12ihipStream_tbPNSt15iterator_traitsISH_E10value_typeEPNSN_ISI_E10value_typeEPSJ_NS1_7vsmem_tEENKUlT_SH_SI_SJ_E_clIPiSB_SC_SC_EESG_SW_SH_SI_SJ_EUlSW_E_NS1_11comp_targetILNS1_3genE0ELNS1_11target_archE4294967295ELNS1_3gpuE0ELNS1_3repE0EEENS1_48merge_mergepath_partition_config_static_selectorELNS0_4arch9wavefront6targetE0EEEvSI_.num_named_barrier, 0
	.set _ZN7rocprim17ROCPRIM_400000_NS6detail17trampoline_kernelINS0_14default_configENS1_38merge_sort_block_merge_config_selectorIiNS0_10empty_typeEEEZZNS1_27merge_sort_block_merge_implIS3_N6thrust23THRUST_200600_302600_NS10device_ptrIiEEPS5_jNS1_19radix_merge_compareILb0ELb0EiNS0_19identity_decomposerEEEEE10hipError_tT0_T1_T2_jT3_P12ihipStream_tbPNSt15iterator_traitsISH_E10value_typeEPNSN_ISI_E10value_typeEPSJ_NS1_7vsmem_tEENKUlT_SH_SI_SJ_E_clIPiSB_SC_SC_EESG_SW_SH_SI_SJ_EUlSW_E_NS1_11comp_targetILNS1_3genE0ELNS1_11target_archE4294967295ELNS1_3gpuE0ELNS1_3repE0EEENS1_48merge_mergepath_partition_config_static_selectorELNS0_4arch9wavefront6targetE0EEEvSI_.private_seg_size, 0
	.set _ZN7rocprim17ROCPRIM_400000_NS6detail17trampoline_kernelINS0_14default_configENS1_38merge_sort_block_merge_config_selectorIiNS0_10empty_typeEEEZZNS1_27merge_sort_block_merge_implIS3_N6thrust23THRUST_200600_302600_NS10device_ptrIiEEPS5_jNS1_19radix_merge_compareILb0ELb0EiNS0_19identity_decomposerEEEEE10hipError_tT0_T1_T2_jT3_P12ihipStream_tbPNSt15iterator_traitsISH_E10value_typeEPNSN_ISI_E10value_typeEPSJ_NS1_7vsmem_tEENKUlT_SH_SI_SJ_E_clIPiSB_SC_SC_EESG_SW_SH_SI_SJ_EUlSW_E_NS1_11comp_targetILNS1_3genE0ELNS1_11target_archE4294967295ELNS1_3gpuE0ELNS1_3repE0EEENS1_48merge_mergepath_partition_config_static_selectorELNS0_4arch9wavefront6targetE0EEEvSI_.uses_vcc, 0
	.set _ZN7rocprim17ROCPRIM_400000_NS6detail17trampoline_kernelINS0_14default_configENS1_38merge_sort_block_merge_config_selectorIiNS0_10empty_typeEEEZZNS1_27merge_sort_block_merge_implIS3_N6thrust23THRUST_200600_302600_NS10device_ptrIiEEPS5_jNS1_19radix_merge_compareILb0ELb0EiNS0_19identity_decomposerEEEEE10hipError_tT0_T1_T2_jT3_P12ihipStream_tbPNSt15iterator_traitsISH_E10value_typeEPNSN_ISI_E10value_typeEPSJ_NS1_7vsmem_tEENKUlT_SH_SI_SJ_E_clIPiSB_SC_SC_EESG_SW_SH_SI_SJ_EUlSW_E_NS1_11comp_targetILNS1_3genE0ELNS1_11target_archE4294967295ELNS1_3gpuE0ELNS1_3repE0EEENS1_48merge_mergepath_partition_config_static_selectorELNS0_4arch9wavefront6targetE0EEEvSI_.uses_flat_scratch, 0
	.set _ZN7rocprim17ROCPRIM_400000_NS6detail17trampoline_kernelINS0_14default_configENS1_38merge_sort_block_merge_config_selectorIiNS0_10empty_typeEEEZZNS1_27merge_sort_block_merge_implIS3_N6thrust23THRUST_200600_302600_NS10device_ptrIiEEPS5_jNS1_19radix_merge_compareILb0ELb0EiNS0_19identity_decomposerEEEEE10hipError_tT0_T1_T2_jT3_P12ihipStream_tbPNSt15iterator_traitsISH_E10value_typeEPNSN_ISI_E10value_typeEPSJ_NS1_7vsmem_tEENKUlT_SH_SI_SJ_E_clIPiSB_SC_SC_EESG_SW_SH_SI_SJ_EUlSW_E_NS1_11comp_targetILNS1_3genE0ELNS1_11target_archE4294967295ELNS1_3gpuE0ELNS1_3repE0EEENS1_48merge_mergepath_partition_config_static_selectorELNS0_4arch9wavefront6targetE0EEEvSI_.has_dyn_sized_stack, 0
	.set _ZN7rocprim17ROCPRIM_400000_NS6detail17trampoline_kernelINS0_14default_configENS1_38merge_sort_block_merge_config_selectorIiNS0_10empty_typeEEEZZNS1_27merge_sort_block_merge_implIS3_N6thrust23THRUST_200600_302600_NS10device_ptrIiEEPS5_jNS1_19radix_merge_compareILb0ELb0EiNS0_19identity_decomposerEEEEE10hipError_tT0_T1_T2_jT3_P12ihipStream_tbPNSt15iterator_traitsISH_E10value_typeEPNSN_ISI_E10value_typeEPSJ_NS1_7vsmem_tEENKUlT_SH_SI_SJ_E_clIPiSB_SC_SC_EESG_SW_SH_SI_SJ_EUlSW_E_NS1_11comp_targetILNS1_3genE0ELNS1_11target_archE4294967295ELNS1_3gpuE0ELNS1_3repE0EEENS1_48merge_mergepath_partition_config_static_selectorELNS0_4arch9wavefront6targetE0EEEvSI_.has_recursion, 0
	.set _ZN7rocprim17ROCPRIM_400000_NS6detail17trampoline_kernelINS0_14default_configENS1_38merge_sort_block_merge_config_selectorIiNS0_10empty_typeEEEZZNS1_27merge_sort_block_merge_implIS3_N6thrust23THRUST_200600_302600_NS10device_ptrIiEEPS5_jNS1_19radix_merge_compareILb0ELb0EiNS0_19identity_decomposerEEEEE10hipError_tT0_T1_T2_jT3_P12ihipStream_tbPNSt15iterator_traitsISH_E10value_typeEPNSN_ISI_E10value_typeEPSJ_NS1_7vsmem_tEENKUlT_SH_SI_SJ_E_clIPiSB_SC_SC_EESG_SW_SH_SI_SJ_EUlSW_E_NS1_11comp_targetILNS1_3genE0ELNS1_11target_archE4294967295ELNS1_3gpuE0ELNS1_3repE0EEENS1_48merge_mergepath_partition_config_static_selectorELNS0_4arch9wavefront6targetE0EEEvSI_.has_indirect_call, 0
	.section	.AMDGPU.csdata,"",@progbits
; Kernel info:
; codeLenInByte = 0
; TotalNumSgprs: 0
; NumVgprs: 0
; ScratchSize: 0
; MemoryBound: 0
; FloatMode: 240
; IeeeMode: 1
; LDSByteSize: 0 bytes/workgroup (compile time only)
; SGPRBlocks: 0
; VGPRBlocks: 0
; NumSGPRsForWavesPerEU: 1
; NumVGPRsForWavesPerEU: 1
; Occupancy: 16
; WaveLimiterHint : 0
; COMPUTE_PGM_RSRC2:SCRATCH_EN: 0
; COMPUTE_PGM_RSRC2:USER_SGPR: 6
; COMPUTE_PGM_RSRC2:TRAP_HANDLER: 0
; COMPUTE_PGM_RSRC2:TGID_X_EN: 1
; COMPUTE_PGM_RSRC2:TGID_Y_EN: 0
; COMPUTE_PGM_RSRC2:TGID_Z_EN: 0
; COMPUTE_PGM_RSRC2:TIDIG_COMP_CNT: 0
	.section	.text._ZN7rocprim17ROCPRIM_400000_NS6detail17trampoline_kernelINS0_14default_configENS1_38merge_sort_block_merge_config_selectorIiNS0_10empty_typeEEEZZNS1_27merge_sort_block_merge_implIS3_N6thrust23THRUST_200600_302600_NS10device_ptrIiEEPS5_jNS1_19radix_merge_compareILb0ELb0EiNS0_19identity_decomposerEEEEE10hipError_tT0_T1_T2_jT3_P12ihipStream_tbPNSt15iterator_traitsISH_E10value_typeEPNSN_ISI_E10value_typeEPSJ_NS1_7vsmem_tEENKUlT_SH_SI_SJ_E_clIPiSB_SC_SC_EESG_SW_SH_SI_SJ_EUlSW_E_NS1_11comp_targetILNS1_3genE10ELNS1_11target_archE1201ELNS1_3gpuE5ELNS1_3repE0EEENS1_48merge_mergepath_partition_config_static_selectorELNS0_4arch9wavefront6targetE0EEEvSI_,"axG",@progbits,_ZN7rocprim17ROCPRIM_400000_NS6detail17trampoline_kernelINS0_14default_configENS1_38merge_sort_block_merge_config_selectorIiNS0_10empty_typeEEEZZNS1_27merge_sort_block_merge_implIS3_N6thrust23THRUST_200600_302600_NS10device_ptrIiEEPS5_jNS1_19radix_merge_compareILb0ELb0EiNS0_19identity_decomposerEEEEE10hipError_tT0_T1_T2_jT3_P12ihipStream_tbPNSt15iterator_traitsISH_E10value_typeEPNSN_ISI_E10value_typeEPSJ_NS1_7vsmem_tEENKUlT_SH_SI_SJ_E_clIPiSB_SC_SC_EESG_SW_SH_SI_SJ_EUlSW_E_NS1_11comp_targetILNS1_3genE10ELNS1_11target_archE1201ELNS1_3gpuE5ELNS1_3repE0EEENS1_48merge_mergepath_partition_config_static_selectorELNS0_4arch9wavefront6targetE0EEEvSI_,comdat
	.protected	_ZN7rocprim17ROCPRIM_400000_NS6detail17trampoline_kernelINS0_14default_configENS1_38merge_sort_block_merge_config_selectorIiNS0_10empty_typeEEEZZNS1_27merge_sort_block_merge_implIS3_N6thrust23THRUST_200600_302600_NS10device_ptrIiEEPS5_jNS1_19radix_merge_compareILb0ELb0EiNS0_19identity_decomposerEEEEE10hipError_tT0_T1_T2_jT3_P12ihipStream_tbPNSt15iterator_traitsISH_E10value_typeEPNSN_ISI_E10value_typeEPSJ_NS1_7vsmem_tEENKUlT_SH_SI_SJ_E_clIPiSB_SC_SC_EESG_SW_SH_SI_SJ_EUlSW_E_NS1_11comp_targetILNS1_3genE10ELNS1_11target_archE1201ELNS1_3gpuE5ELNS1_3repE0EEENS1_48merge_mergepath_partition_config_static_selectorELNS0_4arch9wavefront6targetE0EEEvSI_ ; -- Begin function _ZN7rocprim17ROCPRIM_400000_NS6detail17trampoline_kernelINS0_14default_configENS1_38merge_sort_block_merge_config_selectorIiNS0_10empty_typeEEEZZNS1_27merge_sort_block_merge_implIS3_N6thrust23THRUST_200600_302600_NS10device_ptrIiEEPS5_jNS1_19radix_merge_compareILb0ELb0EiNS0_19identity_decomposerEEEEE10hipError_tT0_T1_T2_jT3_P12ihipStream_tbPNSt15iterator_traitsISH_E10value_typeEPNSN_ISI_E10value_typeEPSJ_NS1_7vsmem_tEENKUlT_SH_SI_SJ_E_clIPiSB_SC_SC_EESG_SW_SH_SI_SJ_EUlSW_E_NS1_11comp_targetILNS1_3genE10ELNS1_11target_archE1201ELNS1_3gpuE5ELNS1_3repE0EEENS1_48merge_mergepath_partition_config_static_selectorELNS0_4arch9wavefront6targetE0EEEvSI_
	.globl	_ZN7rocprim17ROCPRIM_400000_NS6detail17trampoline_kernelINS0_14default_configENS1_38merge_sort_block_merge_config_selectorIiNS0_10empty_typeEEEZZNS1_27merge_sort_block_merge_implIS3_N6thrust23THRUST_200600_302600_NS10device_ptrIiEEPS5_jNS1_19radix_merge_compareILb0ELb0EiNS0_19identity_decomposerEEEEE10hipError_tT0_T1_T2_jT3_P12ihipStream_tbPNSt15iterator_traitsISH_E10value_typeEPNSN_ISI_E10value_typeEPSJ_NS1_7vsmem_tEENKUlT_SH_SI_SJ_E_clIPiSB_SC_SC_EESG_SW_SH_SI_SJ_EUlSW_E_NS1_11comp_targetILNS1_3genE10ELNS1_11target_archE1201ELNS1_3gpuE5ELNS1_3repE0EEENS1_48merge_mergepath_partition_config_static_selectorELNS0_4arch9wavefront6targetE0EEEvSI_
	.p2align	8
	.type	_ZN7rocprim17ROCPRIM_400000_NS6detail17trampoline_kernelINS0_14default_configENS1_38merge_sort_block_merge_config_selectorIiNS0_10empty_typeEEEZZNS1_27merge_sort_block_merge_implIS3_N6thrust23THRUST_200600_302600_NS10device_ptrIiEEPS5_jNS1_19radix_merge_compareILb0ELb0EiNS0_19identity_decomposerEEEEE10hipError_tT0_T1_T2_jT3_P12ihipStream_tbPNSt15iterator_traitsISH_E10value_typeEPNSN_ISI_E10value_typeEPSJ_NS1_7vsmem_tEENKUlT_SH_SI_SJ_E_clIPiSB_SC_SC_EESG_SW_SH_SI_SJ_EUlSW_E_NS1_11comp_targetILNS1_3genE10ELNS1_11target_archE1201ELNS1_3gpuE5ELNS1_3repE0EEENS1_48merge_mergepath_partition_config_static_selectorELNS0_4arch9wavefront6targetE0EEEvSI_,@function
_ZN7rocprim17ROCPRIM_400000_NS6detail17trampoline_kernelINS0_14default_configENS1_38merge_sort_block_merge_config_selectorIiNS0_10empty_typeEEEZZNS1_27merge_sort_block_merge_implIS3_N6thrust23THRUST_200600_302600_NS10device_ptrIiEEPS5_jNS1_19radix_merge_compareILb0ELb0EiNS0_19identity_decomposerEEEEE10hipError_tT0_T1_T2_jT3_P12ihipStream_tbPNSt15iterator_traitsISH_E10value_typeEPNSN_ISI_E10value_typeEPSJ_NS1_7vsmem_tEENKUlT_SH_SI_SJ_E_clIPiSB_SC_SC_EESG_SW_SH_SI_SJ_EUlSW_E_NS1_11comp_targetILNS1_3genE10ELNS1_11target_archE1201ELNS1_3gpuE5ELNS1_3repE0EEENS1_48merge_mergepath_partition_config_static_selectorELNS0_4arch9wavefront6targetE0EEEvSI_: ; @_ZN7rocprim17ROCPRIM_400000_NS6detail17trampoline_kernelINS0_14default_configENS1_38merge_sort_block_merge_config_selectorIiNS0_10empty_typeEEEZZNS1_27merge_sort_block_merge_implIS3_N6thrust23THRUST_200600_302600_NS10device_ptrIiEEPS5_jNS1_19radix_merge_compareILb0ELb0EiNS0_19identity_decomposerEEEEE10hipError_tT0_T1_T2_jT3_P12ihipStream_tbPNSt15iterator_traitsISH_E10value_typeEPNSN_ISI_E10value_typeEPSJ_NS1_7vsmem_tEENKUlT_SH_SI_SJ_E_clIPiSB_SC_SC_EESG_SW_SH_SI_SJ_EUlSW_E_NS1_11comp_targetILNS1_3genE10ELNS1_11target_archE1201ELNS1_3gpuE5ELNS1_3repE0EEENS1_48merge_mergepath_partition_config_static_selectorELNS0_4arch9wavefront6targetE0EEEvSI_
; %bb.0:
	.section	.rodata,"a",@progbits
	.p2align	6, 0x0
	.amdhsa_kernel _ZN7rocprim17ROCPRIM_400000_NS6detail17trampoline_kernelINS0_14default_configENS1_38merge_sort_block_merge_config_selectorIiNS0_10empty_typeEEEZZNS1_27merge_sort_block_merge_implIS3_N6thrust23THRUST_200600_302600_NS10device_ptrIiEEPS5_jNS1_19radix_merge_compareILb0ELb0EiNS0_19identity_decomposerEEEEE10hipError_tT0_T1_T2_jT3_P12ihipStream_tbPNSt15iterator_traitsISH_E10value_typeEPNSN_ISI_E10value_typeEPSJ_NS1_7vsmem_tEENKUlT_SH_SI_SJ_E_clIPiSB_SC_SC_EESG_SW_SH_SI_SJ_EUlSW_E_NS1_11comp_targetILNS1_3genE10ELNS1_11target_archE1201ELNS1_3gpuE5ELNS1_3repE0EEENS1_48merge_mergepath_partition_config_static_selectorELNS0_4arch9wavefront6targetE0EEEvSI_
		.amdhsa_group_segment_fixed_size 0
		.amdhsa_private_segment_fixed_size 0
		.amdhsa_kernarg_size 40
		.amdhsa_user_sgpr_count 6
		.amdhsa_user_sgpr_private_segment_buffer 1
		.amdhsa_user_sgpr_dispatch_ptr 0
		.amdhsa_user_sgpr_queue_ptr 0
		.amdhsa_user_sgpr_kernarg_segment_ptr 1
		.amdhsa_user_sgpr_dispatch_id 0
		.amdhsa_user_sgpr_flat_scratch_init 0
		.amdhsa_user_sgpr_private_segment_size 0
		.amdhsa_wavefront_size32 1
		.amdhsa_uses_dynamic_stack 0
		.amdhsa_system_sgpr_private_segment_wavefront_offset 0
		.amdhsa_system_sgpr_workgroup_id_x 1
		.amdhsa_system_sgpr_workgroup_id_y 0
		.amdhsa_system_sgpr_workgroup_id_z 0
		.amdhsa_system_sgpr_workgroup_info 0
		.amdhsa_system_vgpr_workitem_id 0
		.amdhsa_next_free_vgpr 1
		.amdhsa_next_free_sgpr 1
		.amdhsa_reserve_vcc 0
		.amdhsa_reserve_flat_scratch 0
		.amdhsa_float_round_mode_32 0
		.amdhsa_float_round_mode_16_64 0
		.amdhsa_float_denorm_mode_32 3
		.amdhsa_float_denorm_mode_16_64 3
		.amdhsa_dx10_clamp 1
		.amdhsa_ieee_mode 1
		.amdhsa_fp16_overflow 0
		.amdhsa_workgroup_processor_mode 1
		.amdhsa_memory_ordered 1
		.amdhsa_forward_progress 1
		.amdhsa_shared_vgpr_count 0
		.amdhsa_exception_fp_ieee_invalid_op 0
		.amdhsa_exception_fp_denorm_src 0
		.amdhsa_exception_fp_ieee_div_zero 0
		.amdhsa_exception_fp_ieee_overflow 0
		.amdhsa_exception_fp_ieee_underflow 0
		.amdhsa_exception_fp_ieee_inexact 0
		.amdhsa_exception_int_div_zero 0
	.end_amdhsa_kernel
	.section	.text._ZN7rocprim17ROCPRIM_400000_NS6detail17trampoline_kernelINS0_14default_configENS1_38merge_sort_block_merge_config_selectorIiNS0_10empty_typeEEEZZNS1_27merge_sort_block_merge_implIS3_N6thrust23THRUST_200600_302600_NS10device_ptrIiEEPS5_jNS1_19radix_merge_compareILb0ELb0EiNS0_19identity_decomposerEEEEE10hipError_tT0_T1_T2_jT3_P12ihipStream_tbPNSt15iterator_traitsISH_E10value_typeEPNSN_ISI_E10value_typeEPSJ_NS1_7vsmem_tEENKUlT_SH_SI_SJ_E_clIPiSB_SC_SC_EESG_SW_SH_SI_SJ_EUlSW_E_NS1_11comp_targetILNS1_3genE10ELNS1_11target_archE1201ELNS1_3gpuE5ELNS1_3repE0EEENS1_48merge_mergepath_partition_config_static_selectorELNS0_4arch9wavefront6targetE0EEEvSI_,"axG",@progbits,_ZN7rocprim17ROCPRIM_400000_NS6detail17trampoline_kernelINS0_14default_configENS1_38merge_sort_block_merge_config_selectorIiNS0_10empty_typeEEEZZNS1_27merge_sort_block_merge_implIS3_N6thrust23THRUST_200600_302600_NS10device_ptrIiEEPS5_jNS1_19radix_merge_compareILb0ELb0EiNS0_19identity_decomposerEEEEE10hipError_tT0_T1_T2_jT3_P12ihipStream_tbPNSt15iterator_traitsISH_E10value_typeEPNSN_ISI_E10value_typeEPSJ_NS1_7vsmem_tEENKUlT_SH_SI_SJ_E_clIPiSB_SC_SC_EESG_SW_SH_SI_SJ_EUlSW_E_NS1_11comp_targetILNS1_3genE10ELNS1_11target_archE1201ELNS1_3gpuE5ELNS1_3repE0EEENS1_48merge_mergepath_partition_config_static_selectorELNS0_4arch9wavefront6targetE0EEEvSI_,comdat
.Lfunc_end1113:
	.size	_ZN7rocprim17ROCPRIM_400000_NS6detail17trampoline_kernelINS0_14default_configENS1_38merge_sort_block_merge_config_selectorIiNS0_10empty_typeEEEZZNS1_27merge_sort_block_merge_implIS3_N6thrust23THRUST_200600_302600_NS10device_ptrIiEEPS5_jNS1_19radix_merge_compareILb0ELb0EiNS0_19identity_decomposerEEEEE10hipError_tT0_T1_T2_jT3_P12ihipStream_tbPNSt15iterator_traitsISH_E10value_typeEPNSN_ISI_E10value_typeEPSJ_NS1_7vsmem_tEENKUlT_SH_SI_SJ_E_clIPiSB_SC_SC_EESG_SW_SH_SI_SJ_EUlSW_E_NS1_11comp_targetILNS1_3genE10ELNS1_11target_archE1201ELNS1_3gpuE5ELNS1_3repE0EEENS1_48merge_mergepath_partition_config_static_selectorELNS0_4arch9wavefront6targetE0EEEvSI_, .Lfunc_end1113-_ZN7rocprim17ROCPRIM_400000_NS6detail17trampoline_kernelINS0_14default_configENS1_38merge_sort_block_merge_config_selectorIiNS0_10empty_typeEEEZZNS1_27merge_sort_block_merge_implIS3_N6thrust23THRUST_200600_302600_NS10device_ptrIiEEPS5_jNS1_19radix_merge_compareILb0ELb0EiNS0_19identity_decomposerEEEEE10hipError_tT0_T1_T2_jT3_P12ihipStream_tbPNSt15iterator_traitsISH_E10value_typeEPNSN_ISI_E10value_typeEPSJ_NS1_7vsmem_tEENKUlT_SH_SI_SJ_E_clIPiSB_SC_SC_EESG_SW_SH_SI_SJ_EUlSW_E_NS1_11comp_targetILNS1_3genE10ELNS1_11target_archE1201ELNS1_3gpuE5ELNS1_3repE0EEENS1_48merge_mergepath_partition_config_static_selectorELNS0_4arch9wavefront6targetE0EEEvSI_
                                        ; -- End function
	.set _ZN7rocprim17ROCPRIM_400000_NS6detail17trampoline_kernelINS0_14default_configENS1_38merge_sort_block_merge_config_selectorIiNS0_10empty_typeEEEZZNS1_27merge_sort_block_merge_implIS3_N6thrust23THRUST_200600_302600_NS10device_ptrIiEEPS5_jNS1_19radix_merge_compareILb0ELb0EiNS0_19identity_decomposerEEEEE10hipError_tT0_T1_T2_jT3_P12ihipStream_tbPNSt15iterator_traitsISH_E10value_typeEPNSN_ISI_E10value_typeEPSJ_NS1_7vsmem_tEENKUlT_SH_SI_SJ_E_clIPiSB_SC_SC_EESG_SW_SH_SI_SJ_EUlSW_E_NS1_11comp_targetILNS1_3genE10ELNS1_11target_archE1201ELNS1_3gpuE5ELNS1_3repE0EEENS1_48merge_mergepath_partition_config_static_selectorELNS0_4arch9wavefront6targetE0EEEvSI_.num_vgpr, 0
	.set _ZN7rocprim17ROCPRIM_400000_NS6detail17trampoline_kernelINS0_14default_configENS1_38merge_sort_block_merge_config_selectorIiNS0_10empty_typeEEEZZNS1_27merge_sort_block_merge_implIS3_N6thrust23THRUST_200600_302600_NS10device_ptrIiEEPS5_jNS1_19radix_merge_compareILb0ELb0EiNS0_19identity_decomposerEEEEE10hipError_tT0_T1_T2_jT3_P12ihipStream_tbPNSt15iterator_traitsISH_E10value_typeEPNSN_ISI_E10value_typeEPSJ_NS1_7vsmem_tEENKUlT_SH_SI_SJ_E_clIPiSB_SC_SC_EESG_SW_SH_SI_SJ_EUlSW_E_NS1_11comp_targetILNS1_3genE10ELNS1_11target_archE1201ELNS1_3gpuE5ELNS1_3repE0EEENS1_48merge_mergepath_partition_config_static_selectorELNS0_4arch9wavefront6targetE0EEEvSI_.num_agpr, 0
	.set _ZN7rocprim17ROCPRIM_400000_NS6detail17trampoline_kernelINS0_14default_configENS1_38merge_sort_block_merge_config_selectorIiNS0_10empty_typeEEEZZNS1_27merge_sort_block_merge_implIS3_N6thrust23THRUST_200600_302600_NS10device_ptrIiEEPS5_jNS1_19radix_merge_compareILb0ELb0EiNS0_19identity_decomposerEEEEE10hipError_tT0_T1_T2_jT3_P12ihipStream_tbPNSt15iterator_traitsISH_E10value_typeEPNSN_ISI_E10value_typeEPSJ_NS1_7vsmem_tEENKUlT_SH_SI_SJ_E_clIPiSB_SC_SC_EESG_SW_SH_SI_SJ_EUlSW_E_NS1_11comp_targetILNS1_3genE10ELNS1_11target_archE1201ELNS1_3gpuE5ELNS1_3repE0EEENS1_48merge_mergepath_partition_config_static_selectorELNS0_4arch9wavefront6targetE0EEEvSI_.numbered_sgpr, 0
	.set _ZN7rocprim17ROCPRIM_400000_NS6detail17trampoline_kernelINS0_14default_configENS1_38merge_sort_block_merge_config_selectorIiNS0_10empty_typeEEEZZNS1_27merge_sort_block_merge_implIS3_N6thrust23THRUST_200600_302600_NS10device_ptrIiEEPS5_jNS1_19radix_merge_compareILb0ELb0EiNS0_19identity_decomposerEEEEE10hipError_tT0_T1_T2_jT3_P12ihipStream_tbPNSt15iterator_traitsISH_E10value_typeEPNSN_ISI_E10value_typeEPSJ_NS1_7vsmem_tEENKUlT_SH_SI_SJ_E_clIPiSB_SC_SC_EESG_SW_SH_SI_SJ_EUlSW_E_NS1_11comp_targetILNS1_3genE10ELNS1_11target_archE1201ELNS1_3gpuE5ELNS1_3repE0EEENS1_48merge_mergepath_partition_config_static_selectorELNS0_4arch9wavefront6targetE0EEEvSI_.num_named_barrier, 0
	.set _ZN7rocprim17ROCPRIM_400000_NS6detail17trampoline_kernelINS0_14default_configENS1_38merge_sort_block_merge_config_selectorIiNS0_10empty_typeEEEZZNS1_27merge_sort_block_merge_implIS3_N6thrust23THRUST_200600_302600_NS10device_ptrIiEEPS5_jNS1_19radix_merge_compareILb0ELb0EiNS0_19identity_decomposerEEEEE10hipError_tT0_T1_T2_jT3_P12ihipStream_tbPNSt15iterator_traitsISH_E10value_typeEPNSN_ISI_E10value_typeEPSJ_NS1_7vsmem_tEENKUlT_SH_SI_SJ_E_clIPiSB_SC_SC_EESG_SW_SH_SI_SJ_EUlSW_E_NS1_11comp_targetILNS1_3genE10ELNS1_11target_archE1201ELNS1_3gpuE5ELNS1_3repE0EEENS1_48merge_mergepath_partition_config_static_selectorELNS0_4arch9wavefront6targetE0EEEvSI_.private_seg_size, 0
	.set _ZN7rocprim17ROCPRIM_400000_NS6detail17trampoline_kernelINS0_14default_configENS1_38merge_sort_block_merge_config_selectorIiNS0_10empty_typeEEEZZNS1_27merge_sort_block_merge_implIS3_N6thrust23THRUST_200600_302600_NS10device_ptrIiEEPS5_jNS1_19radix_merge_compareILb0ELb0EiNS0_19identity_decomposerEEEEE10hipError_tT0_T1_T2_jT3_P12ihipStream_tbPNSt15iterator_traitsISH_E10value_typeEPNSN_ISI_E10value_typeEPSJ_NS1_7vsmem_tEENKUlT_SH_SI_SJ_E_clIPiSB_SC_SC_EESG_SW_SH_SI_SJ_EUlSW_E_NS1_11comp_targetILNS1_3genE10ELNS1_11target_archE1201ELNS1_3gpuE5ELNS1_3repE0EEENS1_48merge_mergepath_partition_config_static_selectorELNS0_4arch9wavefront6targetE0EEEvSI_.uses_vcc, 0
	.set _ZN7rocprim17ROCPRIM_400000_NS6detail17trampoline_kernelINS0_14default_configENS1_38merge_sort_block_merge_config_selectorIiNS0_10empty_typeEEEZZNS1_27merge_sort_block_merge_implIS3_N6thrust23THRUST_200600_302600_NS10device_ptrIiEEPS5_jNS1_19radix_merge_compareILb0ELb0EiNS0_19identity_decomposerEEEEE10hipError_tT0_T1_T2_jT3_P12ihipStream_tbPNSt15iterator_traitsISH_E10value_typeEPNSN_ISI_E10value_typeEPSJ_NS1_7vsmem_tEENKUlT_SH_SI_SJ_E_clIPiSB_SC_SC_EESG_SW_SH_SI_SJ_EUlSW_E_NS1_11comp_targetILNS1_3genE10ELNS1_11target_archE1201ELNS1_3gpuE5ELNS1_3repE0EEENS1_48merge_mergepath_partition_config_static_selectorELNS0_4arch9wavefront6targetE0EEEvSI_.uses_flat_scratch, 0
	.set _ZN7rocprim17ROCPRIM_400000_NS6detail17trampoline_kernelINS0_14default_configENS1_38merge_sort_block_merge_config_selectorIiNS0_10empty_typeEEEZZNS1_27merge_sort_block_merge_implIS3_N6thrust23THRUST_200600_302600_NS10device_ptrIiEEPS5_jNS1_19radix_merge_compareILb0ELb0EiNS0_19identity_decomposerEEEEE10hipError_tT0_T1_T2_jT3_P12ihipStream_tbPNSt15iterator_traitsISH_E10value_typeEPNSN_ISI_E10value_typeEPSJ_NS1_7vsmem_tEENKUlT_SH_SI_SJ_E_clIPiSB_SC_SC_EESG_SW_SH_SI_SJ_EUlSW_E_NS1_11comp_targetILNS1_3genE10ELNS1_11target_archE1201ELNS1_3gpuE5ELNS1_3repE0EEENS1_48merge_mergepath_partition_config_static_selectorELNS0_4arch9wavefront6targetE0EEEvSI_.has_dyn_sized_stack, 0
	.set _ZN7rocprim17ROCPRIM_400000_NS6detail17trampoline_kernelINS0_14default_configENS1_38merge_sort_block_merge_config_selectorIiNS0_10empty_typeEEEZZNS1_27merge_sort_block_merge_implIS3_N6thrust23THRUST_200600_302600_NS10device_ptrIiEEPS5_jNS1_19radix_merge_compareILb0ELb0EiNS0_19identity_decomposerEEEEE10hipError_tT0_T1_T2_jT3_P12ihipStream_tbPNSt15iterator_traitsISH_E10value_typeEPNSN_ISI_E10value_typeEPSJ_NS1_7vsmem_tEENKUlT_SH_SI_SJ_E_clIPiSB_SC_SC_EESG_SW_SH_SI_SJ_EUlSW_E_NS1_11comp_targetILNS1_3genE10ELNS1_11target_archE1201ELNS1_3gpuE5ELNS1_3repE0EEENS1_48merge_mergepath_partition_config_static_selectorELNS0_4arch9wavefront6targetE0EEEvSI_.has_recursion, 0
	.set _ZN7rocprim17ROCPRIM_400000_NS6detail17trampoline_kernelINS0_14default_configENS1_38merge_sort_block_merge_config_selectorIiNS0_10empty_typeEEEZZNS1_27merge_sort_block_merge_implIS3_N6thrust23THRUST_200600_302600_NS10device_ptrIiEEPS5_jNS1_19radix_merge_compareILb0ELb0EiNS0_19identity_decomposerEEEEE10hipError_tT0_T1_T2_jT3_P12ihipStream_tbPNSt15iterator_traitsISH_E10value_typeEPNSN_ISI_E10value_typeEPSJ_NS1_7vsmem_tEENKUlT_SH_SI_SJ_E_clIPiSB_SC_SC_EESG_SW_SH_SI_SJ_EUlSW_E_NS1_11comp_targetILNS1_3genE10ELNS1_11target_archE1201ELNS1_3gpuE5ELNS1_3repE0EEENS1_48merge_mergepath_partition_config_static_selectorELNS0_4arch9wavefront6targetE0EEEvSI_.has_indirect_call, 0
	.section	.AMDGPU.csdata,"",@progbits
; Kernel info:
; codeLenInByte = 0
; TotalNumSgprs: 0
; NumVgprs: 0
; ScratchSize: 0
; MemoryBound: 0
; FloatMode: 240
; IeeeMode: 1
; LDSByteSize: 0 bytes/workgroup (compile time only)
; SGPRBlocks: 0
; VGPRBlocks: 0
; NumSGPRsForWavesPerEU: 1
; NumVGPRsForWavesPerEU: 1
; Occupancy: 16
; WaveLimiterHint : 0
; COMPUTE_PGM_RSRC2:SCRATCH_EN: 0
; COMPUTE_PGM_RSRC2:USER_SGPR: 6
; COMPUTE_PGM_RSRC2:TRAP_HANDLER: 0
; COMPUTE_PGM_RSRC2:TGID_X_EN: 1
; COMPUTE_PGM_RSRC2:TGID_Y_EN: 0
; COMPUTE_PGM_RSRC2:TGID_Z_EN: 0
; COMPUTE_PGM_RSRC2:TIDIG_COMP_CNT: 0
	.section	.text._ZN7rocprim17ROCPRIM_400000_NS6detail17trampoline_kernelINS0_14default_configENS1_38merge_sort_block_merge_config_selectorIiNS0_10empty_typeEEEZZNS1_27merge_sort_block_merge_implIS3_N6thrust23THRUST_200600_302600_NS10device_ptrIiEEPS5_jNS1_19radix_merge_compareILb0ELb0EiNS0_19identity_decomposerEEEEE10hipError_tT0_T1_T2_jT3_P12ihipStream_tbPNSt15iterator_traitsISH_E10value_typeEPNSN_ISI_E10value_typeEPSJ_NS1_7vsmem_tEENKUlT_SH_SI_SJ_E_clIPiSB_SC_SC_EESG_SW_SH_SI_SJ_EUlSW_E_NS1_11comp_targetILNS1_3genE5ELNS1_11target_archE942ELNS1_3gpuE9ELNS1_3repE0EEENS1_48merge_mergepath_partition_config_static_selectorELNS0_4arch9wavefront6targetE0EEEvSI_,"axG",@progbits,_ZN7rocprim17ROCPRIM_400000_NS6detail17trampoline_kernelINS0_14default_configENS1_38merge_sort_block_merge_config_selectorIiNS0_10empty_typeEEEZZNS1_27merge_sort_block_merge_implIS3_N6thrust23THRUST_200600_302600_NS10device_ptrIiEEPS5_jNS1_19radix_merge_compareILb0ELb0EiNS0_19identity_decomposerEEEEE10hipError_tT0_T1_T2_jT3_P12ihipStream_tbPNSt15iterator_traitsISH_E10value_typeEPNSN_ISI_E10value_typeEPSJ_NS1_7vsmem_tEENKUlT_SH_SI_SJ_E_clIPiSB_SC_SC_EESG_SW_SH_SI_SJ_EUlSW_E_NS1_11comp_targetILNS1_3genE5ELNS1_11target_archE942ELNS1_3gpuE9ELNS1_3repE0EEENS1_48merge_mergepath_partition_config_static_selectorELNS0_4arch9wavefront6targetE0EEEvSI_,comdat
	.protected	_ZN7rocprim17ROCPRIM_400000_NS6detail17trampoline_kernelINS0_14default_configENS1_38merge_sort_block_merge_config_selectorIiNS0_10empty_typeEEEZZNS1_27merge_sort_block_merge_implIS3_N6thrust23THRUST_200600_302600_NS10device_ptrIiEEPS5_jNS1_19radix_merge_compareILb0ELb0EiNS0_19identity_decomposerEEEEE10hipError_tT0_T1_T2_jT3_P12ihipStream_tbPNSt15iterator_traitsISH_E10value_typeEPNSN_ISI_E10value_typeEPSJ_NS1_7vsmem_tEENKUlT_SH_SI_SJ_E_clIPiSB_SC_SC_EESG_SW_SH_SI_SJ_EUlSW_E_NS1_11comp_targetILNS1_3genE5ELNS1_11target_archE942ELNS1_3gpuE9ELNS1_3repE0EEENS1_48merge_mergepath_partition_config_static_selectorELNS0_4arch9wavefront6targetE0EEEvSI_ ; -- Begin function _ZN7rocprim17ROCPRIM_400000_NS6detail17trampoline_kernelINS0_14default_configENS1_38merge_sort_block_merge_config_selectorIiNS0_10empty_typeEEEZZNS1_27merge_sort_block_merge_implIS3_N6thrust23THRUST_200600_302600_NS10device_ptrIiEEPS5_jNS1_19radix_merge_compareILb0ELb0EiNS0_19identity_decomposerEEEEE10hipError_tT0_T1_T2_jT3_P12ihipStream_tbPNSt15iterator_traitsISH_E10value_typeEPNSN_ISI_E10value_typeEPSJ_NS1_7vsmem_tEENKUlT_SH_SI_SJ_E_clIPiSB_SC_SC_EESG_SW_SH_SI_SJ_EUlSW_E_NS1_11comp_targetILNS1_3genE5ELNS1_11target_archE942ELNS1_3gpuE9ELNS1_3repE0EEENS1_48merge_mergepath_partition_config_static_selectorELNS0_4arch9wavefront6targetE0EEEvSI_
	.globl	_ZN7rocprim17ROCPRIM_400000_NS6detail17trampoline_kernelINS0_14default_configENS1_38merge_sort_block_merge_config_selectorIiNS0_10empty_typeEEEZZNS1_27merge_sort_block_merge_implIS3_N6thrust23THRUST_200600_302600_NS10device_ptrIiEEPS5_jNS1_19radix_merge_compareILb0ELb0EiNS0_19identity_decomposerEEEEE10hipError_tT0_T1_T2_jT3_P12ihipStream_tbPNSt15iterator_traitsISH_E10value_typeEPNSN_ISI_E10value_typeEPSJ_NS1_7vsmem_tEENKUlT_SH_SI_SJ_E_clIPiSB_SC_SC_EESG_SW_SH_SI_SJ_EUlSW_E_NS1_11comp_targetILNS1_3genE5ELNS1_11target_archE942ELNS1_3gpuE9ELNS1_3repE0EEENS1_48merge_mergepath_partition_config_static_selectorELNS0_4arch9wavefront6targetE0EEEvSI_
	.p2align	8
	.type	_ZN7rocprim17ROCPRIM_400000_NS6detail17trampoline_kernelINS0_14default_configENS1_38merge_sort_block_merge_config_selectorIiNS0_10empty_typeEEEZZNS1_27merge_sort_block_merge_implIS3_N6thrust23THRUST_200600_302600_NS10device_ptrIiEEPS5_jNS1_19radix_merge_compareILb0ELb0EiNS0_19identity_decomposerEEEEE10hipError_tT0_T1_T2_jT3_P12ihipStream_tbPNSt15iterator_traitsISH_E10value_typeEPNSN_ISI_E10value_typeEPSJ_NS1_7vsmem_tEENKUlT_SH_SI_SJ_E_clIPiSB_SC_SC_EESG_SW_SH_SI_SJ_EUlSW_E_NS1_11comp_targetILNS1_3genE5ELNS1_11target_archE942ELNS1_3gpuE9ELNS1_3repE0EEENS1_48merge_mergepath_partition_config_static_selectorELNS0_4arch9wavefront6targetE0EEEvSI_,@function
_ZN7rocprim17ROCPRIM_400000_NS6detail17trampoline_kernelINS0_14default_configENS1_38merge_sort_block_merge_config_selectorIiNS0_10empty_typeEEEZZNS1_27merge_sort_block_merge_implIS3_N6thrust23THRUST_200600_302600_NS10device_ptrIiEEPS5_jNS1_19radix_merge_compareILb0ELb0EiNS0_19identity_decomposerEEEEE10hipError_tT0_T1_T2_jT3_P12ihipStream_tbPNSt15iterator_traitsISH_E10value_typeEPNSN_ISI_E10value_typeEPSJ_NS1_7vsmem_tEENKUlT_SH_SI_SJ_E_clIPiSB_SC_SC_EESG_SW_SH_SI_SJ_EUlSW_E_NS1_11comp_targetILNS1_3genE5ELNS1_11target_archE942ELNS1_3gpuE9ELNS1_3repE0EEENS1_48merge_mergepath_partition_config_static_selectorELNS0_4arch9wavefront6targetE0EEEvSI_: ; @_ZN7rocprim17ROCPRIM_400000_NS6detail17trampoline_kernelINS0_14default_configENS1_38merge_sort_block_merge_config_selectorIiNS0_10empty_typeEEEZZNS1_27merge_sort_block_merge_implIS3_N6thrust23THRUST_200600_302600_NS10device_ptrIiEEPS5_jNS1_19radix_merge_compareILb0ELb0EiNS0_19identity_decomposerEEEEE10hipError_tT0_T1_T2_jT3_P12ihipStream_tbPNSt15iterator_traitsISH_E10value_typeEPNSN_ISI_E10value_typeEPSJ_NS1_7vsmem_tEENKUlT_SH_SI_SJ_E_clIPiSB_SC_SC_EESG_SW_SH_SI_SJ_EUlSW_E_NS1_11comp_targetILNS1_3genE5ELNS1_11target_archE942ELNS1_3gpuE9ELNS1_3repE0EEENS1_48merge_mergepath_partition_config_static_selectorELNS0_4arch9wavefront6targetE0EEEvSI_
; %bb.0:
	.section	.rodata,"a",@progbits
	.p2align	6, 0x0
	.amdhsa_kernel _ZN7rocprim17ROCPRIM_400000_NS6detail17trampoline_kernelINS0_14default_configENS1_38merge_sort_block_merge_config_selectorIiNS0_10empty_typeEEEZZNS1_27merge_sort_block_merge_implIS3_N6thrust23THRUST_200600_302600_NS10device_ptrIiEEPS5_jNS1_19radix_merge_compareILb0ELb0EiNS0_19identity_decomposerEEEEE10hipError_tT0_T1_T2_jT3_P12ihipStream_tbPNSt15iterator_traitsISH_E10value_typeEPNSN_ISI_E10value_typeEPSJ_NS1_7vsmem_tEENKUlT_SH_SI_SJ_E_clIPiSB_SC_SC_EESG_SW_SH_SI_SJ_EUlSW_E_NS1_11comp_targetILNS1_3genE5ELNS1_11target_archE942ELNS1_3gpuE9ELNS1_3repE0EEENS1_48merge_mergepath_partition_config_static_selectorELNS0_4arch9wavefront6targetE0EEEvSI_
		.amdhsa_group_segment_fixed_size 0
		.amdhsa_private_segment_fixed_size 0
		.amdhsa_kernarg_size 40
		.amdhsa_user_sgpr_count 6
		.amdhsa_user_sgpr_private_segment_buffer 1
		.amdhsa_user_sgpr_dispatch_ptr 0
		.amdhsa_user_sgpr_queue_ptr 0
		.amdhsa_user_sgpr_kernarg_segment_ptr 1
		.amdhsa_user_sgpr_dispatch_id 0
		.amdhsa_user_sgpr_flat_scratch_init 0
		.amdhsa_user_sgpr_private_segment_size 0
		.amdhsa_wavefront_size32 1
		.amdhsa_uses_dynamic_stack 0
		.amdhsa_system_sgpr_private_segment_wavefront_offset 0
		.amdhsa_system_sgpr_workgroup_id_x 1
		.amdhsa_system_sgpr_workgroup_id_y 0
		.amdhsa_system_sgpr_workgroup_id_z 0
		.amdhsa_system_sgpr_workgroup_info 0
		.amdhsa_system_vgpr_workitem_id 0
		.amdhsa_next_free_vgpr 1
		.amdhsa_next_free_sgpr 1
		.amdhsa_reserve_vcc 0
		.amdhsa_reserve_flat_scratch 0
		.amdhsa_float_round_mode_32 0
		.amdhsa_float_round_mode_16_64 0
		.amdhsa_float_denorm_mode_32 3
		.amdhsa_float_denorm_mode_16_64 3
		.amdhsa_dx10_clamp 1
		.amdhsa_ieee_mode 1
		.amdhsa_fp16_overflow 0
		.amdhsa_workgroup_processor_mode 1
		.amdhsa_memory_ordered 1
		.amdhsa_forward_progress 1
		.amdhsa_shared_vgpr_count 0
		.amdhsa_exception_fp_ieee_invalid_op 0
		.amdhsa_exception_fp_denorm_src 0
		.amdhsa_exception_fp_ieee_div_zero 0
		.amdhsa_exception_fp_ieee_overflow 0
		.amdhsa_exception_fp_ieee_underflow 0
		.amdhsa_exception_fp_ieee_inexact 0
		.amdhsa_exception_int_div_zero 0
	.end_amdhsa_kernel
	.section	.text._ZN7rocprim17ROCPRIM_400000_NS6detail17trampoline_kernelINS0_14default_configENS1_38merge_sort_block_merge_config_selectorIiNS0_10empty_typeEEEZZNS1_27merge_sort_block_merge_implIS3_N6thrust23THRUST_200600_302600_NS10device_ptrIiEEPS5_jNS1_19radix_merge_compareILb0ELb0EiNS0_19identity_decomposerEEEEE10hipError_tT0_T1_T2_jT3_P12ihipStream_tbPNSt15iterator_traitsISH_E10value_typeEPNSN_ISI_E10value_typeEPSJ_NS1_7vsmem_tEENKUlT_SH_SI_SJ_E_clIPiSB_SC_SC_EESG_SW_SH_SI_SJ_EUlSW_E_NS1_11comp_targetILNS1_3genE5ELNS1_11target_archE942ELNS1_3gpuE9ELNS1_3repE0EEENS1_48merge_mergepath_partition_config_static_selectorELNS0_4arch9wavefront6targetE0EEEvSI_,"axG",@progbits,_ZN7rocprim17ROCPRIM_400000_NS6detail17trampoline_kernelINS0_14default_configENS1_38merge_sort_block_merge_config_selectorIiNS0_10empty_typeEEEZZNS1_27merge_sort_block_merge_implIS3_N6thrust23THRUST_200600_302600_NS10device_ptrIiEEPS5_jNS1_19radix_merge_compareILb0ELb0EiNS0_19identity_decomposerEEEEE10hipError_tT0_T1_T2_jT3_P12ihipStream_tbPNSt15iterator_traitsISH_E10value_typeEPNSN_ISI_E10value_typeEPSJ_NS1_7vsmem_tEENKUlT_SH_SI_SJ_E_clIPiSB_SC_SC_EESG_SW_SH_SI_SJ_EUlSW_E_NS1_11comp_targetILNS1_3genE5ELNS1_11target_archE942ELNS1_3gpuE9ELNS1_3repE0EEENS1_48merge_mergepath_partition_config_static_selectorELNS0_4arch9wavefront6targetE0EEEvSI_,comdat
.Lfunc_end1114:
	.size	_ZN7rocprim17ROCPRIM_400000_NS6detail17trampoline_kernelINS0_14default_configENS1_38merge_sort_block_merge_config_selectorIiNS0_10empty_typeEEEZZNS1_27merge_sort_block_merge_implIS3_N6thrust23THRUST_200600_302600_NS10device_ptrIiEEPS5_jNS1_19radix_merge_compareILb0ELb0EiNS0_19identity_decomposerEEEEE10hipError_tT0_T1_T2_jT3_P12ihipStream_tbPNSt15iterator_traitsISH_E10value_typeEPNSN_ISI_E10value_typeEPSJ_NS1_7vsmem_tEENKUlT_SH_SI_SJ_E_clIPiSB_SC_SC_EESG_SW_SH_SI_SJ_EUlSW_E_NS1_11comp_targetILNS1_3genE5ELNS1_11target_archE942ELNS1_3gpuE9ELNS1_3repE0EEENS1_48merge_mergepath_partition_config_static_selectorELNS0_4arch9wavefront6targetE0EEEvSI_, .Lfunc_end1114-_ZN7rocprim17ROCPRIM_400000_NS6detail17trampoline_kernelINS0_14default_configENS1_38merge_sort_block_merge_config_selectorIiNS0_10empty_typeEEEZZNS1_27merge_sort_block_merge_implIS3_N6thrust23THRUST_200600_302600_NS10device_ptrIiEEPS5_jNS1_19radix_merge_compareILb0ELb0EiNS0_19identity_decomposerEEEEE10hipError_tT0_T1_T2_jT3_P12ihipStream_tbPNSt15iterator_traitsISH_E10value_typeEPNSN_ISI_E10value_typeEPSJ_NS1_7vsmem_tEENKUlT_SH_SI_SJ_E_clIPiSB_SC_SC_EESG_SW_SH_SI_SJ_EUlSW_E_NS1_11comp_targetILNS1_3genE5ELNS1_11target_archE942ELNS1_3gpuE9ELNS1_3repE0EEENS1_48merge_mergepath_partition_config_static_selectorELNS0_4arch9wavefront6targetE0EEEvSI_
                                        ; -- End function
	.set _ZN7rocprim17ROCPRIM_400000_NS6detail17trampoline_kernelINS0_14default_configENS1_38merge_sort_block_merge_config_selectorIiNS0_10empty_typeEEEZZNS1_27merge_sort_block_merge_implIS3_N6thrust23THRUST_200600_302600_NS10device_ptrIiEEPS5_jNS1_19radix_merge_compareILb0ELb0EiNS0_19identity_decomposerEEEEE10hipError_tT0_T1_T2_jT3_P12ihipStream_tbPNSt15iterator_traitsISH_E10value_typeEPNSN_ISI_E10value_typeEPSJ_NS1_7vsmem_tEENKUlT_SH_SI_SJ_E_clIPiSB_SC_SC_EESG_SW_SH_SI_SJ_EUlSW_E_NS1_11comp_targetILNS1_3genE5ELNS1_11target_archE942ELNS1_3gpuE9ELNS1_3repE0EEENS1_48merge_mergepath_partition_config_static_selectorELNS0_4arch9wavefront6targetE0EEEvSI_.num_vgpr, 0
	.set _ZN7rocprim17ROCPRIM_400000_NS6detail17trampoline_kernelINS0_14default_configENS1_38merge_sort_block_merge_config_selectorIiNS0_10empty_typeEEEZZNS1_27merge_sort_block_merge_implIS3_N6thrust23THRUST_200600_302600_NS10device_ptrIiEEPS5_jNS1_19radix_merge_compareILb0ELb0EiNS0_19identity_decomposerEEEEE10hipError_tT0_T1_T2_jT3_P12ihipStream_tbPNSt15iterator_traitsISH_E10value_typeEPNSN_ISI_E10value_typeEPSJ_NS1_7vsmem_tEENKUlT_SH_SI_SJ_E_clIPiSB_SC_SC_EESG_SW_SH_SI_SJ_EUlSW_E_NS1_11comp_targetILNS1_3genE5ELNS1_11target_archE942ELNS1_3gpuE9ELNS1_3repE0EEENS1_48merge_mergepath_partition_config_static_selectorELNS0_4arch9wavefront6targetE0EEEvSI_.num_agpr, 0
	.set _ZN7rocprim17ROCPRIM_400000_NS6detail17trampoline_kernelINS0_14default_configENS1_38merge_sort_block_merge_config_selectorIiNS0_10empty_typeEEEZZNS1_27merge_sort_block_merge_implIS3_N6thrust23THRUST_200600_302600_NS10device_ptrIiEEPS5_jNS1_19radix_merge_compareILb0ELb0EiNS0_19identity_decomposerEEEEE10hipError_tT0_T1_T2_jT3_P12ihipStream_tbPNSt15iterator_traitsISH_E10value_typeEPNSN_ISI_E10value_typeEPSJ_NS1_7vsmem_tEENKUlT_SH_SI_SJ_E_clIPiSB_SC_SC_EESG_SW_SH_SI_SJ_EUlSW_E_NS1_11comp_targetILNS1_3genE5ELNS1_11target_archE942ELNS1_3gpuE9ELNS1_3repE0EEENS1_48merge_mergepath_partition_config_static_selectorELNS0_4arch9wavefront6targetE0EEEvSI_.numbered_sgpr, 0
	.set _ZN7rocprim17ROCPRIM_400000_NS6detail17trampoline_kernelINS0_14default_configENS1_38merge_sort_block_merge_config_selectorIiNS0_10empty_typeEEEZZNS1_27merge_sort_block_merge_implIS3_N6thrust23THRUST_200600_302600_NS10device_ptrIiEEPS5_jNS1_19radix_merge_compareILb0ELb0EiNS0_19identity_decomposerEEEEE10hipError_tT0_T1_T2_jT3_P12ihipStream_tbPNSt15iterator_traitsISH_E10value_typeEPNSN_ISI_E10value_typeEPSJ_NS1_7vsmem_tEENKUlT_SH_SI_SJ_E_clIPiSB_SC_SC_EESG_SW_SH_SI_SJ_EUlSW_E_NS1_11comp_targetILNS1_3genE5ELNS1_11target_archE942ELNS1_3gpuE9ELNS1_3repE0EEENS1_48merge_mergepath_partition_config_static_selectorELNS0_4arch9wavefront6targetE0EEEvSI_.num_named_barrier, 0
	.set _ZN7rocprim17ROCPRIM_400000_NS6detail17trampoline_kernelINS0_14default_configENS1_38merge_sort_block_merge_config_selectorIiNS0_10empty_typeEEEZZNS1_27merge_sort_block_merge_implIS3_N6thrust23THRUST_200600_302600_NS10device_ptrIiEEPS5_jNS1_19radix_merge_compareILb0ELb0EiNS0_19identity_decomposerEEEEE10hipError_tT0_T1_T2_jT3_P12ihipStream_tbPNSt15iterator_traitsISH_E10value_typeEPNSN_ISI_E10value_typeEPSJ_NS1_7vsmem_tEENKUlT_SH_SI_SJ_E_clIPiSB_SC_SC_EESG_SW_SH_SI_SJ_EUlSW_E_NS1_11comp_targetILNS1_3genE5ELNS1_11target_archE942ELNS1_3gpuE9ELNS1_3repE0EEENS1_48merge_mergepath_partition_config_static_selectorELNS0_4arch9wavefront6targetE0EEEvSI_.private_seg_size, 0
	.set _ZN7rocprim17ROCPRIM_400000_NS6detail17trampoline_kernelINS0_14default_configENS1_38merge_sort_block_merge_config_selectorIiNS0_10empty_typeEEEZZNS1_27merge_sort_block_merge_implIS3_N6thrust23THRUST_200600_302600_NS10device_ptrIiEEPS5_jNS1_19radix_merge_compareILb0ELb0EiNS0_19identity_decomposerEEEEE10hipError_tT0_T1_T2_jT3_P12ihipStream_tbPNSt15iterator_traitsISH_E10value_typeEPNSN_ISI_E10value_typeEPSJ_NS1_7vsmem_tEENKUlT_SH_SI_SJ_E_clIPiSB_SC_SC_EESG_SW_SH_SI_SJ_EUlSW_E_NS1_11comp_targetILNS1_3genE5ELNS1_11target_archE942ELNS1_3gpuE9ELNS1_3repE0EEENS1_48merge_mergepath_partition_config_static_selectorELNS0_4arch9wavefront6targetE0EEEvSI_.uses_vcc, 0
	.set _ZN7rocprim17ROCPRIM_400000_NS6detail17trampoline_kernelINS0_14default_configENS1_38merge_sort_block_merge_config_selectorIiNS0_10empty_typeEEEZZNS1_27merge_sort_block_merge_implIS3_N6thrust23THRUST_200600_302600_NS10device_ptrIiEEPS5_jNS1_19radix_merge_compareILb0ELb0EiNS0_19identity_decomposerEEEEE10hipError_tT0_T1_T2_jT3_P12ihipStream_tbPNSt15iterator_traitsISH_E10value_typeEPNSN_ISI_E10value_typeEPSJ_NS1_7vsmem_tEENKUlT_SH_SI_SJ_E_clIPiSB_SC_SC_EESG_SW_SH_SI_SJ_EUlSW_E_NS1_11comp_targetILNS1_3genE5ELNS1_11target_archE942ELNS1_3gpuE9ELNS1_3repE0EEENS1_48merge_mergepath_partition_config_static_selectorELNS0_4arch9wavefront6targetE0EEEvSI_.uses_flat_scratch, 0
	.set _ZN7rocprim17ROCPRIM_400000_NS6detail17trampoline_kernelINS0_14default_configENS1_38merge_sort_block_merge_config_selectorIiNS0_10empty_typeEEEZZNS1_27merge_sort_block_merge_implIS3_N6thrust23THRUST_200600_302600_NS10device_ptrIiEEPS5_jNS1_19radix_merge_compareILb0ELb0EiNS0_19identity_decomposerEEEEE10hipError_tT0_T1_T2_jT3_P12ihipStream_tbPNSt15iterator_traitsISH_E10value_typeEPNSN_ISI_E10value_typeEPSJ_NS1_7vsmem_tEENKUlT_SH_SI_SJ_E_clIPiSB_SC_SC_EESG_SW_SH_SI_SJ_EUlSW_E_NS1_11comp_targetILNS1_3genE5ELNS1_11target_archE942ELNS1_3gpuE9ELNS1_3repE0EEENS1_48merge_mergepath_partition_config_static_selectorELNS0_4arch9wavefront6targetE0EEEvSI_.has_dyn_sized_stack, 0
	.set _ZN7rocprim17ROCPRIM_400000_NS6detail17trampoline_kernelINS0_14default_configENS1_38merge_sort_block_merge_config_selectorIiNS0_10empty_typeEEEZZNS1_27merge_sort_block_merge_implIS3_N6thrust23THRUST_200600_302600_NS10device_ptrIiEEPS5_jNS1_19radix_merge_compareILb0ELb0EiNS0_19identity_decomposerEEEEE10hipError_tT0_T1_T2_jT3_P12ihipStream_tbPNSt15iterator_traitsISH_E10value_typeEPNSN_ISI_E10value_typeEPSJ_NS1_7vsmem_tEENKUlT_SH_SI_SJ_E_clIPiSB_SC_SC_EESG_SW_SH_SI_SJ_EUlSW_E_NS1_11comp_targetILNS1_3genE5ELNS1_11target_archE942ELNS1_3gpuE9ELNS1_3repE0EEENS1_48merge_mergepath_partition_config_static_selectorELNS0_4arch9wavefront6targetE0EEEvSI_.has_recursion, 0
	.set _ZN7rocprim17ROCPRIM_400000_NS6detail17trampoline_kernelINS0_14default_configENS1_38merge_sort_block_merge_config_selectorIiNS0_10empty_typeEEEZZNS1_27merge_sort_block_merge_implIS3_N6thrust23THRUST_200600_302600_NS10device_ptrIiEEPS5_jNS1_19radix_merge_compareILb0ELb0EiNS0_19identity_decomposerEEEEE10hipError_tT0_T1_T2_jT3_P12ihipStream_tbPNSt15iterator_traitsISH_E10value_typeEPNSN_ISI_E10value_typeEPSJ_NS1_7vsmem_tEENKUlT_SH_SI_SJ_E_clIPiSB_SC_SC_EESG_SW_SH_SI_SJ_EUlSW_E_NS1_11comp_targetILNS1_3genE5ELNS1_11target_archE942ELNS1_3gpuE9ELNS1_3repE0EEENS1_48merge_mergepath_partition_config_static_selectorELNS0_4arch9wavefront6targetE0EEEvSI_.has_indirect_call, 0
	.section	.AMDGPU.csdata,"",@progbits
; Kernel info:
; codeLenInByte = 0
; TotalNumSgprs: 0
; NumVgprs: 0
; ScratchSize: 0
; MemoryBound: 0
; FloatMode: 240
; IeeeMode: 1
; LDSByteSize: 0 bytes/workgroup (compile time only)
; SGPRBlocks: 0
; VGPRBlocks: 0
; NumSGPRsForWavesPerEU: 1
; NumVGPRsForWavesPerEU: 1
; Occupancy: 16
; WaveLimiterHint : 0
; COMPUTE_PGM_RSRC2:SCRATCH_EN: 0
; COMPUTE_PGM_RSRC2:USER_SGPR: 6
; COMPUTE_PGM_RSRC2:TRAP_HANDLER: 0
; COMPUTE_PGM_RSRC2:TGID_X_EN: 1
; COMPUTE_PGM_RSRC2:TGID_Y_EN: 0
; COMPUTE_PGM_RSRC2:TGID_Z_EN: 0
; COMPUTE_PGM_RSRC2:TIDIG_COMP_CNT: 0
	.section	.text._ZN7rocprim17ROCPRIM_400000_NS6detail17trampoline_kernelINS0_14default_configENS1_38merge_sort_block_merge_config_selectorIiNS0_10empty_typeEEEZZNS1_27merge_sort_block_merge_implIS3_N6thrust23THRUST_200600_302600_NS10device_ptrIiEEPS5_jNS1_19radix_merge_compareILb0ELb0EiNS0_19identity_decomposerEEEEE10hipError_tT0_T1_T2_jT3_P12ihipStream_tbPNSt15iterator_traitsISH_E10value_typeEPNSN_ISI_E10value_typeEPSJ_NS1_7vsmem_tEENKUlT_SH_SI_SJ_E_clIPiSB_SC_SC_EESG_SW_SH_SI_SJ_EUlSW_E_NS1_11comp_targetILNS1_3genE4ELNS1_11target_archE910ELNS1_3gpuE8ELNS1_3repE0EEENS1_48merge_mergepath_partition_config_static_selectorELNS0_4arch9wavefront6targetE0EEEvSI_,"axG",@progbits,_ZN7rocprim17ROCPRIM_400000_NS6detail17trampoline_kernelINS0_14default_configENS1_38merge_sort_block_merge_config_selectorIiNS0_10empty_typeEEEZZNS1_27merge_sort_block_merge_implIS3_N6thrust23THRUST_200600_302600_NS10device_ptrIiEEPS5_jNS1_19radix_merge_compareILb0ELb0EiNS0_19identity_decomposerEEEEE10hipError_tT0_T1_T2_jT3_P12ihipStream_tbPNSt15iterator_traitsISH_E10value_typeEPNSN_ISI_E10value_typeEPSJ_NS1_7vsmem_tEENKUlT_SH_SI_SJ_E_clIPiSB_SC_SC_EESG_SW_SH_SI_SJ_EUlSW_E_NS1_11comp_targetILNS1_3genE4ELNS1_11target_archE910ELNS1_3gpuE8ELNS1_3repE0EEENS1_48merge_mergepath_partition_config_static_selectorELNS0_4arch9wavefront6targetE0EEEvSI_,comdat
	.protected	_ZN7rocprim17ROCPRIM_400000_NS6detail17trampoline_kernelINS0_14default_configENS1_38merge_sort_block_merge_config_selectorIiNS0_10empty_typeEEEZZNS1_27merge_sort_block_merge_implIS3_N6thrust23THRUST_200600_302600_NS10device_ptrIiEEPS5_jNS1_19radix_merge_compareILb0ELb0EiNS0_19identity_decomposerEEEEE10hipError_tT0_T1_T2_jT3_P12ihipStream_tbPNSt15iterator_traitsISH_E10value_typeEPNSN_ISI_E10value_typeEPSJ_NS1_7vsmem_tEENKUlT_SH_SI_SJ_E_clIPiSB_SC_SC_EESG_SW_SH_SI_SJ_EUlSW_E_NS1_11comp_targetILNS1_3genE4ELNS1_11target_archE910ELNS1_3gpuE8ELNS1_3repE0EEENS1_48merge_mergepath_partition_config_static_selectorELNS0_4arch9wavefront6targetE0EEEvSI_ ; -- Begin function _ZN7rocprim17ROCPRIM_400000_NS6detail17trampoline_kernelINS0_14default_configENS1_38merge_sort_block_merge_config_selectorIiNS0_10empty_typeEEEZZNS1_27merge_sort_block_merge_implIS3_N6thrust23THRUST_200600_302600_NS10device_ptrIiEEPS5_jNS1_19radix_merge_compareILb0ELb0EiNS0_19identity_decomposerEEEEE10hipError_tT0_T1_T2_jT3_P12ihipStream_tbPNSt15iterator_traitsISH_E10value_typeEPNSN_ISI_E10value_typeEPSJ_NS1_7vsmem_tEENKUlT_SH_SI_SJ_E_clIPiSB_SC_SC_EESG_SW_SH_SI_SJ_EUlSW_E_NS1_11comp_targetILNS1_3genE4ELNS1_11target_archE910ELNS1_3gpuE8ELNS1_3repE0EEENS1_48merge_mergepath_partition_config_static_selectorELNS0_4arch9wavefront6targetE0EEEvSI_
	.globl	_ZN7rocprim17ROCPRIM_400000_NS6detail17trampoline_kernelINS0_14default_configENS1_38merge_sort_block_merge_config_selectorIiNS0_10empty_typeEEEZZNS1_27merge_sort_block_merge_implIS3_N6thrust23THRUST_200600_302600_NS10device_ptrIiEEPS5_jNS1_19radix_merge_compareILb0ELb0EiNS0_19identity_decomposerEEEEE10hipError_tT0_T1_T2_jT3_P12ihipStream_tbPNSt15iterator_traitsISH_E10value_typeEPNSN_ISI_E10value_typeEPSJ_NS1_7vsmem_tEENKUlT_SH_SI_SJ_E_clIPiSB_SC_SC_EESG_SW_SH_SI_SJ_EUlSW_E_NS1_11comp_targetILNS1_3genE4ELNS1_11target_archE910ELNS1_3gpuE8ELNS1_3repE0EEENS1_48merge_mergepath_partition_config_static_selectorELNS0_4arch9wavefront6targetE0EEEvSI_
	.p2align	8
	.type	_ZN7rocprim17ROCPRIM_400000_NS6detail17trampoline_kernelINS0_14default_configENS1_38merge_sort_block_merge_config_selectorIiNS0_10empty_typeEEEZZNS1_27merge_sort_block_merge_implIS3_N6thrust23THRUST_200600_302600_NS10device_ptrIiEEPS5_jNS1_19radix_merge_compareILb0ELb0EiNS0_19identity_decomposerEEEEE10hipError_tT0_T1_T2_jT3_P12ihipStream_tbPNSt15iterator_traitsISH_E10value_typeEPNSN_ISI_E10value_typeEPSJ_NS1_7vsmem_tEENKUlT_SH_SI_SJ_E_clIPiSB_SC_SC_EESG_SW_SH_SI_SJ_EUlSW_E_NS1_11comp_targetILNS1_3genE4ELNS1_11target_archE910ELNS1_3gpuE8ELNS1_3repE0EEENS1_48merge_mergepath_partition_config_static_selectorELNS0_4arch9wavefront6targetE0EEEvSI_,@function
_ZN7rocprim17ROCPRIM_400000_NS6detail17trampoline_kernelINS0_14default_configENS1_38merge_sort_block_merge_config_selectorIiNS0_10empty_typeEEEZZNS1_27merge_sort_block_merge_implIS3_N6thrust23THRUST_200600_302600_NS10device_ptrIiEEPS5_jNS1_19radix_merge_compareILb0ELb0EiNS0_19identity_decomposerEEEEE10hipError_tT0_T1_T2_jT3_P12ihipStream_tbPNSt15iterator_traitsISH_E10value_typeEPNSN_ISI_E10value_typeEPSJ_NS1_7vsmem_tEENKUlT_SH_SI_SJ_E_clIPiSB_SC_SC_EESG_SW_SH_SI_SJ_EUlSW_E_NS1_11comp_targetILNS1_3genE4ELNS1_11target_archE910ELNS1_3gpuE8ELNS1_3repE0EEENS1_48merge_mergepath_partition_config_static_selectorELNS0_4arch9wavefront6targetE0EEEvSI_: ; @_ZN7rocprim17ROCPRIM_400000_NS6detail17trampoline_kernelINS0_14default_configENS1_38merge_sort_block_merge_config_selectorIiNS0_10empty_typeEEEZZNS1_27merge_sort_block_merge_implIS3_N6thrust23THRUST_200600_302600_NS10device_ptrIiEEPS5_jNS1_19radix_merge_compareILb0ELb0EiNS0_19identity_decomposerEEEEE10hipError_tT0_T1_T2_jT3_P12ihipStream_tbPNSt15iterator_traitsISH_E10value_typeEPNSN_ISI_E10value_typeEPSJ_NS1_7vsmem_tEENKUlT_SH_SI_SJ_E_clIPiSB_SC_SC_EESG_SW_SH_SI_SJ_EUlSW_E_NS1_11comp_targetILNS1_3genE4ELNS1_11target_archE910ELNS1_3gpuE8ELNS1_3repE0EEENS1_48merge_mergepath_partition_config_static_selectorELNS0_4arch9wavefront6targetE0EEEvSI_
; %bb.0:
	.section	.rodata,"a",@progbits
	.p2align	6, 0x0
	.amdhsa_kernel _ZN7rocprim17ROCPRIM_400000_NS6detail17trampoline_kernelINS0_14default_configENS1_38merge_sort_block_merge_config_selectorIiNS0_10empty_typeEEEZZNS1_27merge_sort_block_merge_implIS3_N6thrust23THRUST_200600_302600_NS10device_ptrIiEEPS5_jNS1_19radix_merge_compareILb0ELb0EiNS0_19identity_decomposerEEEEE10hipError_tT0_T1_T2_jT3_P12ihipStream_tbPNSt15iterator_traitsISH_E10value_typeEPNSN_ISI_E10value_typeEPSJ_NS1_7vsmem_tEENKUlT_SH_SI_SJ_E_clIPiSB_SC_SC_EESG_SW_SH_SI_SJ_EUlSW_E_NS1_11comp_targetILNS1_3genE4ELNS1_11target_archE910ELNS1_3gpuE8ELNS1_3repE0EEENS1_48merge_mergepath_partition_config_static_selectorELNS0_4arch9wavefront6targetE0EEEvSI_
		.amdhsa_group_segment_fixed_size 0
		.amdhsa_private_segment_fixed_size 0
		.amdhsa_kernarg_size 40
		.amdhsa_user_sgpr_count 6
		.amdhsa_user_sgpr_private_segment_buffer 1
		.amdhsa_user_sgpr_dispatch_ptr 0
		.amdhsa_user_sgpr_queue_ptr 0
		.amdhsa_user_sgpr_kernarg_segment_ptr 1
		.amdhsa_user_sgpr_dispatch_id 0
		.amdhsa_user_sgpr_flat_scratch_init 0
		.amdhsa_user_sgpr_private_segment_size 0
		.amdhsa_wavefront_size32 1
		.amdhsa_uses_dynamic_stack 0
		.amdhsa_system_sgpr_private_segment_wavefront_offset 0
		.amdhsa_system_sgpr_workgroup_id_x 1
		.amdhsa_system_sgpr_workgroup_id_y 0
		.amdhsa_system_sgpr_workgroup_id_z 0
		.amdhsa_system_sgpr_workgroup_info 0
		.amdhsa_system_vgpr_workitem_id 0
		.amdhsa_next_free_vgpr 1
		.amdhsa_next_free_sgpr 1
		.amdhsa_reserve_vcc 0
		.amdhsa_reserve_flat_scratch 0
		.amdhsa_float_round_mode_32 0
		.amdhsa_float_round_mode_16_64 0
		.amdhsa_float_denorm_mode_32 3
		.amdhsa_float_denorm_mode_16_64 3
		.amdhsa_dx10_clamp 1
		.amdhsa_ieee_mode 1
		.amdhsa_fp16_overflow 0
		.amdhsa_workgroup_processor_mode 1
		.amdhsa_memory_ordered 1
		.amdhsa_forward_progress 1
		.amdhsa_shared_vgpr_count 0
		.amdhsa_exception_fp_ieee_invalid_op 0
		.amdhsa_exception_fp_denorm_src 0
		.amdhsa_exception_fp_ieee_div_zero 0
		.amdhsa_exception_fp_ieee_overflow 0
		.amdhsa_exception_fp_ieee_underflow 0
		.amdhsa_exception_fp_ieee_inexact 0
		.amdhsa_exception_int_div_zero 0
	.end_amdhsa_kernel
	.section	.text._ZN7rocprim17ROCPRIM_400000_NS6detail17trampoline_kernelINS0_14default_configENS1_38merge_sort_block_merge_config_selectorIiNS0_10empty_typeEEEZZNS1_27merge_sort_block_merge_implIS3_N6thrust23THRUST_200600_302600_NS10device_ptrIiEEPS5_jNS1_19radix_merge_compareILb0ELb0EiNS0_19identity_decomposerEEEEE10hipError_tT0_T1_T2_jT3_P12ihipStream_tbPNSt15iterator_traitsISH_E10value_typeEPNSN_ISI_E10value_typeEPSJ_NS1_7vsmem_tEENKUlT_SH_SI_SJ_E_clIPiSB_SC_SC_EESG_SW_SH_SI_SJ_EUlSW_E_NS1_11comp_targetILNS1_3genE4ELNS1_11target_archE910ELNS1_3gpuE8ELNS1_3repE0EEENS1_48merge_mergepath_partition_config_static_selectorELNS0_4arch9wavefront6targetE0EEEvSI_,"axG",@progbits,_ZN7rocprim17ROCPRIM_400000_NS6detail17trampoline_kernelINS0_14default_configENS1_38merge_sort_block_merge_config_selectorIiNS0_10empty_typeEEEZZNS1_27merge_sort_block_merge_implIS3_N6thrust23THRUST_200600_302600_NS10device_ptrIiEEPS5_jNS1_19radix_merge_compareILb0ELb0EiNS0_19identity_decomposerEEEEE10hipError_tT0_T1_T2_jT3_P12ihipStream_tbPNSt15iterator_traitsISH_E10value_typeEPNSN_ISI_E10value_typeEPSJ_NS1_7vsmem_tEENKUlT_SH_SI_SJ_E_clIPiSB_SC_SC_EESG_SW_SH_SI_SJ_EUlSW_E_NS1_11comp_targetILNS1_3genE4ELNS1_11target_archE910ELNS1_3gpuE8ELNS1_3repE0EEENS1_48merge_mergepath_partition_config_static_selectorELNS0_4arch9wavefront6targetE0EEEvSI_,comdat
.Lfunc_end1115:
	.size	_ZN7rocprim17ROCPRIM_400000_NS6detail17trampoline_kernelINS0_14default_configENS1_38merge_sort_block_merge_config_selectorIiNS0_10empty_typeEEEZZNS1_27merge_sort_block_merge_implIS3_N6thrust23THRUST_200600_302600_NS10device_ptrIiEEPS5_jNS1_19radix_merge_compareILb0ELb0EiNS0_19identity_decomposerEEEEE10hipError_tT0_T1_T2_jT3_P12ihipStream_tbPNSt15iterator_traitsISH_E10value_typeEPNSN_ISI_E10value_typeEPSJ_NS1_7vsmem_tEENKUlT_SH_SI_SJ_E_clIPiSB_SC_SC_EESG_SW_SH_SI_SJ_EUlSW_E_NS1_11comp_targetILNS1_3genE4ELNS1_11target_archE910ELNS1_3gpuE8ELNS1_3repE0EEENS1_48merge_mergepath_partition_config_static_selectorELNS0_4arch9wavefront6targetE0EEEvSI_, .Lfunc_end1115-_ZN7rocprim17ROCPRIM_400000_NS6detail17trampoline_kernelINS0_14default_configENS1_38merge_sort_block_merge_config_selectorIiNS0_10empty_typeEEEZZNS1_27merge_sort_block_merge_implIS3_N6thrust23THRUST_200600_302600_NS10device_ptrIiEEPS5_jNS1_19radix_merge_compareILb0ELb0EiNS0_19identity_decomposerEEEEE10hipError_tT0_T1_T2_jT3_P12ihipStream_tbPNSt15iterator_traitsISH_E10value_typeEPNSN_ISI_E10value_typeEPSJ_NS1_7vsmem_tEENKUlT_SH_SI_SJ_E_clIPiSB_SC_SC_EESG_SW_SH_SI_SJ_EUlSW_E_NS1_11comp_targetILNS1_3genE4ELNS1_11target_archE910ELNS1_3gpuE8ELNS1_3repE0EEENS1_48merge_mergepath_partition_config_static_selectorELNS0_4arch9wavefront6targetE0EEEvSI_
                                        ; -- End function
	.set _ZN7rocprim17ROCPRIM_400000_NS6detail17trampoline_kernelINS0_14default_configENS1_38merge_sort_block_merge_config_selectorIiNS0_10empty_typeEEEZZNS1_27merge_sort_block_merge_implIS3_N6thrust23THRUST_200600_302600_NS10device_ptrIiEEPS5_jNS1_19radix_merge_compareILb0ELb0EiNS0_19identity_decomposerEEEEE10hipError_tT0_T1_T2_jT3_P12ihipStream_tbPNSt15iterator_traitsISH_E10value_typeEPNSN_ISI_E10value_typeEPSJ_NS1_7vsmem_tEENKUlT_SH_SI_SJ_E_clIPiSB_SC_SC_EESG_SW_SH_SI_SJ_EUlSW_E_NS1_11comp_targetILNS1_3genE4ELNS1_11target_archE910ELNS1_3gpuE8ELNS1_3repE0EEENS1_48merge_mergepath_partition_config_static_selectorELNS0_4arch9wavefront6targetE0EEEvSI_.num_vgpr, 0
	.set _ZN7rocprim17ROCPRIM_400000_NS6detail17trampoline_kernelINS0_14default_configENS1_38merge_sort_block_merge_config_selectorIiNS0_10empty_typeEEEZZNS1_27merge_sort_block_merge_implIS3_N6thrust23THRUST_200600_302600_NS10device_ptrIiEEPS5_jNS1_19radix_merge_compareILb0ELb0EiNS0_19identity_decomposerEEEEE10hipError_tT0_T1_T2_jT3_P12ihipStream_tbPNSt15iterator_traitsISH_E10value_typeEPNSN_ISI_E10value_typeEPSJ_NS1_7vsmem_tEENKUlT_SH_SI_SJ_E_clIPiSB_SC_SC_EESG_SW_SH_SI_SJ_EUlSW_E_NS1_11comp_targetILNS1_3genE4ELNS1_11target_archE910ELNS1_3gpuE8ELNS1_3repE0EEENS1_48merge_mergepath_partition_config_static_selectorELNS0_4arch9wavefront6targetE0EEEvSI_.num_agpr, 0
	.set _ZN7rocprim17ROCPRIM_400000_NS6detail17trampoline_kernelINS0_14default_configENS1_38merge_sort_block_merge_config_selectorIiNS0_10empty_typeEEEZZNS1_27merge_sort_block_merge_implIS3_N6thrust23THRUST_200600_302600_NS10device_ptrIiEEPS5_jNS1_19radix_merge_compareILb0ELb0EiNS0_19identity_decomposerEEEEE10hipError_tT0_T1_T2_jT3_P12ihipStream_tbPNSt15iterator_traitsISH_E10value_typeEPNSN_ISI_E10value_typeEPSJ_NS1_7vsmem_tEENKUlT_SH_SI_SJ_E_clIPiSB_SC_SC_EESG_SW_SH_SI_SJ_EUlSW_E_NS1_11comp_targetILNS1_3genE4ELNS1_11target_archE910ELNS1_3gpuE8ELNS1_3repE0EEENS1_48merge_mergepath_partition_config_static_selectorELNS0_4arch9wavefront6targetE0EEEvSI_.numbered_sgpr, 0
	.set _ZN7rocprim17ROCPRIM_400000_NS6detail17trampoline_kernelINS0_14default_configENS1_38merge_sort_block_merge_config_selectorIiNS0_10empty_typeEEEZZNS1_27merge_sort_block_merge_implIS3_N6thrust23THRUST_200600_302600_NS10device_ptrIiEEPS5_jNS1_19radix_merge_compareILb0ELb0EiNS0_19identity_decomposerEEEEE10hipError_tT0_T1_T2_jT3_P12ihipStream_tbPNSt15iterator_traitsISH_E10value_typeEPNSN_ISI_E10value_typeEPSJ_NS1_7vsmem_tEENKUlT_SH_SI_SJ_E_clIPiSB_SC_SC_EESG_SW_SH_SI_SJ_EUlSW_E_NS1_11comp_targetILNS1_3genE4ELNS1_11target_archE910ELNS1_3gpuE8ELNS1_3repE0EEENS1_48merge_mergepath_partition_config_static_selectorELNS0_4arch9wavefront6targetE0EEEvSI_.num_named_barrier, 0
	.set _ZN7rocprim17ROCPRIM_400000_NS6detail17trampoline_kernelINS0_14default_configENS1_38merge_sort_block_merge_config_selectorIiNS0_10empty_typeEEEZZNS1_27merge_sort_block_merge_implIS3_N6thrust23THRUST_200600_302600_NS10device_ptrIiEEPS5_jNS1_19radix_merge_compareILb0ELb0EiNS0_19identity_decomposerEEEEE10hipError_tT0_T1_T2_jT3_P12ihipStream_tbPNSt15iterator_traitsISH_E10value_typeEPNSN_ISI_E10value_typeEPSJ_NS1_7vsmem_tEENKUlT_SH_SI_SJ_E_clIPiSB_SC_SC_EESG_SW_SH_SI_SJ_EUlSW_E_NS1_11comp_targetILNS1_3genE4ELNS1_11target_archE910ELNS1_3gpuE8ELNS1_3repE0EEENS1_48merge_mergepath_partition_config_static_selectorELNS0_4arch9wavefront6targetE0EEEvSI_.private_seg_size, 0
	.set _ZN7rocprim17ROCPRIM_400000_NS6detail17trampoline_kernelINS0_14default_configENS1_38merge_sort_block_merge_config_selectorIiNS0_10empty_typeEEEZZNS1_27merge_sort_block_merge_implIS3_N6thrust23THRUST_200600_302600_NS10device_ptrIiEEPS5_jNS1_19radix_merge_compareILb0ELb0EiNS0_19identity_decomposerEEEEE10hipError_tT0_T1_T2_jT3_P12ihipStream_tbPNSt15iterator_traitsISH_E10value_typeEPNSN_ISI_E10value_typeEPSJ_NS1_7vsmem_tEENKUlT_SH_SI_SJ_E_clIPiSB_SC_SC_EESG_SW_SH_SI_SJ_EUlSW_E_NS1_11comp_targetILNS1_3genE4ELNS1_11target_archE910ELNS1_3gpuE8ELNS1_3repE0EEENS1_48merge_mergepath_partition_config_static_selectorELNS0_4arch9wavefront6targetE0EEEvSI_.uses_vcc, 0
	.set _ZN7rocprim17ROCPRIM_400000_NS6detail17trampoline_kernelINS0_14default_configENS1_38merge_sort_block_merge_config_selectorIiNS0_10empty_typeEEEZZNS1_27merge_sort_block_merge_implIS3_N6thrust23THRUST_200600_302600_NS10device_ptrIiEEPS5_jNS1_19radix_merge_compareILb0ELb0EiNS0_19identity_decomposerEEEEE10hipError_tT0_T1_T2_jT3_P12ihipStream_tbPNSt15iterator_traitsISH_E10value_typeEPNSN_ISI_E10value_typeEPSJ_NS1_7vsmem_tEENKUlT_SH_SI_SJ_E_clIPiSB_SC_SC_EESG_SW_SH_SI_SJ_EUlSW_E_NS1_11comp_targetILNS1_3genE4ELNS1_11target_archE910ELNS1_3gpuE8ELNS1_3repE0EEENS1_48merge_mergepath_partition_config_static_selectorELNS0_4arch9wavefront6targetE0EEEvSI_.uses_flat_scratch, 0
	.set _ZN7rocprim17ROCPRIM_400000_NS6detail17trampoline_kernelINS0_14default_configENS1_38merge_sort_block_merge_config_selectorIiNS0_10empty_typeEEEZZNS1_27merge_sort_block_merge_implIS3_N6thrust23THRUST_200600_302600_NS10device_ptrIiEEPS5_jNS1_19radix_merge_compareILb0ELb0EiNS0_19identity_decomposerEEEEE10hipError_tT0_T1_T2_jT3_P12ihipStream_tbPNSt15iterator_traitsISH_E10value_typeEPNSN_ISI_E10value_typeEPSJ_NS1_7vsmem_tEENKUlT_SH_SI_SJ_E_clIPiSB_SC_SC_EESG_SW_SH_SI_SJ_EUlSW_E_NS1_11comp_targetILNS1_3genE4ELNS1_11target_archE910ELNS1_3gpuE8ELNS1_3repE0EEENS1_48merge_mergepath_partition_config_static_selectorELNS0_4arch9wavefront6targetE0EEEvSI_.has_dyn_sized_stack, 0
	.set _ZN7rocprim17ROCPRIM_400000_NS6detail17trampoline_kernelINS0_14default_configENS1_38merge_sort_block_merge_config_selectorIiNS0_10empty_typeEEEZZNS1_27merge_sort_block_merge_implIS3_N6thrust23THRUST_200600_302600_NS10device_ptrIiEEPS5_jNS1_19radix_merge_compareILb0ELb0EiNS0_19identity_decomposerEEEEE10hipError_tT0_T1_T2_jT3_P12ihipStream_tbPNSt15iterator_traitsISH_E10value_typeEPNSN_ISI_E10value_typeEPSJ_NS1_7vsmem_tEENKUlT_SH_SI_SJ_E_clIPiSB_SC_SC_EESG_SW_SH_SI_SJ_EUlSW_E_NS1_11comp_targetILNS1_3genE4ELNS1_11target_archE910ELNS1_3gpuE8ELNS1_3repE0EEENS1_48merge_mergepath_partition_config_static_selectorELNS0_4arch9wavefront6targetE0EEEvSI_.has_recursion, 0
	.set _ZN7rocprim17ROCPRIM_400000_NS6detail17trampoline_kernelINS0_14default_configENS1_38merge_sort_block_merge_config_selectorIiNS0_10empty_typeEEEZZNS1_27merge_sort_block_merge_implIS3_N6thrust23THRUST_200600_302600_NS10device_ptrIiEEPS5_jNS1_19radix_merge_compareILb0ELb0EiNS0_19identity_decomposerEEEEE10hipError_tT0_T1_T2_jT3_P12ihipStream_tbPNSt15iterator_traitsISH_E10value_typeEPNSN_ISI_E10value_typeEPSJ_NS1_7vsmem_tEENKUlT_SH_SI_SJ_E_clIPiSB_SC_SC_EESG_SW_SH_SI_SJ_EUlSW_E_NS1_11comp_targetILNS1_3genE4ELNS1_11target_archE910ELNS1_3gpuE8ELNS1_3repE0EEENS1_48merge_mergepath_partition_config_static_selectorELNS0_4arch9wavefront6targetE0EEEvSI_.has_indirect_call, 0
	.section	.AMDGPU.csdata,"",@progbits
; Kernel info:
; codeLenInByte = 0
; TotalNumSgprs: 0
; NumVgprs: 0
; ScratchSize: 0
; MemoryBound: 0
; FloatMode: 240
; IeeeMode: 1
; LDSByteSize: 0 bytes/workgroup (compile time only)
; SGPRBlocks: 0
; VGPRBlocks: 0
; NumSGPRsForWavesPerEU: 1
; NumVGPRsForWavesPerEU: 1
; Occupancy: 16
; WaveLimiterHint : 0
; COMPUTE_PGM_RSRC2:SCRATCH_EN: 0
; COMPUTE_PGM_RSRC2:USER_SGPR: 6
; COMPUTE_PGM_RSRC2:TRAP_HANDLER: 0
; COMPUTE_PGM_RSRC2:TGID_X_EN: 1
; COMPUTE_PGM_RSRC2:TGID_Y_EN: 0
; COMPUTE_PGM_RSRC2:TGID_Z_EN: 0
; COMPUTE_PGM_RSRC2:TIDIG_COMP_CNT: 0
	.section	.text._ZN7rocprim17ROCPRIM_400000_NS6detail17trampoline_kernelINS0_14default_configENS1_38merge_sort_block_merge_config_selectorIiNS0_10empty_typeEEEZZNS1_27merge_sort_block_merge_implIS3_N6thrust23THRUST_200600_302600_NS10device_ptrIiEEPS5_jNS1_19radix_merge_compareILb0ELb0EiNS0_19identity_decomposerEEEEE10hipError_tT0_T1_T2_jT3_P12ihipStream_tbPNSt15iterator_traitsISH_E10value_typeEPNSN_ISI_E10value_typeEPSJ_NS1_7vsmem_tEENKUlT_SH_SI_SJ_E_clIPiSB_SC_SC_EESG_SW_SH_SI_SJ_EUlSW_E_NS1_11comp_targetILNS1_3genE3ELNS1_11target_archE908ELNS1_3gpuE7ELNS1_3repE0EEENS1_48merge_mergepath_partition_config_static_selectorELNS0_4arch9wavefront6targetE0EEEvSI_,"axG",@progbits,_ZN7rocprim17ROCPRIM_400000_NS6detail17trampoline_kernelINS0_14default_configENS1_38merge_sort_block_merge_config_selectorIiNS0_10empty_typeEEEZZNS1_27merge_sort_block_merge_implIS3_N6thrust23THRUST_200600_302600_NS10device_ptrIiEEPS5_jNS1_19radix_merge_compareILb0ELb0EiNS0_19identity_decomposerEEEEE10hipError_tT0_T1_T2_jT3_P12ihipStream_tbPNSt15iterator_traitsISH_E10value_typeEPNSN_ISI_E10value_typeEPSJ_NS1_7vsmem_tEENKUlT_SH_SI_SJ_E_clIPiSB_SC_SC_EESG_SW_SH_SI_SJ_EUlSW_E_NS1_11comp_targetILNS1_3genE3ELNS1_11target_archE908ELNS1_3gpuE7ELNS1_3repE0EEENS1_48merge_mergepath_partition_config_static_selectorELNS0_4arch9wavefront6targetE0EEEvSI_,comdat
	.protected	_ZN7rocprim17ROCPRIM_400000_NS6detail17trampoline_kernelINS0_14default_configENS1_38merge_sort_block_merge_config_selectorIiNS0_10empty_typeEEEZZNS1_27merge_sort_block_merge_implIS3_N6thrust23THRUST_200600_302600_NS10device_ptrIiEEPS5_jNS1_19radix_merge_compareILb0ELb0EiNS0_19identity_decomposerEEEEE10hipError_tT0_T1_T2_jT3_P12ihipStream_tbPNSt15iterator_traitsISH_E10value_typeEPNSN_ISI_E10value_typeEPSJ_NS1_7vsmem_tEENKUlT_SH_SI_SJ_E_clIPiSB_SC_SC_EESG_SW_SH_SI_SJ_EUlSW_E_NS1_11comp_targetILNS1_3genE3ELNS1_11target_archE908ELNS1_3gpuE7ELNS1_3repE0EEENS1_48merge_mergepath_partition_config_static_selectorELNS0_4arch9wavefront6targetE0EEEvSI_ ; -- Begin function _ZN7rocprim17ROCPRIM_400000_NS6detail17trampoline_kernelINS0_14default_configENS1_38merge_sort_block_merge_config_selectorIiNS0_10empty_typeEEEZZNS1_27merge_sort_block_merge_implIS3_N6thrust23THRUST_200600_302600_NS10device_ptrIiEEPS5_jNS1_19radix_merge_compareILb0ELb0EiNS0_19identity_decomposerEEEEE10hipError_tT0_T1_T2_jT3_P12ihipStream_tbPNSt15iterator_traitsISH_E10value_typeEPNSN_ISI_E10value_typeEPSJ_NS1_7vsmem_tEENKUlT_SH_SI_SJ_E_clIPiSB_SC_SC_EESG_SW_SH_SI_SJ_EUlSW_E_NS1_11comp_targetILNS1_3genE3ELNS1_11target_archE908ELNS1_3gpuE7ELNS1_3repE0EEENS1_48merge_mergepath_partition_config_static_selectorELNS0_4arch9wavefront6targetE0EEEvSI_
	.globl	_ZN7rocprim17ROCPRIM_400000_NS6detail17trampoline_kernelINS0_14default_configENS1_38merge_sort_block_merge_config_selectorIiNS0_10empty_typeEEEZZNS1_27merge_sort_block_merge_implIS3_N6thrust23THRUST_200600_302600_NS10device_ptrIiEEPS5_jNS1_19radix_merge_compareILb0ELb0EiNS0_19identity_decomposerEEEEE10hipError_tT0_T1_T2_jT3_P12ihipStream_tbPNSt15iterator_traitsISH_E10value_typeEPNSN_ISI_E10value_typeEPSJ_NS1_7vsmem_tEENKUlT_SH_SI_SJ_E_clIPiSB_SC_SC_EESG_SW_SH_SI_SJ_EUlSW_E_NS1_11comp_targetILNS1_3genE3ELNS1_11target_archE908ELNS1_3gpuE7ELNS1_3repE0EEENS1_48merge_mergepath_partition_config_static_selectorELNS0_4arch9wavefront6targetE0EEEvSI_
	.p2align	8
	.type	_ZN7rocprim17ROCPRIM_400000_NS6detail17trampoline_kernelINS0_14default_configENS1_38merge_sort_block_merge_config_selectorIiNS0_10empty_typeEEEZZNS1_27merge_sort_block_merge_implIS3_N6thrust23THRUST_200600_302600_NS10device_ptrIiEEPS5_jNS1_19radix_merge_compareILb0ELb0EiNS0_19identity_decomposerEEEEE10hipError_tT0_T1_T2_jT3_P12ihipStream_tbPNSt15iterator_traitsISH_E10value_typeEPNSN_ISI_E10value_typeEPSJ_NS1_7vsmem_tEENKUlT_SH_SI_SJ_E_clIPiSB_SC_SC_EESG_SW_SH_SI_SJ_EUlSW_E_NS1_11comp_targetILNS1_3genE3ELNS1_11target_archE908ELNS1_3gpuE7ELNS1_3repE0EEENS1_48merge_mergepath_partition_config_static_selectorELNS0_4arch9wavefront6targetE0EEEvSI_,@function
_ZN7rocprim17ROCPRIM_400000_NS6detail17trampoline_kernelINS0_14default_configENS1_38merge_sort_block_merge_config_selectorIiNS0_10empty_typeEEEZZNS1_27merge_sort_block_merge_implIS3_N6thrust23THRUST_200600_302600_NS10device_ptrIiEEPS5_jNS1_19radix_merge_compareILb0ELb0EiNS0_19identity_decomposerEEEEE10hipError_tT0_T1_T2_jT3_P12ihipStream_tbPNSt15iterator_traitsISH_E10value_typeEPNSN_ISI_E10value_typeEPSJ_NS1_7vsmem_tEENKUlT_SH_SI_SJ_E_clIPiSB_SC_SC_EESG_SW_SH_SI_SJ_EUlSW_E_NS1_11comp_targetILNS1_3genE3ELNS1_11target_archE908ELNS1_3gpuE7ELNS1_3repE0EEENS1_48merge_mergepath_partition_config_static_selectorELNS0_4arch9wavefront6targetE0EEEvSI_: ; @_ZN7rocprim17ROCPRIM_400000_NS6detail17trampoline_kernelINS0_14default_configENS1_38merge_sort_block_merge_config_selectorIiNS0_10empty_typeEEEZZNS1_27merge_sort_block_merge_implIS3_N6thrust23THRUST_200600_302600_NS10device_ptrIiEEPS5_jNS1_19radix_merge_compareILb0ELb0EiNS0_19identity_decomposerEEEEE10hipError_tT0_T1_T2_jT3_P12ihipStream_tbPNSt15iterator_traitsISH_E10value_typeEPNSN_ISI_E10value_typeEPSJ_NS1_7vsmem_tEENKUlT_SH_SI_SJ_E_clIPiSB_SC_SC_EESG_SW_SH_SI_SJ_EUlSW_E_NS1_11comp_targetILNS1_3genE3ELNS1_11target_archE908ELNS1_3gpuE7ELNS1_3repE0EEENS1_48merge_mergepath_partition_config_static_selectorELNS0_4arch9wavefront6targetE0EEEvSI_
; %bb.0:
	.section	.rodata,"a",@progbits
	.p2align	6, 0x0
	.amdhsa_kernel _ZN7rocprim17ROCPRIM_400000_NS6detail17trampoline_kernelINS0_14default_configENS1_38merge_sort_block_merge_config_selectorIiNS0_10empty_typeEEEZZNS1_27merge_sort_block_merge_implIS3_N6thrust23THRUST_200600_302600_NS10device_ptrIiEEPS5_jNS1_19radix_merge_compareILb0ELb0EiNS0_19identity_decomposerEEEEE10hipError_tT0_T1_T2_jT3_P12ihipStream_tbPNSt15iterator_traitsISH_E10value_typeEPNSN_ISI_E10value_typeEPSJ_NS1_7vsmem_tEENKUlT_SH_SI_SJ_E_clIPiSB_SC_SC_EESG_SW_SH_SI_SJ_EUlSW_E_NS1_11comp_targetILNS1_3genE3ELNS1_11target_archE908ELNS1_3gpuE7ELNS1_3repE0EEENS1_48merge_mergepath_partition_config_static_selectorELNS0_4arch9wavefront6targetE0EEEvSI_
		.amdhsa_group_segment_fixed_size 0
		.amdhsa_private_segment_fixed_size 0
		.amdhsa_kernarg_size 40
		.amdhsa_user_sgpr_count 6
		.amdhsa_user_sgpr_private_segment_buffer 1
		.amdhsa_user_sgpr_dispatch_ptr 0
		.amdhsa_user_sgpr_queue_ptr 0
		.amdhsa_user_sgpr_kernarg_segment_ptr 1
		.amdhsa_user_sgpr_dispatch_id 0
		.amdhsa_user_sgpr_flat_scratch_init 0
		.amdhsa_user_sgpr_private_segment_size 0
		.amdhsa_wavefront_size32 1
		.amdhsa_uses_dynamic_stack 0
		.amdhsa_system_sgpr_private_segment_wavefront_offset 0
		.amdhsa_system_sgpr_workgroup_id_x 1
		.amdhsa_system_sgpr_workgroup_id_y 0
		.amdhsa_system_sgpr_workgroup_id_z 0
		.amdhsa_system_sgpr_workgroup_info 0
		.amdhsa_system_vgpr_workitem_id 0
		.amdhsa_next_free_vgpr 1
		.amdhsa_next_free_sgpr 1
		.amdhsa_reserve_vcc 0
		.amdhsa_reserve_flat_scratch 0
		.amdhsa_float_round_mode_32 0
		.amdhsa_float_round_mode_16_64 0
		.amdhsa_float_denorm_mode_32 3
		.amdhsa_float_denorm_mode_16_64 3
		.amdhsa_dx10_clamp 1
		.amdhsa_ieee_mode 1
		.amdhsa_fp16_overflow 0
		.amdhsa_workgroup_processor_mode 1
		.amdhsa_memory_ordered 1
		.amdhsa_forward_progress 1
		.amdhsa_shared_vgpr_count 0
		.amdhsa_exception_fp_ieee_invalid_op 0
		.amdhsa_exception_fp_denorm_src 0
		.amdhsa_exception_fp_ieee_div_zero 0
		.amdhsa_exception_fp_ieee_overflow 0
		.amdhsa_exception_fp_ieee_underflow 0
		.amdhsa_exception_fp_ieee_inexact 0
		.amdhsa_exception_int_div_zero 0
	.end_amdhsa_kernel
	.section	.text._ZN7rocprim17ROCPRIM_400000_NS6detail17trampoline_kernelINS0_14default_configENS1_38merge_sort_block_merge_config_selectorIiNS0_10empty_typeEEEZZNS1_27merge_sort_block_merge_implIS3_N6thrust23THRUST_200600_302600_NS10device_ptrIiEEPS5_jNS1_19radix_merge_compareILb0ELb0EiNS0_19identity_decomposerEEEEE10hipError_tT0_T1_T2_jT3_P12ihipStream_tbPNSt15iterator_traitsISH_E10value_typeEPNSN_ISI_E10value_typeEPSJ_NS1_7vsmem_tEENKUlT_SH_SI_SJ_E_clIPiSB_SC_SC_EESG_SW_SH_SI_SJ_EUlSW_E_NS1_11comp_targetILNS1_3genE3ELNS1_11target_archE908ELNS1_3gpuE7ELNS1_3repE0EEENS1_48merge_mergepath_partition_config_static_selectorELNS0_4arch9wavefront6targetE0EEEvSI_,"axG",@progbits,_ZN7rocprim17ROCPRIM_400000_NS6detail17trampoline_kernelINS0_14default_configENS1_38merge_sort_block_merge_config_selectorIiNS0_10empty_typeEEEZZNS1_27merge_sort_block_merge_implIS3_N6thrust23THRUST_200600_302600_NS10device_ptrIiEEPS5_jNS1_19radix_merge_compareILb0ELb0EiNS0_19identity_decomposerEEEEE10hipError_tT0_T1_T2_jT3_P12ihipStream_tbPNSt15iterator_traitsISH_E10value_typeEPNSN_ISI_E10value_typeEPSJ_NS1_7vsmem_tEENKUlT_SH_SI_SJ_E_clIPiSB_SC_SC_EESG_SW_SH_SI_SJ_EUlSW_E_NS1_11comp_targetILNS1_3genE3ELNS1_11target_archE908ELNS1_3gpuE7ELNS1_3repE0EEENS1_48merge_mergepath_partition_config_static_selectorELNS0_4arch9wavefront6targetE0EEEvSI_,comdat
.Lfunc_end1116:
	.size	_ZN7rocprim17ROCPRIM_400000_NS6detail17trampoline_kernelINS0_14default_configENS1_38merge_sort_block_merge_config_selectorIiNS0_10empty_typeEEEZZNS1_27merge_sort_block_merge_implIS3_N6thrust23THRUST_200600_302600_NS10device_ptrIiEEPS5_jNS1_19radix_merge_compareILb0ELb0EiNS0_19identity_decomposerEEEEE10hipError_tT0_T1_T2_jT3_P12ihipStream_tbPNSt15iterator_traitsISH_E10value_typeEPNSN_ISI_E10value_typeEPSJ_NS1_7vsmem_tEENKUlT_SH_SI_SJ_E_clIPiSB_SC_SC_EESG_SW_SH_SI_SJ_EUlSW_E_NS1_11comp_targetILNS1_3genE3ELNS1_11target_archE908ELNS1_3gpuE7ELNS1_3repE0EEENS1_48merge_mergepath_partition_config_static_selectorELNS0_4arch9wavefront6targetE0EEEvSI_, .Lfunc_end1116-_ZN7rocprim17ROCPRIM_400000_NS6detail17trampoline_kernelINS0_14default_configENS1_38merge_sort_block_merge_config_selectorIiNS0_10empty_typeEEEZZNS1_27merge_sort_block_merge_implIS3_N6thrust23THRUST_200600_302600_NS10device_ptrIiEEPS5_jNS1_19radix_merge_compareILb0ELb0EiNS0_19identity_decomposerEEEEE10hipError_tT0_T1_T2_jT3_P12ihipStream_tbPNSt15iterator_traitsISH_E10value_typeEPNSN_ISI_E10value_typeEPSJ_NS1_7vsmem_tEENKUlT_SH_SI_SJ_E_clIPiSB_SC_SC_EESG_SW_SH_SI_SJ_EUlSW_E_NS1_11comp_targetILNS1_3genE3ELNS1_11target_archE908ELNS1_3gpuE7ELNS1_3repE0EEENS1_48merge_mergepath_partition_config_static_selectorELNS0_4arch9wavefront6targetE0EEEvSI_
                                        ; -- End function
	.set _ZN7rocprim17ROCPRIM_400000_NS6detail17trampoline_kernelINS0_14default_configENS1_38merge_sort_block_merge_config_selectorIiNS0_10empty_typeEEEZZNS1_27merge_sort_block_merge_implIS3_N6thrust23THRUST_200600_302600_NS10device_ptrIiEEPS5_jNS1_19radix_merge_compareILb0ELb0EiNS0_19identity_decomposerEEEEE10hipError_tT0_T1_T2_jT3_P12ihipStream_tbPNSt15iterator_traitsISH_E10value_typeEPNSN_ISI_E10value_typeEPSJ_NS1_7vsmem_tEENKUlT_SH_SI_SJ_E_clIPiSB_SC_SC_EESG_SW_SH_SI_SJ_EUlSW_E_NS1_11comp_targetILNS1_3genE3ELNS1_11target_archE908ELNS1_3gpuE7ELNS1_3repE0EEENS1_48merge_mergepath_partition_config_static_selectorELNS0_4arch9wavefront6targetE0EEEvSI_.num_vgpr, 0
	.set _ZN7rocprim17ROCPRIM_400000_NS6detail17trampoline_kernelINS0_14default_configENS1_38merge_sort_block_merge_config_selectorIiNS0_10empty_typeEEEZZNS1_27merge_sort_block_merge_implIS3_N6thrust23THRUST_200600_302600_NS10device_ptrIiEEPS5_jNS1_19radix_merge_compareILb0ELb0EiNS0_19identity_decomposerEEEEE10hipError_tT0_T1_T2_jT3_P12ihipStream_tbPNSt15iterator_traitsISH_E10value_typeEPNSN_ISI_E10value_typeEPSJ_NS1_7vsmem_tEENKUlT_SH_SI_SJ_E_clIPiSB_SC_SC_EESG_SW_SH_SI_SJ_EUlSW_E_NS1_11comp_targetILNS1_3genE3ELNS1_11target_archE908ELNS1_3gpuE7ELNS1_3repE0EEENS1_48merge_mergepath_partition_config_static_selectorELNS0_4arch9wavefront6targetE0EEEvSI_.num_agpr, 0
	.set _ZN7rocprim17ROCPRIM_400000_NS6detail17trampoline_kernelINS0_14default_configENS1_38merge_sort_block_merge_config_selectorIiNS0_10empty_typeEEEZZNS1_27merge_sort_block_merge_implIS3_N6thrust23THRUST_200600_302600_NS10device_ptrIiEEPS5_jNS1_19radix_merge_compareILb0ELb0EiNS0_19identity_decomposerEEEEE10hipError_tT0_T1_T2_jT3_P12ihipStream_tbPNSt15iterator_traitsISH_E10value_typeEPNSN_ISI_E10value_typeEPSJ_NS1_7vsmem_tEENKUlT_SH_SI_SJ_E_clIPiSB_SC_SC_EESG_SW_SH_SI_SJ_EUlSW_E_NS1_11comp_targetILNS1_3genE3ELNS1_11target_archE908ELNS1_3gpuE7ELNS1_3repE0EEENS1_48merge_mergepath_partition_config_static_selectorELNS0_4arch9wavefront6targetE0EEEvSI_.numbered_sgpr, 0
	.set _ZN7rocprim17ROCPRIM_400000_NS6detail17trampoline_kernelINS0_14default_configENS1_38merge_sort_block_merge_config_selectorIiNS0_10empty_typeEEEZZNS1_27merge_sort_block_merge_implIS3_N6thrust23THRUST_200600_302600_NS10device_ptrIiEEPS5_jNS1_19radix_merge_compareILb0ELb0EiNS0_19identity_decomposerEEEEE10hipError_tT0_T1_T2_jT3_P12ihipStream_tbPNSt15iterator_traitsISH_E10value_typeEPNSN_ISI_E10value_typeEPSJ_NS1_7vsmem_tEENKUlT_SH_SI_SJ_E_clIPiSB_SC_SC_EESG_SW_SH_SI_SJ_EUlSW_E_NS1_11comp_targetILNS1_3genE3ELNS1_11target_archE908ELNS1_3gpuE7ELNS1_3repE0EEENS1_48merge_mergepath_partition_config_static_selectorELNS0_4arch9wavefront6targetE0EEEvSI_.num_named_barrier, 0
	.set _ZN7rocprim17ROCPRIM_400000_NS6detail17trampoline_kernelINS0_14default_configENS1_38merge_sort_block_merge_config_selectorIiNS0_10empty_typeEEEZZNS1_27merge_sort_block_merge_implIS3_N6thrust23THRUST_200600_302600_NS10device_ptrIiEEPS5_jNS1_19radix_merge_compareILb0ELb0EiNS0_19identity_decomposerEEEEE10hipError_tT0_T1_T2_jT3_P12ihipStream_tbPNSt15iterator_traitsISH_E10value_typeEPNSN_ISI_E10value_typeEPSJ_NS1_7vsmem_tEENKUlT_SH_SI_SJ_E_clIPiSB_SC_SC_EESG_SW_SH_SI_SJ_EUlSW_E_NS1_11comp_targetILNS1_3genE3ELNS1_11target_archE908ELNS1_3gpuE7ELNS1_3repE0EEENS1_48merge_mergepath_partition_config_static_selectorELNS0_4arch9wavefront6targetE0EEEvSI_.private_seg_size, 0
	.set _ZN7rocprim17ROCPRIM_400000_NS6detail17trampoline_kernelINS0_14default_configENS1_38merge_sort_block_merge_config_selectorIiNS0_10empty_typeEEEZZNS1_27merge_sort_block_merge_implIS3_N6thrust23THRUST_200600_302600_NS10device_ptrIiEEPS5_jNS1_19radix_merge_compareILb0ELb0EiNS0_19identity_decomposerEEEEE10hipError_tT0_T1_T2_jT3_P12ihipStream_tbPNSt15iterator_traitsISH_E10value_typeEPNSN_ISI_E10value_typeEPSJ_NS1_7vsmem_tEENKUlT_SH_SI_SJ_E_clIPiSB_SC_SC_EESG_SW_SH_SI_SJ_EUlSW_E_NS1_11comp_targetILNS1_3genE3ELNS1_11target_archE908ELNS1_3gpuE7ELNS1_3repE0EEENS1_48merge_mergepath_partition_config_static_selectorELNS0_4arch9wavefront6targetE0EEEvSI_.uses_vcc, 0
	.set _ZN7rocprim17ROCPRIM_400000_NS6detail17trampoline_kernelINS0_14default_configENS1_38merge_sort_block_merge_config_selectorIiNS0_10empty_typeEEEZZNS1_27merge_sort_block_merge_implIS3_N6thrust23THRUST_200600_302600_NS10device_ptrIiEEPS5_jNS1_19radix_merge_compareILb0ELb0EiNS0_19identity_decomposerEEEEE10hipError_tT0_T1_T2_jT3_P12ihipStream_tbPNSt15iterator_traitsISH_E10value_typeEPNSN_ISI_E10value_typeEPSJ_NS1_7vsmem_tEENKUlT_SH_SI_SJ_E_clIPiSB_SC_SC_EESG_SW_SH_SI_SJ_EUlSW_E_NS1_11comp_targetILNS1_3genE3ELNS1_11target_archE908ELNS1_3gpuE7ELNS1_3repE0EEENS1_48merge_mergepath_partition_config_static_selectorELNS0_4arch9wavefront6targetE0EEEvSI_.uses_flat_scratch, 0
	.set _ZN7rocprim17ROCPRIM_400000_NS6detail17trampoline_kernelINS0_14default_configENS1_38merge_sort_block_merge_config_selectorIiNS0_10empty_typeEEEZZNS1_27merge_sort_block_merge_implIS3_N6thrust23THRUST_200600_302600_NS10device_ptrIiEEPS5_jNS1_19radix_merge_compareILb0ELb0EiNS0_19identity_decomposerEEEEE10hipError_tT0_T1_T2_jT3_P12ihipStream_tbPNSt15iterator_traitsISH_E10value_typeEPNSN_ISI_E10value_typeEPSJ_NS1_7vsmem_tEENKUlT_SH_SI_SJ_E_clIPiSB_SC_SC_EESG_SW_SH_SI_SJ_EUlSW_E_NS1_11comp_targetILNS1_3genE3ELNS1_11target_archE908ELNS1_3gpuE7ELNS1_3repE0EEENS1_48merge_mergepath_partition_config_static_selectorELNS0_4arch9wavefront6targetE0EEEvSI_.has_dyn_sized_stack, 0
	.set _ZN7rocprim17ROCPRIM_400000_NS6detail17trampoline_kernelINS0_14default_configENS1_38merge_sort_block_merge_config_selectorIiNS0_10empty_typeEEEZZNS1_27merge_sort_block_merge_implIS3_N6thrust23THRUST_200600_302600_NS10device_ptrIiEEPS5_jNS1_19radix_merge_compareILb0ELb0EiNS0_19identity_decomposerEEEEE10hipError_tT0_T1_T2_jT3_P12ihipStream_tbPNSt15iterator_traitsISH_E10value_typeEPNSN_ISI_E10value_typeEPSJ_NS1_7vsmem_tEENKUlT_SH_SI_SJ_E_clIPiSB_SC_SC_EESG_SW_SH_SI_SJ_EUlSW_E_NS1_11comp_targetILNS1_3genE3ELNS1_11target_archE908ELNS1_3gpuE7ELNS1_3repE0EEENS1_48merge_mergepath_partition_config_static_selectorELNS0_4arch9wavefront6targetE0EEEvSI_.has_recursion, 0
	.set _ZN7rocprim17ROCPRIM_400000_NS6detail17trampoline_kernelINS0_14default_configENS1_38merge_sort_block_merge_config_selectorIiNS0_10empty_typeEEEZZNS1_27merge_sort_block_merge_implIS3_N6thrust23THRUST_200600_302600_NS10device_ptrIiEEPS5_jNS1_19radix_merge_compareILb0ELb0EiNS0_19identity_decomposerEEEEE10hipError_tT0_T1_T2_jT3_P12ihipStream_tbPNSt15iterator_traitsISH_E10value_typeEPNSN_ISI_E10value_typeEPSJ_NS1_7vsmem_tEENKUlT_SH_SI_SJ_E_clIPiSB_SC_SC_EESG_SW_SH_SI_SJ_EUlSW_E_NS1_11comp_targetILNS1_3genE3ELNS1_11target_archE908ELNS1_3gpuE7ELNS1_3repE0EEENS1_48merge_mergepath_partition_config_static_selectorELNS0_4arch9wavefront6targetE0EEEvSI_.has_indirect_call, 0
	.section	.AMDGPU.csdata,"",@progbits
; Kernel info:
; codeLenInByte = 0
; TotalNumSgprs: 0
; NumVgprs: 0
; ScratchSize: 0
; MemoryBound: 0
; FloatMode: 240
; IeeeMode: 1
; LDSByteSize: 0 bytes/workgroup (compile time only)
; SGPRBlocks: 0
; VGPRBlocks: 0
; NumSGPRsForWavesPerEU: 1
; NumVGPRsForWavesPerEU: 1
; Occupancy: 16
; WaveLimiterHint : 0
; COMPUTE_PGM_RSRC2:SCRATCH_EN: 0
; COMPUTE_PGM_RSRC2:USER_SGPR: 6
; COMPUTE_PGM_RSRC2:TRAP_HANDLER: 0
; COMPUTE_PGM_RSRC2:TGID_X_EN: 1
; COMPUTE_PGM_RSRC2:TGID_Y_EN: 0
; COMPUTE_PGM_RSRC2:TGID_Z_EN: 0
; COMPUTE_PGM_RSRC2:TIDIG_COMP_CNT: 0
	.section	.text._ZN7rocprim17ROCPRIM_400000_NS6detail17trampoline_kernelINS0_14default_configENS1_38merge_sort_block_merge_config_selectorIiNS0_10empty_typeEEEZZNS1_27merge_sort_block_merge_implIS3_N6thrust23THRUST_200600_302600_NS10device_ptrIiEEPS5_jNS1_19radix_merge_compareILb0ELb0EiNS0_19identity_decomposerEEEEE10hipError_tT0_T1_T2_jT3_P12ihipStream_tbPNSt15iterator_traitsISH_E10value_typeEPNSN_ISI_E10value_typeEPSJ_NS1_7vsmem_tEENKUlT_SH_SI_SJ_E_clIPiSB_SC_SC_EESG_SW_SH_SI_SJ_EUlSW_E_NS1_11comp_targetILNS1_3genE2ELNS1_11target_archE906ELNS1_3gpuE6ELNS1_3repE0EEENS1_48merge_mergepath_partition_config_static_selectorELNS0_4arch9wavefront6targetE0EEEvSI_,"axG",@progbits,_ZN7rocprim17ROCPRIM_400000_NS6detail17trampoline_kernelINS0_14default_configENS1_38merge_sort_block_merge_config_selectorIiNS0_10empty_typeEEEZZNS1_27merge_sort_block_merge_implIS3_N6thrust23THRUST_200600_302600_NS10device_ptrIiEEPS5_jNS1_19radix_merge_compareILb0ELb0EiNS0_19identity_decomposerEEEEE10hipError_tT0_T1_T2_jT3_P12ihipStream_tbPNSt15iterator_traitsISH_E10value_typeEPNSN_ISI_E10value_typeEPSJ_NS1_7vsmem_tEENKUlT_SH_SI_SJ_E_clIPiSB_SC_SC_EESG_SW_SH_SI_SJ_EUlSW_E_NS1_11comp_targetILNS1_3genE2ELNS1_11target_archE906ELNS1_3gpuE6ELNS1_3repE0EEENS1_48merge_mergepath_partition_config_static_selectorELNS0_4arch9wavefront6targetE0EEEvSI_,comdat
	.protected	_ZN7rocprim17ROCPRIM_400000_NS6detail17trampoline_kernelINS0_14default_configENS1_38merge_sort_block_merge_config_selectorIiNS0_10empty_typeEEEZZNS1_27merge_sort_block_merge_implIS3_N6thrust23THRUST_200600_302600_NS10device_ptrIiEEPS5_jNS1_19radix_merge_compareILb0ELb0EiNS0_19identity_decomposerEEEEE10hipError_tT0_T1_T2_jT3_P12ihipStream_tbPNSt15iterator_traitsISH_E10value_typeEPNSN_ISI_E10value_typeEPSJ_NS1_7vsmem_tEENKUlT_SH_SI_SJ_E_clIPiSB_SC_SC_EESG_SW_SH_SI_SJ_EUlSW_E_NS1_11comp_targetILNS1_3genE2ELNS1_11target_archE906ELNS1_3gpuE6ELNS1_3repE0EEENS1_48merge_mergepath_partition_config_static_selectorELNS0_4arch9wavefront6targetE0EEEvSI_ ; -- Begin function _ZN7rocprim17ROCPRIM_400000_NS6detail17trampoline_kernelINS0_14default_configENS1_38merge_sort_block_merge_config_selectorIiNS0_10empty_typeEEEZZNS1_27merge_sort_block_merge_implIS3_N6thrust23THRUST_200600_302600_NS10device_ptrIiEEPS5_jNS1_19radix_merge_compareILb0ELb0EiNS0_19identity_decomposerEEEEE10hipError_tT0_T1_T2_jT3_P12ihipStream_tbPNSt15iterator_traitsISH_E10value_typeEPNSN_ISI_E10value_typeEPSJ_NS1_7vsmem_tEENKUlT_SH_SI_SJ_E_clIPiSB_SC_SC_EESG_SW_SH_SI_SJ_EUlSW_E_NS1_11comp_targetILNS1_3genE2ELNS1_11target_archE906ELNS1_3gpuE6ELNS1_3repE0EEENS1_48merge_mergepath_partition_config_static_selectorELNS0_4arch9wavefront6targetE0EEEvSI_
	.globl	_ZN7rocprim17ROCPRIM_400000_NS6detail17trampoline_kernelINS0_14default_configENS1_38merge_sort_block_merge_config_selectorIiNS0_10empty_typeEEEZZNS1_27merge_sort_block_merge_implIS3_N6thrust23THRUST_200600_302600_NS10device_ptrIiEEPS5_jNS1_19radix_merge_compareILb0ELb0EiNS0_19identity_decomposerEEEEE10hipError_tT0_T1_T2_jT3_P12ihipStream_tbPNSt15iterator_traitsISH_E10value_typeEPNSN_ISI_E10value_typeEPSJ_NS1_7vsmem_tEENKUlT_SH_SI_SJ_E_clIPiSB_SC_SC_EESG_SW_SH_SI_SJ_EUlSW_E_NS1_11comp_targetILNS1_3genE2ELNS1_11target_archE906ELNS1_3gpuE6ELNS1_3repE0EEENS1_48merge_mergepath_partition_config_static_selectorELNS0_4arch9wavefront6targetE0EEEvSI_
	.p2align	8
	.type	_ZN7rocprim17ROCPRIM_400000_NS6detail17trampoline_kernelINS0_14default_configENS1_38merge_sort_block_merge_config_selectorIiNS0_10empty_typeEEEZZNS1_27merge_sort_block_merge_implIS3_N6thrust23THRUST_200600_302600_NS10device_ptrIiEEPS5_jNS1_19radix_merge_compareILb0ELb0EiNS0_19identity_decomposerEEEEE10hipError_tT0_T1_T2_jT3_P12ihipStream_tbPNSt15iterator_traitsISH_E10value_typeEPNSN_ISI_E10value_typeEPSJ_NS1_7vsmem_tEENKUlT_SH_SI_SJ_E_clIPiSB_SC_SC_EESG_SW_SH_SI_SJ_EUlSW_E_NS1_11comp_targetILNS1_3genE2ELNS1_11target_archE906ELNS1_3gpuE6ELNS1_3repE0EEENS1_48merge_mergepath_partition_config_static_selectorELNS0_4arch9wavefront6targetE0EEEvSI_,@function
_ZN7rocprim17ROCPRIM_400000_NS6detail17trampoline_kernelINS0_14default_configENS1_38merge_sort_block_merge_config_selectorIiNS0_10empty_typeEEEZZNS1_27merge_sort_block_merge_implIS3_N6thrust23THRUST_200600_302600_NS10device_ptrIiEEPS5_jNS1_19radix_merge_compareILb0ELb0EiNS0_19identity_decomposerEEEEE10hipError_tT0_T1_T2_jT3_P12ihipStream_tbPNSt15iterator_traitsISH_E10value_typeEPNSN_ISI_E10value_typeEPSJ_NS1_7vsmem_tEENKUlT_SH_SI_SJ_E_clIPiSB_SC_SC_EESG_SW_SH_SI_SJ_EUlSW_E_NS1_11comp_targetILNS1_3genE2ELNS1_11target_archE906ELNS1_3gpuE6ELNS1_3repE0EEENS1_48merge_mergepath_partition_config_static_selectorELNS0_4arch9wavefront6targetE0EEEvSI_: ; @_ZN7rocprim17ROCPRIM_400000_NS6detail17trampoline_kernelINS0_14default_configENS1_38merge_sort_block_merge_config_selectorIiNS0_10empty_typeEEEZZNS1_27merge_sort_block_merge_implIS3_N6thrust23THRUST_200600_302600_NS10device_ptrIiEEPS5_jNS1_19radix_merge_compareILb0ELb0EiNS0_19identity_decomposerEEEEE10hipError_tT0_T1_T2_jT3_P12ihipStream_tbPNSt15iterator_traitsISH_E10value_typeEPNSN_ISI_E10value_typeEPSJ_NS1_7vsmem_tEENKUlT_SH_SI_SJ_E_clIPiSB_SC_SC_EESG_SW_SH_SI_SJ_EUlSW_E_NS1_11comp_targetILNS1_3genE2ELNS1_11target_archE906ELNS1_3gpuE6ELNS1_3repE0EEENS1_48merge_mergepath_partition_config_static_selectorELNS0_4arch9wavefront6targetE0EEEvSI_
; %bb.0:
	.section	.rodata,"a",@progbits
	.p2align	6, 0x0
	.amdhsa_kernel _ZN7rocprim17ROCPRIM_400000_NS6detail17trampoline_kernelINS0_14default_configENS1_38merge_sort_block_merge_config_selectorIiNS0_10empty_typeEEEZZNS1_27merge_sort_block_merge_implIS3_N6thrust23THRUST_200600_302600_NS10device_ptrIiEEPS5_jNS1_19radix_merge_compareILb0ELb0EiNS0_19identity_decomposerEEEEE10hipError_tT0_T1_T2_jT3_P12ihipStream_tbPNSt15iterator_traitsISH_E10value_typeEPNSN_ISI_E10value_typeEPSJ_NS1_7vsmem_tEENKUlT_SH_SI_SJ_E_clIPiSB_SC_SC_EESG_SW_SH_SI_SJ_EUlSW_E_NS1_11comp_targetILNS1_3genE2ELNS1_11target_archE906ELNS1_3gpuE6ELNS1_3repE0EEENS1_48merge_mergepath_partition_config_static_selectorELNS0_4arch9wavefront6targetE0EEEvSI_
		.amdhsa_group_segment_fixed_size 0
		.amdhsa_private_segment_fixed_size 0
		.amdhsa_kernarg_size 40
		.amdhsa_user_sgpr_count 6
		.amdhsa_user_sgpr_private_segment_buffer 1
		.amdhsa_user_sgpr_dispatch_ptr 0
		.amdhsa_user_sgpr_queue_ptr 0
		.amdhsa_user_sgpr_kernarg_segment_ptr 1
		.amdhsa_user_sgpr_dispatch_id 0
		.amdhsa_user_sgpr_flat_scratch_init 0
		.amdhsa_user_sgpr_private_segment_size 0
		.amdhsa_wavefront_size32 1
		.amdhsa_uses_dynamic_stack 0
		.amdhsa_system_sgpr_private_segment_wavefront_offset 0
		.amdhsa_system_sgpr_workgroup_id_x 1
		.amdhsa_system_sgpr_workgroup_id_y 0
		.amdhsa_system_sgpr_workgroup_id_z 0
		.amdhsa_system_sgpr_workgroup_info 0
		.amdhsa_system_vgpr_workitem_id 0
		.amdhsa_next_free_vgpr 1
		.amdhsa_next_free_sgpr 1
		.amdhsa_reserve_vcc 0
		.amdhsa_reserve_flat_scratch 0
		.amdhsa_float_round_mode_32 0
		.amdhsa_float_round_mode_16_64 0
		.amdhsa_float_denorm_mode_32 3
		.amdhsa_float_denorm_mode_16_64 3
		.amdhsa_dx10_clamp 1
		.amdhsa_ieee_mode 1
		.amdhsa_fp16_overflow 0
		.amdhsa_workgroup_processor_mode 1
		.amdhsa_memory_ordered 1
		.amdhsa_forward_progress 1
		.amdhsa_shared_vgpr_count 0
		.amdhsa_exception_fp_ieee_invalid_op 0
		.amdhsa_exception_fp_denorm_src 0
		.amdhsa_exception_fp_ieee_div_zero 0
		.amdhsa_exception_fp_ieee_overflow 0
		.amdhsa_exception_fp_ieee_underflow 0
		.amdhsa_exception_fp_ieee_inexact 0
		.amdhsa_exception_int_div_zero 0
	.end_amdhsa_kernel
	.section	.text._ZN7rocprim17ROCPRIM_400000_NS6detail17trampoline_kernelINS0_14default_configENS1_38merge_sort_block_merge_config_selectorIiNS0_10empty_typeEEEZZNS1_27merge_sort_block_merge_implIS3_N6thrust23THRUST_200600_302600_NS10device_ptrIiEEPS5_jNS1_19radix_merge_compareILb0ELb0EiNS0_19identity_decomposerEEEEE10hipError_tT0_T1_T2_jT3_P12ihipStream_tbPNSt15iterator_traitsISH_E10value_typeEPNSN_ISI_E10value_typeEPSJ_NS1_7vsmem_tEENKUlT_SH_SI_SJ_E_clIPiSB_SC_SC_EESG_SW_SH_SI_SJ_EUlSW_E_NS1_11comp_targetILNS1_3genE2ELNS1_11target_archE906ELNS1_3gpuE6ELNS1_3repE0EEENS1_48merge_mergepath_partition_config_static_selectorELNS0_4arch9wavefront6targetE0EEEvSI_,"axG",@progbits,_ZN7rocprim17ROCPRIM_400000_NS6detail17trampoline_kernelINS0_14default_configENS1_38merge_sort_block_merge_config_selectorIiNS0_10empty_typeEEEZZNS1_27merge_sort_block_merge_implIS3_N6thrust23THRUST_200600_302600_NS10device_ptrIiEEPS5_jNS1_19radix_merge_compareILb0ELb0EiNS0_19identity_decomposerEEEEE10hipError_tT0_T1_T2_jT3_P12ihipStream_tbPNSt15iterator_traitsISH_E10value_typeEPNSN_ISI_E10value_typeEPSJ_NS1_7vsmem_tEENKUlT_SH_SI_SJ_E_clIPiSB_SC_SC_EESG_SW_SH_SI_SJ_EUlSW_E_NS1_11comp_targetILNS1_3genE2ELNS1_11target_archE906ELNS1_3gpuE6ELNS1_3repE0EEENS1_48merge_mergepath_partition_config_static_selectorELNS0_4arch9wavefront6targetE0EEEvSI_,comdat
.Lfunc_end1117:
	.size	_ZN7rocprim17ROCPRIM_400000_NS6detail17trampoline_kernelINS0_14default_configENS1_38merge_sort_block_merge_config_selectorIiNS0_10empty_typeEEEZZNS1_27merge_sort_block_merge_implIS3_N6thrust23THRUST_200600_302600_NS10device_ptrIiEEPS5_jNS1_19radix_merge_compareILb0ELb0EiNS0_19identity_decomposerEEEEE10hipError_tT0_T1_T2_jT3_P12ihipStream_tbPNSt15iterator_traitsISH_E10value_typeEPNSN_ISI_E10value_typeEPSJ_NS1_7vsmem_tEENKUlT_SH_SI_SJ_E_clIPiSB_SC_SC_EESG_SW_SH_SI_SJ_EUlSW_E_NS1_11comp_targetILNS1_3genE2ELNS1_11target_archE906ELNS1_3gpuE6ELNS1_3repE0EEENS1_48merge_mergepath_partition_config_static_selectorELNS0_4arch9wavefront6targetE0EEEvSI_, .Lfunc_end1117-_ZN7rocprim17ROCPRIM_400000_NS6detail17trampoline_kernelINS0_14default_configENS1_38merge_sort_block_merge_config_selectorIiNS0_10empty_typeEEEZZNS1_27merge_sort_block_merge_implIS3_N6thrust23THRUST_200600_302600_NS10device_ptrIiEEPS5_jNS1_19radix_merge_compareILb0ELb0EiNS0_19identity_decomposerEEEEE10hipError_tT0_T1_T2_jT3_P12ihipStream_tbPNSt15iterator_traitsISH_E10value_typeEPNSN_ISI_E10value_typeEPSJ_NS1_7vsmem_tEENKUlT_SH_SI_SJ_E_clIPiSB_SC_SC_EESG_SW_SH_SI_SJ_EUlSW_E_NS1_11comp_targetILNS1_3genE2ELNS1_11target_archE906ELNS1_3gpuE6ELNS1_3repE0EEENS1_48merge_mergepath_partition_config_static_selectorELNS0_4arch9wavefront6targetE0EEEvSI_
                                        ; -- End function
	.set _ZN7rocprim17ROCPRIM_400000_NS6detail17trampoline_kernelINS0_14default_configENS1_38merge_sort_block_merge_config_selectorIiNS0_10empty_typeEEEZZNS1_27merge_sort_block_merge_implIS3_N6thrust23THRUST_200600_302600_NS10device_ptrIiEEPS5_jNS1_19radix_merge_compareILb0ELb0EiNS0_19identity_decomposerEEEEE10hipError_tT0_T1_T2_jT3_P12ihipStream_tbPNSt15iterator_traitsISH_E10value_typeEPNSN_ISI_E10value_typeEPSJ_NS1_7vsmem_tEENKUlT_SH_SI_SJ_E_clIPiSB_SC_SC_EESG_SW_SH_SI_SJ_EUlSW_E_NS1_11comp_targetILNS1_3genE2ELNS1_11target_archE906ELNS1_3gpuE6ELNS1_3repE0EEENS1_48merge_mergepath_partition_config_static_selectorELNS0_4arch9wavefront6targetE0EEEvSI_.num_vgpr, 0
	.set _ZN7rocprim17ROCPRIM_400000_NS6detail17trampoline_kernelINS0_14default_configENS1_38merge_sort_block_merge_config_selectorIiNS0_10empty_typeEEEZZNS1_27merge_sort_block_merge_implIS3_N6thrust23THRUST_200600_302600_NS10device_ptrIiEEPS5_jNS1_19radix_merge_compareILb0ELb0EiNS0_19identity_decomposerEEEEE10hipError_tT0_T1_T2_jT3_P12ihipStream_tbPNSt15iterator_traitsISH_E10value_typeEPNSN_ISI_E10value_typeEPSJ_NS1_7vsmem_tEENKUlT_SH_SI_SJ_E_clIPiSB_SC_SC_EESG_SW_SH_SI_SJ_EUlSW_E_NS1_11comp_targetILNS1_3genE2ELNS1_11target_archE906ELNS1_3gpuE6ELNS1_3repE0EEENS1_48merge_mergepath_partition_config_static_selectorELNS0_4arch9wavefront6targetE0EEEvSI_.num_agpr, 0
	.set _ZN7rocprim17ROCPRIM_400000_NS6detail17trampoline_kernelINS0_14default_configENS1_38merge_sort_block_merge_config_selectorIiNS0_10empty_typeEEEZZNS1_27merge_sort_block_merge_implIS3_N6thrust23THRUST_200600_302600_NS10device_ptrIiEEPS5_jNS1_19radix_merge_compareILb0ELb0EiNS0_19identity_decomposerEEEEE10hipError_tT0_T1_T2_jT3_P12ihipStream_tbPNSt15iterator_traitsISH_E10value_typeEPNSN_ISI_E10value_typeEPSJ_NS1_7vsmem_tEENKUlT_SH_SI_SJ_E_clIPiSB_SC_SC_EESG_SW_SH_SI_SJ_EUlSW_E_NS1_11comp_targetILNS1_3genE2ELNS1_11target_archE906ELNS1_3gpuE6ELNS1_3repE0EEENS1_48merge_mergepath_partition_config_static_selectorELNS0_4arch9wavefront6targetE0EEEvSI_.numbered_sgpr, 0
	.set _ZN7rocprim17ROCPRIM_400000_NS6detail17trampoline_kernelINS0_14default_configENS1_38merge_sort_block_merge_config_selectorIiNS0_10empty_typeEEEZZNS1_27merge_sort_block_merge_implIS3_N6thrust23THRUST_200600_302600_NS10device_ptrIiEEPS5_jNS1_19radix_merge_compareILb0ELb0EiNS0_19identity_decomposerEEEEE10hipError_tT0_T1_T2_jT3_P12ihipStream_tbPNSt15iterator_traitsISH_E10value_typeEPNSN_ISI_E10value_typeEPSJ_NS1_7vsmem_tEENKUlT_SH_SI_SJ_E_clIPiSB_SC_SC_EESG_SW_SH_SI_SJ_EUlSW_E_NS1_11comp_targetILNS1_3genE2ELNS1_11target_archE906ELNS1_3gpuE6ELNS1_3repE0EEENS1_48merge_mergepath_partition_config_static_selectorELNS0_4arch9wavefront6targetE0EEEvSI_.num_named_barrier, 0
	.set _ZN7rocprim17ROCPRIM_400000_NS6detail17trampoline_kernelINS0_14default_configENS1_38merge_sort_block_merge_config_selectorIiNS0_10empty_typeEEEZZNS1_27merge_sort_block_merge_implIS3_N6thrust23THRUST_200600_302600_NS10device_ptrIiEEPS5_jNS1_19radix_merge_compareILb0ELb0EiNS0_19identity_decomposerEEEEE10hipError_tT0_T1_T2_jT3_P12ihipStream_tbPNSt15iterator_traitsISH_E10value_typeEPNSN_ISI_E10value_typeEPSJ_NS1_7vsmem_tEENKUlT_SH_SI_SJ_E_clIPiSB_SC_SC_EESG_SW_SH_SI_SJ_EUlSW_E_NS1_11comp_targetILNS1_3genE2ELNS1_11target_archE906ELNS1_3gpuE6ELNS1_3repE0EEENS1_48merge_mergepath_partition_config_static_selectorELNS0_4arch9wavefront6targetE0EEEvSI_.private_seg_size, 0
	.set _ZN7rocprim17ROCPRIM_400000_NS6detail17trampoline_kernelINS0_14default_configENS1_38merge_sort_block_merge_config_selectorIiNS0_10empty_typeEEEZZNS1_27merge_sort_block_merge_implIS3_N6thrust23THRUST_200600_302600_NS10device_ptrIiEEPS5_jNS1_19radix_merge_compareILb0ELb0EiNS0_19identity_decomposerEEEEE10hipError_tT0_T1_T2_jT3_P12ihipStream_tbPNSt15iterator_traitsISH_E10value_typeEPNSN_ISI_E10value_typeEPSJ_NS1_7vsmem_tEENKUlT_SH_SI_SJ_E_clIPiSB_SC_SC_EESG_SW_SH_SI_SJ_EUlSW_E_NS1_11comp_targetILNS1_3genE2ELNS1_11target_archE906ELNS1_3gpuE6ELNS1_3repE0EEENS1_48merge_mergepath_partition_config_static_selectorELNS0_4arch9wavefront6targetE0EEEvSI_.uses_vcc, 0
	.set _ZN7rocprim17ROCPRIM_400000_NS6detail17trampoline_kernelINS0_14default_configENS1_38merge_sort_block_merge_config_selectorIiNS0_10empty_typeEEEZZNS1_27merge_sort_block_merge_implIS3_N6thrust23THRUST_200600_302600_NS10device_ptrIiEEPS5_jNS1_19radix_merge_compareILb0ELb0EiNS0_19identity_decomposerEEEEE10hipError_tT0_T1_T2_jT3_P12ihipStream_tbPNSt15iterator_traitsISH_E10value_typeEPNSN_ISI_E10value_typeEPSJ_NS1_7vsmem_tEENKUlT_SH_SI_SJ_E_clIPiSB_SC_SC_EESG_SW_SH_SI_SJ_EUlSW_E_NS1_11comp_targetILNS1_3genE2ELNS1_11target_archE906ELNS1_3gpuE6ELNS1_3repE0EEENS1_48merge_mergepath_partition_config_static_selectorELNS0_4arch9wavefront6targetE0EEEvSI_.uses_flat_scratch, 0
	.set _ZN7rocprim17ROCPRIM_400000_NS6detail17trampoline_kernelINS0_14default_configENS1_38merge_sort_block_merge_config_selectorIiNS0_10empty_typeEEEZZNS1_27merge_sort_block_merge_implIS3_N6thrust23THRUST_200600_302600_NS10device_ptrIiEEPS5_jNS1_19radix_merge_compareILb0ELb0EiNS0_19identity_decomposerEEEEE10hipError_tT0_T1_T2_jT3_P12ihipStream_tbPNSt15iterator_traitsISH_E10value_typeEPNSN_ISI_E10value_typeEPSJ_NS1_7vsmem_tEENKUlT_SH_SI_SJ_E_clIPiSB_SC_SC_EESG_SW_SH_SI_SJ_EUlSW_E_NS1_11comp_targetILNS1_3genE2ELNS1_11target_archE906ELNS1_3gpuE6ELNS1_3repE0EEENS1_48merge_mergepath_partition_config_static_selectorELNS0_4arch9wavefront6targetE0EEEvSI_.has_dyn_sized_stack, 0
	.set _ZN7rocprim17ROCPRIM_400000_NS6detail17trampoline_kernelINS0_14default_configENS1_38merge_sort_block_merge_config_selectorIiNS0_10empty_typeEEEZZNS1_27merge_sort_block_merge_implIS3_N6thrust23THRUST_200600_302600_NS10device_ptrIiEEPS5_jNS1_19radix_merge_compareILb0ELb0EiNS0_19identity_decomposerEEEEE10hipError_tT0_T1_T2_jT3_P12ihipStream_tbPNSt15iterator_traitsISH_E10value_typeEPNSN_ISI_E10value_typeEPSJ_NS1_7vsmem_tEENKUlT_SH_SI_SJ_E_clIPiSB_SC_SC_EESG_SW_SH_SI_SJ_EUlSW_E_NS1_11comp_targetILNS1_3genE2ELNS1_11target_archE906ELNS1_3gpuE6ELNS1_3repE0EEENS1_48merge_mergepath_partition_config_static_selectorELNS0_4arch9wavefront6targetE0EEEvSI_.has_recursion, 0
	.set _ZN7rocprim17ROCPRIM_400000_NS6detail17trampoline_kernelINS0_14default_configENS1_38merge_sort_block_merge_config_selectorIiNS0_10empty_typeEEEZZNS1_27merge_sort_block_merge_implIS3_N6thrust23THRUST_200600_302600_NS10device_ptrIiEEPS5_jNS1_19radix_merge_compareILb0ELb0EiNS0_19identity_decomposerEEEEE10hipError_tT0_T1_T2_jT3_P12ihipStream_tbPNSt15iterator_traitsISH_E10value_typeEPNSN_ISI_E10value_typeEPSJ_NS1_7vsmem_tEENKUlT_SH_SI_SJ_E_clIPiSB_SC_SC_EESG_SW_SH_SI_SJ_EUlSW_E_NS1_11comp_targetILNS1_3genE2ELNS1_11target_archE906ELNS1_3gpuE6ELNS1_3repE0EEENS1_48merge_mergepath_partition_config_static_selectorELNS0_4arch9wavefront6targetE0EEEvSI_.has_indirect_call, 0
	.section	.AMDGPU.csdata,"",@progbits
; Kernel info:
; codeLenInByte = 0
; TotalNumSgprs: 0
; NumVgprs: 0
; ScratchSize: 0
; MemoryBound: 0
; FloatMode: 240
; IeeeMode: 1
; LDSByteSize: 0 bytes/workgroup (compile time only)
; SGPRBlocks: 0
; VGPRBlocks: 0
; NumSGPRsForWavesPerEU: 1
; NumVGPRsForWavesPerEU: 1
; Occupancy: 16
; WaveLimiterHint : 0
; COMPUTE_PGM_RSRC2:SCRATCH_EN: 0
; COMPUTE_PGM_RSRC2:USER_SGPR: 6
; COMPUTE_PGM_RSRC2:TRAP_HANDLER: 0
; COMPUTE_PGM_RSRC2:TGID_X_EN: 1
; COMPUTE_PGM_RSRC2:TGID_Y_EN: 0
; COMPUTE_PGM_RSRC2:TGID_Z_EN: 0
; COMPUTE_PGM_RSRC2:TIDIG_COMP_CNT: 0
	.section	.text._ZN7rocprim17ROCPRIM_400000_NS6detail17trampoline_kernelINS0_14default_configENS1_38merge_sort_block_merge_config_selectorIiNS0_10empty_typeEEEZZNS1_27merge_sort_block_merge_implIS3_N6thrust23THRUST_200600_302600_NS10device_ptrIiEEPS5_jNS1_19radix_merge_compareILb0ELb0EiNS0_19identity_decomposerEEEEE10hipError_tT0_T1_T2_jT3_P12ihipStream_tbPNSt15iterator_traitsISH_E10value_typeEPNSN_ISI_E10value_typeEPSJ_NS1_7vsmem_tEENKUlT_SH_SI_SJ_E_clIPiSB_SC_SC_EESG_SW_SH_SI_SJ_EUlSW_E_NS1_11comp_targetILNS1_3genE9ELNS1_11target_archE1100ELNS1_3gpuE3ELNS1_3repE0EEENS1_48merge_mergepath_partition_config_static_selectorELNS0_4arch9wavefront6targetE0EEEvSI_,"axG",@progbits,_ZN7rocprim17ROCPRIM_400000_NS6detail17trampoline_kernelINS0_14default_configENS1_38merge_sort_block_merge_config_selectorIiNS0_10empty_typeEEEZZNS1_27merge_sort_block_merge_implIS3_N6thrust23THRUST_200600_302600_NS10device_ptrIiEEPS5_jNS1_19radix_merge_compareILb0ELb0EiNS0_19identity_decomposerEEEEE10hipError_tT0_T1_T2_jT3_P12ihipStream_tbPNSt15iterator_traitsISH_E10value_typeEPNSN_ISI_E10value_typeEPSJ_NS1_7vsmem_tEENKUlT_SH_SI_SJ_E_clIPiSB_SC_SC_EESG_SW_SH_SI_SJ_EUlSW_E_NS1_11comp_targetILNS1_3genE9ELNS1_11target_archE1100ELNS1_3gpuE3ELNS1_3repE0EEENS1_48merge_mergepath_partition_config_static_selectorELNS0_4arch9wavefront6targetE0EEEvSI_,comdat
	.protected	_ZN7rocprim17ROCPRIM_400000_NS6detail17trampoline_kernelINS0_14default_configENS1_38merge_sort_block_merge_config_selectorIiNS0_10empty_typeEEEZZNS1_27merge_sort_block_merge_implIS3_N6thrust23THRUST_200600_302600_NS10device_ptrIiEEPS5_jNS1_19radix_merge_compareILb0ELb0EiNS0_19identity_decomposerEEEEE10hipError_tT0_T1_T2_jT3_P12ihipStream_tbPNSt15iterator_traitsISH_E10value_typeEPNSN_ISI_E10value_typeEPSJ_NS1_7vsmem_tEENKUlT_SH_SI_SJ_E_clIPiSB_SC_SC_EESG_SW_SH_SI_SJ_EUlSW_E_NS1_11comp_targetILNS1_3genE9ELNS1_11target_archE1100ELNS1_3gpuE3ELNS1_3repE0EEENS1_48merge_mergepath_partition_config_static_selectorELNS0_4arch9wavefront6targetE0EEEvSI_ ; -- Begin function _ZN7rocprim17ROCPRIM_400000_NS6detail17trampoline_kernelINS0_14default_configENS1_38merge_sort_block_merge_config_selectorIiNS0_10empty_typeEEEZZNS1_27merge_sort_block_merge_implIS3_N6thrust23THRUST_200600_302600_NS10device_ptrIiEEPS5_jNS1_19radix_merge_compareILb0ELb0EiNS0_19identity_decomposerEEEEE10hipError_tT0_T1_T2_jT3_P12ihipStream_tbPNSt15iterator_traitsISH_E10value_typeEPNSN_ISI_E10value_typeEPSJ_NS1_7vsmem_tEENKUlT_SH_SI_SJ_E_clIPiSB_SC_SC_EESG_SW_SH_SI_SJ_EUlSW_E_NS1_11comp_targetILNS1_3genE9ELNS1_11target_archE1100ELNS1_3gpuE3ELNS1_3repE0EEENS1_48merge_mergepath_partition_config_static_selectorELNS0_4arch9wavefront6targetE0EEEvSI_
	.globl	_ZN7rocprim17ROCPRIM_400000_NS6detail17trampoline_kernelINS0_14default_configENS1_38merge_sort_block_merge_config_selectorIiNS0_10empty_typeEEEZZNS1_27merge_sort_block_merge_implIS3_N6thrust23THRUST_200600_302600_NS10device_ptrIiEEPS5_jNS1_19radix_merge_compareILb0ELb0EiNS0_19identity_decomposerEEEEE10hipError_tT0_T1_T2_jT3_P12ihipStream_tbPNSt15iterator_traitsISH_E10value_typeEPNSN_ISI_E10value_typeEPSJ_NS1_7vsmem_tEENKUlT_SH_SI_SJ_E_clIPiSB_SC_SC_EESG_SW_SH_SI_SJ_EUlSW_E_NS1_11comp_targetILNS1_3genE9ELNS1_11target_archE1100ELNS1_3gpuE3ELNS1_3repE0EEENS1_48merge_mergepath_partition_config_static_selectorELNS0_4arch9wavefront6targetE0EEEvSI_
	.p2align	8
	.type	_ZN7rocprim17ROCPRIM_400000_NS6detail17trampoline_kernelINS0_14default_configENS1_38merge_sort_block_merge_config_selectorIiNS0_10empty_typeEEEZZNS1_27merge_sort_block_merge_implIS3_N6thrust23THRUST_200600_302600_NS10device_ptrIiEEPS5_jNS1_19radix_merge_compareILb0ELb0EiNS0_19identity_decomposerEEEEE10hipError_tT0_T1_T2_jT3_P12ihipStream_tbPNSt15iterator_traitsISH_E10value_typeEPNSN_ISI_E10value_typeEPSJ_NS1_7vsmem_tEENKUlT_SH_SI_SJ_E_clIPiSB_SC_SC_EESG_SW_SH_SI_SJ_EUlSW_E_NS1_11comp_targetILNS1_3genE9ELNS1_11target_archE1100ELNS1_3gpuE3ELNS1_3repE0EEENS1_48merge_mergepath_partition_config_static_selectorELNS0_4arch9wavefront6targetE0EEEvSI_,@function
_ZN7rocprim17ROCPRIM_400000_NS6detail17trampoline_kernelINS0_14default_configENS1_38merge_sort_block_merge_config_selectorIiNS0_10empty_typeEEEZZNS1_27merge_sort_block_merge_implIS3_N6thrust23THRUST_200600_302600_NS10device_ptrIiEEPS5_jNS1_19radix_merge_compareILb0ELb0EiNS0_19identity_decomposerEEEEE10hipError_tT0_T1_T2_jT3_P12ihipStream_tbPNSt15iterator_traitsISH_E10value_typeEPNSN_ISI_E10value_typeEPSJ_NS1_7vsmem_tEENKUlT_SH_SI_SJ_E_clIPiSB_SC_SC_EESG_SW_SH_SI_SJ_EUlSW_E_NS1_11comp_targetILNS1_3genE9ELNS1_11target_archE1100ELNS1_3gpuE3ELNS1_3repE0EEENS1_48merge_mergepath_partition_config_static_selectorELNS0_4arch9wavefront6targetE0EEEvSI_: ; @_ZN7rocprim17ROCPRIM_400000_NS6detail17trampoline_kernelINS0_14default_configENS1_38merge_sort_block_merge_config_selectorIiNS0_10empty_typeEEEZZNS1_27merge_sort_block_merge_implIS3_N6thrust23THRUST_200600_302600_NS10device_ptrIiEEPS5_jNS1_19radix_merge_compareILb0ELb0EiNS0_19identity_decomposerEEEEE10hipError_tT0_T1_T2_jT3_P12ihipStream_tbPNSt15iterator_traitsISH_E10value_typeEPNSN_ISI_E10value_typeEPSJ_NS1_7vsmem_tEENKUlT_SH_SI_SJ_E_clIPiSB_SC_SC_EESG_SW_SH_SI_SJ_EUlSW_E_NS1_11comp_targetILNS1_3genE9ELNS1_11target_archE1100ELNS1_3gpuE3ELNS1_3repE0EEENS1_48merge_mergepath_partition_config_static_selectorELNS0_4arch9wavefront6targetE0EEEvSI_
; %bb.0:
	.section	.rodata,"a",@progbits
	.p2align	6, 0x0
	.amdhsa_kernel _ZN7rocprim17ROCPRIM_400000_NS6detail17trampoline_kernelINS0_14default_configENS1_38merge_sort_block_merge_config_selectorIiNS0_10empty_typeEEEZZNS1_27merge_sort_block_merge_implIS3_N6thrust23THRUST_200600_302600_NS10device_ptrIiEEPS5_jNS1_19radix_merge_compareILb0ELb0EiNS0_19identity_decomposerEEEEE10hipError_tT0_T1_T2_jT3_P12ihipStream_tbPNSt15iterator_traitsISH_E10value_typeEPNSN_ISI_E10value_typeEPSJ_NS1_7vsmem_tEENKUlT_SH_SI_SJ_E_clIPiSB_SC_SC_EESG_SW_SH_SI_SJ_EUlSW_E_NS1_11comp_targetILNS1_3genE9ELNS1_11target_archE1100ELNS1_3gpuE3ELNS1_3repE0EEENS1_48merge_mergepath_partition_config_static_selectorELNS0_4arch9wavefront6targetE0EEEvSI_
		.amdhsa_group_segment_fixed_size 0
		.amdhsa_private_segment_fixed_size 0
		.amdhsa_kernarg_size 40
		.amdhsa_user_sgpr_count 6
		.amdhsa_user_sgpr_private_segment_buffer 1
		.amdhsa_user_sgpr_dispatch_ptr 0
		.amdhsa_user_sgpr_queue_ptr 0
		.amdhsa_user_sgpr_kernarg_segment_ptr 1
		.amdhsa_user_sgpr_dispatch_id 0
		.amdhsa_user_sgpr_flat_scratch_init 0
		.amdhsa_user_sgpr_private_segment_size 0
		.amdhsa_wavefront_size32 1
		.amdhsa_uses_dynamic_stack 0
		.amdhsa_system_sgpr_private_segment_wavefront_offset 0
		.amdhsa_system_sgpr_workgroup_id_x 1
		.amdhsa_system_sgpr_workgroup_id_y 0
		.amdhsa_system_sgpr_workgroup_id_z 0
		.amdhsa_system_sgpr_workgroup_info 0
		.amdhsa_system_vgpr_workitem_id 0
		.amdhsa_next_free_vgpr 1
		.amdhsa_next_free_sgpr 1
		.amdhsa_reserve_vcc 0
		.amdhsa_reserve_flat_scratch 0
		.amdhsa_float_round_mode_32 0
		.amdhsa_float_round_mode_16_64 0
		.amdhsa_float_denorm_mode_32 3
		.amdhsa_float_denorm_mode_16_64 3
		.amdhsa_dx10_clamp 1
		.amdhsa_ieee_mode 1
		.amdhsa_fp16_overflow 0
		.amdhsa_workgroup_processor_mode 1
		.amdhsa_memory_ordered 1
		.amdhsa_forward_progress 1
		.amdhsa_shared_vgpr_count 0
		.amdhsa_exception_fp_ieee_invalid_op 0
		.amdhsa_exception_fp_denorm_src 0
		.amdhsa_exception_fp_ieee_div_zero 0
		.amdhsa_exception_fp_ieee_overflow 0
		.amdhsa_exception_fp_ieee_underflow 0
		.amdhsa_exception_fp_ieee_inexact 0
		.amdhsa_exception_int_div_zero 0
	.end_amdhsa_kernel
	.section	.text._ZN7rocprim17ROCPRIM_400000_NS6detail17trampoline_kernelINS0_14default_configENS1_38merge_sort_block_merge_config_selectorIiNS0_10empty_typeEEEZZNS1_27merge_sort_block_merge_implIS3_N6thrust23THRUST_200600_302600_NS10device_ptrIiEEPS5_jNS1_19radix_merge_compareILb0ELb0EiNS0_19identity_decomposerEEEEE10hipError_tT0_T1_T2_jT3_P12ihipStream_tbPNSt15iterator_traitsISH_E10value_typeEPNSN_ISI_E10value_typeEPSJ_NS1_7vsmem_tEENKUlT_SH_SI_SJ_E_clIPiSB_SC_SC_EESG_SW_SH_SI_SJ_EUlSW_E_NS1_11comp_targetILNS1_3genE9ELNS1_11target_archE1100ELNS1_3gpuE3ELNS1_3repE0EEENS1_48merge_mergepath_partition_config_static_selectorELNS0_4arch9wavefront6targetE0EEEvSI_,"axG",@progbits,_ZN7rocprim17ROCPRIM_400000_NS6detail17trampoline_kernelINS0_14default_configENS1_38merge_sort_block_merge_config_selectorIiNS0_10empty_typeEEEZZNS1_27merge_sort_block_merge_implIS3_N6thrust23THRUST_200600_302600_NS10device_ptrIiEEPS5_jNS1_19radix_merge_compareILb0ELb0EiNS0_19identity_decomposerEEEEE10hipError_tT0_T1_T2_jT3_P12ihipStream_tbPNSt15iterator_traitsISH_E10value_typeEPNSN_ISI_E10value_typeEPSJ_NS1_7vsmem_tEENKUlT_SH_SI_SJ_E_clIPiSB_SC_SC_EESG_SW_SH_SI_SJ_EUlSW_E_NS1_11comp_targetILNS1_3genE9ELNS1_11target_archE1100ELNS1_3gpuE3ELNS1_3repE0EEENS1_48merge_mergepath_partition_config_static_selectorELNS0_4arch9wavefront6targetE0EEEvSI_,comdat
.Lfunc_end1118:
	.size	_ZN7rocprim17ROCPRIM_400000_NS6detail17trampoline_kernelINS0_14default_configENS1_38merge_sort_block_merge_config_selectorIiNS0_10empty_typeEEEZZNS1_27merge_sort_block_merge_implIS3_N6thrust23THRUST_200600_302600_NS10device_ptrIiEEPS5_jNS1_19radix_merge_compareILb0ELb0EiNS0_19identity_decomposerEEEEE10hipError_tT0_T1_T2_jT3_P12ihipStream_tbPNSt15iterator_traitsISH_E10value_typeEPNSN_ISI_E10value_typeEPSJ_NS1_7vsmem_tEENKUlT_SH_SI_SJ_E_clIPiSB_SC_SC_EESG_SW_SH_SI_SJ_EUlSW_E_NS1_11comp_targetILNS1_3genE9ELNS1_11target_archE1100ELNS1_3gpuE3ELNS1_3repE0EEENS1_48merge_mergepath_partition_config_static_selectorELNS0_4arch9wavefront6targetE0EEEvSI_, .Lfunc_end1118-_ZN7rocprim17ROCPRIM_400000_NS6detail17trampoline_kernelINS0_14default_configENS1_38merge_sort_block_merge_config_selectorIiNS0_10empty_typeEEEZZNS1_27merge_sort_block_merge_implIS3_N6thrust23THRUST_200600_302600_NS10device_ptrIiEEPS5_jNS1_19radix_merge_compareILb0ELb0EiNS0_19identity_decomposerEEEEE10hipError_tT0_T1_T2_jT3_P12ihipStream_tbPNSt15iterator_traitsISH_E10value_typeEPNSN_ISI_E10value_typeEPSJ_NS1_7vsmem_tEENKUlT_SH_SI_SJ_E_clIPiSB_SC_SC_EESG_SW_SH_SI_SJ_EUlSW_E_NS1_11comp_targetILNS1_3genE9ELNS1_11target_archE1100ELNS1_3gpuE3ELNS1_3repE0EEENS1_48merge_mergepath_partition_config_static_selectorELNS0_4arch9wavefront6targetE0EEEvSI_
                                        ; -- End function
	.set _ZN7rocprim17ROCPRIM_400000_NS6detail17trampoline_kernelINS0_14default_configENS1_38merge_sort_block_merge_config_selectorIiNS0_10empty_typeEEEZZNS1_27merge_sort_block_merge_implIS3_N6thrust23THRUST_200600_302600_NS10device_ptrIiEEPS5_jNS1_19radix_merge_compareILb0ELb0EiNS0_19identity_decomposerEEEEE10hipError_tT0_T1_T2_jT3_P12ihipStream_tbPNSt15iterator_traitsISH_E10value_typeEPNSN_ISI_E10value_typeEPSJ_NS1_7vsmem_tEENKUlT_SH_SI_SJ_E_clIPiSB_SC_SC_EESG_SW_SH_SI_SJ_EUlSW_E_NS1_11comp_targetILNS1_3genE9ELNS1_11target_archE1100ELNS1_3gpuE3ELNS1_3repE0EEENS1_48merge_mergepath_partition_config_static_selectorELNS0_4arch9wavefront6targetE0EEEvSI_.num_vgpr, 0
	.set _ZN7rocprim17ROCPRIM_400000_NS6detail17trampoline_kernelINS0_14default_configENS1_38merge_sort_block_merge_config_selectorIiNS0_10empty_typeEEEZZNS1_27merge_sort_block_merge_implIS3_N6thrust23THRUST_200600_302600_NS10device_ptrIiEEPS5_jNS1_19radix_merge_compareILb0ELb0EiNS0_19identity_decomposerEEEEE10hipError_tT0_T1_T2_jT3_P12ihipStream_tbPNSt15iterator_traitsISH_E10value_typeEPNSN_ISI_E10value_typeEPSJ_NS1_7vsmem_tEENKUlT_SH_SI_SJ_E_clIPiSB_SC_SC_EESG_SW_SH_SI_SJ_EUlSW_E_NS1_11comp_targetILNS1_3genE9ELNS1_11target_archE1100ELNS1_3gpuE3ELNS1_3repE0EEENS1_48merge_mergepath_partition_config_static_selectorELNS0_4arch9wavefront6targetE0EEEvSI_.num_agpr, 0
	.set _ZN7rocprim17ROCPRIM_400000_NS6detail17trampoline_kernelINS0_14default_configENS1_38merge_sort_block_merge_config_selectorIiNS0_10empty_typeEEEZZNS1_27merge_sort_block_merge_implIS3_N6thrust23THRUST_200600_302600_NS10device_ptrIiEEPS5_jNS1_19radix_merge_compareILb0ELb0EiNS0_19identity_decomposerEEEEE10hipError_tT0_T1_T2_jT3_P12ihipStream_tbPNSt15iterator_traitsISH_E10value_typeEPNSN_ISI_E10value_typeEPSJ_NS1_7vsmem_tEENKUlT_SH_SI_SJ_E_clIPiSB_SC_SC_EESG_SW_SH_SI_SJ_EUlSW_E_NS1_11comp_targetILNS1_3genE9ELNS1_11target_archE1100ELNS1_3gpuE3ELNS1_3repE0EEENS1_48merge_mergepath_partition_config_static_selectorELNS0_4arch9wavefront6targetE0EEEvSI_.numbered_sgpr, 0
	.set _ZN7rocprim17ROCPRIM_400000_NS6detail17trampoline_kernelINS0_14default_configENS1_38merge_sort_block_merge_config_selectorIiNS0_10empty_typeEEEZZNS1_27merge_sort_block_merge_implIS3_N6thrust23THRUST_200600_302600_NS10device_ptrIiEEPS5_jNS1_19radix_merge_compareILb0ELb0EiNS0_19identity_decomposerEEEEE10hipError_tT0_T1_T2_jT3_P12ihipStream_tbPNSt15iterator_traitsISH_E10value_typeEPNSN_ISI_E10value_typeEPSJ_NS1_7vsmem_tEENKUlT_SH_SI_SJ_E_clIPiSB_SC_SC_EESG_SW_SH_SI_SJ_EUlSW_E_NS1_11comp_targetILNS1_3genE9ELNS1_11target_archE1100ELNS1_3gpuE3ELNS1_3repE0EEENS1_48merge_mergepath_partition_config_static_selectorELNS0_4arch9wavefront6targetE0EEEvSI_.num_named_barrier, 0
	.set _ZN7rocprim17ROCPRIM_400000_NS6detail17trampoline_kernelINS0_14default_configENS1_38merge_sort_block_merge_config_selectorIiNS0_10empty_typeEEEZZNS1_27merge_sort_block_merge_implIS3_N6thrust23THRUST_200600_302600_NS10device_ptrIiEEPS5_jNS1_19radix_merge_compareILb0ELb0EiNS0_19identity_decomposerEEEEE10hipError_tT0_T1_T2_jT3_P12ihipStream_tbPNSt15iterator_traitsISH_E10value_typeEPNSN_ISI_E10value_typeEPSJ_NS1_7vsmem_tEENKUlT_SH_SI_SJ_E_clIPiSB_SC_SC_EESG_SW_SH_SI_SJ_EUlSW_E_NS1_11comp_targetILNS1_3genE9ELNS1_11target_archE1100ELNS1_3gpuE3ELNS1_3repE0EEENS1_48merge_mergepath_partition_config_static_selectorELNS0_4arch9wavefront6targetE0EEEvSI_.private_seg_size, 0
	.set _ZN7rocprim17ROCPRIM_400000_NS6detail17trampoline_kernelINS0_14default_configENS1_38merge_sort_block_merge_config_selectorIiNS0_10empty_typeEEEZZNS1_27merge_sort_block_merge_implIS3_N6thrust23THRUST_200600_302600_NS10device_ptrIiEEPS5_jNS1_19radix_merge_compareILb0ELb0EiNS0_19identity_decomposerEEEEE10hipError_tT0_T1_T2_jT3_P12ihipStream_tbPNSt15iterator_traitsISH_E10value_typeEPNSN_ISI_E10value_typeEPSJ_NS1_7vsmem_tEENKUlT_SH_SI_SJ_E_clIPiSB_SC_SC_EESG_SW_SH_SI_SJ_EUlSW_E_NS1_11comp_targetILNS1_3genE9ELNS1_11target_archE1100ELNS1_3gpuE3ELNS1_3repE0EEENS1_48merge_mergepath_partition_config_static_selectorELNS0_4arch9wavefront6targetE0EEEvSI_.uses_vcc, 0
	.set _ZN7rocprim17ROCPRIM_400000_NS6detail17trampoline_kernelINS0_14default_configENS1_38merge_sort_block_merge_config_selectorIiNS0_10empty_typeEEEZZNS1_27merge_sort_block_merge_implIS3_N6thrust23THRUST_200600_302600_NS10device_ptrIiEEPS5_jNS1_19radix_merge_compareILb0ELb0EiNS0_19identity_decomposerEEEEE10hipError_tT0_T1_T2_jT3_P12ihipStream_tbPNSt15iterator_traitsISH_E10value_typeEPNSN_ISI_E10value_typeEPSJ_NS1_7vsmem_tEENKUlT_SH_SI_SJ_E_clIPiSB_SC_SC_EESG_SW_SH_SI_SJ_EUlSW_E_NS1_11comp_targetILNS1_3genE9ELNS1_11target_archE1100ELNS1_3gpuE3ELNS1_3repE0EEENS1_48merge_mergepath_partition_config_static_selectorELNS0_4arch9wavefront6targetE0EEEvSI_.uses_flat_scratch, 0
	.set _ZN7rocprim17ROCPRIM_400000_NS6detail17trampoline_kernelINS0_14default_configENS1_38merge_sort_block_merge_config_selectorIiNS0_10empty_typeEEEZZNS1_27merge_sort_block_merge_implIS3_N6thrust23THRUST_200600_302600_NS10device_ptrIiEEPS5_jNS1_19radix_merge_compareILb0ELb0EiNS0_19identity_decomposerEEEEE10hipError_tT0_T1_T2_jT3_P12ihipStream_tbPNSt15iterator_traitsISH_E10value_typeEPNSN_ISI_E10value_typeEPSJ_NS1_7vsmem_tEENKUlT_SH_SI_SJ_E_clIPiSB_SC_SC_EESG_SW_SH_SI_SJ_EUlSW_E_NS1_11comp_targetILNS1_3genE9ELNS1_11target_archE1100ELNS1_3gpuE3ELNS1_3repE0EEENS1_48merge_mergepath_partition_config_static_selectorELNS0_4arch9wavefront6targetE0EEEvSI_.has_dyn_sized_stack, 0
	.set _ZN7rocprim17ROCPRIM_400000_NS6detail17trampoline_kernelINS0_14default_configENS1_38merge_sort_block_merge_config_selectorIiNS0_10empty_typeEEEZZNS1_27merge_sort_block_merge_implIS3_N6thrust23THRUST_200600_302600_NS10device_ptrIiEEPS5_jNS1_19radix_merge_compareILb0ELb0EiNS0_19identity_decomposerEEEEE10hipError_tT0_T1_T2_jT3_P12ihipStream_tbPNSt15iterator_traitsISH_E10value_typeEPNSN_ISI_E10value_typeEPSJ_NS1_7vsmem_tEENKUlT_SH_SI_SJ_E_clIPiSB_SC_SC_EESG_SW_SH_SI_SJ_EUlSW_E_NS1_11comp_targetILNS1_3genE9ELNS1_11target_archE1100ELNS1_3gpuE3ELNS1_3repE0EEENS1_48merge_mergepath_partition_config_static_selectorELNS0_4arch9wavefront6targetE0EEEvSI_.has_recursion, 0
	.set _ZN7rocprim17ROCPRIM_400000_NS6detail17trampoline_kernelINS0_14default_configENS1_38merge_sort_block_merge_config_selectorIiNS0_10empty_typeEEEZZNS1_27merge_sort_block_merge_implIS3_N6thrust23THRUST_200600_302600_NS10device_ptrIiEEPS5_jNS1_19radix_merge_compareILb0ELb0EiNS0_19identity_decomposerEEEEE10hipError_tT0_T1_T2_jT3_P12ihipStream_tbPNSt15iterator_traitsISH_E10value_typeEPNSN_ISI_E10value_typeEPSJ_NS1_7vsmem_tEENKUlT_SH_SI_SJ_E_clIPiSB_SC_SC_EESG_SW_SH_SI_SJ_EUlSW_E_NS1_11comp_targetILNS1_3genE9ELNS1_11target_archE1100ELNS1_3gpuE3ELNS1_3repE0EEENS1_48merge_mergepath_partition_config_static_selectorELNS0_4arch9wavefront6targetE0EEEvSI_.has_indirect_call, 0
	.section	.AMDGPU.csdata,"",@progbits
; Kernel info:
; codeLenInByte = 0
; TotalNumSgprs: 0
; NumVgprs: 0
; ScratchSize: 0
; MemoryBound: 0
; FloatMode: 240
; IeeeMode: 1
; LDSByteSize: 0 bytes/workgroup (compile time only)
; SGPRBlocks: 0
; VGPRBlocks: 0
; NumSGPRsForWavesPerEU: 1
; NumVGPRsForWavesPerEU: 1
; Occupancy: 16
; WaveLimiterHint : 0
; COMPUTE_PGM_RSRC2:SCRATCH_EN: 0
; COMPUTE_PGM_RSRC2:USER_SGPR: 6
; COMPUTE_PGM_RSRC2:TRAP_HANDLER: 0
; COMPUTE_PGM_RSRC2:TGID_X_EN: 1
; COMPUTE_PGM_RSRC2:TGID_Y_EN: 0
; COMPUTE_PGM_RSRC2:TGID_Z_EN: 0
; COMPUTE_PGM_RSRC2:TIDIG_COMP_CNT: 0
	.section	.text._ZN7rocprim17ROCPRIM_400000_NS6detail17trampoline_kernelINS0_14default_configENS1_38merge_sort_block_merge_config_selectorIiNS0_10empty_typeEEEZZNS1_27merge_sort_block_merge_implIS3_N6thrust23THRUST_200600_302600_NS10device_ptrIiEEPS5_jNS1_19radix_merge_compareILb0ELb0EiNS0_19identity_decomposerEEEEE10hipError_tT0_T1_T2_jT3_P12ihipStream_tbPNSt15iterator_traitsISH_E10value_typeEPNSN_ISI_E10value_typeEPSJ_NS1_7vsmem_tEENKUlT_SH_SI_SJ_E_clIPiSB_SC_SC_EESG_SW_SH_SI_SJ_EUlSW_E_NS1_11comp_targetILNS1_3genE8ELNS1_11target_archE1030ELNS1_3gpuE2ELNS1_3repE0EEENS1_48merge_mergepath_partition_config_static_selectorELNS0_4arch9wavefront6targetE0EEEvSI_,"axG",@progbits,_ZN7rocprim17ROCPRIM_400000_NS6detail17trampoline_kernelINS0_14default_configENS1_38merge_sort_block_merge_config_selectorIiNS0_10empty_typeEEEZZNS1_27merge_sort_block_merge_implIS3_N6thrust23THRUST_200600_302600_NS10device_ptrIiEEPS5_jNS1_19radix_merge_compareILb0ELb0EiNS0_19identity_decomposerEEEEE10hipError_tT0_T1_T2_jT3_P12ihipStream_tbPNSt15iterator_traitsISH_E10value_typeEPNSN_ISI_E10value_typeEPSJ_NS1_7vsmem_tEENKUlT_SH_SI_SJ_E_clIPiSB_SC_SC_EESG_SW_SH_SI_SJ_EUlSW_E_NS1_11comp_targetILNS1_3genE8ELNS1_11target_archE1030ELNS1_3gpuE2ELNS1_3repE0EEENS1_48merge_mergepath_partition_config_static_selectorELNS0_4arch9wavefront6targetE0EEEvSI_,comdat
	.protected	_ZN7rocprim17ROCPRIM_400000_NS6detail17trampoline_kernelINS0_14default_configENS1_38merge_sort_block_merge_config_selectorIiNS0_10empty_typeEEEZZNS1_27merge_sort_block_merge_implIS3_N6thrust23THRUST_200600_302600_NS10device_ptrIiEEPS5_jNS1_19radix_merge_compareILb0ELb0EiNS0_19identity_decomposerEEEEE10hipError_tT0_T1_T2_jT3_P12ihipStream_tbPNSt15iterator_traitsISH_E10value_typeEPNSN_ISI_E10value_typeEPSJ_NS1_7vsmem_tEENKUlT_SH_SI_SJ_E_clIPiSB_SC_SC_EESG_SW_SH_SI_SJ_EUlSW_E_NS1_11comp_targetILNS1_3genE8ELNS1_11target_archE1030ELNS1_3gpuE2ELNS1_3repE0EEENS1_48merge_mergepath_partition_config_static_selectorELNS0_4arch9wavefront6targetE0EEEvSI_ ; -- Begin function _ZN7rocprim17ROCPRIM_400000_NS6detail17trampoline_kernelINS0_14default_configENS1_38merge_sort_block_merge_config_selectorIiNS0_10empty_typeEEEZZNS1_27merge_sort_block_merge_implIS3_N6thrust23THRUST_200600_302600_NS10device_ptrIiEEPS5_jNS1_19radix_merge_compareILb0ELb0EiNS0_19identity_decomposerEEEEE10hipError_tT0_T1_T2_jT3_P12ihipStream_tbPNSt15iterator_traitsISH_E10value_typeEPNSN_ISI_E10value_typeEPSJ_NS1_7vsmem_tEENKUlT_SH_SI_SJ_E_clIPiSB_SC_SC_EESG_SW_SH_SI_SJ_EUlSW_E_NS1_11comp_targetILNS1_3genE8ELNS1_11target_archE1030ELNS1_3gpuE2ELNS1_3repE0EEENS1_48merge_mergepath_partition_config_static_selectorELNS0_4arch9wavefront6targetE0EEEvSI_
	.globl	_ZN7rocprim17ROCPRIM_400000_NS6detail17trampoline_kernelINS0_14default_configENS1_38merge_sort_block_merge_config_selectorIiNS0_10empty_typeEEEZZNS1_27merge_sort_block_merge_implIS3_N6thrust23THRUST_200600_302600_NS10device_ptrIiEEPS5_jNS1_19radix_merge_compareILb0ELb0EiNS0_19identity_decomposerEEEEE10hipError_tT0_T1_T2_jT3_P12ihipStream_tbPNSt15iterator_traitsISH_E10value_typeEPNSN_ISI_E10value_typeEPSJ_NS1_7vsmem_tEENKUlT_SH_SI_SJ_E_clIPiSB_SC_SC_EESG_SW_SH_SI_SJ_EUlSW_E_NS1_11comp_targetILNS1_3genE8ELNS1_11target_archE1030ELNS1_3gpuE2ELNS1_3repE0EEENS1_48merge_mergepath_partition_config_static_selectorELNS0_4arch9wavefront6targetE0EEEvSI_
	.p2align	8
	.type	_ZN7rocprim17ROCPRIM_400000_NS6detail17trampoline_kernelINS0_14default_configENS1_38merge_sort_block_merge_config_selectorIiNS0_10empty_typeEEEZZNS1_27merge_sort_block_merge_implIS3_N6thrust23THRUST_200600_302600_NS10device_ptrIiEEPS5_jNS1_19radix_merge_compareILb0ELb0EiNS0_19identity_decomposerEEEEE10hipError_tT0_T1_T2_jT3_P12ihipStream_tbPNSt15iterator_traitsISH_E10value_typeEPNSN_ISI_E10value_typeEPSJ_NS1_7vsmem_tEENKUlT_SH_SI_SJ_E_clIPiSB_SC_SC_EESG_SW_SH_SI_SJ_EUlSW_E_NS1_11comp_targetILNS1_3genE8ELNS1_11target_archE1030ELNS1_3gpuE2ELNS1_3repE0EEENS1_48merge_mergepath_partition_config_static_selectorELNS0_4arch9wavefront6targetE0EEEvSI_,@function
_ZN7rocprim17ROCPRIM_400000_NS6detail17trampoline_kernelINS0_14default_configENS1_38merge_sort_block_merge_config_selectorIiNS0_10empty_typeEEEZZNS1_27merge_sort_block_merge_implIS3_N6thrust23THRUST_200600_302600_NS10device_ptrIiEEPS5_jNS1_19radix_merge_compareILb0ELb0EiNS0_19identity_decomposerEEEEE10hipError_tT0_T1_T2_jT3_P12ihipStream_tbPNSt15iterator_traitsISH_E10value_typeEPNSN_ISI_E10value_typeEPSJ_NS1_7vsmem_tEENKUlT_SH_SI_SJ_E_clIPiSB_SC_SC_EESG_SW_SH_SI_SJ_EUlSW_E_NS1_11comp_targetILNS1_3genE8ELNS1_11target_archE1030ELNS1_3gpuE2ELNS1_3repE0EEENS1_48merge_mergepath_partition_config_static_selectorELNS0_4arch9wavefront6targetE0EEEvSI_: ; @_ZN7rocprim17ROCPRIM_400000_NS6detail17trampoline_kernelINS0_14default_configENS1_38merge_sort_block_merge_config_selectorIiNS0_10empty_typeEEEZZNS1_27merge_sort_block_merge_implIS3_N6thrust23THRUST_200600_302600_NS10device_ptrIiEEPS5_jNS1_19radix_merge_compareILb0ELb0EiNS0_19identity_decomposerEEEEE10hipError_tT0_T1_T2_jT3_P12ihipStream_tbPNSt15iterator_traitsISH_E10value_typeEPNSN_ISI_E10value_typeEPSJ_NS1_7vsmem_tEENKUlT_SH_SI_SJ_E_clIPiSB_SC_SC_EESG_SW_SH_SI_SJ_EUlSW_E_NS1_11comp_targetILNS1_3genE8ELNS1_11target_archE1030ELNS1_3gpuE2ELNS1_3repE0EEENS1_48merge_mergepath_partition_config_static_selectorELNS0_4arch9wavefront6targetE0EEEvSI_
; %bb.0:
	s_load_dword s0, s[4:5], 0x0
	v_lshl_or_b32 v0, s6, 7, v0
	s_waitcnt lgkmcnt(0)
	v_cmp_gt_u32_e32 vcc_lo, s0, v0
	s_and_saveexec_b32 s0, vcc_lo
	s_cbranch_execz .LBB1119_6
; %bb.1:
	s_load_dwordx2 s[0:1], s[4:5], 0x4
	s_waitcnt lgkmcnt(0)
	s_lshr_b32 s2, s0, 9
	s_and_b32 s2, s2, 0x7ffffe
	s_sub_i32 s3, 0, s2
	s_add_i32 s2, s2, -1
	v_and_b32_e32 v1, s3, v0
	v_and_b32_e32 v5, s2, v0
	s_mov_b32 s3, 0
	s_mov_b32 s2, exec_lo
	v_lshlrev_b32_e32 v1, 10, v1
	v_add_nc_u32_e32 v2, s0, v1
	v_min_u32_e32 v4, s1, v2
	v_min_u32_e32 v2, s1, v1
	v_add_nc_u32_e32 v3, s0, v4
	v_min_u32_e32 v1, s1, v3
	s_load_dwordx2 s[0:1], s[4:5], 0x20
	v_lshlrev_b32_e32 v3, 10, v5
	v_sub_nc_u32_e32 v5, v1, v2
	v_sub_nc_u32_e32 v6, v1, v4
	v_min_u32_e32 v1, v5, v3
	v_sub_nc_u32_e32 v3, v4, v2
	v_sub_nc_u32_e64 v6, v1, v6 clamp
	v_min_u32_e32 v7, v1, v3
	v_cmpx_lt_u32_e64 v6, v7
	s_cbranch_execz .LBB1119_5
; %bb.2:
	s_load_dwordx2 s[4:5], s[4:5], 0x10
	v_mov_b32_e32 v5, 0
	v_mov_b32_e32 v3, v5
	v_lshlrev_b64 v[10:11], 2, v[4:5]
	v_lshlrev_b64 v[8:9], 2, v[2:3]
	s_waitcnt lgkmcnt(0)
	v_add_co_u32 v3, vcc_lo, s4, v8
	v_add_co_ci_u32_e64 v8, null, s5, v9, vcc_lo
	v_add_co_u32 v9, vcc_lo, s4, v10
	v_add_co_ci_u32_e64 v10, null, s5, v11, vcc_lo
	.p2align	6
.LBB1119_3:                             ; =>This Inner Loop Header: Depth=1
	v_add_nc_u32_e32 v4, v7, v6
	v_mov_b32_e32 v12, v5
	v_lshrrev_b32_e32 v4, 1, v4
	v_xad_u32 v11, v4, -1, v1
	v_lshlrev_b64 v[13:14], 2, v[4:5]
	v_lshlrev_b64 v[11:12], 2, v[11:12]
	v_add_co_u32 v13, vcc_lo, v3, v13
	v_add_co_ci_u32_e64 v14, null, v8, v14, vcc_lo
	v_add_co_u32 v11, vcc_lo, v9, v11
	v_add_co_ci_u32_e64 v12, null, v10, v12, vcc_lo
	s_clause 0x1
	global_load_dword v13, v[13:14], off
	global_load_dword v11, v[11:12], off
	v_add_nc_u32_e32 v12, 1, v4
	s_waitcnt vmcnt(0)
	v_cmp_gt_i32_e32 vcc_lo, v13, v11
	v_cndmask_b32_e32 v7, v7, v4, vcc_lo
	v_cndmask_b32_e32 v6, v12, v6, vcc_lo
	v_cmp_ge_u32_e32 vcc_lo, v6, v7
	s_or_b32 s3, vcc_lo, s3
	s_andn2_b32 exec_lo, exec_lo, s3
	s_cbranch_execnz .LBB1119_3
; %bb.4:
	s_or_b32 exec_lo, exec_lo, s3
.LBB1119_5:
	s_or_b32 exec_lo, exec_lo, s2
	v_mov_b32_e32 v1, 0
	v_add_nc_u32_e32 v2, v6, v2
	v_lshlrev_b64 v[0:1], 2, v[0:1]
	s_waitcnt lgkmcnt(0)
	v_add_co_u32 v0, vcc_lo, s0, v0
	v_add_co_ci_u32_e64 v1, null, s1, v1, vcc_lo
	global_store_dword v[0:1], v2, off
.LBB1119_6:
	s_endpgm
	.section	.rodata,"a",@progbits
	.p2align	6, 0x0
	.amdhsa_kernel _ZN7rocprim17ROCPRIM_400000_NS6detail17trampoline_kernelINS0_14default_configENS1_38merge_sort_block_merge_config_selectorIiNS0_10empty_typeEEEZZNS1_27merge_sort_block_merge_implIS3_N6thrust23THRUST_200600_302600_NS10device_ptrIiEEPS5_jNS1_19radix_merge_compareILb0ELb0EiNS0_19identity_decomposerEEEEE10hipError_tT0_T1_T2_jT3_P12ihipStream_tbPNSt15iterator_traitsISH_E10value_typeEPNSN_ISI_E10value_typeEPSJ_NS1_7vsmem_tEENKUlT_SH_SI_SJ_E_clIPiSB_SC_SC_EESG_SW_SH_SI_SJ_EUlSW_E_NS1_11comp_targetILNS1_3genE8ELNS1_11target_archE1030ELNS1_3gpuE2ELNS1_3repE0EEENS1_48merge_mergepath_partition_config_static_selectorELNS0_4arch9wavefront6targetE0EEEvSI_
		.amdhsa_group_segment_fixed_size 0
		.amdhsa_private_segment_fixed_size 0
		.amdhsa_kernarg_size 40
		.amdhsa_user_sgpr_count 6
		.amdhsa_user_sgpr_private_segment_buffer 1
		.amdhsa_user_sgpr_dispatch_ptr 0
		.amdhsa_user_sgpr_queue_ptr 0
		.amdhsa_user_sgpr_kernarg_segment_ptr 1
		.amdhsa_user_sgpr_dispatch_id 0
		.amdhsa_user_sgpr_flat_scratch_init 0
		.amdhsa_user_sgpr_private_segment_size 0
		.amdhsa_wavefront_size32 1
		.amdhsa_uses_dynamic_stack 0
		.amdhsa_system_sgpr_private_segment_wavefront_offset 0
		.amdhsa_system_sgpr_workgroup_id_x 1
		.amdhsa_system_sgpr_workgroup_id_y 0
		.amdhsa_system_sgpr_workgroup_id_z 0
		.amdhsa_system_sgpr_workgroup_info 0
		.amdhsa_system_vgpr_workitem_id 0
		.amdhsa_next_free_vgpr 15
		.amdhsa_next_free_sgpr 7
		.amdhsa_reserve_vcc 1
		.amdhsa_reserve_flat_scratch 0
		.amdhsa_float_round_mode_32 0
		.amdhsa_float_round_mode_16_64 0
		.amdhsa_float_denorm_mode_32 3
		.amdhsa_float_denorm_mode_16_64 3
		.amdhsa_dx10_clamp 1
		.amdhsa_ieee_mode 1
		.amdhsa_fp16_overflow 0
		.amdhsa_workgroup_processor_mode 1
		.amdhsa_memory_ordered 1
		.amdhsa_forward_progress 1
		.amdhsa_shared_vgpr_count 0
		.amdhsa_exception_fp_ieee_invalid_op 0
		.amdhsa_exception_fp_denorm_src 0
		.amdhsa_exception_fp_ieee_div_zero 0
		.amdhsa_exception_fp_ieee_overflow 0
		.amdhsa_exception_fp_ieee_underflow 0
		.amdhsa_exception_fp_ieee_inexact 0
		.amdhsa_exception_int_div_zero 0
	.end_amdhsa_kernel
	.section	.text._ZN7rocprim17ROCPRIM_400000_NS6detail17trampoline_kernelINS0_14default_configENS1_38merge_sort_block_merge_config_selectorIiNS0_10empty_typeEEEZZNS1_27merge_sort_block_merge_implIS3_N6thrust23THRUST_200600_302600_NS10device_ptrIiEEPS5_jNS1_19radix_merge_compareILb0ELb0EiNS0_19identity_decomposerEEEEE10hipError_tT0_T1_T2_jT3_P12ihipStream_tbPNSt15iterator_traitsISH_E10value_typeEPNSN_ISI_E10value_typeEPSJ_NS1_7vsmem_tEENKUlT_SH_SI_SJ_E_clIPiSB_SC_SC_EESG_SW_SH_SI_SJ_EUlSW_E_NS1_11comp_targetILNS1_3genE8ELNS1_11target_archE1030ELNS1_3gpuE2ELNS1_3repE0EEENS1_48merge_mergepath_partition_config_static_selectorELNS0_4arch9wavefront6targetE0EEEvSI_,"axG",@progbits,_ZN7rocprim17ROCPRIM_400000_NS6detail17trampoline_kernelINS0_14default_configENS1_38merge_sort_block_merge_config_selectorIiNS0_10empty_typeEEEZZNS1_27merge_sort_block_merge_implIS3_N6thrust23THRUST_200600_302600_NS10device_ptrIiEEPS5_jNS1_19radix_merge_compareILb0ELb0EiNS0_19identity_decomposerEEEEE10hipError_tT0_T1_T2_jT3_P12ihipStream_tbPNSt15iterator_traitsISH_E10value_typeEPNSN_ISI_E10value_typeEPSJ_NS1_7vsmem_tEENKUlT_SH_SI_SJ_E_clIPiSB_SC_SC_EESG_SW_SH_SI_SJ_EUlSW_E_NS1_11comp_targetILNS1_3genE8ELNS1_11target_archE1030ELNS1_3gpuE2ELNS1_3repE0EEENS1_48merge_mergepath_partition_config_static_selectorELNS0_4arch9wavefront6targetE0EEEvSI_,comdat
.Lfunc_end1119:
	.size	_ZN7rocprim17ROCPRIM_400000_NS6detail17trampoline_kernelINS0_14default_configENS1_38merge_sort_block_merge_config_selectorIiNS0_10empty_typeEEEZZNS1_27merge_sort_block_merge_implIS3_N6thrust23THRUST_200600_302600_NS10device_ptrIiEEPS5_jNS1_19radix_merge_compareILb0ELb0EiNS0_19identity_decomposerEEEEE10hipError_tT0_T1_T2_jT3_P12ihipStream_tbPNSt15iterator_traitsISH_E10value_typeEPNSN_ISI_E10value_typeEPSJ_NS1_7vsmem_tEENKUlT_SH_SI_SJ_E_clIPiSB_SC_SC_EESG_SW_SH_SI_SJ_EUlSW_E_NS1_11comp_targetILNS1_3genE8ELNS1_11target_archE1030ELNS1_3gpuE2ELNS1_3repE0EEENS1_48merge_mergepath_partition_config_static_selectorELNS0_4arch9wavefront6targetE0EEEvSI_, .Lfunc_end1119-_ZN7rocprim17ROCPRIM_400000_NS6detail17trampoline_kernelINS0_14default_configENS1_38merge_sort_block_merge_config_selectorIiNS0_10empty_typeEEEZZNS1_27merge_sort_block_merge_implIS3_N6thrust23THRUST_200600_302600_NS10device_ptrIiEEPS5_jNS1_19radix_merge_compareILb0ELb0EiNS0_19identity_decomposerEEEEE10hipError_tT0_T1_T2_jT3_P12ihipStream_tbPNSt15iterator_traitsISH_E10value_typeEPNSN_ISI_E10value_typeEPSJ_NS1_7vsmem_tEENKUlT_SH_SI_SJ_E_clIPiSB_SC_SC_EESG_SW_SH_SI_SJ_EUlSW_E_NS1_11comp_targetILNS1_3genE8ELNS1_11target_archE1030ELNS1_3gpuE2ELNS1_3repE0EEENS1_48merge_mergepath_partition_config_static_selectorELNS0_4arch9wavefront6targetE0EEEvSI_
                                        ; -- End function
	.set _ZN7rocprim17ROCPRIM_400000_NS6detail17trampoline_kernelINS0_14default_configENS1_38merge_sort_block_merge_config_selectorIiNS0_10empty_typeEEEZZNS1_27merge_sort_block_merge_implIS3_N6thrust23THRUST_200600_302600_NS10device_ptrIiEEPS5_jNS1_19radix_merge_compareILb0ELb0EiNS0_19identity_decomposerEEEEE10hipError_tT0_T1_T2_jT3_P12ihipStream_tbPNSt15iterator_traitsISH_E10value_typeEPNSN_ISI_E10value_typeEPSJ_NS1_7vsmem_tEENKUlT_SH_SI_SJ_E_clIPiSB_SC_SC_EESG_SW_SH_SI_SJ_EUlSW_E_NS1_11comp_targetILNS1_3genE8ELNS1_11target_archE1030ELNS1_3gpuE2ELNS1_3repE0EEENS1_48merge_mergepath_partition_config_static_selectorELNS0_4arch9wavefront6targetE0EEEvSI_.num_vgpr, 15
	.set _ZN7rocprim17ROCPRIM_400000_NS6detail17trampoline_kernelINS0_14default_configENS1_38merge_sort_block_merge_config_selectorIiNS0_10empty_typeEEEZZNS1_27merge_sort_block_merge_implIS3_N6thrust23THRUST_200600_302600_NS10device_ptrIiEEPS5_jNS1_19radix_merge_compareILb0ELb0EiNS0_19identity_decomposerEEEEE10hipError_tT0_T1_T2_jT3_P12ihipStream_tbPNSt15iterator_traitsISH_E10value_typeEPNSN_ISI_E10value_typeEPSJ_NS1_7vsmem_tEENKUlT_SH_SI_SJ_E_clIPiSB_SC_SC_EESG_SW_SH_SI_SJ_EUlSW_E_NS1_11comp_targetILNS1_3genE8ELNS1_11target_archE1030ELNS1_3gpuE2ELNS1_3repE0EEENS1_48merge_mergepath_partition_config_static_selectorELNS0_4arch9wavefront6targetE0EEEvSI_.num_agpr, 0
	.set _ZN7rocprim17ROCPRIM_400000_NS6detail17trampoline_kernelINS0_14default_configENS1_38merge_sort_block_merge_config_selectorIiNS0_10empty_typeEEEZZNS1_27merge_sort_block_merge_implIS3_N6thrust23THRUST_200600_302600_NS10device_ptrIiEEPS5_jNS1_19radix_merge_compareILb0ELb0EiNS0_19identity_decomposerEEEEE10hipError_tT0_T1_T2_jT3_P12ihipStream_tbPNSt15iterator_traitsISH_E10value_typeEPNSN_ISI_E10value_typeEPSJ_NS1_7vsmem_tEENKUlT_SH_SI_SJ_E_clIPiSB_SC_SC_EESG_SW_SH_SI_SJ_EUlSW_E_NS1_11comp_targetILNS1_3genE8ELNS1_11target_archE1030ELNS1_3gpuE2ELNS1_3repE0EEENS1_48merge_mergepath_partition_config_static_selectorELNS0_4arch9wavefront6targetE0EEEvSI_.numbered_sgpr, 7
	.set _ZN7rocprim17ROCPRIM_400000_NS6detail17trampoline_kernelINS0_14default_configENS1_38merge_sort_block_merge_config_selectorIiNS0_10empty_typeEEEZZNS1_27merge_sort_block_merge_implIS3_N6thrust23THRUST_200600_302600_NS10device_ptrIiEEPS5_jNS1_19radix_merge_compareILb0ELb0EiNS0_19identity_decomposerEEEEE10hipError_tT0_T1_T2_jT3_P12ihipStream_tbPNSt15iterator_traitsISH_E10value_typeEPNSN_ISI_E10value_typeEPSJ_NS1_7vsmem_tEENKUlT_SH_SI_SJ_E_clIPiSB_SC_SC_EESG_SW_SH_SI_SJ_EUlSW_E_NS1_11comp_targetILNS1_3genE8ELNS1_11target_archE1030ELNS1_3gpuE2ELNS1_3repE0EEENS1_48merge_mergepath_partition_config_static_selectorELNS0_4arch9wavefront6targetE0EEEvSI_.num_named_barrier, 0
	.set _ZN7rocprim17ROCPRIM_400000_NS6detail17trampoline_kernelINS0_14default_configENS1_38merge_sort_block_merge_config_selectorIiNS0_10empty_typeEEEZZNS1_27merge_sort_block_merge_implIS3_N6thrust23THRUST_200600_302600_NS10device_ptrIiEEPS5_jNS1_19radix_merge_compareILb0ELb0EiNS0_19identity_decomposerEEEEE10hipError_tT0_T1_T2_jT3_P12ihipStream_tbPNSt15iterator_traitsISH_E10value_typeEPNSN_ISI_E10value_typeEPSJ_NS1_7vsmem_tEENKUlT_SH_SI_SJ_E_clIPiSB_SC_SC_EESG_SW_SH_SI_SJ_EUlSW_E_NS1_11comp_targetILNS1_3genE8ELNS1_11target_archE1030ELNS1_3gpuE2ELNS1_3repE0EEENS1_48merge_mergepath_partition_config_static_selectorELNS0_4arch9wavefront6targetE0EEEvSI_.private_seg_size, 0
	.set _ZN7rocprim17ROCPRIM_400000_NS6detail17trampoline_kernelINS0_14default_configENS1_38merge_sort_block_merge_config_selectorIiNS0_10empty_typeEEEZZNS1_27merge_sort_block_merge_implIS3_N6thrust23THRUST_200600_302600_NS10device_ptrIiEEPS5_jNS1_19radix_merge_compareILb0ELb0EiNS0_19identity_decomposerEEEEE10hipError_tT0_T1_T2_jT3_P12ihipStream_tbPNSt15iterator_traitsISH_E10value_typeEPNSN_ISI_E10value_typeEPSJ_NS1_7vsmem_tEENKUlT_SH_SI_SJ_E_clIPiSB_SC_SC_EESG_SW_SH_SI_SJ_EUlSW_E_NS1_11comp_targetILNS1_3genE8ELNS1_11target_archE1030ELNS1_3gpuE2ELNS1_3repE0EEENS1_48merge_mergepath_partition_config_static_selectorELNS0_4arch9wavefront6targetE0EEEvSI_.uses_vcc, 1
	.set _ZN7rocprim17ROCPRIM_400000_NS6detail17trampoline_kernelINS0_14default_configENS1_38merge_sort_block_merge_config_selectorIiNS0_10empty_typeEEEZZNS1_27merge_sort_block_merge_implIS3_N6thrust23THRUST_200600_302600_NS10device_ptrIiEEPS5_jNS1_19radix_merge_compareILb0ELb0EiNS0_19identity_decomposerEEEEE10hipError_tT0_T1_T2_jT3_P12ihipStream_tbPNSt15iterator_traitsISH_E10value_typeEPNSN_ISI_E10value_typeEPSJ_NS1_7vsmem_tEENKUlT_SH_SI_SJ_E_clIPiSB_SC_SC_EESG_SW_SH_SI_SJ_EUlSW_E_NS1_11comp_targetILNS1_3genE8ELNS1_11target_archE1030ELNS1_3gpuE2ELNS1_3repE0EEENS1_48merge_mergepath_partition_config_static_selectorELNS0_4arch9wavefront6targetE0EEEvSI_.uses_flat_scratch, 0
	.set _ZN7rocprim17ROCPRIM_400000_NS6detail17trampoline_kernelINS0_14default_configENS1_38merge_sort_block_merge_config_selectorIiNS0_10empty_typeEEEZZNS1_27merge_sort_block_merge_implIS3_N6thrust23THRUST_200600_302600_NS10device_ptrIiEEPS5_jNS1_19radix_merge_compareILb0ELb0EiNS0_19identity_decomposerEEEEE10hipError_tT0_T1_T2_jT3_P12ihipStream_tbPNSt15iterator_traitsISH_E10value_typeEPNSN_ISI_E10value_typeEPSJ_NS1_7vsmem_tEENKUlT_SH_SI_SJ_E_clIPiSB_SC_SC_EESG_SW_SH_SI_SJ_EUlSW_E_NS1_11comp_targetILNS1_3genE8ELNS1_11target_archE1030ELNS1_3gpuE2ELNS1_3repE0EEENS1_48merge_mergepath_partition_config_static_selectorELNS0_4arch9wavefront6targetE0EEEvSI_.has_dyn_sized_stack, 0
	.set _ZN7rocprim17ROCPRIM_400000_NS6detail17trampoline_kernelINS0_14default_configENS1_38merge_sort_block_merge_config_selectorIiNS0_10empty_typeEEEZZNS1_27merge_sort_block_merge_implIS3_N6thrust23THRUST_200600_302600_NS10device_ptrIiEEPS5_jNS1_19radix_merge_compareILb0ELb0EiNS0_19identity_decomposerEEEEE10hipError_tT0_T1_T2_jT3_P12ihipStream_tbPNSt15iterator_traitsISH_E10value_typeEPNSN_ISI_E10value_typeEPSJ_NS1_7vsmem_tEENKUlT_SH_SI_SJ_E_clIPiSB_SC_SC_EESG_SW_SH_SI_SJ_EUlSW_E_NS1_11comp_targetILNS1_3genE8ELNS1_11target_archE1030ELNS1_3gpuE2ELNS1_3repE0EEENS1_48merge_mergepath_partition_config_static_selectorELNS0_4arch9wavefront6targetE0EEEvSI_.has_recursion, 0
	.set _ZN7rocprim17ROCPRIM_400000_NS6detail17trampoline_kernelINS0_14default_configENS1_38merge_sort_block_merge_config_selectorIiNS0_10empty_typeEEEZZNS1_27merge_sort_block_merge_implIS3_N6thrust23THRUST_200600_302600_NS10device_ptrIiEEPS5_jNS1_19radix_merge_compareILb0ELb0EiNS0_19identity_decomposerEEEEE10hipError_tT0_T1_T2_jT3_P12ihipStream_tbPNSt15iterator_traitsISH_E10value_typeEPNSN_ISI_E10value_typeEPSJ_NS1_7vsmem_tEENKUlT_SH_SI_SJ_E_clIPiSB_SC_SC_EESG_SW_SH_SI_SJ_EUlSW_E_NS1_11comp_targetILNS1_3genE8ELNS1_11target_archE1030ELNS1_3gpuE2ELNS1_3repE0EEENS1_48merge_mergepath_partition_config_static_selectorELNS0_4arch9wavefront6targetE0EEEvSI_.has_indirect_call, 0
	.section	.AMDGPU.csdata,"",@progbits
; Kernel info:
; codeLenInByte = 436
; TotalNumSgprs: 9
; NumVgprs: 15
; ScratchSize: 0
; MemoryBound: 0
; FloatMode: 240
; IeeeMode: 1
; LDSByteSize: 0 bytes/workgroup (compile time only)
; SGPRBlocks: 0
; VGPRBlocks: 1
; NumSGPRsForWavesPerEU: 9
; NumVGPRsForWavesPerEU: 15
; Occupancy: 16
; WaveLimiterHint : 0
; COMPUTE_PGM_RSRC2:SCRATCH_EN: 0
; COMPUTE_PGM_RSRC2:USER_SGPR: 6
; COMPUTE_PGM_RSRC2:TRAP_HANDLER: 0
; COMPUTE_PGM_RSRC2:TGID_X_EN: 1
; COMPUTE_PGM_RSRC2:TGID_Y_EN: 0
; COMPUTE_PGM_RSRC2:TGID_Z_EN: 0
; COMPUTE_PGM_RSRC2:TIDIG_COMP_CNT: 0
	.section	.text._ZN7rocprim17ROCPRIM_400000_NS6detail17trampoline_kernelINS0_14default_configENS1_38merge_sort_block_merge_config_selectorIiNS0_10empty_typeEEEZZNS1_27merge_sort_block_merge_implIS3_N6thrust23THRUST_200600_302600_NS10device_ptrIiEEPS5_jNS1_19radix_merge_compareILb0ELb0EiNS0_19identity_decomposerEEEEE10hipError_tT0_T1_T2_jT3_P12ihipStream_tbPNSt15iterator_traitsISH_E10value_typeEPNSN_ISI_E10value_typeEPSJ_NS1_7vsmem_tEENKUlT_SH_SI_SJ_E_clIPiSB_SC_SC_EESG_SW_SH_SI_SJ_EUlSW_E0_NS1_11comp_targetILNS1_3genE0ELNS1_11target_archE4294967295ELNS1_3gpuE0ELNS1_3repE0EEENS1_38merge_mergepath_config_static_selectorELNS0_4arch9wavefront6targetE0EEEvSI_,"axG",@progbits,_ZN7rocprim17ROCPRIM_400000_NS6detail17trampoline_kernelINS0_14default_configENS1_38merge_sort_block_merge_config_selectorIiNS0_10empty_typeEEEZZNS1_27merge_sort_block_merge_implIS3_N6thrust23THRUST_200600_302600_NS10device_ptrIiEEPS5_jNS1_19radix_merge_compareILb0ELb0EiNS0_19identity_decomposerEEEEE10hipError_tT0_T1_T2_jT3_P12ihipStream_tbPNSt15iterator_traitsISH_E10value_typeEPNSN_ISI_E10value_typeEPSJ_NS1_7vsmem_tEENKUlT_SH_SI_SJ_E_clIPiSB_SC_SC_EESG_SW_SH_SI_SJ_EUlSW_E0_NS1_11comp_targetILNS1_3genE0ELNS1_11target_archE4294967295ELNS1_3gpuE0ELNS1_3repE0EEENS1_38merge_mergepath_config_static_selectorELNS0_4arch9wavefront6targetE0EEEvSI_,comdat
	.protected	_ZN7rocprim17ROCPRIM_400000_NS6detail17trampoline_kernelINS0_14default_configENS1_38merge_sort_block_merge_config_selectorIiNS0_10empty_typeEEEZZNS1_27merge_sort_block_merge_implIS3_N6thrust23THRUST_200600_302600_NS10device_ptrIiEEPS5_jNS1_19radix_merge_compareILb0ELb0EiNS0_19identity_decomposerEEEEE10hipError_tT0_T1_T2_jT3_P12ihipStream_tbPNSt15iterator_traitsISH_E10value_typeEPNSN_ISI_E10value_typeEPSJ_NS1_7vsmem_tEENKUlT_SH_SI_SJ_E_clIPiSB_SC_SC_EESG_SW_SH_SI_SJ_EUlSW_E0_NS1_11comp_targetILNS1_3genE0ELNS1_11target_archE4294967295ELNS1_3gpuE0ELNS1_3repE0EEENS1_38merge_mergepath_config_static_selectorELNS0_4arch9wavefront6targetE0EEEvSI_ ; -- Begin function _ZN7rocprim17ROCPRIM_400000_NS6detail17trampoline_kernelINS0_14default_configENS1_38merge_sort_block_merge_config_selectorIiNS0_10empty_typeEEEZZNS1_27merge_sort_block_merge_implIS3_N6thrust23THRUST_200600_302600_NS10device_ptrIiEEPS5_jNS1_19radix_merge_compareILb0ELb0EiNS0_19identity_decomposerEEEEE10hipError_tT0_T1_T2_jT3_P12ihipStream_tbPNSt15iterator_traitsISH_E10value_typeEPNSN_ISI_E10value_typeEPSJ_NS1_7vsmem_tEENKUlT_SH_SI_SJ_E_clIPiSB_SC_SC_EESG_SW_SH_SI_SJ_EUlSW_E0_NS1_11comp_targetILNS1_3genE0ELNS1_11target_archE4294967295ELNS1_3gpuE0ELNS1_3repE0EEENS1_38merge_mergepath_config_static_selectorELNS0_4arch9wavefront6targetE0EEEvSI_
	.globl	_ZN7rocprim17ROCPRIM_400000_NS6detail17trampoline_kernelINS0_14default_configENS1_38merge_sort_block_merge_config_selectorIiNS0_10empty_typeEEEZZNS1_27merge_sort_block_merge_implIS3_N6thrust23THRUST_200600_302600_NS10device_ptrIiEEPS5_jNS1_19radix_merge_compareILb0ELb0EiNS0_19identity_decomposerEEEEE10hipError_tT0_T1_T2_jT3_P12ihipStream_tbPNSt15iterator_traitsISH_E10value_typeEPNSN_ISI_E10value_typeEPSJ_NS1_7vsmem_tEENKUlT_SH_SI_SJ_E_clIPiSB_SC_SC_EESG_SW_SH_SI_SJ_EUlSW_E0_NS1_11comp_targetILNS1_3genE0ELNS1_11target_archE4294967295ELNS1_3gpuE0ELNS1_3repE0EEENS1_38merge_mergepath_config_static_selectorELNS0_4arch9wavefront6targetE0EEEvSI_
	.p2align	8
	.type	_ZN7rocprim17ROCPRIM_400000_NS6detail17trampoline_kernelINS0_14default_configENS1_38merge_sort_block_merge_config_selectorIiNS0_10empty_typeEEEZZNS1_27merge_sort_block_merge_implIS3_N6thrust23THRUST_200600_302600_NS10device_ptrIiEEPS5_jNS1_19radix_merge_compareILb0ELb0EiNS0_19identity_decomposerEEEEE10hipError_tT0_T1_T2_jT3_P12ihipStream_tbPNSt15iterator_traitsISH_E10value_typeEPNSN_ISI_E10value_typeEPSJ_NS1_7vsmem_tEENKUlT_SH_SI_SJ_E_clIPiSB_SC_SC_EESG_SW_SH_SI_SJ_EUlSW_E0_NS1_11comp_targetILNS1_3genE0ELNS1_11target_archE4294967295ELNS1_3gpuE0ELNS1_3repE0EEENS1_38merge_mergepath_config_static_selectorELNS0_4arch9wavefront6targetE0EEEvSI_,@function
_ZN7rocprim17ROCPRIM_400000_NS6detail17trampoline_kernelINS0_14default_configENS1_38merge_sort_block_merge_config_selectorIiNS0_10empty_typeEEEZZNS1_27merge_sort_block_merge_implIS3_N6thrust23THRUST_200600_302600_NS10device_ptrIiEEPS5_jNS1_19radix_merge_compareILb0ELb0EiNS0_19identity_decomposerEEEEE10hipError_tT0_T1_T2_jT3_P12ihipStream_tbPNSt15iterator_traitsISH_E10value_typeEPNSN_ISI_E10value_typeEPSJ_NS1_7vsmem_tEENKUlT_SH_SI_SJ_E_clIPiSB_SC_SC_EESG_SW_SH_SI_SJ_EUlSW_E0_NS1_11comp_targetILNS1_3genE0ELNS1_11target_archE4294967295ELNS1_3gpuE0ELNS1_3repE0EEENS1_38merge_mergepath_config_static_selectorELNS0_4arch9wavefront6targetE0EEEvSI_: ; @_ZN7rocprim17ROCPRIM_400000_NS6detail17trampoline_kernelINS0_14default_configENS1_38merge_sort_block_merge_config_selectorIiNS0_10empty_typeEEEZZNS1_27merge_sort_block_merge_implIS3_N6thrust23THRUST_200600_302600_NS10device_ptrIiEEPS5_jNS1_19radix_merge_compareILb0ELb0EiNS0_19identity_decomposerEEEEE10hipError_tT0_T1_T2_jT3_P12ihipStream_tbPNSt15iterator_traitsISH_E10value_typeEPNSN_ISI_E10value_typeEPSJ_NS1_7vsmem_tEENKUlT_SH_SI_SJ_E_clIPiSB_SC_SC_EESG_SW_SH_SI_SJ_EUlSW_E0_NS1_11comp_targetILNS1_3genE0ELNS1_11target_archE4294967295ELNS1_3gpuE0ELNS1_3repE0EEENS1_38merge_mergepath_config_static_selectorELNS0_4arch9wavefront6targetE0EEEvSI_
; %bb.0:
	.section	.rodata,"a",@progbits
	.p2align	6, 0x0
	.amdhsa_kernel _ZN7rocprim17ROCPRIM_400000_NS6detail17trampoline_kernelINS0_14default_configENS1_38merge_sort_block_merge_config_selectorIiNS0_10empty_typeEEEZZNS1_27merge_sort_block_merge_implIS3_N6thrust23THRUST_200600_302600_NS10device_ptrIiEEPS5_jNS1_19radix_merge_compareILb0ELb0EiNS0_19identity_decomposerEEEEE10hipError_tT0_T1_T2_jT3_P12ihipStream_tbPNSt15iterator_traitsISH_E10value_typeEPNSN_ISI_E10value_typeEPSJ_NS1_7vsmem_tEENKUlT_SH_SI_SJ_E_clIPiSB_SC_SC_EESG_SW_SH_SI_SJ_EUlSW_E0_NS1_11comp_targetILNS1_3genE0ELNS1_11target_archE4294967295ELNS1_3gpuE0ELNS1_3repE0EEENS1_38merge_mergepath_config_static_selectorELNS0_4arch9wavefront6targetE0EEEvSI_
		.amdhsa_group_segment_fixed_size 0
		.amdhsa_private_segment_fixed_size 0
		.amdhsa_kernarg_size 64
		.amdhsa_user_sgpr_count 6
		.amdhsa_user_sgpr_private_segment_buffer 1
		.amdhsa_user_sgpr_dispatch_ptr 0
		.amdhsa_user_sgpr_queue_ptr 0
		.amdhsa_user_sgpr_kernarg_segment_ptr 1
		.amdhsa_user_sgpr_dispatch_id 0
		.amdhsa_user_sgpr_flat_scratch_init 0
		.amdhsa_user_sgpr_private_segment_size 0
		.amdhsa_wavefront_size32 1
		.amdhsa_uses_dynamic_stack 0
		.amdhsa_system_sgpr_private_segment_wavefront_offset 0
		.amdhsa_system_sgpr_workgroup_id_x 1
		.amdhsa_system_sgpr_workgroup_id_y 0
		.amdhsa_system_sgpr_workgroup_id_z 0
		.amdhsa_system_sgpr_workgroup_info 0
		.amdhsa_system_vgpr_workitem_id 0
		.amdhsa_next_free_vgpr 1
		.amdhsa_next_free_sgpr 1
		.amdhsa_reserve_vcc 0
		.amdhsa_reserve_flat_scratch 0
		.amdhsa_float_round_mode_32 0
		.amdhsa_float_round_mode_16_64 0
		.amdhsa_float_denorm_mode_32 3
		.amdhsa_float_denorm_mode_16_64 3
		.amdhsa_dx10_clamp 1
		.amdhsa_ieee_mode 1
		.amdhsa_fp16_overflow 0
		.amdhsa_workgroup_processor_mode 1
		.amdhsa_memory_ordered 1
		.amdhsa_forward_progress 1
		.amdhsa_shared_vgpr_count 0
		.amdhsa_exception_fp_ieee_invalid_op 0
		.amdhsa_exception_fp_denorm_src 0
		.amdhsa_exception_fp_ieee_div_zero 0
		.amdhsa_exception_fp_ieee_overflow 0
		.amdhsa_exception_fp_ieee_underflow 0
		.amdhsa_exception_fp_ieee_inexact 0
		.amdhsa_exception_int_div_zero 0
	.end_amdhsa_kernel
	.section	.text._ZN7rocprim17ROCPRIM_400000_NS6detail17trampoline_kernelINS0_14default_configENS1_38merge_sort_block_merge_config_selectorIiNS0_10empty_typeEEEZZNS1_27merge_sort_block_merge_implIS3_N6thrust23THRUST_200600_302600_NS10device_ptrIiEEPS5_jNS1_19radix_merge_compareILb0ELb0EiNS0_19identity_decomposerEEEEE10hipError_tT0_T1_T2_jT3_P12ihipStream_tbPNSt15iterator_traitsISH_E10value_typeEPNSN_ISI_E10value_typeEPSJ_NS1_7vsmem_tEENKUlT_SH_SI_SJ_E_clIPiSB_SC_SC_EESG_SW_SH_SI_SJ_EUlSW_E0_NS1_11comp_targetILNS1_3genE0ELNS1_11target_archE4294967295ELNS1_3gpuE0ELNS1_3repE0EEENS1_38merge_mergepath_config_static_selectorELNS0_4arch9wavefront6targetE0EEEvSI_,"axG",@progbits,_ZN7rocprim17ROCPRIM_400000_NS6detail17trampoline_kernelINS0_14default_configENS1_38merge_sort_block_merge_config_selectorIiNS0_10empty_typeEEEZZNS1_27merge_sort_block_merge_implIS3_N6thrust23THRUST_200600_302600_NS10device_ptrIiEEPS5_jNS1_19radix_merge_compareILb0ELb0EiNS0_19identity_decomposerEEEEE10hipError_tT0_T1_T2_jT3_P12ihipStream_tbPNSt15iterator_traitsISH_E10value_typeEPNSN_ISI_E10value_typeEPSJ_NS1_7vsmem_tEENKUlT_SH_SI_SJ_E_clIPiSB_SC_SC_EESG_SW_SH_SI_SJ_EUlSW_E0_NS1_11comp_targetILNS1_3genE0ELNS1_11target_archE4294967295ELNS1_3gpuE0ELNS1_3repE0EEENS1_38merge_mergepath_config_static_selectorELNS0_4arch9wavefront6targetE0EEEvSI_,comdat
.Lfunc_end1120:
	.size	_ZN7rocprim17ROCPRIM_400000_NS6detail17trampoline_kernelINS0_14default_configENS1_38merge_sort_block_merge_config_selectorIiNS0_10empty_typeEEEZZNS1_27merge_sort_block_merge_implIS3_N6thrust23THRUST_200600_302600_NS10device_ptrIiEEPS5_jNS1_19radix_merge_compareILb0ELb0EiNS0_19identity_decomposerEEEEE10hipError_tT0_T1_T2_jT3_P12ihipStream_tbPNSt15iterator_traitsISH_E10value_typeEPNSN_ISI_E10value_typeEPSJ_NS1_7vsmem_tEENKUlT_SH_SI_SJ_E_clIPiSB_SC_SC_EESG_SW_SH_SI_SJ_EUlSW_E0_NS1_11comp_targetILNS1_3genE0ELNS1_11target_archE4294967295ELNS1_3gpuE0ELNS1_3repE0EEENS1_38merge_mergepath_config_static_selectorELNS0_4arch9wavefront6targetE0EEEvSI_, .Lfunc_end1120-_ZN7rocprim17ROCPRIM_400000_NS6detail17trampoline_kernelINS0_14default_configENS1_38merge_sort_block_merge_config_selectorIiNS0_10empty_typeEEEZZNS1_27merge_sort_block_merge_implIS3_N6thrust23THRUST_200600_302600_NS10device_ptrIiEEPS5_jNS1_19radix_merge_compareILb0ELb0EiNS0_19identity_decomposerEEEEE10hipError_tT0_T1_T2_jT3_P12ihipStream_tbPNSt15iterator_traitsISH_E10value_typeEPNSN_ISI_E10value_typeEPSJ_NS1_7vsmem_tEENKUlT_SH_SI_SJ_E_clIPiSB_SC_SC_EESG_SW_SH_SI_SJ_EUlSW_E0_NS1_11comp_targetILNS1_3genE0ELNS1_11target_archE4294967295ELNS1_3gpuE0ELNS1_3repE0EEENS1_38merge_mergepath_config_static_selectorELNS0_4arch9wavefront6targetE0EEEvSI_
                                        ; -- End function
	.set _ZN7rocprim17ROCPRIM_400000_NS6detail17trampoline_kernelINS0_14default_configENS1_38merge_sort_block_merge_config_selectorIiNS0_10empty_typeEEEZZNS1_27merge_sort_block_merge_implIS3_N6thrust23THRUST_200600_302600_NS10device_ptrIiEEPS5_jNS1_19radix_merge_compareILb0ELb0EiNS0_19identity_decomposerEEEEE10hipError_tT0_T1_T2_jT3_P12ihipStream_tbPNSt15iterator_traitsISH_E10value_typeEPNSN_ISI_E10value_typeEPSJ_NS1_7vsmem_tEENKUlT_SH_SI_SJ_E_clIPiSB_SC_SC_EESG_SW_SH_SI_SJ_EUlSW_E0_NS1_11comp_targetILNS1_3genE0ELNS1_11target_archE4294967295ELNS1_3gpuE0ELNS1_3repE0EEENS1_38merge_mergepath_config_static_selectorELNS0_4arch9wavefront6targetE0EEEvSI_.num_vgpr, 0
	.set _ZN7rocprim17ROCPRIM_400000_NS6detail17trampoline_kernelINS0_14default_configENS1_38merge_sort_block_merge_config_selectorIiNS0_10empty_typeEEEZZNS1_27merge_sort_block_merge_implIS3_N6thrust23THRUST_200600_302600_NS10device_ptrIiEEPS5_jNS1_19radix_merge_compareILb0ELb0EiNS0_19identity_decomposerEEEEE10hipError_tT0_T1_T2_jT3_P12ihipStream_tbPNSt15iterator_traitsISH_E10value_typeEPNSN_ISI_E10value_typeEPSJ_NS1_7vsmem_tEENKUlT_SH_SI_SJ_E_clIPiSB_SC_SC_EESG_SW_SH_SI_SJ_EUlSW_E0_NS1_11comp_targetILNS1_3genE0ELNS1_11target_archE4294967295ELNS1_3gpuE0ELNS1_3repE0EEENS1_38merge_mergepath_config_static_selectorELNS0_4arch9wavefront6targetE0EEEvSI_.num_agpr, 0
	.set _ZN7rocprim17ROCPRIM_400000_NS6detail17trampoline_kernelINS0_14default_configENS1_38merge_sort_block_merge_config_selectorIiNS0_10empty_typeEEEZZNS1_27merge_sort_block_merge_implIS3_N6thrust23THRUST_200600_302600_NS10device_ptrIiEEPS5_jNS1_19radix_merge_compareILb0ELb0EiNS0_19identity_decomposerEEEEE10hipError_tT0_T1_T2_jT3_P12ihipStream_tbPNSt15iterator_traitsISH_E10value_typeEPNSN_ISI_E10value_typeEPSJ_NS1_7vsmem_tEENKUlT_SH_SI_SJ_E_clIPiSB_SC_SC_EESG_SW_SH_SI_SJ_EUlSW_E0_NS1_11comp_targetILNS1_3genE0ELNS1_11target_archE4294967295ELNS1_3gpuE0ELNS1_3repE0EEENS1_38merge_mergepath_config_static_selectorELNS0_4arch9wavefront6targetE0EEEvSI_.numbered_sgpr, 0
	.set _ZN7rocprim17ROCPRIM_400000_NS6detail17trampoline_kernelINS0_14default_configENS1_38merge_sort_block_merge_config_selectorIiNS0_10empty_typeEEEZZNS1_27merge_sort_block_merge_implIS3_N6thrust23THRUST_200600_302600_NS10device_ptrIiEEPS5_jNS1_19radix_merge_compareILb0ELb0EiNS0_19identity_decomposerEEEEE10hipError_tT0_T1_T2_jT3_P12ihipStream_tbPNSt15iterator_traitsISH_E10value_typeEPNSN_ISI_E10value_typeEPSJ_NS1_7vsmem_tEENKUlT_SH_SI_SJ_E_clIPiSB_SC_SC_EESG_SW_SH_SI_SJ_EUlSW_E0_NS1_11comp_targetILNS1_3genE0ELNS1_11target_archE4294967295ELNS1_3gpuE0ELNS1_3repE0EEENS1_38merge_mergepath_config_static_selectorELNS0_4arch9wavefront6targetE0EEEvSI_.num_named_barrier, 0
	.set _ZN7rocprim17ROCPRIM_400000_NS6detail17trampoline_kernelINS0_14default_configENS1_38merge_sort_block_merge_config_selectorIiNS0_10empty_typeEEEZZNS1_27merge_sort_block_merge_implIS3_N6thrust23THRUST_200600_302600_NS10device_ptrIiEEPS5_jNS1_19radix_merge_compareILb0ELb0EiNS0_19identity_decomposerEEEEE10hipError_tT0_T1_T2_jT3_P12ihipStream_tbPNSt15iterator_traitsISH_E10value_typeEPNSN_ISI_E10value_typeEPSJ_NS1_7vsmem_tEENKUlT_SH_SI_SJ_E_clIPiSB_SC_SC_EESG_SW_SH_SI_SJ_EUlSW_E0_NS1_11comp_targetILNS1_3genE0ELNS1_11target_archE4294967295ELNS1_3gpuE0ELNS1_3repE0EEENS1_38merge_mergepath_config_static_selectorELNS0_4arch9wavefront6targetE0EEEvSI_.private_seg_size, 0
	.set _ZN7rocprim17ROCPRIM_400000_NS6detail17trampoline_kernelINS0_14default_configENS1_38merge_sort_block_merge_config_selectorIiNS0_10empty_typeEEEZZNS1_27merge_sort_block_merge_implIS3_N6thrust23THRUST_200600_302600_NS10device_ptrIiEEPS5_jNS1_19radix_merge_compareILb0ELb0EiNS0_19identity_decomposerEEEEE10hipError_tT0_T1_T2_jT3_P12ihipStream_tbPNSt15iterator_traitsISH_E10value_typeEPNSN_ISI_E10value_typeEPSJ_NS1_7vsmem_tEENKUlT_SH_SI_SJ_E_clIPiSB_SC_SC_EESG_SW_SH_SI_SJ_EUlSW_E0_NS1_11comp_targetILNS1_3genE0ELNS1_11target_archE4294967295ELNS1_3gpuE0ELNS1_3repE0EEENS1_38merge_mergepath_config_static_selectorELNS0_4arch9wavefront6targetE0EEEvSI_.uses_vcc, 0
	.set _ZN7rocprim17ROCPRIM_400000_NS6detail17trampoline_kernelINS0_14default_configENS1_38merge_sort_block_merge_config_selectorIiNS0_10empty_typeEEEZZNS1_27merge_sort_block_merge_implIS3_N6thrust23THRUST_200600_302600_NS10device_ptrIiEEPS5_jNS1_19radix_merge_compareILb0ELb0EiNS0_19identity_decomposerEEEEE10hipError_tT0_T1_T2_jT3_P12ihipStream_tbPNSt15iterator_traitsISH_E10value_typeEPNSN_ISI_E10value_typeEPSJ_NS1_7vsmem_tEENKUlT_SH_SI_SJ_E_clIPiSB_SC_SC_EESG_SW_SH_SI_SJ_EUlSW_E0_NS1_11comp_targetILNS1_3genE0ELNS1_11target_archE4294967295ELNS1_3gpuE0ELNS1_3repE0EEENS1_38merge_mergepath_config_static_selectorELNS0_4arch9wavefront6targetE0EEEvSI_.uses_flat_scratch, 0
	.set _ZN7rocprim17ROCPRIM_400000_NS6detail17trampoline_kernelINS0_14default_configENS1_38merge_sort_block_merge_config_selectorIiNS0_10empty_typeEEEZZNS1_27merge_sort_block_merge_implIS3_N6thrust23THRUST_200600_302600_NS10device_ptrIiEEPS5_jNS1_19radix_merge_compareILb0ELb0EiNS0_19identity_decomposerEEEEE10hipError_tT0_T1_T2_jT3_P12ihipStream_tbPNSt15iterator_traitsISH_E10value_typeEPNSN_ISI_E10value_typeEPSJ_NS1_7vsmem_tEENKUlT_SH_SI_SJ_E_clIPiSB_SC_SC_EESG_SW_SH_SI_SJ_EUlSW_E0_NS1_11comp_targetILNS1_3genE0ELNS1_11target_archE4294967295ELNS1_3gpuE0ELNS1_3repE0EEENS1_38merge_mergepath_config_static_selectorELNS0_4arch9wavefront6targetE0EEEvSI_.has_dyn_sized_stack, 0
	.set _ZN7rocprim17ROCPRIM_400000_NS6detail17trampoline_kernelINS0_14default_configENS1_38merge_sort_block_merge_config_selectorIiNS0_10empty_typeEEEZZNS1_27merge_sort_block_merge_implIS3_N6thrust23THRUST_200600_302600_NS10device_ptrIiEEPS5_jNS1_19radix_merge_compareILb0ELb0EiNS0_19identity_decomposerEEEEE10hipError_tT0_T1_T2_jT3_P12ihipStream_tbPNSt15iterator_traitsISH_E10value_typeEPNSN_ISI_E10value_typeEPSJ_NS1_7vsmem_tEENKUlT_SH_SI_SJ_E_clIPiSB_SC_SC_EESG_SW_SH_SI_SJ_EUlSW_E0_NS1_11comp_targetILNS1_3genE0ELNS1_11target_archE4294967295ELNS1_3gpuE0ELNS1_3repE0EEENS1_38merge_mergepath_config_static_selectorELNS0_4arch9wavefront6targetE0EEEvSI_.has_recursion, 0
	.set _ZN7rocprim17ROCPRIM_400000_NS6detail17trampoline_kernelINS0_14default_configENS1_38merge_sort_block_merge_config_selectorIiNS0_10empty_typeEEEZZNS1_27merge_sort_block_merge_implIS3_N6thrust23THRUST_200600_302600_NS10device_ptrIiEEPS5_jNS1_19radix_merge_compareILb0ELb0EiNS0_19identity_decomposerEEEEE10hipError_tT0_T1_T2_jT3_P12ihipStream_tbPNSt15iterator_traitsISH_E10value_typeEPNSN_ISI_E10value_typeEPSJ_NS1_7vsmem_tEENKUlT_SH_SI_SJ_E_clIPiSB_SC_SC_EESG_SW_SH_SI_SJ_EUlSW_E0_NS1_11comp_targetILNS1_3genE0ELNS1_11target_archE4294967295ELNS1_3gpuE0ELNS1_3repE0EEENS1_38merge_mergepath_config_static_selectorELNS0_4arch9wavefront6targetE0EEEvSI_.has_indirect_call, 0
	.section	.AMDGPU.csdata,"",@progbits
; Kernel info:
; codeLenInByte = 0
; TotalNumSgprs: 0
; NumVgprs: 0
; ScratchSize: 0
; MemoryBound: 0
; FloatMode: 240
; IeeeMode: 1
; LDSByteSize: 0 bytes/workgroup (compile time only)
; SGPRBlocks: 0
; VGPRBlocks: 0
; NumSGPRsForWavesPerEU: 1
; NumVGPRsForWavesPerEU: 1
; Occupancy: 16
; WaveLimiterHint : 0
; COMPUTE_PGM_RSRC2:SCRATCH_EN: 0
; COMPUTE_PGM_RSRC2:USER_SGPR: 6
; COMPUTE_PGM_RSRC2:TRAP_HANDLER: 0
; COMPUTE_PGM_RSRC2:TGID_X_EN: 1
; COMPUTE_PGM_RSRC2:TGID_Y_EN: 0
; COMPUTE_PGM_RSRC2:TGID_Z_EN: 0
; COMPUTE_PGM_RSRC2:TIDIG_COMP_CNT: 0
	.section	.text._ZN7rocprim17ROCPRIM_400000_NS6detail17trampoline_kernelINS0_14default_configENS1_38merge_sort_block_merge_config_selectorIiNS0_10empty_typeEEEZZNS1_27merge_sort_block_merge_implIS3_N6thrust23THRUST_200600_302600_NS10device_ptrIiEEPS5_jNS1_19radix_merge_compareILb0ELb0EiNS0_19identity_decomposerEEEEE10hipError_tT0_T1_T2_jT3_P12ihipStream_tbPNSt15iterator_traitsISH_E10value_typeEPNSN_ISI_E10value_typeEPSJ_NS1_7vsmem_tEENKUlT_SH_SI_SJ_E_clIPiSB_SC_SC_EESG_SW_SH_SI_SJ_EUlSW_E0_NS1_11comp_targetILNS1_3genE10ELNS1_11target_archE1201ELNS1_3gpuE5ELNS1_3repE0EEENS1_38merge_mergepath_config_static_selectorELNS0_4arch9wavefront6targetE0EEEvSI_,"axG",@progbits,_ZN7rocprim17ROCPRIM_400000_NS6detail17trampoline_kernelINS0_14default_configENS1_38merge_sort_block_merge_config_selectorIiNS0_10empty_typeEEEZZNS1_27merge_sort_block_merge_implIS3_N6thrust23THRUST_200600_302600_NS10device_ptrIiEEPS5_jNS1_19radix_merge_compareILb0ELb0EiNS0_19identity_decomposerEEEEE10hipError_tT0_T1_T2_jT3_P12ihipStream_tbPNSt15iterator_traitsISH_E10value_typeEPNSN_ISI_E10value_typeEPSJ_NS1_7vsmem_tEENKUlT_SH_SI_SJ_E_clIPiSB_SC_SC_EESG_SW_SH_SI_SJ_EUlSW_E0_NS1_11comp_targetILNS1_3genE10ELNS1_11target_archE1201ELNS1_3gpuE5ELNS1_3repE0EEENS1_38merge_mergepath_config_static_selectorELNS0_4arch9wavefront6targetE0EEEvSI_,comdat
	.protected	_ZN7rocprim17ROCPRIM_400000_NS6detail17trampoline_kernelINS0_14default_configENS1_38merge_sort_block_merge_config_selectorIiNS0_10empty_typeEEEZZNS1_27merge_sort_block_merge_implIS3_N6thrust23THRUST_200600_302600_NS10device_ptrIiEEPS5_jNS1_19radix_merge_compareILb0ELb0EiNS0_19identity_decomposerEEEEE10hipError_tT0_T1_T2_jT3_P12ihipStream_tbPNSt15iterator_traitsISH_E10value_typeEPNSN_ISI_E10value_typeEPSJ_NS1_7vsmem_tEENKUlT_SH_SI_SJ_E_clIPiSB_SC_SC_EESG_SW_SH_SI_SJ_EUlSW_E0_NS1_11comp_targetILNS1_3genE10ELNS1_11target_archE1201ELNS1_3gpuE5ELNS1_3repE0EEENS1_38merge_mergepath_config_static_selectorELNS0_4arch9wavefront6targetE0EEEvSI_ ; -- Begin function _ZN7rocprim17ROCPRIM_400000_NS6detail17trampoline_kernelINS0_14default_configENS1_38merge_sort_block_merge_config_selectorIiNS0_10empty_typeEEEZZNS1_27merge_sort_block_merge_implIS3_N6thrust23THRUST_200600_302600_NS10device_ptrIiEEPS5_jNS1_19radix_merge_compareILb0ELb0EiNS0_19identity_decomposerEEEEE10hipError_tT0_T1_T2_jT3_P12ihipStream_tbPNSt15iterator_traitsISH_E10value_typeEPNSN_ISI_E10value_typeEPSJ_NS1_7vsmem_tEENKUlT_SH_SI_SJ_E_clIPiSB_SC_SC_EESG_SW_SH_SI_SJ_EUlSW_E0_NS1_11comp_targetILNS1_3genE10ELNS1_11target_archE1201ELNS1_3gpuE5ELNS1_3repE0EEENS1_38merge_mergepath_config_static_selectorELNS0_4arch9wavefront6targetE0EEEvSI_
	.globl	_ZN7rocprim17ROCPRIM_400000_NS6detail17trampoline_kernelINS0_14default_configENS1_38merge_sort_block_merge_config_selectorIiNS0_10empty_typeEEEZZNS1_27merge_sort_block_merge_implIS3_N6thrust23THRUST_200600_302600_NS10device_ptrIiEEPS5_jNS1_19radix_merge_compareILb0ELb0EiNS0_19identity_decomposerEEEEE10hipError_tT0_T1_T2_jT3_P12ihipStream_tbPNSt15iterator_traitsISH_E10value_typeEPNSN_ISI_E10value_typeEPSJ_NS1_7vsmem_tEENKUlT_SH_SI_SJ_E_clIPiSB_SC_SC_EESG_SW_SH_SI_SJ_EUlSW_E0_NS1_11comp_targetILNS1_3genE10ELNS1_11target_archE1201ELNS1_3gpuE5ELNS1_3repE0EEENS1_38merge_mergepath_config_static_selectorELNS0_4arch9wavefront6targetE0EEEvSI_
	.p2align	8
	.type	_ZN7rocprim17ROCPRIM_400000_NS6detail17trampoline_kernelINS0_14default_configENS1_38merge_sort_block_merge_config_selectorIiNS0_10empty_typeEEEZZNS1_27merge_sort_block_merge_implIS3_N6thrust23THRUST_200600_302600_NS10device_ptrIiEEPS5_jNS1_19radix_merge_compareILb0ELb0EiNS0_19identity_decomposerEEEEE10hipError_tT0_T1_T2_jT3_P12ihipStream_tbPNSt15iterator_traitsISH_E10value_typeEPNSN_ISI_E10value_typeEPSJ_NS1_7vsmem_tEENKUlT_SH_SI_SJ_E_clIPiSB_SC_SC_EESG_SW_SH_SI_SJ_EUlSW_E0_NS1_11comp_targetILNS1_3genE10ELNS1_11target_archE1201ELNS1_3gpuE5ELNS1_3repE0EEENS1_38merge_mergepath_config_static_selectorELNS0_4arch9wavefront6targetE0EEEvSI_,@function
_ZN7rocprim17ROCPRIM_400000_NS6detail17trampoline_kernelINS0_14default_configENS1_38merge_sort_block_merge_config_selectorIiNS0_10empty_typeEEEZZNS1_27merge_sort_block_merge_implIS3_N6thrust23THRUST_200600_302600_NS10device_ptrIiEEPS5_jNS1_19radix_merge_compareILb0ELb0EiNS0_19identity_decomposerEEEEE10hipError_tT0_T1_T2_jT3_P12ihipStream_tbPNSt15iterator_traitsISH_E10value_typeEPNSN_ISI_E10value_typeEPSJ_NS1_7vsmem_tEENKUlT_SH_SI_SJ_E_clIPiSB_SC_SC_EESG_SW_SH_SI_SJ_EUlSW_E0_NS1_11comp_targetILNS1_3genE10ELNS1_11target_archE1201ELNS1_3gpuE5ELNS1_3repE0EEENS1_38merge_mergepath_config_static_selectorELNS0_4arch9wavefront6targetE0EEEvSI_: ; @_ZN7rocprim17ROCPRIM_400000_NS6detail17trampoline_kernelINS0_14default_configENS1_38merge_sort_block_merge_config_selectorIiNS0_10empty_typeEEEZZNS1_27merge_sort_block_merge_implIS3_N6thrust23THRUST_200600_302600_NS10device_ptrIiEEPS5_jNS1_19radix_merge_compareILb0ELb0EiNS0_19identity_decomposerEEEEE10hipError_tT0_T1_T2_jT3_P12ihipStream_tbPNSt15iterator_traitsISH_E10value_typeEPNSN_ISI_E10value_typeEPSJ_NS1_7vsmem_tEENKUlT_SH_SI_SJ_E_clIPiSB_SC_SC_EESG_SW_SH_SI_SJ_EUlSW_E0_NS1_11comp_targetILNS1_3genE10ELNS1_11target_archE1201ELNS1_3gpuE5ELNS1_3repE0EEENS1_38merge_mergepath_config_static_selectorELNS0_4arch9wavefront6targetE0EEEvSI_
; %bb.0:
	.section	.rodata,"a",@progbits
	.p2align	6, 0x0
	.amdhsa_kernel _ZN7rocprim17ROCPRIM_400000_NS6detail17trampoline_kernelINS0_14default_configENS1_38merge_sort_block_merge_config_selectorIiNS0_10empty_typeEEEZZNS1_27merge_sort_block_merge_implIS3_N6thrust23THRUST_200600_302600_NS10device_ptrIiEEPS5_jNS1_19radix_merge_compareILb0ELb0EiNS0_19identity_decomposerEEEEE10hipError_tT0_T1_T2_jT3_P12ihipStream_tbPNSt15iterator_traitsISH_E10value_typeEPNSN_ISI_E10value_typeEPSJ_NS1_7vsmem_tEENKUlT_SH_SI_SJ_E_clIPiSB_SC_SC_EESG_SW_SH_SI_SJ_EUlSW_E0_NS1_11comp_targetILNS1_3genE10ELNS1_11target_archE1201ELNS1_3gpuE5ELNS1_3repE0EEENS1_38merge_mergepath_config_static_selectorELNS0_4arch9wavefront6targetE0EEEvSI_
		.amdhsa_group_segment_fixed_size 0
		.amdhsa_private_segment_fixed_size 0
		.amdhsa_kernarg_size 64
		.amdhsa_user_sgpr_count 6
		.amdhsa_user_sgpr_private_segment_buffer 1
		.amdhsa_user_sgpr_dispatch_ptr 0
		.amdhsa_user_sgpr_queue_ptr 0
		.amdhsa_user_sgpr_kernarg_segment_ptr 1
		.amdhsa_user_sgpr_dispatch_id 0
		.amdhsa_user_sgpr_flat_scratch_init 0
		.amdhsa_user_sgpr_private_segment_size 0
		.amdhsa_wavefront_size32 1
		.amdhsa_uses_dynamic_stack 0
		.amdhsa_system_sgpr_private_segment_wavefront_offset 0
		.amdhsa_system_sgpr_workgroup_id_x 1
		.amdhsa_system_sgpr_workgroup_id_y 0
		.amdhsa_system_sgpr_workgroup_id_z 0
		.amdhsa_system_sgpr_workgroup_info 0
		.amdhsa_system_vgpr_workitem_id 0
		.amdhsa_next_free_vgpr 1
		.amdhsa_next_free_sgpr 1
		.amdhsa_reserve_vcc 0
		.amdhsa_reserve_flat_scratch 0
		.amdhsa_float_round_mode_32 0
		.amdhsa_float_round_mode_16_64 0
		.amdhsa_float_denorm_mode_32 3
		.amdhsa_float_denorm_mode_16_64 3
		.amdhsa_dx10_clamp 1
		.amdhsa_ieee_mode 1
		.amdhsa_fp16_overflow 0
		.amdhsa_workgroup_processor_mode 1
		.amdhsa_memory_ordered 1
		.amdhsa_forward_progress 1
		.amdhsa_shared_vgpr_count 0
		.amdhsa_exception_fp_ieee_invalid_op 0
		.amdhsa_exception_fp_denorm_src 0
		.amdhsa_exception_fp_ieee_div_zero 0
		.amdhsa_exception_fp_ieee_overflow 0
		.amdhsa_exception_fp_ieee_underflow 0
		.amdhsa_exception_fp_ieee_inexact 0
		.amdhsa_exception_int_div_zero 0
	.end_amdhsa_kernel
	.section	.text._ZN7rocprim17ROCPRIM_400000_NS6detail17trampoline_kernelINS0_14default_configENS1_38merge_sort_block_merge_config_selectorIiNS0_10empty_typeEEEZZNS1_27merge_sort_block_merge_implIS3_N6thrust23THRUST_200600_302600_NS10device_ptrIiEEPS5_jNS1_19radix_merge_compareILb0ELb0EiNS0_19identity_decomposerEEEEE10hipError_tT0_T1_T2_jT3_P12ihipStream_tbPNSt15iterator_traitsISH_E10value_typeEPNSN_ISI_E10value_typeEPSJ_NS1_7vsmem_tEENKUlT_SH_SI_SJ_E_clIPiSB_SC_SC_EESG_SW_SH_SI_SJ_EUlSW_E0_NS1_11comp_targetILNS1_3genE10ELNS1_11target_archE1201ELNS1_3gpuE5ELNS1_3repE0EEENS1_38merge_mergepath_config_static_selectorELNS0_4arch9wavefront6targetE0EEEvSI_,"axG",@progbits,_ZN7rocprim17ROCPRIM_400000_NS6detail17trampoline_kernelINS0_14default_configENS1_38merge_sort_block_merge_config_selectorIiNS0_10empty_typeEEEZZNS1_27merge_sort_block_merge_implIS3_N6thrust23THRUST_200600_302600_NS10device_ptrIiEEPS5_jNS1_19radix_merge_compareILb0ELb0EiNS0_19identity_decomposerEEEEE10hipError_tT0_T1_T2_jT3_P12ihipStream_tbPNSt15iterator_traitsISH_E10value_typeEPNSN_ISI_E10value_typeEPSJ_NS1_7vsmem_tEENKUlT_SH_SI_SJ_E_clIPiSB_SC_SC_EESG_SW_SH_SI_SJ_EUlSW_E0_NS1_11comp_targetILNS1_3genE10ELNS1_11target_archE1201ELNS1_3gpuE5ELNS1_3repE0EEENS1_38merge_mergepath_config_static_selectorELNS0_4arch9wavefront6targetE0EEEvSI_,comdat
.Lfunc_end1121:
	.size	_ZN7rocprim17ROCPRIM_400000_NS6detail17trampoline_kernelINS0_14default_configENS1_38merge_sort_block_merge_config_selectorIiNS0_10empty_typeEEEZZNS1_27merge_sort_block_merge_implIS3_N6thrust23THRUST_200600_302600_NS10device_ptrIiEEPS5_jNS1_19radix_merge_compareILb0ELb0EiNS0_19identity_decomposerEEEEE10hipError_tT0_T1_T2_jT3_P12ihipStream_tbPNSt15iterator_traitsISH_E10value_typeEPNSN_ISI_E10value_typeEPSJ_NS1_7vsmem_tEENKUlT_SH_SI_SJ_E_clIPiSB_SC_SC_EESG_SW_SH_SI_SJ_EUlSW_E0_NS1_11comp_targetILNS1_3genE10ELNS1_11target_archE1201ELNS1_3gpuE5ELNS1_3repE0EEENS1_38merge_mergepath_config_static_selectorELNS0_4arch9wavefront6targetE0EEEvSI_, .Lfunc_end1121-_ZN7rocprim17ROCPRIM_400000_NS6detail17trampoline_kernelINS0_14default_configENS1_38merge_sort_block_merge_config_selectorIiNS0_10empty_typeEEEZZNS1_27merge_sort_block_merge_implIS3_N6thrust23THRUST_200600_302600_NS10device_ptrIiEEPS5_jNS1_19radix_merge_compareILb0ELb0EiNS0_19identity_decomposerEEEEE10hipError_tT0_T1_T2_jT3_P12ihipStream_tbPNSt15iterator_traitsISH_E10value_typeEPNSN_ISI_E10value_typeEPSJ_NS1_7vsmem_tEENKUlT_SH_SI_SJ_E_clIPiSB_SC_SC_EESG_SW_SH_SI_SJ_EUlSW_E0_NS1_11comp_targetILNS1_3genE10ELNS1_11target_archE1201ELNS1_3gpuE5ELNS1_3repE0EEENS1_38merge_mergepath_config_static_selectorELNS0_4arch9wavefront6targetE0EEEvSI_
                                        ; -- End function
	.set _ZN7rocprim17ROCPRIM_400000_NS6detail17trampoline_kernelINS0_14default_configENS1_38merge_sort_block_merge_config_selectorIiNS0_10empty_typeEEEZZNS1_27merge_sort_block_merge_implIS3_N6thrust23THRUST_200600_302600_NS10device_ptrIiEEPS5_jNS1_19radix_merge_compareILb0ELb0EiNS0_19identity_decomposerEEEEE10hipError_tT0_T1_T2_jT3_P12ihipStream_tbPNSt15iterator_traitsISH_E10value_typeEPNSN_ISI_E10value_typeEPSJ_NS1_7vsmem_tEENKUlT_SH_SI_SJ_E_clIPiSB_SC_SC_EESG_SW_SH_SI_SJ_EUlSW_E0_NS1_11comp_targetILNS1_3genE10ELNS1_11target_archE1201ELNS1_3gpuE5ELNS1_3repE0EEENS1_38merge_mergepath_config_static_selectorELNS0_4arch9wavefront6targetE0EEEvSI_.num_vgpr, 0
	.set _ZN7rocprim17ROCPRIM_400000_NS6detail17trampoline_kernelINS0_14default_configENS1_38merge_sort_block_merge_config_selectorIiNS0_10empty_typeEEEZZNS1_27merge_sort_block_merge_implIS3_N6thrust23THRUST_200600_302600_NS10device_ptrIiEEPS5_jNS1_19radix_merge_compareILb0ELb0EiNS0_19identity_decomposerEEEEE10hipError_tT0_T1_T2_jT3_P12ihipStream_tbPNSt15iterator_traitsISH_E10value_typeEPNSN_ISI_E10value_typeEPSJ_NS1_7vsmem_tEENKUlT_SH_SI_SJ_E_clIPiSB_SC_SC_EESG_SW_SH_SI_SJ_EUlSW_E0_NS1_11comp_targetILNS1_3genE10ELNS1_11target_archE1201ELNS1_3gpuE5ELNS1_3repE0EEENS1_38merge_mergepath_config_static_selectorELNS0_4arch9wavefront6targetE0EEEvSI_.num_agpr, 0
	.set _ZN7rocprim17ROCPRIM_400000_NS6detail17trampoline_kernelINS0_14default_configENS1_38merge_sort_block_merge_config_selectorIiNS0_10empty_typeEEEZZNS1_27merge_sort_block_merge_implIS3_N6thrust23THRUST_200600_302600_NS10device_ptrIiEEPS5_jNS1_19radix_merge_compareILb0ELb0EiNS0_19identity_decomposerEEEEE10hipError_tT0_T1_T2_jT3_P12ihipStream_tbPNSt15iterator_traitsISH_E10value_typeEPNSN_ISI_E10value_typeEPSJ_NS1_7vsmem_tEENKUlT_SH_SI_SJ_E_clIPiSB_SC_SC_EESG_SW_SH_SI_SJ_EUlSW_E0_NS1_11comp_targetILNS1_3genE10ELNS1_11target_archE1201ELNS1_3gpuE5ELNS1_3repE0EEENS1_38merge_mergepath_config_static_selectorELNS0_4arch9wavefront6targetE0EEEvSI_.numbered_sgpr, 0
	.set _ZN7rocprim17ROCPRIM_400000_NS6detail17trampoline_kernelINS0_14default_configENS1_38merge_sort_block_merge_config_selectorIiNS0_10empty_typeEEEZZNS1_27merge_sort_block_merge_implIS3_N6thrust23THRUST_200600_302600_NS10device_ptrIiEEPS5_jNS1_19radix_merge_compareILb0ELb0EiNS0_19identity_decomposerEEEEE10hipError_tT0_T1_T2_jT3_P12ihipStream_tbPNSt15iterator_traitsISH_E10value_typeEPNSN_ISI_E10value_typeEPSJ_NS1_7vsmem_tEENKUlT_SH_SI_SJ_E_clIPiSB_SC_SC_EESG_SW_SH_SI_SJ_EUlSW_E0_NS1_11comp_targetILNS1_3genE10ELNS1_11target_archE1201ELNS1_3gpuE5ELNS1_3repE0EEENS1_38merge_mergepath_config_static_selectorELNS0_4arch9wavefront6targetE0EEEvSI_.num_named_barrier, 0
	.set _ZN7rocprim17ROCPRIM_400000_NS6detail17trampoline_kernelINS0_14default_configENS1_38merge_sort_block_merge_config_selectorIiNS0_10empty_typeEEEZZNS1_27merge_sort_block_merge_implIS3_N6thrust23THRUST_200600_302600_NS10device_ptrIiEEPS5_jNS1_19radix_merge_compareILb0ELb0EiNS0_19identity_decomposerEEEEE10hipError_tT0_T1_T2_jT3_P12ihipStream_tbPNSt15iterator_traitsISH_E10value_typeEPNSN_ISI_E10value_typeEPSJ_NS1_7vsmem_tEENKUlT_SH_SI_SJ_E_clIPiSB_SC_SC_EESG_SW_SH_SI_SJ_EUlSW_E0_NS1_11comp_targetILNS1_3genE10ELNS1_11target_archE1201ELNS1_3gpuE5ELNS1_3repE0EEENS1_38merge_mergepath_config_static_selectorELNS0_4arch9wavefront6targetE0EEEvSI_.private_seg_size, 0
	.set _ZN7rocprim17ROCPRIM_400000_NS6detail17trampoline_kernelINS0_14default_configENS1_38merge_sort_block_merge_config_selectorIiNS0_10empty_typeEEEZZNS1_27merge_sort_block_merge_implIS3_N6thrust23THRUST_200600_302600_NS10device_ptrIiEEPS5_jNS1_19radix_merge_compareILb0ELb0EiNS0_19identity_decomposerEEEEE10hipError_tT0_T1_T2_jT3_P12ihipStream_tbPNSt15iterator_traitsISH_E10value_typeEPNSN_ISI_E10value_typeEPSJ_NS1_7vsmem_tEENKUlT_SH_SI_SJ_E_clIPiSB_SC_SC_EESG_SW_SH_SI_SJ_EUlSW_E0_NS1_11comp_targetILNS1_3genE10ELNS1_11target_archE1201ELNS1_3gpuE5ELNS1_3repE0EEENS1_38merge_mergepath_config_static_selectorELNS0_4arch9wavefront6targetE0EEEvSI_.uses_vcc, 0
	.set _ZN7rocprim17ROCPRIM_400000_NS6detail17trampoline_kernelINS0_14default_configENS1_38merge_sort_block_merge_config_selectorIiNS0_10empty_typeEEEZZNS1_27merge_sort_block_merge_implIS3_N6thrust23THRUST_200600_302600_NS10device_ptrIiEEPS5_jNS1_19radix_merge_compareILb0ELb0EiNS0_19identity_decomposerEEEEE10hipError_tT0_T1_T2_jT3_P12ihipStream_tbPNSt15iterator_traitsISH_E10value_typeEPNSN_ISI_E10value_typeEPSJ_NS1_7vsmem_tEENKUlT_SH_SI_SJ_E_clIPiSB_SC_SC_EESG_SW_SH_SI_SJ_EUlSW_E0_NS1_11comp_targetILNS1_3genE10ELNS1_11target_archE1201ELNS1_3gpuE5ELNS1_3repE0EEENS1_38merge_mergepath_config_static_selectorELNS0_4arch9wavefront6targetE0EEEvSI_.uses_flat_scratch, 0
	.set _ZN7rocprim17ROCPRIM_400000_NS6detail17trampoline_kernelINS0_14default_configENS1_38merge_sort_block_merge_config_selectorIiNS0_10empty_typeEEEZZNS1_27merge_sort_block_merge_implIS3_N6thrust23THRUST_200600_302600_NS10device_ptrIiEEPS5_jNS1_19radix_merge_compareILb0ELb0EiNS0_19identity_decomposerEEEEE10hipError_tT0_T1_T2_jT3_P12ihipStream_tbPNSt15iterator_traitsISH_E10value_typeEPNSN_ISI_E10value_typeEPSJ_NS1_7vsmem_tEENKUlT_SH_SI_SJ_E_clIPiSB_SC_SC_EESG_SW_SH_SI_SJ_EUlSW_E0_NS1_11comp_targetILNS1_3genE10ELNS1_11target_archE1201ELNS1_3gpuE5ELNS1_3repE0EEENS1_38merge_mergepath_config_static_selectorELNS0_4arch9wavefront6targetE0EEEvSI_.has_dyn_sized_stack, 0
	.set _ZN7rocprim17ROCPRIM_400000_NS6detail17trampoline_kernelINS0_14default_configENS1_38merge_sort_block_merge_config_selectorIiNS0_10empty_typeEEEZZNS1_27merge_sort_block_merge_implIS3_N6thrust23THRUST_200600_302600_NS10device_ptrIiEEPS5_jNS1_19radix_merge_compareILb0ELb0EiNS0_19identity_decomposerEEEEE10hipError_tT0_T1_T2_jT3_P12ihipStream_tbPNSt15iterator_traitsISH_E10value_typeEPNSN_ISI_E10value_typeEPSJ_NS1_7vsmem_tEENKUlT_SH_SI_SJ_E_clIPiSB_SC_SC_EESG_SW_SH_SI_SJ_EUlSW_E0_NS1_11comp_targetILNS1_3genE10ELNS1_11target_archE1201ELNS1_3gpuE5ELNS1_3repE0EEENS1_38merge_mergepath_config_static_selectorELNS0_4arch9wavefront6targetE0EEEvSI_.has_recursion, 0
	.set _ZN7rocprim17ROCPRIM_400000_NS6detail17trampoline_kernelINS0_14default_configENS1_38merge_sort_block_merge_config_selectorIiNS0_10empty_typeEEEZZNS1_27merge_sort_block_merge_implIS3_N6thrust23THRUST_200600_302600_NS10device_ptrIiEEPS5_jNS1_19radix_merge_compareILb0ELb0EiNS0_19identity_decomposerEEEEE10hipError_tT0_T1_T2_jT3_P12ihipStream_tbPNSt15iterator_traitsISH_E10value_typeEPNSN_ISI_E10value_typeEPSJ_NS1_7vsmem_tEENKUlT_SH_SI_SJ_E_clIPiSB_SC_SC_EESG_SW_SH_SI_SJ_EUlSW_E0_NS1_11comp_targetILNS1_3genE10ELNS1_11target_archE1201ELNS1_3gpuE5ELNS1_3repE0EEENS1_38merge_mergepath_config_static_selectorELNS0_4arch9wavefront6targetE0EEEvSI_.has_indirect_call, 0
	.section	.AMDGPU.csdata,"",@progbits
; Kernel info:
; codeLenInByte = 0
; TotalNumSgprs: 0
; NumVgprs: 0
; ScratchSize: 0
; MemoryBound: 0
; FloatMode: 240
; IeeeMode: 1
; LDSByteSize: 0 bytes/workgroup (compile time only)
; SGPRBlocks: 0
; VGPRBlocks: 0
; NumSGPRsForWavesPerEU: 1
; NumVGPRsForWavesPerEU: 1
; Occupancy: 16
; WaveLimiterHint : 0
; COMPUTE_PGM_RSRC2:SCRATCH_EN: 0
; COMPUTE_PGM_RSRC2:USER_SGPR: 6
; COMPUTE_PGM_RSRC2:TRAP_HANDLER: 0
; COMPUTE_PGM_RSRC2:TGID_X_EN: 1
; COMPUTE_PGM_RSRC2:TGID_Y_EN: 0
; COMPUTE_PGM_RSRC2:TGID_Z_EN: 0
; COMPUTE_PGM_RSRC2:TIDIG_COMP_CNT: 0
	.section	.text._ZN7rocprim17ROCPRIM_400000_NS6detail17trampoline_kernelINS0_14default_configENS1_38merge_sort_block_merge_config_selectorIiNS0_10empty_typeEEEZZNS1_27merge_sort_block_merge_implIS3_N6thrust23THRUST_200600_302600_NS10device_ptrIiEEPS5_jNS1_19radix_merge_compareILb0ELb0EiNS0_19identity_decomposerEEEEE10hipError_tT0_T1_T2_jT3_P12ihipStream_tbPNSt15iterator_traitsISH_E10value_typeEPNSN_ISI_E10value_typeEPSJ_NS1_7vsmem_tEENKUlT_SH_SI_SJ_E_clIPiSB_SC_SC_EESG_SW_SH_SI_SJ_EUlSW_E0_NS1_11comp_targetILNS1_3genE5ELNS1_11target_archE942ELNS1_3gpuE9ELNS1_3repE0EEENS1_38merge_mergepath_config_static_selectorELNS0_4arch9wavefront6targetE0EEEvSI_,"axG",@progbits,_ZN7rocprim17ROCPRIM_400000_NS6detail17trampoline_kernelINS0_14default_configENS1_38merge_sort_block_merge_config_selectorIiNS0_10empty_typeEEEZZNS1_27merge_sort_block_merge_implIS3_N6thrust23THRUST_200600_302600_NS10device_ptrIiEEPS5_jNS1_19radix_merge_compareILb0ELb0EiNS0_19identity_decomposerEEEEE10hipError_tT0_T1_T2_jT3_P12ihipStream_tbPNSt15iterator_traitsISH_E10value_typeEPNSN_ISI_E10value_typeEPSJ_NS1_7vsmem_tEENKUlT_SH_SI_SJ_E_clIPiSB_SC_SC_EESG_SW_SH_SI_SJ_EUlSW_E0_NS1_11comp_targetILNS1_3genE5ELNS1_11target_archE942ELNS1_3gpuE9ELNS1_3repE0EEENS1_38merge_mergepath_config_static_selectorELNS0_4arch9wavefront6targetE0EEEvSI_,comdat
	.protected	_ZN7rocprim17ROCPRIM_400000_NS6detail17trampoline_kernelINS0_14default_configENS1_38merge_sort_block_merge_config_selectorIiNS0_10empty_typeEEEZZNS1_27merge_sort_block_merge_implIS3_N6thrust23THRUST_200600_302600_NS10device_ptrIiEEPS5_jNS1_19radix_merge_compareILb0ELb0EiNS0_19identity_decomposerEEEEE10hipError_tT0_T1_T2_jT3_P12ihipStream_tbPNSt15iterator_traitsISH_E10value_typeEPNSN_ISI_E10value_typeEPSJ_NS1_7vsmem_tEENKUlT_SH_SI_SJ_E_clIPiSB_SC_SC_EESG_SW_SH_SI_SJ_EUlSW_E0_NS1_11comp_targetILNS1_3genE5ELNS1_11target_archE942ELNS1_3gpuE9ELNS1_3repE0EEENS1_38merge_mergepath_config_static_selectorELNS0_4arch9wavefront6targetE0EEEvSI_ ; -- Begin function _ZN7rocprim17ROCPRIM_400000_NS6detail17trampoline_kernelINS0_14default_configENS1_38merge_sort_block_merge_config_selectorIiNS0_10empty_typeEEEZZNS1_27merge_sort_block_merge_implIS3_N6thrust23THRUST_200600_302600_NS10device_ptrIiEEPS5_jNS1_19radix_merge_compareILb0ELb0EiNS0_19identity_decomposerEEEEE10hipError_tT0_T1_T2_jT3_P12ihipStream_tbPNSt15iterator_traitsISH_E10value_typeEPNSN_ISI_E10value_typeEPSJ_NS1_7vsmem_tEENKUlT_SH_SI_SJ_E_clIPiSB_SC_SC_EESG_SW_SH_SI_SJ_EUlSW_E0_NS1_11comp_targetILNS1_3genE5ELNS1_11target_archE942ELNS1_3gpuE9ELNS1_3repE0EEENS1_38merge_mergepath_config_static_selectorELNS0_4arch9wavefront6targetE0EEEvSI_
	.globl	_ZN7rocprim17ROCPRIM_400000_NS6detail17trampoline_kernelINS0_14default_configENS1_38merge_sort_block_merge_config_selectorIiNS0_10empty_typeEEEZZNS1_27merge_sort_block_merge_implIS3_N6thrust23THRUST_200600_302600_NS10device_ptrIiEEPS5_jNS1_19radix_merge_compareILb0ELb0EiNS0_19identity_decomposerEEEEE10hipError_tT0_T1_T2_jT3_P12ihipStream_tbPNSt15iterator_traitsISH_E10value_typeEPNSN_ISI_E10value_typeEPSJ_NS1_7vsmem_tEENKUlT_SH_SI_SJ_E_clIPiSB_SC_SC_EESG_SW_SH_SI_SJ_EUlSW_E0_NS1_11comp_targetILNS1_3genE5ELNS1_11target_archE942ELNS1_3gpuE9ELNS1_3repE0EEENS1_38merge_mergepath_config_static_selectorELNS0_4arch9wavefront6targetE0EEEvSI_
	.p2align	8
	.type	_ZN7rocprim17ROCPRIM_400000_NS6detail17trampoline_kernelINS0_14default_configENS1_38merge_sort_block_merge_config_selectorIiNS0_10empty_typeEEEZZNS1_27merge_sort_block_merge_implIS3_N6thrust23THRUST_200600_302600_NS10device_ptrIiEEPS5_jNS1_19radix_merge_compareILb0ELb0EiNS0_19identity_decomposerEEEEE10hipError_tT0_T1_T2_jT3_P12ihipStream_tbPNSt15iterator_traitsISH_E10value_typeEPNSN_ISI_E10value_typeEPSJ_NS1_7vsmem_tEENKUlT_SH_SI_SJ_E_clIPiSB_SC_SC_EESG_SW_SH_SI_SJ_EUlSW_E0_NS1_11comp_targetILNS1_3genE5ELNS1_11target_archE942ELNS1_3gpuE9ELNS1_3repE0EEENS1_38merge_mergepath_config_static_selectorELNS0_4arch9wavefront6targetE0EEEvSI_,@function
_ZN7rocprim17ROCPRIM_400000_NS6detail17trampoline_kernelINS0_14default_configENS1_38merge_sort_block_merge_config_selectorIiNS0_10empty_typeEEEZZNS1_27merge_sort_block_merge_implIS3_N6thrust23THRUST_200600_302600_NS10device_ptrIiEEPS5_jNS1_19radix_merge_compareILb0ELb0EiNS0_19identity_decomposerEEEEE10hipError_tT0_T1_T2_jT3_P12ihipStream_tbPNSt15iterator_traitsISH_E10value_typeEPNSN_ISI_E10value_typeEPSJ_NS1_7vsmem_tEENKUlT_SH_SI_SJ_E_clIPiSB_SC_SC_EESG_SW_SH_SI_SJ_EUlSW_E0_NS1_11comp_targetILNS1_3genE5ELNS1_11target_archE942ELNS1_3gpuE9ELNS1_3repE0EEENS1_38merge_mergepath_config_static_selectorELNS0_4arch9wavefront6targetE0EEEvSI_: ; @_ZN7rocprim17ROCPRIM_400000_NS6detail17trampoline_kernelINS0_14default_configENS1_38merge_sort_block_merge_config_selectorIiNS0_10empty_typeEEEZZNS1_27merge_sort_block_merge_implIS3_N6thrust23THRUST_200600_302600_NS10device_ptrIiEEPS5_jNS1_19radix_merge_compareILb0ELb0EiNS0_19identity_decomposerEEEEE10hipError_tT0_T1_T2_jT3_P12ihipStream_tbPNSt15iterator_traitsISH_E10value_typeEPNSN_ISI_E10value_typeEPSJ_NS1_7vsmem_tEENKUlT_SH_SI_SJ_E_clIPiSB_SC_SC_EESG_SW_SH_SI_SJ_EUlSW_E0_NS1_11comp_targetILNS1_3genE5ELNS1_11target_archE942ELNS1_3gpuE9ELNS1_3repE0EEENS1_38merge_mergepath_config_static_selectorELNS0_4arch9wavefront6targetE0EEEvSI_
; %bb.0:
	.section	.rodata,"a",@progbits
	.p2align	6, 0x0
	.amdhsa_kernel _ZN7rocprim17ROCPRIM_400000_NS6detail17trampoline_kernelINS0_14default_configENS1_38merge_sort_block_merge_config_selectorIiNS0_10empty_typeEEEZZNS1_27merge_sort_block_merge_implIS3_N6thrust23THRUST_200600_302600_NS10device_ptrIiEEPS5_jNS1_19radix_merge_compareILb0ELb0EiNS0_19identity_decomposerEEEEE10hipError_tT0_T1_T2_jT3_P12ihipStream_tbPNSt15iterator_traitsISH_E10value_typeEPNSN_ISI_E10value_typeEPSJ_NS1_7vsmem_tEENKUlT_SH_SI_SJ_E_clIPiSB_SC_SC_EESG_SW_SH_SI_SJ_EUlSW_E0_NS1_11comp_targetILNS1_3genE5ELNS1_11target_archE942ELNS1_3gpuE9ELNS1_3repE0EEENS1_38merge_mergepath_config_static_selectorELNS0_4arch9wavefront6targetE0EEEvSI_
		.amdhsa_group_segment_fixed_size 0
		.amdhsa_private_segment_fixed_size 0
		.amdhsa_kernarg_size 64
		.amdhsa_user_sgpr_count 6
		.amdhsa_user_sgpr_private_segment_buffer 1
		.amdhsa_user_sgpr_dispatch_ptr 0
		.amdhsa_user_sgpr_queue_ptr 0
		.amdhsa_user_sgpr_kernarg_segment_ptr 1
		.amdhsa_user_sgpr_dispatch_id 0
		.amdhsa_user_sgpr_flat_scratch_init 0
		.amdhsa_user_sgpr_private_segment_size 0
		.amdhsa_wavefront_size32 1
		.amdhsa_uses_dynamic_stack 0
		.amdhsa_system_sgpr_private_segment_wavefront_offset 0
		.amdhsa_system_sgpr_workgroup_id_x 1
		.amdhsa_system_sgpr_workgroup_id_y 0
		.amdhsa_system_sgpr_workgroup_id_z 0
		.amdhsa_system_sgpr_workgroup_info 0
		.amdhsa_system_vgpr_workitem_id 0
		.amdhsa_next_free_vgpr 1
		.amdhsa_next_free_sgpr 1
		.amdhsa_reserve_vcc 0
		.amdhsa_reserve_flat_scratch 0
		.amdhsa_float_round_mode_32 0
		.amdhsa_float_round_mode_16_64 0
		.amdhsa_float_denorm_mode_32 3
		.amdhsa_float_denorm_mode_16_64 3
		.amdhsa_dx10_clamp 1
		.amdhsa_ieee_mode 1
		.amdhsa_fp16_overflow 0
		.amdhsa_workgroup_processor_mode 1
		.amdhsa_memory_ordered 1
		.amdhsa_forward_progress 1
		.amdhsa_shared_vgpr_count 0
		.amdhsa_exception_fp_ieee_invalid_op 0
		.amdhsa_exception_fp_denorm_src 0
		.amdhsa_exception_fp_ieee_div_zero 0
		.amdhsa_exception_fp_ieee_overflow 0
		.amdhsa_exception_fp_ieee_underflow 0
		.amdhsa_exception_fp_ieee_inexact 0
		.amdhsa_exception_int_div_zero 0
	.end_amdhsa_kernel
	.section	.text._ZN7rocprim17ROCPRIM_400000_NS6detail17trampoline_kernelINS0_14default_configENS1_38merge_sort_block_merge_config_selectorIiNS0_10empty_typeEEEZZNS1_27merge_sort_block_merge_implIS3_N6thrust23THRUST_200600_302600_NS10device_ptrIiEEPS5_jNS1_19radix_merge_compareILb0ELb0EiNS0_19identity_decomposerEEEEE10hipError_tT0_T1_T2_jT3_P12ihipStream_tbPNSt15iterator_traitsISH_E10value_typeEPNSN_ISI_E10value_typeEPSJ_NS1_7vsmem_tEENKUlT_SH_SI_SJ_E_clIPiSB_SC_SC_EESG_SW_SH_SI_SJ_EUlSW_E0_NS1_11comp_targetILNS1_3genE5ELNS1_11target_archE942ELNS1_3gpuE9ELNS1_3repE0EEENS1_38merge_mergepath_config_static_selectorELNS0_4arch9wavefront6targetE0EEEvSI_,"axG",@progbits,_ZN7rocprim17ROCPRIM_400000_NS6detail17trampoline_kernelINS0_14default_configENS1_38merge_sort_block_merge_config_selectorIiNS0_10empty_typeEEEZZNS1_27merge_sort_block_merge_implIS3_N6thrust23THRUST_200600_302600_NS10device_ptrIiEEPS5_jNS1_19radix_merge_compareILb0ELb0EiNS0_19identity_decomposerEEEEE10hipError_tT0_T1_T2_jT3_P12ihipStream_tbPNSt15iterator_traitsISH_E10value_typeEPNSN_ISI_E10value_typeEPSJ_NS1_7vsmem_tEENKUlT_SH_SI_SJ_E_clIPiSB_SC_SC_EESG_SW_SH_SI_SJ_EUlSW_E0_NS1_11comp_targetILNS1_3genE5ELNS1_11target_archE942ELNS1_3gpuE9ELNS1_3repE0EEENS1_38merge_mergepath_config_static_selectorELNS0_4arch9wavefront6targetE0EEEvSI_,comdat
.Lfunc_end1122:
	.size	_ZN7rocprim17ROCPRIM_400000_NS6detail17trampoline_kernelINS0_14default_configENS1_38merge_sort_block_merge_config_selectorIiNS0_10empty_typeEEEZZNS1_27merge_sort_block_merge_implIS3_N6thrust23THRUST_200600_302600_NS10device_ptrIiEEPS5_jNS1_19radix_merge_compareILb0ELb0EiNS0_19identity_decomposerEEEEE10hipError_tT0_T1_T2_jT3_P12ihipStream_tbPNSt15iterator_traitsISH_E10value_typeEPNSN_ISI_E10value_typeEPSJ_NS1_7vsmem_tEENKUlT_SH_SI_SJ_E_clIPiSB_SC_SC_EESG_SW_SH_SI_SJ_EUlSW_E0_NS1_11comp_targetILNS1_3genE5ELNS1_11target_archE942ELNS1_3gpuE9ELNS1_3repE0EEENS1_38merge_mergepath_config_static_selectorELNS0_4arch9wavefront6targetE0EEEvSI_, .Lfunc_end1122-_ZN7rocprim17ROCPRIM_400000_NS6detail17trampoline_kernelINS0_14default_configENS1_38merge_sort_block_merge_config_selectorIiNS0_10empty_typeEEEZZNS1_27merge_sort_block_merge_implIS3_N6thrust23THRUST_200600_302600_NS10device_ptrIiEEPS5_jNS1_19radix_merge_compareILb0ELb0EiNS0_19identity_decomposerEEEEE10hipError_tT0_T1_T2_jT3_P12ihipStream_tbPNSt15iterator_traitsISH_E10value_typeEPNSN_ISI_E10value_typeEPSJ_NS1_7vsmem_tEENKUlT_SH_SI_SJ_E_clIPiSB_SC_SC_EESG_SW_SH_SI_SJ_EUlSW_E0_NS1_11comp_targetILNS1_3genE5ELNS1_11target_archE942ELNS1_3gpuE9ELNS1_3repE0EEENS1_38merge_mergepath_config_static_selectorELNS0_4arch9wavefront6targetE0EEEvSI_
                                        ; -- End function
	.set _ZN7rocprim17ROCPRIM_400000_NS6detail17trampoline_kernelINS0_14default_configENS1_38merge_sort_block_merge_config_selectorIiNS0_10empty_typeEEEZZNS1_27merge_sort_block_merge_implIS3_N6thrust23THRUST_200600_302600_NS10device_ptrIiEEPS5_jNS1_19radix_merge_compareILb0ELb0EiNS0_19identity_decomposerEEEEE10hipError_tT0_T1_T2_jT3_P12ihipStream_tbPNSt15iterator_traitsISH_E10value_typeEPNSN_ISI_E10value_typeEPSJ_NS1_7vsmem_tEENKUlT_SH_SI_SJ_E_clIPiSB_SC_SC_EESG_SW_SH_SI_SJ_EUlSW_E0_NS1_11comp_targetILNS1_3genE5ELNS1_11target_archE942ELNS1_3gpuE9ELNS1_3repE0EEENS1_38merge_mergepath_config_static_selectorELNS0_4arch9wavefront6targetE0EEEvSI_.num_vgpr, 0
	.set _ZN7rocprim17ROCPRIM_400000_NS6detail17trampoline_kernelINS0_14default_configENS1_38merge_sort_block_merge_config_selectorIiNS0_10empty_typeEEEZZNS1_27merge_sort_block_merge_implIS3_N6thrust23THRUST_200600_302600_NS10device_ptrIiEEPS5_jNS1_19radix_merge_compareILb0ELb0EiNS0_19identity_decomposerEEEEE10hipError_tT0_T1_T2_jT3_P12ihipStream_tbPNSt15iterator_traitsISH_E10value_typeEPNSN_ISI_E10value_typeEPSJ_NS1_7vsmem_tEENKUlT_SH_SI_SJ_E_clIPiSB_SC_SC_EESG_SW_SH_SI_SJ_EUlSW_E0_NS1_11comp_targetILNS1_3genE5ELNS1_11target_archE942ELNS1_3gpuE9ELNS1_3repE0EEENS1_38merge_mergepath_config_static_selectorELNS0_4arch9wavefront6targetE0EEEvSI_.num_agpr, 0
	.set _ZN7rocprim17ROCPRIM_400000_NS6detail17trampoline_kernelINS0_14default_configENS1_38merge_sort_block_merge_config_selectorIiNS0_10empty_typeEEEZZNS1_27merge_sort_block_merge_implIS3_N6thrust23THRUST_200600_302600_NS10device_ptrIiEEPS5_jNS1_19radix_merge_compareILb0ELb0EiNS0_19identity_decomposerEEEEE10hipError_tT0_T1_T2_jT3_P12ihipStream_tbPNSt15iterator_traitsISH_E10value_typeEPNSN_ISI_E10value_typeEPSJ_NS1_7vsmem_tEENKUlT_SH_SI_SJ_E_clIPiSB_SC_SC_EESG_SW_SH_SI_SJ_EUlSW_E0_NS1_11comp_targetILNS1_3genE5ELNS1_11target_archE942ELNS1_3gpuE9ELNS1_3repE0EEENS1_38merge_mergepath_config_static_selectorELNS0_4arch9wavefront6targetE0EEEvSI_.numbered_sgpr, 0
	.set _ZN7rocprim17ROCPRIM_400000_NS6detail17trampoline_kernelINS0_14default_configENS1_38merge_sort_block_merge_config_selectorIiNS0_10empty_typeEEEZZNS1_27merge_sort_block_merge_implIS3_N6thrust23THRUST_200600_302600_NS10device_ptrIiEEPS5_jNS1_19radix_merge_compareILb0ELb0EiNS0_19identity_decomposerEEEEE10hipError_tT0_T1_T2_jT3_P12ihipStream_tbPNSt15iterator_traitsISH_E10value_typeEPNSN_ISI_E10value_typeEPSJ_NS1_7vsmem_tEENKUlT_SH_SI_SJ_E_clIPiSB_SC_SC_EESG_SW_SH_SI_SJ_EUlSW_E0_NS1_11comp_targetILNS1_3genE5ELNS1_11target_archE942ELNS1_3gpuE9ELNS1_3repE0EEENS1_38merge_mergepath_config_static_selectorELNS0_4arch9wavefront6targetE0EEEvSI_.num_named_barrier, 0
	.set _ZN7rocprim17ROCPRIM_400000_NS6detail17trampoline_kernelINS0_14default_configENS1_38merge_sort_block_merge_config_selectorIiNS0_10empty_typeEEEZZNS1_27merge_sort_block_merge_implIS3_N6thrust23THRUST_200600_302600_NS10device_ptrIiEEPS5_jNS1_19radix_merge_compareILb0ELb0EiNS0_19identity_decomposerEEEEE10hipError_tT0_T1_T2_jT3_P12ihipStream_tbPNSt15iterator_traitsISH_E10value_typeEPNSN_ISI_E10value_typeEPSJ_NS1_7vsmem_tEENKUlT_SH_SI_SJ_E_clIPiSB_SC_SC_EESG_SW_SH_SI_SJ_EUlSW_E0_NS1_11comp_targetILNS1_3genE5ELNS1_11target_archE942ELNS1_3gpuE9ELNS1_3repE0EEENS1_38merge_mergepath_config_static_selectorELNS0_4arch9wavefront6targetE0EEEvSI_.private_seg_size, 0
	.set _ZN7rocprim17ROCPRIM_400000_NS6detail17trampoline_kernelINS0_14default_configENS1_38merge_sort_block_merge_config_selectorIiNS0_10empty_typeEEEZZNS1_27merge_sort_block_merge_implIS3_N6thrust23THRUST_200600_302600_NS10device_ptrIiEEPS5_jNS1_19radix_merge_compareILb0ELb0EiNS0_19identity_decomposerEEEEE10hipError_tT0_T1_T2_jT3_P12ihipStream_tbPNSt15iterator_traitsISH_E10value_typeEPNSN_ISI_E10value_typeEPSJ_NS1_7vsmem_tEENKUlT_SH_SI_SJ_E_clIPiSB_SC_SC_EESG_SW_SH_SI_SJ_EUlSW_E0_NS1_11comp_targetILNS1_3genE5ELNS1_11target_archE942ELNS1_3gpuE9ELNS1_3repE0EEENS1_38merge_mergepath_config_static_selectorELNS0_4arch9wavefront6targetE0EEEvSI_.uses_vcc, 0
	.set _ZN7rocprim17ROCPRIM_400000_NS6detail17trampoline_kernelINS0_14default_configENS1_38merge_sort_block_merge_config_selectorIiNS0_10empty_typeEEEZZNS1_27merge_sort_block_merge_implIS3_N6thrust23THRUST_200600_302600_NS10device_ptrIiEEPS5_jNS1_19radix_merge_compareILb0ELb0EiNS0_19identity_decomposerEEEEE10hipError_tT0_T1_T2_jT3_P12ihipStream_tbPNSt15iterator_traitsISH_E10value_typeEPNSN_ISI_E10value_typeEPSJ_NS1_7vsmem_tEENKUlT_SH_SI_SJ_E_clIPiSB_SC_SC_EESG_SW_SH_SI_SJ_EUlSW_E0_NS1_11comp_targetILNS1_3genE5ELNS1_11target_archE942ELNS1_3gpuE9ELNS1_3repE0EEENS1_38merge_mergepath_config_static_selectorELNS0_4arch9wavefront6targetE0EEEvSI_.uses_flat_scratch, 0
	.set _ZN7rocprim17ROCPRIM_400000_NS6detail17trampoline_kernelINS0_14default_configENS1_38merge_sort_block_merge_config_selectorIiNS0_10empty_typeEEEZZNS1_27merge_sort_block_merge_implIS3_N6thrust23THRUST_200600_302600_NS10device_ptrIiEEPS5_jNS1_19radix_merge_compareILb0ELb0EiNS0_19identity_decomposerEEEEE10hipError_tT0_T1_T2_jT3_P12ihipStream_tbPNSt15iterator_traitsISH_E10value_typeEPNSN_ISI_E10value_typeEPSJ_NS1_7vsmem_tEENKUlT_SH_SI_SJ_E_clIPiSB_SC_SC_EESG_SW_SH_SI_SJ_EUlSW_E0_NS1_11comp_targetILNS1_3genE5ELNS1_11target_archE942ELNS1_3gpuE9ELNS1_3repE0EEENS1_38merge_mergepath_config_static_selectorELNS0_4arch9wavefront6targetE0EEEvSI_.has_dyn_sized_stack, 0
	.set _ZN7rocprim17ROCPRIM_400000_NS6detail17trampoline_kernelINS0_14default_configENS1_38merge_sort_block_merge_config_selectorIiNS0_10empty_typeEEEZZNS1_27merge_sort_block_merge_implIS3_N6thrust23THRUST_200600_302600_NS10device_ptrIiEEPS5_jNS1_19radix_merge_compareILb0ELb0EiNS0_19identity_decomposerEEEEE10hipError_tT0_T1_T2_jT3_P12ihipStream_tbPNSt15iterator_traitsISH_E10value_typeEPNSN_ISI_E10value_typeEPSJ_NS1_7vsmem_tEENKUlT_SH_SI_SJ_E_clIPiSB_SC_SC_EESG_SW_SH_SI_SJ_EUlSW_E0_NS1_11comp_targetILNS1_3genE5ELNS1_11target_archE942ELNS1_3gpuE9ELNS1_3repE0EEENS1_38merge_mergepath_config_static_selectorELNS0_4arch9wavefront6targetE0EEEvSI_.has_recursion, 0
	.set _ZN7rocprim17ROCPRIM_400000_NS6detail17trampoline_kernelINS0_14default_configENS1_38merge_sort_block_merge_config_selectorIiNS0_10empty_typeEEEZZNS1_27merge_sort_block_merge_implIS3_N6thrust23THRUST_200600_302600_NS10device_ptrIiEEPS5_jNS1_19radix_merge_compareILb0ELb0EiNS0_19identity_decomposerEEEEE10hipError_tT0_T1_T2_jT3_P12ihipStream_tbPNSt15iterator_traitsISH_E10value_typeEPNSN_ISI_E10value_typeEPSJ_NS1_7vsmem_tEENKUlT_SH_SI_SJ_E_clIPiSB_SC_SC_EESG_SW_SH_SI_SJ_EUlSW_E0_NS1_11comp_targetILNS1_3genE5ELNS1_11target_archE942ELNS1_3gpuE9ELNS1_3repE0EEENS1_38merge_mergepath_config_static_selectorELNS0_4arch9wavefront6targetE0EEEvSI_.has_indirect_call, 0
	.section	.AMDGPU.csdata,"",@progbits
; Kernel info:
; codeLenInByte = 0
; TotalNumSgprs: 0
; NumVgprs: 0
; ScratchSize: 0
; MemoryBound: 0
; FloatMode: 240
; IeeeMode: 1
; LDSByteSize: 0 bytes/workgroup (compile time only)
; SGPRBlocks: 0
; VGPRBlocks: 0
; NumSGPRsForWavesPerEU: 1
; NumVGPRsForWavesPerEU: 1
; Occupancy: 16
; WaveLimiterHint : 0
; COMPUTE_PGM_RSRC2:SCRATCH_EN: 0
; COMPUTE_PGM_RSRC2:USER_SGPR: 6
; COMPUTE_PGM_RSRC2:TRAP_HANDLER: 0
; COMPUTE_PGM_RSRC2:TGID_X_EN: 1
; COMPUTE_PGM_RSRC2:TGID_Y_EN: 0
; COMPUTE_PGM_RSRC2:TGID_Z_EN: 0
; COMPUTE_PGM_RSRC2:TIDIG_COMP_CNT: 0
	.section	.text._ZN7rocprim17ROCPRIM_400000_NS6detail17trampoline_kernelINS0_14default_configENS1_38merge_sort_block_merge_config_selectorIiNS0_10empty_typeEEEZZNS1_27merge_sort_block_merge_implIS3_N6thrust23THRUST_200600_302600_NS10device_ptrIiEEPS5_jNS1_19radix_merge_compareILb0ELb0EiNS0_19identity_decomposerEEEEE10hipError_tT0_T1_T2_jT3_P12ihipStream_tbPNSt15iterator_traitsISH_E10value_typeEPNSN_ISI_E10value_typeEPSJ_NS1_7vsmem_tEENKUlT_SH_SI_SJ_E_clIPiSB_SC_SC_EESG_SW_SH_SI_SJ_EUlSW_E0_NS1_11comp_targetILNS1_3genE4ELNS1_11target_archE910ELNS1_3gpuE8ELNS1_3repE0EEENS1_38merge_mergepath_config_static_selectorELNS0_4arch9wavefront6targetE0EEEvSI_,"axG",@progbits,_ZN7rocprim17ROCPRIM_400000_NS6detail17trampoline_kernelINS0_14default_configENS1_38merge_sort_block_merge_config_selectorIiNS0_10empty_typeEEEZZNS1_27merge_sort_block_merge_implIS3_N6thrust23THRUST_200600_302600_NS10device_ptrIiEEPS5_jNS1_19radix_merge_compareILb0ELb0EiNS0_19identity_decomposerEEEEE10hipError_tT0_T1_T2_jT3_P12ihipStream_tbPNSt15iterator_traitsISH_E10value_typeEPNSN_ISI_E10value_typeEPSJ_NS1_7vsmem_tEENKUlT_SH_SI_SJ_E_clIPiSB_SC_SC_EESG_SW_SH_SI_SJ_EUlSW_E0_NS1_11comp_targetILNS1_3genE4ELNS1_11target_archE910ELNS1_3gpuE8ELNS1_3repE0EEENS1_38merge_mergepath_config_static_selectorELNS0_4arch9wavefront6targetE0EEEvSI_,comdat
	.protected	_ZN7rocprim17ROCPRIM_400000_NS6detail17trampoline_kernelINS0_14default_configENS1_38merge_sort_block_merge_config_selectorIiNS0_10empty_typeEEEZZNS1_27merge_sort_block_merge_implIS3_N6thrust23THRUST_200600_302600_NS10device_ptrIiEEPS5_jNS1_19radix_merge_compareILb0ELb0EiNS0_19identity_decomposerEEEEE10hipError_tT0_T1_T2_jT3_P12ihipStream_tbPNSt15iterator_traitsISH_E10value_typeEPNSN_ISI_E10value_typeEPSJ_NS1_7vsmem_tEENKUlT_SH_SI_SJ_E_clIPiSB_SC_SC_EESG_SW_SH_SI_SJ_EUlSW_E0_NS1_11comp_targetILNS1_3genE4ELNS1_11target_archE910ELNS1_3gpuE8ELNS1_3repE0EEENS1_38merge_mergepath_config_static_selectorELNS0_4arch9wavefront6targetE0EEEvSI_ ; -- Begin function _ZN7rocprim17ROCPRIM_400000_NS6detail17trampoline_kernelINS0_14default_configENS1_38merge_sort_block_merge_config_selectorIiNS0_10empty_typeEEEZZNS1_27merge_sort_block_merge_implIS3_N6thrust23THRUST_200600_302600_NS10device_ptrIiEEPS5_jNS1_19radix_merge_compareILb0ELb0EiNS0_19identity_decomposerEEEEE10hipError_tT0_T1_T2_jT3_P12ihipStream_tbPNSt15iterator_traitsISH_E10value_typeEPNSN_ISI_E10value_typeEPSJ_NS1_7vsmem_tEENKUlT_SH_SI_SJ_E_clIPiSB_SC_SC_EESG_SW_SH_SI_SJ_EUlSW_E0_NS1_11comp_targetILNS1_3genE4ELNS1_11target_archE910ELNS1_3gpuE8ELNS1_3repE0EEENS1_38merge_mergepath_config_static_selectorELNS0_4arch9wavefront6targetE0EEEvSI_
	.globl	_ZN7rocprim17ROCPRIM_400000_NS6detail17trampoline_kernelINS0_14default_configENS1_38merge_sort_block_merge_config_selectorIiNS0_10empty_typeEEEZZNS1_27merge_sort_block_merge_implIS3_N6thrust23THRUST_200600_302600_NS10device_ptrIiEEPS5_jNS1_19radix_merge_compareILb0ELb0EiNS0_19identity_decomposerEEEEE10hipError_tT0_T1_T2_jT3_P12ihipStream_tbPNSt15iterator_traitsISH_E10value_typeEPNSN_ISI_E10value_typeEPSJ_NS1_7vsmem_tEENKUlT_SH_SI_SJ_E_clIPiSB_SC_SC_EESG_SW_SH_SI_SJ_EUlSW_E0_NS1_11comp_targetILNS1_3genE4ELNS1_11target_archE910ELNS1_3gpuE8ELNS1_3repE0EEENS1_38merge_mergepath_config_static_selectorELNS0_4arch9wavefront6targetE0EEEvSI_
	.p2align	8
	.type	_ZN7rocprim17ROCPRIM_400000_NS6detail17trampoline_kernelINS0_14default_configENS1_38merge_sort_block_merge_config_selectorIiNS0_10empty_typeEEEZZNS1_27merge_sort_block_merge_implIS3_N6thrust23THRUST_200600_302600_NS10device_ptrIiEEPS5_jNS1_19radix_merge_compareILb0ELb0EiNS0_19identity_decomposerEEEEE10hipError_tT0_T1_T2_jT3_P12ihipStream_tbPNSt15iterator_traitsISH_E10value_typeEPNSN_ISI_E10value_typeEPSJ_NS1_7vsmem_tEENKUlT_SH_SI_SJ_E_clIPiSB_SC_SC_EESG_SW_SH_SI_SJ_EUlSW_E0_NS1_11comp_targetILNS1_3genE4ELNS1_11target_archE910ELNS1_3gpuE8ELNS1_3repE0EEENS1_38merge_mergepath_config_static_selectorELNS0_4arch9wavefront6targetE0EEEvSI_,@function
_ZN7rocprim17ROCPRIM_400000_NS6detail17trampoline_kernelINS0_14default_configENS1_38merge_sort_block_merge_config_selectorIiNS0_10empty_typeEEEZZNS1_27merge_sort_block_merge_implIS3_N6thrust23THRUST_200600_302600_NS10device_ptrIiEEPS5_jNS1_19radix_merge_compareILb0ELb0EiNS0_19identity_decomposerEEEEE10hipError_tT0_T1_T2_jT3_P12ihipStream_tbPNSt15iterator_traitsISH_E10value_typeEPNSN_ISI_E10value_typeEPSJ_NS1_7vsmem_tEENKUlT_SH_SI_SJ_E_clIPiSB_SC_SC_EESG_SW_SH_SI_SJ_EUlSW_E0_NS1_11comp_targetILNS1_3genE4ELNS1_11target_archE910ELNS1_3gpuE8ELNS1_3repE0EEENS1_38merge_mergepath_config_static_selectorELNS0_4arch9wavefront6targetE0EEEvSI_: ; @_ZN7rocprim17ROCPRIM_400000_NS6detail17trampoline_kernelINS0_14default_configENS1_38merge_sort_block_merge_config_selectorIiNS0_10empty_typeEEEZZNS1_27merge_sort_block_merge_implIS3_N6thrust23THRUST_200600_302600_NS10device_ptrIiEEPS5_jNS1_19radix_merge_compareILb0ELb0EiNS0_19identity_decomposerEEEEE10hipError_tT0_T1_T2_jT3_P12ihipStream_tbPNSt15iterator_traitsISH_E10value_typeEPNSN_ISI_E10value_typeEPSJ_NS1_7vsmem_tEENKUlT_SH_SI_SJ_E_clIPiSB_SC_SC_EESG_SW_SH_SI_SJ_EUlSW_E0_NS1_11comp_targetILNS1_3genE4ELNS1_11target_archE910ELNS1_3gpuE8ELNS1_3repE0EEENS1_38merge_mergepath_config_static_selectorELNS0_4arch9wavefront6targetE0EEEvSI_
; %bb.0:
	.section	.rodata,"a",@progbits
	.p2align	6, 0x0
	.amdhsa_kernel _ZN7rocprim17ROCPRIM_400000_NS6detail17trampoline_kernelINS0_14default_configENS1_38merge_sort_block_merge_config_selectorIiNS0_10empty_typeEEEZZNS1_27merge_sort_block_merge_implIS3_N6thrust23THRUST_200600_302600_NS10device_ptrIiEEPS5_jNS1_19radix_merge_compareILb0ELb0EiNS0_19identity_decomposerEEEEE10hipError_tT0_T1_T2_jT3_P12ihipStream_tbPNSt15iterator_traitsISH_E10value_typeEPNSN_ISI_E10value_typeEPSJ_NS1_7vsmem_tEENKUlT_SH_SI_SJ_E_clIPiSB_SC_SC_EESG_SW_SH_SI_SJ_EUlSW_E0_NS1_11comp_targetILNS1_3genE4ELNS1_11target_archE910ELNS1_3gpuE8ELNS1_3repE0EEENS1_38merge_mergepath_config_static_selectorELNS0_4arch9wavefront6targetE0EEEvSI_
		.amdhsa_group_segment_fixed_size 0
		.amdhsa_private_segment_fixed_size 0
		.amdhsa_kernarg_size 64
		.amdhsa_user_sgpr_count 6
		.amdhsa_user_sgpr_private_segment_buffer 1
		.amdhsa_user_sgpr_dispatch_ptr 0
		.amdhsa_user_sgpr_queue_ptr 0
		.amdhsa_user_sgpr_kernarg_segment_ptr 1
		.amdhsa_user_sgpr_dispatch_id 0
		.amdhsa_user_sgpr_flat_scratch_init 0
		.amdhsa_user_sgpr_private_segment_size 0
		.amdhsa_wavefront_size32 1
		.amdhsa_uses_dynamic_stack 0
		.amdhsa_system_sgpr_private_segment_wavefront_offset 0
		.amdhsa_system_sgpr_workgroup_id_x 1
		.amdhsa_system_sgpr_workgroup_id_y 0
		.amdhsa_system_sgpr_workgroup_id_z 0
		.amdhsa_system_sgpr_workgroup_info 0
		.amdhsa_system_vgpr_workitem_id 0
		.amdhsa_next_free_vgpr 1
		.amdhsa_next_free_sgpr 1
		.amdhsa_reserve_vcc 0
		.amdhsa_reserve_flat_scratch 0
		.amdhsa_float_round_mode_32 0
		.amdhsa_float_round_mode_16_64 0
		.amdhsa_float_denorm_mode_32 3
		.amdhsa_float_denorm_mode_16_64 3
		.amdhsa_dx10_clamp 1
		.amdhsa_ieee_mode 1
		.amdhsa_fp16_overflow 0
		.amdhsa_workgroup_processor_mode 1
		.amdhsa_memory_ordered 1
		.amdhsa_forward_progress 1
		.amdhsa_shared_vgpr_count 0
		.amdhsa_exception_fp_ieee_invalid_op 0
		.amdhsa_exception_fp_denorm_src 0
		.amdhsa_exception_fp_ieee_div_zero 0
		.amdhsa_exception_fp_ieee_overflow 0
		.amdhsa_exception_fp_ieee_underflow 0
		.amdhsa_exception_fp_ieee_inexact 0
		.amdhsa_exception_int_div_zero 0
	.end_amdhsa_kernel
	.section	.text._ZN7rocprim17ROCPRIM_400000_NS6detail17trampoline_kernelINS0_14default_configENS1_38merge_sort_block_merge_config_selectorIiNS0_10empty_typeEEEZZNS1_27merge_sort_block_merge_implIS3_N6thrust23THRUST_200600_302600_NS10device_ptrIiEEPS5_jNS1_19radix_merge_compareILb0ELb0EiNS0_19identity_decomposerEEEEE10hipError_tT0_T1_T2_jT3_P12ihipStream_tbPNSt15iterator_traitsISH_E10value_typeEPNSN_ISI_E10value_typeEPSJ_NS1_7vsmem_tEENKUlT_SH_SI_SJ_E_clIPiSB_SC_SC_EESG_SW_SH_SI_SJ_EUlSW_E0_NS1_11comp_targetILNS1_3genE4ELNS1_11target_archE910ELNS1_3gpuE8ELNS1_3repE0EEENS1_38merge_mergepath_config_static_selectorELNS0_4arch9wavefront6targetE0EEEvSI_,"axG",@progbits,_ZN7rocprim17ROCPRIM_400000_NS6detail17trampoline_kernelINS0_14default_configENS1_38merge_sort_block_merge_config_selectorIiNS0_10empty_typeEEEZZNS1_27merge_sort_block_merge_implIS3_N6thrust23THRUST_200600_302600_NS10device_ptrIiEEPS5_jNS1_19radix_merge_compareILb0ELb0EiNS0_19identity_decomposerEEEEE10hipError_tT0_T1_T2_jT3_P12ihipStream_tbPNSt15iterator_traitsISH_E10value_typeEPNSN_ISI_E10value_typeEPSJ_NS1_7vsmem_tEENKUlT_SH_SI_SJ_E_clIPiSB_SC_SC_EESG_SW_SH_SI_SJ_EUlSW_E0_NS1_11comp_targetILNS1_3genE4ELNS1_11target_archE910ELNS1_3gpuE8ELNS1_3repE0EEENS1_38merge_mergepath_config_static_selectorELNS0_4arch9wavefront6targetE0EEEvSI_,comdat
.Lfunc_end1123:
	.size	_ZN7rocprim17ROCPRIM_400000_NS6detail17trampoline_kernelINS0_14default_configENS1_38merge_sort_block_merge_config_selectorIiNS0_10empty_typeEEEZZNS1_27merge_sort_block_merge_implIS3_N6thrust23THRUST_200600_302600_NS10device_ptrIiEEPS5_jNS1_19radix_merge_compareILb0ELb0EiNS0_19identity_decomposerEEEEE10hipError_tT0_T1_T2_jT3_P12ihipStream_tbPNSt15iterator_traitsISH_E10value_typeEPNSN_ISI_E10value_typeEPSJ_NS1_7vsmem_tEENKUlT_SH_SI_SJ_E_clIPiSB_SC_SC_EESG_SW_SH_SI_SJ_EUlSW_E0_NS1_11comp_targetILNS1_3genE4ELNS1_11target_archE910ELNS1_3gpuE8ELNS1_3repE0EEENS1_38merge_mergepath_config_static_selectorELNS0_4arch9wavefront6targetE0EEEvSI_, .Lfunc_end1123-_ZN7rocprim17ROCPRIM_400000_NS6detail17trampoline_kernelINS0_14default_configENS1_38merge_sort_block_merge_config_selectorIiNS0_10empty_typeEEEZZNS1_27merge_sort_block_merge_implIS3_N6thrust23THRUST_200600_302600_NS10device_ptrIiEEPS5_jNS1_19radix_merge_compareILb0ELb0EiNS0_19identity_decomposerEEEEE10hipError_tT0_T1_T2_jT3_P12ihipStream_tbPNSt15iterator_traitsISH_E10value_typeEPNSN_ISI_E10value_typeEPSJ_NS1_7vsmem_tEENKUlT_SH_SI_SJ_E_clIPiSB_SC_SC_EESG_SW_SH_SI_SJ_EUlSW_E0_NS1_11comp_targetILNS1_3genE4ELNS1_11target_archE910ELNS1_3gpuE8ELNS1_3repE0EEENS1_38merge_mergepath_config_static_selectorELNS0_4arch9wavefront6targetE0EEEvSI_
                                        ; -- End function
	.set _ZN7rocprim17ROCPRIM_400000_NS6detail17trampoline_kernelINS0_14default_configENS1_38merge_sort_block_merge_config_selectorIiNS0_10empty_typeEEEZZNS1_27merge_sort_block_merge_implIS3_N6thrust23THRUST_200600_302600_NS10device_ptrIiEEPS5_jNS1_19radix_merge_compareILb0ELb0EiNS0_19identity_decomposerEEEEE10hipError_tT0_T1_T2_jT3_P12ihipStream_tbPNSt15iterator_traitsISH_E10value_typeEPNSN_ISI_E10value_typeEPSJ_NS1_7vsmem_tEENKUlT_SH_SI_SJ_E_clIPiSB_SC_SC_EESG_SW_SH_SI_SJ_EUlSW_E0_NS1_11comp_targetILNS1_3genE4ELNS1_11target_archE910ELNS1_3gpuE8ELNS1_3repE0EEENS1_38merge_mergepath_config_static_selectorELNS0_4arch9wavefront6targetE0EEEvSI_.num_vgpr, 0
	.set _ZN7rocprim17ROCPRIM_400000_NS6detail17trampoline_kernelINS0_14default_configENS1_38merge_sort_block_merge_config_selectorIiNS0_10empty_typeEEEZZNS1_27merge_sort_block_merge_implIS3_N6thrust23THRUST_200600_302600_NS10device_ptrIiEEPS5_jNS1_19radix_merge_compareILb0ELb0EiNS0_19identity_decomposerEEEEE10hipError_tT0_T1_T2_jT3_P12ihipStream_tbPNSt15iterator_traitsISH_E10value_typeEPNSN_ISI_E10value_typeEPSJ_NS1_7vsmem_tEENKUlT_SH_SI_SJ_E_clIPiSB_SC_SC_EESG_SW_SH_SI_SJ_EUlSW_E0_NS1_11comp_targetILNS1_3genE4ELNS1_11target_archE910ELNS1_3gpuE8ELNS1_3repE0EEENS1_38merge_mergepath_config_static_selectorELNS0_4arch9wavefront6targetE0EEEvSI_.num_agpr, 0
	.set _ZN7rocprim17ROCPRIM_400000_NS6detail17trampoline_kernelINS0_14default_configENS1_38merge_sort_block_merge_config_selectorIiNS0_10empty_typeEEEZZNS1_27merge_sort_block_merge_implIS3_N6thrust23THRUST_200600_302600_NS10device_ptrIiEEPS5_jNS1_19radix_merge_compareILb0ELb0EiNS0_19identity_decomposerEEEEE10hipError_tT0_T1_T2_jT3_P12ihipStream_tbPNSt15iterator_traitsISH_E10value_typeEPNSN_ISI_E10value_typeEPSJ_NS1_7vsmem_tEENKUlT_SH_SI_SJ_E_clIPiSB_SC_SC_EESG_SW_SH_SI_SJ_EUlSW_E0_NS1_11comp_targetILNS1_3genE4ELNS1_11target_archE910ELNS1_3gpuE8ELNS1_3repE0EEENS1_38merge_mergepath_config_static_selectorELNS0_4arch9wavefront6targetE0EEEvSI_.numbered_sgpr, 0
	.set _ZN7rocprim17ROCPRIM_400000_NS6detail17trampoline_kernelINS0_14default_configENS1_38merge_sort_block_merge_config_selectorIiNS0_10empty_typeEEEZZNS1_27merge_sort_block_merge_implIS3_N6thrust23THRUST_200600_302600_NS10device_ptrIiEEPS5_jNS1_19radix_merge_compareILb0ELb0EiNS0_19identity_decomposerEEEEE10hipError_tT0_T1_T2_jT3_P12ihipStream_tbPNSt15iterator_traitsISH_E10value_typeEPNSN_ISI_E10value_typeEPSJ_NS1_7vsmem_tEENKUlT_SH_SI_SJ_E_clIPiSB_SC_SC_EESG_SW_SH_SI_SJ_EUlSW_E0_NS1_11comp_targetILNS1_3genE4ELNS1_11target_archE910ELNS1_3gpuE8ELNS1_3repE0EEENS1_38merge_mergepath_config_static_selectorELNS0_4arch9wavefront6targetE0EEEvSI_.num_named_barrier, 0
	.set _ZN7rocprim17ROCPRIM_400000_NS6detail17trampoline_kernelINS0_14default_configENS1_38merge_sort_block_merge_config_selectorIiNS0_10empty_typeEEEZZNS1_27merge_sort_block_merge_implIS3_N6thrust23THRUST_200600_302600_NS10device_ptrIiEEPS5_jNS1_19radix_merge_compareILb0ELb0EiNS0_19identity_decomposerEEEEE10hipError_tT0_T1_T2_jT3_P12ihipStream_tbPNSt15iterator_traitsISH_E10value_typeEPNSN_ISI_E10value_typeEPSJ_NS1_7vsmem_tEENKUlT_SH_SI_SJ_E_clIPiSB_SC_SC_EESG_SW_SH_SI_SJ_EUlSW_E0_NS1_11comp_targetILNS1_3genE4ELNS1_11target_archE910ELNS1_3gpuE8ELNS1_3repE0EEENS1_38merge_mergepath_config_static_selectorELNS0_4arch9wavefront6targetE0EEEvSI_.private_seg_size, 0
	.set _ZN7rocprim17ROCPRIM_400000_NS6detail17trampoline_kernelINS0_14default_configENS1_38merge_sort_block_merge_config_selectorIiNS0_10empty_typeEEEZZNS1_27merge_sort_block_merge_implIS3_N6thrust23THRUST_200600_302600_NS10device_ptrIiEEPS5_jNS1_19radix_merge_compareILb0ELb0EiNS0_19identity_decomposerEEEEE10hipError_tT0_T1_T2_jT3_P12ihipStream_tbPNSt15iterator_traitsISH_E10value_typeEPNSN_ISI_E10value_typeEPSJ_NS1_7vsmem_tEENKUlT_SH_SI_SJ_E_clIPiSB_SC_SC_EESG_SW_SH_SI_SJ_EUlSW_E0_NS1_11comp_targetILNS1_3genE4ELNS1_11target_archE910ELNS1_3gpuE8ELNS1_3repE0EEENS1_38merge_mergepath_config_static_selectorELNS0_4arch9wavefront6targetE0EEEvSI_.uses_vcc, 0
	.set _ZN7rocprim17ROCPRIM_400000_NS6detail17trampoline_kernelINS0_14default_configENS1_38merge_sort_block_merge_config_selectorIiNS0_10empty_typeEEEZZNS1_27merge_sort_block_merge_implIS3_N6thrust23THRUST_200600_302600_NS10device_ptrIiEEPS5_jNS1_19radix_merge_compareILb0ELb0EiNS0_19identity_decomposerEEEEE10hipError_tT0_T1_T2_jT3_P12ihipStream_tbPNSt15iterator_traitsISH_E10value_typeEPNSN_ISI_E10value_typeEPSJ_NS1_7vsmem_tEENKUlT_SH_SI_SJ_E_clIPiSB_SC_SC_EESG_SW_SH_SI_SJ_EUlSW_E0_NS1_11comp_targetILNS1_3genE4ELNS1_11target_archE910ELNS1_3gpuE8ELNS1_3repE0EEENS1_38merge_mergepath_config_static_selectorELNS0_4arch9wavefront6targetE0EEEvSI_.uses_flat_scratch, 0
	.set _ZN7rocprim17ROCPRIM_400000_NS6detail17trampoline_kernelINS0_14default_configENS1_38merge_sort_block_merge_config_selectorIiNS0_10empty_typeEEEZZNS1_27merge_sort_block_merge_implIS3_N6thrust23THRUST_200600_302600_NS10device_ptrIiEEPS5_jNS1_19radix_merge_compareILb0ELb0EiNS0_19identity_decomposerEEEEE10hipError_tT0_T1_T2_jT3_P12ihipStream_tbPNSt15iterator_traitsISH_E10value_typeEPNSN_ISI_E10value_typeEPSJ_NS1_7vsmem_tEENKUlT_SH_SI_SJ_E_clIPiSB_SC_SC_EESG_SW_SH_SI_SJ_EUlSW_E0_NS1_11comp_targetILNS1_3genE4ELNS1_11target_archE910ELNS1_3gpuE8ELNS1_3repE0EEENS1_38merge_mergepath_config_static_selectorELNS0_4arch9wavefront6targetE0EEEvSI_.has_dyn_sized_stack, 0
	.set _ZN7rocprim17ROCPRIM_400000_NS6detail17trampoline_kernelINS0_14default_configENS1_38merge_sort_block_merge_config_selectorIiNS0_10empty_typeEEEZZNS1_27merge_sort_block_merge_implIS3_N6thrust23THRUST_200600_302600_NS10device_ptrIiEEPS5_jNS1_19radix_merge_compareILb0ELb0EiNS0_19identity_decomposerEEEEE10hipError_tT0_T1_T2_jT3_P12ihipStream_tbPNSt15iterator_traitsISH_E10value_typeEPNSN_ISI_E10value_typeEPSJ_NS1_7vsmem_tEENKUlT_SH_SI_SJ_E_clIPiSB_SC_SC_EESG_SW_SH_SI_SJ_EUlSW_E0_NS1_11comp_targetILNS1_3genE4ELNS1_11target_archE910ELNS1_3gpuE8ELNS1_3repE0EEENS1_38merge_mergepath_config_static_selectorELNS0_4arch9wavefront6targetE0EEEvSI_.has_recursion, 0
	.set _ZN7rocprim17ROCPRIM_400000_NS6detail17trampoline_kernelINS0_14default_configENS1_38merge_sort_block_merge_config_selectorIiNS0_10empty_typeEEEZZNS1_27merge_sort_block_merge_implIS3_N6thrust23THRUST_200600_302600_NS10device_ptrIiEEPS5_jNS1_19radix_merge_compareILb0ELb0EiNS0_19identity_decomposerEEEEE10hipError_tT0_T1_T2_jT3_P12ihipStream_tbPNSt15iterator_traitsISH_E10value_typeEPNSN_ISI_E10value_typeEPSJ_NS1_7vsmem_tEENKUlT_SH_SI_SJ_E_clIPiSB_SC_SC_EESG_SW_SH_SI_SJ_EUlSW_E0_NS1_11comp_targetILNS1_3genE4ELNS1_11target_archE910ELNS1_3gpuE8ELNS1_3repE0EEENS1_38merge_mergepath_config_static_selectorELNS0_4arch9wavefront6targetE0EEEvSI_.has_indirect_call, 0
	.section	.AMDGPU.csdata,"",@progbits
; Kernel info:
; codeLenInByte = 0
; TotalNumSgprs: 0
; NumVgprs: 0
; ScratchSize: 0
; MemoryBound: 0
; FloatMode: 240
; IeeeMode: 1
; LDSByteSize: 0 bytes/workgroup (compile time only)
; SGPRBlocks: 0
; VGPRBlocks: 0
; NumSGPRsForWavesPerEU: 1
; NumVGPRsForWavesPerEU: 1
; Occupancy: 16
; WaveLimiterHint : 0
; COMPUTE_PGM_RSRC2:SCRATCH_EN: 0
; COMPUTE_PGM_RSRC2:USER_SGPR: 6
; COMPUTE_PGM_RSRC2:TRAP_HANDLER: 0
; COMPUTE_PGM_RSRC2:TGID_X_EN: 1
; COMPUTE_PGM_RSRC2:TGID_Y_EN: 0
; COMPUTE_PGM_RSRC2:TGID_Z_EN: 0
; COMPUTE_PGM_RSRC2:TIDIG_COMP_CNT: 0
	.section	.text._ZN7rocprim17ROCPRIM_400000_NS6detail17trampoline_kernelINS0_14default_configENS1_38merge_sort_block_merge_config_selectorIiNS0_10empty_typeEEEZZNS1_27merge_sort_block_merge_implIS3_N6thrust23THRUST_200600_302600_NS10device_ptrIiEEPS5_jNS1_19radix_merge_compareILb0ELb0EiNS0_19identity_decomposerEEEEE10hipError_tT0_T1_T2_jT3_P12ihipStream_tbPNSt15iterator_traitsISH_E10value_typeEPNSN_ISI_E10value_typeEPSJ_NS1_7vsmem_tEENKUlT_SH_SI_SJ_E_clIPiSB_SC_SC_EESG_SW_SH_SI_SJ_EUlSW_E0_NS1_11comp_targetILNS1_3genE3ELNS1_11target_archE908ELNS1_3gpuE7ELNS1_3repE0EEENS1_38merge_mergepath_config_static_selectorELNS0_4arch9wavefront6targetE0EEEvSI_,"axG",@progbits,_ZN7rocprim17ROCPRIM_400000_NS6detail17trampoline_kernelINS0_14default_configENS1_38merge_sort_block_merge_config_selectorIiNS0_10empty_typeEEEZZNS1_27merge_sort_block_merge_implIS3_N6thrust23THRUST_200600_302600_NS10device_ptrIiEEPS5_jNS1_19radix_merge_compareILb0ELb0EiNS0_19identity_decomposerEEEEE10hipError_tT0_T1_T2_jT3_P12ihipStream_tbPNSt15iterator_traitsISH_E10value_typeEPNSN_ISI_E10value_typeEPSJ_NS1_7vsmem_tEENKUlT_SH_SI_SJ_E_clIPiSB_SC_SC_EESG_SW_SH_SI_SJ_EUlSW_E0_NS1_11comp_targetILNS1_3genE3ELNS1_11target_archE908ELNS1_3gpuE7ELNS1_3repE0EEENS1_38merge_mergepath_config_static_selectorELNS0_4arch9wavefront6targetE0EEEvSI_,comdat
	.protected	_ZN7rocprim17ROCPRIM_400000_NS6detail17trampoline_kernelINS0_14default_configENS1_38merge_sort_block_merge_config_selectorIiNS0_10empty_typeEEEZZNS1_27merge_sort_block_merge_implIS3_N6thrust23THRUST_200600_302600_NS10device_ptrIiEEPS5_jNS1_19radix_merge_compareILb0ELb0EiNS0_19identity_decomposerEEEEE10hipError_tT0_T1_T2_jT3_P12ihipStream_tbPNSt15iterator_traitsISH_E10value_typeEPNSN_ISI_E10value_typeEPSJ_NS1_7vsmem_tEENKUlT_SH_SI_SJ_E_clIPiSB_SC_SC_EESG_SW_SH_SI_SJ_EUlSW_E0_NS1_11comp_targetILNS1_3genE3ELNS1_11target_archE908ELNS1_3gpuE7ELNS1_3repE0EEENS1_38merge_mergepath_config_static_selectorELNS0_4arch9wavefront6targetE0EEEvSI_ ; -- Begin function _ZN7rocprim17ROCPRIM_400000_NS6detail17trampoline_kernelINS0_14default_configENS1_38merge_sort_block_merge_config_selectorIiNS0_10empty_typeEEEZZNS1_27merge_sort_block_merge_implIS3_N6thrust23THRUST_200600_302600_NS10device_ptrIiEEPS5_jNS1_19radix_merge_compareILb0ELb0EiNS0_19identity_decomposerEEEEE10hipError_tT0_T1_T2_jT3_P12ihipStream_tbPNSt15iterator_traitsISH_E10value_typeEPNSN_ISI_E10value_typeEPSJ_NS1_7vsmem_tEENKUlT_SH_SI_SJ_E_clIPiSB_SC_SC_EESG_SW_SH_SI_SJ_EUlSW_E0_NS1_11comp_targetILNS1_3genE3ELNS1_11target_archE908ELNS1_3gpuE7ELNS1_3repE0EEENS1_38merge_mergepath_config_static_selectorELNS0_4arch9wavefront6targetE0EEEvSI_
	.globl	_ZN7rocprim17ROCPRIM_400000_NS6detail17trampoline_kernelINS0_14default_configENS1_38merge_sort_block_merge_config_selectorIiNS0_10empty_typeEEEZZNS1_27merge_sort_block_merge_implIS3_N6thrust23THRUST_200600_302600_NS10device_ptrIiEEPS5_jNS1_19radix_merge_compareILb0ELb0EiNS0_19identity_decomposerEEEEE10hipError_tT0_T1_T2_jT3_P12ihipStream_tbPNSt15iterator_traitsISH_E10value_typeEPNSN_ISI_E10value_typeEPSJ_NS1_7vsmem_tEENKUlT_SH_SI_SJ_E_clIPiSB_SC_SC_EESG_SW_SH_SI_SJ_EUlSW_E0_NS1_11comp_targetILNS1_3genE3ELNS1_11target_archE908ELNS1_3gpuE7ELNS1_3repE0EEENS1_38merge_mergepath_config_static_selectorELNS0_4arch9wavefront6targetE0EEEvSI_
	.p2align	8
	.type	_ZN7rocprim17ROCPRIM_400000_NS6detail17trampoline_kernelINS0_14default_configENS1_38merge_sort_block_merge_config_selectorIiNS0_10empty_typeEEEZZNS1_27merge_sort_block_merge_implIS3_N6thrust23THRUST_200600_302600_NS10device_ptrIiEEPS5_jNS1_19radix_merge_compareILb0ELb0EiNS0_19identity_decomposerEEEEE10hipError_tT0_T1_T2_jT3_P12ihipStream_tbPNSt15iterator_traitsISH_E10value_typeEPNSN_ISI_E10value_typeEPSJ_NS1_7vsmem_tEENKUlT_SH_SI_SJ_E_clIPiSB_SC_SC_EESG_SW_SH_SI_SJ_EUlSW_E0_NS1_11comp_targetILNS1_3genE3ELNS1_11target_archE908ELNS1_3gpuE7ELNS1_3repE0EEENS1_38merge_mergepath_config_static_selectorELNS0_4arch9wavefront6targetE0EEEvSI_,@function
_ZN7rocprim17ROCPRIM_400000_NS6detail17trampoline_kernelINS0_14default_configENS1_38merge_sort_block_merge_config_selectorIiNS0_10empty_typeEEEZZNS1_27merge_sort_block_merge_implIS3_N6thrust23THRUST_200600_302600_NS10device_ptrIiEEPS5_jNS1_19radix_merge_compareILb0ELb0EiNS0_19identity_decomposerEEEEE10hipError_tT0_T1_T2_jT3_P12ihipStream_tbPNSt15iterator_traitsISH_E10value_typeEPNSN_ISI_E10value_typeEPSJ_NS1_7vsmem_tEENKUlT_SH_SI_SJ_E_clIPiSB_SC_SC_EESG_SW_SH_SI_SJ_EUlSW_E0_NS1_11comp_targetILNS1_3genE3ELNS1_11target_archE908ELNS1_3gpuE7ELNS1_3repE0EEENS1_38merge_mergepath_config_static_selectorELNS0_4arch9wavefront6targetE0EEEvSI_: ; @_ZN7rocprim17ROCPRIM_400000_NS6detail17trampoline_kernelINS0_14default_configENS1_38merge_sort_block_merge_config_selectorIiNS0_10empty_typeEEEZZNS1_27merge_sort_block_merge_implIS3_N6thrust23THRUST_200600_302600_NS10device_ptrIiEEPS5_jNS1_19radix_merge_compareILb0ELb0EiNS0_19identity_decomposerEEEEE10hipError_tT0_T1_T2_jT3_P12ihipStream_tbPNSt15iterator_traitsISH_E10value_typeEPNSN_ISI_E10value_typeEPSJ_NS1_7vsmem_tEENKUlT_SH_SI_SJ_E_clIPiSB_SC_SC_EESG_SW_SH_SI_SJ_EUlSW_E0_NS1_11comp_targetILNS1_3genE3ELNS1_11target_archE908ELNS1_3gpuE7ELNS1_3repE0EEENS1_38merge_mergepath_config_static_selectorELNS0_4arch9wavefront6targetE0EEEvSI_
; %bb.0:
	.section	.rodata,"a",@progbits
	.p2align	6, 0x0
	.amdhsa_kernel _ZN7rocprim17ROCPRIM_400000_NS6detail17trampoline_kernelINS0_14default_configENS1_38merge_sort_block_merge_config_selectorIiNS0_10empty_typeEEEZZNS1_27merge_sort_block_merge_implIS3_N6thrust23THRUST_200600_302600_NS10device_ptrIiEEPS5_jNS1_19radix_merge_compareILb0ELb0EiNS0_19identity_decomposerEEEEE10hipError_tT0_T1_T2_jT3_P12ihipStream_tbPNSt15iterator_traitsISH_E10value_typeEPNSN_ISI_E10value_typeEPSJ_NS1_7vsmem_tEENKUlT_SH_SI_SJ_E_clIPiSB_SC_SC_EESG_SW_SH_SI_SJ_EUlSW_E0_NS1_11comp_targetILNS1_3genE3ELNS1_11target_archE908ELNS1_3gpuE7ELNS1_3repE0EEENS1_38merge_mergepath_config_static_selectorELNS0_4arch9wavefront6targetE0EEEvSI_
		.amdhsa_group_segment_fixed_size 0
		.amdhsa_private_segment_fixed_size 0
		.amdhsa_kernarg_size 64
		.amdhsa_user_sgpr_count 6
		.amdhsa_user_sgpr_private_segment_buffer 1
		.amdhsa_user_sgpr_dispatch_ptr 0
		.amdhsa_user_sgpr_queue_ptr 0
		.amdhsa_user_sgpr_kernarg_segment_ptr 1
		.amdhsa_user_sgpr_dispatch_id 0
		.amdhsa_user_sgpr_flat_scratch_init 0
		.amdhsa_user_sgpr_private_segment_size 0
		.amdhsa_wavefront_size32 1
		.amdhsa_uses_dynamic_stack 0
		.amdhsa_system_sgpr_private_segment_wavefront_offset 0
		.amdhsa_system_sgpr_workgroup_id_x 1
		.amdhsa_system_sgpr_workgroup_id_y 0
		.amdhsa_system_sgpr_workgroup_id_z 0
		.amdhsa_system_sgpr_workgroup_info 0
		.amdhsa_system_vgpr_workitem_id 0
		.amdhsa_next_free_vgpr 1
		.amdhsa_next_free_sgpr 1
		.amdhsa_reserve_vcc 0
		.amdhsa_reserve_flat_scratch 0
		.amdhsa_float_round_mode_32 0
		.amdhsa_float_round_mode_16_64 0
		.amdhsa_float_denorm_mode_32 3
		.amdhsa_float_denorm_mode_16_64 3
		.amdhsa_dx10_clamp 1
		.amdhsa_ieee_mode 1
		.amdhsa_fp16_overflow 0
		.amdhsa_workgroup_processor_mode 1
		.amdhsa_memory_ordered 1
		.amdhsa_forward_progress 1
		.amdhsa_shared_vgpr_count 0
		.amdhsa_exception_fp_ieee_invalid_op 0
		.amdhsa_exception_fp_denorm_src 0
		.amdhsa_exception_fp_ieee_div_zero 0
		.amdhsa_exception_fp_ieee_overflow 0
		.amdhsa_exception_fp_ieee_underflow 0
		.amdhsa_exception_fp_ieee_inexact 0
		.amdhsa_exception_int_div_zero 0
	.end_amdhsa_kernel
	.section	.text._ZN7rocprim17ROCPRIM_400000_NS6detail17trampoline_kernelINS0_14default_configENS1_38merge_sort_block_merge_config_selectorIiNS0_10empty_typeEEEZZNS1_27merge_sort_block_merge_implIS3_N6thrust23THRUST_200600_302600_NS10device_ptrIiEEPS5_jNS1_19radix_merge_compareILb0ELb0EiNS0_19identity_decomposerEEEEE10hipError_tT0_T1_T2_jT3_P12ihipStream_tbPNSt15iterator_traitsISH_E10value_typeEPNSN_ISI_E10value_typeEPSJ_NS1_7vsmem_tEENKUlT_SH_SI_SJ_E_clIPiSB_SC_SC_EESG_SW_SH_SI_SJ_EUlSW_E0_NS1_11comp_targetILNS1_3genE3ELNS1_11target_archE908ELNS1_3gpuE7ELNS1_3repE0EEENS1_38merge_mergepath_config_static_selectorELNS0_4arch9wavefront6targetE0EEEvSI_,"axG",@progbits,_ZN7rocprim17ROCPRIM_400000_NS6detail17trampoline_kernelINS0_14default_configENS1_38merge_sort_block_merge_config_selectorIiNS0_10empty_typeEEEZZNS1_27merge_sort_block_merge_implIS3_N6thrust23THRUST_200600_302600_NS10device_ptrIiEEPS5_jNS1_19radix_merge_compareILb0ELb0EiNS0_19identity_decomposerEEEEE10hipError_tT0_T1_T2_jT3_P12ihipStream_tbPNSt15iterator_traitsISH_E10value_typeEPNSN_ISI_E10value_typeEPSJ_NS1_7vsmem_tEENKUlT_SH_SI_SJ_E_clIPiSB_SC_SC_EESG_SW_SH_SI_SJ_EUlSW_E0_NS1_11comp_targetILNS1_3genE3ELNS1_11target_archE908ELNS1_3gpuE7ELNS1_3repE0EEENS1_38merge_mergepath_config_static_selectorELNS0_4arch9wavefront6targetE0EEEvSI_,comdat
.Lfunc_end1124:
	.size	_ZN7rocprim17ROCPRIM_400000_NS6detail17trampoline_kernelINS0_14default_configENS1_38merge_sort_block_merge_config_selectorIiNS0_10empty_typeEEEZZNS1_27merge_sort_block_merge_implIS3_N6thrust23THRUST_200600_302600_NS10device_ptrIiEEPS5_jNS1_19radix_merge_compareILb0ELb0EiNS0_19identity_decomposerEEEEE10hipError_tT0_T1_T2_jT3_P12ihipStream_tbPNSt15iterator_traitsISH_E10value_typeEPNSN_ISI_E10value_typeEPSJ_NS1_7vsmem_tEENKUlT_SH_SI_SJ_E_clIPiSB_SC_SC_EESG_SW_SH_SI_SJ_EUlSW_E0_NS1_11comp_targetILNS1_3genE3ELNS1_11target_archE908ELNS1_3gpuE7ELNS1_3repE0EEENS1_38merge_mergepath_config_static_selectorELNS0_4arch9wavefront6targetE0EEEvSI_, .Lfunc_end1124-_ZN7rocprim17ROCPRIM_400000_NS6detail17trampoline_kernelINS0_14default_configENS1_38merge_sort_block_merge_config_selectorIiNS0_10empty_typeEEEZZNS1_27merge_sort_block_merge_implIS3_N6thrust23THRUST_200600_302600_NS10device_ptrIiEEPS5_jNS1_19radix_merge_compareILb0ELb0EiNS0_19identity_decomposerEEEEE10hipError_tT0_T1_T2_jT3_P12ihipStream_tbPNSt15iterator_traitsISH_E10value_typeEPNSN_ISI_E10value_typeEPSJ_NS1_7vsmem_tEENKUlT_SH_SI_SJ_E_clIPiSB_SC_SC_EESG_SW_SH_SI_SJ_EUlSW_E0_NS1_11comp_targetILNS1_3genE3ELNS1_11target_archE908ELNS1_3gpuE7ELNS1_3repE0EEENS1_38merge_mergepath_config_static_selectorELNS0_4arch9wavefront6targetE0EEEvSI_
                                        ; -- End function
	.set _ZN7rocprim17ROCPRIM_400000_NS6detail17trampoline_kernelINS0_14default_configENS1_38merge_sort_block_merge_config_selectorIiNS0_10empty_typeEEEZZNS1_27merge_sort_block_merge_implIS3_N6thrust23THRUST_200600_302600_NS10device_ptrIiEEPS5_jNS1_19radix_merge_compareILb0ELb0EiNS0_19identity_decomposerEEEEE10hipError_tT0_T1_T2_jT3_P12ihipStream_tbPNSt15iterator_traitsISH_E10value_typeEPNSN_ISI_E10value_typeEPSJ_NS1_7vsmem_tEENKUlT_SH_SI_SJ_E_clIPiSB_SC_SC_EESG_SW_SH_SI_SJ_EUlSW_E0_NS1_11comp_targetILNS1_3genE3ELNS1_11target_archE908ELNS1_3gpuE7ELNS1_3repE0EEENS1_38merge_mergepath_config_static_selectorELNS0_4arch9wavefront6targetE0EEEvSI_.num_vgpr, 0
	.set _ZN7rocprim17ROCPRIM_400000_NS6detail17trampoline_kernelINS0_14default_configENS1_38merge_sort_block_merge_config_selectorIiNS0_10empty_typeEEEZZNS1_27merge_sort_block_merge_implIS3_N6thrust23THRUST_200600_302600_NS10device_ptrIiEEPS5_jNS1_19radix_merge_compareILb0ELb0EiNS0_19identity_decomposerEEEEE10hipError_tT0_T1_T2_jT3_P12ihipStream_tbPNSt15iterator_traitsISH_E10value_typeEPNSN_ISI_E10value_typeEPSJ_NS1_7vsmem_tEENKUlT_SH_SI_SJ_E_clIPiSB_SC_SC_EESG_SW_SH_SI_SJ_EUlSW_E0_NS1_11comp_targetILNS1_3genE3ELNS1_11target_archE908ELNS1_3gpuE7ELNS1_3repE0EEENS1_38merge_mergepath_config_static_selectorELNS0_4arch9wavefront6targetE0EEEvSI_.num_agpr, 0
	.set _ZN7rocprim17ROCPRIM_400000_NS6detail17trampoline_kernelINS0_14default_configENS1_38merge_sort_block_merge_config_selectorIiNS0_10empty_typeEEEZZNS1_27merge_sort_block_merge_implIS3_N6thrust23THRUST_200600_302600_NS10device_ptrIiEEPS5_jNS1_19radix_merge_compareILb0ELb0EiNS0_19identity_decomposerEEEEE10hipError_tT0_T1_T2_jT3_P12ihipStream_tbPNSt15iterator_traitsISH_E10value_typeEPNSN_ISI_E10value_typeEPSJ_NS1_7vsmem_tEENKUlT_SH_SI_SJ_E_clIPiSB_SC_SC_EESG_SW_SH_SI_SJ_EUlSW_E0_NS1_11comp_targetILNS1_3genE3ELNS1_11target_archE908ELNS1_3gpuE7ELNS1_3repE0EEENS1_38merge_mergepath_config_static_selectorELNS0_4arch9wavefront6targetE0EEEvSI_.numbered_sgpr, 0
	.set _ZN7rocprim17ROCPRIM_400000_NS6detail17trampoline_kernelINS0_14default_configENS1_38merge_sort_block_merge_config_selectorIiNS0_10empty_typeEEEZZNS1_27merge_sort_block_merge_implIS3_N6thrust23THRUST_200600_302600_NS10device_ptrIiEEPS5_jNS1_19radix_merge_compareILb0ELb0EiNS0_19identity_decomposerEEEEE10hipError_tT0_T1_T2_jT3_P12ihipStream_tbPNSt15iterator_traitsISH_E10value_typeEPNSN_ISI_E10value_typeEPSJ_NS1_7vsmem_tEENKUlT_SH_SI_SJ_E_clIPiSB_SC_SC_EESG_SW_SH_SI_SJ_EUlSW_E0_NS1_11comp_targetILNS1_3genE3ELNS1_11target_archE908ELNS1_3gpuE7ELNS1_3repE0EEENS1_38merge_mergepath_config_static_selectorELNS0_4arch9wavefront6targetE0EEEvSI_.num_named_barrier, 0
	.set _ZN7rocprim17ROCPRIM_400000_NS6detail17trampoline_kernelINS0_14default_configENS1_38merge_sort_block_merge_config_selectorIiNS0_10empty_typeEEEZZNS1_27merge_sort_block_merge_implIS3_N6thrust23THRUST_200600_302600_NS10device_ptrIiEEPS5_jNS1_19radix_merge_compareILb0ELb0EiNS0_19identity_decomposerEEEEE10hipError_tT0_T1_T2_jT3_P12ihipStream_tbPNSt15iterator_traitsISH_E10value_typeEPNSN_ISI_E10value_typeEPSJ_NS1_7vsmem_tEENKUlT_SH_SI_SJ_E_clIPiSB_SC_SC_EESG_SW_SH_SI_SJ_EUlSW_E0_NS1_11comp_targetILNS1_3genE3ELNS1_11target_archE908ELNS1_3gpuE7ELNS1_3repE0EEENS1_38merge_mergepath_config_static_selectorELNS0_4arch9wavefront6targetE0EEEvSI_.private_seg_size, 0
	.set _ZN7rocprim17ROCPRIM_400000_NS6detail17trampoline_kernelINS0_14default_configENS1_38merge_sort_block_merge_config_selectorIiNS0_10empty_typeEEEZZNS1_27merge_sort_block_merge_implIS3_N6thrust23THRUST_200600_302600_NS10device_ptrIiEEPS5_jNS1_19radix_merge_compareILb0ELb0EiNS0_19identity_decomposerEEEEE10hipError_tT0_T1_T2_jT3_P12ihipStream_tbPNSt15iterator_traitsISH_E10value_typeEPNSN_ISI_E10value_typeEPSJ_NS1_7vsmem_tEENKUlT_SH_SI_SJ_E_clIPiSB_SC_SC_EESG_SW_SH_SI_SJ_EUlSW_E0_NS1_11comp_targetILNS1_3genE3ELNS1_11target_archE908ELNS1_3gpuE7ELNS1_3repE0EEENS1_38merge_mergepath_config_static_selectorELNS0_4arch9wavefront6targetE0EEEvSI_.uses_vcc, 0
	.set _ZN7rocprim17ROCPRIM_400000_NS6detail17trampoline_kernelINS0_14default_configENS1_38merge_sort_block_merge_config_selectorIiNS0_10empty_typeEEEZZNS1_27merge_sort_block_merge_implIS3_N6thrust23THRUST_200600_302600_NS10device_ptrIiEEPS5_jNS1_19radix_merge_compareILb0ELb0EiNS0_19identity_decomposerEEEEE10hipError_tT0_T1_T2_jT3_P12ihipStream_tbPNSt15iterator_traitsISH_E10value_typeEPNSN_ISI_E10value_typeEPSJ_NS1_7vsmem_tEENKUlT_SH_SI_SJ_E_clIPiSB_SC_SC_EESG_SW_SH_SI_SJ_EUlSW_E0_NS1_11comp_targetILNS1_3genE3ELNS1_11target_archE908ELNS1_3gpuE7ELNS1_3repE0EEENS1_38merge_mergepath_config_static_selectorELNS0_4arch9wavefront6targetE0EEEvSI_.uses_flat_scratch, 0
	.set _ZN7rocprim17ROCPRIM_400000_NS6detail17trampoline_kernelINS0_14default_configENS1_38merge_sort_block_merge_config_selectorIiNS0_10empty_typeEEEZZNS1_27merge_sort_block_merge_implIS3_N6thrust23THRUST_200600_302600_NS10device_ptrIiEEPS5_jNS1_19radix_merge_compareILb0ELb0EiNS0_19identity_decomposerEEEEE10hipError_tT0_T1_T2_jT3_P12ihipStream_tbPNSt15iterator_traitsISH_E10value_typeEPNSN_ISI_E10value_typeEPSJ_NS1_7vsmem_tEENKUlT_SH_SI_SJ_E_clIPiSB_SC_SC_EESG_SW_SH_SI_SJ_EUlSW_E0_NS1_11comp_targetILNS1_3genE3ELNS1_11target_archE908ELNS1_3gpuE7ELNS1_3repE0EEENS1_38merge_mergepath_config_static_selectorELNS0_4arch9wavefront6targetE0EEEvSI_.has_dyn_sized_stack, 0
	.set _ZN7rocprim17ROCPRIM_400000_NS6detail17trampoline_kernelINS0_14default_configENS1_38merge_sort_block_merge_config_selectorIiNS0_10empty_typeEEEZZNS1_27merge_sort_block_merge_implIS3_N6thrust23THRUST_200600_302600_NS10device_ptrIiEEPS5_jNS1_19radix_merge_compareILb0ELb0EiNS0_19identity_decomposerEEEEE10hipError_tT0_T1_T2_jT3_P12ihipStream_tbPNSt15iterator_traitsISH_E10value_typeEPNSN_ISI_E10value_typeEPSJ_NS1_7vsmem_tEENKUlT_SH_SI_SJ_E_clIPiSB_SC_SC_EESG_SW_SH_SI_SJ_EUlSW_E0_NS1_11comp_targetILNS1_3genE3ELNS1_11target_archE908ELNS1_3gpuE7ELNS1_3repE0EEENS1_38merge_mergepath_config_static_selectorELNS0_4arch9wavefront6targetE0EEEvSI_.has_recursion, 0
	.set _ZN7rocprim17ROCPRIM_400000_NS6detail17trampoline_kernelINS0_14default_configENS1_38merge_sort_block_merge_config_selectorIiNS0_10empty_typeEEEZZNS1_27merge_sort_block_merge_implIS3_N6thrust23THRUST_200600_302600_NS10device_ptrIiEEPS5_jNS1_19radix_merge_compareILb0ELb0EiNS0_19identity_decomposerEEEEE10hipError_tT0_T1_T2_jT3_P12ihipStream_tbPNSt15iterator_traitsISH_E10value_typeEPNSN_ISI_E10value_typeEPSJ_NS1_7vsmem_tEENKUlT_SH_SI_SJ_E_clIPiSB_SC_SC_EESG_SW_SH_SI_SJ_EUlSW_E0_NS1_11comp_targetILNS1_3genE3ELNS1_11target_archE908ELNS1_3gpuE7ELNS1_3repE0EEENS1_38merge_mergepath_config_static_selectorELNS0_4arch9wavefront6targetE0EEEvSI_.has_indirect_call, 0
	.section	.AMDGPU.csdata,"",@progbits
; Kernel info:
; codeLenInByte = 0
; TotalNumSgprs: 0
; NumVgprs: 0
; ScratchSize: 0
; MemoryBound: 0
; FloatMode: 240
; IeeeMode: 1
; LDSByteSize: 0 bytes/workgroup (compile time only)
; SGPRBlocks: 0
; VGPRBlocks: 0
; NumSGPRsForWavesPerEU: 1
; NumVGPRsForWavesPerEU: 1
; Occupancy: 16
; WaveLimiterHint : 0
; COMPUTE_PGM_RSRC2:SCRATCH_EN: 0
; COMPUTE_PGM_RSRC2:USER_SGPR: 6
; COMPUTE_PGM_RSRC2:TRAP_HANDLER: 0
; COMPUTE_PGM_RSRC2:TGID_X_EN: 1
; COMPUTE_PGM_RSRC2:TGID_Y_EN: 0
; COMPUTE_PGM_RSRC2:TGID_Z_EN: 0
; COMPUTE_PGM_RSRC2:TIDIG_COMP_CNT: 0
	.section	.text._ZN7rocprim17ROCPRIM_400000_NS6detail17trampoline_kernelINS0_14default_configENS1_38merge_sort_block_merge_config_selectorIiNS0_10empty_typeEEEZZNS1_27merge_sort_block_merge_implIS3_N6thrust23THRUST_200600_302600_NS10device_ptrIiEEPS5_jNS1_19radix_merge_compareILb0ELb0EiNS0_19identity_decomposerEEEEE10hipError_tT0_T1_T2_jT3_P12ihipStream_tbPNSt15iterator_traitsISH_E10value_typeEPNSN_ISI_E10value_typeEPSJ_NS1_7vsmem_tEENKUlT_SH_SI_SJ_E_clIPiSB_SC_SC_EESG_SW_SH_SI_SJ_EUlSW_E0_NS1_11comp_targetILNS1_3genE2ELNS1_11target_archE906ELNS1_3gpuE6ELNS1_3repE0EEENS1_38merge_mergepath_config_static_selectorELNS0_4arch9wavefront6targetE0EEEvSI_,"axG",@progbits,_ZN7rocprim17ROCPRIM_400000_NS6detail17trampoline_kernelINS0_14default_configENS1_38merge_sort_block_merge_config_selectorIiNS0_10empty_typeEEEZZNS1_27merge_sort_block_merge_implIS3_N6thrust23THRUST_200600_302600_NS10device_ptrIiEEPS5_jNS1_19radix_merge_compareILb0ELb0EiNS0_19identity_decomposerEEEEE10hipError_tT0_T1_T2_jT3_P12ihipStream_tbPNSt15iterator_traitsISH_E10value_typeEPNSN_ISI_E10value_typeEPSJ_NS1_7vsmem_tEENKUlT_SH_SI_SJ_E_clIPiSB_SC_SC_EESG_SW_SH_SI_SJ_EUlSW_E0_NS1_11comp_targetILNS1_3genE2ELNS1_11target_archE906ELNS1_3gpuE6ELNS1_3repE0EEENS1_38merge_mergepath_config_static_selectorELNS0_4arch9wavefront6targetE0EEEvSI_,comdat
	.protected	_ZN7rocprim17ROCPRIM_400000_NS6detail17trampoline_kernelINS0_14default_configENS1_38merge_sort_block_merge_config_selectorIiNS0_10empty_typeEEEZZNS1_27merge_sort_block_merge_implIS3_N6thrust23THRUST_200600_302600_NS10device_ptrIiEEPS5_jNS1_19radix_merge_compareILb0ELb0EiNS0_19identity_decomposerEEEEE10hipError_tT0_T1_T2_jT3_P12ihipStream_tbPNSt15iterator_traitsISH_E10value_typeEPNSN_ISI_E10value_typeEPSJ_NS1_7vsmem_tEENKUlT_SH_SI_SJ_E_clIPiSB_SC_SC_EESG_SW_SH_SI_SJ_EUlSW_E0_NS1_11comp_targetILNS1_3genE2ELNS1_11target_archE906ELNS1_3gpuE6ELNS1_3repE0EEENS1_38merge_mergepath_config_static_selectorELNS0_4arch9wavefront6targetE0EEEvSI_ ; -- Begin function _ZN7rocprim17ROCPRIM_400000_NS6detail17trampoline_kernelINS0_14default_configENS1_38merge_sort_block_merge_config_selectorIiNS0_10empty_typeEEEZZNS1_27merge_sort_block_merge_implIS3_N6thrust23THRUST_200600_302600_NS10device_ptrIiEEPS5_jNS1_19radix_merge_compareILb0ELb0EiNS0_19identity_decomposerEEEEE10hipError_tT0_T1_T2_jT3_P12ihipStream_tbPNSt15iterator_traitsISH_E10value_typeEPNSN_ISI_E10value_typeEPSJ_NS1_7vsmem_tEENKUlT_SH_SI_SJ_E_clIPiSB_SC_SC_EESG_SW_SH_SI_SJ_EUlSW_E0_NS1_11comp_targetILNS1_3genE2ELNS1_11target_archE906ELNS1_3gpuE6ELNS1_3repE0EEENS1_38merge_mergepath_config_static_selectorELNS0_4arch9wavefront6targetE0EEEvSI_
	.globl	_ZN7rocprim17ROCPRIM_400000_NS6detail17trampoline_kernelINS0_14default_configENS1_38merge_sort_block_merge_config_selectorIiNS0_10empty_typeEEEZZNS1_27merge_sort_block_merge_implIS3_N6thrust23THRUST_200600_302600_NS10device_ptrIiEEPS5_jNS1_19radix_merge_compareILb0ELb0EiNS0_19identity_decomposerEEEEE10hipError_tT0_T1_T2_jT3_P12ihipStream_tbPNSt15iterator_traitsISH_E10value_typeEPNSN_ISI_E10value_typeEPSJ_NS1_7vsmem_tEENKUlT_SH_SI_SJ_E_clIPiSB_SC_SC_EESG_SW_SH_SI_SJ_EUlSW_E0_NS1_11comp_targetILNS1_3genE2ELNS1_11target_archE906ELNS1_3gpuE6ELNS1_3repE0EEENS1_38merge_mergepath_config_static_selectorELNS0_4arch9wavefront6targetE0EEEvSI_
	.p2align	8
	.type	_ZN7rocprim17ROCPRIM_400000_NS6detail17trampoline_kernelINS0_14default_configENS1_38merge_sort_block_merge_config_selectorIiNS0_10empty_typeEEEZZNS1_27merge_sort_block_merge_implIS3_N6thrust23THRUST_200600_302600_NS10device_ptrIiEEPS5_jNS1_19radix_merge_compareILb0ELb0EiNS0_19identity_decomposerEEEEE10hipError_tT0_T1_T2_jT3_P12ihipStream_tbPNSt15iterator_traitsISH_E10value_typeEPNSN_ISI_E10value_typeEPSJ_NS1_7vsmem_tEENKUlT_SH_SI_SJ_E_clIPiSB_SC_SC_EESG_SW_SH_SI_SJ_EUlSW_E0_NS1_11comp_targetILNS1_3genE2ELNS1_11target_archE906ELNS1_3gpuE6ELNS1_3repE0EEENS1_38merge_mergepath_config_static_selectorELNS0_4arch9wavefront6targetE0EEEvSI_,@function
_ZN7rocprim17ROCPRIM_400000_NS6detail17trampoline_kernelINS0_14default_configENS1_38merge_sort_block_merge_config_selectorIiNS0_10empty_typeEEEZZNS1_27merge_sort_block_merge_implIS3_N6thrust23THRUST_200600_302600_NS10device_ptrIiEEPS5_jNS1_19radix_merge_compareILb0ELb0EiNS0_19identity_decomposerEEEEE10hipError_tT0_T1_T2_jT3_P12ihipStream_tbPNSt15iterator_traitsISH_E10value_typeEPNSN_ISI_E10value_typeEPSJ_NS1_7vsmem_tEENKUlT_SH_SI_SJ_E_clIPiSB_SC_SC_EESG_SW_SH_SI_SJ_EUlSW_E0_NS1_11comp_targetILNS1_3genE2ELNS1_11target_archE906ELNS1_3gpuE6ELNS1_3repE0EEENS1_38merge_mergepath_config_static_selectorELNS0_4arch9wavefront6targetE0EEEvSI_: ; @_ZN7rocprim17ROCPRIM_400000_NS6detail17trampoline_kernelINS0_14default_configENS1_38merge_sort_block_merge_config_selectorIiNS0_10empty_typeEEEZZNS1_27merge_sort_block_merge_implIS3_N6thrust23THRUST_200600_302600_NS10device_ptrIiEEPS5_jNS1_19radix_merge_compareILb0ELb0EiNS0_19identity_decomposerEEEEE10hipError_tT0_T1_T2_jT3_P12ihipStream_tbPNSt15iterator_traitsISH_E10value_typeEPNSN_ISI_E10value_typeEPSJ_NS1_7vsmem_tEENKUlT_SH_SI_SJ_E_clIPiSB_SC_SC_EESG_SW_SH_SI_SJ_EUlSW_E0_NS1_11comp_targetILNS1_3genE2ELNS1_11target_archE906ELNS1_3gpuE6ELNS1_3repE0EEENS1_38merge_mergepath_config_static_selectorELNS0_4arch9wavefront6targetE0EEEvSI_
; %bb.0:
	.section	.rodata,"a",@progbits
	.p2align	6, 0x0
	.amdhsa_kernel _ZN7rocprim17ROCPRIM_400000_NS6detail17trampoline_kernelINS0_14default_configENS1_38merge_sort_block_merge_config_selectorIiNS0_10empty_typeEEEZZNS1_27merge_sort_block_merge_implIS3_N6thrust23THRUST_200600_302600_NS10device_ptrIiEEPS5_jNS1_19radix_merge_compareILb0ELb0EiNS0_19identity_decomposerEEEEE10hipError_tT0_T1_T2_jT3_P12ihipStream_tbPNSt15iterator_traitsISH_E10value_typeEPNSN_ISI_E10value_typeEPSJ_NS1_7vsmem_tEENKUlT_SH_SI_SJ_E_clIPiSB_SC_SC_EESG_SW_SH_SI_SJ_EUlSW_E0_NS1_11comp_targetILNS1_3genE2ELNS1_11target_archE906ELNS1_3gpuE6ELNS1_3repE0EEENS1_38merge_mergepath_config_static_selectorELNS0_4arch9wavefront6targetE0EEEvSI_
		.amdhsa_group_segment_fixed_size 0
		.amdhsa_private_segment_fixed_size 0
		.amdhsa_kernarg_size 64
		.amdhsa_user_sgpr_count 6
		.amdhsa_user_sgpr_private_segment_buffer 1
		.amdhsa_user_sgpr_dispatch_ptr 0
		.amdhsa_user_sgpr_queue_ptr 0
		.amdhsa_user_sgpr_kernarg_segment_ptr 1
		.amdhsa_user_sgpr_dispatch_id 0
		.amdhsa_user_sgpr_flat_scratch_init 0
		.amdhsa_user_sgpr_private_segment_size 0
		.amdhsa_wavefront_size32 1
		.amdhsa_uses_dynamic_stack 0
		.amdhsa_system_sgpr_private_segment_wavefront_offset 0
		.amdhsa_system_sgpr_workgroup_id_x 1
		.amdhsa_system_sgpr_workgroup_id_y 0
		.amdhsa_system_sgpr_workgroup_id_z 0
		.amdhsa_system_sgpr_workgroup_info 0
		.amdhsa_system_vgpr_workitem_id 0
		.amdhsa_next_free_vgpr 1
		.amdhsa_next_free_sgpr 1
		.amdhsa_reserve_vcc 0
		.amdhsa_reserve_flat_scratch 0
		.amdhsa_float_round_mode_32 0
		.amdhsa_float_round_mode_16_64 0
		.amdhsa_float_denorm_mode_32 3
		.amdhsa_float_denorm_mode_16_64 3
		.amdhsa_dx10_clamp 1
		.amdhsa_ieee_mode 1
		.amdhsa_fp16_overflow 0
		.amdhsa_workgroup_processor_mode 1
		.amdhsa_memory_ordered 1
		.amdhsa_forward_progress 1
		.amdhsa_shared_vgpr_count 0
		.amdhsa_exception_fp_ieee_invalid_op 0
		.amdhsa_exception_fp_denorm_src 0
		.amdhsa_exception_fp_ieee_div_zero 0
		.amdhsa_exception_fp_ieee_overflow 0
		.amdhsa_exception_fp_ieee_underflow 0
		.amdhsa_exception_fp_ieee_inexact 0
		.amdhsa_exception_int_div_zero 0
	.end_amdhsa_kernel
	.section	.text._ZN7rocprim17ROCPRIM_400000_NS6detail17trampoline_kernelINS0_14default_configENS1_38merge_sort_block_merge_config_selectorIiNS0_10empty_typeEEEZZNS1_27merge_sort_block_merge_implIS3_N6thrust23THRUST_200600_302600_NS10device_ptrIiEEPS5_jNS1_19radix_merge_compareILb0ELb0EiNS0_19identity_decomposerEEEEE10hipError_tT0_T1_T2_jT3_P12ihipStream_tbPNSt15iterator_traitsISH_E10value_typeEPNSN_ISI_E10value_typeEPSJ_NS1_7vsmem_tEENKUlT_SH_SI_SJ_E_clIPiSB_SC_SC_EESG_SW_SH_SI_SJ_EUlSW_E0_NS1_11comp_targetILNS1_3genE2ELNS1_11target_archE906ELNS1_3gpuE6ELNS1_3repE0EEENS1_38merge_mergepath_config_static_selectorELNS0_4arch9wavefront6targetE0EEEvSI_,"axG",@progbits,_ZN7rocprim17ROCPRIM_400000_NS6detail17trampoline_kernelINS0_14default_configENS1_38merge_sort_block_merge_config_selectorIiNS0_10empty_typeEEEZZNS1_27merge_sort_block_merge_implIS3_N6thrust23THRUST_200600_302600_NS10device_ptrIiEEPS5_jNS1_19radix_merge_compareILb0ELb0EiNS0_19identity_decomposerEEEEE10hipError_tT0_T1_T2_jT3_P12ihipStream_tbPNSt15iterator_traitsISH_E10value_typeEPNSN_ISI_E10value_typeEPSJ_NS1_7vsmem_tEENKUlT_SH_SI_SJ_E_clIPiSB_SC_SC_EESG_SW_SH_SI_SJ_EUlSW_E0_NS1_11comp_targetILNS1_3genE2ELNS1_11target_archE906ELNS1_3gpuE6ELNS1_3repE0EEENS1_38merge_mergepath_config_static_selectorELNS0_4arch9wavefront6targetE0EEEvSI_,comdat
.Lfunc_end1125:
	.size	_ZN7rocprim17ROCPRIM_400000_NS6detail17trampoline_kernelINS0_14default_configENS1_38merge_sort_block_merge_config_selectorIiNS0_10empty_typeEEEZZNS1_27merge_sort_block_merge_implIS3_N6thrust23THRUST_200600_302600_NS10device_ptrIiEEPS5_jNS1_19radix_merge_compareILb0ELb0EiNS0_19identity_decomposerEEEEE10hipError_tT0_T1_T2_jT3_P12ihipStream_tbPNSt15iterator_traitsISH_E10value_typeEPNSN_ISI_E10value_typeEPSJ_NS1_7vsmem_tEENKUlT_SH_SI_SJ_E_clIPiSB_SC_SC_EESG_SW_SH_SI_SJ_EUlSW_E0_NS1_11comp_targetILNS1_3genE2ELNS1_11target_archE906ELNS1_3gpuE6ELNS1_3repE0EEENS1_38merge_mergepath_config_static_selectorELNS0_4arch9wavefront6targetE0EEEvSI_, .Lfunc_end1125-_ZN7rocprim17ROCPRIM_400000_NS6detail17trampoline_kernelINS0_14default_configENS1_38merge_sort_block_merge_config_selectorIiNS0_10empty_typeEEEZZNS1_27merge_sort_block_merge_implIS3_N6thrust23THRUST_200600_302600_NS10device_ptrIiEEPS5_jNS1_19radix_merge_compareILb0ELb0EiNS0_19identity_decomposerEEEEE10hipError_tT0_T1_T2_jT3_P12ihipStream_tbPNSt15iterator_traitsISH_E10value_typeEPNSN_ISI_E10value_typeEPSJ_NS1_7vsmem_tEENKUlT_SH_SI_SJ_E_clIPiSB_SC_SC_EESG_SW_SH_SI_SJ_EUlSW_E0_NS1_11comp_targetILNS1_3genE2ELNS1_11target_archE906ELNS1_3gpuE6ELNS1_3repE0EEENS1_38merge_mergepath_config_static_selectorELNS0_4arch9wavefront6targetE0EEEvSI_
                                        ; -- End function
	.set _ZN7rocprim17ROCPRIM_400000_NS6detail17trampoline_kernelINS0_14default_configENS1_38merge_sort_block_merge_config_selectorIiNS0_10empty_typeEEEZZNS1_27merge_sort_block_merge_implIS3_N6thrust23THRUST_200600_302600_NS10device_ptrIiEEPS5_jNS1_19radix_merge_compareILb0ELb0EiNS0_19identity_decomposerEEEEE10hipError_tT0_T1_T2_jT3_P12ihipStream_tbPNSt15iterator_traitsISH_E10value_typeEPNSN_ISI_E10value_typeEPSJ_NS1_7vsmem_tEENKUlT_SH_SI_SJ_E_clIPiSB_SC_SC_EESG_SW_SH_SI_SJ_EUlSW_E0_NS1_11comp_targetILNS1_3genE2ELNS1_11target_archE906ELNS1_3gpuE6ELNS1_3repE0EEENS1_38merge_mergepath_config_static_selectorELNS0_4arch9wavefront6targetE0EEEvSI_.num_vgpr, 0
	.set _ZN7rocprim17ROCPRIM_400000_NS6detail17trampoline_kernelINS0_14default_configENS1_38merge_sort_block_merge_config_selectorIiNS0_10empty_typeEEEZZNS1_27merge_sort_block_merge_implIS3_N6thrust23THRUST_200600_302600_NS10device_ptrIiEEPS5_jNS1_19radix_merge_compareILb0ELb0EiNS0_19identity_decomposerEEEEE10hipError_tT0_T1_T2_jT3_P12ihipStream_tbPNSt15iterator_traitsISH_E10value_typeEPNSN_ISI_E10value_typeEPSJ_NS1_7vsmem_tEENKUlT_SH_SI_SJ_E_clIPiSB_SC_SC_EESG_SW_SH_SI_SJ_EUlSW_E0_NS1_11comp_targetILNS1_3genE2ELNS1_11target_archE906ELNS1_3gpuE6ELNS1_3repE0EEENS1_38merge_mergepath_config_static_selectorELNS0_4arch9wavefront6targetE0EEEvSI_.num_agpr, 0
	.set _ZN7rocprim17ROCPRIM_400000_NS6detail17trampoline_kernelINS0_14default_configENS1_38merge_sort_block_merge_config_selectorIiNS0_10empty_typeEEEZZNS1_27merge_sort_block_merge_implIS3_N6thrust23THRUST_200600_302600_NS10device_ptrIiEEPS5_jNS1_19radix_merge_compareILb0ELb0EiNS0_19identity_decomposerEEEEE10hipError_tT0_T1_T2_jT3_P12ihipStream_tbPNSt15iterator_traitsISH_E10value_typeEPNSN_ISI_E10value_typeEPSJ_NS1_7vsmem_tEENKUlT_SH_SI_SJ_E_clIPiSB_SC_SC_EESG_SW_SH_SI_SJ_EUlSW_E0_NS1_11comp_targetILNS1_3genE2ELNS1_11target_archE906ELNS1_3gpuE6ELNS1_3repE0EEENS1_38merge_mergepath_config_static_selectorELNS0_4arch9wavefront6targetE0EEEvSI_.numbered_sgpr, 0
	.set _ZN7rocprim17ROCPRIM_400000_NS6detail17trampoline_kernelINS0_14default_configENS1_38merge_sort_block_merge_config_selectorIiNS0_10empty_typeEEEZZNS1_27merge_sort_block_merge_implIS3_N6thrust23THRUST_200600_302600_NS10device_ptrIiEEPS5_jNS1_19radix_merge_compareILb0ELb0EiNS0_19identity_decomposerEEEEE10hipError_tT0_T1_T2_jT3_P12ihipStream_tbPNSt15iterator_traitsISH_E10value_typeEPNSN_ISI_E10value_typeEPSJ_NS1_7vsmem_tEENKUlT_SH_SI_SJ_E_clIPiSB_SC_SC_EESG_SW_SH_SI_SJ_EUlSW_E0_NS1_11comp_targetILNS1_3genE2ELNS1_11target_archE906ELNS1_3gpuE6ELNS1_3repE0EEENS1_38merge_mergepath_config_static_selectorELNS0_4arch9wavefront6targetE0EEEvSI_.num_named_barrier, 0
	.set _ZN7rocprim17ROCPRIM_400000_NS6detail17trampoline_kernelINS0_14default_configENS1_38merge_sort_block_merge_config_selectorIiNS0_10empty_typeEEEZZNS1_27merge_sort_block_merge_implIS3_N6thrust23THRUST_200600_302600_NS10device_ptrIiEEPS5_jNS1_19radix_merge_compareILb0ELb0EiNS0_19identity_decomposerEEEEE10hipError_tT0_T1_T2_jT3_P12ihipStream_tbPNSt15iterator_traitsISH_E10value_typeEPNSN_ISI_E10value_typeEPSJ_NS1_7vsmem_tEENKUlT_SH_SI_SJ_E_clIPiSB_SC_SC_EESG_SW_SH_SI_SJ_EUlSW_E0_NS1_11comp_targetILNS1_3genE2ELNS1_11target_archE906ELNS1_3gpuE6ELNS1_3repE0EEENS1_38merge_mergepath_config_static_selectorELNS0_4arch9wavefront6targetE0EEEvSI_.private_seg_size, 0
	.set _ZN7rocprim17ROCPRIM_400000_NS6detail17trampoline_kernelINS0_14default_configENS1_38merge_sort_block_merge_config_selectorIiNS0_10empty_typeEEEZZNS1_27merge_sort_block_merge_implIS3_N6thrust23THRUST_200600_302600_NS10device_ptrIiEEPS5_jNS1_19radix_merge_compareILb0ELb0EiNS0_19identity_decomposerEEEEE10hipError_tT0_T1_T2_jT3_P12ihipStream_tbPNSt15iterator_traitsISH_E10value_typeEPNSN_ISI_E10value_typeEPSJ_NS1_7vsmem_tEENKUlT_SH_SI_SJ_E_clIPiSB_SC_SC_EESG_SW_SH_SI_SJ_EUlSW_E0_NS1_11comp_targetILNS1_3genE2ELNS1_11target_archE906ELNS1_3gpuE6ELNS1_3repE0EEENS1_38merge_mergepath_config_static_selectorELNS0_4arch9wavefront6targetE0EEEvSI_.uses_vcc, 0
	.set _ZN7rocprim17ROCPRIM_400000_NS6detail17trampoline_kernelINS0_14default_configENS1_38merge_sort_block_merge_config_selectorIiNS0_10empty_typeEEEZZNS1_27merge_sort_block_merge_implIS3_N6thrust23THRUST_200600_302600_NS10device_ptrIiEEPS5_jNS1_19radix_merge_compareILb0ELb0EiNS0_19identity_decomposerEEEEE10hipError_tT0_T1_T2_jT3_P12ihipStream_tbPNSt15iterator_traitsISH_E10value_typeEPNSN_ISI_E10value_typeEPSJ_NS1_7vsmem_tEENKUlT_SH_SI_SJ_E_clIPiSB_SC_SC_EESG_SW_SH_SI_SJ_EUlSW_E0_NS1_11comp_targetILNS1_3genE2ELNS1_11target_archE906ELNS1_3gpuE6ELNS1_3repE0EEENS1_38merge_mergepath_config_static_selectorELNS0_4arch9wavefront6targetE0EEEvSI_.uses_flat_scratch, 0
	.set _ZN7rocprim17ROCPRIM_400000_NS6detail17trampoline_kernelINS0_14default_configENS1_38merge_sort_block_merge_config_selectorIiNS0_10empty_typeEEEZZNS1_27merge_sort_block_merge_implIS3_N6thrust23THRUST_200600_302600_NS10device_ptrIiEEPS5_jNS1_19radix_merge_compareILb0ELb0EiNS0_19identity_decomposerEEEEE10hipError_tT0_T1_T2_jT3_P12ihipStream_tbPNSt15iterator_traitsISH_E10value_typeEPNSN_ISI_E10value_typeEPSJ_NS1_7vsmem_tEENKUlT_SH_SI_SJ_E_clIPiSB_SC_SC_EESG_SW_SH_SI_SJ_EUlSW_E0_NS1_11comp_targetILNS1_3genE2ELNS1_11target_archE906ELNS1_3gpuE6ELNS1_3repE0EEENS1_38merge_mergepath_config_static_selectorELNS0_4arch9wavefront6targetE0EEEvSI_.has_dyn_sized_stack, 0
	.set _ZN7rocprim17ROCPRIM_400000_NS6detail17trampoline_kernelINS0_14default_configENS1_38merge_sort_block_merge_config_selectorIiNS0_10empty_typeEEEZZNS1_27merge_sort_block_merge_implIS3_N6thrust23THRUST_200600_302600_NS10device_ptrIiEEPS5_jNS1_19radix_merge_compareILb0ELb0EiNS0_19identity_decomposerEEEEE10hipError_tT0_T1_T2_jT3_P12ihipStream_tbPNSt15iterator_traitsISH_E10value_typeEPNSN_ISI_E10value_typeEPSJ_NS1_7vsmem_tEENKUlT_SH_SI_SJ_E_clIPiSB_SC_SC_EESG_SW_SH_SI_SJ_EUlSW_E0_NS1_11comp_targetILNS1_3genE2ELNS1_11target_archE906ELNS1_3gpuE6ELNS1_3repE0EEENS1_38merge_mergepath_config_static_selectorELNS0_4arch9wavefront6targetE0EEEvSI_.has_recursion, 0
	.set _ZN7rocprim17ROCPRIM_400000_NS6detail17trampoline_kernelINS0_14default_configENS1_38merge_sort_block_merge_config_selectorIiNS0_10empty_typeEEEZZNS1_27merge_sort_block_merge_implIS3_N6thrust23THRUST_200600_302600_NS10device_ptrIiEEPS5_jNS1_19radix_merge_compareILb0ELb0EiNS0_19identity_decomposerEEEEE10hipError_tT0_T1_T2_jT3_P12ihipStream_tbPNSt15iterator_traitsISH_E10value_typeEPNSN_ISI_E10value_typeEPSJ_NS1_7vsmem_tEENKUlT_SH_SI_SJ_E_clIPiSB_SC_SC_EESG_SW_SH_SI_SJ_EUlSW_E0_NS1_11comp_targetILNS1_3genE2ELNS1_11target_archE906ELNS1_3gpuE6ELNS1_3repE0EEENS1_38merge_mergepath_config_static_selectorELNS0_4arch9wavefront6targetE0EEEvSI_.has_indirect_call, 0
	.section	.AMDGPU.csdata,"",@progbits
; Kernel info:
; codeLenInByte = 0
; TotalNumSgprs: 0
; NumVgprs: 0
; ScratchSize: 0
; MemoryBound: 0
; FloatMode: 240
; IeeeMode: 1
; LDSByteSize: 0 bytes/workgroup (compile time only)
; SGPRBlocks: 0
; VGPRBlocks: 0
; NumSGPRsForWavesPerEU: 1
; NumVGPRsForWavesPerEU: 1
; Occupancy: 16
; WaveLimiterHint : 0
; COMPUTE_PGM_RSRC2:SCRATCH_EN: 0
; COMPUTE_PGM_RSRC2:USER_SGPR: 6
; COMPUTE_PGM_RSRC2:TRAP_HANDLER: 0
; COMPUTE_PGM_RSRC2:TGID_X_EN: 1
; COMPUTE_PGM_RSRC2:TGID_Y_EN: 0
; COMPUTE_PGM_RSRC2:TGID_Z_EN: 0
; COMPUTE_PGM_RSRC2:TIDIG_COMP_CNT: 0
	.section	.text._ZN7rocprim17ROCPRIM_400000_NS6detail17trampoline_kernelINS0_14default_configENS1_38merge_sort_block_merge_config_selectorIiNS0_10empty_typeEEEZZNS1_27merge_sort_block_merge_implIS3_N6thrust23THRUST_200600_302600_NS10device_ptrIiEEPS5_jNS1_19radix_merge_compareILb0ELb0EiNS0_19identity_decomposerEEEEE10hipError_tT0_T1_T2_jT3_P12ihipStream_tbPNSt15iterator_traitsISH_E10value_typeEPNSN_ISI_E10value_typeEPSJ_NS1_7vsmem_tEENKUlT_SH_SI_SJ_E_clIPiSB_SC_SC_EESG_SW_SH_SI_SJ_EUlSW_E0_NS1_11comp_targetILNS1_3genE9ELNS1_11target_archE1100ELNS1_3gpuE3ELNS1_3repE0EEENS1_38merge_mergepath_config_static_selectorELNS0_4arch9wavefront6targetE0EEEvSI_,"axG",@progbits,_ZN7rocprim17ROCPRIM_400000_NS6detail17trampoline_kernelINS0_14default_configENS1_38merge_sort_block_merge_config_selectorIiNS0_10empty_typeEEEZZNS1_27merge_sort_block_merge_implIS3_N6thrust23THRUST_200600_302600_NS10device_ptrIiEEPS5_jNS1_19radix_merge_compareILb0ELb0EiNS0_19identity_decomposerEEEEE10hipError_tT0_T1_T2_jT3_P12ihipStream_tbPNSt15iterator_traitsISH_E10value_typeEPNSN_ISI_E10value_typeEPSJ_NS1_7vsmem_tEENKUlT_SH_SI_SJ_E_clIPiSB_SC_SC_EESG_SW_SH_SI_SJ_EUlSW_E0_NS1_11comp_targetILNS1_3genE9ELNS1_11target_archE1100ELNS1_3gpuE3ELNS1_3repE0EEENS1_38merge_mergepath_config_static_selectorELNS0_4arch9wavefront6targetE0EEEvSI_,comdat
	.protected	_ZN7rocprim17ROCPRIM_400000_NS6detail17trampoline_kernelINS0_14default_configENS1_38merge_sort_block_merge_config_selectorIiNS0_10empty_typeEEEZZNS1_27merge_sort_block_merge_implIS3_N6thrust23THRUST_200600_302600_NS10device_ptrIiEEPS5_jNS1_19radix_merge_compareILb0ELb0EiNS0_19identity_decomposerEEEEE10hipError_tT0_T1_T2_jT3_P12ihipStream_tbPNSt15iterator_traitsISH_E10value_typeEPNSN_ISI_E10value_typeEPSJ_NS1_7vsmem_tEENKUlT_SH_SI_SJ_E_clIPiSB_SC_SC_EESG_SW_SH_SI_SJ_EUlSW_E0_NS1_11comp_targetILNS1_3genE9ELNS1_11target_archE1100ELNS1_3gpuE3ELNS1_3repE0EEENS1_38merge_mergepath_config_static_selectorELNS0_4arch9wavefront6targetE0EEEvSI_ ; -- Begin function _ZN7rocprim17ROCPRIM_400000_NS6detail17trampoline_kernelINS0_14default_configENS1_38merge_sort_block_merge_config_selectorIiNS0_10empty_typeEEEZZNS1_27merge_sort_block_merge_implIS3_N6thrust23THRUST_200600_302600_NS10device_ptrIiEEPS5_jNS1_19radix_merge_compareILb0ELb0EiNS0_19identity_decomposerEEEEE10hipError_tT0_T1_T2_jT3_P12ihipStream_tbPNSt15iterator_traitsISH_E10value_typeEPNSN_ISI_E10value_typeEPSJ_NS1_7vsmem_tEENKUlT_SH_SI_SJ_E_clIPiSB_SC_SC_EESG_SW_SH_SI_SJ_EUlSW_E0_NS1_11comp_targetILNS1_3genE9ELNS1_11target_archE1100ELNS1_3gpuE3ELNS1_3repE0EEENS1_38merge_mergepath_config_static_selectorELNS0_4arch9wavefront6targetE0EEEvSI_
	.globl	_ZN7rocprim17ROCPRIM_400000_NS6detail17trampoline_kernelINS0_14default_configENS1_38merge_sort_block_merge_config_selectorIiNS0_10empty_typeEEEZZNS1_27merge_sort_block_merge_implIS3_N6thrust23THRUST_200600_302600_NS10device_ptrIiEEPS5_jNS1_19radix_merge_compareILb0ELb0EiNS0_19identity_decomposerEEEEE10hipError_tT0_T1_T2_jT3_P12ihipStream_tbPNSt15iterator_traitsISH_E10value_typeEPNSN_ISI_E10value_typeEPSJ_NS1_7vsmem_tEENKUlT_SH_SI_SJ_E_clIPiSB_SC_SC_EESG_SW_SH_SI_SJ_EUlSW_E0_NS1_11comp_targetILNS1_3genE9ELNS1_11target_archE1100ELNS1_3gpuE3ELNS1_3repE0EEENS1_38merge_mergepath_config_static_selectorELNS0_4arch9wavefront6targetE0EEEvSI_
	.p2align	8
	.type	_ZN7rocprim17ROCPRIM_400000_NS6detail17trampoline_kernelINS0_14default_configENS1_38merge_sort_block_merge_config_selectorIiNS0_10empty_typeEEEZZNS1_27merge_sort_block_merge_implIS3_N6thrust23THRUST_200600_302600_NS10device_ptrIiEEPS5_jNS1_19radix_merge_compareILb0ELb0EiNS0_19identity_decomposerEEEEE10hipError_tT0_T1_T2_jT3_P12ihipStream_tbPNSt15iterator_traitsISH_E10value_typeEPNSN_ISI_E10value_typeEPSJ_NS1_7vsmem_tEENKUlT_SH_SI_SJ_E_clIPiSB_SC_SC_EESG_SW_SH_SI_SJ_EUlSW_E0_NS1_11comp_targetILNS1_3genE9ELNS1_11target_archE1100ELNS1_3gpuE3ELNS1_3repE0EEENS1_38merge_mergepath_config_static_selectorELNS0_4arch9wavefront6targetE0EEEvSI_,@function
_ZN7rocprim17ROCPRIM_400000_NS6detail17trampoline_kernelINS0_14default_configENS1_38merge_sort_block_merge_config_selectorIiNS0_10empty_typeEEEZZNS1_27merge_sort_block_merge_implIS3_N6thrust23THRUST_200600_302600_NS10device_ptrIiEEPS5_jNS1_19radix_merge_compareILb0ELb0EiNS0_19identity_decomposerEEEEE10hipError_tT0_T1_T2_jT3_P12ihipStream_tbPNSt15iterator_traitsISH_E10value_typeEPNSN_ISI_E10value_typeEPSJ_NS1_7vsmem_tEENKUlT_SH_SI_SJ_E_clIPiSB_SC_SC_EESG_SW_SH_SI_SJ_EUlSW_E0_NS1_11comp_targetILNS1_3genE9ELNS1_11target_archE1100ELNS1_3gpuE3ELNS1_3repE0EEENS1_38merge_mergepath_config_static_selectorELNS0_4arch9wavefront6targetE0EEEvSI_: ; @_ZN7rocprim17ROCPRIM_400000_NS6detail17trampoline_kernelINS0_14default_configENS1_38merge_sort_block_merge_config_selectorIiNS0_10empty_typeEEEZZNS1_27merge_sort_block_merge_implIS3_N6thrust23THRUST_200600_302600_NS10device_ptrIiEEPS5_jNS1_19radix_merge_compareILb0ELb0EiNS0_19identity_decomposerEEEEE10hipError_tT0_T1_T2_jT3_P12ihipStream_tbPNSt15iterator_traitsISH_E10value_typeEPNSN_ISI_E10value_typeEPSJ_NS1_7vsmem_tEENKUlT_SH_SI_SJ_E_clIPiSB_SC_SC_EESG_SW_SH_SI_SJ_EUlSW_E0_NS1_11comp_targetILNS1_3genE9ELNS1_11target_archE1100ELNS1_3gpuE3ELNS1_3repE0EEENS1_38merge_mergepath_config_static_selectorELNS0_4arch9wavefront6targetE0EEEvSI_
; %bb.0:
	.section	.rodata,"a",@progbits
	.p2align	6, 0x0
	.amdhsa_kernel _ZN7rocprim17ROCPRIM_400000_NS6detail17trampoline_kernelINS0_14default_configENS1_38merge_sort_block_merge_config_selectorIiNS0_10empty_typeEEEZZNS1_27merge_sort_block_merge_implIS3_N6thrust23THRUST_200600_302600_NS10device_ptrIiEEPS5_jNS1_19radix_merge_compareILb0ELb0EiNS0_19identity_decomposerEEEEE10hipError_tT0_T1_T2_jT3_P12ihipStream_tbPNSt15iterator_traitsISH_E10value_typeEPNSN_ISI_E10value_typeEPSJ_NS1_7vsmem_tEENKUlT_SH_SI_SJ_E_clIPiSB_SC_SC_EESG_SW_SH_SI_SJ_EUlSW_E0_NS1_11comp_targetILNS1_3genE9ELNS1_11target_archE1100ELNS1_3gpuE3ELNS1_3repE0EEENS1_38merge_mergepath_config_static_selectorELNS0_4arch9wavefront6targetE0EEEvSI_
		.amdhsa_group_segment_fixed_size 0
		.amdhsa_private_segment_fixed_size 0
		.amdhsa_kernarg_size 64
		.amdhsa_user_sgpr_count 6
		.amdhsa_user_sgpr_private_segment_buffer 1
		.amdhsa_user_sgpr_dispatch_ptr 0
		.amdhsa_user_sgpr_queue_ptr 0
		.amdhsa_user_sgpr_kernarg_segment_ptr 1
		.amdhsa_user_sgpr_dispatch_id 0
		.amdhsa_user_sgpr_flat_scratch_init 0
		.amdhsa_user_sgpr_private_segment_size 0
		.amdhsa_wavefront_size32 1
		.amdhsa_uses_dynamic_stack 0
		.amdhsa_system_sgpr_private_segment_wavefront_offset 0
		.amdhsa_system_sgpr_workgroup_id_x 1
		.amdhsa_system_sgpr_workgroup_id_y 0
		.amdhsa_system_sgpr_workgroup_id_z 0
		.amdhsa_system_sgpr_workgroup_info 0
		.amdhsa_system_vgpr_workitem_id 0
		.amdhsa_next_free_vgpr 1
		.amdhsa_next_free_sgpr 1
		.amdhsa_reserve_vcc 0
		.amdhsa_reserve_flat_scratch 0
		.amdhsa_float_round_mode_32 0
		.amdhsa_float_round_mode_16_64 0
		.amdhsa_float_denorm_mode_32 3
		.amdhsa_float_denorm_mode_16_64 3
		.amdhsa_dx10_clamp 1
		.amdhsa_ieee_mode 1
		.amdhsa_fp16_overflow 0
		.amdhsa_workgroup_processor_mode 1
		.amdhsa_memory_ordered 1
		.amdhsa_forward_progress 1
		.amdhsa_shared_vgpr_count 0
		.amdhsa_exception_fp_ieee_invalid_op 0
		.amdhsa_exception_fp_denorm_src 0
		.amdhsa_exception_fp_ieee_div_zero 0
		.amdhsa_exception_fp_ieee_overflow 0
		.amdhsa_exception_fp_ieee_underflow 0
		.amdhsa_exception_fp_ieee_inexact 0
		.amdhsa_exception_int_div_zero 0
	.end_amdhsa_kernel
	.section	.text._ZN7rocprim17ROCPRIM_400000_NS6detail17trampoline_kernelINS0_14default_configENS1_38merge_sort_block_merge_config_selectorIiNS0_10empty_typeEEEZZNS1_27merge_sort_block_merge_implIS3_N6thrust23THRUST_200600_302600_NS10device_ptrIiEEPS5_jNS1_19radix_merge_compareILb0ELb0EiNS0_19identity_decomposerEEEEE10hipError_tT0_T1_T2_jT3_P12ihipStream_tbPNSt15iterator_traitsISH_E10value_typeEPNSN_ISI_E10value_typeEPSJ_NS1_7vsmem_tEENKUlT_SH_SI_SJ_E_clIPiSB_SC_SC_EESG_SW_SH_SI_SJ_EUlSW_E0_NS1_11comp_targetILNS1_3genE9ELNS1_11target_archE1100ELNS1_3gpuE3ELNS1_3repE0EEENS1_38merge_mergepath_config_static_selectorELNS0_4arch9wavefront6targetE0EEEvSI_,"axG",@progbits,_ZN7rocprim17ROCPRIM_400000_NS6detail17trampoline_kernelINS0_14default_configENS1_38merge_sort_block_merge_config_selectorIiNS0_10empty_typeEEEZZNS1_27merge_sort_block_merge_implIS3_N6thrust23THRUST_200600_302600_NS10device_ptrIiEEPS5_jNS1_19radix_merge_compareILb0ELb0EiNS0_19identity_decomposerEEEEE10hipError_tT0_T1_T2_jT3_P12ihipStream_tbPNSt15iterator_traitsISH_E10value_typeEPNSN_ISI_E10value_typeEPSJ_NS1_7vsmem_tEENKUlT_SH_SI_SJ_E_clIPiSB_SC_SC_EESG_SW_SH_SI_SJ_EUlSW_E0_NS1_11comp_targetILNS1_3genE9ELNS1_11target_archE1100ELNS1_3gpuE3ELNS1_3repE0EEENS1_38merge_mergepath_config_static_selectorELNS0_4arch9wavefront6targetE0EEEvSI_,comdat
.Lfunc_end1126:
	.size	_ZN7rocprim17ROCPRIM_400000_NS6detail17trampoline_kernelINS0_14default_configENS1_38merge_sort_block_merge_config_selectorIiNS0_10empty_typeEEEZZNS1_27merge_sort_block_merge_implIS3_N6thrust23THRUST_200600_302600_NS10device_ptrIiEEPS5_jNS1_19radix_merge_compareILb0ELb0EiNS0_19identity_decomposerEEEEE10hipError_tT0_T1_T2_jT3_P12ihipStream_tbPNSt15iterator_traitsISH_E10value_typeEPNSN_ISI_E10value_typeEPSJ_NS1_7vsmem_tEENKUlT_SH_SI_SJ_E_clIPiSB_SC_SC_EESG_SW_SH_SI_SJ_EUlSW_E0_NS1_11comp_targetILNS1_3genE9ELNS1_11target_archE1100ELNS1_3gpuE3ELNS1_3repE0EEENS1_38merge_mergepath_config_static_selectorELNS0_4arch9wavefront6targetE0EEEvSI_, .Lfunc_end1126-_ZN7rocprim17ROCPRIM_400000_NS6detail17trampoline_kernelINS0_14default_configENS1_38merge_sort_block_merge_config_selectorIiNS0_10empty_typeEEEZZNS1_27merge_sort_block_merge_implIS3_N6thrust23THRUST_200600_302600_NS10device_ptrIiEEPS5_jNS1_19radix_merge_compareILb0ELb0EiNS0_19identity_decomposerEEEEE10hipError_tT0_T1_T2_jT3_P12ihipStream_tbPNSt15iterator_traitsISH_E10value_typeEPNSN_ISI_E10value_typeEPSJ_NS1_7vsmem_tEENKUlT_SH_SI_SJ_E_clIPiSB_SC_SC_EESG_SW_SH_SI_SJ_EUlSW_E0_NS1_11comp_targetILNS1_3genE9ELNS1_11target_archE1100ELNS1_3gpuE3ELNS1_3repE0EEENS1_38merge_mergepath_config_static_selectorELNS0_4arch9wavefront6targetE0EEEvSI_
                                        ; -- End function
	.set _ZN7rocprim17ROCPRIM_400000_NS6detail17trampoline_kernelINS0_14default_configENS1_38merge_sort_block_merge_config_selectorIiNS0_10empty_typeEEEZZNS1_27merge_sort_block_merge_implIS3_N6thrust23THRUST_200600_302600_NS10device_ptrIiEEPS5_jNS1_19radix_merge_compareILb0ELb0EiNS0_19identity_decomposerEEEEE10hipError_tT0_T1_T2_jT3_P12ihipStream_tbPNSt15iterator_traitsISH_E10value_typeEPNSN_ISI_E10value_typeEPSJ_NS1_7vsmem_tEENKUlT_SH_SI_SJ_E_clIPiSB_SC_SC_EESG_SW_SH_SI_SJ_EUlSW_E0_NS1_11comp_targetILNS1_3genE9ELNS1_11target_archE1100ELNS1_3gpuE3ELNS1_3repE0EEENS1_38merge_mergepath_config_static_selectorELNS0_4arch9wavefront6targetE0EEEvSI_.num_vgpr, 0
	.set _ZN7rocprim17ROCPRIM_400000_NS6detail17trampoline_kernelINS0_14default_configENS1_38merge_sort_block_merge_config_selectorIiNS0_10empty_typeEEEZZNS1_27merge_sort_block_merge_implIS3_N6thrust23THRUST_200600_302600_NS10device_ptrIiEEPS5_jNS1_19radix_merge_compareILb0ELb0EiNS0_19identity_decomposerEEEEE10hipError_tT0_T1_T2_jT3_P12ihipStream_tbPNSt15iterator_traitsISH_E10value_typeEPNSN_ISI_E10value_typeEPSJ_NS1_7vsmem_tEENKUlT_SH_SI_SJ_E_clIPiSB_SC_SC_EESG_SW_SH_SI_SJ_EUlSW_E0_NS1_11comp_targetILNS1_3genE9ELNS1_11target_archE1100ELNS1_3gpuE3ELNS1_3repE0EEENS1_38merge_mergepath_config_static_selectorELNS0_4arch9wavefront6targetE0EEEvSI_.num_agpr, 0
	.set _ZN7rocprim17ROCPRIM_400000_NS6detail17trampoline_kernelINS0_14default_configENS1_38merge_sort_block_merge_config_selectorIiNS0_10empty_typeEEEZZNS1_27merge_sort_block_merge_implIS3_N6thrust23THRUST_200600_302600_NS10device_ptrIiEEPS5_jNS1_19radix_merge_compareILb0ELb0EiNS0_19identity_decomposerEEEEE10hipError_tT0_T1_T2_jT3_P12ihipStream_tbPNSt15iterator_traitsISH_E10value_typeEPNSN_ISI_E10value_typeEPSJ_NS1_7vsmem_tEENKUlT_SH_SI_SJ_E_clIPiSB_SC_SC_EESG_SW_SH_SI_SJ_EUlSW_E0_NS1_11comp_targetILNS1_3genE9ELNS1_11target_archE1100ELNS1_3gpuE3ELNS1_3repE0EEENS1_38merge_mergepath_config_static_selectorELNS0_4arch9wavefront6targetE0EEEvSI_.numbered_sgpr, 0
	.set _ZN7rocprim17ROCPRIM_400000_NS6detail17trampoline_kernelINS0_14default_configENS1_38merge_sort_block_merge_config_selectorIiNS0_10empty_typeEEEZZNS1_27merge_sort_block_merge_implIS3_N6thrust23THRUST_200600_302600_NS10device_ptrIiEEPS5_jNS1_19radix_merge_compareILb0ELb0EiNS0_19identity_decomposerEEEEE10hipError_tT0_T1_T2_jT3_P12ihipStream_tbPNSt15iterator_traitsISH_E10value_typeEPNSN_ISI_E10value_typeEPSJ_NS1_7vsmem_tEENKUlT_SH_SI_SJ_E_clIPiSB_SC_SC_EESG_SW_SH_SI_SJ_EUlSW_E0_NS1_11comp_targetILNS1_3genE9ELNS1_11target_archE1100ELNS1_3gpuE3ELNS1_3repE0EEENS1_38merge_mergepath_config_static_selectorELNS0_4arch9wavefront6targetE0EEEvSI_.num_named_barrier, 0
	.set _ZN7rocprim17ROCPRIM_400000_NS6detail17trampoline_kernelINS0_14default_configENS1_38merge_sort_block_merge_config_selectorIiNS0_10empty_typeEEEZZNS1_27merge_sort_block_merge_implIS3_N6thrust23THRUST_200600_302600_NS10device_ptrIiEEPS5_jNS1_19radix_merge_compareILb0ELb0EiNS0_19identity_decomposerEEEEE10hipError_tT0_T1_T2_jT3_P12ihipStream_tbPNSt15iterator_traitsISH_E10value_typeEPNSN_ISI_E10value_typeEPSJ_NS1_7vsmem_tEENKUlT_SH_SI_SJ_E_clIPiSB_SC_SC_EESG_SW_SH_SI_SJ_EUlSW_E0_NS1_11comp_targetILNS1_3genE9ELNS1_11target_archE1100ELNS1_3gpuE3ELNS1_3repE0EEENS1_38merge_mergepath_config_static_selectorELNS0_4arch9wavefront6targetE0EEEvSI_.private_seg_size, 0
	.set _ZN7rocprim17ROCPRIM_400000_NS6detail17trampoline_kernelINS0_14default_configENS1_38merge_sort_block_merge_config_selectorIiNS0_10empty_typeEEEZZNS1_27merge_sort_block_merge_implIS3_N6thrust23THRUST_200600_302600_NS10device_ptrIiEEPS5_jNS1_19radix_merge_compareILb0ELb0EiNS0_19identity_decomposerEEEEE10hipError_tT0_T1_T2_jT3_P12ihipStream_tbPNSt15iterator_traitsISH_E10value_typeEPNSN_ISI_E10value_typeEPSJ_NS1_7vsmem_tEENKUlT_SH_SI_SJ_E_clIPiSB_SC_SC_EESG_SW_SH_SI_SJ_EUlSW_E0_NS1_11comp_targetILNS1_3genE9ELNS1_11target_archE1100ELNS1_3gpuE3ELNS1_3repE0EEENS1_38merge_mergepath_config_static_selectorELNS0_4arch9wavefront6targetE0EEEvSI_.uses_vcc, 0
	.set _ZN7rocprim17ROCPRIM_400000_NS6detail17trampoline_kernelINS0_14default_configENS1_38merge_sort_block_merge_config_selectorIiNS0_10empty_typeEEEZZNS1_27merge_sort_block_merge_implIS3_N6thrust23THRUST_200600_302600_NS10device_ptrIiEEPS5_jNS1_19radix_merge_compareILb0ELb0EiNS0_19identity_decomposerEEEEE10hipError_tT0_T1_T2_jT3_P12ihipStream_tbPNSt15iterator_traitsISH_E10value_typeEPNSN_ISI_E10value_typeEPSJ_NS1_7vsmem_tEENKUlT_SH_SI_SJ_E_clIPiSB_SC_SC_EESG_SW_SH_SI_SJ_EUlSW_E0_NS1_11comp_targetILNS1_3genE9ELNS1_11target_archE1100ELNS1_3gpuE3ELNS1_3repE0EEENS1_38merge_mergepath_config_static_selectorELNS0_4arch9wavefront6targetE0EEEvSI_.uses_flat_scratch, 0
	.set _ZN7rocprim17ROCPRIM_400000_NS6detail17trampoline_kernelINS0_14default_configENS1_38merge_sort_block_merge_config_selectorIiNS0_10empty_typeEEEZZNS1_27merge_sort_block_merge_implIS3_N6thrust23THRUST_200600_302600_NS10device_ptrIiEEPS5_jNS1_19radix_merge_compareILb0ELb0EiNS0_19identity_decomposerEEEEE10hipError_tT0_T1_T2_jT3_P12ihipStream_tbPNSt15iterator_traitsISH_E10value_typeEPNSN_ISI_E10value_typeEPSJ_NS1_7vsmem_tEENKUlT_SH_SI_SJ_E_clIPiSB_SC_SC_EESG_SW_SH_SI_SJ_EUlSW_E0_NS1_11comp_targetILNS1_3genE9ELNS1_11target_archE1100ELNS1_3gpuE3ELNS1_3repE0EEENS1_38merge_mergepath_config_static_selectorELNS0_4arch9wavefront6targetE0EEEvSI_.has_dyn_sized_stack, 0
	.set _ZN7rocprim17ROCPRIM_400000_NS6detail17trampoline_kernelINS0_14default_configENS1_38merge_sort_block_merge_config_selectorIiNS0_10empty_typeEEEZZNS1_27merge_sort_block_merge_implIS3_N6thrust23THRUST_200600_302600_NS10device_ptrIiEEPS5_jNS1_19radix_merge_compareILb0ELb0EiNS0_19identity_decomposerEEEEE10hipError_tT0_T1_T2_jT3_P12ihipStream_tbPNSt15iterator_traitsISH_E10value_typeEPNSN_ISI_E10value_typeEPSJ_NS1_7vsmem_tEENKUlT_SH_SI_SJ_E_clIPiSB_SC_SC_EESG_SW_SH_SI_SJ_EUlSW_E0_NS1_11comp_targetILNS1_3genE9ELNS1_11target_archE1100ELNS1_3gpuE3ELNS1_3repE0EEENS1_38merge_mergepath_config_static_selectorELNS0_4arch9wavefront6targetE0EEEvSI_.has_recursion, 0
	.set _ZN7rocprim17ROCPRIM_400000_NS6detail17trampoline_kernelINS0_14default_configENS1_38merge_sort_block_merge_config_selectorIiNS0_10empty_typeEEEZZNS1_27merge_sort_block_merge_implIS3_N6thrust23THRUST_200600_302600_NS10device_ptrIiEEPS5_jNS1_19radix_merge_compareILb0ELb0EiNS0_19identity_decomposerEEEEE10hipError_tT0_T1_T2_jT3_P12ihipStream_tbPNSt15iterator_traitsISH_E10value_typeEPNSN_ISI_E10value_typeEPSJ_NS1_7vsmem_tEENKUlT_SH_SI_SJ_E_clIPiSB_SC_SC_EESG_SW_SH_SI_SJ_EUlSW_E0_NS1_11comp_targetILNS1_3genE9ELNS1_11target_archE1100ELNS1_3gpuE3ELNS1_3repE0EEENS1_38merge_mergepath_config_static_selectorELNS0_4arch9wavefront6targetE0EEEvSI_.has_indirect_call, 0
	.section	.AMDGPU.csdata,"",@progbits
; Kernel info:
; codeLenInByte = 0
; TotalNumSgprs: 0
; NumVgprs: 0
; ScratchSize: 0
; MemoryBound: 0
; FloatMode: 240
; IeeeMode: 1
; LDSByteSize: 0 bytes/workgroup (compile time only)
; SGPRBlocks: 0
; VGPRBlocks: 0
; NumSGPRsForWavesPerEU: 1
; NumVGPRsForWavesPerEU: 1
; Occupancy: 16
; WaveLimiterHint : 0
; COMPUTE_PGM_RSRC2:SCRATCH_EN: 0
; COMPUTE_PGM_RSRC2:USER_SGPR: 6
; COMPUTE_PGM_RSRC2:TRAP_HANDLER: 0
; COMPUTE_PGM_RSRC2:TGID_X_EN: 1
; COMPUTE_PGM_RSRC2:TGID_Y_EN: 0
; COMPUTE_PGM_RSRC2:TGID_Z_EN: 0
; COMPUTE_PGM_RSRC2:TIDIG_COMP_CNT: 0
	.section	.text._ZN7rocprim17ROCPRIM_400000_NS6detail17trampoline_kernelINS0_14default_configENS1_38merge_sort_block_merge_config_selectorIiNS0_10empty_typeEEEZZNS1_27merge_sort_block_merge_implIS3_N6thrust23THRUST_200600_302600_NS10device_ptrIiEEPS5_jNS1_19radix_merge_compareILb0ELb0EiNS0_19identity_decomposerEEEEE10hipError_tT0_T1_T2_jT3_P12ihipStream_tbPNSt15iterator_traitsISH_E10value_typeEPNSN_ISI_E10value_typeEPSJ_NS1_7vsmem_tEENKUlT_SH_SI_SJ_E_clIPiSB_SC_SC_EESG_SW_SH_SI_SJ_EUlSW_E0_NS1_11comp_targetILNS1_3genE8ELNS1_11target_archE1030ELNS1_3gpuE2ELNS1_3repE0EEENS1_38merge_mergepath_config_static_selectorELNS0_4arch9wavefront6targetE0EEEvSI_,"axG",@progbits,_ZN7rocprim17ROCPRIM_400000_NS6detail17trampoline_kernelINS0_14default_configENS1_38merge_sort_block_merge_config_selectorIiNS0_10empty_typeEEEZZNS1_27merge_sort_block_merge_implIS3_N6thrust23THRUST_200600_302600_NS10device_ptrIiEEPS5_jNS1_19radix_merge_compareILb0ELb0EiNS0_19identity_decomposerEEEEE10hipError_tT0_T1_T2_jT3_P12ihipStream_tbPNSt15iterator_traitsISH_E10value_typeEPNSN_ISI_E10value_typeEPSJ_NS1_7vsmem_tEENKUlT_SH_SI_SJ_E_clIPiSB_SC_SC_EESG_SW_SH_SI_SJ_EUlSW_E0_NS1_11comp_targetILNS1_3genE8ELNS1_11target_archE1030ELNS1_3gpuE2ELNS1_3repE0EEENS1_38merge_mergepath_config_static_selectorELNS0_4arch9wavefront6targetE0EEEvSI_,comdat
	.protected	_ZN7rocprim17ROCPRIM_400000_NS6detail17trampoline_kernelINS0_14default_configENS1_38merge_sort_block_merge_config_selectorIiNS0_10empty_typeEEEZZNS1_27merge_sort_block_merge_implIS3_N6thrust23THRUST_200600_302600_NS10device_ptrIiEEPS5_jNS1_19radix_merge_compareILb0ELb0EiNS0_19identity_decomposerEEEEE10hipError_tT0_T1_T2_jT3_P12ihipStream_tbPNSt15iterator_traitsISH_E10value_typeEPNSN_ISI_E10value_typeEPSJ_NS1_7vsmem_tEENKUlT_SH_SI_SJ_E_clIPiSB_SC_SC_EESG_SW_SH_SI_SJ_EUlSW_E0_NS1_11comp_targetILNS1_3genE8ELNS1_11target_archE1030ELNS1_3gpuE2ELNS1_3repE0EEENS1_38merge_mergepath_config_static_selectorELNS0_4arch9wavefront6targetE0EEEvSI_ ; -- Begin function _ZN7rocprim17ROCPRIM_400000_NS6detail17trampoline_kernelINS0_14default_configENS1_38merge_sort_block_merge_config_selectorIiNS0_10empty_typeEEEZZNS1_27merge_sort_block_merge_implIS3_N6thrust23THRUST_200600_302600_NS10device_ptrIiEEPS5_jNS1_19radix_merge_compareILb0ELb0EiNS0_19identity_decomposerEEEEE10hipError_tT0_T1_T2_jT3_P12ihipStream_tbPNSt15iterator_traitsISH_E10value_typeEPNSN_ISI_E10value_typeEPSJ_NS1_7vsmem_tEENKUlT_SH_SI_SJ_E_clIPiSB_SC_SC_EESG_SW_SH_SI_SJ_EUlSW_E0_NS1_11comp_targetILNS1_3genE8ELNS1_11target_archE1030ELNS1_3gpuE2ELNS1_3repE0EEENS1_38merge_mergepath_config_static_selectorELNS0_4arch9wavefront6targetE0EEEvSI_
	.globl	_ZN7rocprim17ROCPRIM_400000_NS6detail17trampoline_kernelINS0_14default_configENS1_38merge_sort_block_merge_config_selectorIiNS0_10empty_typeEEEZZNS1_27merge_sort_block_merge_implIS3_N6thrust23THRUST_200600_302600_NS10device_ptrIiEEPS5_jNS1_19radix_merge_compareILb0ELb0EiNS0_19identity_decomposerEEEEE10hipError_tT0_T1_T2_jT3_P12ihipStream_tbPNSt15iterator_traitsISH_E10value_typeEPNSN_ISI_E10value_typeEPSJ_NS1_7vsmem_tEENKUlT_SH_SI_SJ_E_clIPiSB_SC_SC_EESG_SW_SH_SI_SJ_EUlSW_E0_NS1_11comp_targetILNS1_3genE8ELNS1_11target_archE1030ELNS1_3gpuE2ELNS1_3repE0EEENS1_38merge_mergepath_config_static_selectorELNS0_4arch9wavefront6targetE0EEEvSI_
	.p2align	8
	.type	_ZN7rocprim17ROCPRIM_400000_NS6detail17trampoline_kernelINS0_14default_configENS1_38merge_sort_block_merge_config_selectorIiNS0_10empty_typeEEEZZNS1_27merge_sort_block_merge_implIS3_N6thrust23THRUST_200600_302600_NS10device_ptrIiEEPS5_jNS1_19radix_merge_compareILb0ELb0EiNS0_19identity_decomposerEEEEE10hipError_tT0_T1_T2_jT3_P12ihipStream_tbPNSt15iterator_traitsISH_E10value_typeEPNSN_ISI_E10value_typeEPSJ_NS1_7vsmem_tEENKUlT_SH_SI_SJ_E_clIPiSB_SC_SC_EESG_SW_SH_SI_SJ_EUlSW_E0_NS1_11comp_targetILNS1_3genE8ELNS1_11target_archE1030ELNS1_3gpuE2ELNS1_3repE0EEENS1_38merge_mergepath_config_static_selectorELNS0_4arch9wavefront6targetE0EEEvSI_,@function
_ZN7rocprim17ROCPRIM_400000_NS6detail17trampoline_kernelINS0_14default_configENS1_38merge_sort_block_merge_config_selectorIiNS0_10empty_typeEEEZZNS1_27merge_sort_block_merge_implIS3_N6thrust23THRUST_200600_302600_NS10device_ptrIiEEPS5_jNS1_19radix_merge_compareILb0ELb0EiNS0_19identity_decomposerEEEEE10hipError_tT0_T1_T2_jT3_P12ihipStream_tbPNSt15iterator_traitsISH_E10value_typeEPNSN_ISI_E10value_typeEPSJ_NS1_7vsmem_tEENKUlT_SH_SI_SJ_E_clIPiSB_SC_SC_EESG_SW_SH_SI_SJ_EUlSW_E0_NS1_11comp_targetILNS1_3genE8ELNS1_11target_archE1030ELNS1_3gpuE2ELNS1_3repE0EEENS1_38merge_mergepath_config_static_selectorELNS0_4arch9wavefront6targetE0EEEvSI_: ; @_ZN7rocprim17ROCPRIM_400000_NS6detail17trampoline_kernelINS0_14default_configENS1_38merge_sort_block_merge_config_selectorIiNS0_10empty_typeEEEZZNS1_27merge_sort_block_merge_implIS3_N6thrust23THRUST_200600_302600_NS10device_ptrIiEEPS5_jNS1_19radix_merge_compareILb0ELb0EiNS0_19identity_decomposerEEEEE10hipError_tT0_T1_T2_jT3_P12ihipStream_tbPNSt15iterator_traitsISH_E10value_typeEPNSN_ISI_E10value_typeEPSJ_NS1_7vsmem_tEENKUlT_SH_SI_SJ_E_clIPiSB_SC_SC_EESG_SW_SH_SI_SJ_EUlSW_E0_NS1_11comp_targetILNS1_3genE8ELNS1_11target_archE1030ELNS1_3gpuE2ELNS1_3repE0EEENS1_38merge_mergepath_config_static_selectorELNS0_4arch9wavefront6targetE0EEEvSI_
; %bb.0:
	s_clause 0x1
	s_load_dwordx2 s[12:13], s[4:5], 0x40
	s_load_dword s1, s[4:5], 0x30
	s_add_u32 s2, s4, 64
	s_addc_u32 s3, s5, 0
	s_waitcnt lgkmcnt(0)
	s_mul_i32 s0, s13, s8
	s_add_i32 s0, s0, s7
	s_mul_i32 s0, s0, s12
	s_add_i32 s0, s0, s6
	s_cmp_ge_u32 s0, s1
	s_cbranch_scc1 .LBB1127_27
; %bb.1:
	s_clause 0x2
	s_load_dwordx2 s[8:9], s[4:5], 0x28
	s_load_dwordx2 s[10:11], s[4:5], 0x38
	;; [unrolled: 1-line block ×3, first 2 shown]
	s_mov_b32 s1, 0
	v_mov_b32_e32 v4, 0
	s_mov_b32 s21, s1
	v_lshlrev_b32_e32 v5, 2, v0
                                        ; implicit-def: $vgpr6
	global_load_dword v1, v4, s[2:3] offset:14
	s_waitcnt lgkmcnt(0)
	s_lshr_b32 s22, s8, 10
	s_cmp_lg_u32 s0, s22
	s_cselect_b32 s7, -1, 0
	s_lshl_b64 s[14:15], s[0:1], 2
	s_add_u32 s10, s10, s14
	s_addc_u32 s11, s11, s15
	s_load_dwordx2 s[14:15], s[10:11], 0x0
	s_lshr_b32 s10, s9, 9
	s_and_b32 s10, s10, 0x7ffffe
	s_sub_i32 s11, 0, s10
	s_lshl_b32 s10, s0, 10
	s_and_b32 s13, s0, s11
	s_or_b32 s11, s0, s11
	s_lshl_b32 s16, s13, 11
	s_lshl_b32 s13, s13, 10
	s_add_i32 s16, s16, s9
	s_sub_i32 s17, s10, s13
	s_sub_i32 s13, s16, s13
	s_add_i32 s16, s16, s17
	s_min_u32 s17, s8, s13
	s_add_i32 s13, s13, s9
	s_waitcnt lgkmcnt(0)
	s_sub_i32 s9, s16, s14
	s_sub_i32 s16, s16, s15
	s_min_u32 s20, s8, s9
	s_addk_i32 s16, 0x400
	s_cmp_eq_u32 s11, -1
	s_cselect_b32 s9, s13, s16
	s_cselect_b32 s11, s17, s15
	s_mov_b32 s15, s1
	s_min_u32 s1, s9, s8
	s_lshl_b64 s[16:17], s[14:15], 2
	s_sub_i32 s9, s11, s14
	s_sub_i32 s11, s1, s20
	s_add_u32 s15, s18, s16
	s_addc_u32 s16, s19, s17
	s_lshl_b64 s[20:21], s[20:21], 2
	s_add_u32 s13, s18, s20
	s_addc_u32 s14, s19, s21
	s_cmp_lt_u32 s6, s12
	s_cselect_b32 s1, 12, 18
	s_add_u32 s2, s2, s1
	s_addc_u32 s3, s3, 0
	s_cmp_eq_u32 s0, s22
	global_load_ushort v2, v4, s[2:3]
	s_mov_b32 s0, -1
	s_waitcnt vmcnt(1)
	v_lshrrev_b32_e32 v3, 16, v1
	v_and_b32_e32 v1, 0xffff, v1
	v_mul_lo_u32 v1, v1, v3
                                        ; implicit-def: $vgpr3
	s_waitcnt vmcnt(0)
	v_mul_lo_u32 v1, v1, v2
                                        ; implicit-def: $vgpr2
	v_add_nc_u32_e32 v1, v1, v0
	s_cbranch_scc1 .LBB1127_3
; %bb.2:
	v_mov_b32_e32 v2, v4
	v_sub_co_u32 v3, vcc_lo, v0, s9
	v_add_co_u32 v10, s0, s15, v5
	v_lshlrev_b64 v[6:7], 2, v[1:2]
	v_add_co_ci_u32_e64 v11, null, s16, 0, s0
	v_lshlrev_b64 v[8:9], 2, v[3:4]
	v_add_co_u32 v6, s0, s15, v6
	v_add_co_ci_u32_e64 v7, null, s16, v7, s0
	v_sub_co_u32 v3, s0, v1, s9
	v_lshlrev_b64 v[2:3], 2, v[3:4]
	v_add_co_u32 v4, s1, s13, v8
	v_add_co_ci_u32_e64 v8, null, s14, v9, s1
	v_add_co_u32 v9, s1, s13, v2
	v_add_co_ci_u32_e64 v12, null, s14, v3, s1
	v_cndmask_b32_e32 v3, v8, v11, vcc_lo
	v_cndmask_b32_e32 v2, v4, v10, vcc_lo
	v_cndmask_b32_e64 v6, v9, v6, s0
	v_cndmask_b32_e64 v7, v12, v7, s0
	s_add_i32 s0, s11, s9
	global_load_dword v3, v[2:3], off
	global_load_dword v2, v[6:7], off
	v_mov_b32_e32 v6, s0
	s_mov_b32 s0, 0
.LBB1127_3:
	s_load_dwordx2 s[4:5], s[4:5], 0x10
	s_andn2_b32 vcc_lo, exec_lo, s0
	s_cbranch_vccnz .LBB1127_9
; %bb.4:
	s_waitcnt vmcnt(0)
	v_mov_b32_e32 v2, 0
	v_mov_b32_e32 v3, 0
	s_add_i32 s1, s11, s9
	s_mov_b32 s2, exec_lo
	v_cmpx_gt_u32_e64 s1, v0
	s_cbranch_execz .LBB1127_6
; %bb.5:
	v_sub_co_u32 v3, vcc_lo, v0, s9
	v_mov_b32_e32 v4, 0
	v_add_co_u32 v6, s0, s15, v5
	v_add_co_ci_u32_e64 v7, null, s16, 0, s0
	v_lshlrev_b64 v[3:4], 2, v[3:4]
	v_add_co_u32 v3, s0, s13, v3
	v_add_co_ci_u32_e64 v4, null, s14, v4, s0
	v_cndmask_b32_e32 v3, v3, v6, vcc_lo
	v_cndmask_b32_e32 v4, v4, v7, vcc_lo
	global_load_dword v3, v[3:4], off
.LBB1127_6:
	s_or_b32 exec_lo, exec_lo, s2
	s_mov_b32 s2, exec_lo
	v_cmpx_gt_u32_e64 s1, v1
	s_cbranch_execz .LBB1127_8
; %bb.7:
	v_mov_b32_e32 v2, 0
	v_lshlrev_b64 v[6:7], 2, v[1:2]
	v_add_co_u32 v4, vcc_lo, s15, v6
	v_add_co_ci_u32_e64 v6, null, s16, v7, vcc_lo
	v_sub_co_u32 v1, vcc_lo, v1, s9
	v_lshlrev_b64 v[1:2], 2, v[1:2]
	v_add_co_u32 v1, s0, s13, v1
	v_add_co_ci_u32_e64 v2, null, s14, v2, s0
	v_cndmask_b32_e32 v1, v1, v4, vcc_lo
	v_cndmask_b32_e32 v2, v2, v6, vcc_lo
	global_load_dword v2, v[1:2], off
.LBB1127_8:
	s_or_b32 exec_lo, exec_lo, s2
	v_mov_b32_e32 v6, s1
.LBB1127_9:
	v_lshlrev_b32_e32 v1, 1, v0
	s_mov_b32 s0, exec_lo
	s_waitcnt vmcnt(0)
	ds_write2st64_b32 v5, v3, v2 offset1:8
	s_waitcnt lgkmcnt(0)
	s_barrier
	v_min_u32_e32 v7, v6, v1
	buffer_gl0_inv
	v_sub_nc_u32_e64 v4, v7, s11 clamp
	v_min_u32_e32 v8, s9, v7
	v_cmpx_lt_u32_e64 v4, v8
	s_cbranch_execz .LBB1127_13
; %bb.10:
	v_lshlrev_b32_e32 v9, 2, v7
	s_mov_b32 s1, 0
	v_lshl_add_u32 v9, s9, 2, v9
	.p2align	6
.LBB1127_11:                            ; =>This Inner Loop Header: Depth=1
	v_add_nc_u32_e32 v10, v8, v4
	v_lshrrev_b32_e32 v10, 1, v10
	v_not_b32_e32 v11, v10
	v_lshlrev_b32_e32 v12, 2, v10
	v_add_nc_u32_e32 v13, 1, v10
	v_lshl_add_u32 v11, v11, 2, v9
	ds_read_b32 v12, v12
	ds_read_b32 v11, v11
	s_waitcnt lgkmcnt(0)
	v_cmp_gt_i32_e32 vcc_lo, v12, v11
	v_cndmask_b32_e32 v8, v8, v10, vcc_lo
	v_cndmask_b32_e32 v4, v13, v4, vcc_lo
	v_cmp_ge_u32_e32 vcc_lo, v4, v8
	s_or_b32 s1, vcc_lo, s1
	s_andn2_b32 exec_lo, exec_lo, s1
	s_cbranch_execnz .LBB1127_11
; %bb.12:
	s_or_b32 exec_lo, exec_lo, s1
.LBB1127_13:
	s_or_b32 exec_lo, exec_lo, s0
	v_sub_nc_u32_e32 v7, v7, v4
	v_cmp_ge_u32_e32 vcc_lo, s9, v4
	v_add_nc_u32_e32 v7, s9, v7
	v_cmp_le_u32_e64 s0, v7, v6
	s_or_b32 s0, vcc_lo, s0
	s_and_saveexec_b32 s3, s0
	s_cbranch_execz .LBB1127_19
; %bb.14:
	v_cmp_gt_u32_e32 vcc_lo, s9, v4
                                        ; implicit-def: $vgpr2
	s_and_saveexec_b32 s0, vcc_lo
; %bb.15:
	v_lshlrev_b32_e32 v2, 2, v4
	ds_read_b32 v2, v2
; %bb.16:
	s_or_b32 exec_lo, exec_lo, s0
	v_cmp_ge_u32_e64 s0, v7, v6
	s_mov_b32 s2, exec_lo
                                        ; implicit-def: $vgpr3
	v_cmpx_lt_u32_e64 v7, v6
; %bb.17:
	v_lshlrev_b32_e32 v3, 2, v7
	ds_read_b32 v3, v3
; %bb.18:
	s_or_b32 exec_lo, exec_lo, s2
	s_waitcnt lgkmcnt(0)
	v_cmp_le_i32_e64 s1, v2, v3
	s_and_b32 s1, vcc_lo, s1
	s_or_b32 vcc_lo, s0, s1
	v_cndmask_b32_e32 v8, v7, v4, vcc_lo
	v_cndmask_b32_e64 v9, v6, s9, vcc_lo
	v_add_nc_u32_e32 v8, 1, v8
	v_add_nc_u32_e32 v9, -1, v9
	v_cndmask_b32_e32 v4, v4, v8, vcc_lo
	v_min_u32_e32 v9, v8, v9
	v_cndmask_b32_e32 v7, v8, v7, vcc_lo
	v_cmp_gt_u32_e64 s0, s9, v4
	v_lshlrev_b32_e32 v9, 2, v9
	v_cmp_ge_u32_e64 s2, v7, v6
	ds_read_b32 v9, v9
	s_waitcnt lgkmcnt(0)
	v_cndmask_b32_e32 v10, v9, v3, vcc_lo
	v_cndmask_b32_e32 v9, v2, v9, vcc_lo
	v_cndmask_b32_e32 v3, v3, v2, vcc_lo
	v_cmp_le_i32_e64 s1, v9, v10
	s_and_b32 s0, s0, s1
	s_or_b32 vcc_lo, s2, s0
	v_cndmask_b32_e32 v2, v10, v9, vcc_lo
.LBB1127_19:
	s_or_b32 exec_lo, exec_lo, s3
	v_lshrrev_b32_e32 v6, 2, v0
	v_or_b32_e32 v4, 0x200, v0
	v_lshrrev_b32_e32 v7, 3, v0
	s_mov_b32 s11, 0
	v_and_b32_e32 v6, 0x7c, v6
	v_lshrrev_b32_e32 v8, 3, v4
	s_lshl_b64 s[0:1], s[10:11], 2
	s_barrier
	s_add_u32 s0, s4, s0
	v_lshl_add_u32 v1, v1, 2, v6
	v_and_b32_e32 v6, 60, v7
	v_and_b32_e32 v7, 0x7c, v8
	buffer_gl0_inv
	s_barrier
	buffer_gl0_inv
	s_addc_u32 s1, s5, s1
	ds_write2_b32 v1, v3, v2 offset1:1
	v_add_co_u32 v1, s0, s0, v5
	v_add_nc_u32_e32 v6, v6, v5
	v_add_nc_u32_e32 v7, v7, v5
	v_add_co_ci_u32_e64 v2, null, s1, 0, s0
	s_and_b32 vcc_lo, exec_lo, s7
	s_waitcnt lgkmcnt(0)
	s_cbranch_vccz .LBB1127_21
; %bb.20:
	s_barrier
	buffer_gl0_inv
	ds_read_b32 v5, v6
	ds_read_b32 v3, v7 offset:2048
	s_mov_b32 s11, -1
	s_waitcnt lgkmcnt(1)
	global_store_dword v[1:2], v5, off
	s_cbranch_execz .LBB1127_22
	s_branch .LBB1127_25
.LBB1127_21:
                                        ; implicit-def: $vgpr3
.LBB1127_22:
	s_barrier
	s_waitcnt lgkmcnt(0)
	s_waitcnt_vscnt null, 0x0
	buffer_gl0_inv
	ds_read_b32 v3, v7 offset:2048
	s_sub_i32 s0, s8, s10
	s_mov_b32 s1, exec_lo
	v_cmpx_gt_u32_e64 s0, v0
	s_cbranch_execz .LBB1127_24
; %bb.23:
	ds_read_b32 v0, v6
	s_waitcnt lgkmcnt(0)
	global_store_dword v[1:2], v0, off
.LBB1127_24:
	s_or_b32 exec_lo, exec_lo, s1
	v_cmp_gt_u32_e64 s11, s0, v4
.LBB1127_25:
	s_and_saveexec_b32 s0, s11
	s_cbranch_execz .LBB1127_27
; %bb.26:
	v_add_co_u32 v0, vcc_lo, 0x800, v1
	v_add_co_ci_u32_e64 v1, null, 0, v2, vcc_lo
	s_waitcnt lgkmcnt(0)
	global_store_dword v[0:1], v3, off
.LBB1127_27:
	s_endpgm
	.section	.rodata,"a",@progbits
	.p2align	6, 0x0
	.amdhsa_kernel _ZN7rocprim17ROCPRIM_400000_NS6detail17trampoline_kernelINS0_14default_configENS1_38merge_sort_block_merge_config_selectorIiNS0_10empty_typeEEEZZNS1_27merge_sort_block_merge_implIS3_N6thrust23THRUST_200600_302600_NS10device_ptrIiEEPS5_jNS1_19radix_merge_compareILb0ELb0EiNS0_19identity_decomposerEEEEE10hipError_tT0_T1_T2_jT3_P12ihipStream_tbPNSt15iterator_traitsISH_E10value_typeEPNSN_ISI_E10value_typeEPSJ_NS1_7vsmem_tEENKUlT_SH_SI_SJ_E_clIPiSB_SC_SC_EESG_SW_SH_SI_SJ_EUlSW_E0_NS1_11comp_targetILNS1_3genE8ELNS1_11target_archE1030ELNS1_3gpuE2ELNS1_3repE0EEENS1_38merge_mergepath_config_static_selectorELNS0_4arch9wavefront6targetE0EEEvSI_
		.amdhsa_group_segment_fixed_size 4224
		.amdhsa_private_segment_fixed_size 0
		.amdhsa_kernarg_size 320
		.amdhsa_user_sgpr_count 6
		.amdhsa_user_sgpr_private_segment_buffer 1
		.amdhsa_user_sgpr_dispatch_ptr 0
		.amdhsa_user_sgpr_queue_ptr 0
		.amdhsa_user_sgpr_kernarg_segment_ptr 1
		.amdhsa_user_sgpr_dispatch_id 0
		.amdhsa_user_sgpr_flat_scratch_init 0
		.amdhsa_user_sgpr_private_segment_size 0
		.amdhsa_wavefront_size32 1
		.amdhsa_uses_dynamic_stack 0
		.amdhsa_system_sgpr_private_segment_wavefront_offset 0
		.amdhsa_system_sgpr_workgroup_id_x 1
		.amdhsa_system_sgpr_workgroup_id_y 1
		.amdhsa_system_sgpr_workgroup_id_z 1
		.amdhsa_system_sgpr_workgroup_info 0
		.amdhsa_system_vgpr_workitem_id 0
		.amdhsa_next_free_vgpr 14
		.amdhsa_next_free_sgpr 23
		.amdhsa_reserve_vcc 1
		.amdhsa_reserve_flat_scratch 0
		.amdhsa_float_round_mode_32 0
		.amdhsa_float_round_mode_16_64 0
		.amdhsa_float_denorm_mode_32 3
		.amdhsa_float_denorm_mode_16_64 3
		.amdhsa_dx10_clamp 1
		.amdhsa_ieee_mode 1
		.amdhsa_fp16_overflow 0
		.amdhsa_workgroup_processor_mode 1
		.amdhsa_memory_ordered 1
		.amdhsa_forward_progress 1
		.amdhsa_shared_vgpr_count 0
		.amdhsa_exception_fp_ieee_invalid_op 0
		.amdhsa_exception_fp_denorm_src 0
		.amdhsa_exception_fp_ieee_div_zero 0
		.amdhsa_exception_fp_ieee_overflow 0
		.amdhsa_exception_fp_ieee_underflow 0
		.amdhsa_exception_fp_ieee_inexact 0
		.amdhsa_exception_int_div_zero 0
	.end_amdhsa_kernel
	.section	.text._ZN7rocprim17ROCPRIM_400000_NS6detail17trampoline_kernelINS0_14default_configENS1_38merge_sort_block_merge_config_selectorIiNS0_10empty_typeEEEZZNS1_27merge_sort_block_merge_implIS3_N6thrust23THRUST_200600_302600_NS10device_ptrIiEEPS5_jNS1_19radix_merge_compareILb0ELb0EiNS0_19identity_decomposerEEEEE10hipError_tT0_T1_T2_jT3_P12ihipStream_tbPNSt15iterator_traitsISH_E10value_typeEPNSN_ISI_E10value_typeEPSJ_NS1_7vsmem_tEENKUlT_SH_SI_SJ_E_clIPiSB_SC_SC_EESG_SW_SH_SI_SJ_EUlSW_E0_NS1_11comp_targetILNS1_3genE8ELNS1_11target_archE1030ELNS1_3gpuE2ELNS1_3repE0EEENS1_38merge_mergepath_config_static_selectorELNS0_4arch9wavefront6targetE0EEEvSI_,"axG",@progbits,_ZN7rocprim17ROCPRIM_400000_NS6detail17trampoline_kernelINS0_14default_configENS1_38merge_sort_block_merge_config_selectorIiNS0_10empty_typeEEEZZNS1_27merge_sort_block_merge_implIS3_N6thrust23THRUST_200600_302600_NS10device_ptrIiEEPS5_jNS1_19radix_merge_compareILb0ELb0EiNS0_19identity_decomposerEEEEE10hipError_tT0_T1_T2_jT3_P12ihipStream_tbPNSt15iterator_traitsISH_E10value_typeEPNSN_ISI_E10value_typeEPSJ_NS1_7vsmem_tEENKUlT_SH_SI_SJ_E_clIPiSB_SC_SC_EESG_SW_SH_SI_SJ_EUlSW_E0_NS1_11comp_targetILNS1_3genE8ELNS1_11target_archE1030ELNS1_3gpuE2ELNS1_3repE0EEENS1_38merge_mergepath_config_static_selectorELNS0_4arch9wavefront6targetE0EEEvSI_,comdat
.Lfunc_end1127:
	.size	_ZN7rocprim17ROCPRIM_400000_NS6detail17trampoline_kernelINS0_14default_configENS1_38merge_sort_block_merge_config_selectorIiNS0_10empty_typeEEEZZNS1_27merge_sort_block_merge_implIS3_N6thrust23THRUST_200600_302600_NS10device_ptrIiEEPS5_jNS1_19radix_merge_compareILb0ELb0EiNS0_19identity_decomposerEEEEE10hipError_tT0_T1_T2_jT3_P12ihipStream_tbPNSt15iterator_traitsISH_E10value_typeEPNSN_ISI_E10value_typeEPSJ_NS1_7vsmem_tEENKUlT_SH_SI_SJ_E_clIPiSB_SC_SC_EESG_SW_SH_SI_SJ_EUlSW_E0_NS1_11comp_targetILNS1_3genE8ELNS1_11target_archE1030ELNS1_3gpuE2ELNS1_3repE0EEENS1_38merge_mergepath_config_static_selectorELNS0_4arch9wavefront6targetE0EEEvSI_, .Lfunc_end1127-_ZN7rocprim17ROCPRIM_400000_NS6detail17trampoline_kernelINS0_14default_configENS1_38merge_sort_block_merge_config_selectorIiNS0_10empty_typeEEEZZNS1_27merge_sort_block_merge_implIS3_N6thrust23THRUST_200600_302600_NS10device_ptrIiEEPS5_jNS1_19radix_merge_compareILb0ELb0EiNS0_19identity_decomposerEEEEE10hipError_tT0_T1_T2_jT3_P12ihipStream_tbPNSt15iterator_traitsISH_E10value_typeEPNSN_ISI_E10value_typeEPSJ_NS1_7vsmem_tEENKUlT_SH_SI_SJ_E_clIPiSB_SC_SC_EESG_SW_SH_SI_SJ_EUlSW_E0_NS1_11comp_targetILNS1_3genE8ELNS1_11target_archE1030ELNS1_3gpuE2ELNS1_3repE0EEENS1_38merge_mergepath_config_static_selectorELNS0_4arch9wavefront6targetE0EEEvSI_
                                        ; -- End function
	.set _ZN7rocprim17ROCPRIM_400000_NS6detail17trampoline_kernelINS0_14default_configENS1_38merge_sort_block_merge_config_selectorIiNS0_10empty_typeEEEZZNS1_27merge_sort_block_merge_implIS3_N6thrust23THRUST_200600_302600_NS10device_ptrIiEEPS5_jNS1_19radix_merge_compareILb0ELb0EiNS0_19identity_decomposerEEEEE10hipError_tT0_T1_T2_jT3_P12ihipStream_tbPNSt15iterator_traitsISH_E10value_typeEPNSN_ISI_E10value_typeEPSJ_NS1_7vsmem_tEENKUlT_SH_SI_SJ_E_clIPiSB_SC_SC_EESG_SW_SH_SI_SJ_EUlSW_E0_NS1_11comp_targetILNS1_3genE8ELNS1_11target_archE1030ELNS1_3gpuE2ELNS1_3repE0EEENS1_38merge_mergepath_config_static_selectorELNS0_4arch9wavefront6targetE0EEEvSI_.num_vgpr, 14
	.set _ZN7rocprim17ROCPRIM_400000_NS6detail17trampoline_kernelINS0_14default_configENS1_38merge_sort_block_merge_config_selectorIiNS0_10empty_typeEEEZZNS1_27merge_sort_block_merge_implIS3_N6thrust23THRUST_200600_302600_NS10device_ptrIiEEPS5_jNS1_19radix_merge_compareILb0ELb0EiNS0_19identity_decomposerEEEEE10hipError_tT0_T1_T2_jT3_P12ihipStream_tbPNSt15iterator_traitsISH_E10value_typeEPNSN_ISI_E10value_typeEPSJ_NS1_7vsmem_tEENKUlT_SH_SI_SJ_E_clIPiSB_SC_SC_EESG_SW_SH_SI_SJ_EUlSW_E0_NS1_11comp_targetILNS1_3genE8ELNS1_11target_archE1030ELNS1_3gpuE2ELNS1_3repE0EEENS1_38merge_mergepath_config_static_selectorELNS0_4arch9wavefront6targetE0EEEvSI_.num_agpr, 0
	.set _ZN7rocprim17ROCPRIM_400000_NS6detail17trampoline_kernelINS0_14default_configENS1_38merge_sort_block_merge_config_selectorIiNS0_10empty_typeEEEZZNS1_27merge_sort_block_merge_implIS3_N6thrust23THRUST_200600_302600_NS10device_ptrIiEEPS5_jNS1_19radix_merge_compareILb0ELb0EiNS0_19identity_decomposerEEEEE10hipError_tT0_T1_T2_jT3_P12ihipStream_tbPNSt15iterator_traitsISH_E10value_typeEPNSN_ISI_E10value_typeEPSJ_NS1_7vsmem_tEENKUlT_SH_SI_SJ_E_clIPiSB_SC_SC_EESG_SW_SH_SI_SJ_EUlSW_E0_NS1_11comp_targetILNS1_3genE8ELNS1_11target_archE1030ELNS1_3gpuE2ELNS1_3repE0EEENS1_38merge_mergepath_config_static_selectorELNS0_4arch9wavefront6targetE0EEEvSI_.numbered_sgpr, 23
	.set _ZN7rocprim17ROCPRIM_400000_NS6detail17trampoline_kernelINS0_14default_configENS1_38merge_sort_block_merge_config_selectorIiNS0_10empty_typeEEEZZNS1_27merge_sort_block_merge_implIS3_N6thrust23THRUST_200600_302600_NS10device_ptrIiEEPS5_jNS1_19radix_merge_compareILb0ELb0EiNS0_19identity_decomposerEEEEE10hipError_tT0_T1_T2_jT3_P12ihipStream_tbPNSt15iterator_traitsISH_E10value_typeEPNSN_ISI_E10value_typeEPSJ_NS1_7vsmem_tEENKUlT_SH_SI_SJ_E_clIPiSB_SC_SC_EESG_SW_SH_SI_SJ_EUlSW_E0_NS1_11comp_targetILNS1_3genE8ELNS1_11target_archE1030ELNS1_3gpuE2ELNS1_3repE0EEENS1_38merge_mergepath_config_static_selectorELNS0_4arch9wavefront6targetE0EEEvSI_.num_named_barrier, 0
	.set _ZN7rocprim17ROCPRIM_400000_NS6detail17trampoline_kernelINS0_14default_configENS1_38merge_sort_block_merge_config_selectorIiNS0_10empty_typeEEEZZNS1_27merge_sort_block_merge_implIS3_N6thrust23THRUST_200600_302600_NS10device_ptrIiEEPS5_jNS1_19radix_merge_compareILb0ELb0EiNS0_19identity_decomposerEEEEE10hipError_tT0_T1_T2_jT3_P12ihipStream_tbPNSt15iterator_traitsISH_E10value_typeEPNSN_ISI_E10value_typeEPSJ_NS1_7vsmem_tEENKUlT_SH_SI_SJ_E_clIPiSB_SC_SC_EESG_SW_SH_SI_SJ_EUlSW_E0_NS1_11comp_targetILNS1_3genE8ELNS1_11target_archE1030ELNS1_3gpuE2ELNS1_3repE0EEENS1_38merge_mergepath_config_static_selectorELNS0_4arch9wavefront6targetE0EEEvSI_.private_seg_size, 0
	.set _ZN7rocprim17ROCPRIM_400000_NS6detail17trampoline_kernelINS0_14default_configENS1_38merge_sort_block_merge_config_selectorIiNS0_10empty_typeEEEZZNS1_27merge_sort_block_merge_implIS3_N6thrust23THRUST_200600_302600_NS10device_ptrIiEEPS5_jNS1_19radix_merge_compareILb0ELb0EiNS0_19identity_decomposerEEEEE10hipError_tT0_T1_T2_jT3_P12ihipStream_tbPNSt15iterator_traitsISH_E10value_typeEPNSN_ISI_E10value_typeEPSJ_NS1_7vsmem_tEENKUlT_SH_SI_SJ_E_clIPiSB_SC_SC_EESG_SW_SH_SI_SJ_EUlSW_E0_NS1_11comp_targetILNS1_3genE8ELNS1_11target_archE1030ELNS1_3gpuE2ELNS1_3repE0EEENS1_38merge_mergepath_config_static_selectorELNS0_4arch9wavefront6targetE0EEEvSI_.uses_vcc, 1
	.set _ZN7rocprim17ROCPRIM_400000_NS6detail17trampoline_kernelINS0_14default_configENS1_38merge_sort_block_merge_config_selectorIiNS0_10empty_typeEEEZZNS1_27merge_sort_block_merge_implIS3_N6thrust23THRUST_200600_302600_NS10device_ptrIiEEPS5_jNS1_19radix_merge_compareILb0ELb0EiNS0_19identity_decomposerEEEEE10hipError_tT0_T1_T2_jT3_P12ihipStream_tbPNSt15iterator_traitsISH_E10value_typeEPNSN_ISI_E10value_typeEPSJ_NS1_7vsmem_tEENKUlT_SH_SI_SJ_E_clIPiSB_SC_SC_EESG_SW_SH_SI_SJ_EUlSW_E0_NS1_11comp_targetILNS1_3genE8ELNS1_11target_archE1030ELNS1_3gpuE2ELNS1_3repE0EEENS1_38merge_mergepath_config_static_selectorELNS0_4arch9wavefront6targetE0EEEvSI_.uses_flat_scratch, 0
	.set _ZN7rocprim17ROCPRIM_400000_NS6detail17trampoline_kernelINS0_14default_configENS1_38merge_sort_block_merge_config_selectorIiNS0_10empty_typeEEEZZNS1_27merge_sort_block_merge_implIS3_N6thrust23THRUST_200600_302600_NS10device_ptrIiEEPS5_jNS1_19radix_merge_compareILb0ELb0EiNS0_19identity_decomposerEEEEE10hipError_tT0_T1_T2_jT3_P12ihipStream_tbPNSt15iterator_traitsISH_E10value_typeEPNSN_ISI_E10value_typeEPSJ_NS1_7vsmem_tEENKUlT_SH_SI_SJ_E_clIPiSB_SC_SC_EESG_SW_SH_SI_SJ_EUlSW_E0_NS1_11comp_targetILNS1_3genE8ELNS1_11target_archE1030ELNS1_3gpuE2ELNS1_3repE0EEENS1_38merge_mergepath_config_static_selectorELNS0_4arch9wavefront6targetE0EEEvSI_.has_dyn_sized_stack, 0
	.set _ZN7rocprim17ROCPRIM_400000_NS6detail17trampoline_kernelINS0_14default_configENS1_38merge_sort_block_merge_config_selectorIiNS0_10empty_typeEEEZZNS1_27merge_sort_block_merge_implIS3_N6thrust23THRUST_200600_302600_NS10device_ptrIiEEPS5_jNS1_19radix_merge_compareILb0ELb0EiNS0_19identity_decomposerEEEEE10hipError_tT0_T1_T2_jT3_P12ihipStream_tbPNSt15iterator_traitsISH_E10value_typeEPNSN_ISI_E10value_typeEPSJ_NS1_7vsmem_tEENKUlT_SH_SI_SJ_E_clIPiSB_SC_SC_EESG_SW_SH_SI_SJ_EUlSW_E0_NS1_11comp_targetILNS1_3genE8ELNS1_11target_archE1030ELNS1_3gpuE2ELNS1_3repE0EEENS1_38merge_mergepath_config_static_selectorELNS0_4arch9wavefront6targetE0EEEvSI_.has_recursion, 0
	.set _ZN7rocprim17ROCPRIM_400000_NS6detail17trampoline_kernelINS0_14default_configENS1_38merge_sort_block_merge_config_selectorIiNS0_10empty_typeEEEZZNS1_27merge_sort_block_merge_implIS3_N6thrust23THRUST_200600_302600_NS10device_ptrIiEEPS5_jNS1_19radix_merge_compareILb0ELb0EiNS0_19identity_decomposerEEEEE10hipError_tT0_T1_T2_jT3_P12ihipStream_tbPNSt15iterator_traitsISH_E10value_typeEPNSN_ISI_E10value_typeEPSJ_NS1_7vsmem_tEENKUlT_SH_SI_SJ_E_clIPiSB_SC_SC_EESG_SW_SH_SI_SJ_EUlSW_E0_NS1_11comp_targetILNS1_3genE8ELNS1_11target_archE1030ELNS1_3gpuE2ELNS1_3repE0EEENS1_38merge_mergepath_config_static_selectorELNS0_4arch9wavefront6targetE0EEEvSI_.has_indirect_call, 0
	.section	.AMDGPU.csdata,"",@progbits
; Kernel info:
; codeLenInByte = 1436
; TotalNumSgprs: 25
; NumVgprs: 14
; ScratchSize: 0
; MemoryBound: 0
; FloatMode: 240
; IeeeMode: 1
; LDSByteSize: 4224 bytes/workgroup (compile time only)
; SGPRBlocks: 0
; VGPRBlocks: 1
; NumSGPRsForWavesPerEU: 25
; NumVGPRsForWavesPerEU: 14
; Occupancy: 16
; WaveLimiterHint : 1
; COMPUTE_PGM_RSRC2:SCRATCH_EN: 0
; COMPUTE_PGM_RSRC2:USER_SGPR: 6
; COMPUTE_PGM_RSRC2:TRAP_HANDLER: 0
; COMPUTE_PGM_RSRC2:TGID_X_EN: 1
; COMPUTE_PGM_RSRC2:TGID_Y_EN: 1
; COMPUTE_PGM_RSRC2:TGID_Z_EN: 1
; COMPUTE_PGM_RSRC2:TIDIG_COMP_CNT: 0
	.section	.text._ZN7rocprim17ROCPRIM_400000_NS6detail17trampoline_kernelINS0_14default_configENS1_38merge_sort_block_merge_config_selectorIiNS0_10empty_typeEEEZZNS1_27merge_sort_block_merge_implIS3_N6thrust23THRUST_200600_302600_NS10device_ptrIiEEPS5_jNS1_19radix_merge_compareILb0ELb0EiNS0_19identity_decomposerEEEEE10hipError_tT0_T1_T2_jT3_P12ihipStream_tbPNSt15iterator_traitsISH_E10value_typeEPNSN_ISI_E10value_typeEPSJ_NS1_7vsmem_tEENKUlT_SH_SI_SJ_E_clIPiSB_SC_SC_EESG_SW_SH_SI_SJ_EUlSW_E1_NS1_11comp_targetILNS1_3genE0ELNS1_11target_archE4294967295ELNS1_3gpuE0ELNS1_3repE0EEENS1_36merge_oddeven_config_static_selectorELNS0_4arch9wavefront6targetE0EEEvSI_,"axG",@progbits,_ZN7rocprim17ROCPRIM_400000_NS6detail17trampoline_kernelINS0_14default_configENS1_38merge_sort_block_merge_config_selectorIiNS0_10empty_typeEEEZZNS1_27merge_sort_block_merge_implIS3_N6thrust23THRUST_200600_302600_NS10device_ptrIiEEPS5_jNS1_19radix_merge_compareILb0ELb0EiNS0_19identity_decomposerEEEEE10hipError_tT0_T1_T2_jT3_P12ihipStream_tbPNSt15iterator_traitsISH_E10value_typeEPNSN_ISI_E10value_typeEPSJ_NS1_7vsmem_tEENKUlT_SH_SI_SJ_E_clIPiSB_SC_SC_EESG_SW_SH_SI_SJ_EUlSW_E1_NS1_11comp_targetILNS1_3genE0ELNS1_11target_archE4294967295ELNS1_3gpuE0ELNS1_3repE0EEENS1_36merge_oddeven_config_static_selectorELNS0_4arch9wavefront6targetE0EEEvSI_,comdat
	.protected	_ZN7rocprim17ROCPRIM_400000_NS6detail17trampoline_kernelINS0_14default_configENS1_38merge_sort_block_merge_config_selectorIiNS0_10empty_typeEEEZZNS1_27merge_sort_block_merge_implIS3_N6thrust23THRUST_200600_302600_NS10device_ptrIiEEPS5_jNS1_19radix_merge_compareILb0ELb0EiNS0_19identity_decomposerEEEEE10hipError_tT0_T1_T2_jT3_P12ihipStream_tbPNSt15iterator_traitsISH_E10value_typeEPNSN_ISI_E10value_typeEPSJ_NS1_7vsmem_tEENKUlT_SH_SI_SJ_E_clIPiSB_SC_SC_EESG_SW_SH_SI_SJ_EUlSW_E1_NS1_11comp_targetILNS1_3genE0ELNS1_11target_archE4294967295ELNS1_3gpuE0ELNS1_3repE0EEENS1_36merge_oddeven_config_static_selectorELNS0_4arch9wavefront6targetE0EEEvSI_ ; -- Begin function _ZN7rocprim17ROCPRIM_400000_NS6detail17trampoline_kernelINS0_14default_configENS1_38merge_sort_block_merge_config_selectorIiNS0_10empty_typeEEEZZNS1_27merge_sort_block_merge_implIS3_N6thrust23THRUST_200600_302600_NS10device_ptrIiEEPS5_jNS1_19radix_merge_compareILb0ELb0EiNS0_19identity_decomposerEEEEE10hipError_tT0_T1_T2_jT3_P12ihipStream_tbPNSt15iterator_traitsISH_E10value_typeEPNSN_ISI_E10value_typeEPSJ_NS1_7vsmem_tEENKUlT_SH_SI_SJ_E_clIPiSB_SC_SC_EESG_SW_SH_SI_SJ_EUlSW_E1_NS1_11comp_targetILNS1_3genE0ELNS1_11target_archE4294967295ELNS1_3gpuE0ELNS1_3repE0EEENS1_36merge_oddeven_config_static_selectorELNS0_4arch9wavefront6targetE0EEEvSI_
	.globl	_ZN7rocprim17ROCPRIM_400000_NS6detail17trampoline_kernelINS0_14default_configENS1_38merge_sort_block_merge_config_selectorIiNS0_10empty_typeEEEZZNS1_27merge_sort_block_merge_implIS3_N6thrust23THRUST_200600_302600_NS10device_ptrIiEEPS5_jNS1_19radix_merge_compareILb0ELb0EiNS0_19identity_decomposerEEEEE10hipError_tT0_T1_T2_jT3_P12ihipStream_tbPNSt15iterator_traitsISH_E10value_typeEPNSN_ISI_E10value_typeEPSJ_NS1_7vsmem_tEENKUlT_SH_SI_SJ_E_clIPiSB_SC_SC_EESG_SW_SH_SI_SJ_EUlSW_E1_NS1_11comp_targetILNS1_3genE0ELNS1_11target_archE4294967295ELNS1_3gpuE0ELNS1_3repE0EEENS1_36merge_oddeven_config_static_selectorELNS0_4arch9wavefront6targetE0EEEvSI_
	.p2align	8
	.type	_ZN7rocprim17ROCPRIM_400000_NS6detail17trampoline_kernelINS0_14default_configENS1_38merge_sort_block_merge_config_selectorIiNS0_10empty_typeEEEZZNS1_27merge_sort_block_merge_implIS3_N6thrust23THRUST_200600_302600_NS10device_ptrIiEEPS5_jNS1_19radix_merge_compareILb0ELb0EiNS0_19identity_decomposerEEEEE10hipError_tT0_T1_T2_jT3_P12ihipStream_tbPNSt15iterator_traitsISH_E10value_typeEPNSN_ISI_E10value_typeEPSJ_NS1_7vsmem_tEENKUlT_SH_SI_SJ_E_clIPiSB_SC_SC_EESG_SW_SH_SI_SJ_EUlSW_E1_NS1_11comp_targetILNS1_3genE0ELNS1_11target_archE4294967295ELNS1_3gpuE0ELNS1_3repE0EEENS1_36merge_oddeven_config_static_selectorELNS0_4arch9wavefront6targetE0EEEvSI_,@function
_ZN7rocprim17ROCPRIM_400000_NS6detail17trampoline_kernelINS0_14default_configENS1_38merge_sort_block_merge_config_selectorIiNS0_10empty_typeEEEZZNS1_27merge_sort_block_merge_implIS3_N6thrust23THRUST_200600_302600_NS10device_ptrIiEEPS5_jNS1_19radix_merge_compareILb0ELb0EiNS0_19identity_decomposerEEEEE10hipError_tT0_T1_T2_jT3_P12ihipStream_tbPNSt15iterator_traitsISH_E10value_typeEPNSN_ISI_E10value_typeEPSJ_NS1_7vsmem_tEENKUlT_SH_SI_SJ_E_clIPiSB_SC_SC_EESG_SW_SH_SI_SJ_EUlSW_E1_NS1_11comp_targetILNS1_3genE0ELNS1_11target_archE4294967295ELNS1_3gpuE0ELNS1_3repE0EEENS1_36merge_oddeven_config_static_selectorELNS0_4arch9wavefront6targetE0EEEvSI_: ; @_ZN7rocprim17ROCPRIM_400000_NS6detail17trampoline_kernelINS0_14default_configENS1_38merge_sort_block_merge_config_selectorIiNS0_10empty_typeEEEZZNS1_27merge_sort_block_merge_implIS3_N6thrust23THRUST_200600_302600_NS10device_ptrIiEEPS5_jNS1_19radix_merge_compareILb0ELb0EiNS0_19identity_decomposerEEEEE10hipError_tT0_T1_T2_jT3_P12ihipStream_tbPNSt15iterator_traitsISH_E10value_typeEPNSN_ISI_E10value_typeEPSJ_NS1_7vsmem_tEENKUlT_SH_SI_SJ_E_clIPiSB_SC_SC_EESG_SW_SH_SI_SJ_EUlSW_E1_NS1_11comp_targetILNS1_3genE0ELNS1_11target_archE4294967295ELNS1_3gpuE0ELNS1_3repE0EEENS1_36merge_oddeven_config_static_selectorELNS0_4arch9wavefront6targetE0EEEvSI_
; %bb.0:
	.section	.rodata,"a",@progbits
	.p2align	6, 0x0
	.amdhsa_kernel _ZN7rocprim17ROCPRIM_400000_NS6detail17trampoline_kernelINS0_14default_configENS1_38merge_sort_block_merge_config_selectorIiNS0_10empty_typeEEEZZNS1_27merge_sort_block_merge_implIS3_N6thrust23THRUST_200600_302600_NS10device_ptrIiEEPS5_jNS1_19radix_merge_compareILb0ELb0EiNS0_19identity_decomposerEEEEE10hipError_tT0_T1_T2_jT3_P12ihipStream_tbPNSt15iterator_traitsISH_E10value_typeEPNSN_ISI_E10value_typeEPSJ_NS1_7vsmem_tEENKUlT_SH_SI_SJ_E_clIPiSB_SC_SC_EESG_SW_SH_SI_SJ_EUlSW_E1_NS1_11comp_targetILNS1_3genE0ELNS1_11target_archE4294967295ELNS1_3gpuE0ELNS1_3repE0EEENS1_36merge_oddeven_config_static_selectorELNS0_4arch9wavefront6targetE0EEEvSI_
		.amdhsa_group_segment_fixed_size 0
		.amdhsa_private_segment_fixed_size 0
		.amdhsa_kernarg_size 48
		.amdhsa_user_sgpr_count 6
		.amdhsa_user_sgpr_private_segment_buffer 1
		.amdhsa_user_sgpr_dispatch_ptr 0
		.amdhsa_user_sgpr_queue_ptr 0
		.amdhsa_user_sgpr_kernarg_segment_ptr 1
		.amdhsa_user_sgpr_dispatch_id 0
		.amdhsa_user_sgpr_flat_scratch_init 0
		.amdhsa_user_sgpr_private_segment_size 0
		.amdhsa_wavefront_size32 1
		.amdhsa_uses_dynamic_stack 0
		.amdhsa_system_sgpr_private_segment_wavefront_offset 0
		.amdhsa_system_sgpr_workgroup_id_x 1
		.amdhsa_system_sgpr_workgroup_id_y 0
		.amdhsa_system_sgpr_workgroup_id_z 0
		.amdhsa_system_sgpr_workgroup_info 0
		.amdhsa_system_vgpr_workitem_id 0
		.amdhsa_next_free_vgpr 1
		.amdhsa_next_free_sgpr 1
		.amdhsa_reserve_vcc 0
		.amdhsa_reserve_flat_scratch 0
		.amdhsa_float_round_mode_32 0
		.amdhsa_float_round_mode_16_64 0
		.amdhsa_float_denorm_mode_32 3
		.amdhsa_float_denorm_mode_16_64 3
		.amdhsa_dx10_clamp 1
		.amdhsa_ieee_mode 1
		.amdhsa_fp16_overflow 0
		.amdhsa_workgroup_processor_mode 1
		.amdhsa_memory_ordered 1
		.amdhsa_forward_progress 1
		.amdhsa_shared_vgpr_count 0
		.amdhsa_exception_fp_ieee_invalid_op 0
		.amdhsa_exception_fp_denorm_src 0
		.amdhsa_exception_fp_ieee_div_zero 0
		.amdhsa_exception_fp_ieee_overflow 0
		.amdhsa_exception_fp_ieee_underflow 0
		.amdhsa_exception_fp_ieee_inexact 0
		.amdhsa_exception_int_div_zero 0
	.end_amdhsa_kernel
	.section	.text._ZN7rocprim17ROCPRIM_400000_NS6detail17trampoline_kernelINS0_14default_configENS1_38merge_sort_block_merge_config_selectorIiNS0_10empty_typeEEEZZNS1_27merge_sort_block_merge_implIS3_N6thrust23THRUST_200600_302600_NS10device_ptrIiEEPS5_jNS1_19radix_merge_compareILb0ELb0EiNS0_19identity_decomposerEEEEE10hipError_tT0_T1_T2_jT3_P12ihipStream_tbPNSt15iterator_traitsISH_E10value_typeEPNSN_ISI_E10value_typeEPSJ_NS1_7vsmem_tEENKUlT_SH_SI_SJ_E_clIPiSB_SC_SC_EESG_SW_SH_SI_SJ_EUlSW_E1_NS1_11comp_targetILNS1_3genE0ELNS1_11target_archE4294967295ELNS1_3gpuE0ELNS1_3repE0EEENS1_36merge_oddeven_config_static_selectorELNS0_4arch9wavefront6targetE0EEEvSI_,"axG",@progbits,_ZN7rocprim17ROCPRIM_400000_NS6detail17trampoline_kernelINS0_14default_configENS1_38merge_sort_block_merge_config_selectorIiNS0_10empty_typeEEEZZNS1_27merge_sort_block_merge_implIS3_N6thrust23THRUST_200600_302600_NS10device_ptrIiEEPS5_jNS1_19radix_merge_compareILb0ELb0EiNS0_19identity_decomposerEEEEE10hipError_tT0_T1_T2_jT3_P12ihipStream_tbPNSt15iterator_traitsISH_E10value_typeEPNSN_ISI_E10value_typeEPSJ_NS1_7vsmem_tEENKUlT_SH_SI_SJ_E_clIPiSB_SC_SC_EESG_SW_SH_SI_SJ_EUlSW_E1_NS1_11comp_targetILNS1_3genE0ELNS1_11target_archE4294967295ELNS1_3gpuE0ELNS1_3repE0EEENS1_36merge_oddeven_config_static_selectorELNS0_4arch9wavefront6targetE0EEEvSI_,comdat
.Lfunc_end1128:
	.size	_ZN7rocprim17ROCPRIM_400000_NS6detail17trampoline_kernelINS0_14default_configENS1_38merge_sort_block_merge_config_selectorIiNS0_10empty_typeEEEZZNS1_27merge_sort_block_merge_implIS3_N6thrust23THRUST_200600_302600_NS10device_ptrIiEEPS5_jNS1_19radix_merge_compareILb0ELb0EiNS0_19identity_decomposerEEEEE10hipError_tT0_T1_T2_jT3_P12ihipStream_tbPNSt15iterator_traitsISH_E10value_typeEPNSN_ISI_E10value_typeEPSJ_NS1_7vsmem_tEENKUlT_SH_SI_SJ_E_clIPiSB_SC_SC_EESG_SW_SH_SI_SJ_EUlSW_E1_NS1_11comp_targetILNS1_3genE0ELNS1_11target_archE4294967295ELNS1_3gpuE0ELNS1_3repE0EEENS1_36merge_oddeven_config_static_selectorELNS0_4arch9wavefront6targetE0EEEvSI_, .Lfunc_end1128-_ZN7rocprim17ROCPRIM_400000_NS6detail17trampoline_kernelINS0_14default_configENS1_38merge_sort_block_merge_config_selectorIiNS0_10empty_typeEEEZZNS1_27merge_sort_block_merge_implIS3_N6thrust23THRUST_200600_302600_NS10device_ptrIiEEPS5_jNS1_19radix_merge_compareILb0ELb0EiNS0_19identity_decomposerEEEEE10hipError_tT0_T1_T2_jT3_P12ihipStream_tbPNSt15iterator_traitsISH_E10value_typeEPNSN_ISI_E10value_typeEPSJ_NS1_7vsmem_tEENKUlT_SH_SI_SJ_E_clIPiSB_SC_SC_EESG_SW_SH_SI_SJ_EUlSW_E1_NS1_11comp_targetILNS1_3genE0ELNS1_11target_archE4294967295ELNS1_3gpuE0ELNS1_3repE0EEENS1_36merge_oddeven_config_static_selectorELNS0_4arch9wavefront6targetE0EEEvSI_
                                        ; -- End function
	.set _ZN7rocprim17ROCPRIM_400000_NS6detail17trampoline_kernelINS0_14default_configENS1_38merge_sort_block_merge_config_selectorIiNS0_10empty_typeEEEZZNS1_27merge_sort_block_merge_implIS3_N6thrust23THRUST_200600_302600_NS10device_ptrIiEEPS5_jNS1_19radix_merge_compareILb0ELb0EiNS0_19identity_decomposerEEEEE10hipError_tT0_T1_T2_jT3_P12ihipStream_tbPNSt15iterator_traitsISH_E10value_typeEPNSN_ISI_E10value_typeEPSJ_NS1_7vsmem_tEENKUlT_SH_SI_SJ_E_clIPiSB_SC_SC_EESG_SW_SH_SI_SJ_EUlSW_E1_NS1_11comp_targetILNS1_3genE0ELNS1_11target_archE4294967295ELNS1_3gpuE0ELNS1_3repE0EEENS1_36merge_oddeven_config_static_selectorELNS0_4arch9wavefront6targetE0EEEvSI_.num_vgpr, 0
	.set _ZN7rocprim17ROCPRIM_400000_NS6detail17trampoline_kernelINS0_14default_configENS1_38merge_sort_block_merge_config_selectorIiNS0_10empty_typeEEEZZNS1_27merge_sort_block_merge_implIS3_N6thrust23THRUST_200600_302600_NS10device_ptrIiEEPS5_jNS1_19radix_merge_compareILb0ELb0EiNS0_19identity_decomposerEEEEE10hipError_tT0_T1_T2_jT3_P12ihipStream_tbPNSt15iterator_traitsISH_E10value_typeEPNSN_ISI_E10value_typeEPSJ_NS1_7vsmem_tEENKUlT_SH_SI_SJ_E_clIPiSB_SC_SC_EESG_SW_SH_SI_SJ_EUlSW_E1_NS1_11comp_targetILNS1_3genE0ELNS1_11target_archE4294967295ELNS1_3gpuE0ELNS1_3repE0EEENS1_36merge_oddeven_config_static_selectorELNS0_4arch9wavefront6targetE0EEEvSI_.num_agpr, 0
	.set _ZN7rocprim17ROCPRIM_400000_NS6detail17trampoline_kernelINS0_14default_configENS1_38merge_sort_block_merge_config_selectorIiNS0_10empty_typeEEEZZNS1_27merge_sort_block_merge_implIS3_N6thrust23THRUST_200600_302600_NS10device_ptrIiEEPS5_jNS1_19radix_merge_compareILb0ELb0EiNS0_19identity_decomposerEEEEE10hipError_tT0_T1_T2_jT3_P12ihipStream_tbPNSt15iterator_traitsISH_E10value_typeEPNSN_ISI_E10value_typeEPSJ_NS1_7vsmem_tEENKUlT_SH_SI_SJ_E_clIPiSB_SC_SC_EESG_SW_SH_SI_SJ_EUlSW_E1_NS1_11comp_targetILNS1_3genE0ELNS1_11target_archE4294967295ELNS1_3gpuE0ELNS1_3repE0EEENS1_36merge_oddeven_config_static_selectorELNS0_4arch9wavefront6targetE0EEEvSI_.numbered_sgpr, 0
	.set _ZN7rocprim17ROCPRIM_400000_NS6detail17trampoline_kernelINS0_14default_configENS1_38merge_sort_block_merge_config_selectorIiNS0_10empty_typeEEEZZNS1_27merge_sort_block_merge_implIS3_N6thrust23THRUST_200600_302600_NS10device_ptrIiEEPS5_jNS1_19radix_merge_compareILb0ELb0EiNS0_19identity_decomposerEEEEE10hipError_tT0_T1_T2_jT3_P12ihipStream_tbPNSt15iterator_traitsISH_E10value_typeEPNSN_ISI_E10value_typeEPSJ_NS1_7vsmem_tEENKUlT_SH_SI_SJ_E_clIPiSB_SC_SC_EESG_SW_SH_SI_SJ_EUlSW_E1_NS1_11comp_targetILNS1_3genE0ELNS1_11target_archE4294967295ELNS1_3gpuE0ELNS1_3repE0EEENS1_36merge_oddeven_config_static_selectorELNS0_4arch9wavefront6targetE0EEEvSI_.num_named_barrier, 0
	.set _ZN7rocprim17ROCPRIM_400000_NS6detail17trampoline_kernelINS0_14default_configENS1_38merge_sort_block_merge_config_selectorIiNS0_10empty_typeEEEZZNS1_27merge_sort_block_merge_implIS3_N6thrust23THRUST_200600_302600_NS10device_ptrIiEEPS5_jNS1_19radix_merge_compareILb0ELb0EiNS0_19identity_decomposerEEEEE10hipError_tT0_T1_T2_jT3_P12ihipStream_tbPNSt15iterator_traitsISH_E10value_typeEPNSN_ISI_E10value_typeEPSJ_NS1_7vsmem_tEENKUlT_SH_SI_SJ_E_clIPiSB_SC_SC_EESG_SW_SH_SI_SJ_EUlSW_E1_NS1_11comp_targetILNS1_3genE0ELNS1_11target_archE4294967295ELNS1_3gpuE0ELNS1_3repE0EEENS1_36merge_oddeven_config_static_selectorELNS0_4arch9wavefront6targetE0EEEvSI_.private_seg_size, 0
	.set _ZN7rocprim17ROCPRIM_400000_NS6detail17trampoline_kernelINS0_14default_configENS1_38merge_sort_block_merge_config_selectorIiNS0_10empty_typeEEEZZNS1_27merge_sort_block_merge_implIS3_N6thrust23THRUST_200600_302600_NS10device_ptrIiEEPS5_jNS1_19radix_merge_compareILb0ELb0EiNS0_19identity_decomposerEEEEE10hipError_tT0_T1_T2_jT3_P12ihipStream_tbPNSt15iterator_traitsISH_E10value_typeEPNSN_ISI_E10value_typeEPSJ_NS1_7vsmem_tEENKUlT_SH_SI_SJ_E_clIPiSB_SC_SC_EESG_SW_SH_SI_SJ_EUlSW_E1_NS1_11comp_targetILNS1_3genE0ELNS1_11target_archE4294967295ELNS1_3gpuE0ELNS1_3repE0EEENS1_36merge_oddeven_config_static_selectorELNS0_4arch9wavefront6targetE0EEEvSI_.uses_vcc, 0
	.set _ZN7rocprim17ROCPRIM_400000_NS6detail17trampoline_kernelINS0_14default_configENS1_38merge_sort_block_merge_config_selectorIiNS0_10empty_typeEEEZZNS1_27merge_sort_block_merge_implIS3_N6thrust23THRUST_200600_302600_NS10device_ptrIiEEPS5_jNS1_19radix_merge_compareILb0ELb0EiNS0_19identity_decomposerEEEEE10hipError_tT0_T1_T2_jT3_P12ihipStream_tbPNSt15iterator_traitsISH_E10value_typeEPNSN_ISI_E10value_typeEPSJ_NS1_7vsmem_tEENKUlT_SH_SI_SJ_E_clIPiSB_SC_SC_EESG_SW_SH_SI_SJ_EUlSW_E1_NS1_11comp_targetILNS1_3genE0ELNS1_11target_archE4294967295ELNS1_3gpuE0ELNS1_3repE0EEENS1_36merge_oddeven_config_static_selectorELNS0_4arch9wavefront6targetE0EEEvSI_.uses_flat_scratch, 0
	.set _ZN7rocprim17ROCPRIM_400000_NS6detail17trampoline_kernelINS0_14default_configENS1_38merge_sort_block_merge_config_selectorIiNS0_10empty_typeEEEZZNS1_27merge_sort_block_merge_implIS3_N6thrust23THRUST_200600_302600_NS10device_ptrIiEEPS5_jNS1_19radix_merge_compareILb0ELb0EiNS0_19identity_decomposerEEEEE10hipError_tT0_T1_T2_jT3_P12ihipStream_tbPNSt15iterator_traitsISH_E10value_typeEPNSN_ISI_E10value_typeEPSJ_NS1_7vsmem_tEENKUlT_SH_SI_SJ_E_clIPiSB_SC_SC_EESG_SW_SH_SI_SJ_EUlSW_E1_NS1_11comp_targetILNS1_3genE0ELNS1_11target_archE4294967295ELNS1_3gpuE0ELNS1_3repE0EEENS1_36merge_oddeven_config_static_selectorELNS0_4arch9wavefront6targetE0EEEvSI_.has_dyn_sized_stack, 0
	.set _ZN7rocprim17ROCPRIM_400000_NS6detail17trampoline_kernelINS0_14default_configENS1_38merge_sort_block_merge_config_selectorIiNS0_10empty_typeEEEZZNS1_27merge_sort_block_merge_implIS3_N6thrust23THRUST_200600_302600_NS10device_ptrIiEEPS5_jNS1_19radix_merge_compareILb0ELb0EiNS0_19identity_decomposerEEEEE10hipError_tT0_T1_T2_jT3_P12ihipStream_tbPNSt15iterator_traitsISH_E10value_typeEPNSN_ISI_E10value_typeEPSJ_NS1_7vsmem_tEENKUlT_SH_SI_SJ_E_clIPiSB_SC_SC_EESG_SW_SH_SI_SJ_EUlSW_E1_NS1_11comp_targetILNS1_3genE0ELNS1_11target_archE4294967295ELNS1_3gpuE0ELNS1_3repE0EEENS1_36merge_oddeven_config_static_selectorELNS0_4arch9wavefront6targetE0EEEvSI_.has_recursion, 0
	.set _ZN7rocprim17ROCPRIM_400000_NS6detail17trampoline_kernelINS0_14default_configENS1_38merge_sort_block_merge_config_selectorIiNS0_10empty_typeEEEZZNS1_27merge_sort_block_merge_implIS3_N6thrust23THRUST_200600_302600_NS10device_ptrIiEEPS5_jNS1_19radix_merge_compareILb0ELb0EiNS0_19identity_decomposerEEEEE10hipError_tT0_T1_T2_jT3_P12ihipStream_tbPNSt15iterator_traitsISH_E10value_typeEPNSN_ISI_E10value_typeEPSJ_NS1_7vsmem_tEENKUlT_SH_SI_SJ_E_clIPiSB_SC_SC_EESG_SW_SH_SI_SJ_EUlSW_E1_NS1_11comp_targetILNS1_3genE0ELNS1_11target_archE4294967295ELNS1_3gpuE0ELNS1_3repE0EEENS1_36merge_oddeven_config_static_selectorELNS0_4arch9wavefront6targetE0EEEvSI_.has_indirect_call, 0
	.section	.AMDGPU.csdata,"",@progbits
; Kernel info:
; codeLenInByte = 0
; TotalNumSgprs: 0
; NumVgprs: 0
; ScratchSize: 0
; MemoryBound: 0
; FloatMode: 240
; IeeeMode: 1
; LDSByteSize: 0 bytes/workgroup (compile time only)
; SGPRBlocks: 0
; VGPRBlocks: 0
; NumSGPRsForWavesPerEU: 1
; NumVGPRsForWavesPerEU: 1
; Occupancy: 16
; WaveLimiterHint : 0
; COMPUTE_PGM_RSRC2:SCRATCH_EN: 0
; COMPUTE_PGM_RSRC2:USER_SGPR: 6
; COMPUTE_PGM_RSRC2:TRAP_HANDLER: 0
; COMPUTE_PGM_RSRC2:TGID_X_EN: 1
; COMPUTE_PGM_RSRC2:TGID_Y_EN: 0
; COMPUTE_PGM_RSRC2:TGID_Z_EN: 0
; COMPUTE_PGM_RSRC2:TIDIG_COMP_CNT: 0
	.section	.text._ZN7rocprim17ROCPRIM_400000_NS6detail17trampoline_kernelINS0_14default_configENS1_38merge_sort_block_merge_config_selectorIiNS0_10empty_typeEEEZZNS1_27merge_sort_block_merge_implIS3_N6thrust23THRUST_200600_302600_NS10device_ptrIiEEPS5_jNS1_19radix_merge_compareILb0ELb0EiNS0_19identity_decomposerEEEEE10hipError_tT0_T1_T2_jT3_P12ihipStream_tbPNSt15iterator_traitsISH_E10value_typeEPNSN_ISI_E10value_typeEPSJ_NS1_7vsmem_tEENKUlT_SH_SI_SJ_E_clIPiSB_SC_SC_EESG_SW_SH_SI_SJ_EUlSW_E1_NS1_11comp_targetILNS1_3genE10ELNS1_11target_archE1201ELNS1_3gpuE5ELNS1_3repE0EEENS1_36merge_oddeven_config_static_selectorELNS0_4arch9wavefront6targetE0EEEvSI_,"axG",@progbits,_ZN7rocprim17ROCPRIM_400000_NS6detail17trampoline_kernelINS0_14default_configENS1_38merge_sort_block_merge_config_selectorIiNS0_10empty_typeEEEZZNS1_27merge_sort_block_merge_implIS3_N6thrust23THRUST_200600_302600_NS10device_ptrIiEEPS5_jNS1_19radix_merge_compareILb0ELb0EiNS0_19identity_decomposerEEEEE10hipError_tT0_T1_T2_jT3_P12ihipStream_tbPNSt15iterator_traitsISH_E10value_typeEPNSN_ISI_E10value_typeEPSJ_NS1_7vsmem_tEENKUlT_SH_SI_SJ_E_clIPiSB_SC_SC_EESG_SW_SH_SI_SJ_EUlSW_E1_NS1_11comp_targetILNS1_3genE10ELNS1_11target_archE1201ELNS1_3gpuE5ELNS1_3repE0EEENS1_36merge_oddeven_config_static_selectorELNS0_4arch9wavefront6targetE0EEEvSI_,comdat
	.protected	_ZN7rocprim17ROCPRIM_400000_NS6detail17trampoline_kernelINS0_14default_configENS1_38merge_sort_block_merge_config_selectorIiNS0_10empty_typeEEEZZNS1_27merge_sort_block_merge_implIS3_N6thrust23THRUST_200600_302600_NS10device_ptrIiEEPS5_jNS1_19radix_merge_compareILb0ELb0EiNS0_19identity_decomposerEEEEE10hipError_tT0_T1_T2_jT3_P12ihipStream_tbPNSt15iterator_traitsISH_E10value_typeEPNSN_ISI_E10value_typeEPSJ_NS1_7vsmem_tEENKUlT_SH_SI_SJ_E_clIPiSB_SC_SC_EESG_SW_SH_SI_SJ_EUlSW_E1_NS1_11comp_targetILNS1_3genE10ELNS1_11target_archE1201ELNS1_3gpuE5ELNS1_3repE0EEENS1_36merge_oddeven_config_static_selectorELNS0_4arch9wavefront6targetE0EEEvSI_ ; -- Begin function _ZN7rocprim17ROCPRIM_400000_NS6detail17trampoline_kernelINS0_14default_configENS1_38merge_sort_block_merge_config_selectorIiNS0_10empty_typeEEEZZNS1_27merge_sort_block_merge_implIS3_N6thrust23THRUST_200600_302600_NS10device_ptrIiEEPS5_jNS1_19radix_merge_compareILb0ELb0EiNS0_19identity_decomposerEEEEE10hipError_tT0_T1_T2_jT3_P12ihipStream_tbPNSt15iterator_traitsISH_E10value_typeEPNSN_ISI_E10value_typeEPSJ_NS1_7vsmem_tEENKUlT_SH_SI_SJ_E_clIPiSB_SC_SC_EESG_SW_SH_SI_SJ_EUlSW_E1_NS1_11comp_targetILNS1_3genE10ELNS1_11target_archE1201ELNS1_3gpuE5ELNS1_3repE0EEENS1_36merge_oddeven_config_static_selectorELNS0_4arch9wavefront6targetE0EEEvSI_
	.globl	_ZN7rocprim17ROCPRIM_400000_NS6detail17trampoline_kernelINS0_14default_configENS1_38merge_sort_block_merge_config_selectorIiNS0_10empty_typeEEEZZNS1_27merge_sort_block_merge_implIS3_N6thrust23THRUST_200600_302600_NS10device_ptrIiEEPS5_jNS1_19radix_merge_compareILb0ELb0EiNS0_19identity_decomposerEEEEE10hipError_tT0_T1_T2_jT3_P12ihipStream_tbPNSt15iterator_traitsISH_E10value_typeEPNSN_ISI_E10value_typeEPSJ_NS1_7vsmem_tEENKUlT_SH_SI_SJ_E_clIPiSB_SC_SC_EESG_SW_SH_SI_SJ_EUlSW_E1_NS1_11comp_targetILNS1_3genE10ELNS1_11target_archE1201ELNS1_3gpuE5ELNS1_3repE0EEENS1_36merge_oddeven_config_static_selectorELNS0_4arch9wavefront6targetE0EEEvSI_
	.p2align	8
	.type	_ZN7rocprim17ROCPRIM_400000_NS6detail17trampoline_kernelINS0_14default_configENS1_38merge_sort_block_merge_config_selectorIiNS0_10empty_typeEEEZZNS1_27merge_sort_block_merge_implIS3_N6thrust23THRUST_200600_302600_NS10device_ptrIiEEPS5_jNS1_19radix_merge_compareILb0ELb0EiNS0_19identity_decomposerEEEEE10hipError_tT0_T1_T2_jT3_P12ihipStream_tbPNSt15iterator_traitsISH_E10value_typeEPNSN_ISI_E10value_typeEPSJ_NS1_7vsmem_tEENKUlT_SH_SI_SJ_E_clIPiSB_SC_SC_EESG_SW_SH_SI_SJ_EUlSW_E1_NS1_11comp_targetILNS1_3genE10ELNS1_11target_archE1201ELNS1_3gpuE5ELNS1_3repE0EEENS1_36merge_oddeven_config_static_selectorELNS0_4arch9wavefront6targetE0EEEvSI_,@function
_ZN7rocprim17ROCPRIM_400000_NS6detail17trampoline_kernelINS0_14default_configENS1_38merge_sort_block_merge_config_selectorIiNS0_10empty_typeEEEZZNS1_27merge_sort_block_merge_implIS3_N6thrust23THRUST_200600_302600_NS10device_ptrIiEEPS5_jNS1_19radix_merge_compareILb0ELb0EiNS0_19identity_decomposerEEEEE10hipError_tT0_T1_T2_jT3_P12ihipStream_tbPNSt15iterator_traitsISH_E10value_typeEPNSN_ISI_E10value_typeEPSJ_NS1_7vsmem_tEENKUlT_SH_SI_SJ_E_clIPiSB_SC_SC_EESG_SW_SH_SI_SJ_EUlSW_E1_NS1_11comp_targetILNS1_3genE10ELNS1_11target_archE1201ELNS1_3gpuE5ELNS1_3repE0EEENS1_36merge_oddeven_config_static_selectorELNS0_4arch9wavefront6targetE0EEEvSI_: ; @_ZN7rocprim17ROCPRIM_400000_NS6detail17trampoline_kernelINS0_14default_configENS1_38merge_sort_block_merge_config_selectorIiNS0_10empty_typeEEEZZNS1_27merge_sort_block_merge_implIS3_N6thrust23THRUST_200600_302600_NS10device_ptrIiEEPS5_jNS1_19radix_merge_compareILb0ELb0EiNS0_19identity_decomposerEEEEE10hipError_tT0_T1_T2_jT3_P12ihipStream_tbPNSt15iterator_traitsISH_E10value_typeEPNSN_ISI_E10value_typeEPSJ_NS1_7vsmem_tEENKUlT_SH_SI_SJ_E_clIPiSB_SC_SC_EESG_SW_SH_SI_SJ_EUlSW_E1_NS1_11comp_targetILNS1_3genE10ELNS1_11target_archE1201ELNS1_3gpuE5ELNS1_3repE0EEENS1_36merge_oddeven_config_static_selectorELNS0_4arch9wavefront6targetE0EEEvSI_
; %bb.0:
	.section	.rodata,"a",@progbits
	.p2align	6, 0x0
	.amdhsa_kernel _ZN7rocprim17ROCPRIM_400000_NS6detail17trampoline_kernelINS0_14default_configENS1_38merge_sort_block_merge_config_selectorIiNS0_10empty_typeEEEZZNS1_27merge_sort_block_merge_implIS3_N6thrust23THRUST_200600_302600_NS10device_ptrIiEEPS5_jNS1_19radix_merge_compareILb0ELb0EiNS0_19identity_decomposerEEEEE10hipError_tT0_T1_T2_jT3_P12ihipStream_tbPNSt15iterator_traitsISH_E10value_typeEPNSN_ISI_E10value_typeEPSJ_NS1_7vsmem_tEENKUlT_SH_SI_SJ_E_clIPiSB_SC_SC_EESG_SW_SH_SI_SJ_EUlSW_E1_NS1_11comp_targetILNS1_3genE10ELNS1_11target_archE1201ELNS1_3gpuE5ELNS1_3repE0EEENS1_36merge_oddeven_config_static_selectorELNS0_4arch9wavefront6targetE0EEEvSI_
		.amdhsa_group_segment_fixed_size 0
		.amdhsa_private_segment_fixed_size 0
		.amdhsa_kernarg_size 48
		.amdhsa_user_sgpr_count 6
		.amdhsa_user_sgpr_private_segment_buffer 1
		.amdhsa_user_sgpr_dispatch_ptr 0
		.amdhsa_user_sgpr_queue_ptr 0
		.amdhsa_user_sgpr_kernarg_segment_ptr 1
		.amdhsa_user_sgpr_dispatch_id 0
		.amdhsa_user_sgpr_flat_scratch_init 0
		.amdhsa_user_sgpr_private_segment_size 0
		.amdhsa_wavefront_size32 1
		.amdhsa_uses_dynamic_stack 0
		.amdhsa_system_sgpr_private_segment_wavefront_offset 0
		.amdhsa_system_sgpr_workgroup_id_x 1
		.amdhsa_system_sgpr_workgroup_id_y 0
		.amdhsa_system_sgpr_workgroup_id_z 0
		.amdhsa_system_sgpr_workgroup_info 0
		.amdhsa_system_vgpr_workitem_id 0
		.amdhsa_next_free_vgpr 1
		.amdhsa_next_free_sgpr 1
		.amdhsa_reserve_vcc 0
		.amdhsa_reserve_flat_scratch 0
		.amdhsa_float_round_mode_32 0
		.amdhsa_float_round_mode_16_64 0
		.amdhsa_float_denorm_mode_32 3
		.amdhsa_float_denorm_mode_16_64 3
		.amdhsa_dx10_clamp 1
		.amdhsa_ieee_mode 1
		.amdhsa_fp16_overflow 0
		.amdhsa_workgroup_processor_mode 1
		.amdhsa_memory_ordered 1
		.amdhsa_forward_progress 1
		.amdhsa_shared_vgpr_count 0
		.amdhsa_exception_fp_ieee_invalid_op 0
		.amdhsa_exception_fp_denorm_src 0
		.amdhsa_exception_fp_ieee_div_zero 0
		.amdhsa_exception_fp_ieee_overflow 0
		.amdhsa_exception_fp_ieee_underflow 0
		.amdhsa_exception_fp_ieee_inexact 0
		.amdhsa_exception_int_div_zero 0
	.end_amdhsa_kernel
	.section	.text._ZN7rocprim17ROCPRIM_400000_NS6detail17trampoline_kernelINS0_14default_configENS1_38merge_sort_block_merge_config_selectorIiNS0_10empty_typeEEEZZNS1_27merge_sort_block_merge_implIS3_N6thrust23THRUST_200600_302600_NS10device_ptrIiEEPS5_jNS1_19radix_merge_compareILb0ELb0EiNS0_19identity_decomposerEEEEE10hipError_tT0_T1_T2_jT3_P12ihipStream_tbPNSt15iterator_traitsISH_E10value_typeEPNSN_ISI_E10value_typeEPSJ_NS1_7vsmem_tEENKUlT_SH_SI_SJ_E_clIPiSB_SC_SC_EESG_SW_SH_SI_SJ_EUlSW_E1_NS1_11comp_targetILNS1_3genE10ELNS1_11target_archE1201ELNS1_3gpuE5ELNS1_3repE0EEENS1_36merge_oddeven_config_static_selectorELNS0_4arch9wavefront6targetE0EEEvSI_,"axG",@progbits,_ZN7rocprim17ROCPRIM_400000_NS6detail17trampoline_kernelINS0_14default_configENS1_38merge_sort_block_merge_config_selectorIiNS0_10empty_typeEEEZZNS1_27merge_sort_block_merge_implIS3_N6thrust23THRUST_200600_302600_NS10device_ptrIiEEPS5_jNS1_19radix_merge_compareILb0ELb0EiNS0_19identity_decomposerEEEEE10hipError_tT0_T1_T2_jT3_P12ihipStream_tbPNSt15iterator_traitsISH_E10value_typeEPNSN_ISI_E10value_typeEPSJ_NS1_7vsmem_tEENKUlT_SH_SI_SJ_E_clIPiSB_SC_SC_EESG_SW_SH_SI_SJ_EUlSW_E1_NS1_11comp_targetILNS1_3genE10ELNS1_11target_archE1201ELNS1_3gpuE5ELNS1_3repE0EEENS1_36merge_oddeven_config_static_selectorELNS0_4arch9wavefront6targetE0EEEvSI_,comdat
.Lfunc_end1129:
	.size	_ZN7rocprim17ROCPRIM_400000_NS6detail17trampoline_kernelINS0_14default_configENS1_38merge_sort_block_merge_config_selectorIiNS0_10empty_typeEEEZZNS1_27merge_sort_block_merge_implIS3_N6thrust23THRUST_200600_302600_NS10device_ptrIiEEPS5_jNS1_19radix_merge_compareILb0ELb0EiNS0_19identity_decomposerEEEEE10hipError_tT0_T1_T2_jT3_P12ihipStream_tbPNSt15iterator_traitsISH_E10value_typeEPNSN_ISI_E10value_typeEPSJ_NS1_7vsmem_tEENKUlT_SH_SI_SJ_E_clIPiSB_SC_SC_EESG_SW_SH_SI_SJ_EUlSW_E1_NS1_11comp_targetILNS1_3genE10ELNS1_11target_archE1201ELNS1_3gpuE5ELNS1_3repE0EEENS1_36merge_oddeven_config_static_selectorELNS0_4arch9wavefront6targetE0EEEvSI_, .Lfunc_end1129-_ZN7rocprim17ROCPRIM_400000_NS6detail17trampoline_kernelINS0_14default_configENS1_38merge_sort_block_merge_config_selectorIiNS0_10empty_typeEEEZZNS1_27merge_sort_block_merge_implIS3_N6thrust23THRUST_200600_302600_NS10device_ptrIiEEPS5_jNS1_19radix_merge_compareILb0ELb0EiNS0_19identity_decomposerEEEEE10hipError_tT0_T1_T2_jT3_P12ihipStream_tbPNSt15iterator_traitsISH_E10value_typeEPNSN_ISI_E10value_typeEPSJ_NS1_7vsmem_tEENKUlT_SH_SI_SJ_E_clIPiSB_SC_SC_EESG_SW_SH_SI_SJ_EUlSW_E1_NS1_11comp_targetILNS1_3genE10ELNS1_11target_archE1201ELNS1_3gpuE5ELNS1_3repE0EEENS1_36merge_oddeven_config_static_selectorELNS0_4arch9wavefront6targetE0EEEvSI_
                                        ; -- End function
	.set _ZN7rocprim17ROCPRIM_400000_NS6detail17trampoline_kernelINS0_14default_configENS1_38merge_sort_block_merge_config_selectorIiNS0_10empty_typeEEEZZNS1_27merge_sort_block_merge_implIS3_N6thrust23THRUST_200600_302600_NS10device_ptrIiEEPS5_jNS1_19radix_merge_compareILb0ELb0EiNS0_19identity_decomposerEEEEE10hipError_tT0_T1_T2_jT3_P12ihipStream_tbPNSt15iterator_traitsISH_E10value_typeEPNSN_ISI_E10value_typeEPSJ_NS1_7vsmem_tEENKUlT_SH_SI_SJ_E_clIPiSB_SC_SC_EESG_SW_SH_SI_SJ_EUlSW_E1_NS1_11comp_targetILNS1_3genE10ELNS1_11target_archE1201ELNS1_3gpuE5ELNS1_3repE0EEENS1_36merge_oddeven_config_static_selectorELNS0_4arch9wavefront6targetE0EEEvSI_.num_vgpr, 0
	.set _ZN7rocprim17ROCPRIM_400000_NS6detail17trampoline_kernelINS0_14default_configENS1_38merge_sort_block_merge_config_selectorIiNS0_10empty_typeEEEZZNS1_27merge_sort_block_merge_implIS3_N6thrust23THRUST_200600_302600_NS10device_ptrIiEEPS5_jNS1_19radix_merge_compareILb0ELb0EiNS0_19identity_decomposerEEEEE10hipError_tT0_T1_T2_jT3_P12ihipStream_tbPNSt15iterator_traitsISH_E10value_typeEPNSN_ISI_E10value_typeEPSJ_NS1_7vsmem_tEENKUlT_SH_SI_SJ_E_clIPiSB_SC_SC_EESG_SW_SH_SI_SJ_EUlSW_E1_NS1_11comp_targetILNS1_3genE10ELNS1_11target_archE1201ELNS1_3gpuE5ELNS1_3repE0EEENS1_36merge_oddeven_config_static_selectorELNS0_4arch9wavefront6targetE0EEEvSI_.num_agpr, 0
	.set _ZN7rocprim17ROCPRIM_400000_NS6detail17trampoline_kernelINS0_14default_configENS1_38merge_sort_block_merge_config_selectorIiNS0_10empty_typeEEEZZNS1_27merge_sort_block_merge_implIS3_N6thrust23THRUST_200600_302600_NS10device_ptrIiEEPS5_jNS1_19radix_merge_compareILb0ELb0EiNS0_19identity_decomposerEEEEE10hipError_tT0_T1_T2_jT3_P12ihipStream_tbPNSt15iterator_traitsISH_E10value_typeEPNSN_ISI_E10value_typeEPSJ_NS1_7vsmem_tEENKUlT_SH_SI_SJ_E_clIPiSB_SC_SC_EESG_SW_SH_SI_SJ_EUlSW_E1_NS1_11comp_targetILNS1_3genE10ELNS1_11target_archE1201ELNS1_3gpuE5ELNS1_3repE0EEENS1_36merge_oddeven_config_static_selectorELNS0_4arch9wavefront6targetE0EEEvSI_.numbered_sgpr, 0
	.set _ZN7rocprim17ROCPRIM_400000_NS6detail17trampoline_kernelINS0_14default_configENS1_38merge_sort_block_merge_config_selectorIiNS0_10empty_typeEEEZZNS1_27merge_sort_block_merge_implIS3_N6thrust23THRUST_200600_302600_NS10device_ptrIiEEPS5_jNS1_19radix_merge_compareILb0ELb0EiNS0_19identity_decomposerEEEEE10hipError_tT0_T1_T2_jT3_P12ihipStream_tbPNSt15iterator_traitsISH_E10value_typeEPNSN_ISI_E10value_typeEPSJ_NS1_7vsmem_tEENKUlT_SH_SI_SJ_E_clIPiSB_SC_SC_EESG_SW_SH_SI_SJ_EUlSW_E1_NS1_11comp_targetILNS1_3genE10ELNS1_11target_archE1201ELNS1_3gpuE5ELNS1_3repE0EEENS1_36merge_oddeven_config_static_selectorELNS0_4arch9wavefront6targetE0EEEvSI_.num_named_barrier, 0
	.set _ZN7rocprim17ROCPRIM_400000_NS6detail17trampoline_kernelINS0_14default_configENS1_38merge_sort_block_merge_config_selectorIiNS0_10empty_typeEEEZZNS1_27merge_sort_block_merge_implIS3_N6thrust23THRUST_200600_302600_NS10device_ptrIiEEPS5_jNS1_19radix_merge_compareILb0ELb0EiNS0_19identity_decomposerEEEEE10hipError_tT0_T1_T2_jT3_P12ihipStream_tbPNSt15iterator_traitsISH_E10value_typeEPNSN_ISI_E10value_typeEPSJ_NS1_7vsmem_tEENKUlT_SH_SI_SJ_E_clIPiSB_SC_SC_EESG_SW_SH_SI_SJ_EUlSW_E1_NS1_11comp_targetILNS1_3genE10ELNS1_11target_archE1201ELNS1_3gpuE5ELNS1_3repE0EEENS1_36merge_oddeven_config_static_selectorELNS0_4arch9wavefront6targetE0EEEvSI_.private_seg_size, 0
	.set _ZN7rocprim17ROCPRIM_400000_NS6detail17trampoline_kernelINS0_14default_configENS1_38merge_sort_block_merge_config_selectorIiNS0_10empty_typeEEEZZNS1_27merge_sort_block_merge_implIS3_N6thrust23THRUST_200600_302600_NS10device_ptrIiEEPS5_jNS1_19radix_merge_compareILb0ELb0EiNS0_19identity_decomposerEEEEE10hipError_tT0_T1_T2_jT3_P12ihipStream_tbPNSt15iterator_traitsISH_E10value_typeEPNSN_ISI_E10value_typeEPSJ_NS1_7vsmem_tEENKUlT_SH_SI_SJ_E_clIPiSB_SC_SC_EESG_SW_SH_SI_SJ_EUlSW_E1_NS1_11comp_targetILNS1_3genE10ELNS1_11target_archE1201ELNS1_3gpuE5ELNS1_3repE0EEENS1_36merge_oddeven_config_static_selectorELNS0_4arch9wavefront6targetE0EEEvSI_.uses_vcc, 0
	.set _ZN7rocprim17ROCPRIM_400000_NS6detail17trampoline_kernelINS0_14default_configENS1_38merge_sort_block_merge_config_selectorIiNS0_10empty_typeEEEZZNS1_27merge_sort_block_merge_implIS3_N6thrust23THRUST_200600_302600_NS10device_ptrIiEEPS5_jNS1_19radix_merge_compareILb0ELb0EiNS0_19identity_decomposerEEEEE10hipError_tT0_T1_T2_jT3_P12ihipStream_tbPNSt15iterator_traitsISH_E10value_typeEPNSN_ISI_E10value_typeEPSJ_NS1_7vsmem_tEENKUlT_SH_SI_SJ_E_clIPiSB_SC_SC_EESG_SW_SH_SI_SJ_EUlSW_E1_NS1_11comp_targetILNS1_3genE10ELNS1_11target_archE1201ELNS1_3gpuE5ELNS1_3repE0EEENS1_36merge_oddeven_config_static_selectorELNS0_4arch9wavefront6targetE0EEEvSI_.uses_flat_scratch, 0
	.set _ZN7rocprim17ROCPRIM_400000_NS6detail17trampoline_kernelINS0_14default_configENS1_38merge_sort_block_merge_config_selectorIiNS0_10empty_typeEEEZZNS1_27merge_sort_block_merge_implIS3_N6thrust23THRUST_200600_302600_NS10device_ptrIiEEPS5_jNS1_19radix_merge_compareILb0ELb0EiNS0_19identity_decomposerEEEEE10hipError_tT0_T1_T2_jT3_P12ihipStream_tbPNSt15iterator_traitsISH_E10value_typeEPNSN_ISI_E10value_typeEPSJ_NS1_7vsmem_tEENKUlT_SH_SI_SJ_E_clIPiSB_SC_SC_EESG_SW_SH_SI_SJ_EUlSW_E1_NS1_11comp_targetILNS1_3genE10ELNS1_11target_archE1201ELNS1_3gpuE5ELNS1_3repE0EEENS1_36merge_oddeven_config_static_selectorELNS0_4arch9wavefront6targetE0EEEvSI_.has_dyn_sized_stack, 0
	.set _ZN7rocprim17ROCPRIM_400000_NS6detail17trampoline_kernelINS0_14default_configENS1_38merge_sort_block_merge_config_selectorIiNS0_10empty_typeEEEZZNS1_27merge_sort_block_merge_implIS3_N6thrust23THRUST_200600_302600_NS10device_ptrIiEEPS5_jNS1_19radix_merge_compareILb0ELb0EiNS0_19identity_decomposerEEEEE10hipError_tT0_T1_T2_jT3_P12ihipStream_tbPNSt15iterator_traitsISH_E10value_typeEPNSN_ISI_E10value_typeEPSJ_NS1_7vsmem_tEENKUlT_SH_SI_SJ_E_clIPiSB_SC_SC_EESG_SW_SH_SI_SJ_EUlSW_E1_NS1_11comp_targetILNS1_3genE10ELNS1_11target_archE1201ELNS1_3gpuE5ELNS1_3repE0EEENS1_36merge_oddeven_config_static_selectorELNS0_4arch9wavefront6targetE0EEEvSI_.has_recursion, 0
	.set _ZN7rocprim17ROCPRIM_400000_NS6detail17trampoline_kernelINS0_14default_configENS1_38merge_sort_block_merge_config_selectorIiNS0_10empty_typeEEEZZNS1_27merge_sort_block_merge_implIS3_N6thrust23THRUST_200600_302600_NS10device_ptrIiEEPS5_jNS1_19radix_merge_compareILb0ELb0EiNS0_19identity_decomposerEEEEE10hipError_tT0_T1_T2_jT3_P12ihipStream_tbPNSt15iterator_traitsISH_E10value_typeEPNSN_ISI_E10value_typeEPSJ_NS1_7vsmem_tEENKUlT_SH_SI_SJ_E_clIPiSB_SC_SC_EESG_SW_SH_SI_SJ_EUlSW_E1_NS1_11comp_targetILNS1_3genE10ELNS1_11target_archE1201ELNS1_3gpuE5ELNS1_3repE0EEENS1_36merge_oddeven_config_static_selectorELNS0_4arch9wavefront6targetE0EEEvSI_.has_indirect_call, 0
	.section	.AMDGPU.csdata,"",@progbits
; Kernel info:
; codeLenInByte = 0
; TotalNumSgprs: 0
; NumVgprs: 0
; ScratchSize: 0
; MemoryBound: 0
; FloatMode: 240
; IeeeMode: 1
; LDSByteSize: 0 bytes/workgroup (compile time only)
; SGPRBlocks: 0
; VGPRBlocks: 0
; NumSGPRsForWavesPerEU: 1
; NumVGPRsForWavesPerEU: 1
; Occupancy: 16
; WaveLimiterHint : 0
; COMPUTE_PGM_RSRC2:SCRATCH_EN: 0
; COMPUTE_PGM_RSRC2:USER_SGPR: 6
; COMPUTE_PGM_RSRC2:TRAP_HANDLER: 0
; COMPUTE_PGM_RSRC2:TGID_X_EN: 1
; COMPUTE_PGM_RSRC2:TGID_Y_EN: 0
; COMPUTE_PGM_RSRC2:TGID_Z_EN: 0
; COMPUTE_PGM_RSRC2:TIDIG_COMP_CNT: 0
	.section	.text._ZN7rocprim17ROCPRIM_400000_NS6detail17trampoline_kernelINS0_14default_configENS1_38merge_sort_block_merge_config_selectorIiNS0_10empty_typeEEEZZNS1_27merge_sort_block_merge_implIS3_N6thrust23THRUST_200600_302600_NS10device_ptrIiEEPS5_jNS1_19radix_merge_compareILb0ELb0EiNS0_19identity_decomposerEEEEE10hipError_tT0_T1_T2_jT3_P12ihipStream_tbPNSt15iterator_traitsISH_E10value_typeEPNSN_ISI_E10value_typeEPSJ_NS1_7vsmem_tEENKUlT_SH_SI_SJ_E_clIPiSB_SC_SC_EESG_SW_SH_SI_SJ_EUlSW_E1_NS1_11comp_targetILNS1_3genE5ELNS1_11target_archE942ELNS1_3gpuE9ELNS1_3repE0EEENS1_36merge_oddeven_config_static_selectorELNS0_4arch9wavefront6targetE0EEEvSI_,"axG",@progbits,_ZN7rocprim17ROCPRIM_400000_NS6detail17trampoline_kernelINS0_14default_configENS1_38merge_sort_block_merge_config_selectorIiNS0_10empty_typeEEEZZNS1_27merge_sort_block_merge_implIS3_N6thrust23THRUST_200600_302600_NS10device_ptrIiEEPS5_jNS1_19radix_merge_compareILb0ELb0EiNS0_19identity_decomposerEEEEE10hipError_tT0_T1_T2_jT3_P12ihipStream_tbPNSt15iterator_traitsISH_E10value_typeEPNSN_ISI_E10value_typeEPSJ_NS1_7vsmem_tEENKUlT_SH_SI_SJ_E_clIPiSB_SC_SC_EESG_SW_SH_SI_SJ_EUlSW_E1_NS1_11comp_targetILNS1_3genE5ELNS1_11target_archE942ELNS1_3gpuE9ELNS1_3repE0EEENS1_36merge_oddeven_config_static_selectorELNS0_4arch9wavefront6targetE0EEEvSI_,comdat
	.protected	_ZN7rocprim17ROCPRIM_400000_NS6detail17trampoline_kernelINS0_14default_configENS1_38merge_sort_block_merge_config_selectorIiNS0_10empty_typeEEEZZNS1_27merge_sort_block_merge_implIS3_N6thrust23THRUST_200600_302600_NS10device_ptrIiEEPS5_jNS1_19radix_merge_compareILb0ELb0EiNS0_19identity_decomposerEEEEE10hipError_tT0_T1_T2_jT3_P12ihipStream_tbPNSt15iterator_traitsISH_E10value_typeEPNSN_ISI_E10value_typeEPSJ_NS1_7vsmem_tEENKUlT_SH_SI_SJ_E_clIPiSB_SC_SC_EESG_SW_SH_SI_SJ_EUlSW_E1_NS1_11comp_targetILNS1_3genE5ELNS1_11target_archE942ELNS1_3gpuE9ELNS1_3repE0EEENS1_36merge_oddeven_config_static_selectorELNS0_4arch9wavefront6targetE0EEEvSI_ ; -- Begin function _ZN7rocprim17ROCPRIM_400000_NS6detail17trampoline_kernelINS0_14default_configENS1_38merge_sort_block_merge_config_selectorIiNS0_10empty_typeEEEZZNS1_27merge_sort_block_merge_implIS3_N6thrust23THRUST_200600_302600_NS10device_ptrIiEEPS5_jNS1_19radix_merge_compareILb0ELb0EiNS0_19identity_decomposerEEEEE10hipError_tT0_T1_T2_jT3_P12ihipStream_tbPNSt15iterator_traitsISH_E10value_typeEPNSN_ISI_E10value_typeEPSJ_NS1_7vsmem_tEENKUlT_SH_SI_SJ_E_clIPiSB_SC_SC_EESG_SW_SH_SI_SJ_EUlSW_E1_NS1_11comp_targetILNS1_3genE5ELNS1_11target_archE942ELNS1_3gpuE9ELNS1_3repE0EEENS1_36merge_oddeven_config_static_selectorELNS0_4arch9wavefront6targetE0EEEvSI_
	.globl	_ZN7rocprim17ROCPRIM_400000_NS6detail17trampoline_kernelINS0_14default_configENS1_38merge_sort_block_merge_config_selectorIiNS0_10empty_typeEEEZZNS1_27merge_sort_block_merge_implIS3_N6thrust23THRUST_200600_302600_NS10device_ptrIiEEPS5_jNS1_19radix_merge_compareILb0ELb0EiNS0_19identity_decomposerEEEEE10hipError_tT0_T1_T2_jT3_P12ihipStream_tbPNSt15iterator_traitsISH_E10value_typeEPNSN_ISI_E10value_typeEPSJ_NS1_7vsmem_tEENKUlT_SH_SI_SJ_E_clIPiSB_SC_SC_EESG_SW_SH_SI_SJ_EUlSW_E1_NS1_11comp_targetILNS1_3genE5ELNS1_11target_archE942ELNS1_3gpuE9ELNS1_3repE0EEENS1_36merge_oddeven_config_static_selectorELNS0_4arch9wavefront6targetE0EEEvSI_
	.p2align	8
	.type	_ZN7rocprim17ROCPRIM_400000_NS6detail17trampoline_kernelINS0_14default_configENS1_38merge_sort_block_merge_config_selectorIiNS0_10empty_typeEEEZZNS1_27merge_sort_block_merge_implIS3_N6thrust23THRUST_200600_302600_NS10device_ptrIiEEPS5_jNS1_19radix_merge_compareILb0ELb0EiNS0_19identity_decomposerEEEEE10hipError_tT0_T1_T2_jT3_P12ihipStream_tbPNSt15iterator_traitsISH_E10value_typeEPNSN_ISI_E10value_typeEPSJ_NS1_7vsmem_tEENKUlT_SH_SI_SJ_E_clIPiSB_SC_SC_EESG_SW_SH_SI_SJ_EUlSW_E1_NS1_11comp_targetILNS1_3genE5ELNS1_11target_archE942ELNS1_3gpuE9ELNS1_3repE0EEENS1_36merge_oddeven_config_static_selectorELNS0_4arch9wavefront6targetE0EEEvSI_,@function
_ZN7rocprim17ROCPRIM_400000_NS6detail17trampoline_kernelINS0_14default_configENS1_38merge_sort_block_merge_config_selectorIiNS0_10empty_typeEEEZZNS1_27merge_sort_block_merge_implIS3_N6thrust23THRUST_200600_302600_NS10device_ptrIiEEPS5_jNS1_19radix_merge_compareILb0ELb0EiNS0_19identity_decomposerEEEEE10hipError_tT0_T1_T2_jT3_P12ihipStream_tbPNSt15iterator_traitsISH_E10value_typeEPNSN_ISI_E10value_typeEPSJ_NS1_7vsmem_tEENKUlT_SH_SI_SJ_E_clIPiSB_SC_SC_EESG_SW_SH_SI_SJ_EUlSW_E1_NS1_11comp_targetILNS1_3genE5ELNS1_11target_archE942ELNS1_3gpuE9ELNS1_3repE0EEENS1_36merge_oddeven_config_static_selectorELNS0_4arch9wavefront6targetE0EEEvSI_: ; @_ZN7rocprim17ROCPRIM_400000_NS6detail17trampoline_kernelINS0_14default_configENS1_38merge_sort_block_merge_config_selectorIiNS0_10empty_typeEEEZZNS1_27merge_sort_block_merge_implIS3_N6thrust23THRUST_200600_302600_NS10device_ptrIiEEPS5_jNS1_19radix_merge_compareILb0ELb0EiNS0_19identity_decomposerEEEEE10hipError_tT0_T1_T2_jT3_P12ihipStream_tbPNSt15iterator_traitsISH_E10value_typeEPNSN_ISI_E10value_typeEPSJ_NS1_7vsmem_tEENKUlT_SH_SI_SJ_E_clIPiSB_SC_SC_EESG_SW_SH_SI_SJ_EUlSW_E1_NS1_11comp_targetILNS1_3genE5ELNS1_11target_archE942ELNS1_3gpuE9ELNS1_3repE0EEENS1_36merge_oddeven_config_static_selectorELNS0_4arch9wavefront6targetE0EEEvSI_
; %bb.0:
	.section	.rodata,"a",@progbits
	.p2align	6, 0x0
	.amdhsa_kernel _ZN7rocprim17ROCPRIM_400000_NS6detail17trampoline_kernelINS0_14default_configENS1_38merge_sort_block_merge_config_selectorIiNS0_10empty_typeEEEZZNS1_27merge_sort_block_merge_implIS3_N6thrust23THRUST_200600_302600_NS10device_ptrIiEEPS5_jNS1_19radix_merge_compareILb0ELb0EiNS0_19identity_decomposerEEEEE10hipError_tT0_T1_T2_jT3_P12ihipStream_tbPNSt15iterator_traitsISH_E10value_typeEPNSN_ISI_E10value_typeEPSJ_NS1_7vsmem_tEENKUlT_SH_SI_SJ_E_clIPiSB_SC_SC_EESG_SW_SH_SI_SJ_EUlSW_E1_NS1_11comp_targetILNS1_3genE5ELNS1_11target_archE942ELNS1_3gpuE9ELNS1_3repE0EEENS1_36merge_oddeven_config_static_selectorELNS0_4arch9wavefront6targetE0EEEvSI_
		.amdhsa_group_segment_fixed_size 0
		.amdhsa_private_segment_fixed_size 0
		.amdhsa_kernarg_size 48
		.amdhsa_user_sgpr_count 6
		.amdhsa_user_sgpr_private_segment_buffer 1
		.amdhsa_user_sgpr_dispatch_ptr 0
		.amdhsa_user_sgpr_queue_ptr 0
		.amdhsa_user_sgpr_kernarg_segment_ptr 1
		.amdhsa_user_sgpr_dispatch_id 0
		.amdhsa_user_sgpr_flat_scratch_init 0
		.amdhsa_user_sgpr_private_segment_size 0
		.amdhsa_wavefront_size32 1
		.amdhsa_uses_dynamic_stack 0
		.amdhsa_system_sgpr_private_segment_wavefront_offset 0
		.amdhsa_system_sgpr_workgroup_id_x 1
		.amdhsa_system_sgpr_workgroup_id_y 0
		.amdhsa_system_sgpr_workgroup_id_z 0
		.amdhsa_system_sgpr_workgroup_info 0
		.amdhsa_system_vgpr_workitem_id 0
		.amdhsa_next_free_vgpr 1
		.amdhsa_next_free_sgpr 1
		.amdhsa_reserve_vcc 0
		.amdhsa_reserve_flat_scratch 0
		.amdhsa_float_round_mode_32 0
		.amdhsa_float_round_mode_16_64 0
		.amdhsa_float_denorm_mode_32 3
		.amdhsa_float_denorm_mode_16_64 3
		.amdhsa_dx10_clamp 1
		.amdhsa_ieee_mode 1
		.amdhsa_fp16_overflow 0
		.amdhsa_workgroup_processor_mode 1
		.amdhsa_memory_ordered 1
		.amdhsa_forward_progress 1
		.amdhsa_shared_vgpr_count 0
		.amdhsa_exception_fp_ieee_invalid_op 0
		.amdhsa_exception_fp_denorm_src 0
		.amdhsa_exception_fp_ieee_div_zero 0
		.amdhsa_exception_fp_ieee_overflow 0
		.amdhsa_exception_fp_ieee_underflow 0
		.amdhsa_exception_fp_ieee_inexact 0
		.amdhsa_exception_int_div_zero 0
	.end_amdhsa_kernel
	.section	.text._ZN7rocprim17ROCPRIM_400000_NS6detail17trampoline_kernelINS0_14default_configENS1_38merge_sort_block_merge_config_selectorIiNS0_10empty_typeEEEZZNS1_27merge_sort_block_merge_implIS3_N6thrust23THRUST_200600_302600_NS10device_ptrIiEEPS5_jNS1_19radix_merge_compareILb0ELb0EiNS0_19identity_decomposerEEEEE10hipError_tT0_T1_T2_jT3_P12ihipStream_tbPNSt15iterator_traitsISH_E10value_typeEPNSN_ISI_E10value_typeEPSJ_NS1_7vsmem_tEENKUlT_SH_SI_SJ_E_clIPiSB_SC_SC_EESG_SW_SH_SI_SJ_EUlSW_E1_NS1_11comp_targetILNS1_3genE5ELNS1_11target_archE942ELNS1_3gpuE9ELNS1_3repE0EEENS1_36merge_oddeven_config_static_selectorELNS0_4arch9wavefront6targetE0EEEvSI_,"axG",@progbits,_ZN7rocprim17ROCPRIM_400000_NS6detail17trampoline_kernelINS0_14default_configENS1_38merge_sort_block_merge_config_selectorIiNS0_10empty_typeEEEZZNS1_27merge_sort_block_merge_implIS3_N6thrust23THRUST_200600_302600_NS10device_ptrIiEEPS5_jNS1_19radix_merge_compareILb0ELb0EiNS0_19identity_decomposerEEEEE10hipError_tT0_T1_T2_jT3_P12ihipStream_tbPNSt15iterator_traitsISH_E10value_typeEPNSN_ISI_E10value_typeEPSJ_NS1_7vsmem_tEENKUlT_SH_SI_SJ_E_clIPiSB_SC_SC_EESG_SW_SH_SI_SJ_EUlSW_E1_NS1_11comp_targetILNS1_3genE5ELNS1_11target_archE942ELNS1_3gpuE9ELNS1_3repE0EEENS1_36merge_oddeven_config_static_selectorELNS0_4arch9wavefront6targetE0EEEvSI_,comdat
.Lfunc_end1130:
	.size	_ZN7rocprim17ROCPRIM_400000_NS6detail17trampoline_kernelINS0_14default_configENS1_38merge_sort_block_merge_config_selectorIiNS0_10empty_typeEEEZZNS1_27merge_sort_block_merge_implIS3_N6thrust23THRUST_200600_302600_NS10device_ptrIiEEPS5_jNS1_19radix_merge_compareILb0ELb0EiNS0_19identity_decomposerEEEEE10hipError_tT0_T1_T2_jT3_P12ihipStream_tbPNSt15iterator_traitsISH_E10value_typeEPNSN_ISI_E10value_typeEPSJ_NS1_7vsmem_tEENKUlT_SH_SI_SJ_E_clIPiSB_SC_SC_EESG_SW_SH_SI_SJ_EUlSW_E1_NS1_11comp_targetILNS1_3genE5ELNS1_11target_archE942ELNS1_3gpuE9ELNS1_3repE0EEENS1_36merge_oddeven_config_static_selectorELNS0_4arch9wavefront6targetE0EEEvSI_, .Lfunc_end1130-_ZN7rocprim17ROCPRIM_400000_NS6detail17trampoline_kernelINS0_14default_configENS1_38merge_sort_block_merge_config_selectorIiNS0_10empty_typeEEEZZNS1_27merge_sort_block_merge_implIS3_N6thrust23THRUST_200600_302600_NS10device_ptrIiEEPS5_jNS1_19radix_merge_compareILb0ELb0EiNS0_19identity_decomposerEEEEE10hipError_tT0_T1_T2_jT3_P12ihipStream_tbPNSt15iterator_traitsISH_E10value_typeEPNSN_ISI_E10value_typeEPSJ_NS1_7vsmem_tEENKUlT_SH_SI_SJ_E_clIPiSB_SC_SC_EESG_SW_SH_SI_SJ_EUlSW_E1_NS1_11comp_targetILNS1_3genE5ELNS1_11target_archE942ELNS1_3gpuE9ELNS1_3repE0EEENS1_36merge_oddeven_config_static_selectorELNS0_4arch9wavefront6targetE0EEEvSI_
                                        ; -- End function
	.set _ZN7rocprim17ROCPRIM_400000_NS6detail17trampoline_kernelINS0_14default_configENS1_38merge_sort_block_merge_config_selectorIiNS0_10empty_typeEEEZZNS1_27merge_sort_block_merge_implIS3_N6thrust23THRUST_200600_302600_NS10device_ptrIiEEPS5_jNS1_19radix_merge_compareILb0ELb0EiNS0_19identity_decomposerEEEEE10hipError_tT0_T1_T2_jT3_P12ihipStream_tbPNSt15iterator_traitsISH_E10value_typeEPNSN_ISI_E10value_typeEPSJ_NS1_7vsmem_tEENKUlT_SH_SI_SJ_E_clIPiSB_SC_SC_EESG_SW_SH_SI_SJ_EUlSW_E1_NS1_11comp_targetILNS1_3genE5ELNS1_11target_archE942ELNS1_3gpuE9ELNS1_3repE0EEENS1_36merge_oddeven_config_static_selectorELNS0_4arch9wavefront6targetE0EEEvSI_.num_vgpr, 0
	.set _ZN7rocprim17ROCPRIM_400000_NS6detail17trampoline_kernelINS0_14default_configENS1_38merge_sort_block_merge_config_selectorIiNS0_10empty_typeEEEZZNS1_27merge_sort_block_merge_implIS3_N6thrust23THRUST_200600_302600_NS10device_ptrIiEEPS5_jNS1_19radix_merge_compareILb0ELb0EiNS0_19identity_decomposerEEEEE10hipError_tT0_T1_T2_jT3_P12ihipStream_tbPNSt15iterator_traitsISH_E10value_typeEPNSN_ISI_E10value_typeEPSJ_NS1_7vsmem_tEENKUlT_SH_SI_SJ_E_clIPiSB_SC_SC_EESG_SW_SH_SI_SJ_EUlSW_E1_NS1_11comp_targetILNS1_3genE5ELNS1_11target_archE942ELNS1_3gpuE9ELNS1_3repE0EEENS1_36merge_oddeven_config_static_selectorELNS0_4arch9wavefront6targetE0EEEvSI_.num_agpr, 0
	.set _ZN7rocprim17ROCPRIM_400000_NS6detail17trampoline_kernelINS0_14default_configENS1_38merge_sort_block_merge_config_selectorIiNS0_10empty_typeEEEZZNS1_27merge_sort_block_merge_implIS3_N6thrust23THRUST_200600_302600_NS10device_ptrIiEEPS5_jNS1_19radix_merge_compareILb0ELb0EiNS0_19identity_decomposerEEEEE10hipError_tT0_T1_T2_jT3_P12ihipStream_tbPNSt15iterator_traitsISH_E10value_typeEPNSN_ISI_E10value_typeEPSJ_NS1_7vsmem_tEENKUlT_SH_SI_SJ_E_clIPiSB_SC_SC_EESG_SW_SH_SI_SJ_EUlSW_E1_NS1_11comp_targetILNS1_3genE5ELNS1_11target_archE942ELNS1_3gpuE9ELNS1_3repE0EEENS1_36merge_oddeven_config_static_selectorELNS0_4arch9wavefront6targetE0EEEvSI_.numbered_sgpr, 0
	.set _ZN7rocprim17ROCPRIM_400000_NS6detail17trampoline_kernelINS0_14default_configENS1_38merge_sort_block_merge_config_selectorIiNS0_10empty_typeEEEZZNS1_27merge_sort_block_merge_implIS3_N6thrust23THRUST_200600_302600_NS10device_ptrIiEEPS5_jNS1_19radix_merge_compareILb0ELb0EiNS0_19identity_decomposerEEEEE10hipError_tT0_T1_T2_jT3_P12ihipStream_tbPNSt15iterator_traitsISH_E10value_typeEPNSN_ISI_E10value_typeEPSJ_NS1_7vsmem_tEENKUlT_SH_SI_SJ_E_clIPiSB_SC_SC_EESG_SW_SH_SI_SJ_EUlSW_E1_NS1_11comp_targetILNS1_3genE5ELNS1_11target_archE942ELNS1_3gpuE9ELNS1_3repE0EEENS1_36merge_oddeven_config_static_selectorELNS0_4arch9wavefront6targetE0EEEvSI_.num_named_barrier, 0
	.set _ZN7rocprim17ROCPRIM_400000_NS6detail17trampoline_kernelINS0_14default_configENS1_38merge_sort_block_merge_config_selectorIiNS0_10empty_typeEEEZZNS1_27merge_sort_block_merge_implIS3_N6thrust23THRUST_200600_302600_NS10device_ptrIiEEPS5_jNS1_19radix_merge_compareILb0ELb0EiNS0_19identity_decomposerEEEEE10hipError_tT0_T1_T2_jT3_P12ihipStream_tbPNSt15iterator_traitsISH_E10value_typeEPNSN_ISI_E10value_typeEPSJ_NS1_7vsmem_tEENKUlT_SH_SI_SJ_E_clIPiSB_SC_SC_EESG_SW_SH_SI_SJ_EUlSW_E1_NS1_11comp_targetILNS1_3genE5ELNS1_11target_archE942ELNS1_3gpuE9ELNS1_3repE0EEENS1_36merge_oddeven_config_static_selectorELNS0_4arch9wavefront6targetE0EEEvSI_.private_seg_size, 0
	.set _ZN7rocprim17ROCPRIM_400000_NS6detail17trampoline_kernelINS0_14default_configENS1_38merge_sort_block_merge_config_selectorIiNS0_10empty_typeEEEZZNS1_27merge_sort_block_merge_implIS3_N6thrust23THRUST_200600_302600_NS10device_ptrIiEEPS5_jNS1_19radix_merge_compareILb0ELb0EiNS0_19identity_decomposerEEEEE10hipError_tT0_T1_T2_jT3_P12ihipStream_tbPNSt15iterator_traitsISH_E10value_typeEPNSN_ISI_E10value_typeEPSJ_NS1_7vsmem_tEENKUlT_SH_SI_SJ_E_clIPiSB_SC_SC_EESG_SW_SH_SI_SJ_EUlSW_E1_NS1_11comp_targetILNS1_3genE5ELNS1_11target_archE942ELNS1_3gpuE9ELNS1_3repE0EEENS1_36merge_oddeven_config_static_selectorELNS0_4arch9wavefront6targetE0EEEvSI_.uses_vcc, 0
	.set _ZN7rocprim17ROCPRIM_400000_NS6detail17trampoline_kernelINS0_14default_configENS1_38merge_sort_block_merge_config_selectorIiNS0_10empty_typeEEEZZNS1_27merge_sort_block_merge_implIS3_N6thrust23THRUST_200600_302600_NS10device_ptrIiEEPS5_jNS1_19radix_merge_compareILb0ELb0EiNS0_19identity_decomposerEEEEE10hipError_tT0_T1_T2_jT3_P12ihipStream_tbPNSt15iterator_traitsISH_E10value_typeEPNSN_ISI_E10value_typeEPSJ_NS1_7vsmem_tEENKUlT_SH_SI_SJ_E_clIPiSB_SC_SC_EESG_SW_SH_SI_SJ_EUlSW_E1_NS1_11comp_targetILNS1_3genE5ELNS1_11target_archE942ELNS1_3gpuE9ELNS1_3repE0EEENS1_36merge_oddeven_config_static_selectorELNS0_4arch9wavefront6targetE0EEEvSI_.uses_flat_scratch, 0
	.set _ZN7rocprim17ROCPRIM_400000_NS6detail17trampoline_kernelINS0_14default_configENS1_38merge_sort_block_merge_config_selectorIiNS0_10empty_typeEEEZZNS1_27merge_sort_block_merge_implIS3_N6thrust23THRUST_200600_302600_NS10device_ptrIiEEPS5_jNS1_19radix_merge_compareILb0ELb0EiNS0_19identity_decomposerEEEEE10hipError_tT0_T1_T2_jT3_P12ihipStream_tbPNSt15iterator_traitsISH_E10value_typeEPNSN_ISI_E10value_typeEPSJ_NS1_7vsmem_tEENKUlT_SH_SI_SJ_E_clIPiSB_SC_SC_EESG_SW_SH_SI_SJ_EUlSW_E1_NS1_11comp_targetILNS1_3genE5ELNS1_11target_archE942ELNS1_3gpuE9ELNS1_3repE0EEENS1_36merge_oddeven_config_static_selectorELNS0_4arch9wavefront6targetE0EEEvSI_.has_dyn_sized_stack, 0
	.set _ZN7rocprim17ROCPRIM_400000_NS6detail17trampoline_kernelINS0_14default_configENS1_38merge_sort_block_merge_config_selectorIiNS0_10empty_typeEEEZZNS1_27merge_sort_block_merge_implIS3_N6thrust23THRUST_200600_302600_NS10device_ptrIiEEPS5_jNS1_19radix_merge_compareILb0ELb0EiNS0_19identity_decomposerEEEEE10hipError_tT0_T1_T2_jT3_P12ihipStream_tbPNSt15iterator_traitsISH_E10value_typeEPNSN_ISI_E10value_typeEPSJ_NS1_7vsmem_tEENKUlT_SH_SI_SJ_E_clIPiSB_SC_SC_EESG_SW_SH_SI_SJ_EUlSW_E1_NS1_11comp_targetILNS1_3genE5ELNS1_11target_archE942ELNS1_3gpuE9ELNS1_3repE0EEENS1_36merge_oddeven_config_static_selectorELNS0_4arch9wavefront6targetE0EEEvSI_.has_recursion, 0
	.set _ZN7rocprim17ROCPRIM_400000_NS6detail17trampoline_kernelINS0_14default_configENS1_38merge_sort_block_merge_config_selectorIiNS0_10empty_typeEEEZZNS1_27merge_sort_block_merge_implIS3_N6thrust23THRUST_200600_302600_NS10device_ptrIiEEPS5_jNS1_19radix_merge_compareILb0ELb0EiNS0_19identity_decomposerEEEEE10hipError_tT0_T1_T2_jT3_P12ihipStream_tbPNSt15iterator_traitsISH_E10value_typeEPNSN_ISI_E10value_typeEPSJ_NS1_7vsmem_tEENKUlT_SH_SI_SJ_E_clIPiSB_SC_SC_EESG_SW_SH_SI_SJ_EUlSW_E1_NS1_11comp_targetILNS1_3genE5ELNS1_11target_archE942ELNS1_3gpuE9ELNS1_3repE0EEENS1_36merge_oddeven_config_static_selectorELNS0_4arch9wavefront6targetE0EEEvSI_.has_indirect_call, 0
	.section	.AMDGPU.csdata,"",@progbits
; Kernel info:
; codeLenInByte = 0
; TotalNumSgprs: 0
; NumVgprs: 0
; ScratchSize: 0
; MemoryBound: 0
; FloatMode: 240
; IeeeMode: 1
; LDSByteSize: 0 bytes/workgroup (compile time only)
; SGPRBlocks: 0
; VGPRBlocks: 0
; NumSGPRsForWavesPerEU: 1
; NumVGPRsForWavesPerEU: 1
; Occupancy: 16
; WaveLimiterHint : 0
; COMPUTE_PGM_RSRC2:SCRATCH_EN: 0
; COMPUTE_PGM_RSRC2:USER_SGPR: 6
; COMPUTE_PGM_RSRC2:TRAP_HANDLER: 0
; COMPUTE_PGM_RSRC2:TGID_X_EN: 1
; COMPUTE_PGM_RSRC2:TGID_Y_EN: 0
; COMPUTE_PGM_RSRC2:TGID_Z_EN: 0
; COMPUTE_PGM_RSRC2:TIDIG_COMP_CNT: 0
	.section	.text._ZN7rocprim17ROCPRIM_400000_NS6detail17trampoline_kernelINS0_14default_configENS1_38merge_sort_block_merge_config_selectorIiNS0_10empty_typeEEEZZNS1_27merge_sort_block_merge_implIS3_N6thrust23THRUST_200600_302600_NS10device_ptrIiEEPS5_jNS1_19radix_merge_compareILb0ELb0EiNS0_19identity_decomposerEEEEE10hipError_tT0_T1_T2_jT3_P12ihipStream_tbPNSt15iterator_traitsISH_E10value_typeEPNSN_ISI_E10value_typeEPSJ_NS1_7vsmem_tEENKUlT_SH_SI_SJ_E_clIPiSB_SC_SC_EESG_SW_SH_SI_SJ_EUlSW_E1_NS1_11comp_targetILNS1_3genE4ELNS1_11target_archE910ELNS1_3gpuE8ELNS1_3repE0EEENS1_36merge_oddeven_config_static_selectorELNS0_4arch9wavefront6targetE0EEEvSI_,"axG",@progbits,_ZN7rocprim17ROCPRIM_400000_NS6detail17trampoline_kernelINS0_14default_configENS1_38merge_sort_block_merge_config_selectorIiNS0_10empty_typeEEEZZNS1_27merge_sort_block_merge_implIS3_N6thrust23THRUST_200600_302600_NS10device_ptrIiEEPS5_jNS1_19radix_merge_compareILb0ELb0EiNS0_19identity_decomposerEEEEE10hipError_tT0_T1_T2_jT3_P12ihipStream_tbPNSt15iterator_traitsISH_E10value_typeEPNSN_ISI_E10value_typeEPSJ_NS1_7vsmem_tEENKUlT_SH_SI_SJ_E_clIPiSB_SC_SC_EESG_SW_SH_SI_SJ_EUlSW_E1_NS1_11comp_targetILNS1_3genE4ELNS1_11target_archE910ELNS1_3gpuE8ELNS1_3repE0EEENS1_36merge_oddeven_config_static_selectorELNS0_4arch9wavefront6targetE0EEEvSI_,comdat
	.protected	_ZN7rocprim17ROCPRIM_400000_NS6detail17trampoline_kernelINS0_14default_configENS1_38merge_sort_block_merge_config_selectorIiNS0_10empty_typeEEEZZNS1_27merge_sort_block_merge_implIS3_N6thrust23THRUST_200600_302600_NS10device_ptrIiEEPS5_jNS1_19radix_merge_compareILb0ELb0EiNS0_19identity_decomposerEEEEE10hipError_tT0_T1_T2_jT3_P12ihipStream_tbPNSt15iterator_traitsISH_E10value_typeEPNSN_ISI_E10value_typeEPSJ_NS1_7vsmem_tEENKUlT_SH_SI_SJ_E_clIPiSB_SC_SC_EESG_SW_SH_SI_SJ_EUlSW_E1_NS1_11comp_targetILNS1_3genE4ELNS1_11target_archE910ELNS1_3gpuE8ELNS1_3repE0EEENS1_36merge_oddeven_config_static_selectorELNS0_4arch9wavefront6targetE0EEEvSI_ ; -- Begin function _ZN7rocprim17ROCPRIM_400000_NS6detail17trampoline_kernelINS0_14default_configENS1_38merge_sort_block_merge_config_selectorIiNS0_10empty_typeEEEZZNS1_27merge_sort_block_merge_implIS3_N6thrust23THRUST_200600_302600_NS10device_ptrIiEEPS5_jNS1_19radix_merge_compareILb0ELb0EiNS0_19identity_decomposerEEEEE10hipError_tT0_T1_T2_jT3_P12ihipStream_tbPNSt15iterator_traitsISH_E10value_typeEPNSN_ISI_E10value_typeEPSJ_NS1_7vsmem_tEENKUlT_SH_SI_SJ_E_clIPiSB_SC_SC_EESG_SW_SH_SI_SJ_EUlSW_E1_NS1_11comp_targetILNS1_3genE4ELNS1_11target_archE910ELNS1_3gpuE8ELNS1_3repE0EEENS1_36merge_oddeven_config_static_selectorELNS0_4arch9wavefront6targetE0EEEvSI_
	.globl	_ZN7rocprim17ROCPRIM_400000_NS6detail17trampoline_kernelINS0_14default_configENS1_38merge_sort_block_merge_config_selectorIiNS0_10empty_typeEEEZZNS1_27merge_sort_block_merge_implIS3_N6thrust23THRUST_200600_302600_NS10device_ptrIiEEPS5_jNS1_19radix_merge_compareILb0ELb0EiNS0_19identity_decomposerEEEEE10hipError_tT0_T1_T2_jT3_P12ihipStream_tbPNSt15iterator_traitsISH_E10value_typeEPNSN_ISI_E10value_typeEPSJ_NS1_7vsmem_tEENKUlT_SH_SI_SJ_E_clIPiSB_SC_SC_EESG_SW_SH_SI_SJ_EUlSW_E1_NS1_11comp_targetILNS1_3genE4ELNS1_11target_archE910ELNS1_3gpuE8ELNS1_3repE0EEENS1_36merge_oddeven_config_static_selectorELNS0_4arch9wavefront6targetE0EEEvSI_
	.p2align	8
	.type	_ZN7rocprim17ROCPRIM_400000_NS6detail17trampoline_kernelINS0_14default_configENS1_38merge_sort_block_merge_config_selectorIiNS0_10empty_typeEEEZZNS1_27merge_sort_block_merge_implIS3_N6thrust23THRUST_200600_302600_NS10device_ptrIiEEPS5_jNS1_19radix_merge_compareILb0ELb0EiNS0_19identity_decomposerEEEEE10hipError_tT0_T1_T2_jT3_P12ihipStream_tbPNSt15iterator_traitsISH_E10value_typeEPNSN_ISI_E10value_typeEPSJ_NS1_7vsmem_tEENKUlT_SH_SI_SJ_E_clIPiSB_SC_SC_EESG_SW_SH_SI_SJ_EUlSW_E1_NS1_11comp_targetILNS1_3genE4ELNS1_11target_archE910ELNS1_3gpuE8ELNS1_3repE0EEENS1_36merge_oddeven_config_static_selectorELNS0_4arch9wavefront6targetE0EEEvSI_,@function
_ZN7rocprim17ROCPRIM_400000_NS6detail17trampoline_kernelINS0_14default_configENS1_38merge_sort_block_merge_config_selectorIiNS0_10empty_typeEEEZZNS1_27merge_sort_block_merge_implIS3_N6thrust23THRUST_200600_302600_NS10device_ptrIiEEPS5_jNS1_19radix_merge_compareILb0ELb0EiNS0_19identity_decomposerEEEEE10hipError_tT0_T1_T2_jT3_P12ihipStream_tbPNSt15iterator_traitsISH_E10value_typeEPNSN_ISI_E10value_typeEPSJ_NS1_7vsmem_tEENKUlT_SH_SI_SJ_E_clIPiSB_SC_SC_EESG_SW_SH_SI_SJ_EUlSW_E1_NS1_11comp_targetILNS1_3genE4ELNS1_11target_archE910ELNS1_3gpuE8ELNS1_3repE0EEENS1_36merge_oddeven_config_static_selectorELNS0_4arch9wavefront6targetE0EEEvSI_: ; @_ZN7rocprim17ROCPRIM_400000_NS6detail17trampoline_kernelINS0_14default_configENS1_38merge_sort_block_merge_config_selectorIiNS0_10empty_typeEEEZZNS1_27merge_sort_block_merge_implIS3_N6thrust23THRUST_200600_302600_NS10device_ptrIiEEPS5_jNS1_19radix_merge_compareILb0ELb0EiNS0_19identity_decomposerEEEEE10hipError_tT0_T1_T2_jT3_P12ihipStream_tbPNSt15iterator_traitsISH_E10value_typeEPNSN_ISI_E10value_typeEPSJ_NS1_7vsmem_tEENKUlT_SH_SI_SJ_E_clIPiSB_SC_SC_EESG_SW_SH_SI_SJ_EUlSW_E1_NS1_11comp_targetILNS1_3genE4ELNS1_11target_archE910ELNS1_3gpuE8ELNS1_3repE0EEENS1_36merge_oddeven_config_static_selectorELNS0_4arch9wavefront6targetE0EEEvSI_
; %bb.0:
	.section	.rodata,"a",@progbits
	.p2align	6, 0x0
	.amdhsa_kernel _ZN7rocprim17ROCPRIM_400000_NS6detail17trampoline_kernelINS0_14default_configENS1_38merge_sort_block_merge_config_selectorIiNS0_10empty_typeEEEZZNS1_27merge_sort_block_merge_implIS3_N6thrust23THRUST_200600_302600_NS10device_ptrIiEEPS5_jNS1_19radix_merge_compareILb0ELb0EiNS0_19identity_decomposerEEEEE10hipError_tT0_T1_T2_jT3_P12ihipStream_tbPNSt15iterator_traitsISH_E10value_typeEPNSN_ISI_E10value_typeEPSJ_NS1_7vsmem_tEENKUlT_SH_SI_SJ_E_clIPiSB_SC_SC_EESG_SW_SH_SI_SJ_EUlSW_E1_NS1_11comp_targetILNS1_3genE4ELNS1_11target_archE910ELNS1_3gpuE8ELNS1_3repE0EEENS1_36merge_oddeven_config_static_selectorELNS0_4arch9wavefront6targetE0EEEvSI_
		.amdhsa_group_segment_fixed_size 0
		.amdhsa_private_segment_fixed_size 0
		.amdhsa_kernarg_size 48
		.amdhsa_user_sgpr_count 6
		.amdhsa_user_sgpr_private_segment_buffer 1
		.amdhsa_user_sgpr_dispatch_ptr 0
		.amdhsa_user_sgpr_queue_ptr 0
		.amdhsa_user_sgpr_kernarg_segment_ptr 1
		.amdhsa_user_sgpr_dispatch_id 0
		.amdhsa_user_sgpr_flat_scratch_init 0
		.amdhsa_user_sgpr_private_segment_size 0
		.amdhsa_wavefront_size32 1
		.amdhsa_uses_dynamic_stack 0
		.amdhsa_system_sgpr_private_segment_wavefront_offset 0
		.amdhsa_system_sgpr_workgroup_id_x 1
		.amdhsa_system_sgpr_workgroup_id_y 0
		.amdhsa_system_sgpr_workgroup_id_z 0
		.amdhsa_system_sgpr_workgroup_info 0
		.amdhsa_system_vgpr_workitem_id 0
		.amdhsa_next_free_vgpr 1
		.amdhsa_next_free_sgpr 1
		.amdhsa_reserve_vcc 0
		.amdhsa_reserve_flat_scratch 0
		.amdhsa_float_round_mode_32 0
		.amdhsa_float_round_mode_16_64 0
		.amdhsa_float_denorm_mode_32 3
		.amdhsa_float_denorm_mode_16_64 3
		.amdhsa_dx10_clamp 1
		.amdhsa_ieee_mode 1
		.amdhsa_fp16_overflow 0
		.amdhsa_workgroup_processor_mode 1
		.amdhsa_memory_ordered 1
		.amdhsa_forward_progress 1
		.amdhsa_shared_vgpr_count 0
		.amdhsa_exception_fp_ieee_invalid_op 0
		.amdhsa_exception_fp_denorm_src 0
		.amdhsa_exception_fp_ieee_div_zero 0
		.amdhsa_exception_fp_ieee_overflow 0
		.amdhsa_exception_fp_ieee_underflow 0
		.amdhsa_exception_fp_ieee_inexact 0
		.amdhsa_exception_int_div_zero 0
	.end_amdhsa_kernel
	.section	.text._ZN7rocprim17ROCPRIM_400000_NS6detail17trampoline_kernelINS0_14default_configENS1_38merge_sort_block_merge_config_selectorIiNS0_10empty_typeEEEZZNS1_27merge_sort_block_merge_implIS3_N6thrust23THRUST_200600_302600_NS10device_ptrIiEEPS5_jNS1_19radix_merge_compareILb0ELb0EiNS0_19identity_decomposerEEEEE10hipError_tT0_T1_T2_jT3_P12ihipStream_tbPNSt15iterator_traitsISH_E10value_typeEPNSN_ISI_E10value_typeEPSJ_NS1_7vsmem_tEENKUlT_SH_SI_SJ_E_clIPiSB_SC_SC_EESG_SW_SH_SI_SJ_EUlSW_E1_NS1_11comp_targetILNS1_3genE4ELNS1_11target_archE910ELNS1_3gpuE8ELNS1_3repE0EEENS1_36merge_oddeven_config_static_selectorELNS0_4arch9wavefront6targetE0EEEvSI_,"axG",@progbits,_ZN7rocprim17ROCPRIM_400000_NS6detail17trampoline_kernelINS0_14default_configENS1_38merge_sort_block_merge_config_selectorIiNS0_10empty_typeEEEZZNS1_27merge_sort_block_merge_implIS3_N6thrust23THRUST_200600_302600_NS10device_ptrIiEEPS5_jNS1_19radix_merge_compareILb0ELb0EiNS0_19identity_decomposerEEEEE10hipError_tT0_T1_T2_jT3_P12ihipStream_tbPNSt15iterator_traitsISH_E10value_typeEPNSN_ISI_E10value_typeEPSJ_NS1_7vsmem_tEENKUlT_SH_SI_SJ_E_clIPiSB_SC_SC_EESG_SW_SH_SI_SJ_EUlSW_E1_NS1_11comp_targetILNS1_3genE4ELNS1_11target_archE910ELNS1_3gpuE8ELNS1_3repE0EEENS1_36merge_oddeven_config_static_selectorELNS0_4arch9wavefront6targetE0EEEvSI_,comdat
.Lfunc_end1131:
	.size	_ZN7rocprim17ROCPRIM_400000_NS6detail17trampoline_kernelINS0_14default_configENS1_38merge_sort_block_merge_config_selectorIiNS0_10empty_typeEEEZZNS1_27merge_sort_block_merge_implIS3_N6thrust23THRUST_200600_302600_NS10device_ptrIiEEPS5_jNS1_19radix_merge_compareILb0ELb0EiNS0_19identity_decomposerEEEEE10hipError_tT0_T1_T2_jT3_P12ihipStream_tbPNSt15iterator_traitsISH_E10value_typeEPNSN_ISI_E10value_typeEPSJ_NS1_7vsmem_tEENKUlT_SH_SI_SJ_E_clIPiSB_SC_SC_EESG_SW_SH_SI_SJ_EUlSW_E1_NS1_11comp_targetILNS1_3genE4ELNS1_11target_archE910ELNS1_3gpuE8ELNS1_3repE0EEENS1_36merge_oddeven_config_static_selectorELNS0_4arch9wavefront6targetE0EEEvSI_, .Lfunc_end1131-_ZN7rocprim17ROCPRIM_400000_NS6detail17trampoline_kernelINS0_14default_configENS1_38merge_sort_block_merge_config_selectorIiNS0_10empty_typeEEEZZNS1_27merge_sort_block_merge_implIS3_N6thrust23THRUST_200600_302600_NS10device_ptrIiEEPS5_jNS1_19radix_merge_compareILb0ELb0EiNS0_19identity_decomposerEEEEE10hipError_tT0_T1_T2_jT3_P12ihipStream_tbPNSt15iterator_traitsISH_E10value_typeEPNSN_ISI_E10value_typeEPSJ_NS1_7vsmem_tEENKUlT_SH_SI_SJ_E_clIPiSB_SC_SC_EESG_SW_SH_SI_SJ_EUlSW_E1_NS1_11comp_targetILNS1_3genE4ELNS1_11target_archE910ELNS1_3gpuE8ELNS1_3repE0EEENS1_36merge_oddeven_config_static_selectorELNS0_4arch9wavefront6targetE0EEEvSI_
                                        ; -- End function
	.set _ZN7rocprim17ROCPRIM_400000_NS6detail17trampoline_kernelINS0_14default_configENS1_38merge_sort_block_merge_config_selectorIiNS0_10empty_typeEEEZZNS1_27merge_sort_block_merge_implIS3_N6thrust23THRUST_200600_302600_NS10device_ptrIiEEPS5_jNS1_19radix_merge_compareILb0ELb0EiNS0_19identity_decomposerEEEEE10hipError_tT0_T1_T2_jT3_P12ihipStream_tbPNSt15iterator_traitsISH_E10value_typeEPNSN_ISI_E10value_typeEPSJ_NS1_7vsmem_tEENKUlT_SH_SI_SJ_E_clIPiSB_SC_SC_EESG_SW_SH_SI_SJ_EUlSW_E1_NS1_11comp_targetILNS1_3genE4ELNS1_11target_archE910ELNS1_3gpuE8ELNS1_3repE0EEENS1_36merge_oddeven_config_static_selectorELNS0_4arch9wavefront6targetE0EEEvSI_.num_vgpr, 0
	.set _ZN7rocprim17ROCPRIM_400000_NS6detail17trampoline_kernelINS0_14default_configENS1_38merge_sort_block_merge_config_selectorIiNS0_10empty_typeEEEZZNS1_27merge_sort_block_merge_implIS3_N6thrust23THRUST_200600_302600_NS10device_ptrIiEEPS5_jNS1_19radix_merge_compareILb0ELb0EiNS0_19identity_decomposerEEEEE10hipError_tT0_T1_T2_jT3_P12ihipStream_tbPNSt15iterator_traitsISH_E10value_typeEPNSN_ISI_E10value_typeEPSJ_NS1_7vsmem_tEENKUlT_SH_SI_SJ_E_clIPiSB_SC_SC_EESG_SW_SH_SI_SJ_EUlSW_E1_NS1_11comp_targetILNS1_3genE4ELNS1_11target_archE910ELNS1_3gpuE8ELNS1_3repE0EEENS1_36merge_oddeven_config_static_selectorELNS0_4arch9wavefront6targetE0EEEvSI_.num_agpr, 0
	.set _ZN7rocprim17ROCPRIM_400000_NS6detail17trampoline_kernelINS0_14default_configENS1_38merge_sort_block_merge_config_selectorIiNS0_10empty_typeEEEZZNS1_27merge_sort_block_merge_implIS3_N6thrust23THRUST_200600_302600_NS10device_ptrIiEEPS5_jNS1_19radix_merge_compareILb0ELb0EiNS0_19identity_decomposerEEEEE10hipError_tT0_T1_T2_jT3_P12ihipStream_tbPNSt15iterator_traitsISH_E10value_typeEPNSN_ISI_E10value_typeEPSJ_NS1_7vsmem_tEENKUlT_SH_SI_SJ_E_clIPiSB_SC_SC_EESG_SW_SH_SI_SJ_EUlSW_E1_NS1_11comp_targetILNS1_3genE4ELNS1_11target_archE910ELNS1_3gpuE8ELNS1_3repE0EEENS1_36merge_oddeven_config_static_selectorELNS0_4arch9wavefront6targetE0EEEvSI_.numbered_sgpr, 0
	.set _ZN7rocprim17ROCPRIM_400000_NS6detail17trampoline_kernelINS0_14default_configENS1_38merge_sort_block_merge_config_selectorIiNS0_10empty_typeEEEZZNS1_27merge_sort_block_merge_implIS3_N6thrust23THRUST_200600_302600_NS10device_ptrIiEEPS5_jNS1_19radix_merge_compareILb0ELb0EiNS0_19identity_decomposerEEEEE10hipError_tT0_T1_T2_jT3_P12ihipStream_tbPNSt15iterator_traitsISH_E10value_typeEPNSN_ISI_E10value_typeEPSJ_NS1_7vsmem_tEENKUlT_SH_SI_SJ_E_clIPiSB_SC_SC_EESG_SW_SH_SI_SJ_EUlSW_E1_NS1_11comp_targetILNS1_3genE4ELNS1_11target_archE910ELNS1_3gpuE8ELNS1_3repE0EEENS1_36merge_oddeven_config_static_selectorELNS0_4arch9wavefront6targetE0EEEvSI_.num_named_barrier, 0
	.set _ZN7rocprim17ROCPRIM_400000_NS6detail17trampoline_kernelINS0_14default_configENS1_38merge_sort_block_merge_config_selectorIiNS0_10empty_typeEEEZZNS1_27merge_sort_block_merge_implIS3_N6thrust23THRUST_200600_302600_NS10device_ptrIiEEPS5_jNS1_19radix_merge_compareILb0ELb0EiNS0_19identity_decomposerEEEEE10hipError_tT0_T1_T2_jT3_P12ihipStream_tbPNSt15iterator_traitsISH_E10value_typeEPNSN_ISI_E10value_typeEPSJ_NS1_7vsmem_tEENKUlT_SH_SI_SJ_E_clIPiSB_SC_SC_EESG_SW_SH_SI_SJ_EUlSW_E1_NS1_11comp_targetILNS1_3genE4ELNS1_11target_archE910ELNS1_3gpuE8ELNS1_3repE0EEENS1_36merge_oddeven_config_static_selectorELNS0_4arch9wavefront6targetE0EEEvSI_.private_seg_size, 0
	.set _ZN7rocprim17ROCPRIM_400000_NS6detail17trampoline_kernelINS0_14default_configENS1_38merge_sort_block_merge_config_selectorIiNS0_10empty_typeEEEZZNS1_27merge_sort_block_merge_implIS3_N6thrust23THRUST_200600_302600_NS10device_ptrIiEEPS5_jNS1_19radix_merge_compareILb0ELb0EiNS0_19identity_decomposerEEEEE10hipError_tT0_T1_T2_jT3_P12ihipStream_tbPNSt15iterator_traitsISH_E10value_typeEPNSN_ISI_E10value_typeEPSJ_NS1_7vsmem_tEENKUlT_SH_SI_SJ_E_clIPiSB_SC_SC_EESG_SW_SH_SI_SJ_EUlSW_E1_NS1_11comp_targetILNS1_3genE4ELNS1_11target_archE910ELNS1_3gpuE8ELNS1_3repE0EEENS1_36merge_oddeven_config_static_selectorELNS0_4arch9wavefront6targetE0EEEvSI_.uses_vcc, 0
	.set _ZN7rocprim17ROCPRIM_400000_NS6detail17trampoline_kernelINS0_14default_configENS1_38merge_sort_block_merge_config_selectorIiNS0_10empty_typeEEEZZNS1_27merge_sort_block_merge_implIS3_N6thrust23THRUST_200600_302600_NS10device_ptrIiEEPS5_jNS1_19radix_merge_compareILb0ELb0EiNS0_19identity_decomposerEEEEE10hipError_tT0_T1_T2_jT3_P12ihipStream_tbPNSt15iterator_traitsISH_E10value_typeEPNSN_ISI_E10value_typeEPSJ_NS1_7vsmem_tEENKUlT_SH_SI_SJ_E_clIPiSB_SC_SC_EESG_SW_SH_SI_SJ_EUlSW_E1_NS1_11comp_targetILNS1_3genE4ELNS1_11target_archE910ELNS1_3gpuE8ELNS1_3repE0EEENS1_36merge_oddeven_config_static_selectorELNS0_4arch9wavefront6targetE0EEEvSI_.uses_flat_scratch, 0
	.set _ZN7rocprim17ROCPRIM_400000_NS6detail17trampoline_kernelINS0_14default_configENS1_38merge_sort_block_merge_config_selectorIiNS0_10empty_typeEEEZZNS1_27merge_sort_block_merge_implIS3_N6thrust23THRUST_200600_302600_NS10device_ptrIiEEPS5_jNS1_19radix_merge_compareILb0ELb0EiNS0_19identity_decomposerEEEEE10hipError_tT0_T1_T2_jT3_P12ihipStream_tbPNSt15iterator_traitsISH_E10value_typeEPNSN_ISI_E10value_typeEPSJ_NS1_7vsmem_tEENKUlT_SH_SI_SJ_E_clIPiSB_SC_SC_EESG_SW_SH_SI_SJ_EUlSW_E1_NS1_11comp_targetILNS1_3genE4ELNS1_11target_archE910ELNS1_3gpuE8ELNS1_3repE0EEENS1_36merge_oddeven_config_static_selectorELNS0_4arch9wavefront6targetE0EEEvSI_.has_dyn_sized_stack, 0
	.set _ZN7rocprim17ROCPRIM_400000_NS6detail17trampoline_kernelINS0_14default_configENS1_38merge_sort_block_merge_config_selectorIiNS0_10empty_typeEEEZZNS1_27merge_sort_block_merge_implIS3_N6thrust23THRUST_200600_302600_NS10device_ptrIiEEPS5_jNS1_19radix_merge_compareILb0ELb0EiNS0_19identity_decomposerEEEEE10hipError_tT0_T1_T2_jT3_P12ihipStream_tbPNSt15iterator_traitsISH_E10value_typeEPNSN_ISI_E10value_typeEPSJ_NS1_7vsmem_tEENKUlT_SH_SI_SJ_E_clIPiSB_SC_SC_EESG_SW_SH_SI_SJ_EUlSW_E1_NS1_11comp_targetILNS1_3genE4ELNS1_11target_archE910ELNS1_3gpuE8ELNS1_3repE0EEENS1_36merge_oddeven_config_static_selectorELNS0_4arch9wavefront6targetE0EEEvSI_.has_recursion, 0
	.set _ZN7rocprim17ROCPRIM_400000_NS6detail17trampoline_kernelINS0_14default_configENS1_38merge_sort_block_merge_config_selectorIiNS0_10empty_typeEEEZZNS1_27merge_sort_block_merge_implIS3_N6thrust23THRUST_200600_302600_NS10device_ptrIiEEPS5_jNS1_19radix_merge_compareILb0ELb0EiNS0_19identity_decomposerEEEEE10hipError_tT0_T1_T2_jT3_P12ihipStream_tbPNSt15iterator_traitsISH_E10value_typeEPNSN_ISI_E10value_typeEPSJ_NS1_7vsmem_tEENKUlT_SH_SI_SJ_E_clIPiSB_SC_SC_EESG_SW_SH_SI_SJ_EUlSW_E1_NS1_11comp_targetILNS1_3genE4ELNS1_11target_archE910ELNS1_3gpuE8ELNS1_3repE0EEENS1_36merge_oddeven_config_static_selectorELNS0_4arch9wavefront6targetE0EEEvSI_.has_indirect_call, 0
	.section	.AMDGPU.csdata,"",@progbits
; Kernel info:
; codeLenInByte = 0
; TotalNumSgprs: 0
; NumVgprs: 0
; ScratchSize: 0
; MemoryBound: 0
; FloatMode: 240
; IeeeMode: 1
; LDSByteSize: 0 bytes/workgroup (compile time only)
; SGPRBlocks: 0
; VGPRBlocks: 0
; NumSGPRsForWavesPerEU: 1
; NumVGPRsForWavesPerEU: 1
; Occupancy: 16
; WaveLimiterHint : 0
; COMPUTE_PGM_RSRC2:SCRATCH_EN: 0
; COMPUTE_PGM_RSRC2:USER_SGPR: 6
; COMPUTE_PGM_RSRC2:TRAP_HANDLER: 0
; COMPUTE_PGM_RSRC2:TGID_X_EN: 1
; COMPUTE_PGM_RSRC2:TGID_Y_EN: 0
; COMPUTE_PGM_RSRC2:TGID_Z_EN: 0
; COMPUTE_PGM_RSRC2:TIDIG_COMP_CNT: 0
	.section	.text._ZN7rocprim17ROCPRIM_400000_NS6detail17trampoline_kernelINS0_14default_configENS1_38merge_sort_block_merge_config_selectorIiNS0_10empty_typeEEEZZNS1_27merge_sort_block_merge_implIS3_N6thrust23THRUST_200600_302600_NS10device_ptrIiEEPS5_jNS1_19radix_merge_compareILb0ELb0EiNS0_19identity_decomposerEEEEE10hipError_tT0_T1_T2_jT3_P12ihipStream_tbPNSt15iterator_traitsISH_E10value_typeEPNSN_ISI_E10value_typeEPSJ_NS1_7vsmem_tEENKUlT_SH_SI_SJ_E_clIPiSB_SC_SC_EESG_SW_SH_SI_SJ_EUlSW_E1_NS1_11comp_targetILNS1_3genE3ELNS1_11target_archE908ELNS1_3gpuE7ELNS1_3repE0EEENS1_36merge_oddeven_config_static_selectorELNS0_4arch9wavefront6targetE0EEEvSI_,"axG",@progbits,_ZN7rocprim17ROCPRIM_400000_NS6detail17trampoline_kernelINS0_14default_configENS1_38merge_sort_block_merge_config_selectorIiNS0_10empty_typeEEEZZNS1_27merge_sort_block_merge_implIS3_N6thrust23THRUST_200600_302600_NS10device_ptrIiEEPS5_jNS1_19radix_merge_compareILb0ELb0EiNS0_19identity_decomposerEEEEE10hipError_tT0_T1_T2_jT3_P12ihipStream_tbPNSt15iterator_traitsISH_E10value_typeEPNSN_ISI_E10value_typeEPSJ_NS1_7vsmem_tEENKUlT_SH_SI_SJ_E_clIPiSB_SC_SC_EESG_SW_SH_SI_SJ_EUlSW_E1_NS1_11comp_targetILNS1_3genE3ELNS1_11target_archE908ELNS1_3gpuE7ELNS1_3repE0EEENS1_36merge_oddeven_config_static_selectorELNS0_4arch9wavefront6targetE0EEEvSI_,comdat
	.protected	_ZN7rocprim17ROCPRIM_400000_NS6detail17trampoline_kernelINS0_14default_configENS1_38merge_sort_block_merge_config_selectorIiNS0_10empty_typeEEEZZNS1_27merge_sort_block_merge_implIS3_N6thrust23THRUST_200600_302600_NS10device_ptrIiEEPS5_jNS1_19radix_merge_compareILb0ELb0EiNS0_19identity_decomposerEEEEE10hipError_tT0_T1_T2_jT3_P12ihipStream_tbPNSt15iterator_traitsISH_E10value_typeEPNSN_ISI_E10value_typeEPSJ_NS1_7vsmem_tEENKUlT_SH_SI_SJ_E_clIPiSB_SC_SC_EESG_SW_SH_SI_SJ_EUlSW_E1_NS1_11comp_targetILNS1_3genE3ELNS1_11target_archE908ELNS1_3gpuE7ELNS1_3repE0EEENS1_36merge_oddeven_config_static_selectorELNS0_4arch9wavefront6targetE0EEEvSI_ ; -- Begin function _ZN7rocprim17ROCPRIM_400000_NS6detail17trampoline_kernelINS0_14default_configENS1_38merge_sort_block_merge_config_selectorIiNS0_10empty_typeEEEZZNS1_27merge_sort_block_merge_implIS3_N6thrust23THRUST_200600_302600_NS10device_ptrIiEEPS5_jNS1_19radix_merge_compareILb0ELb0EiNS0_19identity_decomposerEEEEE10hipError_tT0_T1_T2_jT3_P12ihipStream_tbPNSt15iterator_traitsISH_E10value_typeEPNSN_ISI_E10value_typeEPSJ_NS1_7vsmem_tEENKUlT_SH_SI_SJ_E_clIPiSB_SC_SC_EESG_SW_SH_SI_SJ_EUlSW_E1_NS1_11comp_targetILNS1_3genE3ELNS1_11target_archE908ELNS1_3gpuE7ELNS1_3repE0EEENS1_36merge_oddeven_config_static_selectorELNS0_4arch9wavefront6targetE0EEEvSI_
	.globl	_ZN7rocprim17ROCPRIM_400000_NS6detail17trampoline_kernelINS0_14default_configENS1_38merge_sort_block_merge_config_selectorIiNS0_10empty_typeEEEZZNS1_27merge_sort_block_merge_implIS3_N6thrust23THRUST_200600_302600_NS10device_ptrIiEEPS5_jNS1_19radix_merge_compareILb0ELb0EiNS0_19identity_decomposerEEEEE10hipError_tT0_T1_T2_jT3_P12ihipStream_tbPNSt15iterator_traitsISH_E10value_typeEPNSN_ISI_E10value_typeEPSJ_NS1_7vsmem_tEENKUlT_SH_SI_SJ_E_clIPiSB_SC_SC_EESG_SW_SH_SI_SJ_EUlSW_E1_NS1_11comp_targetILNS1_3genE3ELNS1_11target_archE908ELNS1_3gpuE7ELNS1_3repE0EEENS1_36merge_oddeven_config_static_selectorELNS0_4arch9wavefront6targetE0EEEvSI_
	.p2align	8
	.type	_ZN7rocprim17ROCPRIM_400000_NS6detail17trampoline_kernelINS0_14default_configENS1_38merge_sort_block_merge_config_selectorIiNS0_10empty_typeEEEZZNS1_27merge_sort_block_merge_implIS3_N6thrust23THRUST_200600_302600_NS10device_ptrIiEEPS5_jNS1_19radix_merge_compareILb0ELb0EiNS0_19identity_decomposerEEEEE10hipError_tT0_T1_T2_jT3_P12ihipStream_tbPNSt15iterator_traitsISH_E10value_typeEPNSN_ISI_E10value_typeEPSJ_NS1_7vsmem_tEENKUlT_SH_SI_SJ_E_clIPiSB_SC_SC_EESG_SW_SH_SI_SJ_EUlSW_E1_NS1_11comp_targetILNS1_3genE3ELNS1_11target_archE908ELNS1_3gpuE7ELNS1_3repE0EEENS1_36merge_oddeven_config_static_selectorELNS0_4arch9wavefront6targetE0EEEvSI_,@function
_ZN7rocprim17ROCPRIM_400000_NS6detail17trampoline_kernelINS0_14default_configENS1_38merge_sort_block_merge_config_selectorIiNS0_10empty_typeEEEZZNS1_27merge_sort_block_merge_implIS3_N6thrust23THRUST_200600_302600_NS10device_ptrIiEEPS5_jNS1_19radix_merge_compareILb0ELb0EiNS0_19identity_decomposerEEEEE10hipError_tT0_T1_T2_jT3_P12ihipStream_tbPNSt15iterator_traitsISH_E10value_typeEPNSN_ISI_E10value_typeEPSJ_NS1_7vsmem_tEENKUlT_SH_SI_SJ_E_clIPiSB_SC_SC_EESG_SW_SH_SI_SJ_EUlSW_E1_NS1_11comp_targetILNS1_3genE3ELNS1_11target_archE908ELNS1_3gpuE7ELNS1_3repE0EEENS1_36merge_oddeven_config_static_selectorELNS0_4arch9wavefront6targetE0EEEvSI_: ; @_ZN7rocprim17ROCPRIM_400000_NS6detail17trampoline_kernelINS0_14default_configENS1_38merge_sort_block_merge_config_selectorIiNS0_10empty_typeEEEZZNS1_27merge_sort_block_merge_implIS3_N6thrust23THRUST_200600_302600_NS10device_ptrIiEEPS5_jNS1_19radix_merge_compareILb0ELb0EiNS0_19identity_decomposerEEEEE10hipError_tT0_T1_T2_jT3_P12ihipStream_tbPNSt15iterator_traitsISH_E10value_typeEPNSN_ISI_E10value_typeEPSJ_NS1_7vsmem_tEENKUlT_SH_SI_SJ_E_clIPiSB_SC_SC_EESG_SW_SH_SI_SJ_EUlSW_E1_NS1_11comp_targetILNS1_3genE3ELNS1_11target_archE908ELNS1_3gpuE7ELNS1_3repE0EEENS1_36merge_oddeven_config_static_selectorELNS0_4arch9wavefront6targetE0EEEvSI_
; %bb.0:
	.section	.rodata,"a",@progbits
	.p2align	6, 0x0
	.amdhsa_kernel _ZN7rocprim17ROCPRIM_400000_NS6detail17trampoline_kernelINS0_14default_configENS1_38merge_sort_block_merge_config_selectorIiNS0_10empty_typeEEEZZNS1_27merge_sort_block_merge_implIS3_N6thrust23THRUST_200600_302600_NS10device_ptrIiEEPS5_jNS1_19radix_merge_compareILb0ELb0EiNS0_19identity_decomposerEEEEE10hipError_tT0_T1_T2_jT3_P12ihipStream_tbPNSt15iterator_traitsISH_E10value_typeEPNSN_ISI_E10value_typeEPSJ_NS1_7vsmem_tEENKUlT_SH_SI_SJ_E_clIPiSB_SC_SC_EESG_SW_SH_SI_SJ_EUlSW_E1_NS1_11comp_targetILNS1_3genE3ELNS1_11target_archE908ELNS1_3gpuE7ELNS1_3repE0EEENS1_36merge_oddeven_config_static_selectorELNS0_4arch9wavefront6targetE0EEEvSI_
		.amdhsa_group_segment_fixed_size 0
		.amdhsa_private_segment_fixed_size 0
		.amdhsa_kernarg_size 48
		.amdhsa_user_sgpr_count 6
		.amdhsa_user_sgpr_private_segment_buffer 1
		.amdhsa_user_sgpr_dispatch_ptr 0
		.amdhsa_user_sgpr_queue_ptr 0
		.amdhsa_user_sgpr_kernarg_segment_ptr 1
		.amdhsa_user_sgpr_dispatch_id 0
		.amdhsa_user_sgpr_flat_scratch_init 0
		.amdhsa_user_sgpr_private_segment_size 0
		.amdhsa_wavefront_size32 1
		.amdhsa_uses_dynamic_stack 0
		.amdhsa_system_sgpr_private_segment_wavefront_offset 0
		.amdhsa_system_sgpr_workgroup_id_x 1
		.amdhsa_system_sgpr_workgroup_id_y 0
		.amdhsa_system_sgpr_workgroup_id_z 0
		.amdhsa_system_sgpr_workgroup_info 0
		.amdhsa_system_vgpr_workitem_id 0
		.amdhsa_next_free_vgpr 1
		.amdhsa_next_free_sgpr 1
		.amdhsa_reserve_vcc 0
		.amdhsa_reserve_flat_scratch 0
		.amdhsa_float_round_mode_32 0
		.amdhsa_float_round_mode_16_64 0
		.amdhsa_float_denorm_mode_32 3
		.amdhsa_float_denorm_mode_16_64 3
		.amdhsa_dx10_clamp 1
		.amdhsa_ieee_mode 1
		.amdhsa_fp16_overflow 0
		.amdhsa_workgroup_processor_mode 1
		.amdhsa_memory_ordered 1
		.amdhsa_forward_progress 1
		.amdhsa_shared_vgpr_count 0
		.amdhsa_exception_fp_ieee_invalid_op 0
		.amdhsa_exception_fp_denorm_src 0
		.amdhsa_exception_fp_ieee_div_zero 0
		.amdhsa_exception_fp_ieee_overflow 0
		.amdhsa_exception_fp_ieee_underflow 0
		.amdhsa_exception_fp_ieee_inexact 0
		.amdhsa_exception_int_div_zero 0
	.end_amdhsa_kernel
	.section	.text._ZN7rocprim17ROCPRIM_400000_NS6detail17trampoline_kernelINS0_14default_configENS1_38merge_sort_block_merge_config_selectorIiNS0_10empty_typeEEEZZNS1_27merge_sort_block_merge_implIS3_N6thrust23THRUST_200600_302600_NS10device_ptrIiEEPS5_jNS1_19radix_merge_compareILb0ELb0EiNS0_19identity_decomposerEEEEE10hipError_tT0_T1_T2_jT3_P12ihipStream_tbPNSt15iterator_traitsISH_E10value_typeEPNSN_ISI_E10value_typeEPSJ_NS1_7vsmem_tEENKUlT_SH_SI_SJ_E_clIPiSB_SC_SC_EESG_SW_SH_SI_SJ_EUlSW_E1_NS1_11comp_targetILNS1_3genE3ELNS1_11target_archE908ELNS1_3gpuE7ELNS1_3repE0EEENS1_36merge_oddeven_config_static_selectorELNS0_4arch9wavefront6targetE0EEEvSI_,"axG",@progbits,_ZN7rocprim17ROCPRIM_400000_NS6detail17trampoline_kernelINS0_14default_configENS1_38merge_sort_block_merge_config_selectorIiNS0_10empty_typeEEEZZNS1_27merge_sort_block_merge_implIS3_N6thrust23THRUST_200600_302600_NS10device_ptrIiEEPS5_jNS1_19radix_merge_compareILb0ELb0EiNS0_19identity_decomposerEEEEE10hipError_tT0_T1_T2_jT3_P12ihipStream_tbPNSt15iterator_traitsISH_E10value_typeEPNSN_ISI_E10value_typeEPSJ_NS1_7vsmem_tEENKUlT_SH_SI_SJ_E_clIPiSB_SC_SC_EESG_SW_SH_SI_SJ_EUlSW_E1_NS1_11comp_targetILNS1_3genE3ELNS1_11target_archE908ELNS1_3gpuE7ELNS1_3repE0EEENS1_36merge_oddeven_config_static_selectorELNS0_4arch9wavefront6targetE0EEEvSI_,comdat
.Lfunc_end1132:
	.size	_ZN7rocprim17ROCPRIM_400000_NS6detail17trampoline_kernelINS0_14default_configENS1_38merge_sort_block_merge_config_selectorIiNS0_10empty_typeEEEZZNS1_27merge_sort_block_merge_implIS3_N6thrust23THRUST_200600_302600_NS10device_ptrIiEEPS5_jNS1_19radix_merge_compareILb0ELb0EiNS0_19identity_decomposerEEEEE10hipError_tT0_T1_T2_jT3_P12ihipStream_tbPNSt15iterator_traitsISH_E10value_typeEPNSN_ISI_E10value_typeEPSJ_NS1_7vsmem_tEENKUlT_SH_SI_SJ_E_clIPiSB_SC_SC_EESG_SW_SH_SI_SJ_EUlSW_E1_NS1_11comp_targetILNS1_3genE3ELNS1_11target_archE908ELNS1_3gpuE7ELNS1_3repE0EEENS1_36merge_oddeven_config_static_selectorELNS0_4arch9wavefront6targetE0EEEvSI_, .Lfunc_end1132-_ZN7rocprim17ROCPRIM_400000_NS6detail17trampoline_kernelINS0_14default_configENS1_38merge_sort_block_merge_config_selectorIiNS0_10empty_typeEEEZZNS1_27merge_sort_block_merge_implIS3_N6thrust23THRUST_200600_302600_NS10device_ptrIiEEPS5_jNS1_19radix_merge_compareILb0ELb0EiNS0_19identity_decomposerEEEEE10hipError_tT0_T1_T2_jT3_P12ihipStream_tbPNSt15iterator_traitsISH_E10value_typeEPNSN_ISI_E10value_typeEPSJ_NS1_7vsmem_tEENKUlT_SH_SI_SJ_E_clIPiSB_SC_SC_EESG_SW_SH_SI_SJ_EUlSW_E1_NS1_11comp_targetILNS1_3genE3ELNS1_11target_archE908ELNS1_3gpuE7ELNS1_3repE0EEENS1_36merge_oddeven_config_static_selectorELNS0_4arch9wavefront6targetE0EEEvSI_
                                        ; -- End function
	.set _ZN7rocprim17ROCPRIM_400000_NS6detail17trampoline_kernelINS0_14default_configENS1_38merge_sort_block_merge_config_selectorIiNS0_10empty_typeEEEZZNS1_27merge_sort_block_merge_implIS3_N6thrust23THRUST_200600_302600_NS10device_ptrIiEEPS5_jNS1_19radix_merge_compareILb0ELb0EiNS0_19identity_decomposerEEEEE10hipError_tT0_T1_T2_jT3_P12ihipStream_tbPNSt15iterator_traitsISH_E10value_typeEPNSN_ISI_E10value_typeEPSJ_NS1_7vsmem_tEENKUlT_SH_SI_SJ_E_clIPiSB_SC_SC_EESG_SW_SH_SI_SJ_EUlSW_E1_NS1_11comp_targetILNS1_3genE3ELNS1_11target_archE908ELNS1_3gpuE7ELNS1_3repE0EEENS1_36merge_oddeven_config_static_selectorELNS0_4arch9wavefront6targetE0EEEvSI_.num_vgpr, 0
	.set _ZN7rocprim17ROCPRIM_400000_NS6detail17trampoline_kernelINS0_14default_configENS1_38merge_sort_block_merge_config_selectorIiNS0_10empty_typeEEEZZNS1_27merge_sort_block_merge_implIS3_N6thrust23THRUST_200600_302600_NS10device_ptrIiEEPS5_jNS1_19radix_merge_compareILb0ELb0EiNS0_19identity_decomposerEEEEE10hipError_tT0_T1_T2_jT3_P12ihipStream_tbPNSt15iterator_traitsISH_E10value_typeEPNSN_ISI_E10value_typeEPSJ_NS1_7vsmem_tEENKUlT_SH_SI_SJ_E_clIPiSB_SC_SC_EESG_SW_SH_SI_SJ_EUlSW_E1_NS1_11comp_targetILNS1_3genE3ELNS1_11target_archE908ELNS1_3gpuE7ELNS1_3repE0EEENS1_36merge_oddeven_config_static_selectorELNS0_4arch9wavefront6targetE0EEEvSI_.num_agpr, 0
	.set _ZN7rocprim17ROCPRIM_400000_NS6detail17trampoline_kernelINS0_14default_configENS1_38merge_sort_block_merge_config_selectorIiNS0_10empty_typeEEEZZNS1_27merge_sort_block_merge_implIS3_N6thrust23THRUST_200600_302600_NS10device_ptrIiEEPS5_jNS1_19radix_merge_compareILb0ELb0EiNS0_19identity_decomposerEEEEE10hipError_tT0_T1_T2_jT3_P12ihipStream_tbPNSt15iterator_traitsISH_E10value_typeEPNSN_ISI_E10value_typeEPSJ_NS1_7vsmem_tEENKUlT_SH_SI_SJ_E_clIPiSB_SC_SC_EESG_SW_SH_SI_SJ_EUlSW_E1_NS1_11comp_targetILNS1_3genE3ELNS1_11target_archE908ELNS1_3gpuE7ELNS1_3repE0EEENS1_36merge_oddeven_config_static_selectorELNS0_4arch9wavefront6targetE0EEEvSI_.numbered_sgpr, 0
	.set _ZN7rocprim17ROCPRIM_400000_NS6detail17trampoline_kernelINS0_14default_configENS1_38merge_sort_block_merge_config_selectorIiNS0_10empty_typeEEEZZNS1_27merge_sort_block_merge_implIS3_N6thrust23THRUST_200600_302600_NS10device_ptrIiEEPS5_jNS1_19radix_merge_compareILb0ELb0EiNS0_19identity_decomposerEEEEE10hipError_tT0_T1_T2_jT3_P12ihipStream_tbPNSt15iterator_traitsISH_E10value_typeEPNSN_ISI_E10value_typeEPSJ_NS1_7vsmem_tEENKUlT_SH_SI_SJ_E_clIPiSB_SC_SC_EESG_SW_SH_SI_SJ_EUlSW_E1_NS1_11comp_targetILNS1_3genE3ELNS1_11target_archE908ELNS1_3gpuE7ELNS1_3repE0EEENS1_36merge_oddeven_config_static_selectorELNS0_4arch9wavefront6targetE0EEEvSI_.num_named_barrier, 0
	.set _ZN7rocprim17ROCPRIM_400000_NS6detail17trampoline_kernelINS0_14default_configENS1_38merge_sort_block_merge_config_selectorIiNS0_10empty_typeEEEZZNS1_27merge_sort_block_merge_implIS3_N6thrust23THRUST_200600_302600_NS10device_ptrIiEEPS5_jNS1_19radix_merge_compareILb0ELb0EiNS0_19identity_decomposerEEEEE10hipError_tT0_T1_T2_jT3_P12ihipStream_tbPNSt15iterator_traitsISH_E10value_typeEPNSN_ISI_E10value_typeEPSJ_NS1_7vsmem_tEENKUlT_SH_SI_SJ_E_clIPiSB_SC_SC_EESG_SW_SH_SI_SJ_EUlSW_E1_NS1_11comp_targetILNS1_3genE3ELNS1_11target_archE908ELNS1_3gpuE7ELNS1_3repE0EEENS1_36merge_oddeven_config_static_selectorELNS0_4arch9wavefront6targetE0EEEvSI_.private_seg_size, 0
	.set _ZN7rocprim17ROCPRIM_400000_NS6detail17trampoline_kernelINS0_14default_configENS1_38merge_sort_block_merge_config_selectorIiNS0_10empty_typeEEEZZNS1_27merge_sort_block_merge_implIS3_N6thrust23THRUST_200600_302600_NS10device_ptrIiEEPS5_jNS1_19radix_merge_compareILb0ELb0EiNS0_19identity_decomposerEEEEE10hipError_tT0_T1_T2_jT3_P12ihipStream_tbPNSt15iterator_traitsISH_E10value_typeEPNSN_ISI_E10value_typeEPSJ_NS1_7vsmem_tEENKUlT_SH_SI_SJ_E_clIPiSB_SC_SC_EESG_SW_SH_SI_SJ_EUlSW_E1_NS1_11comp_targetILNS1_3genE3ELNS1_11target_archE908ELNS1_3gpuE7ELNS1_3repE0EEENS1_36merge_oddeven_config_static_selectorELNS0_4arch9wavefront6targetE0EEEvSI_.uses_vcc, 0
	.set _ZN7rocprim17ROCPRIM_400000_NS6detail17trampoline_kernelINS0_14default_configENS1_38merge_sort_block_merge_config_selectorIiNS0_10empty_typeEEEZZNS1_27merge_sort_block_merge_implIS3_N6thrust23THRUST_200600_302600_NS10device_ptrIiEEPS5_jNS1_19radix_merge_compareILb0ELb0EiNS0_19identity_decomposerEEEEE10hipError_tT0_T1_T2_jT3_P12ihipStream_tbPNSt15iterator_traitsISH_E10value_typeEPNSN_ISI_E10value_typeEPSJ_NS1_7vsmem_tEENKUlT_SH_SI_SJ_E_clIPiSB_SC_SC_EESG_SW_SH_SI_SJ_EUlSW_E1_NS1_11comp_targetILNS1_3genE3ELNS1_11target_archE908ELNS1_3gpuE7ELNS1_3repE0EEENS1_36merge_oddeven_config_static_selectorELNS0_4arch9wavefront6targetE0EEEvSI_.uses_flat_scratch, 0
	.set _ZN7rocprim17ROCPRIM_400000_NS6detail17trampoline_kernelINS0_14default_configENS1_38merge_sort_block_merge_config_selectorIiNS0_10empty_typeEEEZZNS1_27merge_sort_block_merge_implIS3_N6thrust23THRUST_200600_302600_NS10device_ptrIiEEPS5_jNS1_19radix_merge_compareILb0ELb0EiNS0_19identity_decomposerEEEEE10hipError_tT0_T1_T2_jT3_P12ihipStream_tbPNSt15iterator_traitsISH_E10value_typeEPNSN_ISI_E10value_typeEPSJ_NS1_7vsmem_tEENKUlT_SH_SI_SJ_E_clIPiSB_SC_SC_EESG_SW_SH_SI_SJ_EUlSW_E1_NS1_11comp_targetILNS1_3genE3ELNS1_11target_archE908ELNS1_3gpuE7ELNS1_3repE0EEENS1_36merge_oddeven_config_static_selectorELNS0_4arch9wavefront6targetE0EEEvSI_.has_dyn_sized_stack, 0
	.set _ZN7rocprim17ROCPRIM_400000_NS6detail17trampoline_kernelINS0_14default_configENS1_38merge_sort_block_merge_config_selectorIiNS0_10empty_typeEEEZZNS1_27merge_sort_block_merge_implIS3_N6thrust23THRUST_200600_302600_NS10device_ptrIiEEPS5_jNS1_19radix_merge_compareILb0ELb0EiNS0_19identity_decomposerEEEEE10hipError_tT0_T1_T2_jT3_P12ihipStream_tbPNSt15iterator_traitsISH_E10value_typeEPNSN_ISI_E10value_typeEPSJ_NS1_7vsmem_tEENKUlT_SH_SI_SJ_E_clIPiSB_SC_SC_EESG_SW_SH_SI_SJ_EUlSW_E1_NS1_11comp_targetILNS1_3genE3ELNS1_11target_archE908ELNS1_3gpuE7ELNS1_3repE0EEENS1_36merge_oddeven_config_static_selectorELNS0_4arch9wavefront6targetE0EEEvSI_.has_recursion, 0
	.set _ZN7rocprim17ROCPRIM_400000_NS6detail17trampoline_kernelINS0_14default_configENS1_38merge_sort_block_merge_config_selectorIiNS0_10empty_typeEEEZZNS1_27merge_sort_block_merge_implIS3_N6thrust23THRUST_200600_302600_NS10device_ptrIiEEPS5_jNS1_19radix_merge_compareILb0ELb0EiNS0_19identity_decomposerEEEEE10hipError_tT0_T1_T2_jT3_P12ihipStream_tbPNSt15iterator_traitsISH_E10value_typeEPNSN_ISI_E10value_typeEPSJ_NS1_7vsmem_tEENKUlT_SH_SI_SJ_E_clIPiSB_SC_SC_EESG_SW_SH_SI_SJ_EUlSW_E1_NS1_11comp_targetILNS1_3genE3ELNS1_11target_archE908ELNS1_3gpuE7ELNS1_3repE0EEENS1_36merge_oddeven_config_static_selectorELNS0_4arch9wavefront6targetE0EEEvSI_.has_indirect_call, 0
	.section	.AMDGPU.csdata,"",@progbits
; Kernel info:
; codeLenInByte = 0
; TotalNumSgprs: 0
; NumVgprs: 0
; ScratchSize: 0
; MemoryBound: 0
; FloatMode: 240
; IeeeMode: 1
; LDSByteSize: 0 bytes/workgroup (compile time only)
; SGPRBlocks: 0
; VGPRBlocks: 0
; NumSGPRsForWavesPerEU: 1
; NumVGPRsForWavesPerEU: 1
; Occupancy: 16
; WaveLimiterHint : 0
; COMPUTE_PGM_RSRC2:SCRATCH_EN: 0
; COMPUTE_PGM_RSRC2:USER_SGPR: 6
; COMPUTE_PGM_RSRC2:TRAP_HANDLER: 0
; COMPUTE_PGM_RSRC2:TGID_X_EN: 1
; COMPUTE_PGM_RSRC2:TGID_Y_EN: 0
; COMPUTE_PGM_RSRC2:TGID_Z_EN: 0
; COMPUTE_PGM_RSRC2:TIDIG_COMP_CNT: 0
	.section	.text._ZN7rocprim17ROCPRIM_400000_NS6detail17trampoline_kernelINS0_14default_configENS1_38merge_sort_block_merge_config_selectorIiNS0_10empty_typeEEEZZNS1_27merge_sort_block_merge_implIS3_N6thrust23THRUST_200600_302600_NS10device_ptrIiEEPS5_jNS1_19radix_merge_compareILb0ELb0EiNS0_19identity_decomposerEEEEE10hipError_tT0_T1_T2_jT3_P12ihipStream_tbPNSt15iterator_traitsISH_E10value_typeEPNSN_ISI_E10value_typeEPSJ_NS1_7vsmem_tEENKUlT_SH_SI_SJ_E_clIPiSB_SC_SC_EESG_SW_SH_SI_SJ_EUlSW_E1_NS1_11comp_targetILNS1_3genE2ELNS1_11target_archE906ELNS1_3gpuE6ELNS1_3repE0EEENS1_36merge_oddeven_config_static_selectorELNS0_4arch9wavefront6targetE0EEEvSI_,"axG",@progbits,_ZN7rocprim17ROCPRIM_400000_NS6detail17trampoline_kernelINS0_14default_configENS1_38merge_sort_block_merge_config_selectorIiNS0_10empty_typeEEEZZNS1_27merge_sort_block_merge_implIS3_N6thrust23THRUST_200600_302600_NS10device_ptrIiEEPS5_jNS1_19radix_merge_compareILb0ELb0EiNS0_19identity_decomposerEEEEE10hipError_tT0_T1_T2_jT3_P12ihipStream_tbPNSt15iterator_traitsISH_E10value_typeEPNSN_ISI_E10value_typeEPSJ_NS1_7vsmem_tEENKUlT_SH_SI_SJ_E_clIPiSB_SC_SC_EESG_SW_SH_SI_SJ_EUlSW_E1_NS1_11comp_targetILNS1_3genE2ELNS1_11target_archE906ELNS1_3gpuE6ELNS1_3repE0EEENS1_36merge_oddeven_config_static_selectorELNS0_4arch9wavefront6targetE0EEEvSI_,comdat
	.protected	_ZN7rocprim17ROCPRIM_400000_NS6detail17trampoline_kernelINS0_14default_configENS1_38merge_sort_block_merge_config_selectorIiNS0_10empty_typeEEEZZNS1_27merge_sort_block_merge_implIS3_N6thrust23THRUST_200600_302600_NS10device_ptrIiEEPS5_jNS1_19radix_merge_compareILb0ELb0EiNS0_19identity_decomposerEEEEE10hipError_tT0_T1_T2_jT3_P12ihipStream_tbPNSt15iterator_traitsISH_E10value_typeEPNSN_ISI_E10value_typeEPSJ_NS1_7vsmem_tEENKUlT_SH_SI_SJ_E_clIPiSB_SC_SC_EESG_SW_SH_SI_SJ_EUlSW_E1_NS1_11comp_targetILNS1_3genE2ELNS1_11target_archE906ELNS1_3gpuE6ELNS1_3repE0EEENS1_36merge_oddeven_config_static_selectorELNS0_4arch9wavefront6targetE0EEEvSI_ ; -- Begin function _ZN7rocprim17ROCPRIM_400000_NS6detail17trampoline_kernelINS0_14default_configENS1_38merge_sort_block_merge_config_selectorIiNS0_10empty_typeEEEZZNS1_27merge_sort_block_merge_implIS3_N6thrust23THRUST_200600_302600_NS10device_ptrIiEEPS5_jNS1_19radix_merge_compareILb0ELb0EiNS0_19identity_decomposerEEEEE10hipError_tT0_T1_T2_jT3_P12ihipStream_tbPNSt15iterator_traitsISH_E10value_typeEPNSN_ISI_E10value_typeEPSJ_NS1_7vsmem_tEENKUlT_SH_SI_SJ_E_clIPiSB_SC_SC_EESG_SW_SH_SI_SJ_EUlSW_E1_NS1_11comp_targetILNS1_3genE2ELNS1_11target_archE906ELNS1_3gpuE6ELNS1_3repE0EEENS1_36merge_oddeven_config_static_selectorELNS0_4arch9wavefront6targetE0EEEvSI_
	.globl	_ZN7rocprim17ROCPRIM_400000_NS6detail17trampoline_kernelINS0_14default_configENS1_38merge_sort_block_merge_config_selectorIiNS0_10empty_typeEEEZZNS1_27merge_sort_block_merge_implIS3_N6thrust23THRUST_200600_302600_NS10device_ptrIiEEPS5_jNS1_19radix_merge_compareILb0ELb0EiNS0_19identity_decomposerEEEEE10hipError_tT0_T1_T2_jT3_P12ihipStream_tbPNSt15iterator_traitsISH_E10value_typeEPNSN_ISI_E10value_typeEPSJ_NS1_7vsmem_tEENKUlT_SH_SI_SJ_E_clIPiSB_SC_SC_EESG_SW_SH_SI_SJ_EUlSW_E1_NS1_11comp_targetILNS1_3genE2ELNS1_11target_archE906ELNS1_3gpuE6ELNS1_3repE0EEENS1_36merge_oddeven_config_static_selectorELNS0_4arch9wavefront6targetE0EEEvSI_
	.p2align	8
	.type	_ZN7rocprim17ROCPRIM_400000_NS6detail17trampoline_kernelINS0_14default_configENS1_38merge_sort_block_merge_config_selectorIiNS0_10empty_typeEEEZZNS1_27merge_sort_block_merge_implIS3_N6thrust23THRUST_200600_302600_NS10device_ptrIiEEPS5_jNS1_19radix_merge_compareILb0ELb0EiNS0_19identity_decomposerEEEEE10hipError_tT0_T1_T2_jT3_P12ihipStream_tbPNSt15iterator_traitsISH_E10value_typeEPNSN_ISI_E10value_typeEPSJ_NS1_7vsmem_tEENKUlT_SH_SI_SJ_E_clIPiSB_SC_SC_EESG_SW_SH_SI_SJ_EUlSW_E1_NS1_11comp_targetILNS1_3genE2ELNS1_11target_archE906ELNS1_3gpuE6ELNS1_3repE0EEENS1_36merge_oddeven_config_static_selectorELNS0_4arch9wavefront6targetE0EEEvSI_,@function
_ZN7rocprim17ROCPRIM_400000_NS6detail17trampoline_kernelINS0_14default_configENS1_38merge_sort_block_merge_config_selectorIiNS0_10empty_typeEEEZZNS1_27merge_sort_block_merge_implIS3_N6thrust23THRUST_200600_302600_NS10device_ptrIiEEPS5_jNS1_19radix_merge_compareILb0ELb0EiNS0_19identity_decomposerEEEEE10hipError_tT0_T1_T2_jT3_P12ihipStream_tbPNSt15iterator_traitsISH_E10value_typeEPNSN_ISI_E10value_typeEPSJ_NS1_7vsmem_tEENKUlT_SH_SI_SJ_E_clIPiSB_SC_SC_EESG_SW_SH_SI_SJ_EUlSW_E1_NS1_11comp_targetILNS1_3genE2ELNS1_11target_archE906ELNS1_3gpuE6ELNS1_3repE0EEENS1_36merge_oddeven_config_static_selectorELNS0_4arch9wavefront6targetE0EEEvSI_: ; @_ZN7rocprim17ROCPRIM_400000_NS6detail17trampoline_kernelINS0_14default_configENS1_38merge_sort_block_merge_config_selectorIiNS0_10empty_typeEEEZZNS1_27merge_sort_block_merge_implIS3_N6thrust23THRUST_200600_302600_NS10device_ptrIiEEPS5_jNS1_19radix_merge_compareILb0ELb0EiNS0_19identity_decomposerEEEEE10hipError_tT0_T1_T2_jT3_P12ihipStream_tbPNSt15iterator_traitsISH_E10value_typeEPNSN_ISI_E10value_typeEPSJ_NS1_7vsmem_tEENKUlT_SH_SI_SJ_E_clIPiSB_SC_SC_EESG_SW_SH_SI_SJ_EUlSW_E1_NS1_11comp_targetILNS1_3genE2ELNS1_11target_archE906ELNS1_3gpuE6ELNS1_3repE0EEENS1_36merge_oddeven_config_static_selectorELNS0_4arch9wavefront6targetE0EEEvSI_
; %bb.0:
	.section	.rodata,"a",@progbits
	.p2align	6, 0x0
	.amdhsa_kernel _ZN7rocprim17ROCPRIM_400000_NS6detail17trampoline_kernelINS0_14default_configENS1_38merge_sort_block_merge_config_selectorIiNS0_10empty_typeEEEZZNS1_27merge_sort_block_merge_implIS3_N6thrust23THRUST_200600_302600_NS10device_ptrIiEEPS5_jNS1_19radix_merge_compareILb0ELb0EiNS0_19identity_decomposerEEEEE10hipError_tT0_T1_T2_jT3_P12ihipStream_tbPNSt15iterator_traitsISH_E10value_typeEPNSN_ISI_E10value_typeEPSJ_NS1_7vsmem_tEENKUlT_SH_SI_SJ_E_clIPiSB_SC_SC_EESG_SW_SH_SI_SJ_EUlSW_E1_NS1_11comp_targetILNS1_3genE2ELNS1_11target_archE906ELNS1_3gpuE6ELNS1_3repE0EEENS1_36merge_oddeven_config_static_selectorELNS0_4arch9wavefront6targetE0EEEvSI_
		.amdhsa_group_segment_fixed_size 0
		.amdhsa_private_segment_fixed_size 0
		.amdhsa_kernarg_size 48
		.amdhsa_user_sgpr_count 6
		.amdhsa_user_sgpr_private_segment_buffer 1
		.amdhsa_user_sgpr_dispatch_ptr 0
		.amdhsa_user_sgpr_queue_ptr 0
		.amdhsa_user_sgpr_kernarg_segment_ptr 1
		.amdhsa_user_sgpr_dispatch_id 0
		.amdhsa_user_sgpr_flat_scratch_init 0
		.amdhsa_user_sgpr_private_segment_size 0
		.amdhsa_wavefront_size32 1
		.amdhsa_uses_dynamic_stack 0
		.amdhsa_system_sgpr_private_segment_wavefront_offset 0
		.amdhsa_system_sgpr_workgroup_id_x 1
		.amdhsa_system_sgpr_workgroup_id_y 0
		.amdhsa_system_sgpr_workgroup_id_z 0
		.amdhsa_system_sgpr_workgroup_info 0
		.amdhsa_system_vgpr_workitem_id 0
		.amdhsa_next_free_vgpr 1
		.amdhsa_next_free_sgpr 1
		.amdhsa_reserve_vcc 0
		.amdhsa_reserve_flat_scratch 0
		.amdhsa_float_round_mode_32 0
		.amdhsa_float_round_mode_16_64 0
		.amdhsa_float_denorm_mode_32 3
		.amdhsa_float_denorm_mode_16_64 3
		.amdhsa_dx10_clamp 1
		.amdhsa_ieee_mode 1
		.amdhsa_fp16_overflow 0
		.amdhsa_workgroup_processor_mode 1
		.amdhsa_memory_ordered 1
		.amdhsa_forward_progress 1
		.amdhsa_shared_vgpr_count 0
		.amdhsa_exception_fp_ieee_invalid_op 0
		.amdhsa_exception_fp_denorm_src 0
		.amdhsa_exception_fp_ieee_div_zero 0
		.amdhsa_exception_fp_ieee_overflow 0
		.amdhsa_exception_fp_ieee_underflow 0
		.amdhsa_exception_fp_ieee_inexact 0
		.amdhsa_exception_int_div_zero 0
	.end_amdhsa_kernel
	.section	.text._ZN7rocprim17ROCPRIM_400000_NS6detail17trampoline_kernelINS0_14default_configENS1_38merge_sort_block_merge_config_selectorIiNS0_10empty_typeEEEZZNS1_27merge_sort_block_merge_implIS3_N6thrust23THRUST_200600_302600_NS10device_ptrIiEEPS5_jNS1_19radix_merge_compareILb0ELb0EiNS0_19identity_decomposerEEEEE10hipError_tT0_T1_T2_jT3_P12ihipStream_tbPNSt15iterator_traitsISH_E10value_typeEPNSN_ISI_E10value_typeEPSJ_NS1_7vsmem_tEENKUlT_SH_SI_SJ_E_clIPiSB_SC_SC_EESG_SW_SH_SI_SJ_EUlSW_E1_NS1_11comp_targetILNS1_3genE2ELNS1_11target_archE906ELNS1_3gpuE6ELNS1_3repE0EEENS1_36merge_oddeven_config_static_selectorELNS0_4arch9wavefront6targetE0EEEvSI_,"axG",@progbits,_ZN7rocprim17ROCPRIM_400000_NS6detail17trampoline_kernelINS0_14default_configENS1_38merge_sort_block_merge_config_selectorIiNS0_10empty_typeEEEZZNS1_27merge_sort_block_merge_implIS3_N6thrust23THRUST_200600_302600_NS10device_ptrIiEEPS5_jNS1_19radix_merge_compareILb0ELb0EiNS0_19identity_decomposerEEEEE10hipError_tT0_T1_T2_jT3_P12ihipStream_tbPNSt15iterator_traitsISH_E10value_typeEPNSN_ISI_E10value_typeEPSJ_NS1_7vsmem_tEENKUlT_SH_SI_SJ_E_clIPiSB_SC_SC_EESG_SW_SH_SI_SJ_EUlSW_E1_NS1_11comp_targetILNS1_3genE2ELNS1_11target_archE906ELNS1_3gpuE6ELNS1_3repE0EEENS1_36merge_oddeven_config_static_selectorELNS0_4arch9wavefront6targetE0EEEvSI_,comdat
.Lfunc_end1133:
	.size	_ZN7rocprim17ROCPRIM_400000_NS6detail17trampoline_kernelINS0_14default_configENS1_38merge_sort_block_merge_config_selectorIiNS0_10empty_typeEEEZZNS1_27merge_sort_block_merge_implIS3_N6thrust23THRUST_200600_302600_NS10device_ptrIiEEPS5_jNS1_19radix_merge_compareILb0ELb0EiNS0_19identity_decomposerEEEEE10hipError_tT0_T1_T2_jT3_P12ihipStream_tbPNSt15iterator_traitsISH_E10value_typeEPNSN_ISI_E10value_typeEPSJ_NS1_7vsmem_tEENKUlT_SH_SI_SJ_E_clIPiSB_SC_SC_EESG_SW_SH_SI_SJ_EUlSW_E1_NS1_11comp_targetILNS1_3genE2ELNS1_11target_archE906ELNS1_3gpuE6ELNS1_3repE0EEENS1_36merge_oddeven_config_static_selectorELNS0_4arch9wavefront6targetE0EEEvSI_, .Lfunc_end1133-_ZN7rocprim17ROCPRIM_400000_NS6detail17trampoline_kernelINS0_14default_configENS1_38merge_sort_block_merge_config_selectorIiNS0_10empty_typeEEEZZNS1_27merge_sort_block_merge_implIS3_N6thrust23THRUST_200600_302600_NS10device_ptrIiEEPS5_jNS1_19radix_merge_compareILb0ELb0EiNS0_19identity_decomposerEEEEE10hipError_tT0_T1_T2_jT3_P12ihipStream_tbPNSt15iterator_traitsISH_E10value_typeEPNSN_ISI_E10value_typeEPSJ_NS1_7vsmem_tEENKUlT_SH_SI_SJ_E_clIPiSB_SC_SC_EESG_SW_SH_SI_SJ_EUlSW_E1_NS1_11comp_targetILNS1_3genE2ELNS1_11target_archE906ELNS1_3gpuE6ELNS1_3repE0EEENS1_36merge_oddeven_config_static_selectorELNS0_4arch9wavefront6targetE0EEEvSI_
                                        ; -- End function
	.set _ZN7rocprim17ROCPRIM_400000_NS6detail17trampoline_kernelINS0_14default_configENS1_38merge_sort_block_merge_config_selectorIiNS0_10empty_typeEEEZZNS1_27merge_sort_block_merge_implIS3_N6thrust23THRUST_200600_302600_NS10device_ptrIiEEPS5_jNS1_19radix_merge_compareILb0ELb0EiNS0_19identity_decomposerEEEEE10hipError_tT0_T1_T2_jT3_P12ihipStream_tbPNSt15iterator_traitsISH_E10value_typeEPNSN_ISI_E10value_typeEPSJ_NS1_7vsmem_tEENKUlT_SH_SI_SJ_E_clIPiSB_SC_SC_EESG_SW_SH_SI_SJ_EUlSW_E1_NS1_11comp_targetILNS1_3genE2ELNS1_11target_archE906ELNS1_3gpuE6ELNS1_3repE0EEENS1_36merge_oddeven_config_static_selectorELNS0_4arch9wavefront6targetE0EEEvSI_.num_vgpr, 0
	.set _ZN7rocprim17ROCPRIM_400000_NS6detail17trampoline_kernelINS0_14default_configENS1_38merge_sort_block_merge_config_selectorIiNS0_10empty_typeEEEZZNS1_27merge_sort_block_merge_implIS3_N6thrust23THRUST_200600_302600_NS10device_ptrIiEEPS5_jNS1_19radix_merge_compareILb0ELb0EiNS0_19identity_decomposerEEEEE10hipError_tT0_T1_T2_jT3_P12ihipStream_tbPNSt15iterator_traitsISH_E10value_typeEPNSN_ISI_E10value_typeEPSJ_NS1_7vsmem_tEENKUlT_SH_SI_SJ_E_clIPiSB_SC_SC_EESG_SW_SH_SI_SJ_EUlSW_E1_NS1_11comp_targetILNS1_3genE2ELNS1_11target_archE906ELNS1_3gpuE6ELNS1_3repE0EEENS1_36merge_oddeven_config_static_selectorELNS0_4arch9wavefront6targetE0EEEvSI_.num_agpr, 0
	.set _ZN7rocprim17ROCPRIM_400000_NS6detail17trampoline_kernelINS0_14default_configENS1_38merge_sort_block_merge_config_selectorIiNS0_10empty_typeEEEZZNS1_27merge_sort_block_merge_implIS3_N6thrust23THRUST_200600_302600_NS10device_ptrIiEEPS5_jNS1_19radix_merge_compareILb0ELb0EiNS0_19identity_decomposerEEEEE10hipError_tT0_T1_T2_jT3_P12ihipStream_tbPNSt15iterator_traitsISH_E10value_typeEPNSN_ISI_E10value_typeEPSJ_NS1_7vsmem_tEENKUlT_SH_SI_SJ_E_clIPiSB_SC_SC_EESG_SW_SH_SI_SJ_EUlSW_E1_NS1_11comp_targetILNS1_3genE2ELNS1_11target_archE906ELNS1_3gpuE6ELNS1_3repE0EEENS1_36merge_oddeven_config_static_selectorELNS0_4arch9wavefront6targetE0EEEvSI_.numbered_sgpr, 0
	.set _ZN7rocprim17ROCPRIM_400000_NS6detail17trampoline_kernelINS0_14default_configENS1_38merge_sort_block_merge_config_selectorIiNS0_10empty_typeEEEZZNS1_27merge_sort_block_merge_implIS3_N6thrust23THRUST_200600_302600_NS10device_ptrIiEEPS5_jNS1_19radix_merge_compareILb0ELb0EiNS0_19identity_decomposerEEEEE10hipError_tT0_T1_T2_jT3_P12ihipStream_tbPNSt15iterator_traitsISH_E10value_typeEPNSN_ISI_E10value_typeEPSJ_NS1_7vsmem_tEENKUlT_SH_SI_SJ_E_clIPiSB_SC_SC_EESG_SW_SH_SI_SJ_EUlSW_E1_NS1_11comp_targetILNS1_3genE2ELNS1_11target_archE906ELNS1_3gpuE6ELNS1_3repE0EEENS1_36merge_oddeven_config_static_selectorELNS0_4arch9wavefront6targetE0EEEvSI_.num_named_barrier, 0
	.set _ZN7rocprim17ROCPRIM_400000_NS6detail17trampoline_kernelINS0_14default_configENS1_38merge_sort_block_merge_config_selectorIiNS0_10empty_typeEEEZZNS1_27merge_sort_block_merge_implIS3_N6thrust23THRUST_200600_302600_NS10device_ptrIiEEPS5_jNS1_19radix_merge_compareILb0ELb0EiNS0_19identity_decomposerEEEEE10hipError_tT0_T1_T2_jT3_P12ihipStream_tbPNSt15iterator_traitsISH_E10value_typeEPNSN_ISI_E10value_typeEPSJ_NS1_7vsmem_tEENKUlT_SH_SI_SJ_E_clIPiSB_SC_SC_EESG_SW_SH_SI_SJ_EUlSW_E1_NS1_11comp_targetILNS1_3genE2ELNS1_11target_archE906ELNS1_3gpuE6ELNS1_3repE0EEENS1_36merge_oddeven_config_static_selectorELNS0_4arch9wavefront6targetE0EEEvSI_.private_seg_size, 0
	.set _ZN7rocprim17ROCPRIM_400000_NS6detail17trampoline_kernelINS0_14default_configENS1_38merge_sort_block_merge_config_selectorIiNS0_10empty_typeEEEZZNS1_27merge_sort_block_merge_implIS3_N6thrust23THRUST_200600_302600_NS10device_ptrIiEEPS5_jNS1_19radix_merge_compareILb0ELb0EiNS0_19identity_decomposerEEEEE10hipError_tT0_T1_T2_jT3_P12ihipStream_tbPNSt15iterator_traitsISH_E10value_typeEPNSN_ISI_E10value_typeEPSJ_NS1_7vsmem_tEENKUlT_SH_SI_SJ_E_clIPiSB_SC_SC_EESG_SW_SH_SI_SJ_EUlSW_E1_NS1_11comp_targetILNS1_3genE2ELNS1_11target_archE906ELNS1_3gpuE6ELNS1_3repE0EEENS1_36merge_oddeven_config_static_selectorELNS0_4arch9wavefront6targetE0EEEvSI_.uses_vcc, 0
	.set _ZN7rocprim17ROCPRIM_400000_NS6detail17trampoline_kernelINS0_14default_configENS1_38merge_sort_block_merge_config_selectorIiNS0_10empty_typeEEEZZNS1_27merge_sort_block_merge_implIS3_N6thrust23THRUST_200600_302600_NS10device_ptrIiEEPS5_jNS1_19radix_merge_compareILb0ELb0EiNS0_19identity_decomposerEEEEE10hipError_tT0_T1_T2_jT3_P12ihipStream_tbPNSt15iterator_traitsISH_E10value_typeEPNSN_ISI_E10value_typeEPSJ_NS1_7vsmem_tEENKUlT_SH_SI_SJ_E_clIPiSB_SC_SC_EESG_SW_SH_SI_SJ_EUlSW_E1_NS1_11comp_targetILNS1_3genE2ELNS1_11target_archE906ELNS1_3gpuE6ELNS1_3repE0EEENS1_36merge_oddeven_config_static_selectorELNS0_4arch9wavefront6targetE0EEEvSI_.uses_flat_scratch, 0
	.set _ZN7rocprim17ROCPRIM_400000_NS6detail17trampoline_kernelINS0_14default_configENS1_38merge_sort_block_merge_config_selectorIiNS0_10empty_typeEEEZZNS1_27merge_sort_block_merge_implIS3_N6thrust23THRUST_200600_302600_NS10device_ptrIiEEPS5_jNS1_19radix_merge_compareILb0ELb0EiNS0_19identity_decomposerEEEEE10hipError_tT0_T1_T2_jT3_P12ihipStream_tbPNSt15iterator_traitsISH_E10value_typeEPNSN_ISI_E10value_typeEPSJ_NS1_7vsmem_tEENKUlT_SH_SI_SJ_E_clIPiSB_SC_SC_EESG_SW_SH_SI_SJ_EUlSW_E1_NS1_11comp_targetILNS1_3genE2ELNS1_11target_archE906ELNS1_3gpuE6ELNS1_3repE0EEENS1_36merge_oddeven_config_static_selectorELNS0_4arch9wavefront6targetE0EEEvSI_.has_dyn_sized_stack, 0
	.set _ZN7rocprim17ROCPRIM_400000_NS6detail17trampoline_kernelINS0_14default_configENS1_38merge_sort_block_merge_config_selectorIiNS0_10empty_typeEEEZZNS1_27merge_sort_block_merge_implIS3_N6thrust23THRUST_200600_302600_NS10device_ptrIiEEPS5_jNS1_19radix_merge_compareILb0ELb0EiNS0_19identity_decomposerEEEEE10hipError_tT0_T1_T2_jT3_P12ihipStream_tbPNSt15iterator_traitsISH_E10value_typeEPNSN_ISI_E10value_typeEPSJ_NS1_7vsmem_tEENKUlT_SH_SI_SJ_E_clIPiSB_SC_SC_EESG_SW_SH_SI_SJ_EUlSW_E1_NS1_11comp_targetILNS1_3genE2ELNS1_11target_archE906ELNS1_3gpuE6ELNS1_3repE0EEENS1_36merge_oddeven_config_static_selectorELNS0_4arch9wavefront6targetE0EEEvSI_.has_recursion, 0
	.set _ZN7rocprim17ROCPRIM_400000_NS6detail17trampoline_kernelINS0_14default_configENS1_38merge_sort_block_merge_config_selectorIiNS0_10empty_typeEEEZZNS1_27merge_sort_block_merge_implIS3_N6thrust23THRUST_200600_302600_NS10device_ptrIiEEPS5_jNS1_19radix_merge_compareILb0ELb0EiNS0_19identity_decomposerEEEEE10hipError_tT0_T1_T2_jT3_P12ihipStream_tbPNSt15iterator_traitsISH_E10value_typeEPNSN_ISI_E10value_typeEPSJ_NS1_7vsmem_tEENKUlT_SH_SI_SJ_E_clIPiSB_SC_SC_EESG_SW_SH_SI_SJ_EUlSW_E1_NS1_11comp_targetILNS1_3genE2ELNS1_11target_archE906ELNS1_3gpuE6ELNS1_3repE0EEENS1_36merge_oddeven_config_static_selectorELNS0_4arch9wavefront6targetE0EEEvSI_.has_indirect_call, 0
	.section	.AMDGPU.csdata,"",@progbits
; Kernel info:
; codeLenInByte = 0
; TotalNumSgprs: 0
; NumVgprs: 0
; ScratchSize: 0
; MemoryBound: 0
; FloatMode: 240
; IeeeMode: 1
; LDSByteSize: 0 bytes/workgroup (compile time only)
; SGPRBlocks: 0
; VGPRBlocks: 0
; NumSGPRsForWavesPerEU: 1
; NumVGPRsForWavesPerEU: 1
; Occupancy: 16
; WaveLimiterHint : 0
; COMPUTE_PGM_RSRC2:SCRATCH_EN: 0
; COMPUTE_PGM_RSRC2:USER_SGPR: 6
; COMPUTE_PGM_RSRC2:TRAP_HANDLER: 0
; COMPUTE_PGM_RSRC2:TGID_X_EN: 1
; COMPUTE_PGM_RSRC2:TGID_Y_EN: 0
; COMPUTE_PGM_RSRC2:TGID_Z_EN: 0
; COMPUTE_PGM_RSRC2:TIDIG_COMP_CNT: 0
	.section	.text._ZN7rocprim17ROCPRIM_400000_NS6detail17trampoline_kernelINS0_14default_configENS1_38merge_sort_block_merge_config_selectorIiNS0_10empty_typeEEEZZNS1_27merge_sort_block_merge_implIS3_N6thrust23THRUST_200600_302600_NS10device_ptrIiEEPS5_jNS1_19radix_merge_compareILb0ELb0EiNS0_19identity_decomposerEEEEE10hipError_tT0_T1_T2_jT3_P12ihipStream_tbPNSt15iterator_traitsISH_E10value_typeEPNSN_ISI_E10value_typeEPSJ_NS1_7vsmem_tEENKUlT_SH_SI_SJ_E_clIPiSB_SC_SC_EESG_SW_SH_SI_SJ_EUlSW_E1_NS1_11comp_targetILNS1_3genE9ELNS1_11target_archE1100ELNS1_3gpuE3ELNS1_3repE0EEENS1_36merge_oddeven_config_static_selectorELNS0_4arch9wavefront6targetE0EEEvSI_,"axG",@progbits,_ZN7rocprim17ROCPRIM_400000_NS6detail17trampoline_kernelINS0_14default_configENS1_38merge_sort_block_merge_config_selectorIiNS0_10empty_typeEEEZZNS1_27merge_sort_block_merge_implIS3_N6thrust23THRUST_200600_302600_NS10device_ptrIiEEPS5_jNS1_19radix_merge_compareILb0ELb0EiNS0_19identity_decomposerEEEEE10hipError_tT0_T1_T2_jT3_P12ihipStream_tbPNSt15iterator_traitsISH_E10value_typeEPNSN_ISI_E10value_typeEPSJ_NS1_7vsmem_tEENKUlT_SH_SI_SJ_E_clIPiSB_SC_SC_EESG_SW_SH_SI_SJ_EUlSW_E1_NS1_11comp_targetILNS1_3genE9ELNS1_11target_archE1100ELNS1_3gpuE3ELNS1_3repE0EEENS1_36merge_oddeven_config_static_selectorELNS0_4arch9wavefront6targetE0EEEvSI_,comdat
	.protected	_ZN7rocprim17ROCPRIM_400000_NS6detail17trampoline_kernelINS0_14default_configENS1_38merge_sort_block_merge_config_selectorIiNS0_10empty_typeEEEZZNS1_27merge_sort_block_merge_implIS3_N6thrust23THRUST_200600_302600_NS10device_ptrIiEEPS5_jNS1_19radix_merge_compareILb0ELb0EiNS0_19identity_decomposerEEEEE10hipError_tT0_T1_T2_jT3_P12ihipStream_tbPNSt15iterator_traitsISH_E10value_typeEPNSN_ISI_E10value_typeEPSJ_NS1_7vsmem_tEENKUlT_SH_SI_SJ_E_clIPiSB_SC_SC_EESG_SW_SH_SI_SJ_EUlSW_E1_NS1_11comp_targetILNS1_3genE9ELNS1_11target_archE1100ELNS1_3gpuE3ELNS1_3repE0EEENS1_36merge_oddeven_config_static_selectorELNS0_4arch9wavefront6targetE0EEEvSI_ ; -- Begin function _ZN7rocprim17ROCPRIM_400000_NS6detail17trampoline_kernelINS0_14default_configENS1_38merge_sort_block_merge_config_selectorIiNS0_10empty_typeEEEZZNS1_27merge_sort_block_merge_implIS3_N6thrust23THRUST_200600_302600_NS10device_ptrIiEEPS5_jNS1_19radix_merge_compareILb0ELb0EiNS0_19identity_decomposerEEEEE10hipError_tT0_T1_T2_jT3_P12ihipStream_tbPNSt15iterator_traitsISH_E10value_typeEPNSN_ISI_E10value_typeEPSJ_NS1_7vsmem_tEENKUlT_SH_SI_SJ_E_clIPiSB_SC_SC_EESG_SW_SH_SI_SJ_EUlSW_E1_NS1_11comp_targetILNS1_3genE9ELNS1_11target_archE1100ELNS1_3gpuE3ELNS1_3repE0EEENS1_36merge_oddeven_config_static_selectorELNS0_4arch9wavefront6targetE0EEEvSI_
	.globl	_ZN7rocprim17ROCPRIM_400000_NS6detail17trampoline_kernelINS0_14default_configENS1_38merge_sort_block_merge_config_selectorIiNS0_10empty_typeEEEZZNS1_27merge_sort_block_merge_implIS3_N6thrust23THRUST_200600_302600_NS10device_ptrIiEEPS5_jNS1_19radix_merge_compareILb0ELb0EiNS0_19identity_decomposerEEEEE10hipError_tT0_T1_T2_jT3_P12ihipStream_tbPNSt15iterator_traitsISH_E10value_typeEPNSN_ISI_E10value_typeEPSJ_NS1_7vsmem_tEENKUlT_SH_SI_SJ_E_clIPiSB_SC_SC_EESG_SW_SH_SI_SJ_EUlSW_E1_NS1_11comp_targetILNS1_3genE9ELNS1_11target_archE1100ELNS1_3gpuE3ELNS1_3repE0EEENS1_36merge_oddeven_config_static_selectorELNS0_4arch9wavefront6targetE0EEEvSI_
	.p2align	8
	.type	_ZN7rocprim17ROCPRIM_400000_NS6detail17trampoline_kernelINS0_14default_configENS1_38merge_sort_block_merge_config_selectorIiNS0_10empty_typeEEEZZNS1_27merge_sort_block_merge_implIS3_N6thrust23THRUST_200600_302600_NS10device_ptrIiEEPS5_jNS1_19radix_merge_compareILb0ELb0EiNS0_19identity_decomposerEEEEE10hipError_tT0_T1_T2_jT3_P12ihipStream_tbPNSt15iterator_traitsISH_E10value_typeEPNSN_ISI_E10value_typeEPSJ_NS1_7vsmem_tEENKUlT_SH_SI_SJ_E_clIPiSB_SC_SC_EESG_SW_SH_SI_SJ_EUlSW_E1_NS1_11comp_targetILNS1_3genE9ELNS1_11target_archE1100ELNS1_3gpuE3ELNS1_3repE0EEENS1_36merge_oddeven_config_static_selectorELNS0_4arch9wavefront6targetE0EEEvSI_,@function
_ZN7rocprim17ROCPRIM_400000_NS6detail17trampoline_kernelINS0_14default_configENS1_38merge_sort_block_merge_config_selectorIiNS0_10empty_typeEEEZZNS1_27merge_sort_block_merge_implIS3_N6thrust23THRUST_200600_302600_NS10device_ptrIiEEPS5_jNS1_19radix_merge_compareILb0ELb0EiNS0_19identity_decomposerEEEEE10hipError_tT0_T1_T2_jT3_P12ihipStream_tbPNSt15iterator_traitsISH_E10value_typeEPNSN_ISI_E10value_typeEPSJ_NS1_7vsmem_tEENKUlT_SH_SI_SJ_E_clIPiSB_SC_SC_EESG_SW_SH_SI_SJ_EUlSW_E1_NS1_11comp_targetILNS1_3genE9ELNS1_11target_archE1100ELNS1_3gpuE3ELNS1_3repE0EEENS1_36merge_oddeven_config_static_selectorELNS0_4arch9wavefront6targetE0EEEvSI_: ; @_ZN7rocprim17ROCPRIM_400000_NS6detail17trampoline_kernelINS0_14default_configENS1_38merge_sort_block_merge_config_selectorIiNS0_10empty_typeEEEZZNS1_27merge_sort_block_merge_implIS3_N6thrust23THRUST_200600_302600_NS10device_ptrIiEEPS5_jNS1_19radix_merge_compareILb0ELb0EiNS0_19identity_decomposerEEEEE10hipError_tT0_T1_T2_jT3_P12ihipStream_tbPNSt15iterator_traitsISH_E10value_typeEPNSN_ISI_E10value_typeEPSJ_NS1_7vsmem_tEENKUlT_SH_SI_SJ_E_clIPiSB_SC_SC_EESG_SW_SH_SI_SJ_EUlSW_E1_NS1_11comp_targetILNS1_3genE9ELNS1_11target_archE1100ELNS1_3gpuE3ELNS1_3repE0EEENS1_36merge_oddeven_config_static_selectorELNS0_4arch9wavefront6targetE0EEEvSI_
; %bb.0:
	.section	.rodata,"a",@progbits
	.p2align	6, 0x0
	.amdhsa_kernel _ZN7rocprim17ROCPRIM_400000_NS6detail17trampoline_kernelINS0_14default_configENS1_38merge_sort_block_merge_config_selectorIiNS0_10empty_typeEEEZZNS1_27merge_sort_block_merge_implIS3_N6thrust23THRUST_200600_302600_NS10device_ptrIiEEPS5_jNS1_19radix_merge_compareILb0ELb0EiNS0_19identity_decomposerEEEEE10hipError_tT0_T1_T2_jT3_P12ihipStream_tbPNSt15iterator_traitsISH_E10value_typeEPNSN_ISI_E10value_typeEPSJ_NS1_7vsmem_tEENKUlT_SH_SI_SJ_E_clIPiSB_SC_SC_EESG_SW_SH_SI_SJ_EUlSW_E1_NS1_11comp_targetILNS1_3genE9ELNS1_11target_archE1100ELNS1_3gpuE3ELNS1_3repE0EEENS1_36merge_oddeven_config_static_selectorELNS0_4arch9wavefront6targetE0EEEvSI_
		.amdhsa_group_segment_fixed_size 0
		.amdhsa_private_segment_fixed_size 0
		.amdhsa_kernarg_size 48
		.amdhsa_user_sgpr_count 6
		.amdhsa_user_sgpr_private_segment_buffer 1
		.amdhsa_user_sgpr_dispatch_ptr 0
		.amdhsa_user_sgpr_queue_ptr 0
		.amdhsa_user_sgpr_kernarg_segment_ptr 1
		.amdhsa_user_sgpr_dispatch_id 0
		.amdhsa_user_sgpr_flat_scratch_init 0
		.amdhsa_user_sgpr_private_segment_size 0
		.amdhsa_wavefront_size32 1
		.amdhsa_uses_dynamic_stack 0
		.amdhsa_system_sgpr_private_segment_wavefront_offset 0
		.amdhsa_system_sgpr_workgroup_id_x 1
		.amdhsa_system_sgpr_workgroup_id_y 0
		.amdhsa_system_sgpr_workgroup_id_z 0
		.amdhsa_system_sgpr_workgroup_info 0
		.amdhsa_system_vgpr_workitem_id 0
		.amdhsa_next_free_vgpr 1
		.amdhsa_next_free_sgpr 1
		.amdhsa_reserve_vcc 0
		.amdhsa_reserve_flat_scratch 0
		.amdhsa_float_round_mode_32 0
		.amdhsa_float_round_mode_16_64 0
		.amdhsa_float_denorm_mode_32 3
		.amdhsa_float_denorm_mode_16_64 3
		.amdhsa_dx10_clamp 1
		.amdhsa_ieee_mode 1
		.amdhsa_fp16_overflow 0
		.amdhsa_workgroup_processor_mode 1
		.amdhsa_memory_ordered 1
		.amdhsa_forward_progress 1
		.amdhsa_shared_vgpr_count 0
		.amdhsa_exception_fp_ieee_invalid_op 0
		.amdhsa_exception_fp_denorm_src 0
		.amdhsa_exception_fp_ieee_div_zero 0
		.amdhsa_exception_fp_ieee_overflow 0
		.amdhsa_exception_fp_ieee_underflow 0
		.amdhsa_exception_fp_ieee_inexact 0
		.amdhsa_exception_int_div_zero 0
	.end_amdhsa_kernel
	.section	.text._ZN7rocprim17ROCPRIM_400000_NS6detail17trampoline_kernelINS0_14default_configENS1_38merge_sort_block_merge_config_selectorIiNS0_10empty_typeEEEZZNS1_27merge_sort_block_merge_implIS3_N6thrust23THRUST_200600_302600_NS10device_ptrIiEEPS5_jNS1_19radix_merge_compareILb0ELb0EiNS0_19identity_decomposerEEEEE10hipError_tT0_T1_T2_jT3_P12ihipStream_tbPNSt15iterator_traitsISH_E10value_typeEPNSN_ISI_E10value_typeEPSJ_NS1_7vsmem_tEENKUlT_SH_SI_SJ_E_clIPiSB_SC_SC_EESG_SW_SH_SI_SJ_EUlSW_E1_NS1_11comp_targetILNS1_3genE9ELNS1_11target_archE1100ELNS1_3gpuE3ELNS1_3repE0EEENS1_36merge_oddeven_config_static_selectorELNS0_4arch9wavefront6targetE0EEEvSI_,"axG",@progbits,_ZN7rocprim17ROCPRIM_400000_NS6detail17trampoline_kernelINS0_14default_configENS1_38merge_sort_block_merge_config_selectorIiNS0_10empty_typeEEEZZNS1_27merge_sort_block_merge_implIS3_N6thrust23THRUST_200600_302600_NS10device_ptrIiEEPS5_jNS1_19radix_merge_compareILb0ELb0EiNS0_19identity_decomposerEEEEE10hipError_tT0_T1_T2_jT3_P12ihipStream_tbPNSt15iterator_traitsISH_E10value_typeEPNSN_ISI_E10value_typeEPSJ_NS1_7vsmem_tEENKUlT_SH_SI_SJ_E_clIPiSB_SC_SC_EESG_SW_SH_SI_SJ_EUlSW_E1_NS1_11comp_targetILNS1_3genE9ELNS1_11target_archE1100ELNS1_3gpuE3ELNS1_3repE0EEENS1_36merge_oddeven_config_static_selectorELNS0_4arch9wavefront6targetE0EEEvSI_,comdat
.Lfunc_end1134:
	.size	_ZN7rocprim17ROCPRIM_400000_NS6detail17trampoline_kernelINS0_14default_configENS1_38merge_sort_block_merge_config_selectorIiNS0_10empty_typeEEEZZNS1_27merge_sort_block_merge_implIS3_N6thrust23THRUST_200600_302600_NS10device_ptrIiEEPS5_jNS1_19radix_merge_compareILb0ELb0EiNS0_19identity_decomposerEEEEE10hipError_tT0_T1_T2_jT3_P12ihipStream_tbPNSt15iterator_traitsISH_E10value_typeEPNSN_ISI_E10value_typeEPSJ_NS1_7vsmem_tEENKUlT_SH_SI_SJ_E_clIPiSB_SC_SC_EESG_SW_SH_SI_SJ_EUlSW_E1_NS1_11comp_targetILNS1_3genE9ELNS1_11target_archE1100ELNS1_3gpuE3ELNS1_3repE0EEENS1_36merge_oddeven_config_static_selectorELNS0_4arch9wavefront6targetE0EEEvSI_, .Lfunc_end1134-_ZN7rocprim17ROCPRIM_400000_NS6detail17trampoline_kernelINS0_14default_configENS1_38merge_sort_block_merge_config_selectorIiNS0_10empty_typeEEEZZNS1_27merge_sort_block_merge_implIS3_N6thrust23THRUST_200600_302600_NS10device_ptrIiEEPS5_jNS1_19radix_merge_compareILb0ELb0EiNS0_19identity_decomposerEEEEE10hipError_tT0_T1_T2_jT3_P12ihipStream_tbPNSt15iterator_traitsISH_E10value_typeEPNSN_ISI_E10value_typeEPSJ_NS1_7vsmem_tEENKUlT_SH_SI_SJ_E_clIPiSB_SC_SC_EESG_SW_SH_SI_SJ_EUlSW_E1_NS1_11comp_targetILNS1_3genE9ELNS1_11target_archE1100ELNS1_3gpuE3ELNS1_3repE0EEENS1_36merge_oddeven_config_static_selectorELNS0_4arch9wavefront6targetE0EEEvSI_
                                        ; -- End function
	.set _ZN7rocprim17ROCPRIM_400000_NS6detail17trampoline_kernelINS0_14default_configENS1_38merge_sort_block_merge_config_selectorIiNS0_10empty_typeEEEZZNS1_27merge_sort_block_merge_implIS3_N6thrust23THRUST_200600_302600_NS10device_ptrIiEEPS5_jNS1_19radix_merge_compareILb0ELb0EiNS0_19identity_decomposerEEEEE10hipError_tT0_T1_T2_jT3_P12ihipStream_tbPNSt15iterator_traitsISH_E10value_typeEPNSN_ISI_E10value_typeEPSJ_NS1_7vsmem_tEENKUlT_SH_SI_SJ_E_clIPiSB_SC_SC_EESG_SW_SH_SI_SJ_EUlSW_E1_NS1_11comp_targetILNS1_3genE9ELNS1_11target_archE1100ELNS1_3gpuE3ELNS1_3repE0EEENS1_36merge_oddeven_config_static_selectorELNS0_4arch9wavefront6targetE0EEEvSI_.num_vgpr, 0
	.set _ZN7rocprim17ROCPRIM_400000_NS6detail17trampoline_kernelINS0_14default_configENS1_38merge_sort_block_merge_config_selectorIiNS0_10empty_typeEEEZZNS1_27merge_sort_block_merge_implIS3_N6thrust23THRUST_200600_302600_NS10device_ptrIiEEPS5_jNS1_19radix_merge_compareILb0ELb0EiNS0_19identity_decomposerEEEEE10hipError_tT0_T1_T2_jT3_P12ihipStream_tbPNSt15iterator_traitsISH_E10value_typeEPNSN_ISI_E10value_typeEPSJ_NS1_7vsmem_tEENKUlT_SH_SI_SJ_E_clIPiSB_SC_SC_EESG_SW_SH_SI_SJ_EUlSW_E1_NS1_11comp_targetILNS1_3genE9ELNS1_11target_archE1100ELNS1_3gpuE3ELNS1_3repE0EEENS1_36merge_oddeven_config_static_selectorELNS0_4arch9wavefront6targetE0EEEvSI_.num_agpr, 0
	.set _ZN7rocprim17ROCPRIM_400000_NS6detail17trampoline_kernelINS0_14default_configENS1_38merge_sort_block_merge_config_selectorIiNS0_10empty_typeEEEZZNS1_27merge_sort_block_merge_implIS3_N6thrust23THRUST_200600_302600_NS10device_ptrIiEEPS5_jNS1_19radix_merge_compareILb0ELb0EiNS0_19identity_decomposerEEEEE10hipError_tT0_T1_T2_jT3_P12ihipStream_tbPNSt15iterator_traitsISH_E10value_typeEPNSN_ISI_E10value_typeEPSJ_NS1_7vsmem_tEENKUlT_SH_SI_SJ_E_clIPiSB_SC_SC_EESG_SW_SH_SI_SJ_EUlSW_E1_NS1_11comp_targetILNS1_3genE9ELNS1_11target_archE1100ELNS1_3gpuE3ELNS1_3repE0EEENS1_36merge_oddeven_config_static_selectorELNS0_4arch9wavefront6targetE0EEEvSI_.numbered_sgpr, 0
	.set _ZN7rocprim17ROCPRIM_400000_NS6detail17trampoline_kernelINS0_14default_configENS1_38merge_sort_block_merge_config_selectorIiNS0_10empty_typeEEEZZNS1_27merge_sort_block_merge_implIS3_N6thrust23THRUST_200600_302600_NS10device_ptrIiEEPS5_jNS1_19radix_merge_compareILb0ELb0EiNS0_19identity_decomposerEEEEE10hipError_tT0_T1_T2_jT3_P12ihipStream_tbPNSt15iterator_traitsISH_E10value_typeEPNSN_ISI_E10value_typeEPSJ_NS1_7vsmem_tEENKUlT_SH_SI_SJ_E_clIPiSB_SC_SC_EESG_SW_SH_SI_SJ_EUlSW_E1_NS1_11comp_targetILNS1_3genE9ELNS1_11target_archE1100ELNS1_3gpuE3ELNS1_3repE0EEENS1_36merge_oddeven_config_static_selectorELNS0_4arch9wavefront6targetE0EEEvSI_.num_named_barrier, 0
	.set _ZN7rocprim17ROCPRIM_400000_NS6detail17trampoline_kernelINS0_14default_configENS1_38merge_sort_block_merge_config_selectorIiNS0_10empty_typeEEEZZNS1_27merge_sort_block_merge_implIS3_N6thrust23THRUST_200600_302600_NS10device_ptrIiEEPS5_jNS1_19radix_merge_compareILb0ELb0EiNS0_19identity_decomposerEEEEE10hipError_tT0_T1_T2_jT3_P12ihipStream_tbPNSt15iterator_traitsISH_E10value_typeEPNSN_ISI_E10value_typeEPSJ_NS1_7vsmem_tEENKUlT_SH_SI_SJ_E_clIPiSB_SC_SC_EESG_SW_SH_SI_SJ_EUlSW_E1_NS1_11comp_targetILNS1_3genE9ELNS1_11target_archE1100ELNS1_3gpuE3ELNS1_3repE0EEENS1_36merge_oddeven_config_static_selectorELNS0_4arch9wavefront6targetE0EEEvSI_.private_seg_size, 0
	.set _ZN7rocprim17ROCPRIM_400000_NS6detail17trampoline_kernelINS0_14default_configENS1_38merge_sort_block_merge_config_selectorIiNS0_10empty_typeEEEZZNS1_27merge_sort_block_merge_implIS3_N6thrust23THRUST_200600_302600_NS10device_ptrIiEEPS5_jNS1_19radix_merge_compareILb0ELb0EiNS0_19identity_decomposerEEEEE10hipError_tT0_T1_T2_jT3_P12ihipStream_tbPNSt15iterator_traitsISH_E10value_typeEPNSN_ISI_E10value_typeEPSJ_NS1_7vsmem_tEENKUlT_SH_SI_SJ_E_clIPiSB_SC_SC_EESG_SW_SH_SI_SJ_EUlSW_E1_NS1_11comp_targetILNS1_3genE9ELNS1_11target_archE1100ELNS1_3gpuE3ELNS1_3repE0EEENS1_36merge_oddeven_config_static_selectorELNS0_4arch9wavefront6targetE0EEEvSI_.uses_vcc, 0
	.set _ZN7rocprim17ROCPRIM_400000_NS6detail17trampoline_kernelINS0_14default_configENS1_38merge_sort_block_merge_config_selectorIiNS0_10empty_typeEEEZZNS1_27merge_sort_block_merge_implIS3_N6thrust23THRUST_200600_302600_NS10device_ptrIiEEPS5_jNS1_19radix_merge_compareILb0ELb0EiNS0_19identity_decomposerEEEEE10hipError_tT0_T1_T2_jT3_P12ihipStream_tbPNSt15iterator_traitsISH_E10value_typeEPNSN_ISI_E10value_typeEPSJ_NS1_7vsmem_tEENKUlT_SH_SI_SJ_E_clIPiSB_SC_SC_EESG_SW_SH_SI_SJ_EUlSW_E1_NS1_11comp_targetILNS1_3genE9ELNS1_11target_archE1100ELNS1_3gpuE3ELNS1_3repE0EEENS1_36merge_oddeven_config_static_selectorELNS0_4arch9wavefront6targetE0EEEvSI_.uses_flat_scratch, 0
	.set _ZN7rocprim17ROCPRIM_400000_NS6detail17trampoline_kernelINS0_14default_configENS1_38merge_sort_block_merge_config_selectorIiNS0_10empty_typeEEEZZNS1_27merge_sort_block_merge_implIS3_N6thrust23THRUST_200600_302600_NS10device_ptrIiEEPS5_jNS1_19radix_merge_compareILb0ELb0EiNS0_19identity_decomposerEEEEE10hipError_tT0_T1_T2_jT3_P12ihipStream_tbPNSt15iterator_traitsISH_E10value_typeEPNSN_ISI_E10value_typeEPSJ_NS1_7vsmem_tEENKUlT_SH_SI_SJ_E_clIPiSB_SC_SC_EESG_SW_SH_SI_SJ_EUlSW_E1_NS1_11comp_targetILNS1_3genE9ELNS1_11target_archE1100ELNS1_3gpuE3ELNS1_3repE0EEENS1_36merge_oddeven_config_static_selectorELNS0_4arch9wavefront6targetE0EEEvSI_.has_dyn_sized_stack, 0
	.set _ZN7rocprim17ROCPRIM_400000_NS6detail17trampoline_kernelINS0_14default_configENS1_38merge_sort_block_merge_config_selectorIiNS0_10empty_typeEEEZZNS1_27merge_sort_block_merge_implIS3_N6thrust23THRUST_200600_302600_NS10device_ptrIiEEPS5_jNS1_19radix_merge_compareILb0ELb0EiNS0_19identity_decomposerEEEEE10hipError_tT0_T1_T2_jT3_P12ihipStream_tbPNSt15iterator_traitsISH_E10value_typeEPNSN_ISI_E10value_typeEPSJ_NS1_7vsmem_tEENKUlT_SH_SI_SJ_E_clIPiSB_SC_SC_EESG_SW_SH_SI_SJ_EUlSW_E1_NS1_11comp_targetILNS1_3genE9ELNS1_11target_archE1100ELNS1_3gpuE3ELNS1_3repE0EEENS1_36merge_oddeven_config_static_selectorELNS0_4arch9wavefront6targetE0EEEvSI_.has_recursion, 0
	.set _ZN7rocprim17ROCPRIM_400000_NS6detail17trampoline_kernelINS0_14default_configENS1_38merge_sort_block_merge_config_selectorIiNS0_10empty_typeEEEZZNS1_27merge_sort_block_merge_implIS3_N6thrust23THRUST_200600_302600_NS10device_ptrIiEEPS5_jNS1_19radix_merge_compareILb0ELb0EiNS0_19identity_decomposerEEEEE10hipError_tT0_T1_T2_jT3_P12ihipStream_tbPNSt15iterator_traitsISH_E10value_typeEPNSN_ISI_E10value_typeEPSJ_NS1_7vsmem_tEENKUlT_SH_SI_SJ_E_clIPiSB_SC_SC_EESG_SW_SH_SI_SJ_EUlSW_E1_NS1_11comp_targetILNS1_3genE9ELNS1_11target_archE1100ELNS1_3gpuE3ELNS1_3repE0EEENS1_36merge_oddeven_config_static_selectorELNS0_4arch9wavefront6targetE0EEEvSI_.has_indirect_call, 0
	.section	.AMDGPU.csdata,"",@progbits
; Kernel info:
; codeLenInByte = 0
; TotalNumSgprs: 0
; NumVgprs: 0
; ScratchSize: 0
; MemoryBound: 0
; FloatMode: 240
; IeeeMode: 1
; LDSByteSize: 0 bytes/workgroup (compile time only)
; SGPRBlocks: 0
; VGPRBlocks: 0
; NumSGPRsForWavesPerEU: 1
; NumVGPRsForWavesPerEU: 1
; Occupancy: 16
; WaveLimiterHint : 0
; COMPUTE_PGM_RSRC2:SCRATCH_EN: 0
; COMPUTE_PGM_RSRC2:USER_SGPR: 6
; COMPUTE_PGM_RSRC2:TRAP_HANDLER: 0
; COMPUTE_PGM_RSRC2:TGID_X_EN: 1
; COMPUTE_PGM_RSRC2:TGID_Y_EN: 0
; COMPUTE_PGM_RSRC2:TGID_Z_EN: 0
; COMPUTE_PGM_RSRC2:TIDIG_COMP_CNT: 0
	.section	.text._ZN7rocprim17ROCPRIM_400000_NS6detail17trampoline_kernelINS0_14default_configENS1_38merge_sort_block_merge_config_selectorIiNS0_10empty_typeEEEZZNS1_27merge_sort_block_merge_implIS3_N6thrust23THRUST_200600_302600_NS10device_ptrIiEEPS5_jNS1_19radix_merge_compareILb0ELb0EiNS0_19identity_decomposerEEEEE10hipError_tT0_T1_T2_jT3_P12ihipStream_tbPNSt15iterator_traitsISH_E10value_typeEPNSN_ISI_E10value_typeEPSJ_NS1_7vsmem_tEENKUlT_SH_SI_SJ_E_clIPiSB_SC_SC_EESG_SW_SH_SI_SJ_EUlSW_E1_NS1_11comp_targetILNS1_3genE8ELNS1_11target_archE1030ELNS1_3gpuE2ELNS1_3repE0EEENS1_36merge_oddeven_config_static_selectorELNS0_4arch9wavefront6targetE0EEEvSI_,"axG",@progbits,_ZN7rocprim17ROCPRIM_400000_NS6detail17trampoline_kernelINS0_14default_configENS1_38merge_sort_block_merge_config_selectorIiNS0_10empty_typeEEEZZNS1_27merge_sort_block_merge_implIS3_N6thrust23THRUST_200600_302600_NS10device_ptrIiEEPS5_jNS1_19radix_merge_compareILb0ELb0EiNS0_19identity_decomposerEEEEE10hipError_tT0_T1_T2_jT3_P12ihipStream_tbPNSt15iterator_traitsISH_E10value_typeEPNSN_ISI_E10value_typeEPSJ_NS1_7vsmem_tEENKUlT_SH_SI_SJ_E_clIPiSB_SC_SC_EESG_SW_SH_SI_SJ_EUlSW_E1_NS1_11comp_targetILNS1_3genE8ELNS1_11target_archE1030ELNS1_3gpuE2ELNS1_3repE0EEENS1_36merge_oddeven_config_static_selectorELNS0_4arch9wavefront6targetE0EEEvSI_,comdat
	.protected	_ZN7rocprim17ROCPRIM_400000_NS6detail17trampoline_kernelINS0_14default_configENS1_38merge_sort_block_merge_config_selectorIiNS0_10empty_typeEEEZZNS1_27merge_sort_block_merge_implIS3_N6thrust23THRUST_200600_302600_NS10device_ptrIiEEPS5_jNS1_19radix_merge_compareILb0ELb0EiNS0_19identity_decomposerEEEEE10hipError_tT0_T1_T2_jT3_P12ihipStream_tbPNSt15iterator_traitsISH_E10value_typeEPNSN_ISI_E10value_typeEPSJ_NS1_7vsmem_tEENKUlT_SH_SI_SJ_E_clIPiSB_SC_SC_EESG_SW_SH_SI_SJ_EUlSW_E1_NS1_11comp_targetILNS1_3genE8ELNS1_11target_archE1030ELNS1_3gpuE2ELNS1_3repE0EEENS1_36merge_oddeven_config_static_selectorELNS0_4arch9wavefront6targetE0EEEvSI_ ; -- Begin function _ZN7rocprim17ROCPRIM_400000_NS6detail17trampoline_kernelINS0_14default_configENS1_38merge_sort_block_merge_config_selectorIiNS0_10empty_typeEEEZZNS1_27merge_sort_block_merge_implIS3_N6thrust23THRUST_200600_302600_NS10device_ptrIiEEPS5_jNS1_19radix_merge_compareILb0ELb0EiNS0_19identity_decomposerEEEEE10hipError_tT0_T1_T2_jT3_P12ihipStream_tbPNSt15iterator_traitsISH_E10value_typeEPNSN_ISI_E10value_typeEPSJ_NS1_7vsmem_tEENKUlT_SH_SI_SJ_E_clIPiSB_SC_SC_EESG_SW_SH_SI_SJ_EUlSW_E1_NS1_11comp_targetILNS1_3genE8ELNS1_11target_archE1030ELNS1_3gpuE2ELNS1_3repE0EEENS1_36merge_oddeven_config_static_selectorELNS0_4arch9wavefront6targetE0EEEvSI_
	.globl	_ZN7rocprim17ROCPRIM_400000_NS6detail17trampoline_kernelINS0_14default_configENS1_38merge_sort_block_merge_config_selectorIiNS0_10empty_typeEEEZZNS1_27merge_sort_block_merge_implIS3_N6thrust23THRUST_200600_302600_NS10device_ptrIiEEPS5_jNS1_19radix_merge_compareILb0ELb0EiNS0_19identity_decomposerEEEEE10hipError_tT0_T1_T2_jT3_P12ihipStream_tbPNSt15iterator_traitsISH_E10value_typeEPNSN_ISI_E10value_typeEPSJ_NS1_7vsmem_tEENKUlT_SH_SI_SJ_E_clIPiSB_SC_SC_EESG_SW_SH_SI_SJ_EUlSW_E1_NS1_11comp_targetILNS1_3genE8ELNS1_11target_archE1030ELNS1_3gpuE2ELNS1_3repE0EEENS1_36merge_oddeven_config_static_selectorELNS0_4arch9wavefront6targetE0EEEvSI_
	.p2align	8
	.type	_ZN7rocprim17ROCPRIM_400000_NS6detail17trampoline_kernelINS0_14default_configENS1_38merge_sort_block_merge_config_selectorIiNS0_10empty_typeEEEZZNS1_27merge_sort_block_merge_implIS3_N6thrust23THRUST_200600_302600_NS10device_ptrIiEEPS5_jNS1_19radix_merge_compareILb0ELb0EiNS0_19identity_decomposerEEEEE10hipError_tT0_T1_T2_jT3_P12ihipStream_tbPNSt15iterator_traitsISH_E10value_typeEPNSN_ISI_E10value_typeEPSJ_NS1_7vsmem_tEENKUlT_SH_SI_SJ_E_clIPiSB_SC_SC_EESG_SW_SH_SI_SJ_EUlSW_E1_NS1_11comp_targetILNS1_3genE8ELNS1_11target_archE1030ELNS1_3gpuE2ELNS1_3repE0EEENS1_36merge_oddeven_config_static_selectorELNS0_4arch9wavefront6targetE0EEEvSI_,@function
_ZN7rocprim17ROCPRIM_400000_NS6detail17trampoline_kernelINS0_14default_configENS1_38merge_sort_block_merge_config_selectorIiNS0_10empty_typeEEEZZNS1_27merge_sort_block_merge_implIS3_N6thrust23THRUST_200600_302600_NS10device_ptrIiEEPS5_jNS1_19radix_merge_compareILb0ELb0EiNS0_19identity_decomposerEEEEE10hipError_tT0_T1_T2_jT3_P12ihipStream_tbPNSt15iterator_traitsISH_E10value_typeEPNSN_ISI_E10value_typeEPSJ_NS1_7vsmem_tEENKUlT_SH_SI_SJ_E_clIPiSB_SC_SC_EESG_SW_SH_SI_SJ_EUlSW_E1_NS1_11comp_targetILNS1_3genE8ELNS1_11target_archE1030ELNS1_3gpuE2ELNS1_3repE0EEENS1_36merge_oddeven_config_static_selectorELNS0_4arch9wavefront6targetE0EEEvSI_: ; @_ZN7rocprim17ROCPRIM_400000_NS6detail17trampoline_kernelINS0_14default_configENS1_38merge_sort_block_merge_config_selectorIiNS0_10empty_typeEEEZZNS1_27merge_sort_block_merge_implIS3_N6thrust23THRUST_200600_302600_NS10device_ptrIiEEPS5_jNS1_19radix_merge_compareILb0ELb0EiNS0_19identity_decomposerEEEEE10hipError_tT0_T1_T2_jT3_P12ihipStream_tbPNSt15iterator_traitsISH_E10value_typeEPNSN_ISI_E10value_typeEPSJ_NS1_7vsmem_tEENKUlT_SH_SI_SJ_E_clIPiSB_SC_SC_EESG_SW_SH_SI_SJ_EUlSW_E1_NS1_11comp_targetILNS1_3genE8ELNS1_11target_archE1030ELNS1_3gpuE2ELNS1_3repE0EEENS1_36merge_oddeven_config_static_selectorELNS0_4arch9wavefront6targetE0EEEvSI_
; %bb.0:
	s_load_dword s7, s[4:5], 0x20
	s_waitcnt lgkmcnt(0)
	s_lshr_b32 s0, s7, 8
	s_cmp_lg_u32 s6, s0
	s_cselect_b32 s13, -1, 0
	s_cmp_eq_u32 s6, s0
	s_cselect_b32 s12, -1, 0
	s_lshl_b32 s2, s6, 8
	s_sub_i32 s0, s7, s2
	v_cmp_gt_u32_e64 s1, s0, v0
	s_or_b32 s0, s13, s1
	s_and_saveexec_b32 s3, s0
	s_cbranch_execz .LBB1135_20
; %bb.1:
	s_load_dwordx4 s[8:11], s[4:5], 0x0
	s_mov_b32 s3, 0
	v_lshlrev_b32_e32 v1, 2, v0
	s_lshl_b64 s[14:15], s[2:3], 2
	s_load_dword s5, s[4:5], 0x24
	v_add_nc_u32_e32 v0, s2, v0
	s_waitcnt lgkmcnt(0)
	s_add_u32 s14, s8, s14
	s_addc_u32 s15, s9, s15
	global_load_dword v2, v1, s[14:15]
	s_lshr_b32 s0, s5, 8
	s_sub_i32 s4, 0, s0
	s_and_b32 s4, s6, s4
	s_and_b32 s0, s4, s0
	s_lshl_b32 s6, s4, 8
	s_sub_i32 s4, 0, s5
	s_cmp_eq_u32 s0, 0
	s_cselect_b32 s0, -1, 0
	s_and_b32 s14, s0, exec_lo
	s_cselect_b32 s4, s5, s4
	s_add_i32 s4, s4, s6
	s_cmp_gt_u32 s7, s4
	s_cbranch_scc1 .LBB1135_3
; %bb.2:
	v_cmp_gt_u32_e32 vcc_lo, s7, v0
	s_or_b32 s3, vcc_lo, s13
	s_and_b32 s3, s3, exec_lo
	s_cbranch_execz .LBB1135_4
	s_branch .LBB1135_18
.LBB1135_3:
.LBB1135_4:
	s_min_u32 s2, s4, s7
	s_and_b32 vcc_lo, exec_lo, s12
	s_add_i32 s13, s6, s2
	s_min_u32 s6, s6, s2
	v_subrev_nc_u32_e32 v0, s13, v0
	s_add_i32 s5, s2, s5
	s_min_u32 s5, s5, s7
	v_add_nc_u32_e32 v3, s6, v0
	s_cbranch_vccz .LBB1135_12
; %bb.5:
                                        ; implicit-def: $vgpr0
	s_and_saveexec_b32 s6, s1
	s_cbranch_execz .LBB1135_11
; %bb.6:
	v_mov_b32_e32 v4, s2
	s_cmp_ge_u32 s4, s5
	s_cbranch_scc1 .LBB1135_10
; %bb.7:
	v_mov_b32_e32 v5, s5
	v_mov_b32_e32 v4, s2
	;; [unrolled: 1-line block ×3, first 2 shown]
	s_mov_b32 s1, 0
	.p2align	6
.LBB1135_8:                             ; =>This Inner Loop Header: Depth=1
	v_add_nc_u32_e32 v0, v4, v5
	v_lshrrev_b32_e32 v0, 1, v0
	v_lshlrev_b64 v[6:7], 2, v[0:1]
	v_add_co_u32 v6, vcc_lo, s8, v6
	v_add_co_ci_u32_e64 v7, null, s9, v7, vcc_lo
	global_load_dword v6, v[6:7], off
	s_waitcnt vmcnt(0)
	v_cmp_gt_i32_e32 vcc_lo, v2, v6
	v_cndmask_b32_e64 v7, 0, 1, vcc_lo
	v_cmp_le_i32_e32 vcc_lo, v6, v2
	v_cndmask_b32_e64 v6, 0, 1, vcc_lo
	v_cndmask_b32_e64 v6, v6, v7, s0
	v_add_nc_u32_e32 v7, 1, v0
	v_and_b32_e32 v6, 1, v6
	v_cmp_eq_u32_e32 vcc_lo, 1, v6
	v_cndmask_b32_e32 v5, v0, v5, vcc_lo
	v_cndmask_b32_e32 v4, v4, v7, vcc_lo
	v_cmp_ge_u32_e32 vcc_lo, v4, v5
	s_or_b32 s1, vcc_lo, s1
	s_andn2_b32 exec_lo, exec_lo, s1
	s_cbranch_execnz .LBB1135_8
; %bb.9:
	s_or_b32 exec_lo, exec_lo, s1
.LBB1135_10:
	v_add_nc_u32_e32 v0, v4, v3
	s_or_b32 s3, s3, exec_lo
.LBB1135_11:
	s_or_b32 exec_lo, exec_lo, s6
	s_branch .LBB1135_18
.LBB1135_12:
                                        ; implicit-def: $vgpr0
	s_cbranch_execz .LBB1135_18
; %bb.13:
	v_mov_b32_e32 v4, s2
	s_cmp_ge_u32 s4, s5
	s_cbranch_scc1 .LBB1135_17
; %bb.14:
	v_mov_b32_e32 v5, s5
	v_mov_b32_e32 v4, s2
	;; [unrolled: 1-line block ×3, first 2 shown]
	s_mov_b32 s1, 0
	.p2align	6
.LBB1135_15:                            ; =>This Inner Loop Header: Depth=1
	v_add_nc_u32_e32 v0, v4, v5
	v_lshrrev_b32_e32 v0, 1, v0
	v_lshlrev_b64 v[6:7], 2, v[0:1]
	v_add_co_u32 v6, vcc_lo, s8, v6
	v_add_co_ci_u32_e64 v7, null, s9, v7, vcc_lo
	global_load_dword v6, v[6:7], off
	s_waitcnt vmcnt(0)
	v_cmp_gt_i32_e32 vcc_lo, v2, v6
	v_cndmask_b32_e64 v7, 0, 1, vcc_lo
	v_cmp_le_i32_e32 vcc_lo, v6, v2
	v_cndmask_b32_e64 v6, 0, 1, vcc_lo
	v_cndmask_b32_e64 v6, v6, v7, s0
	v_add_nc_u32_e32 v7, 1, v0
	v_and_b32_e32 v6, 1, v6
	v_cmp_eq_u32_e32 vcc_lo, 1, v6
	v_cndmask_b32_e32 v5, v0, v5, vcc_lo
	v_cndmask_b32_e32 v4, v4, v7, vcc_lo
	v_cmp_ge_u32_e32 vcc_lo, v4, v5
	s_or_b32 s1, vcc_lo, s1
	s_andn2_b32 exec_lo, exec_lo, s1
	s_cbranch_execnz .LBB1135_15
; %bb.16:
	s_or_b32 exec_lo, exec_lo, s1
.LBB1135_17:
	v_add_nc_u32_e32 v0, v4, v3
	s_mov_b32 s3, -1
.LBB1135_18:
	s_and_b32 exec_lo, exec_lo, s3
	s_cbranch_execz .LBB1135_20
; %bb.19:
	v_mov_b32_e32 v1, 0
	v_lshlrev_b64 v[0:1], 2, v[0:1]
	v_add_co_u32 v0, vcc_lo, s10, v0
	v_add_co_ci_u32_e64 v1, null, s11, v1, vcc_lo
	s_waitcnt vmcnt(0)
	global_store_dword v[0:1], v2, off
.LBB1135_20:
	s_endpgm
	.section	.rodata,"a",@progbits
	.p2align	6, 0x0
	.amdhsa_kernel _ZN7rocprim17ROCPRIM_400000_NS6detail17trampoline_kernelINS0_14default_configENS1_38merge_sort_block_merge_config_selectorIiNS0_10empty_typeEEEZZNS1_27merge_sort_block_merge_implIS3_N6thrust23THRUST_200600_302600_NS10device_ptrIiEEPS5_jNS1_19radix_merge_compareILb0ELb0EiNS0_19identity_decomposerEEEEE10hipError_tT0_T1_T2_jT3_P12ihipStream_tbPNSt15iterator_traitsISH_E10value_typeEPNSN_ISI_E10value_typeEPSJ_NS1_7vsmem_tEENKUlT_SH_SI_SJ_E_clIPiSB_SC_SC_EESG_SW_SH_SI_SJ_EUlSW_E1_NS1_11comp_targetILNS1_3genE8ELNS1_11target_archE1030ELNS1_3gpuE2ELNS1_3repE0EEENS1_36merge_oddeven_config_static_selectorELNS0_4arch9wavefront6targetE0EEEvSI_
		.amdhsa_group_segment_fixed_size 0
		.amdhsa_private_segment_fixed_size 0
		.amdhsa_kernarg_size 48
		.amdhsa_user_sgpr_count 6
		.amdhsa_user_sgpr_private_segment_buffer 1
		.amdhsa_user_sgpr_dispatch_ptr 0
		.amdhsa_user_sgpr_queue_ptr 0
		.amdhsa_user_sgpr_kernarg_segment_ptr 1
		.amdhsa_user_sgpr_dispatch_id 0
		.amdhsa_user_sgpr_flat_scratch_init 0
		.amdhsa_user_sgpr_private_segment_size 0
		.amdhsa_wavefront_size32 1
		.amdhsa_uses_dynamic_stack 0
		.amdhsa_system_sgpr_private_segment_wavefront_offset 0
		.amdhsa_system_sgpr_workgroup_id_x 1
		.amdhsa_system_sgpr_workgroup_id_y 0
		.amdhsa_system_sgpr_workgroup_id_z 0
		.amdhsa_system_sgpr_workgroup_info 0
		.amdhsa_system_vgpr_workitem_id 0
		.amdhsa_next_free_vgpr 8
		.amdhsa_next_free_sgpr 16
		.amdhsa_reserve_vcc 1
		.amdhsa_reserve_flat_scratch 0
		.amdhsa_float_round_mode_32 0
		.amdhsa_float_round_mode_16_64 0
		.amdhsa_float_denorm_mode_32 3
		.amdhsa_float_denorm_mode_16_64 3
		.amdhsa_dx10_clamp 1
		.amdhsa_ieee_mode 1
		.amdhsa_fp16_overflow 0
		.amdhsa_workgroup_processor_mode 1
		.amdhsa_memory_ordered 1
		.amdhsa_forward_progress 1
		.amdhsa_shared_vgpr_count 0
		.amdhsa_exception_fp_ieee_invalid_op 0
		.amdhsa_exception_fp_denorm_src 0
		.amdhsa_exception_fp_ieee_div_zero 0
		.amdhsa_exception_fp_ieee_overflow 0
		.amdhsa_exception_fp_ieee_underflow 0
		.amdhsa_exception_fp_ieee_inexact 0
		.amdhsa_exception_int_div_zero 0
	.end_amdhsa_kernel
	.section	.text._ZN7rocprim17ROCPRIM_400000_NS6detail17trampoline_kernelINS0_14default_configENS1_38merge_sort_block_merge_config_selectorIiNS0_10empty_typeEEEZZNS1_27merge_sort_block_merge_implIS3_N6thrust23THRUST_200600_302600_NS10device_ptrIiEEPS5_jNS1_19radix_merge_compareILb0ELb0EiNS0_19identity_decomposerEEEEE10hipError_tT0_T1_T2_jT3_P12ihipStream_tbPNSt15iterator_traitsISH_E10value_typeEPNSN_ISI_E10value_typeEPSJ_NS1_7vsmem_tEENKUlT_SH_SI_SJ_E_clIPiSB_SC_SC_EESG_SW_SH_SI_SJ_EUlSW_E1_NS1_11comp_targetILNS1_3genE8ELNS1_11target_archE1030ELNS1_3gpuE2ELNS1_3repE0EEENS1_36merge_oddeven_config_static_selectorELNS0_4arch9wavefront6targetE0EEEvSI_,"axG",@progbits,_ZN7rocprim17ROCPRIM_400000_NS6detail17trampoline_kernelINS0_14default_configENS1_38merge_sort_block_merge_config_selectorIiNS0_10empty_typeEEEZZNS1_27merge_sort_block_merge_implIS3_N6thrust23THRUST_200600_302600_NS10device_ptrIiEEPS5_jNS1_19radix_merge_compareILb0ELb0EiNS0_19identity_decomposerEEEEE10hipError_tT0_T1_T2_jT3_P12ihipStream_tbPNSt15iterator_traitsISH_E10value_typeEPNSN_ISI_E10value_typeEPSJ_NS1_7vsmem_tEENKUlT_SH_SI_SJ_E_clIPiSB_SC_SC_EESG_SW_SH_SI_SJ_EUlSW_E1_NS1_11comp_targetILNS1_3genE8ELNS1_11target_archE1030ELNS1_3gpuE2ELNS1_3repE0EEENS1_36merge_oddeven_config_static_selectorELNS0_4arch9wavefront6targetE0EEEvSI_,comdat
.Lfunc_end1135:
	.size	_ZN7rocprim17ROCPRIM_400000_NS6detail17trampoline_kernelINS0_14default_configENS1_38merge_sort_block_merge_config_selectorIiNS0_10empty_typeEEEZZNS1_27merge_sort_block_merge_implIS3_N6thrust23THRUST_200600_302600_NS10device_ptrIiEEPS5_jNS1_19radix_merge_compareILb0ELb0EiNS0_19identity_decomposerEEEEE10hipError_tT0_T1_T2_jT3_P12ihipStream_tbPNSt15iterator_traitsISH_E10value_typeEPNSN_ISI_E10value_typeEPSJ_NS1_7vsmem_tEENKUlT_SH_SI_SJ_E_clIPiSB_SC_SC_EESG_SW_SH_SI_SJ_EUlSW_E1_NS1_11comp_targetILNS1_3genE8ELNS1_11target_archE1030ELNS1_3gpuE2ELNS1_3repE0EEENS1_36merge_oddeven_config_static_selectorELNS0_4arch9wavefront6targetE0EEEvSI_, .Lfunc_end1135-_ZN7rocprim17ROCPRIM_400000_NS6detail17trampoline_kernelINS0_14default_configENS1_38merge_sort_block_merge_config_selectorIiNS0_10empty_typeEEEZZNS1_27merge_sort_block_merge_implIS3_N6thrust23THRUST_200600_302600_NS10device_ptrIiEEPS5_jNS1_19radix_merge_compareILb0ELb0EiNS0_19identity_decomposerEEEEE10hipError_tT0_T1_T2_jT3_P12ihipStream_tbPNSt15iterator_traitsISH_E10value_typeEPNSN_ISI_E10value_typeEPSJ_NS1_7vsmem_tEENKUlT_SH_SI_SJ_E_clIPiSB_SC_SC_EESG_SW_SH_SI_SJ_EUlSW_E1_NS1_11comp_targetILNS1_3genE8ELNS1_11target_archE1030ELNS1_3gpuE2ELNS1_3repE0EEENS1_36merge_oddeven_config_static_selectorELNS0_4arch9wavefront6targetE0EEEvSI_
                                        ; -- End function
	.set _ZN7rocprim17ROCPRIM_400000_NS6detail17trampoline_kernelINS0_14default_configENS1_38merge_sort_block_merge_config_selectorIiNS0_10empty_typeEEEZZNS1_27merge_sort_block_merge_implIS3_N6thrust23THRUST_200600_302600_NS10device_ptrIiEEPS5_jNS1_19radix_merge_compareILb0ELb0EiNS0_19identity_decomposerEEEEE10hipError_tT0_T1_T2_jT3_P12ihipStream_tbPNSt15iterator_traitsISH_E10value_typeEPNSN_ISI_E10value_typeEPSJ_NS1_7vsmem_tEENKUlT_SH_SI_SJ_E_clIPiSB_SC_SC_EESG_SW_SH_SI_SJ_EUlSW_E1_NS1_11comp_targetILNS1_3genE8ELNS1_11target_archE1030ELNS1_3gpuE2ELNS1_3repE0EEENS1_36merge_oddeven_config_static_selectorELNS0_4arch9wavefront6targetE0EEEvSI_.num_vgpr, 8
	.set _ZN7rocprim17ROCPRIM_400000_NS6detail17trampoline_kernelINS0_14default_configENS1_38merge_sort_block_merge_config_selectorIiNS0_10empty_typeEEEZZNS1_27merge_sort_block_merge_implIS3_N6thrust23THRUST_200600_302600_NS10device_ptrIiEEPS5_jNS1_19radix_merge_compareILb0ELb0EiNS0_19identity_decomposerEEEEE10hipError_tT0_T1_T2_jT3_P12ihipStream_tbPNSt15iterator_traitsISH_E10value_typeEPNSN_ISI_E10value_typeEPSJ_NS1_7vsmem_tEENKUlT_SH_SI_SJ_E_clIPiSB_SC_SC_EESG_SW_SH_SI_SJ_EUlSW_E1_NS1_11comp_targetILNS1_3genE8ELNS1_11target_archE1030ELNS1_3gpuE2ELNS1_3repE0EEENS1_36merge_oddeven_config_static_selectorELNS0_4arch9wavefront6targetE0EEEvSI_.num_agpr, 0
	.set _ZN7rocprim17ROCPRIM_400000_NS6detail17trampoline_kernelINS0_14default_configENS1_38merge_sort_block_merge_config_selectorIiNS0_10empty_typeEEEZZNS1_27merge_sort_block_merge_implIS3_N6thrust23THRUST_200600_302600_NS10device_ptrIiEEPS5_jNS1_19radix_merge_compareILb0ELb0EiNS0_19identity_decomposerEEEEE10hipError_tT0_T1_T2_jT3_P12ihipStream_tbPNSt15iterator_traitsISH_E10value_typeEPNSN_ISI_E10value_typeEPSJ_NS1_7vsmem_tEENKUlT_SH_SI_SJ_E_clIPiSB_SC_SC_EESG_SW_SH_SI_SJ_EUlSW_E1_NS1_11comp_targetILNS1_3genE8ELNS1_11target_archE1030ELNS1_3gpuE2ELNS1_3repE0EEENS1_36merge_oddeven_config_static_selectorELNS0_4arch9wavefront6targetE0EEEvSI_.numbered_sgpr, 16
	.set _ZN7rocprim17ROCPRIM_400000_NS6detail17trampoline_kernelINS0_14default_configENS1_38merge_sort_block_merge_config_selectorIiNS0_10empty_typeEEEZZNS1_27merge_sort_block_merge_implIS3_N6thrust23THRUST_200600_302600_NS10device_ptrIiEEPS5_jNS1_19radix_merge_compareILb0ELb0EiNS0_19identity_decomposerEEEEE10hipError_tT0_T1_T2_jT3_P12ihipStream_tbPNSt15iterator_traitsISH_E10value_typeEPNSN_ISI_E10value_typeEPSJ_NS1_7vsmem_tEENKUlT_SH_SI_SJ_E_clIPiSB_SC_SC_EESG_SW_SH_SI_SJ_EUlSW_E1_NS1_11comp_targetILNS1_3genE8ELNS1_11target_archE1030ELNS1_3gpuE2ELNS1_3repE0EEENS1_36merge_oddeven_config_static_selectorELNS0_4arch9wavefront6targetE0EEEvSI_.num_named_barrier, 0
	.set _ZN7rocprim17ROCPRIM_400000_NS6detail17trampoline_kernelINS0_14default_configENS1_38merge_sort_block_merge_config_selectorIiNS0_10empty_typeEEEZZNS1_27merge_sort_block_merge_implIS3_N6thrust23THRUST_200600_302600_NS10device_ptrIiEEPS5_jNS1_19radix_merge_compareILb0ELb0EiNS0_19identity_decomposerEEEEE10hipError_tT0_T1_T2_jT3_P12ihipStream_tbPNSt15iterator_traitsISH_E10value_typeEPNSN_ISI_E10value_typeEPSJ_NS1_7vsmem_tEENKUlT_SH_SI_SJ_E_clIPiSB_SC_SC_EESG_SW_SH_SI_SJ_EUlSW_E1_NS1_11comp_targetILNS1_3genE8ELNS1_11target_archE1030ELNS1_3gpuE2ELNS1_3repE0EEENS1_36merge_oddeven_config_static_selectorELNS0_4arch9wavefront6targetE0EEEvSI_.private_seg_size, 0
	.set _ZN7rocprim17ROCPRIM_400000_NS6detail17trampoline_kernelINS0_14default_configENS1_38merge_sort_block_merge_config_selectorIiNS0_10empty_typeEEEZZNS1_27merge_sort_block_merge_implIS3_N6thrust23THRUST_200600_302600_NS10device_ptrIiEEPS5_jNS1_19radix_merge_compareILb0ELb0EiNS0_19identity_decomposerEEEEE10hipError_tT0_T1_T2_jT3_P12ihipStream_tbPNSt15iterator_traitsISH_E10value_typeEPNSN_ISI_E10value_typeEPSJ_NS1_7vsmem_tEENKUlT_SH_SI_SJ_E_clIPiSB_SC_SC_EESG_SW_SH_SI_SJ_EUlSW_E1_NS1_11comp_targetILNS1_3genE8ELNS1_11target_archE1030ELNS1_3gpuE2ELNS1_3repE0EEENS1_36merge_oddeven_config_static_selectorELNS0_4arch9wavefront6targetE0EEEvSI_.uses_vcc, 1
	.set _ZN7rocprim17ROCPRIM_400000_NS6detail17trampoline_kernelINS0_14default_configENS1_38merge_sort_block_merge_config_selectorIiNS0_10empty_typeEEEZZNS1_27merge_sort_block_merge_implIS3_N6thrust23THRUST_200600_302600_NS10device_ptrIiEEPS5_jNS1_19radix_merge_compareILb0ELb0EiNS0_19identity_decomposerEEEEE10hipError_tT0_T1_T2_jT3_P12ihipStream_tbPNSt15iterator_traitsISH_E10value_typeEPNSN_ISI_E10value_typeEPSJ_NS1_7vsmem_tEENKUlT_SH_SI_SJ_E_clIPiSB_SC_SC_EESG_SW_SH_SI_SJ_EUlSW_E1_NS1_11comp_targetILNS1_3genE8ELNS1_11target_archE1030ELNS1_3gpuE2ELNS1_3repE0EEENS1_36merge_oddeven_config_static_selectorELNS0_4arch9wavefront6targetE0EEEvSI_.uses_flat_scratch, 0
	.set _ZN7rocprim17ROCPRIM_400000_NS6detail17trampoline_kernelINS0_14default_configENS1_38merge_sort_block_merge_config_selectorIiNS0_10empty_typeEEEZZNS1_27merge_sort_block_merge_implIS3_N6thrust23THRUST_200600_302600_NS10device_ptrIiEEPS5_jNS1_19radix_merge_compareILb0ELb0EiNS0_19identity_decomposerEEEEE10hipError_tT0_T1_T2_jT3_P12ihipStream_tbPNSt15iterator_traitsISH_E10value_typeEPNSN_ISI_E10value_typeEPSJ_NS1_7vsmem_tEENKUlT_SH_SI_SJ_E_clIPiSB_SC_SC_EESG_SW_SH_SI_SJ_EUlSW_E1_NS1_11comp_targetILNS1_3genE8ELNS1_11target_archE1030ELNS1_3gpuE2ELNS1_3repE0EEENS1_36merge_oddeven_config_static_selectorELNS0_4arch9wavefront6targetE0EEEvSI_.has_dyn_sized_stack, 0
	.set _ZN7rocprim17ROCPRIM_400000_NS6detail17trampoline_kernelINS0_14default_configENS1_38merge_sort_block_merge_config_selectorIiNS0_10empty_typeEEEZZNS1_27merge_sort_block_merge_implIS3_N6thrust23THRUST_200600_302600_NS10device_ptrIiEEPS5_jNS1_19radix_merge_compareILb0ELb0EiNS0_19identity_decomposerEEEEE10hipError_tT0_T1_T2_jT3_P12ihipStream_tbPNSt15iterator_traitsISH_E10value_typeEPNSN_ISI_E10value_typeEPSJ_NS1_7vsmem_tEENKUlT_SH_SI_SJ_E_clIPiSB_SC_SC_EESG_SW_SH_SI_SJ_EUlSW_E1_NS1_11comp_targetILNS1_3genE8ELNS1_11target_archE1030ELNS1_3gpuE2ELNS1_3repE0EEENS1_36merge_oddeven_config_static_selectorELNS0_4arch9wavefront6targetE0EEEvSI_.has_recursion, 0
	.set _ZN7rocprim17ROCPRIM_400000_NS6detail17trampoline_kernelINS0_14default_configENS1_38merge_sort_block_merge_config_selectorIiNS0_10empty_typeEEEZZNS1_27merge_sort_block_merge_implIS3_N6thrust23THRUST_200600_302600_NS10device_ptrIiEEPS5_jNS1_19radix_merge_compareILb0ELb0EiNS0_19identity_decomposerEEEEE10hipError_tT0_T1_T2_jT3_P12ihipStream_tbPNSt15iterator_traitsISH_E10value_typeEPNSN_ISI_E10value_typeEPSJ_NS1_7vsmem_tEENKUlT_SH_SI_SJ_E_clIPiSB_SC_SC_EESG_SW_SH_SI_SJ_EUlSW_E1_NS1_11comp_targetILNS1_3genE8ELNS1_11target_archE1030ELNS1_3gpuE2ELNS1_3repE0EEENS1_36merge_oddeven_config_static_selectorELNS0_4arch9wavefront6targetE0EEEvSI_.has_indirect_call, 0
	.section	.AMDGPU.csdata,"",@progbits
; Kernel info:
; codeLenInByte = 624
; TotalNumSgprs: 18
; NumVgprs: 8
; ScratchSize: 0
; MemoryBound: 0
; FloatMode: 240
; IeeeMode: 1
; LDSByteSize: 0 bytes/workgroup (compile time only)
; SGPRBlocks: 0
; VGPRBlocks: 0
; NumSGPRsForWavesPerEU: 18
; NumVGPRsForWavesPerEU: 8
; Occupancy: 16
; WaveLimiterHint : 0
; COMPUTE_PGM_RSRC2:SCRATCH_EN: 0
; COMPUTE_PGM_RSRC2:USER_SGPR: 6
; COMPUTE_PGM_RSRC2:TRAP_HANDLER: 0
; COMPUTE_PGM_RSRC2:TGID_X_EN: 1
; COMPUTE_PGM_RSRC2:TGID_Y_EN: 0
; COMPUTE_PGM_RSRC2:TGID_Z_EN: 0
; COMPUTE_PGM_RSRC2:TIDIG_COMP_CNT: 0
	.section	.text._ZN7rocprim17ROCPRIM_400000_NS6detail17trampoline_kernelINS0_14default_configENS1_38merge_sort_block_merge_config_selectorIiNS0_10empty_typeEEEZZNS1_27merge_sort_block_merge_implIS3_N6thrust23THRUST_200600_302600_NS10device_ptrIiEEPS5_jNS1_19radix_merge_compareILb0ELb0EiNS0_19identity_decomposerEEEEE10hipError_tT0_T1_T2_jT3_P12ihipStream_tbPNSt15iterator_traitsISH_E10value_typeEPNSN_ISI_E10value_typeEPSJ_NS1_7vsmem_tEENKUlT_SH_SI_SJ_E_clISB_PiSC_SC_EESG_SW_SH_SI_SJ_EUlSW_E_NS1_11comp_targetILNS1_3genE0ELNS1_11target_archE4294967295ELNS1_3gpuE0ELNS1_3repE0EEENS1_48merge_mergepath_partition_config_static_selectorELNS0_4arch9wavefront6targetE0EEEvSI_,"axG",@progbits,_ZN7rocprim17ROCPRIM_400000_NS6detail17trampoline_kernelINS0_14default_configENS1_38merge_sort_block_merge_config_selectorIiNS0_10empty_typeEEEZZNS1_27merge_sort_block_merge_implIS3_N6thrust23THRUST_200600_302600_NS10device_ptrIiEEPS5_jNS1_19radix_merge_compareILb0ELb0EiNS0_19identity_decomposerEEEEE10hipError_tT0_T1_T2_jT3_P12ihipStream_tbPNSt15iterator_traitsISH_E10value_typeEPNSN_ISI_E10value_typeEPSJ_NS1_7vsmem_tEENKUlT_SH_SI_SJ_E_clISB_PiSC_SC_EESG_SW_SH_SI_SJ_EUlSW_E_NS1_11comp_targetILNS1_3genE0ELNS1_11target_archE4294967295ELNS1_3gpuE0ELNS1_3repE0EEENS1_48merge_mergepath_partition_config_static_selectorELNS0_4arch9wavefront6targetE0EEEvSI_,comdat
	.protected	_ZN7rocprim17ROCPRIM_400000_NS6detail17trampoline_kernelINS0_14default_configENS1_38merge_sort_block_merge_config_selectorIiNS0_10empty_typeEEEZZNS1_27merge_sort_block_merge_implIS3_N6thrust23THRUST_200600_302600_NS10device_ptrIiEEPS5_jNS1_19radix_merge_compareILb0ELb0EiNS0_19identity_decomposerEEEEE10hipError_tT0_T1_T2_jT3_P12ihipStream_tbPNSt15iterator_traitsISH_E10value_typeEPNSN_ISI_E10value_typeEPSJ_NS1_7vsmem_tEENKUlT_SH_SI_SJ_E_clISB_PiSC_SC_EESG_SW_SH_SI_SJ_EUlSW_E_NS1_11comp_targetILNS1_3genE0ELNS1_11target_archE4294967295ELNS1_3gpuE0ELNS1_3repE0EEENS1_48merge_mergepath_partition_config_static_selectorELNS0_4arch9wavefront6targetE0EEEvSI_ ; -- Begin function _ZN7rocprim17ROCPRIM_400000_NS6detail17trampoline_kernelINS0_14default_configENS1_38merge_sort_block_merge_config_selectorIiNS0_10empty_typeEEEZZNS1_27merge_sort_block_merge_implIS3_N6thrust23THRUST_200600_302600_NS10device_ptrIiEEPS5_jNS1_19radix_merge_compareILb0ELb0EiNS0_19identity_decomposerEEEEE10hipError_tT0_T1_T2_jT3_P12ihipStream_tbPNSt15iterator_traitsISH_E10value_typeEPNSN_ISI_E10value_typeEPSJ_NS1_7vsmem_tEENKUlT_SH_SI_SJ_E_clISB_PiSC_SC_EESG_SW_SH_SI_SJ_EUlSW_E_NS1_11comp_targetILNS1_3genE0ELNS1_11target_archE4294967295ELNS1_3gpuE0ELNS1_3repE0EEENS1_48merge_mergepath_partition_config_static_selectorELNS0_4arch9wavefront6targetE0EEEvSI_
	.globl	_ZN7rocprim17ROCPRIM_400000_NS6detail17trampoline_kernelINS0_14default_configENS1_38merge_sort_block_merge_config_selectorIiNS0_10empty_typeEEEZZNS1_27merge_sort_block_merge_implIS3_N6thrust23THRUST_200600_302600_NS10device_ptrIiEEPS5_jNS1_19radix_merge_compareILb0ELb0EiNS0_19identity_decomposerEEEEE10hipError_tT0_T1_T2_jT3_P12ihipStream_tbPNSt15iterator_traitsISH_E10value_typeEPNSN_ISI_E10value_typeEPSJ_NS1_7vsmem_tEENKUlT_SH_SI_SJ_E_clISB_PiSC_SC_EESG_SW_SH_SI_SJ_EUlSW_E_NS1_11comp_targetILNS1_3genE0ELNS1_11target_archE4294967295ELNS1_3gpuE0ELNS1_3repE0EEENS1_48merge_mergepath_partition_config_static_selectorELNS0_4arch9wavefront6targetE0EEEvSI_
	.p2align	8
	.type	_ZN7rocprim17ROCPRIM_400000_NS6detail17trampoline_kernelINS0_14default_configENS1_38merge_sort_block_merge_config_selectorIiNS0_10empty_typeEEEZZNS1_27merge_sort_block_merge_implIS3_N6thrust23THRUST_200600_302600_NS10device_ptrIiEEPS5_jNS1_19radix_merge_compareILb0ELb0EiNS0_19identity_decomposerEEEEE10hipError_tT0_T1_T2_jT3_P12ihipStream_tbPNSt15iterator_traitsISH_E10value_typeEPNSN_ISI_E10value_typeEPSJ_NS1_7vsmem_tEENKUlT_SH_SI_SJ_E_clISB_PiSC_SC_EESG_SW_SH_SI_SJ_EUlSW_E_NS1_11comp_targetILNS1_3genE0ELNS1_11target_archE4294967295ELNS1_3gpuE0ELNS1_3repE0EEENS1_48merge_mergepath_partition_config_static_selectorELNS0_4arch9wavefront6targetE0EEEvSI_,@function
_ZN7rocprim17ROCPRIM_400000_NS6detail17trampoline_kernelINS0_14default_configENS1_38merge_sort_block_merge_config_selectorIiNS0_10empty_typeEEEZZNS1_27merge_sort_block_merge_implIS3_N6thrust23THRUST_200600_302600_NS10device_ptrIiEEPS5_jNS1_19radix_merge_compareILb0ELb0EiNS0_19identity_decomposerEEEEE10hipError_tT0_T1_T2_jT3_P12ihipStream_tbPNSt15iterator_traitsISH_E10value_typeEPNSN_ISI_E10value_typeEPSJ_NS1_7vsmem_tEENKUlT_SH_SI_SJ_E_clISB_PiSC_SC_EESG_SW_SH_SI_SJ_EUlSW_E_NS1_11comp_targetILNS1_3genE0ELNS1_11target_archE4294967295ELNS1_3gpuE0ELNS1_3repE0EEENS1_48merge_mergepath_partition_config_static_selectorELNS0_4arch9wavefront6targetE0EEEvSI_: ; @_ZN7rocprim17ROCPRIM_400000_NS6detail17trampoline_kernelINS0_14default_configENS1_38merge_sort_block_merge_config_selectorIiNS0_10empty_typeEEEZZNS1_27merge_sort_block_merge_implIS3_N6thrust23THRUST_200600_302600_NS10device_ptrIiEEPS5_jNS1_19radix_merge_compareILb0ELb0EiNS0_19identity_decomposerEEEEE10hipError_tT0_T1_T2_jT3_P12ihipStream_tbPNSt15iterator_traitsISH_E10value_typeEPNSN_ISI_E10value_typeEPSJ_NS1_7vsmem_tEENKUlT_SH_SI_SJ_E_clISB_PiSC_SC_EESG_SW_SH_SI_SJ_EUlSW_E_NS1_11comp_targetILNS1_3genE0ELNS1_11target_archE4294967295ELNS1_3gpuE0ELNS1_3repE0EEENS1_48merge_mergepath_partition_config_static_selectorELNS0_4arch9wavefront6targetE0EEEvSI_
; %bb.0:
	.section	.rodata,"a",@progbits
	.p2align	6, 0x0
	.amdhsa_kernel _ZN7rocprim17ROCPRIM_400000_NS6detail17trampoline_kernelINS0_14default_configENS1_38merge_sort_block_merge_config_selectorIiNS0_10empty_typeEEEZZNS1_27merge_sort_block_merge_implIS3_N6thrust23THRUST_200600_302600_NS10device_ptrIiEEPS5_jNS1_19radix_merge_compareILb0ELb0EiNS0_19identity_decomposerEEEEE10hipError_tT0_T1_T2_jT3_P12ihipStream_tbPNSt15iterator_traitsISH_E10value_typeEPNSN_ISI_E10value_typeEPSJ_NS1_7vsmem_tEENKUlT_SH_SI_SJ_E_clISB_PiSC_SC_EESG_SW_SH_SI_SJ_EUlSW_E_NS1_11comp_targetILNS1_3genE0ELNS1_11target_archE4294967295ELNS1_3gpuE0ELNS1_3repE0EEENS1_48merge_mergepath_partition_config_static_selectorELNS0_4arch9wavefront6targetE0EEEvSI_
		.amdhsa_group_segment_fixed_size 0
		.amdhsa_private_segment_fixed_size 0
		.amdhsa_kernarg_size 40
		.amdhsa_user_sgpr_count 6
		.amdhsa_user_sgpr_private_segment_buffer 1
		.amdhsa_user_sgpr_dispatch_ptr 0
		.amdhsa_user_sgpr_queue_ptr 0
		.amdhsa_user_sgpr_kernarg_segment_ptr 1
		.amdhsa_user_sgpr_dispatch_id 0
		.amdhsa_user_sgpr_flat_scratch_init 0
		.amdhsa_user_sgpr_private_segment_size 0
		.amdhsa_wavefront_size32 1
		.amdhsa_uses_dynamic_stack 0
		.amdhsa_system_sgpr_private_segment_wavefront_offset 0
		.amdhsa_system_sgpr_workgroup_id_x 1
		.amdhsa_system_sgpr_workgroup_id_y 0
		.amdhsa_system_sgpr_workgroup_id_z 0
		.amdhsa_system_sgpr_workgroup_info 0
		.amdhsa_system_vgpr_workitem_id 0
		.amdhsa_next_free_vgpr 1
		.amdhsa_next_free_sgpr 1
		.amdhsa_reserve_vcc 0
		.amdhsa_reserve_flat_scratch 0
		.amdhsa_float_round_mode_32 0
		.amdhsa_float_round_mode_16_64 0
		.amdhsa_float_denorm_mode_32 3
		.amdhsa_float_denorm_mode_16_64 3
		.amdhsa_dx10_clamp 1
		.amdhsa_ieee_mode 1
		.amdhsa_fp16_overflow 0
		.amdhsa_workgroup_processor_mode 1
		.amdhsa_memory_ordered 1
		.amdhsa_forward_progress 1
		.amdhsa_shared_vgpr_count 0
		.amdhsa_exception_fp_ieee_invalid_op 0
		.amdhsa_exception_fp_denorm_src 0
		.amdhsa_exception_fp_ieee_div_zero 0
		.amdhsa_exception_fp_ieee_overflow 0
		.amdhsa_exception_fp_ieee_underflow 0
		.amdhsa_exception_fp_ieee_inexact 0
		.amdhsa_exception_int_div_zero 0
	.end_amdhsa_kernel
	.section	.text._ZN7rocprim17ROCPRIM_400000_NS6detail17trampoline_kernelINS0_14default_configENS1_38merge_sort_block_merge_config_selectorIiNS0_10empty_typeEEEZZNS1_27merge_sort_block_merge_implIS3_N6thrust23THRUST_200600_302600_NS10device_ptrIiEEPS5_jNS1_19radix_merge_compareILb0ELb0EiNS0_19identity_decomposerEEEEE10hipError_tT0_T1_T2_jT3_P12ihipStream_tbPNSt15iterator_traitsISH_E10value_typeEPNSN_ISI_E10value_typeEPSJ_NS1_7vsmem_tEENKUlT_SH_SI_SJ_E_clISB_PiSC_SC_EESG_SW_SH_SI_SJ_EUlSW_E_NS1_11comp_targetILNS1_3genE0ELNS1_11target_archE4294967295ELNS1_3gpuE0ELNS1_3repE0EEENS1_48merge_mergepath_partition_config_static_selectorELNS0_4arch9wavefront6targetE0EEEvSI_,"axG",@progbits,_ZN7rocprim17ROCPRIM_400000_NS6detail17trampoline_kernelINS0_14default_configENS1_38merge_sort_block_merge_config_selectorIiNS0_10empty_typeEEEZZNS1_27merge_sort_block_merge_implIS3_N6thrust23THRUST_200600_302600_NS10device_ptrIiEEPS5_jNS1_19radix_merge_compareILb0ELb0EiNS0_19identity_decomposerEEEEE10hipError_tT0_T1_T2_jT3_P12ihipStream_tbPNSt15iterator_traitsISH_E10value_typeEPNSN_ISI_E10value_typeEPSJ_NS1_7vsmem_tEENKUlT_SH_SI_SJ_E_clISB_PiSC_SC_EESG_SW_SH_SI_SJ_EUlSW_E_NS1_11comp_targetILNS1_3genE0ELNS1_11target_archE4294967295ELNS1_3gpuE0ELNS1_3repE0EEENS1_48merge_mergepath_partition_config_static_selectorELNS0_4arch9wavefront6targetE0EEEvSI_,comdat
.Lfunc_end1136:
	.size	_ZN7rocprim17ROCPRIM_400000_NS6detail17trampoline_kernelINS0_14default_configENS1_38merge_sort_block_merge_config_selectorIiNS0_10empty_typeEEEZZNS1_27merge_sort_block_merge_implIS3_N6thrust23THRUST_200600_302600_NS10device_ptrIiEEPS5_jNS1_19radix_merge_compareILb0ELb0EiNS0_19identity_decomposerEEEEE10hipError_tT0_T1_T2_jT3_P12ihipStream_tbPNSt15iterator_traitsISH_E10value_typeEPNSN_ISI_E10value_typeEPSJ_NS1_7vsmem_tEENKUlT_SH_SI_SJ_E_clISB_PiSC_SC_EESG_SW_SH_SI_SJ_EUlSW_E_NS1_11comp_targetILNS1_3genE0ELNS1_11target_archE4294967295ELNS1_3gpuE0ELNS1_3repE0EEENS1_48merge_mergepath_partition_config_static_selectorELNS0_4arch9wavefront6targetE0EEEvSI_, .Lfunc_end1136-_ZN7rocprim17ROCPRIM_400000_NS6detail17trampoline_kernelINS0_14default_configENS1_38merge_sort_block_merge_config_selectorIiNS0_10empty_typeEEEZZNS1_27merge_sort_block_merge_implIS3_N6thrust23THRUST_200600_302600_NS10device_ptrIiEEPS5_jNS1_19radix_merge_compareILb0ELb0EiNS0_19identity_decomposerEEEEE10hipError_tT0_T1_T2_jT3_P12ihipStream_tbPNSt15iterator_traitsISH_E10value_typeEPNSN_ISI_E10value_typeEPSJ_NS1_7vsmem_tEENKUlT_SH_SI_SJ_E_clISB_PiSC_SC_EESG_SW_SH_SI_SJ_EUlSW_E_NS1_11comp_targetILNS1_3genE0ELNS1_11target_archE4294967295ELNS1_3gpuE0ELNS1_3repE0EEENS1_48merge_mergepath_partition_config_static_selectorELNS0_4arch9wavefront6targetE0EEEvSI_
                                        ; -- End function
	.set _ZN7rocprim17ROCPRIM_400000_NS6detail17trampoline_kernelINS0_14default_configENS1_38merge_sort_block_merge_config_selectorIiNS0_10empty_typeEEEZZNS1_27merge_sort_block_merge_implIS3_N6thrust23THRUST_200600_302600_NS10device_ptrIiEEPS5_jNS1_19radix_merge_compareILb0ELb0EiNS0_19identity_decomposerEEEEE10hipError_tT0_T1_T2_jT3_P12ihipStream_tbPNSt15iterator_traitsISH_E10value_typeEPNSN_ISI_E10value_typeEPSJ_NS1_7vsmem_tEENKUlT_SH_SI_SJ_E_clISB_PiSC_SC_EESG_SW_SH_SI_SJ_EUlSW_E_NS1_11comp_targetILNS1_3genE0ELNS1_11target_archE4294967295ELNS1_3gpuE0ELNS1_3repE0EEENS1_48merge_mergepath_partition_config_static_selectorELNS0_4arch9wavefront6targetE0EEEvSI_.num_vgpr, 0
	.set _ZN7rocprim17ROCPRIM_400000_NS6detail17trampoline_kernelINS0_14default_configENS1_38merge_sort_block_merge_config_selectorIiNS0_10empty_typeEEEZZNS1_27merge_sort_block_merge_implIS3_N6thrust23THRUST_200600_302600_NS10device_ptrIiEEPS5_jNS1_19radix_merge_compareILb0ELb0EiNS0_19identity_decomposerEEEEE10hipError_tT0_T1_T2_jT3_P12ihipStream_tbPNSt15iterator_traitsISH_E10value_typeEPNSN_ISI_E10value_typeEPSJ_NS1_7vsmem_tEENKUlT_SH_SI_SJ_E_clISB_PiSC_SC_EESG_SW_SH_SI_SJ_EUlSW_E_NS1_11comp_targetILNS1_3genE0ELNS1_11target_archE4294967295ELNS1_3gpuE0ELNS1_3repE0EEENS1_48merge_mergepath_partition_config_static_selectorELNS0_4arch9wavefront6targetE0EEEvSI_.num_agpr, 0
	.set _ZN7rocprim17ROCPRIM_400000_NS6detail17trampoline_kernelINS0_14default_configENS1_38merge_sort_block_merge_config_selectorIiNS0_10empty_typeEEEZZNS1_27merge_sort_block_merge_implIS3_N6thrust23THRUST_200600_302600_NS10device_ptrIiEEPS5_jNS1_19radix_merge_compareILb0ELb0EiNS0_19identity_decomposerEEEEE10hipError_tT0_T1_T2_jT3_P12ihipStream_tbPNSt15iterator_traitsISH_E10value_typeEPNSN_ISI_E10value_typeEPSJ_NS1_7vsmem_tEENKUlT_SH_SI_SJ_E_clISB_PiSC_SC_EESG_SW_SH_SI_SJ_EUlSW_E_NS1_11comp_targetILNS1_3genE0ELNS1_11target_archE4294967295ELNS1_3gpuE0ELNS1_3repE0EEENS1_48merge_mergepath_partition_config_static_selectorELNS0_4arch9wavefront6targetE0EEEvSI_.numbered_sgpr, 0
	.set _ZN7rocprim17ROCPRIM_400000_NS6detail17trampoline_kernelINS0_14default_configENS1_38merge_sort_block_merge_config_selectorIiNS0_10empty_typeEEEZZNS1_27merge_sort_block_merge_implIS3_N6thrust23THRUST_200600_302600_NS10device_ptrIiEEPS5_jNS1_19radix_merge_compareILb0ELb0EiNS0_19identity_decomposerEEEEE10hipError_tT0_T1_T2_jT3_P12ihipStream_tbPNSt15iterator_traitsISH_E10value_typeEPNSN_ISI_E10value_typeEPSJ_NS1_7vsmem_tEENKUlT_SH_SI_SJ_E_clISB_PiSC_SC_EESG_SW_SH_SI_SJ_EUlSW_E_NS1_11comp_targetILNS1_3genE0ELNS1_11target_archE4294967295ELNS1_3gpuE0ELNS1_3repE0EEENS1_48merge_mergepath_partition_config_static_selectorELNS0_4arch9wavefront6targetE0EEEvSI_.num_named_barrier, 0
	.set _ZN7rocprim17ROCPRIM_400000_NS6detail17trampoline_kernelINS0_14default_configENS1_38merge_sort_block_merge_config_selectorIiNS0_10empty_typeEEEZZNS1_27merge_sort_block_merge_implIS3_N6thrust23THRUST_200600_302600_NS10device_ptrIiEEPS5_jNS1_19radix_merge_compareILb0ELb0EiNS0_19identity_decomposerEEEEE10hipError_tT0_T1_T2_jT3_P12ihipStream_tbPNSt15iterator_traitsISH_E10value_typeEPNSN_ISI_E10value_typeEPSJ_NS1_7vsmem_tEENKUlT_SH_SI_SJ_E_clISB_PiSC_SC_EESG_SW_SH_SI_SJ_EUlSW_E_NS1_11comp_targetILNS1_3genE0ELNS1_11target_archE4294967295ELNS1_3gpuE0ELNS1_3repE0EEENS1_48merge_mergepath_partition_config_static_selectorELNS0_4arch9wavefront6targetE0EEEvSI_.private_seg_size, 0
	.set _ZN7rocprim17ROCPRIM_400000_NS6detail17trampoline_kernelINS0_14default_configENS1_38merge_sort_block_merge_config_selectorIiNS0_10empty_typeEEEZZNS1_27merge_sort_block_merge_implIS3_N6thrust23THRUST_200600_302600_NS10device_ptrIiEEPS5_jNS1_19radix_merge_compareILb0ELb0EiNS0_19identity_decomposerEEEEE10hipError_tT0_T1_T2_jT3_P12ihipStream_tbPNSt15iterator_traitsISH_E10value_typeEPNSN_ISI_E10value_typeEPSJ_NS1_7vsmem_tEENKUlT_SH_SI_SJ_E_clISB_PiSC_SC_EESG_SW_SH_SI_SJ_EUlSW_E_NS1_11comp_targetILNS1_3genE0ELNS1_11target_archE4294967295ELNS1_3gpuE0ELNS1_3repE0EEENS1_48merge_mergepath_partition_config_static_selectorELNS0_4arch9wavefront6targetE0EEEvSI_.uses_vcc, 0
	.set _ZN7rocprim17ROCPRIM_400000_NS6detail17trampoline_kernelINS0_14default_configENS1_38merge_sort_block_merge_config_selectorIiNS0_10empty_typeEEEZZNS1_27merge_sort_block_merge_implIS3_N6thrust23THRUST_200600_302600_NS10device_ptrIiEEPS5_jNS1_19radix_merge_compareILb0ELb0EiNS0_19identity_decomposerEEEEE10hipError_tT0_T1_T2_jT3_P12ihipStream_tbPNSt15iterator_traitsISH_E10value_typeEPNSN_ISI_E10value_typeEPSJ_NS1_7vsmem_tEENKUlT_SH_SI_SJ_E_clISB_PiSC_SC_EESG_SW_SH_SI_SJ_EUlSW_E_NS1_11comp_targetILNS1_3genE0ELNS1_11target_archE4294967295ELNS1_3gpuE0ELNS1_3repE0EEENS1_48merge_mergepath_partition_config_static_selectorELNS0_4arch9wavefront6targetE0EEEvSI_.uses_flat_scratch, 0
	.set _ZN7rocprim17ROCPRIM_400000_NS6detail17trampoline_kernelINS0_14default_configENS1_38merge_sort_block_merge_config_selectorIiNS0_10empty_typeEEEZZNS1_27merge_sort_block_merge_implIS3_N6thrust23THRUST_200600_302600_NS10device_ptrIiEEPS5_jNS1_19radix_merge_compareILb0ELb0EiNS0_19identity_decomposerEEEEE10hipError_tT0_T1_T2_jT3_P12ihipStream_tbPNSt15iterator_traitsISH_E10value_typeEPNSN_ISI_E10value_typeEPSJ_NS1_7vsmem_tEENKUlT_SH_SI_SJ_E_clISB_PiSC_SC_EESG_SW_SH_SI_SJ_EUlSW_E_NS1_11comp_targetILNS1_3genE0ELNS1_11target_archE4294967295ELNS1_3gpuE0ELNS1_3repE0EEENS1_48merge_mergepath_partition_config_static_selectorELNS0_4arch9wavefront6targetE0EEEvSI_.has_dyn_sized_stack, 0
	.set _ZN7rocprim17ROCPRIM_400000_NS6detail17trampoline_kernelINS0_14default_configENS1_38merge_sort_block_merge_config_selectorIiNS0_10empty_typeEEEZZNS1_27merge_sort_block_merge_implIS3_N6thrust23THRUST_200600_302600_NS10device_ptrIiEEPS5_jNS1_19radix_merge_compareILb0ELb0EiNS0_19identity_decomposerEEEEE10hipError_tT0_T1_T2_jT3_P12ihipStream_tbPNSt15iterator_traitsISH_E10value_typeEPNSN_ISI_E10value_typeEPSJ_NS1_7vsmem_tEENKUlT_SH_SI_SJ_E_clISB_PiSC_SC_EESG_SW_SH_SI_SJ_EUlSW_E_NS1_11comp_targetILNS1_3genE0ELNS1_11target_archE4294967295ELNS1_3gpuE0ELNS1_3repE0EEENS1_48merge_mergepath_partition_config_static_selectorELNS0_4arch9wavefront6targetE0EEEvSI_.has_recursion, 0
	.set _ZN7rocprim17ROCPRIM_400000_NS6detail17trampoline_kernelINS0_14default_configENS1_38merge_sort_block_merge_config_selectorIiNS0_10empty_typeEEEZZNS1_27merge_sort_block_merge_implIS3_N6thrust23THRUST_200600_302600_NS10device_ptrIiEEPS5_jNS1_19radix_merge_compareILb0ELb0EiNS0_19identity_decomposerEEEEE10hipError_tT0_T1_T2_jT3_P12ihipStream_tbPNSt15iterator_traitsISH_E10value_typeEPNSN_ISI_E10value_typeEPSJ_NS1_7vsmem_tEENKUlT_SH_SI_SJ_E_clISB_PiSC_SC_EESG_SW_SH_SI_SJ_EUlSW_E_NS1_11comp_targetILNS1_3genE0ELNS1_11target_archE4294967295ELNS1_3gpuE0ELNS1_3repE0EEENS1_48merge_mergepath_partition_config_static_selectorELNS0_4arch9wavefront6targetE0EEEvSI_.has_indirect_call, 0
	.section	.AMDGPU.csdata,"",@progbits
; Kernel info:
; codeLenInByte = 0
; TotalNumSgprs: 0
; NumVgprs: 0
; ScratchSize: 0
; MemoryBound: 0
; FloatMode: 240
; IeeeMode: 1
; LDSByteSize: 0 bytes/workgroup (compile time only)
; SGPRBlocks: 0
; VGPRBlocks: 0
; NumSGPRsForWavesPerEU: 1
; NumVGPRsForWavesPerEU: 1
; Occupancy: 16
; WaveLimiterHint : 0
; COMPUTE_PGM_RSRC2:SCRATCH_EN: 0
; COMPUTE_PGM_RSRC2:USER_SGPR: 6
; COMPUTE_PGM_RSRC2:TRAP_HANDLER: 0
; COMPUTE_PGM_RSRC2:TGID_X_EN: 1
; COMPUTE_PGM_RSRC2:TGID_Y_EN: 0
; COMPUTE_PGM_RSRC2:TGID_Z_EN: 0
; COMPUTE_PGM_RSRC2:TIDIG_COMP_CNT: 0
	.section	.text._ZN7rocprim17ROCPRIM_400000_NS6detail17trampoline_kernelINS0_14default_configENS1_38merge_sort_block_merge_config_selectorIiNS0_10empty_typeEEEZZNS1_27merge_sort_block_merge_implIS3_N6thrust23THRUST_200600_302600_NS10device_ptrIiEEPS5_jNS1_19radix_merge_compareILb0ELb0EiNS0_19identity_decomposerEEEEE10hipError_tT0_T1_T2_jT3_P12ihipStream_tbPNSt15iterator_traitsISH_E10value_typeEPNSN_ISI_E10value_typeEPSJ_NS1_7vsmem_tEENKUlT_SH_SI_SJ_E_clISB_PiSC_SC_EESG_SW_SH_SI_SJ_EUlSW_E_NS1_11comp_targetILNS1_3genE10ELNS1_11target_archE1201ELNS1_3gpuE5ELNS1_3repE0EEENS1_48merge_mergepath_partition_config_static_selectorELNS0_4arch9wavefront6targetE0EEEvSI_,"axG",@progbits,_ZN7rocprim17ROCPRIM_400000_NS6detail17trampoline_kernelINS0_14default_configENS1_38merge_sort_block_merge_config_selectorIiNS0_10empty_typeEEEZZNS1_27merge_sort_block_merge_implIS3_N6thrust23THRUST_200600_302600_NS10device_ptrIiEEPS5_jNS1_19radix_merge_compareILb0ELb0EiNS0_19identity_decomposerEEEEE10hipError_tT0_T1_T2_jT3_P12ihipStream_tbPNSt15iterator_traitsISH_E10value_typeEPNSN_ISI_E10value_typeEPSJ_NS1_7vsmem_tEENKUlT_SH_SI_SJ_E_clISB_PiSC_SC_EESG_SW_SH_SI_SJ_EUlSW_E_NS1_11comp_targetILNS1_3genE10ELNS1_11target_archE1201ELNS1_3gpuE5ELNS1_3repE0EEENS1_48merge_mergepath_partition_config_static_selectorELNS0_4arch9wavefront6targetE0EEEvSI_,comdat
	.protected	_ZN7rocprim17ROCPRIM_400000_NS6detail17trampoline_kernelINS0_14default_configENS1_38merge_sort_block_merge_config_selectorIiNS0_10empty_typeEEEZZNS1_27merge_sort_block_merge_implIS3_N6thrust23THRUST_200600_302600_NS10device_ptrIiEEPS5_jNS1_19radix_merge_compareILb0ELb0EiNS0_19identity_decomposerEEEEE10hipError_tT0_T1_T2_jT3_P12ihipStream_tbPNSt15iterator_traitsISH_E10value_typeEPNSN_ISI_E10value_typeEPSJ_NS1_7vsmem_tEENKUlT_SH_SI_SJ_E_clISB_PiSC_SC_EESG_SW_SH_SI_SJ_EUlSW_E_NS1_11comp_targetILNS1_3genE10ELNS1_11target_archE1201ELNS1_3gpuE5ELNS1_3repE0EEENS1_48merge_mergepath_partition_config_static_selectorELNS0_4arch9wavefront6targetE0EEEvSI_ ; -- Begin function _ZN7rocprim17ROCPRIM_400000_NS6detail17trampoline_kernelINS0_14default_configENS1_38merge_sort_block_merge_config_selectorIiNS0_10empty_typeEEEZZNS1_27merge_sort_block_merge_implIS3_N6thrust23THRUST_200600_302600_NS10device_ptrIiEEPS5_jNS1_19radix_merge_compareILb0ELb0EiNS0_19identity_decomposerEEEEE10hipError_tT0_T1_T2_jT3_P12ihipStream_tbPNSt15iterator_traitsISH_E10value_typeEPNSN_ISI_E10value_typeEPSJ_NS1_7vsmem_tEENKUlT_SH_SI_SJ_E_clISB_PiSC_SC_EESG_SW_SH_SI_SJ_EUlSW_E_NS1_11comp_targetILNS1_3genE10ELNS1_11target_archE1201ELNS1_3gpuE5ELNS1_3repE0EEENS1_48merge_mergepath_partition_config_static_selectorELNS0_4arch9wavefront6targetE0EEEvSI_
	.globl	_ZN7rocprim17ROCPRIM_400000_NS6detail17trampoline_kernelINS0_14default_configENS1_38merge_sort_block_merge_config_selectorIiNS0_10empty_typeEEEZZNS1_27merge_sort_block_merge_implIS3_N6thrust23THRUST_200600_302600_NS10device_ptrIiEEPS5_jNS1_19radix_merge_compareILb0ELb0EiNS0_19identity_decomposerEEEEE10hipError_tT0_T1_T2_jT3_P12ihipStream_tbPNSt15iterator_traitsISH_E10value_typeEPNSN_ISI_E10value_typeEPSJ_NS1_7vsmem_tEENKUlT_SH_SI_SJ_E_clISB_PiSC_SC_EESG_SW_SH_SI_SJ_EUlSW_E_NS1_11comp_targetILNS1_3genE10ELNS1_11target_archE1201ELNS1_3gpuE5ELNS1_3repE0EEENS1_48merge_mergepath_partition_config_static_selectorELNS0_4arch9wavefront6targetE0EEEvSI_
	.p2align	8
	.type	_ZN7rocprim17ROCPRIM_400000_NS6detail17trampoline_kernelINS0_14default_configENS1_38merge_sort_block_merge_config_selectorIiNS0_10empty_typeEEEZZNS1_27merge_sort_block_merge_implIS3_N6thrust23THRUST_200600_302600_NS10device_ptrIiEEPS5_jNS1_19radix_merge_compareILb0ELb0EiNS0_19identity_decomposerEEEEE10hipError_tT0_T1_T2_jT3_P12ihipStream_tbPNSt15iterator_traitsISH_E10value_typeEPNSN_ISI_E10value_typeEPSJ_NS1_7vsmem_tEENKUlT_SH_SI_SJ_E_clISB_PiSC_SC_EESG_SW_SH_SI_SJ_EUlSW_E_NS1_11comp_targetILNS1_3genE10ELNS1_11target_archE1201ELNS1_3gpuE5ELNS1_3repE0EEENS1_48merge_mergepath_partition_config_static_selectorELNS0_4arch9wavefront6targetE0EEEvSI_,@function
_ZN7rocprim17ROCPRIM_400000_NS6detail17trampoline_kernelINS0_14default_configENS1_38merge_sort_block_merge_config_selectorIiNS0_10empty_typeEEEZZNS1_27merge_sort_block_merge_implIS3_N6thrust23THRUST_200600_302600_NS10device_ptrIiEEPS5_jNS1_19radix_merge_compareILb0ELb0EiNS0_19identity_decomposerEEEEE10hipError_tT0_T1_T2_jT3_P12ihipStream_tbPNSt15iterator_traitsISH_E10value_typeEPNSN_ISI_E10value_typeEPSJ_NS1_7vsmem_tEENKUlT_SH_SI_SJ_E_clISB_PiSC_SC_EESG_SW_SH_SI_SJ_EUlSW_E_NS1_11comp_targetILNS1_3genE10ELNS1_11target_archE1201ELNS1_3gpuE5ELNS1_3repE0EEENS1_48merge_mergepath_partition_config_static_selectorELNS0_4arch9wavefront6targetE0EEEvSI_: ; @_ZN7rocprim17ROCPRIM_400000_NS6detail17trampoline_kernelINS0_14default_configENS1_38merge_sort_block_merge_config_selectorIiNS0_10empty_typeEEEZZNS1_27merge_sort_block_merge_implIS3_N6thrust23THRUST_200600_302600_NS10device_ptrIiEEPS5_jNS1_19radix_merge_compareILb0ELb0EiNS0_19identity_decomposerEEEEE10hipError_tT0_T1_T2_jT3_P12ihipStream_tbPNSt15iterator_traitsISH_E10value_typeEPNSN_ISI_E10value_typeEPSJ_NS1_7vsmem_tEENKUlT_SH_SI_SJ_E_clISB_PiSC_SC_EESG_SW_SH_SI_SJ_EUlSW_E_NS1_11comp_targetILNS1_3genE10ELNS1_11target_archE1201ELNS1_3gpuE5ELNS1_3repE0EEENS1_48merge_mergepath_partition_config_static_selectorELNS0_4arch9wavefront6targetE0EEEvSI_
; %bb.0:
	.section	.rodata,"a",@progbits
	.p2align	6, 0x0
	.amdhsa_kernel _ZN7rocprim17ROCPRIM_400000_NS6detail17trampoline_kernelINS0_14default_configENS1_38merge_sort_block_merge_config_selectorIiNS0_10empty_typeEEEZZNS1_27merge_sort_block_merge_implIS3_N6thrust23THRUST_200600_302600_NS10device_ptrIiEEPS5_jNS1_19radix_merge_compareILb0ELb0EiNS0_19identity_decomposerEEEEE10hipError_tT0_T1_T2_jT3_P12ihipStream_tbPNSt15iterator_traitsISH_E10value_typeEPNSN_ISI_E10value_typeEPSJ_NS1_7vsmem_tEENKUlT_SH_SI_SJ_E_clISB_PiSC_SC_EESG_SW_SH_SI_SJ_EUlSW_E_NS1_11comp_targetILNS1_3genE10ELNS1_11target_archE1201ELNS1_3gpuE5ELNS1_3repE0EEENS1_48merge_mergepath_partition_config_static_selectorELNS0_4arch9wavefront6targetE0EEEvSI_
		.amdhsa_group_segment_fixed_size 0
		.amdhsa_private_segment_fixed_size 0
		.amdhsa_kernarg_size 40
		.amdhsa_user_sgpr_count 6
		.amdhsa_user_sgpr_private_segment_buffer 1
		.amdhsa_user_sgpr_dispatch_ptr 0
		.amdhsa_user_sgpr_queue_ptr 0
		.amdhsa_user_sgpr_kernarg_segment_ptr 1
		.amdhsa_user_sgpr_dispatch_id 0
		.amdhsa_user_sgpr_flat_scratch_init 0
		.amdhsa_user_sgpr_private_segment_size 0
		.amdhsa_wavefront_size32 1
		.amdhsa_uses_dynamic_stack 0
		.amdhsa_system_sgpr_private_segment_wavefront_offset 0
		.amdhsa_system_sgpr_workgroup_id_x 1
		.amdhsa_system_sgpr_workgroup_id_y 0
		.amdhsa_system_sgpr_workgroup_id_z 0
		.amdhsa_system_sgpr_workgroup_info 0
		.amdhsa_system_vgpr_workitem_id 0
		.amdhsa_next_free_vgpr 1
		.amdhsa_next_free_sgpr 1
		.amdhsa_reserve_vcc 0
		.amdhsa_reserve_flat_scratch 0
		.amdhsa_float_round_mode_32 0
		.amdhsa_float_round_mode_16_64 0
		.amdhsa_float_denorm_mode_32 3
		.amdhsa_float_denorm_mode_16_64 3
		.amdhsa_dx10_clamp 1
		.amdhsa_ieee_mode 1
		.amdhsa_fp16_overflow 0
		.amdhsa_workgroup_processor_mode 1
		.amdhsa_memory_ordered 1
		.amdhsa_forward_progress 1
		.amdhsa_shared_vgpr_count 0
		.amdhsa_exception_fp_ieee_invalid_op 0
		.amdhsa_exception_fp_denorm_src 0
		.amdhsa_exception_fp_ieee_div_zero 0
		.amdhsa_exception_fp_ieee_overflow 0
		.amdhsa_exception_fp_ieee_underflow 0
		.amdhsa_exception_fp_ieee_inexact 0
		.amdhsa_exception_int_div_zero 0
	.end_amdhsa_kernel
	.section	.text._ZN7rocprim17ROCPRIM_400000_NS6detail17trampoline_kernelINS0_14default_configENS1_38merge_sort_block_merge_config_selectorIiNS0_10empty_typeEEEZZNS1_27merge_sort_block_merge_implIS3_N6thrust23THRUST_200600_302600_NS10device_ptrIiEEPS5_jNS1_19radix_merge_compareILb0ELb0EiNS0_19identity_decomposerEEEEE10hipError_tT0_T1_T2_jT3_P12ihipStream_tbPNSt15iterator_traitsISH_E10value_typeEPNSN_ISI_E10value_typeEPSJ_NS1_7vsmem_tEENKUlT_SH_SI_SJ_E_clISB_PiSC_SC_EESG_SW_SH_SI_SJ_EUlSW_E_NS1_11comp_targetILNS1_3genE10ELNS1_11target_archE1201ELNS1_3gpuE5ELNS1_3repE0EEENS1_48merge_mergepath_partition_config_static_selectorELNS0_4arch9wavefront6targetE0EEEvSI_,"axG",@progbits,_ZN7rocprim17ROCPRIM_400000_NS6detail17trampoline_kernelINS0_14default_configENS1_38merge_sort_block_merge_config_selectorIiNS0_10empty_typeEEEZZNS1_27merge_sort_block_merge_implIS3_N6thrust23THRUST_200600_302600_NS10device_ptrIiEEPS5_jNS1_19radix_merge_compareILb0ELb0EiNS0_19identity_decomposerEEEEE10hipError_tT0_T1_T2_jT3_P12ihipStream_tbPNSt15iterator_traitsISH_E10value_typeEPNSN_ISI_E10value_typeEPSJ_NS1_7vsmem_tEENKUlT_SH_SI_SJ_E_clISB_PiSC_SC_EESG_SW_SH_SI_SJ_EUlSW_E_NS1_11comp_targetILNS1_3genE10ELNS1_11target_archE1201ELNS1_3gpuE5ELNS1_3repE0EEENS1_48merge_mergepath_partition_config_static_selectorELNS0_4arch9wavefront6targetE0EEEvSI_,comdat
.Lfunc_end1137:
	.size	_ZN7rocprim17ROCPRIM_400000_NS6detail17trampoline_kernelINS0_14default_configENS1_38merge_sort_block_merge_config_selectorIiNS0_10empty_typeEEEZZNS1_27merge_sort_block_merge_implIS3_N6thrust23THRUST_200600_302600_NS10device_ptrIiEEPS5_jNS1_19radix_merge_compareILb0ELb0EiNS0_19identity_decomposerEEEEE10hipError_tT0_T1_T2_jT3_P12ihipStream_tbPNSt15iterator_traitsISH_E10value_typeEPNSN_ISI_E10value_typeEPSJ_NS1_7vsmem_tEENKUlT_SH_SI_SJ_E_clISB_PiSC_SC_EESG_SW_SH_SI_SJ_EUlSW_E_NS1_11comp_targetILNS1_3genE10ELNS1_11target_archE1201ELNS1_3gpuE5ELNS1_3repE0EEENS1_48merge_mergepath_partition_config_static_selectorELNS0_4arch9wavefront6targetE0EEEvSI_, .Lfunc_end1137-_ZN7rocprim17ROCPRIM_400000_NS6detail17trampoline_kernelINS0_14default_configENS1_38merge_sort_block_merge_config_selectorIiNS0_10empty_typeEEEZZNS1_27merge_sort_block_merge_implIS3_N6thrust23THRUST_200600_302600_NS10device_ptrIiEEPS5_jNS1_19radix_merge_compareILb0ELb0EiNS0_19identity_decomposerEEEEE10hipError_tT0_T1_T2_jT3_P12ihipStream_tbPNSt15iterator_traitsISH_E10value_typeEPNSN_ISI_E10value_typeEPSJ_NS1_7vsmem_tEENKUlT_SH_SI_SJ_E_clISB_PiSC_SC_EESG_SW_SH_SI_SJ_EUlSW_E_NS1_11comp_targetILNS1_3genE10ELNS1_11target_archE1201ELNS1_3gpuE5ELNS1_3repE0EEENS1_48merge_mergepath_partition_config_static_selectorELNS0_4arch9wavefront6targetE0EEEvSI_
                                        ; -- End function
	.set _ZN7rocprim17ROCPRIM_400000_NS6detail17trampoline_kernelINS0_14default_configENS1_38merge_sort_block_merge_config_selectorIiNS0_10empty_typeEEEZZNS1_27merge_sort_block_merge_implIS3_N6thrust23THRUST_200600_302600_NS10device_ptrIiEEPS5_jNS1_19radix_merge_compareILb0ELb0EiNS0_19identity_decomposerEEEEE10hipError_tT0_T1_T2_jT3_P12ihipStream_tbPNSt15iterator_traitsISH_E10value_typeEPNSN_ISI_E10value_typeEPSJ_NS1_7vsmem_tEENKUlT_SH_SI_SJ_E_clISB_PiSC_SC_EESG_SW_SH_SI_SJ_EUlSW_E_NS1_11comp_targetILNS1_3genE10ELNS1_11target_archE1201ELNS1_3gpuE5ELNS1_3repE0EEENS1_48merge_mergepath_partition_config_static_selectorELNS0_4arch9wavefront6targetE0EEEvSI_.num_vgpr, 0
	.set _ZN7rocprim17ROCPRIM_400000_NS6detail17trampoline_kernelINS0_14default_configENS1_38merge_sort_block_merge_config_selectorIiNS0_10empty_typeEEEZZNS1_27merge_sort_block_merge_implIS3_N6thrust23THRUST_200600_302600_NS10device_ptrIiEEPS5_jNS1_19radix_merge_compareILb0ELb0EiNS0_19identity_decomposerEEEEE10hipError_tT0_T1_T2_jT3_P12ihipStream_tbPNSt15iterator_traitsISH_E10value_typeEPNSN_ISI_E10value_typeEPSJ_NS1_7vsmem_tEENKUlT_SH_SI_SJ_E_clISB_PiSC_SC_EESG_SW_SH_SI_SJ_EUlSW_E_NS1_11comp_targetILNS1_3genE10ELNS1_11target_archE1201ELNS1_3gpuE5ELNS1_3repE0EEENS1_48merge_mergepath_partition_config_static_selectorELNS0_4arch9wavefront6targetE0EEEvSI_.num_agpr, 0
	.set _ZN7rocprim17ROCPRIM_400000_NS6detail17trampoline_kernelINS0_14default_configENS1_38merge_sort_block_merge_config_selectorIiNS0_10empty_typeEEEZZNS1_27merge_sort_block_merge_implIS3_N6thrust23THRUST_200600_302600_NS10device_ptrIiEEPS5_jNS1_19radix_merge_compareILb0ELb0EiNS0_19identity_decomposerEEEEE10hipError_tT0_T1_T2_jT3_P12ihipStream_tbPNSt15iterator_traitsISH_E10value_typeEPNSN_ISI_E10value_typeEPSJ_NS1_7vsmem_tEENKUlT_SH_SI_SJ_E_clISB_PiSC_SC_EESG_SW_SH_SI_SJ_EUlSW_E_NS1_11comp_targetILNS1_3genE10ELNS1_11target_archE1201ELNS1_3gpuE5ELNS1_3repE0EEENS1_48merge_mergepath_partition_config_static_selectorELNS0_4arch9wavefront6targetE0EEEvSI_.numbered_sgpr, 0
	.set _ZN7rocprim17ROCPRIM_400000_NS6detail17trampoline_kernelINS0_14default_configENS1_38merge_sort_block_merge_config_selectorIiNS0_10empty_typeEEEZZNS1_27merge_sort_block_merge_implIS3_N6thrust23THRUST_200600_302600_NS10device_ptrIiEEPS5_jNS1_19radix_merge_compareILb0ELb0EiNS0_19identity_decomposerEEEEE10hipError_tT0_T1_T2_jT3_P12ihipStream_tbPNSt15iterator_traitsISH_E10value_typeEPNSN_ISI_E10value_typeEPSJ_NS1_7vsmem_tEENKUlT_SH_SI_SJ_E_clISB_PiSC_SC_EESG_SW_SH_SI_SJ_EUlSW_E_NS1_11comp_targetILNS1_3genE10ELNS1_11target_archE1201ELNS1_3gpuE5ELNS1_3repE0EEENS1_48merge_mergepath_partition_config_static_selectorELNS0_4arch9wavefront6targetE0EEEvSI_.num_named_barrier, 0
	.set _ZN7rocprim17ROCPRIM_400000_NS6detail17trampoline_kernelINS0_14default_configENS1_38merge_sort_block_merge_config_selectorIiNS0_10empty_typeEEEZZNS1_27merge_sort_block_merge_implIS3_N6thrust23THRUST_200600_302600_NS10device_ptrIiEEPS5_jNS1_19radix_merge_compareILb0ELb0EiNS0_19identity_decomposerEEEEE10hipError_tT0_T1_T2_jT3_P12ihipStream_tbPNSt15iterator_traitsISH_E10value_typeEPNSN_ISI_E10value_typeEPSJ_NS1_7vsmem_tEENKUlT_SH_SI_SJ_E_clISB_PiSC_SC_EESG_SW_SH_SI_SJ_EUlSW_E_NS1_11comp_targetILNS1_3genE10ELNS1_11target_archE1201ELNS1_3gpuE5ELNS1_3repE0EEENS1_48merge_mergepath_partition_config_static_selectorELNS0_4arch9wavefront6targetE0EEEvSI_.private_seg_size, 0
	.set _ZN7rocprim17ROCPRIM_400000_NS6detail17trampoline_kernelINS0_14default_configENS1_38merge_sort_block_merge_config_selectorIiNS0_10empty_typeEEEZZNS1_27merge_sort_block_merge_implIS3_N6thrust23THRUST_200600_302600_NS10device_ptrIiEEPS5_jNS1_19radix_merge_compareILb0ELb0EiNS0_19identity_decomposerEEEEE10hipError_tT0_T1_T2_jT3_P12ihipStream_tbPNSt15iterator_traitsISH_E10value_typeEPNSN_ISI_E10value_typeEPSJ_NS1_7vsmem_tEENKUlT_SH_SI_SJ_E_clISB_PiSC_SC_EESG_SW_SH_SI_SJ_EUlSW_E_NS1_11comp_targetILNS1_3genE10ELNS1_11target_archE1201ELNS1_3gpuE5ELNS1_3repE0EEENS1_48merge_mergepath_partition_config_static_selectorELNS0_4arch9wavefront6targetE0EEEvSI_.uses_vcc, 0
	.set _ZN7rocprim17ROCPRIM_400000_NS6detail17trampoline_kernelINS0_14default_configENS1_38merge_sort_block_merge_config_selectorIiNS0_10empty_typeEEEZZNS1_27merge_sort_block_merge_implIS3_N6thrust23THRUST_200600_302600_NS10device_ptrIiEEPS5_jNS1_19radix_merge_compareILb0ELb0EiNS0_19identity_decomposerEEEEE10hipError_tT0_T1_T2_jT3_P12ihipStream_tbPNSt15iterator_traitsISH_E10value_typeEPNSN_ISI_E10value_typeEPSJ_NS1_7vsmem_tEENKUlT_SH_SI_SJ_E_clISB_PiSC_SC_EESG_SW_SH_SI_SJ_EUlSW_E_NS1_11comp_targetILNS1_3genE10ELNS1_11target_archE1201ELNS1_3gpuE5ELNS1_3repE0EEENS1_48merge_mergepath_partition_config_static_selectorELNS0_4arch9wavefront6targetE0EEEvSI_.uses_flat_scratch, 0
	.set _ZN7rocprim17ROCPRIM_400000_NS6detail17trampoline_kernelINS0_14default_configENS1_38merge_sort_block_merge_config_selectorIiNS0_10empty_typeEEEZZNS1_27merge_sort_block_merge_implIS3_N6thrust23THRUST_200600_302600_NS10device_ptrIiEEPS5_jNS1_19radix_merge_compareILb0ELb0EiNS0_19identity_decomposerEEEEE10hipError_tT0_T1_T2_jT3_P12ihipStream_tbPNSt15iterator_traitsISH_E10value_typeEPNSN_ISI_E10value_typeEPSJ_NS1_7vsmem_tEENKUlT_SH_SI_SJ_E_clISB_PiSC_SC_EESG_SW_SH_SI_SJ_EUlSW_E_NS1_11comp_targetILNS1_3genE10ELNS1_11target_archE1201ELNS1_3gpuE5ELNS1_3repE0EEENS1_48merge_mergepath_partition_config_static_selectorELNS0_4arch9wavefront6targetE0EEEvSI_.has_dyn_sized_stack, 0
	.set _ZN7rocprim17ROCPRIM_400000_NS6detail17trampoline_kernelINS0_14default_configENS1_38merge_sort_block_merge_config_selectorIiNS0_10empty_typeEEEZZNS1_27merge_sort_block_merge_implIS3_N6thrust23THRUST_200600_302600_NS10device_ptrIiEEPS5_jNS1_19radix_merge_compareILb0ELb0EiNS0_19identity_decomposerEEEEE10hipError_tT0_T1_T2_jT3_P12ihipStream_tbPNSt15iterator_traitsISH_E10value_typeEPNSN_ISI_E10value_typeEPSJ_NS1_7vsmem_tEENKUlT_SH_SI_SJ_E_clISB_PiSC_SC_EESG_SW_SH_SI_SJ_EUlSW_E_NS1_11comp_targetILNS1_3genE10ELNS1_11target_archE1201ELNS1_3gpuE5ELNS1_3repE0EEENS1_48merge_mergepath_partition_config_static_selectorELNS0_4arch9wavefront6targetE0EEEvSI_.has_recursion, 0
	.set _ZN7rocprim17ROCPRIM_400000_NS6detail17trampoline_kernelINS0_14default_configENS1_38merge_sort_block_merge_config_selectorIiNS0_10empty_typeEEEZZNS1_27merge_sort_block_merge_implIS3_N6thrust23THRUST_200600_302600_NS10device_ptrIiEEPS5_jNS1_19radix_merge_compareILb0ELb0EiNS0_19identity_decomposerEEEEE10hipError_tT0_T1_T2_jT3_P12ihipStream_tbPNSt15iterator_traitsISH_E10value_typeEPNSN_ISI_E10value_typeEPSJ_NS1_7vsmem_tEENKUlT_SH_SI_SJ_E_clISB_PiSC_SC_EESG_SW_SH_SI_SJ_EUlSW_E_NS1_11comp_targetILNS1_3genE10ELNS1_11target_archE1201ELNS1_3gpuE5ELNS1_3repE0EEENS1_48merge_mergepath_partition_config_static_selectorELNS0_4arch9wavefront6targetE0EEEvSI_.has_indirect_call, 0
	.section	.AMDGPU.csdata,"",@progbits
; Kernel info:
; codeLenInByte = 0
; TotalNumSgprs: 0
; NumVgprs: 0
; ScratchSize: 0
; MemoryBound: 0
; FloatMode: 240
; IeeeMode: 1
; LDSByteSize: 0 bytes/workgroup (compile time only)
; SGPRBlocks: 0
; VGPRBlocks: 0
; NumSGPRsForWavesPerEU: 1
; NumVGPRsForWavesPerEU: 1
; Occupancy: 16
; WaveLimiterHint : 0
; COMPUTE_PGM_RSRC2:SCRATCH_EN: 0
; COMPUTE_PGM_RSRC2:USER_SGPR: 6
; COMPUTE_PGM_RSRC2:TRAP_HANDLER: 0
; COMPUTE_PGM_RSRC2:TGID_X_EN: 1
; COMPUTE_PGM_RSRC2:TGID_Y_EN: 0
; COMPUTE_PGM_RSRC2:TGID_Z_EN: 0
; COMPUTE_PGM_RSRC2:TIDIG_COMP_CNT: 0
	.section	.text._ZN7rocprim17ROCPRIM_400000_NS6detail17trampoline_kernelINS0_14default_configENS1_38merge_sort_block_merge_config_selectorIiNS0_10empty_typeEEEZZNS1_27merge_sort_block_merge_implIS3_N6thrust23THRUST_200600_302600_NS10device_ptrIiEEPS5_jNS1_19radix_merge_compareILb0ELb0EiNS0_19identity_decomposerEEEEE10hipError_tT0_T1_T2_jT3_P12ihipStream_tbPNSt15iterator_traitsISH_E10value_typeEPNSN_ISI_E10value_typeEPSJ_NS1_7vsmem_tEENKUlT_SH_SI_SJ_E_clISB_PiSC_SC_EESG_SW_SH_SI_SJ_EUlSW_E_NS1_11comp_targetILNS1_3genE5ELNS1_11target_archE942ELNS1_3gpuE9ELNS1_3repE0EEENS1_48merge_mergepath_partition_config_static_selectorELNS0_4arch9wavefront6targetE0EEEvSI_,"axG",@progbits,_ZN7rocprim17ROCPRIM_400000_NS6detail17trampoline_kernelINS0_14default_configENS1_38merge_sort_block_merge_config_selectorIiNS0_10empty_typeEEEZZNS1_27merge_sort_block_merge_implIS3_N6thrust23THRUST_200600_302600_NS10device_ptrIiEEPS5_jNS1_19radix_merge_compareILb0ELb0EiNS0_19identity_decomposerEEEEE10hipError_tT0_T1_T2_jT3_P12ihipStream_tbPNSt15iterator_traitsISH_E10value_typeEPNSN_ISI_E10value_typeEPSJ_NS1_7vsmem_tEENKUlT_SH_SI_SJ_E_clISB_PiSC_SC_EESG_SW_SH_SI_SJ_EUlSW_E_NS1_11comp_targetILNS1_3genE5ELNS1_11target_archE942ELNS1_3gpuE9ELNS1_3repE0EEENS1_48merge_mergepath_partition_config_static_selectorELNS0_4arch9wavefront6targetE0EEEvSI_,comdat
	.protected	_ZN7rocprim17ROCPRIM_400000_NS6detail17trampoline_kernelINS0_14default_configENS1_38merge_sort_block_merge_config_selectorIiNS0_10empty_typeEEEZZNS1_27merge_sort_block_merge_implIS3_N6thrust23THRUST_200600_302600_NS10device_ptrIiEEPS5_jNS1_19radix_merge_compareILb0ELb0EiNS0_19identity_decomposerEEEEE10hipError_tT0_T1_T2_jT3_P12ihipStream_tbPNSt15iterator_traitsISH_E10value_typeEPNSN_ISI_E10value_typeEPSJ_NS1_7vsmem_tEENKUlT_SH_SI_SJ_E_clISB_PiSC_SC_EESG_SW_SH_SI_SJ_EUlSW_E_NS1_11comp_targetILNS1_3genE5ELNS1_11target_archE942ELNS1_3gpuE9ELNS1_3repE0EEENS1_48merge_mergepath_partition_config_static_selectorELNS0_4arch9wavefront6targetE0EEEvSI_ ; -- Begin function _ZN7rocprim17ROCPRIM_400000_NS6detail17trampoline_kernelINS0_14default_configENS1_38merge_sort_block_merge_config_selectorIiNS0_10empty_typeEEEZZNS1_27merge_sort_block_merge_implIS3_N6thrust23THRUST_200600_302600_NS10device_ptrIiEEPS5_jNS1_19radix_merge_compareILb0ELb0EiNS0_19identity_decomposerEEEEE10hipError_tT0_T1_T2_jT3_P12ihipStream_tbPNSt15iterator_traitsISH_E10value_typeEPNSN_ISI_E10value_typeEPSJ_NS1_7vsmem_tEENKUlT_SH_SI_SJ_E_clISB_PiSC_SC_EESG_SW_SH_SI_SJ_EUlSW_E_NS1_11comp_targetILNS1_3genE5ELNS1_11target_archE942ELNS1_3gpuE9ELNS1_3repE0EEENS1_48merge_mergepath_partition_config_static_selectorELNS0_4arch9wavefront6targetE0EEEvSI_
	.globl	_ZN7rocprim17ROCPRIM_400000_NS6detail17trampoline_kernelINS0_14default_configENS1_38merge_sort_block_merge_config_selectorIiNS0_10empty_typeEEEZZNS1_27merge_sort_block_merge_implIS3_N6thrust23THRUST_200600_302600_NS10device_ptrIiEEPS5_jNS1_19radix_merge_compareILb0ELb0EiNS0_19identity_decomposerEEEEE10hipError_tT0_T1_T2_jT3_P12ihipStream_tbPNSt15iterator_traitsISH_E10value_typeEPNSN_ISI_E10value_typeEPSJ_NS1_7vsmem_tEENKUlT_SH_SI_SJ_E_clISB_PiSC_SC_EESG_SW_SH_SI_SJ_EUlSW_E_NS1_11comp_targetILNS1_3genE5ELNS1_11target_archE942ELNS1_3gpuE9ELNS1_3repE0EEENS1_48merge_mergepath_partition_config_static_selectorELNS0_4arch9wavefront6targetE0EEEvSI_
	.p2align	8
	.type	_ZN7rocprim17ROCPRIM_400000_NS6detail17trampoline_kernelINS0_14default_configENS1_38merge_sort_block_merge_config_selectorIiNS0_10empty_typeEEEZZNS1_27merge_sort_block_merge_implIS3_N6thrust23THRUST_200600_302600_NS10device_ptrIiEEPS5_jNS1_19radix_merge_compareILb0ELb0EiNS0_19identity_decomposerEEEEE10hipError_tT0_T1_T2_jT3_P12ihipStream_tbPNSt15iterator_traitsISH_E10value_typeEPNSN_ISI_E10value_typeEPSJ_NS1_7vsmem_tEENKUlT_SH_SI_SJ_E_clISB_PiSC_SC_EESG_SW_SH_SI_SJ_EUlSW_E_NS1_11comp_targetILNS1_3genE5ELNS1_11target_archE942ELNS1_3gpuE9ELNS1_3repE0EEENS1_48merge_mergepath_partition_config_static_selectorELNS0_4arch9wavefront6targetE0EEEvSI_,@function
_ZN7rocprim17ROCPRIM_400000_NS6detail17trampoline_kernelINS0_14default_configENS1_38merge_sort_block_merge_config_selectorIiNS0_10empty_typeEEEZZNS1_27merge_sort_block_merge_implIS3_N6thrust23THRUST_200600_302600_NS10device_ptrIiEEPS5_jNS1_19radix_merge_compareILb0ELb0EiNS0_19identity_decomposerEEEEE10hipError_tT0_T1_T2_jT3_P12ihipStream_tbPNSt15iterator_traitsISH_E10value_typeEPNSN_ISI_E10value_typeEPSJ_NS1_7vsmem_tEENKUlT_SH_SI_SJ_E_clISB_PiSC_SC_EESG_SW_SH_SI_SJ_EUlSW_E_NS1_11comp_targetILNS1_3genE5ELNS1_11target_archE942ELNS1_3gpuE9ELNS1_3repE0EEENS1_48merge_mergepath_partition_config_static_selectorELNS0_4arch9wavefront6targetE0EEEvSI_: ; @_ZN7rocprim17ROCPRIM_400000_NS6detail17trampoline_kernelINS0_14default_configENS1_38merge_sort_block_merge_config_selectorIiNS0_10empty_typeEEEZZNS1_27merge_sort_block_merge_implIS3_N6thrust23THRUST_200600_302600_NS10device_ptrIiEEPS5_jNS1_19radix_merge_compareILb0ELb0EiNS0_19identity_decomposerEEEEE10hipError_tT0_T1_T2_jT3_P12ihipStream_tbPNSt15iterator_traitsISH_E10value_typeEPNSN_ISI_E10value_typeEPSJ_NS1_7vsmem_tEENKUlT_SH_SI_SJ_E_clISB_PiSC_SC_EESG_SW_SH_SI_SJ_EUlSW_E_NS1_11comp_targetILNS1_3genE5ELNS1_11target_archE942ELNS1_3gpuE9ELNS1_3repE0EEENS1_48merge_mergepath_partition_config_static_selectorELNS0_4arch9wavefront6targetE0EEEvSI_
; %bb.0:
	.section	.rodata,"a",@progbits
	.p2align	6, 0x0
	.amdhsa_kernel _ZN7rocprim17ROCPRIM_400000_NS6detail17trampoline_kernelINS0_14default_configENS1_38merge_sort_block_merge_config_selectorIiNS0_10empty_typeEEEZZNS1_27merge_sort_block_merge_implIS3_N6thrust23THRUST_200600_302600_NS10device_ptrIiEEPS5_jNS1_19radix_merge_compareILb0ELb0EiNS0_19identity_decomposerEEEEE10hipError_tT0_T1_T2_jT3_P12ihipStream_tbPNSt15iterator_traitsISH_E10value_typeEPNSN_ISI_E10value_typeEPSJ_NS1_7vsmem_tEENKUlT_SH_SI_SJ_E_clISB_PiSC_SC_EESG_SW_SH_SI_SJ_EUlSW_E_NS1_11comp_targetILNS1_3genE5ELNS1_11target_archE942ELNS1_3gpuE9ELNS1_3repE0EEENS1_48merge_mergepath_partition_config_static_selectorELNS0_4arch9wavefront6targetE0EEEvSI_
		.amdhsa_group_segment_fixed_size 0
		.amdhsa_private_segment_fixed_size 0
		.amdhsa_kernarg_size 40
		.amdhsa_user_sgpr_count 6
		.amdhsa_user_sgpr_private_segment_buffer 1
		.amdhsa_user_sgpr_dispatch_ptr 0
		.amdhsa_user_sgpr_queue_ptr 0
		.amdhsa_user_sgpr_kernarg_segment_ptr 1
		.amdhsa_user_sgpr_dispatch_id 0
		.amdhsa_user_sgpr_flat_scratch_init 0
		.amdhsa_user_sgpr_private_segment_size 0
		.amdhsa_wavefront_size32 1
		.amdhsa_uses_dynamic_stack 0
		.amdhsa_system_sgpr_private_segment_wavefront_offset 0
		.amdhsa_system_sgpr_workgroup_id_x 1
		.amdhsa_system_sgpr_workgroup_id_y 0
		.amdhsa_system_sgpr_workgroup_id_z 0
		.amdhsa_system_sgpr_workgroup_info 0
		.amdhsa_system_vgpr_workitem_id 0
		.amdhsa_next_free_vgpr 1
		.amdhsa_next_free_sgpr 1
		.amdhsa_reserve_vcc 0
		.amdhsa_reserve_flat_scratch 0
		.amdhsa_float_round_mode_32 0
		.amdhsa_float_round_mode_16_64 0
		.amdhsa_float_denorm_mode_32 3
		.amdhsa_float_denorm_mode_16_64 3
		.amdhsa_dx10_clamp 1
		.amdhsa_ieee_mode 1
		.amdhsa_fp16_overflow 0
		.amdhsa_workgroup_processor_mode 1
		.amdhsa_memory_ordered 1
		.amdhsa_forward_progress 1
		.amdhsa_shared_vgpr_count 0
		.amdhsa_exception_fp_ieee_invalid_op 0
		.amdhsa_exception_fp_denorm_src 0
		.amdhsa_exception_fp_ieee_div_zero 0
		.amdhsa_exception_fp_ieee_overflow 0
		.amdhsa_exception_fp_ieee_underflow 0
		.amdhsa_exception_fp_ieee_inexact 0
		.amdhsa_exception_int_div_zero 0
	.end_amdhsa_kernel
	.section	.text._ZN7rocprim17ROCPRIM_400000_NS6detail17trampoline_kernelINS0_14default_configENS1_38merge_sort_block_merge_config_selectorIiNS0_10empty_typeEEEZZNS1_27merge_sort_block_merge_implIS3_N6thrust23THRUST_200600_302600_NS10device_ptrIiEEPS5_jNS1_19radix_merge_compareILb0ELb0EiNS0_19identity_decomposerEEEEE10hipError_tT0_T1_T2_jT3_P12ihipStream_tbPNSt15iterator_traitsISH_E10value_typeEPNSN_ISI_E10value_typeEPSJ_NS1_7vsmem_tEENKUlT_SH_SI_SJ_E_clISB_PiSC_SC_EESG_SW_SH_SI_SJ_EUlSW_E_NS1_11comp_targetILNS1_3genE5ELNS1_11target_archE942ELNS1_3gpuE9ELNS1_3repE0EEENS1_48merge_mergepath_partition_config_static_selectorELNS0_4arch9wavefront6targetE0EEEvSI_,"axG",@progbits,_ZN7rocprim17ROCPRIM_400000_NS6detail17trampoline_kernelINS0_14default_configENS1_38merge_sort_block_merge_config_selectorIiNS0_10empty_typeEEEZZNS1_27merge_sort_block_merge_implIS3_N6thrust23THRUST_200600_302600_NS10device_ptrIiEEPS5_jNS1_19radix_merge_compareILb0ELb0EiNS0_19identity_decomposerEEEEE10hipError_tT0_T1_T2_jT3_P12ihipStream_tbPNSt15iterator_traitsISH_E10value_typeEPNSN_ISI_E10value_typeEPSJ_NS1_7vsmem_tEENKUlT_SH_SI_SJ_E_clISB_PiSC_SC_EESG_SW_SH_SI_SJ_EUlSW_E_NS1_11comp_targetILNS1_3genE5ELNS1_11target_archE942ELNS1_3gpuE9ELNS1_3repE0EEENS1_48merge_mergepath_partition_config_static_selectorELNS0_4arch9wavefront6targetE0EEEvSI_,comdat
.Lfunc_end1138:
	.size	_ZN7rocprim17ROCPRIM_400000_NS6detail17trampoline_kernelINS0_14default_configENS1_38merge_sort_block_merge_config_selectorIiNS0_10empty_typeEEEZZNS1_27merge_sort_block_merge_implIS3_N6thrust23THRUST_200600_302600_NS10device_ptrIiEEPS5_jNS1_19radix_merge_compareILb0ELb0EiNS0_19identity_decomposerEEEEE10hipError_tT0_T1_T2_jT3_P12ihipStream_tbPNSt15iterator_traitsISH_E10value_typeEPNSN_ISI_E10value_typeEPSJ_NS1_7vsmem_tEENKUlT_SH_SI_SJ_E_clISB_PiSC_SC_EESG_SW_SH_SI_SJ_EUlSW_E_NS1_11comp_targetILNS1_3genE5ELNS1_11target_archE942ELNS1_3gpuE9ELNS1_3repE0EEENS1_48merge_mergepath_partition_config_static_selectorELNS0_4arch9wavefront6targetE0EEEvSI_, .Lfunc_end1138-_ZN7rocprim17ROCPRIM_400000_NS6detail17trampoline_kernelINS0_14default_configENS1_38merge_sort_block_merge_config_selectorIiNS0_10empty_typeEEEZZNS1_27merge_sort_block_merge_implIS3_N6thrust23THRUST_200600_302600_NS10device_ptrIiEEPS5_jNS1_19radix_merge_compareILb0ELb0EiNS0_19identity_decomposerEEEEE10hipError_tT0_T1_T2_jT3_P12ihipStream_tbPNSt15iterator_traitsISH_E10value_typeEPNSN_ISI_E10value_typeEPSJ_NS1_7vsmem_tEENKUlT_SH_SI_SJ_E_clISB_PiSC_SC_EESG_SW_SH_SI_SJ_EUlSW_E_NS1_11comp_targetILNS1_3genE5ELNS1_11target_archE942ELNS1_3gpuE9ELNS1_3repE0EEENS1_48merge_mergepath_partition_config_static_selectorELNS0_4arch9wavefront6targetE0EEEvSI_
                                        ; -- End function
	.set _ZN7rocprim17ROCPRIM_400000_NS6detail17trampoline_kernelINS0_14default_configENS1_38merge_sort_block_merge_config_selectorIiNS0_10empty_typeEEEZZNS1_27merge_sort_block_merge_implIS3_N6thrust23THRUST_200600_302600_NS10device_ptrIiEEPS5_jNS1_19radix_merge_compareILb0ELb0EiNS0_19identity_decomposerEEEEE10hipError_tT0_T1_T2_jT3_P12ihipStream_tbPNSt15iterator_traitsISH_E10value_typeEPNSN_ISI_E10value_typeEPSJ_NS1_7vsmem_tEENKUlT_SH_SI_SJ_E_clISB_PiSC_SC_EESG_SW_SH_SI_SJ_EUlSW_E_NS1_11comp_targetILNS1_3genE5ELNS1_11target_archE942ELNS1_3gpuE9ELNS1_3repE0EEENS1_48merge_mergepath_partition_config_static_selectorELNS0_4arch9wavefront6targetE0EEEvSI_.num_vgpr, 0
	.set _ZN7rocprim17ROCPRIM_400000_NS6detail17trampoline_kernelINS0_14default_configENS1_38merge_sort_block_merge_config_selectorIiNS0_10empty_typeEEEZZNS1_27merge_sort_block_merge_implIS3_N6thrust23THRUST_200600_302600_NS10device_ptrIiEEPS5_jNS1_19radix_merge_compareILb0ELb0EiNS0_19identity_decomposerEEEEE10hipError_tT0_T1_T2_jT3_P12ihipStream_tbPNSt15iterator_traitsISH_E10value_typeEPNSN_ISI_E10value_typeEPSJ_NS1_7vsmem_tEENKUlT_SH_SI_SJ_E_clISB_PiSC_SC_EESG_SW_SH_SI_SJ_EUlSW_E_NS1_11comp_targetILNS1_3genE5ELNS1_11target_archE942ELNS1_3gpuE9ELNS1_3repE0EEENS1_48merge_mergepath_partition_config_static_selectorELNS0_4arch9wavefront6targetE0EEEvSI_.num_agpr, 0
	.set _ZN7rocprim17ROCPRIM_400000_NS6detail17trampoline_kernelINS0_14default_configENS1_38merge_sort_block_merge_config_selectorIiNS0_10empty_typeEEEZZNS1_27merge_sort_block_merge_implIS3_N6thrust23THRUST_200600_302600_NS10device_ptrIiEEPS5_jNS1_19radix_merge_compareILb0ELb0EiNS0_19identity_decomposerEEEEE10hipError_tT0_T1_T2_jT3_P12ihipStream_tbPNSt15iterator_traitsISH_E10value_typeEPNSN_ISI_E10value_typeEPSJ_NS1_7vsmem_tEENKUlT_SH_SI_SJ_E_clISB_PiSC_SC_EESG_SW_SH_SI_SJ_EUlSW_E_NS1_11comp_targetILNS1_3genE5ELNS1_11target_archE942ELNS1_3gpuE9ELNS1_3repE0EEENS1_48merge_mergepath_partition_config_static_selectorELNS0_4arch9wavefront6targetE0EEEvSI_.numbered_sgpr, 0
	.set _ZN7rocprim17ROCPRIM_400000_NS6detail17trampoline_kernelINS0_14default_configENS1_38merge_sort_block_merge_config_selectorIiNS0_10empty_typeEEEZZNS1_27merge_sort_block_merge_implIS3_N6thrust23THRUST_200600_302600_NS10device_ptrIiEEPS5_jNS1_19radix_merge_compareILb0ELb0EiNS0_19identity_decomposerEEEEE10hipError_tT0_T1_T2_jT3_P12ihipStream_tbPNSt15iterator_traitsISH_E10value_typeEPNSN_ISI_E10value_typeEPSJ_NS1_7vsmem_tEENKUlT_SH_SI_SJ_E_clISB_PiSC_SC_EESG_SW_SH_SI_SJ_EUlSW_E_NS1_11comp_targetILNS1_3genE5ELNS1_11target_archE942ELNS1_3gpuE9ELNS1_3repE0EEENS1_48merge_mergepath_partition_config_static_selectorELNS0_4arch9wavefront6targetE0EEEvSI_.num_named_barrier, 0
	.set _ZN7rocprim17ROCPRIM_400000_NS6detail17trampoline_kernelINS0_14default_configENS1_38merge_sort_block_merge_config_selectorIiNS0_10empty_typeEEEZZNS1_27merge_sort_block_merge_implIS3_N6thrust23THRUST_200600_302600_NS10device_ptrIiEEPS5_jNS1_19radix_merge_compareILb0ELb0EiNS0_19identity_decomposerEEEEE10hipError_tT0_T1_T2_jT3_P12ihipStream_tbPNSt15iterator_traitsISH_E10value_typeEPNSN_ISI_E10value_typeEPSJ_NS1_7vsmem_tEENKUlT_SH_SI_SJ_E_clISB_PiSC_SC_EESG_SW_SH_SI_SJ_EUlSW_E_NS1_11comp_targetILNS1_3genE5ELNS1_11target_archE942ELNS1_3gpuE9ELNS1_3repE0EEENS1_48merge_mergepath_partition_config_static_selectorELNS0_4arch9wavefront6targetE0EEEvSI_.private_seg_size, 0
	.set _ZN7rocprim17ROCPRIM_400000_NS6detail17trampoline_kernelINS0_14default_configENS1_38merge_sort_block_merge_config_selectorIiNS0_10empty_typeEEEZZNS1_27merge_sort_block_merge_implIS3_N6thrust23THRUST_200600_302600_NS10device_ptrIiEEPS5_jNS1_19radix_merge_compareILb0ELb0EiNS0_19identity_decomposerEEEEE10hipError_tT0_T1_T2_jT3_P12ihipStream_tbPNSt15iterator_traitsISH_E10value_typeEPNSN_ISI_E10value_typeEPSJ_NS1_7vsmem_tEENKUlT_SH_SI_SJ_E_clISB_PiSC_SC_EESG_SW_SH_SI_SJ_EUlSW_E_NS1_11comp_targetILNS1_3genE5ELNS1_11target_archE942ELNS1_3gpuE9ELNS1_3repE0EEENS1_48merge_mergepath_partition_config_static_selectorELNS0_4arch9wavefront6targetE0EEEvSI_.uses_vcc, 0
	.set _ZN7rocprim17ROCPRIM_400000_NS6detail17trampoline_kernelINS0_14default_configENS1_38merge_sort_block_merge_config_selectorIiNS0_10empty_typeEEEZZNS1_27merge_sort_block_merge_implIS3_N6thrust23THRUST_200600_302600_NS10device_ptrIiEEPS5_jNS1_19radix_merge_compareILb0ELb0EiNS0_19identity_decomposerEEEEE10hipError_tT0_T1_T2_jT3_P12ihipStream_tbPNSt15iterator_traitsISH_E10value_typeEPNSN_ISI_E10value_typeEPSJ_NS1_7vsmem_tEENKUlT_SH_SI_SJ_E_clISB_PiSC_SC_EESG_SW_SH_SI_SJ_EUlSW_E_NS1_11comp_targetILNS1_3genE5ELNS1_11target_archE942ELNS1_3gpuE9ELNS1_3repE0EEENS1_48merge_mergepath_partition_config_static_selectorELNS0_4arch9wavefront6targetE0EEEvSI_.uses_flat_scratch, 0
	.set _ZN7rocprim17ROCPRIM_400000_NS6detail17trampoline_kernelINS0_14default_configENS1_38merge_sort_block_merge_config_selectorIiNS0_10empty_typeEEEZZNS1_27merge_sort_block_merge_implIS3_N6thrust23THRUST_200600_302600_NS10device_ptrIiEEPS5_jNS1_19radix_merge_compareILb0ELb0EiNS0_19identity_decomposerEEEEE10hipError_tT0_T1_T2_jT3_P12ihipStream_tbPNSt15iterator_traitsISH_E10value_typeEPNSN_ISI_E10value_typeEPSJ_NS1_7vsmem_tEENKUlT_SH_SI_SJ_E_clISB_PiSC_SC_EESG_SW_SH_SI_SJ_EUlSW_E_NS1_11comp_targetILNS1_3genE5ELNS1_11target_archE942ELNS1_3gpuE9ELNS1_3repE0EEENS1_48merge_mergepath_partition_config_static_selectorELNS0_4arch9wavefront6targetE0EEEvSI_.has_dyn_sized_stack, 0
	.set _ZN7rocprim17ROCPRIM_400000_NS6detail17trampoline_kernelINS0_14default_configENS1_38merge_sort_block_merge_config_selectorIiNS0_10empty_typeEEEZZNS1_27merge_sort_block_merge_implIS3_N6thrust23THRUST_200600_302600_NS10device_ptrIiEEPS5_jNS1_19radix_merge_compareILb0ELb0EiNS0_19identity_decomposerEEEEE10hipError_tT0_T1_T2_jT3_P12ihipStream_tbPNSt15iterator_traitsISH_E10value_typeEPNSN_ISI_E10value_typeEPSJ_NS1_7vsmem_tEENKUlT_SH_SI_SJ_E_clISB_PiSC_SC_EESG_SW_SH_SI_SJ_EUlSW_E_NS1_11comp_targetILNS1_3genE5ELNS1_11target_archE942ELNS1_3gpuE9ELNS1_3repE0EEENS1_48merge_mergepath_partition_config_static_selectorELNS0_4arch9wavefront6targetE0EEEvSI_.has_recursion, 0
	.set _ZN7rocprim17ROCPRIM_400000_NS6detail17trampoline_kernelINS0_14default_configENS1_38merge_sort_block_merge_config_selectorIiNS0_10empty_typeEEEZZNS1_27merge_sort_block_merge_implIS3_N6thrust23THRUST_200600_302600_NS10device_ptrIiEEPS5_jNS1_19radix_merge_compareILb0ELb0EiNS0_19identity_decomposerEEEEE10hipError_tT0_T1_T2_jT3_P12ihipStream_tbPNSt15iterator_traitsISH_E10value_typeEPNSN_ISI_E10value_typeEPSJ_NS1_7vsmem_tEENKUlT_SH_SI_SJ_E_clISB_PiSC_SC_EESG_SW_SH_SI_SJ_EUlSW_E_NS1_11comp_targetILNS1_3genE5ELNS1_11target_archE942ELNS1_3gpuE9ELNS1_3repE0EEENS1_48merge_mergepath_partition_config_static_selectorELNS0_4arch9wavefront6targetE0EEEvSI_.has_indirect_call, 0
	.section	.AMDGPU.csdata,"",@progbits
; Kernel info:
; codeLenInByte = 0
; TotalNumSgprs: 0
; NumVgprs: 0
; ScratchSize: 0
; MemoryBound: 0
; FloatMode: 240
; IeeeMode: 1
; LDSByteSize: 0 bytes/workgroup (compile time only)
; SGPRBlocks: 0
; VGPRBlocks: 0
; NumSGPRsForWavesPerEU: 1
; NumVGPRsForWavesPerEU: 1
; Occupancy: 16
; WaveLimiterHint : 0
; COMPUTE_PGM_RSRC2:SCRATCH_EN: 0
; COMPUTE_PGM_RSRC2:USER_SGPR: 6
; COMPUTE_PGM_RSRC2:TRAP_HANDLER: 0
; COMPUTE_PGM_RSRC2:TGID_X_EN: 1
; COMPUTE_PGM_RSRC2:TGID_Y_EN: 0
; COMPUTE_PGM_RSRC2:TGID_Z_EN: 0
; COMPUTE_PGM_RSRC2:TIDIG_COMP_CNT: 0
	.section	.text._ZN7rocprim17ROCPRIM_400000_NS6detail17trampoline_kernelINS0_14default_configENS1_38merge_sort_block_merge_config_selectorIiNS0_10empty_typeEEEZZNS1_27merge_sort_block_merge_implIS3_N6thrust23THRUST_200600_302600_NS10device_ptrIiEEPS5_jNS1_19radix_merge_compareILb0ELb0EiNS0_19identity_decomposerEEEEE10hipError_tT0_T1_T2_jT3_P12ihipStream_tbPNSt15iterator_traitsISH_E10value_typeEPNSN_ISI_E10value_typeEPSJ_NS1_7vsmem_tEENKUlT_SH_SI_SJ_E_clISB_PiSC_SC_EESG_SW_SH_SI_SJ_EUlSW_E_NS1_11comp_targetILNS1_3genE4ELNS1_11target_archE910ELNS1_3gpuE8ELNS1_3repE0EEENS1_48merge_mergepath_partition_config_static_selectorELNS0_4arch9wavefront6targetE0EEEvSI_,"axG",@progbits,_ZN7rocprim17ROCPRIM_400000_NS6detail17trampoline_kernelINS0_14default_configENS1_38merge_sort_block_merge_config_selectorIiNS0_10empty_typeEEEZZNS1_27merge_sort_block_merge_implIS3_N6thrust23THRUST_200600_302600_NS10device_ptrIiEEPS5_jNS1_19radix_merge_compareILb0ELb0EiNS0_19identity_decomposerEEEEE10hipError_tT0_T1_T2_jT3_P12ihipStream_tbPNSt15iterator_traitsISH_E10value_typeEPNSN_ISI_E10value_typeEPSJ_NS1_7vsmem_tEENKUlT_SH_SI_SJ_E_clISB_PiSC_SC_EESG_SW_SH_SI_SJ_EUlSW_E_NS1_11comp_targetILNS1_3genE4ELNS1_11target_archE910ELNS1_3gpuE8ELNS1_3repE0EEENS1_48merge_mergepath_partition_config_static_selectorELNS0_4arch9wavefront6targetE0EEEvSI_,comdat
	.protected	_ZN7rocprim17ROCPRIM_400000_NS6detail17trampoline_kernelINS0_14default_configENS1_38merge_sort_block_merge_config_selectorIiNS0_10empty_typeEEEZZNS1_27merge_sort_block_merge_implIS3_N6thrust23THRUST_200600_302600_NS10device_ptrIiEEPS5_jNS1_19radix_merge_compareILb0ELb0EiNS0_19identity_decomposerEEEEE10hipError_tT0_T1_T2_jT3_P12ihipStream_tbPNSt15iterator_traitsISH_E10value_typeEPNSN_ISI_E10value_typeEPSJ_NS1_7vsmem_tEENKUlT_SH_SI_SJ_E_clISB_PiSC_SC_EESG_SW_SH_SI_SJ_EUlSW_E_NS1_11comp_targetILNS1_3genE4ELNS1_11target_archE910ELNS1_3gpuE8ELNS1_3repE0EEENS1_48merge_mergepath_partition_config_static_selectorELNS0_4arch9wavefront6targetE0EEEvSI_ ; -- Begin function _ZN7rocprim17ROCPRIM_400000_NS6detail17trampoline_kernelINS0_14default_configENS1_38merge_sort_block_merge_config_selectorIiNS0_10empty_typeEEEZZNS1_27merge_sort_block_merge_implIS3_N6thrust23THRUST_200600_302600_NS10device_ptrIiEEPS5_jNS1_19radix_merge_compareILb0ELb0EiNS0_19identity_decomposerEEEEE10hipError_tT0_T1_T2_jT3_P12ihipStream_tbPNSt15iterator_traitsISH_E10value_typeEPNSN_ISI_E10value_typeEPSJ_NS1_7vsmem_tEENKUlT_SH_SI_SJ_E_clISB_PiSC_SC_EESG_SW_SH_SI_SJ_EUlSW_E_NS1_11comp_targetILNS1_3genE4ELNS1_11target_archE910ELNS1_3gpuE8ELNS1_3repE0EEENS1_48merge_mergepath_partition_config_static_selectorELNS0_4arch9wavefront6targetE0EEEvSI_
	.globl	_ZN7rocprim17ROCPRIM_400000_NS6detail17trampoline_kernelINS0_14default_configENS1_38merge_sort_block_merge_config_selectorIiNS0_10empty_typeEEEZZNS1_27merge_sort_block_merge_implIS3_N6thrust23THRUST_200600_302600_NS10device_ptrIiEEPS5_jNS1_19radix_merge_compareILb0ELb0EiNS0_19identity_decomposerEEEEE10hipError_tT0_T1_T2_jT3_P12ihipStream_tbPNSt15iterator_traitsISH_E10value_typeEPNSN_ISI_E10value_typeEPSJ_NS1_7vsmem_tEENKUlT_SH_SI_SJ_E_clISB_PiSC_SC_EESG_SW_SH_SI_SJ_EUlSW_E_NS1_11comp_targetILNS1_3genE4ELNS1_11target_archE910ELNS1_3gpuE8ELNS1_3repE0EEENS1_48merge_mergepath_partition_config_static_selectorELNS0_4arch9wavefront6targetE0EEEvSI_
	.p2align	8
	.type	_ZN7rocprim17ROCPRIM_400000_NS6detail17trampoline_kernelINS0_14default_configENS1_38merge_sort_block_merge_config_selectorIiNS0_10empty_typeEEEZZNS1_27merge_sort_block_merge_implIS3_N6thrust23THRUST_200600_302600_NS10device_ptrIiEEPS5_jNS1_19radix_merge_compareILb0ELb0EiNS0_19identity_decomposerEEEEE10hipError_tT0_T1_T2_jT3_P12ihipStream_tbPNSt15iterator_traitsISH_E10value_typeEPNSN_ISI_E10value_typeEPSJ_NS1_7vsmem_tEENKUlT_SH_SI_SJ_E_clISB_PiSC_SC_EESG_SW_SH_SI_SJ_EUlSW_E_NS1_11comp_targetILNS1_3genE4ELNS1_11target_archE910ELNS1_3gpuE8ELNS1_3repE0EEENS1_48merge_mergepath_partition_config_static_selectorELNS0_4arch9wavefront6targetE0EEEvSI_,@function
_ZN7rocprim17ROCPRIM_400000_NS6detail17trampoline_kernelINS0_14default_configENS1_38merge_sort_block_merge_config_selectorIiNS0_10empty_typeEEEZZNS1_27merge_sort_block_merge_implIS3_N6thrust23THRUST_200600_302600_NS10device_ptrIiEEPS5_jNS1_19radix_merge_compareILb0ELb0EiNS0_19identity_decomposerEEEEE10hipError_tT0_T1_T2_jT3_P12ihipStream_tbPNSt15iterator_traitsISH_E10value_typeEPNSN_ISI_E10value_typeEPSJ_NS1_7vsmem_tEENKUlT_SH_SI_SJ_E_clISB_PiSC_SC_EESG_SW_SH_SI_SJ_EUlSW_E_NS1_11comp_targetILNS1_3genE4ELNS1_11target_archE910ELNS1_3gpuE8ELNS1_3repE0EEENS1_48merge_mergepath_partition_config_static_selectorELNS0_4arch9wavefront6targetE0EEEvSI_: ; @_ZN7rocprim17ROCPRIM_400000_NS6detail17trampoline_kernelINS0_14default_configENS1_38merge_sort_block_merge_config_selectorIiNS0_10empty_typeEEEZZNS1_27merge_sort_block_merge_implIS3_N6thrust23THRUST_200600_302600_NS10device_ptrIiEEPS5_jNS1_19radix_merge_compareILb0ELb0EiNS0_19identity_decomposerEEEEE10hipError_tT0_T1_T2_jT3_P12ihipStream_tbPNSt15iterator_traitsISH_E10value_typeEPNSN_ISI_E10value_typeEPSJ_NS1_7vsmem_tEENKUlT_SH_SI_SJ_E_clISB_PiSC_SC_EESG_SW_SH_SI_SJ_EUlSW_E_NS1_11comp_targetILNS1_3genE4ELNS1_11target_archE910ELNS1_3gpuE8ELNS1_3repE0EEENS1_48merge_mergepath_partition_config_static_selectorELNS0_4arch9wavefront6targetE0EEEvSI_
; %bb.0:
	.section	.rodata,"a",@progbits
	.p2align	6, 0x0
	.amdhsa_kernel _ZN7rocprim17ROCPRIM_400000_NS6detail17trampoline_kernelINS0_14default_configENS1_38merge_sort_block_merge_config_selectorIiNS0_10empty_typeEEEZZNS1_27merge_sort_block_merge_implIS3_N6thrust23THRUST_200600_302600_NS10device_ptrIiEEPS5_jNS1_19radix_merge_compareILb0ELb0EiNS0_19identity_decomposerEEEEE10hipError_tT0_T1_T2_jT3_P12ihipStream_tbPNSt15iterator_traitsISH_E10value_typeEPNSN_ISI_E10value_typeEPSJ_NS1_7vsmem_tEENKUlT_SH_SI_SJ_E_clISB_PiSC_SC_EESG_SW_SH_SI_SJ_EUlSW_E_NS1_11comp_targetILNS1_3genE4ELNS1_11target_archE910ELNS1_3gpuE8ELNS1_3repE0EEENS1_48merge_mergepath_partition_config_static_selectorELNS0_4arch9wavefront6targetE0EEEvSI_
		.amdhsa_group_segment_fixed_size 0
		.amdhsa_private_segment_fixed_size 0
		.amdhsa_kernarg_size 40
		.amdhsa_user_sgpr_count 6
		.amdhsa_user_sgpr_private_segment_buffer 1
		.amdhsa_user_sgpr_dispatch_ptr 0
		.amdhsa_user_sgpr_queue_ptr 0
		.amdhsa_user_sgpr_kernarg_segment_ptr 1
		.amdhsa_user_sgpr_dispatch_id 0
		.amdhsa_user_sgpr_flat_scratch_init 0
		.amdhsa_user_sgpr_private_segment_size 0
		.amdhsa_wavefront_size32 1
		.amdhsa_uses_dynamic_stack 0
		.amdhsa_system_sgpr_private_segment_wavefront_offset 0
		.amdhsa_system_sgpr_workgroup_id_x 1
		.amdhsa_system_sgpr_workgroup_id_y 0
		.amdhsa_system_sgpr_workgroup_id_z 0
		.amdhsa_system_sgpr_workgroup_info 0
		.amdhsa_system_vgpr_workitem_id 0
		.amdhsa_next_free_vgpr 1
		.amdhsa_next_free_sgpr 1
		.amdhsa_reserve_vcc 0
		.amdhsa_reserve_flat_scratch 0
		.amdhsa_float_round_mode_32 0
		.amdhsa_float_round_mode_16_64 0
		.amdhsa_float_denorm_mode_32 3
		.amdhsa_float_denorm_mode_16_64 3
		.amdhsa_dx10_clamp 1
		.amdhsa_ieee_mode 1
		.amdhsa_fp16_overflow 0
		.amdhsa_workgroup_processor_mode 1
		.amdhsa_memory_ordered 1
		.amdhsa_forward_progress 1
		.amdhsa_shared_vgpr_count 0
		.amdhsa_exception_fp_ieee_invalid_op 0
		.amdhsa_exception_fp_denorm_src 0
		.amdhsa_exception_fp_ieee_div_zero 0
		.amdhsa_exception_fp_ieee_overflow 0
		.amdhsa_exception_fp_ieee_underflow 0
		.amdhsa_exception_fp_ieee_inexact 0
		.amdhsa_exception_int_div_zero 0
	.end_amdhsa_kernel
	.section	.text._ZN7rocprim17ROCPRIM_400000_NS6detail17trampoline_kernelINS0_14default_configENS1_38merge_sort_block_merge_config_selectorIiNS0_10empty_typeEEEZZNS1_27merge_sort_block_merge_implIS3_N6thrust23THRUST_200600_302600_NS10device_ptrIiEEPS5_jNS1_19radix_merge_compareILb0ELb0EiNS0_19identity_decomposerEEEEE10hipError_tT0_T1_T2_jT3_P12ihipStream_tbPNSt15iterator_traitsISH_E10value_typeEPNSN_ISI_E10value_typeEPSJ_NS1_7vsmem_tEENKUlT_SH_SI_SJ_E_clISB_PiSC_SC_EESG_SW_SH_SI_SJ_EUlSW_E_NS1_11comp_targetILNS1_3genE4ELNS1_11target_archE910ELNS1_3gpuE8ELNS1_3repE0EEENS1_48merge_mergepath_partition_config_static_selectorELNS0_4arch9wavefront6targetE0EEEvSI_,"axG",@progbits,_ZN7rocprim17ROCPRIM_400000_NS6detail17trampoline_kernelINS0_14default_configENS1_38merge_sort_block_merge_config_selectorIiNS0_10empty_typeEEEZZNS1_27merge_sort_block_merge_implIS3_N6thrust23THRUST_200600_302600_NS10device_ptrIiEEPS5_jNS1_19radix_merge_compareILb0ELb0EiNS0_19identity_decomposerEEEEE10hipError_tT0_T1_T2_jT3_P12ihipStream_tbPNSt15iterator_traitsISH_E10value_typeEPNSN_ISI_E10value_typeEPSJ_NS1_7vsmem_tEENKUlT_SH_SI_SJ_E_clISB_PiSC_SC_EESG_SW_SH_SI_SJ_EUlSW_E_NS1_11comp_targetILNS1_3genE4ELNS1_11target_archE910ELNS1_3gpuE8ELNS1_3repE0EEENS1_48merge_mergepath_partition_config_static_selectorELNS0_4arch9wavefront6targetE0EEEvSI_,comdat
.Lfunc_end1139:
	.size	_ZN7rocprim17ROCPRIM_400000_NS6detail17trampoline_kernelINS0_14default_configENS1_38merge_sort_block_merge_config_selectorIiNS0_10empty_typeEEEZZNS1_27merge_sort_block_merge_implIS3_N6thrust23THRUST_200600_302600_NS10device_ptrIiEEPS5_jNS1_19radix_merge_compareILb0ELb0EiNS0_19identity_decomposerEEEEE10hipError_tT0_T1_T2_jT3_P12ihipStream_tbPNSt15iterator_traitsISH_E10value_typeEPNSN_ISI_E10value_typeEPSJ_NS1_7vsmem_tEENKUlT_SH_SI_SJ_E_clISB_PiSC_SC_EESG_SW_SH_SI_SJ_EUlSW_E_NS1_11comp_targetILNS1_3genE4ELNS1_11target_archE910ELNS1_3gpuE8ELNS1_3repE0EEENS1_48merge_mergepath_partition_config_static_selectorELNS0_4arch9wavefront6targetE0EEEvSI_, .Lfunc_end1139-_ZN7rocprim17ROCPRIM_400000_NS6detail17trampoline_kernelINS0_14default_configENS1_38merge_sort_block_merge_config_selectorIiNS0_10empty_typeEEEZZNS1_27merge_sort_block_merge_implIS3_N6thrust23THRUST_200600_302600_NS10device_ptrIiEEPS5_jNS1_19radix_merge_compareILb0ELb0EiNS0_19identity_decomposerEEEEE10hipError_tT0_T1_T2_jT3_P12ihipStream_tbPNSt15iterator_traitsISH_E10value_typeEPNSN_ISI_E10value_typeEPSJ_NS1_7vsmem_tEENKUlT_SH_SI_SJ_E_clISB_PiSC_SC_EESG_SW_SH_SI_SJ_EUlSW_E_NS1_11comp_targetILNS1_3genE4ELNS1_11target_archE910ELNS1_3gpuE8ELNS1_3repE0EEENS1_48merge_mergepath_partition_config_static_selectorELNS0_4arch9wavefront6targetE0EEEvSI_
                                        ; -- End function
	.set _ZN7rocprim17ROCPRIM_400000_NS6detail17trampoline_kernelINS0_14default_configENS1_38merge_sort_block_merge_config_selectorIiNS0_10empty_typeEEEZZNS1_27merge_sort_block_merge_implIS3_N6thrust23THRUST_200600_302600_NS10device_ptrIiEEPS5_jNS1_19radix_merge_compareILb0ELb0EiNS0_19identity_decomposerEEEEE10hipError_tT0_T1_T2_jT3_P12ihipStream_tbPNSt15iterator_traitsISH_E10value_typeEPNSN_ISI_E10value_typeEPSJ_NS1_7vsmem_tEENKUlT_SH_SI_SJ_E_clISB_PiSC_SC_EESG_SW_SH_SI_SJ_EUlSW_E_NS1_11comp_targetILNS1_3genE4ELNS1_11target_archE910ELNS1_3gpuE8ELNS1_3repE0EEENS1_48merge_mergepath_partition_config_static_selectorELNS0_4arch9wavefront6targetE0EEEvSI_.num_vgpr, 0
	.set _ZN7rocprim17ROCPRIM_400000_NS6detail17trampoline_kernelINS0_14default_configENS1_38merge_sort_block_merge_config_selectorIiNS0_10empty_typeEEEZZNS1_27merge_sort_block_merge_implIS3_N6thrust23THRUST_200600_302600_NS10device_ptrIiEEPS5_jNS1_19radix_merge_compareILb0ELb0EiNS0_19identity_decomposerEEEEE10hipError_tT0_T1_T2_jT3_P12ihipStream_tbPNSt15iterator_traitsISH_E10value_typeEPNSN_ISI_E10value_typeEPSJ_NS1_7vsmem_tEENKUlT_SH_SI_SJ_E_clISB_PiSC_SC_EESG_SW_SH_SI_SJ_EUlSW_E_NS1_11comp_targetILNS1_3genE4ELNS1_11target_archE910ELNS1_3gpuE8ELNS1_3repE0EEENS1_48merge_mergepath_partition_config_static_selectorELNS0_4arch9wavefront6targetE0EEEvSI_.num_agpr, 0
	.set _ZN7rocprim17ROCPRIM_400000_NS6detail17trampoline_kernelINS0_14default_configENS1_38merge_sort_block_merge_config_selectorIiNS0_10empty_typeEEEZZNS1_27merge_sort_block_merge_implIS3_N6thrust23THRUST_200600_302600_NS10device_ptrIiEEPS5_jNS1_19radix_merge_compareILb0ELb0EiNS0_19identity_decomposerEEEEE10hipError_tT0_T1_T2_jT3_P12ihipStream_tbPNSt15iterator_traitsISH_E10value_typeEPNSN_ISI_E10value_typeEPSJ_NS1_7vsmem_tEENKUlT_SH_SI_SJ_E_clISB_PiSC_SC_EESG_SW_SH_SI_SJ_EUlSW_E_NS1_11comp_targetILNS1_3genE4ELNS1_11target_archE910ELNS1_3gpuE8ELNS1_3repE0EEENS1_48merge_mergepath_partition_config_static_selectorELNS0_4arch9wavefront6targetE0EEEvSI_.numbered_sgpr, 0
	.set _ZN7rocprim17ROCPRIM_400000_NS6detail17trampoline_kernelINS0_14default_configENS1_38merge_sort_block_merge_config_selectorIiNS0_10empty_typeEEEZZNS1_27merge_sort_block_merge_implIS3_N6thrust23THRUST_200600_302600_NS10device_ptrIiEEPS5_jNS1_19radix_merge_compareILb0ELb0EiNS0_19identity_decomposerEEEEE10hipError_tT0_T1_T2_jT3_P12ihipStream_tbPNSt15iterator_traitsISH_E10value_typeEPNSN_ISI_E10value_typeEPSJ_NS1_7vsmem_tEENKUlT_SH_SI_SJ_E_clISB_PiSC_SC_EESG_SW_SH_SI_SJ_EUlSW_E_NS1_11comp_targetILNS1_3genE4ELNS1_11target_archE910ELNS1_3gpuE8ELNS1_3repE0EEENS1_48merge_mergepath_partition_config_static_selectorELNS0_4arch9wavefront6targetE0EEEvSI_.num_named_barrier, 0
	.set _ZN7rocprim17ROCPRIM_400000_NS6detail17trampoline_kernelINS0_14default_configENS1_38merge_sort_block_merge_config_selectorIiNS0_10empty_typeEEEZZNS1_27merge_sort_block_merge_implIS3_N6thrust23THRUST_200600_302600_NS10device_ptrIiEEPS5_jNS1_19radix_merge_compareILb0ELb0EiNS0_19identity_decomposerEEEEE10hipError_tT0_T1_T2_jT3_P12ihipStream_tbPNSt15iterator_traitsISH_E10value_typeEPNSN_ISI_E10value_typeEPSJ_NS1_7vsmem_tEENKUlT_SH_SI_SJ_E_clISB_PiSC_SC_EESG_SW_SH_SI_SJ_EUlSW_E_NS1_11comp_targetILNS1_3genE4ELNS1_11target_archE910ELNS1_3gpuE8ELNS1_3repE0EEENS1_48merge_mergepath_partition_config_static_selectorELNS0_4arch9wavefront6targetE0EEEvSI_.private_seg_size, 0
	.set _ZN7rocprim17ROCPRIM_400000_NS6detail17trampoline_kernelINS0_14default_configENS1_38merge_sort_block_merge_config_selectorIiNS0_10empty_typeEEEZZNS1_27merge_sort_block_merge_implIS3_N6thrust23THRUST_200600_302600_NS10device_ptrIiEEPS5_jNS1_19radix_merge_compareILb0ELb0EiNS0_19identity_decomposerEEEEE10hipError_tT0_T1_T2_jT3_P12ihipStream_tbPNSt15iterator_traitsISH_E10value_typeEPNSN_ISI_E10value_typeEPSJ_NS1_7vsmem_tEENKUlT_SH_SI_SJ_E_clISB_PiSC_SC_EESG_SW_SH_SI_SJ_EUlSW_E_NS1_11comp_targetILNS1_3genE4ELNS1_11target_archE910ELNS1_3gpuE8ELNS1_3repE0EEENS1_48merge_mergepath_partition_config_static_selectorELNS0_4arch9wavefront6targetE0EEEvSI_.uses_vcc, 0
	.set _ZN7rocprim17ROCPRIM_400000_NS6detail17trampoline_kernelINS0_14default_configENS1_38merge_sort_block_merge_config_selectorIiNS0_10empty_typeEEEZZNS1_27merge_sort_block_merge_implIS3_N6thrust23THRUST_200600_302600_NS10device_ptrIiEEPS5_jNS1_19radix_merge_compareILb0ELb0EiNS0_19identity_decomposerEEEEE10hipError_tT0_T1_T2_jT3_P12ihipStream_tbPNSt15iterator_traitsISH_E10value_typeEPNSN_ISI_E10value_typeEPSJ_NS1_7vsmem_tEENKUlT_SH_SI_SJ_E_clISB_PiSC_SC_EESG_SW_SH_SI_SJ_EUlSW_E_NS1_11comp_targetILNS1_3genE4ELNS1_11target_archE910ELNS1_3gpuE8ELNS1_3repE0EEENS1_48merge_mergepath_partition_config_static_selectorELNS0_4arch9wavefront6targetE0EEEvSI_.uses_flat_scratch, 0
	.set _ZN7rocprim17ROCPRIM_400000_NS6detail17trampoline_kernelINS0_14default_configENS1_38merge_sort_block_merge_config_selectorIiNS0_10empty_typeEEEZZNS1_27merge_sort_block_merge_implIS3_N6thrust23THRUST_200600_302600_NS10device_ptrIiEEPS5_jNS1_19radix_merge_compareILb0ELb0EiNS0_19identity_decomposerEEEEE10hipError_tT0_T1_T2_jT3_P12ihipStream_tbPNSt15iterator_traitsISH_E10value_typeEPNSN_ISI_E10value_typeEPSJ_NS1_7vsmem_tEENKUlT_SH_SI_SJ_E_clISB_PiSC_SC_EESG_SW_SH_SI_SJ_EUlSW_E_NS1_11comp_targetILNS1_3genE4ELNS1_11target_archE910ELNS1_3gpuE8ELNS1_3repE0EEENS1_48merge_mergepath_partition_config_static_selectorELNS0_4arch9wavefront6targetE0EEEvSI_.has_dyn_sized_stack, 0
	.set _ZN7rocprim17ROCPRIM_400000_NS6detail17trampoline_kernelINS0_14default_configENS1_38merge_sort_block_merge_config_selectorIiNS0_10empty_typeEEEZZNS1_27merge_sort_block_merge_implIS3_N6thrust23THRUST_200600_302600_NS10device_ptrIiEEPS5_jNS1_19radix_merge_compareILb0ELb0EiNS0_19identity_decomposerEEEEE10hipError_tT0_T1_T2_jT3_P12ihipStream_tbPNSt15iterator_traitsISH_E10value_typeEPNSN_ISI_E10value_typeEPSJ_NS1_7vsmem_tEENKUlT_SH_SI_SJ_E_clISB_PiSC_SC_EESG_SW_SH_SI_SJ_EUlSW_E_NS1_11comp_targetILNS1_3genE4ELNS1_11target_archE910ELNS1_3gpuE8ELNS1_3repE0EEENS1_48merge_mergepath_partition_config_static_selectorELNS0_4arch9wavefront6targetE0EEEvSI_.has_recursion, 0
	.set _ZN7rocprim17ROCPRIM_400000_NS6detail17trampoline_kernelINS0_14default_configENS1_38merge_sort_block_merge_config_selectorIiNS0_10empty_typeEEEZZNS1_27merge_sort_block_merge_implIS3_N6thrust23THRUST_200600_302600_NS10device_ptrIiEEPS5_jNS1_19radix_merge_compareILb0ELb0EiNS0_19identity_decomposerEEEEE10hipError_tT0_T1_T2_jT3_P12ihipStream_tbPNSt15iterator_traitsISH_E10value_typeEPNSN_ISI_E10value_typeEPSJ_NS1_7vsmem_tEENKUlT_SH_SI_SJ_E_clISB_PiSC_SC_EESG_SW_SH_SI_SJ_EUlSW_E_NS1_11comp_targetILNS1_3genE4ELNS1_11target_archE910ELNS1_3gpuE8ELNS1_3repE0EEENS1_48merge_mergepath_partition_config_static_selectorELNS0_4arch9wavefront6targetE0EEEvSI_.has_indirect_call, 0
	.section	.AMDGPU.csdata,"",@progbits
; Kernel info:
; codeLenInByte = 0
; TotalNumSgprs: 0
; NumVgprs: 0
; ScratchSize: 0
; MemoryBound: 0
; FloatMode: 240
; IeeeMode: 1
; LDSByteSize: 0 bytes/workgroup (compile time only)
; SGPRBlocks: 0
; VGPRBlocks: 0
; NumSGPRsForWavesPerEU: 1
; NumVGPRsForWavesPerEU: 1
; Occupancy: 16
; WaveLimiterHint : 0
; COMPUTE_PGM_RSRC2:SCRATCH_EN: 0
; COMPUTE_PGM_RSRC2:USER_SGPR: 6
; COMPUTE_PGM_RSRC2:TRAP_HANDLER: 0
; COMPUTE_PGM_RSRC2:TGID_X_EN: 1
; COMPUTE_PGM_RSRC2:TGID_Y_EN: 0
; COMPUTE_PGM_RSRC2:TGID_Z_EN: 0
; COMPUTE_PGM_RSRC2:TIDIG_COMP_CNT: 0
	.section	.text._ZN7rocprim17ROCPRIM_400000_NS6detail17trampoline_kernelINS0_14default_configENS1_38merge_sort_block_merge_config_selectorIiNS0_10empty_typeEEEZZNS1_27merge_sort_block_merge_implIS3_N6thrust23THRUST_200600_302600_NS10device_ptrIiEEPS5_jNS1_19radix_merge_compareILb0ELb0EiNS0_19identity_decomposerEEEEE10hipError_tT0_T1_T2_jT3_P12ihipStream_tbPNSt15iterator_traitsISH_E10value_typeEPNSN_ISI_E10value_typeEPSJ_NS1_7vsmem_tEENKUlT_SH_SI_SJ_E_clISB_PiSC_SC_EESG_SW_SH_SI_SJ_EUlSW_E_NS1_11comp_targetILNS1_3genE3ELNS1_11target_archE908ELNS1_3gpuE7ELNS1_3repE0EEENS1_48merge_mergepath_partition_config_static_selectorELNS0_4arch9wavefront6targetE0EEEvSI_,"axG",@progbits,_ZN7rocprim17ROCPRIM_400000_NS6detail17trampoline_kernelINS0_14default_configENS1_38merge_sort_block_merge_config_selectorIiNS0_10empty_typeEEEZZNS1_27merge_sort_block_merge_implIS3_N6thrust23THRUST_200600_302600_NS10device_ptrIiEEPS5_jNS1_19radix_merge_compareILb0ELb0EiNS0_19identity_decomposerEEEEE10hipError_tT0_T1_T2_jT3_P12ihipStream_tbPNSt15iterator_traitsISH_E10value_typeEPNSN_ISI_E10value_typeEPSJ_NS1_7vsmem_tEENKUlT_SH_SI_SJ_E_clISB_PiSC_SC_EESG_SW_SH_SI_SJ_EUlSW_E_NS1_11comp_targetILNS1_3genE3ELNS1_11target_archE908ELNS1_3gpuE7ELNS1_3repE0EEENS1_48merge_mergepath_partition_config_static_selectorELNS0_4arch9wavefront6targetE0EEEvSI_,comdat
	.protected	_ZN7rocprim17ROCPRIM_400000_NS6detail17trampoline_kernelINS0_14default_configENS1_38merge_sort_block_merge_config_selectorIiNS0_10empty_typeEEEZZNS1_27merge_sort_block_merge_implIS3_N6thrust23THRUST_200600_302600_NS10device_ptrIiEEPS5_jNS1_19radix_merge_compareILb0ELb0EiNS0_19identity_decomposerEEEEE10hipError_tT0_T1_T2_jT3_P12ihipStream_tbPNSt15iterator_traitsISH_E10value_typeEPNSN_ISI_E10value_typeEPSJ_NS1_7vsmem_tEENKUlT_SH_SI_SJ_E_clISB_PiSC_SC_EESG_SW_SH_SI_SJ_EUlSW_E_NS1_11comp_targetILNS1_3genE3ELNS1_11target_archE908ELNS1_3gpuE7ELNS1_3repE0EEENS1_48merge_mergepath_partition_config_static_selectorELNS0_4arch9wavefront6targetE0EEEvSI_ ; -- Begin function _ZN7rocprim17ROCPRIM_400000_NS6detail17trampoline_kernelINS0_14default_configENS1_38merge_sort_block_merge_config_selectorIiNS0_10empty_typeEEEZZNS1_27merge_sort_block_merge_implIS3_N6thrust23THRUST_200600_302600_NS10device_ptrIiEEPS5_jNS1_19radix_merge_compareILb0ELb0EiNS0_19identity_decomposerEEEEE10hipError_tT0_T1_T2_jT3_P12ihipStream_tbPNSt15iterator_traitsISH_E10value_typeEPNSN_ISI_E10value_typeEPSJ_NS1_7vsmem_tEENKUlT_SH_SI_SJ_E_clISB_PiSC_SC_EESG_SW_SH_SI_SJ_EUlSW_E_NS1_11comp_targetILNS1_3genE3ELNS1_11target_archE908ELNS1_3gpuE7ELNS1_3repE0EEENS1_48merge_mergepath_partition_config_static_selectorELNS0_4arch9wavefront6targetE0EEEvSI_
	.globl	_ZN7rocprim17ROCPRIM_400000_NS6detail17trampoline_kernelINS0_14default_configENS1_38merge_sort_block_merge_config_selectorIiNS0_10empty_typeEEEZZNS1_27merge_sort_block_merge_implIS3_N6thrust23THRUST_200600_302600_NS10device_ptrIiEEPS5_jNS1_19radix_merge_compareILb0ELb0EiNS0_19identity_decomposerEEEEE10hipError_tT0_T1_T2_jT3_P12ihipStream_tbPNSt15iterator_traitsISH_E10value_typeEPNSN_ISI_E10value_typeEPSJ_NS1_7vsmem_tEENKUlT_SH_SI_SJ_E_clISB_PiSC_SC_EESG_SW_SH_SI_SJ_EUlSW_E_NS1_11comp_targetILNS1_3genE3ELNS1_11target_archE908ELNS1_3gpuE7ELNS1_3repE0EEENS1_48merge_mergepath_partition_config_static_selectorELNS0_4arch9wavefront6targetE0EEEvSI_
	.p2align	8
	.type	_ZN7rocprim17ROCPRIM_400000_NS6detail17trampoline_kernelINS0_14default_configENS1_38merge_sort_block_merge_config_selectorIiNS0_10empty_typeEEEZZNS1_27merge_sort_block_merge_implIS3_N6thrust23THRUST_200600_302600_NS10device_ptrIiEEPS5_jNS1_19radix_merge_compareILb0ELb0EiNS0_19identity_decomposerEEEEE10hipError_tT0_T1_T2_jT3_P12ihipStream_tbPNSt15iterator_traitsISH_E10value_typeEPNSN_ISI_E10value_typeEPSJ_NS1_7vsmem_tEENKUlT_SH_SI_SJ_E_clISB_PiSC_SC_EESG_SW_SH_SI_SJ_EUlSW_E_NS1_11comp_targetILNS1_3genE3ELNS1_11target_archE908ELNS1_3gpuE7ELNS1_3repE0EEENS1_48merge_mergepath_partition_config_static_selectorELNS0_4arch9wavefront6targetE0EEEvSI_,@function
_ZN7rocprim17ROCPRIM_400000_NS6detail17trampoline_kernelINS0_14default_configENS1_38merge_sort_block_merge_config_selectorIiNS0_10empty_typeEEEZZNS1_27merge_sort_block_merge_implIS3_N6thrust23THRUST_200600_302600_NS10device_ptrIiEEPS5_jNS1_19radix_merge_compareILb0ELb0EiNS0_19identity_decomposerEEEEE10hipError_tT0_T1_T2_jT3_P12ihipStream_tbPNSt15iterator_traitsISH_E10value_typeEPNSN_ISI_E10value_typeEPSJ_NS1_7vsmem_tEENKUlT_SH_SI_SJ_E_clISB_PiSC_SC_EESG_SW_SH_SI_SJ_EUlSW_E_NS1_11comp_targetILNS1_3genE3ELNS1_11target_archE908ELNS1_3gpuE7ELNS1_3repE0EEENS1_48merge_mergepath_partition_config_static_selectorELNS0_4arch9wavefront6targetE0EEEvSI_: ; @_ZN7rocprim17ROCPRIM_400000_NS6detail17trampoline_kernelINS0_14default_configENS1_38merge_sort_block_merge_config_selectorIiNS0_10empty_typeEEEZZNS1_27merge_sort_block_merge_implIS3_N6thrust23THRUST_200600_302600_NS10device_ptrIiEEPS5_jNS1_19radix_merge_compareILb0ELb0EiNS0_19identity_decomposerEEEEE10hipError_tT0_T1_T2_jT3_P12ihipStream_tbPNSt15iterator_traitsISH_E10value_typeEPNSN_ISI_E10value_typeEPSJ_NS1_7vsmem_tEENKUlT_SH_SI_SJ_E_clISB_PiSC_SC_EESG_SW_SH_SI_SJ_EUlSW_E_NS1_11comp_targetILNS1_3genE3ELNS1_11target_archE908ELNS1_3gpuE7ELNS1_3repE0EEENS1_48merge_mergepath_partition_config_static_selectorELNS0_4arch9wavefront6targetE0EEEvSI_
; %bb.0:
	.section	.rodata,"a",@progbits
	.p2align	6, 0x0
	.amdhsa_kernel _ZN7rocprim17ROCPRIM_400000_NS6detail17trampoline_kernelINS0_14default_configENS1_38merge_sort_block_merge_config_selectorIiNS0_10empty_typeEEEZZNS1_27merge_sort_block_merge_implIS3_N6thrust23THRUST_200600_302600_NS10device_ptrIiEEPS5_jNS1_19radix_merge_compareILb0ELb0EiNS0_19identity_decomposerEEEEE10hipError_tT0_T1_T2_jT3_P12ihipStream_tbPNSt15iterator_traitsISH_E10value_typeEPNSN_ISI_E10value_typeEPSJ_NS1_7vsmem_tEENKUlT_SH_SI_SJ_E_clISB_PiSC_SC_EESG_SW_SH_SI_SJ_EUlSW_E_NS1_11comp_targetILNS1_3genE3ELNS1_11target_archE908ELNS1_3gpuE7ELNS1_3repE0EEENS1_48merge_mergepath_partition_config_static_selectorELNS0_4arch9wavefront6targetE0EEEvSI_
		.amdhsa_group_segment_fixed_size 0
		.amdhsa_private_segment_fixed_size 0
		.amdhsa_kernarg_size 40
		.amdhsa_user_sgpr_count 6
		.amdhsa_user_sgpr_private_segment_buffer 1
		.amdhsa_user_sgpr_dispatch_ptr 0
		.amdhsa_user_sgpr_queue_ptr 0
		.amdhsa_user_sgpr_kernarg_segment_ptr 1
		.amdhsa_user_sgpr_dispatch_id 0
		.amdhsa_user_sgpr_flat_scratch_init 0
		.amdhsa_user_sgpr_private_segment_size 0
		.amdhsa_wavefront_size32 1
		.amdhsa_uses_dynamic_stack 0
		.amdhsa_system_sgpr_private_segment_wavefront_offset 0
		.amdhsa_system_sgpr_workgroup_id_x 1
		.amdhsa_system_sgpr_workgroup_id_y 0
		.amdhsa_system_sgpr_workgroup_id_z 0
		.amdhsa_system_sgpr_workgroup_info 0
		.amdhsa_system_vgpr_workitem_id 0
		.amdhsa_next_free_vgpr 1
		.amdhsa_next_free_sgpr 1
		.amdhsa_reserve_vcc 0
		.amdhsa_reserve_flat_scratch 0
		.amdhsa_float_round_mode_32 0
		.amdhsa_float_round_mode_16_64 0
		.amdhsa_float_denorm_mode_32 3
		.amdhsa_float_denorm_mode_16_64 3
		.amdhsa_dx10_clamp 1
		.amdhsa_ieee_mode 1
		.amdhsa_fp16_overflow 0
		.amdhsa_workgroup_processor_mode 1
		.amdhsa_memory_ordered 1
		.amdhsa_forward_progress 1
		.amdhsa_shared_vgpr_count 0
		.amdhsa_exception_fp_ieee_invalid_op 0
		.amdhsa_exception_fp_denorm_src 0
		.amdhsa_exception_fp_ieee_div_zero 0
		.amdhsa_exception_fp_ieee_overflow 0
		.amdhsa_exception_fp_ieee_underflow 0
		.amdhsa_exception_fp_ieee_inexact 0
		.amdhsa_exception_int_div_zero 0
	.end_amdhsa_kernel
	.section	.text._ZN7rocprim17ROCPRIM_400000_NS6detail17trampoline_kernelINS0_14default_configENS1_38merge_sort_block_merge_config_selectorIiNS0_10empty_typeEEEZZNS1_27merge_sort_block_merge_implIS3_N6thrust23THRUST_200600_302600_NS10device_ptrIiEEPS5_jNS1_19radix_merge_compareILb0ELb0EiNS0_19identity_decomposerEEEEE10hipError_tT0_T1_T2_jT3_P12ihipStream_tbPNSt15iterator_traitsISH_E10value_typeEPNSN_ISI_E10value_typeEPSJ_NS1_7vsmem_tEENKUlT_SH_SI_SJ_E_clISB_PiSC_SC_EESG_SW_SH_SI_SJ_EUlSW_E_NS1_11comp_targetILNS1_3genE3ELNS1_11target_archE908ELNS1_3gpuE7ELNS1_3repE0EEENS1_48merge_mergepath_partition_config_static_selectorELNS0_4arch9wavefront6targetE0EEEvSI_,"axG",@progbits,_ZN7rocprim17ROCPRIM_400000_NS6detail17trampoline_kernelINS0_14default_configENS1_38merge_sort_block_merge_config_selectorIiNS0_10empty_typeEEEZZNS1_27merge_sort_block_merge_implIS3_N6thrust23THRUST_200600_302600_NS10device_ptrIiEEPS5_jNS1_19radix_merge_compareILb0ELb0EiNS0_19identity_decomposerEEEEE10hipError_tT0_T1_T2_jT3_P12ihipStream_tbPNSt15iterator_traitsISH_E10value_typeEPNSN_ISI_E10value_typeEPSJ_NS1_7vsmem_tEENKUlT_SH_SI_SJ_E_clISB_PiSC_SC_EESG_SW_SH_SI_SJ_EUlSW_E_NS1_11comp_targetILNS1_3genE3ELNS1_11target_archE908ELNS1_3gpuE7ELNS1_3repE0EEENS1_48merge_mergepath_partition_config_static_selectorELNS0_4arch9wavefront6targetE0EEEvSI_,comdat
.Lfunc_end1140:
	.size	_ZN7rocprim17ROCPRIM_400000_NS6detail17trampoline_kernelINS0_14default_configENS1_38merge_sort_block_merge_config_selectorIiNS0_10empty_typeEEEZZNS1_27merge_sort_block_merge_implIS3_N6thrust23THRUST_200600_302600_NS10device_ptrIiEEPS5_jNS1_19radix_merge_compareILb0ELb0EiNS0_19identity_decomposerEEEEE10hipError_tT0_T1_T2_jT3_P12ihipStream_tbPNSt15iterator_traitsISH_E10value_typeEPNSN_ISI_E10value_typeEPSJ_NS1_7vsmem_tEENKUlT_SH_SI_SJ_E_clISB_PiSC_SC_EESG_SW_SH_SI_SJ_EUlSW_E_NS1_11comp_targetILNS1_3genE3ELNS1_11target_archE908ELNS1_3gpuE7ELNS1_3repE0EEENS1_48merge_mergepath_partition_config_static_selectorELNS0_4arch9wavefront6targetE0EEEvSI_, .Lfunc_end1140-_ZN7rocprim17ROCPRIM_400000_NS6detail17trampoline_kernelINS0_14default_configENS1_38merge_sort_block_merge_config_selectorIiNS0_10empty_typeEEEZZNS1_27merge_sort_block_merge_implIS3_N6thrust23THRUST_200600_302600_NS10device_ptrIiEEPS5_jNS1_19radix_merge_compareILb0ELb0EiNS0_19identity_decomposerEEEEE10hipError_tT0_T1_T2_jT3_P12ihipStream_tbPNSt15iterator_traitsISH_E10value_typeEPNSN_ISI_E10value_typeEPSJ_NS1_7vsmem_tEENKUlT_SH_SI_SJ_E_clISB_PiSC_SC_EESG_SW_SH_SI_SJ_EUlSW_E_NS1_11comp_targetILNS1_3genE3ELNS1_11target_archE908ELNS1_3gpuE7ELNS1_3repE0EEENS1_48merge_mergepath_partition_config_static_selectorELNS0_4arch9wavefront6targetE0EEEvSI_
                                        ; -- End function
	.set _ZN7rocprim17ROCPRIM_400000_NS6detail17trampoline_kernelINS0_14default_configENS1_38merge_sort_block_merge_config_selectorIiNS0_10empty_typeEEEZZNS1_27merge_sort_block_merge_implIS3_N6thrust23THRUST_200600_302600_NS10device_ptrIiEEPS5_jNS1_19radix_merge_compareILb0ELb0EiNS0_19identity_decomposerEEEEE10hipError_tT0_T1_T2_jT3_P12ihipStream_tbPNSt15iterator_traitsISH_E10value_typeEPNSN_ISI_E10value_typeEPSJ_NS1_7vsmem_tEENKUlT_SH_SI_SJ_E_clISB_PiSC_SC_EESG_SW_SH_SI_SJ_EUlSW_E_NS1_11comp_targetILNS1_3genE3ELNS1_11target_archE908ELNS1_3gpuE7ELNS1_3repE0EEENS1_48merge_mergepath_partition_config_static_selectorELNS0_4arch9wavefront6targetE0EEEvSI_.num_vgpr, 0
	.set _ZN7rocprim17ROCPRIM_400000_NS6detail17trampoline_kernelINS0_14default_configENS1_38merge_sort_block_merge_config_selectorIiNS0_10empty_typeEEEZZNS1_27merge_sort_block_merge_implIS3_N6thrust23THRUST_200600_302600_NS10device_ptrIiEEPS5_jNS1_19radix_merge_compareILb0ELb0EiNS0_19identity_decomposerEEEEE10hipError_tT0_T1_T2_jT3_P12ihipStream_tbPNSt15iterator_traitsISH_E10value_typeEPNSN_ISI_E10value_typeEPSJ_NS1_7vsmem_tEENKUlT_SH_SI_SJ_E_clISB_PiSC_SC_EESG_SW_SH_SI_SJ_EUlSW_E_NS1_11comp_targetILNS1_3genE3ELNS1_11target_archE908ELNS1_3gpuE7ELNS1_3repE0EEENS1_48merge_mergepath_partition_config_static_selectorELNS0_4arch9wavefront6targetE0EEEvSI_.num_agpr, 0
	.set _ZN7rocprim17ROCPRIM_400000_NS6detail17trampoline_kernelINS0_14default_configENS1_38merge_sort_block_merge_config_selectorIiNS0_10empty_typeEEEZZNS1_27merge_sort_block_merge_implIS3_N6thrust23THRUST_200600_302600_NS10device_ptrIiEEPS5_jNS1_19radix_merge_compareILb0ELb0EiNS0_19identity_decomposerEEEEE10hipError_tT0_T1_T2_jT3_P12ihipStream_tbPNSt15iterator_traitsISH_E10value_typeEPNSN_ISI_E10value_typeEPSJ_NS1_7vsmem_tEENKUlT_SH_SI_SJ_E_clISB_PiSC_SC_EESG_SW_SH_SI_SJ_EUlSW_E_NS1_11comp_targetILNS1_3genE3ELNS1_11target_archE908ELNS1_3gpuE7ELNS1_3repE0EEENS1_48merge_mergepath_partition_config_static_selectorELNS0_4arch9wavefront6targetE0EEEvSI_.numbered_sgpr, 0
	.set _ZN7rocprim17ROCPRIM_400000_NS6detail17trampoline_kernelINS0_14default_configENS1_38merge_sort_block_merge_config_selectorIiNS0_10empty_typeEEEZZNS1_27merge_sort_block_merge_implIS3_N6thrust23THRUST_200600_302600_NS10device_ptrIiEEPS5_jNS1_19radix_merge_compareILb0ELb0EiNS0_19identity_decomposerEEEEE10hipError_tT0_T1_T2_jT3_P12ihipStream_tbPNSt15iterator_traitsISH_E10value_typeEPNSN_ISI_E10value_typeEPSJ_NS1_7vsmem_tEENKUlT_SH_SI_SJ_E_clISB_PiSC_SC_EESG_SW_SH_SI_SJ_EUlSW_E_NS1_11comp_targetILNS1_3genE3ELNS1_11target_archE908ELNS1_3gpuE7ELNS1_3repE0EEENS1_48merge_mergepath_partition_config_static_selectorELNS0_4arch9wavefront6targetE0EEEvSI_.num_named_barrier, 0
	.set _ZN7rocprim17ROCPRIM_400000_NS6detail17trampoline_kernelINS0_14default_configENS1_38merge_sort_block_merge_config_selectorIiNS0_10empty_typeEEEZZNS1_27merge_sort_block_merge_implIS3_N6thrust23THRUST_200600_302600_NS10device_ptrIiEEPS5_jNS1_19radix_merge_compareILb0ELb0EiNS0_19identity_decomposerEEEEE10hipError_tT0_T1_T2_jT3_P12ihipStream_tbPNSt15iterator_traitsISH_E10value_typeEPNSN_ISI_E10value_typeEPSJ_NS1_7vsmem_tEENKUlT_SH_SI_SJ_E_clISB_PiSC_SC_EESG_SW_SH_SI_SJ_EUlSW_E_NS1_11comp_targetILNS1_3genE3ELNS1_11target_archE908ELNS1_3gpuE7ELNS1_3repE0EEENS1_48merge_mergepath_partition_config_static_selectorELNS0_4arch9wavefront6targetE0EEEvSI_.private_seg_size, 0
	.set _ZN7rocprim17ROCPRIM_400000_NS6detail17trampoline_kernelINS0_14default_configENS1_38merge_sort_block_merge_config_selectorIiNS0_10empty_typeEEEZZNS1_27merge_sort_block_merge_implIS3_N6thrust23THRUST_200600_302600_NS10device_ptrIiEEPS5_jNS1_19radix_merge_compareILb0ELb0EiNS0_19identity_decomposerEEEEE10hipError_tT0_T1_T2_jT3_P12ihipStream_tbPNSt15iterator_traitsISH_E10value_typeEPNSN_ISI_E10value_typeEPSJ_NS1_7vsmem_tEENKUlT_SH_SI_SJ_E_clISB_PiSC_SC_EESG_SW_SH_SI_SJ_EUlSW_E_NS1_11comp_targetILNS1_3genE3ELNS1_11target_archE908ELNS1_3gpuE7ELNS1_3repE0EEENS1_48merge_mergepath_partition_config_static_selectorELNS0_4arch9wavefront6targetE0EEEvSI_.uses_vcc, 0
	.set _ZN7rocprim17ROCPRIM_400000_NS6detail17trampoline_kernelINS0_14default_configENS1_38merge_sort_block_merge_config_selectorIiNS0_10empty_typeEEEZZNS1_27merge_sort_block_merge_implIS3_N6thrust23THRUST_200600_302600_NS10device_ptrIiEEPS5_jNS1_19radix_merge_compareILb0ELb0EiNS0_19identity_decomposerEEEEE10hipError_tT0_T1_T2_jT3_P12ihipStream_tbPNSt15iterator_traitsISH_E10value_typeEPNSN_ISI_E10value_typeEPSJ_NS1_7vsmem_tEENKUlT_SH_SI_SJ_E_clISB_PiSC_SC_EESG_SW_SH_SI_SJ_EUlSW_E_NS1_11comp_targetILNS1_3genE3ELNS1_11target_archE908ELNS1_3gpuE7ELNS1_3repE0EEENS1_48merge_mergepath_partition_config_static_selectorELNS0_4arch9wavefront6targetE0EEEvSI_.uses_flat_scratch, 0
	.set _ZN7rocprim17ROCPRIM_400000_NS6detail17trampoline_kernelINS0_14default_configENS1_38merge_sort_block_merge_config_selectorIiNS0_10empty_typeEEEZZNS1_27merge_sort_block_merge_implIS3_N6thrust23THRUST_200600_302600_NS10device_ptrIiEEPS5_jNS1_19radix_merge_compareILb0ELb0EiNS0_19identity_decomposerEEEEE10hipError_tT0_T1_T2_jT3_P12ihipStream_tbPNSt15iterator_traitsISH_E10value_typeEPNSN_ISI_E10value_typeEPSJ_NS1_7vsmem_tEENKUlT_SH_SI_SJ_E_clISB_PiSC_SC_EESG_SW_SH_SI_SJ_EUlSW_E_NS1_11comp_targetILNS1_3genE3ELNS1_11target_archE908ELNS1_3gpuE7ELNS1_3repE0EEENS1_48merge_mergepath_partition_config_static_selectorELNS0_4arch9wavefront6targetE0EEEvSI_.has_dyn_sized_stack, 0
	.set _ZN7rocprim17ROCPRIM_400000_NS6detail17trampoline_kernelINS0_14default_configENS1_38merge_sort_block_merge_config_selectorIiNS0_10empty_typeEEEZZNS1_27merge_sort_block_merge_implIS3_N6thrust23THRUST_200600_302600_NS10device_ptrIiEEPS5_jNS1_19radix_merge_compareILb0ELb0EiNS0_19identity_decomposerEEEEE10hipError_tT0_T1_T2_jT3_P12ihipStream_tbPNSt15iterator_traitsISH_E10value_typeEPNSN_ISI_E10value_typeEPSJ_NS1_7vsmem_tEENKUlT_SH_SI_SJ_E_clISB_PiSC_SC_EESG_SW_SH_SI_SJ_EUlSW_E_NS1_11comp_targetILNS1_3genE3ELNS1_11target_archE908ELNS1_3gpuE7ELNS1_3repE0EEENS1_48merge_mergepath_partition_config_static_selectorELNS0_4arch9wavefront6targetE0EEEvSI_.has_recursion, 0
	.set _ZN7rocprim17ROCPRIM_400000_NS6detail17trampoline_kernelINS0_14default_configENS1_38merge_sort_block_merge_config_selectorIiNS0_10empty_typeEEEZZNS1_27merge_sort_block_merge_implIS3_N6thrust23THRUST_200600_302600_NS10device_ptrIiEEPS5_jNS1_19radix_merge_compareILb0ELb0EiNS0_19identity_decomposerEEEEE10hipError_tT0_T1_T2_jT3_P12ihipStream_tbPNSt15iterator_traitsISH_E10value_typeEPNSN_ISI_E10value_typeEPSJ_NS1_7vsmem_tEENKUlT_SH_SI_SJ_E_clISB_PiSC_SC_EESG_SW_SH_SI_SJ_EUlSW_E_NS1_11comp_targetILNS1_3genE3ELNS1_11target_archE908ELNS1_3gpuE7ELNS1_3repE0EEENS1_48merge_mergepath_partition_config_static_selectorELNS0_4arch9wavefront6targetE0EEEvSI_.has_indirect_call, 0
	.section	.AMDGPU.csdata,"",@progbits
; Kernel info:
; codeLenInByte = 0
; TotalNumSgprs: 0
; NumVgprs: 0
; ScratchSize: 0
; MemoryBound: 0
; FloatMode: 240
; IeeeMode: 1
; LDSByteSize: 0 bytes/workgroup (compile time only)
; SGPRBlocks: 0
; VGPRBlocks: 0
; NumSGPRsForWavesPerEU: 1
; NumVGPRsForWavesPerEU: 1
; Occupancy: 16
; WaveLimiterHint : 0
; COMPUTE_PGM_RSRC2:SCRATCH_EN: 0
; COMPUTE_PGM_RSRC2:USER_SGPR: 6
; COMPUTE_PGM_RSRC2:TRAP_HANDLER: 0
; COMPUTE_PGM_RSRC2:TGID_X_EN: 1
; COMPUTE_PGM_RSRC2:TGID_Y_EN: 0
; COMPUTE_PGM_RSRC2:TGID_Z_EN: 0
; COMPUTE_PGM_RSRC2:TIDIG_COMP_CNT: 0
	.section	.text._ZN7rocprim17ROCPRIM_400000_NS6detail17trampoline_kernelINS0_14default_configENS1_38merge_sort_block_merge_config_selectorIiNS0_10empty_typeEEEZZNS1_27merge_sort_block_merge_implIS3_N6thrust23THRUST_200600_302600_NS10device_ptrIiEEPS5_jNS1_19radix_merge_compareILb0ELb0EiNS0_19identity_decomposerEEEEE10hipError_tT0_T1_T2_jT3_P12ihipStream_tbPNSt15iterator_traitsISH_E10value_typeEPNSN_ISI_E10value_typeEPSJ_NS1_7vsmem_tEENKUlT_SH_SI_SJ_E_clISB_PiSC_SC_EESG_SW_SH_SI_SJ_EUlSW_E_NS1_11comp_targetILNS1_3genE2ELNS1_11target_archE906ELNS1_3gpuE6ELNS1_3repE0EEENS1_48merge_mergepath_partition_config_static_selectorELNS0_4arch9wavefront6targetE0EEEvSI_,"axG",@progbits,_ZN7rocprim17ROCPRIM_400000_NS6detail17trampoline_kernelINS0_14default_configENS1_38merge_sort_block_merge_config_selectorIiNS0_10empty_typeEEEZZNS1_27merge_sort_block_merge_implIS3_N6thrust23THRUST_200600_302600_NS10device_ptrIiEEPS5_jNS1_19radix_merge_compareILb0ELb0EiNS0_19identity_decomposerEEEEE10hipError_tT0_T1_T2_jT3_P12ihipStream_tbPNSt15iterator_traitsISH_E10value_typeEPNSN_ISI_E10value_typeEPSJ_NS1_7vsmem_tEENKUlT_SH_SI_SJ_E_clISB_PiSC_SC_EESG_SW_SH_SI_SJ_EUlSW_E_NS1_11comp_targetILNS1_3genE2ELNS1_11target_archE906ELNS1_3gpuE6ELNS1_3repE0EEENS1_48merge_mergepath_partition_config_static_selectorELNS0_4arch9wavefront6targetE0EEEvSI_,comdat
	.protected	_ZN7rocprim17ROCPRIM_400000_NS6detail17trampoline_kernelINS0_14default_configENS1_38merge_sort_block_merge_config_selectorIiNS0_10empty_typeEEEZZNS1_27merge_sort_block_merge_implIS3_N6thrust23THRUST_200600_302600_NS10device_ptrIiEEPS5_jNS1_19radix_merge_compareILb0ELb0EiNS0_19identity_decomposerEEEEE10hipError_tT0_T1_T2_jT3_P12ihipStream_tbPNSt15iterator_traitsISH_E10value_typeEPNSN_ISI_E10value_typeEPSJ_NS1_7vsmem_tEENKUlT_SH_SI_SJ_E_clISB_PiSC_SC_EESG_SW_SH_SI_SJ_EUlSW_E_NS1_11comp_targetILNS1_3genE2ELNS1_11target_archE906ELNS1_3gpuE6ELNS1_3repE0EEENS1_48merge_mergepath_partition_config_static_selectorELNS0_4arch9wavefront6targetE0EEEvSI_ ; -- Begin function _ZN7rocprim17ROCPRIM_400000_NS6detail17trampoline_kernelINS0_14default_configENS1_38merge_sort_block_merge_config_selectorIiNS0_10empty_typeEEEZZNS1_27merge_sort_block_merge_implIS3_N6thrust23THRUST_200600_302600_NS10device_ptrIiEEPS5_jNS1_19radix_merge_compareILb0ELb0EiNS0_19identity_decomposerEEEEE10hipError_tT0_T1_T2_jT3_P12ihipStream_tbPNSt15iterator_traitsISH_E10value_typeEPNSN_ISI_E10value_typeEPSJ_NS1_7vsmem_tEENKUlT_SH_SI_SJ_E_clISB_PiSC_SC_EESG_SW_SH_SI_SJ_EUlSW_E_NS1_11comp_targetILNS1_3genE2ELNS1_11target_archE906ELNS1_3gpuE6ELNS1_3repE0EEENS1_48merge_mergepath_partition_config_static_selectorELNS0_4arch9wavefront6targetE0EEEvSI_
	.globl	_ZN7rocprim17ROCPRIM_400000_NS6detail17trampoline_kernelINS0_14default_configENS1_38merge_sort_block_merge_config_selectorIiNS0_10empty_typeEEEZZNS1_27merge_sort_block_merge_implIS3_N6thrust23THRUST_200600_302600_NS10device_ptrIiEEPS5_jNS1_19radix_merge_compareILb0ELb0EiNS0_19identity_decomposerEEEEE10hipError_tT0_T1_T2_jT3_P12ihipStream_tbPNSt15iterator_traitsISH_E10value_typeEPNSN_ISI_E10value_typeEPSJ_NS1_7vsmem_tEENKUlT_SH_SI_SJ_E_clISB_PiSC_SC_EESG_SW_SH_SI_SJ_EUlSW_E_NS1_11comp_targetILNS1_3genE2ELNS1_11target_archE906ELNS1_3gpuE6ELNS1_3repE0EEENS1_48merge_mergepath_partition_config_static_selectorELNS0_4arch9wavefront6targetE0EEEvSI_
	.p2align	8
	.type	_ZN7rocprim17ROCPRIM_400000_NS6detail17trampoline_kernelINS0_14default_configENS1_38merge_sort_block_merge_config_selectorIiNS0_10empty_typeEEEZZNS1_27merge_sort_block_merge_implIS3_N6thrust23THRUST_200600_302600_NS10device_ptrIiEEPS5_jNS1_19radix_merge_compareILb0ELb0EiNS0_19identity_decomposerEEEEE10hipError_tT0_T1_T2_jT3_P12ihipStream_tbPNSt15iterator_traitsISH_E10value_typeEPNSN_ISI_E10value_typeEPSJ_NS1_7vsmem_tEENKUlT_SH_SI_SJ_E_clISB_PiSC_SC_EESG_SW_SH_SI_SJ_EUlSW_E_NS1_11comp_targetILNS1_3genE2ELNS1_11target_archE906ELNS1_3gpuE6ELNS1_3repE0EEENS1_48merge_mergepath_partition_config_static_selectorELNS0_4arch9wavefront6targetE0EEEvSI_,@function
_ZN7rocprim17ROCPRIM_400000_NS6detail17trampoline_kernelINS0_14default_configENS1_38merge_sort_block_merge_config_selectorIiNS0_10empty_typeEEEZZNS1_27merge_sort_block_merge_implIS3_N6thrust23THRUST_200600_302600_NS10device_ptrIiEEPS5_jNS1_19radix_merge_compareILb0ELb0EiNS0_19identity_decomposerEEEEE10hipError_tT0_T1_T2_jT3_P12ihipStream_tbPNSt15iterator_traitsISH_E10value_typeEPNSN_ISI_E10value_typeEPSJ_NS1_7vsmem_tEENKUlT_SH_SI_SJ_E_clISB_PiSC_SC_EESG_SW_SH_SI_SJ_EUlSW_E_NS1_11comp_targetILNS1_3genE2ELNS1_11target_archE906ELNS1_3gpuE6ELNS1_3repE0EEENS1_48merge_mergepath_partition_config_static_selectorELNS0_4arch9wavefront6targetE0EEEvSI_: ; @_ZN7rocprim17ROCPRIM_400000_NS6detail17trampoline_kernelINS0_14default_configENS1_38merge_sort_block_merge_config_selectorIiNS0_10empty_typeEEEZZNS1_27merge_sort_block_merge_implIS3_N6thrust23THRUST_200600_302600_NS10device_ptrIiEEPS5_jNS1_19radix_merge_compareILb0ELb0EiNS0_19identity_decomposerEEEEE10hipError_tT0_T1_T2_jT3_P12ihipStream_tbPNSt15iterator_traitsISH_E10value_typeEPNSN_ISI_E10value_typeEPSJ_NS1_7vsmem_tEENKUlT_SH_SI_SJ_E_clISB_PiSC_SC_EESG_SW_SH_SI_SJ_EUlSW_E_NS1_11comp_targetILNS1_3genE2ELNS1_11target_archE906ELNS1_3gpuE6ELNS1_3repE0EEENS1_48merge_mergepath_partition_config_static_selectorELNS0_4arch9wavefront6targetE0EEEvSI_
; %bb.0:
	.section	.rodata,"a",@progbits
	.p2align	6, 0x0
	.amdhsa_kernel _ZN7rocprim17ROCPRIM_400000_NS6detail17trampoline_kernelINS0_14default_configENS1_38merge_sort_block_merge_config_selectorIiNS0_10empty_typeEEEZZNS1_27merge_sort_block_merge_implIS3_N6thrust23THRUST_200600_302600_NS10device_ptrIiEEPS5_jNS1_19radix_merge_compareILb0ELb0EiNS0_19identity_decomposerEEEEE10hipError_tT0_T1_T2_jT3_P12ihipStream_tbPNSt15iterator_traitsISH_E10value_typeEPNSN_ISI_E10value_typeEPSJ_NS1_7vsmem_tEENKUlT_SH_SI_SJ_E_clISB_PiSC_SC_EESG_SW_SH_SI_SJ_EUlSW_E_NS1_11comp_targetILNS1_3genE2ELNS1_11target_archE906ELNS1_3gpuE6ELNS1_3repE0EEENS1_48merge_mergepath_partition_config_static_selectorELNS0_4arch9wavefront6targetE0EEEvSI_
		.amdhsa_group_segment_fixed_size 0
		.amdhsa_private_segment_fixed_size 0
		.amdhsa_kernarg_size 40
		.amdhsa_user_sgpr_count 6
		.amdhsa_user_sgpr_private_segment_buffer 1
		.amdhsa_user_sgpr_dispatch_ptr 0
		.amdhsa_user_sgpr_queue_ptr 0
		.amdhsa_user_sgpr_kernarg_segment_ptr 1
		.amdhsa_user_sgpr_dispatch_id 0
		.amdhsa_user_sgpr_flat_scratch_init 0
		.amdhsa_user_sgpr_private_segment_size 0
		.amdhsa_wavefront_size32 1
		.amdhsa_uses_dynamic_stack 0
		.amdhsa_system_sgpr_private_segment_wavefront_offset 0
		.amdhsa_system_sgpr_workgroup_id_x 1
		.amdhsa_system_sgpr_workgroup_id_y 0
		.amdhsa_system_sgpr_workgroup_id_z 0
		.amdhsa_system_sgpr_workgroup_info 0
		.amdhsa_system_vgpr_workitem_id 0
		.amdhsa_next_free_vgpr 1
		.amdhsa_next_free_sgpr 1
		.amdhsa_reserve_vcc 0
		.amdhsa_reserve_flat_scratch 0
		.amdhsa_float_round_mode_32 0
		.amdhsa_float_round_mode_16_64 0
		.amdhsa_float_denorm_mode_32 3
		.amdhsa_float_denorm_mode_16_64 3
		.amdhsa_dx10_clamp 1
		.amdhsa_ieee_mode 1
		.amdhsa_fp16_overflow 0
		.amdhsa_workgroup_processor_mode 1
		.amdhsa_memory_ordered 1
		.amdhsa_forward_progress 1
		.amdhsa_shared_vgpr_count 0
		.amdhsa_exception_fp_ieee_invalid_op 0
		.amdhsa_exception_fp_denorm_src 0
		.amdhsa_exception_fp_ieee_div_zero 0
		.amdhsa_exception_fp_ieee_overflow 0
		.amdhsa_exception_fp_ieee_underflow 0
		.amdhsa_exception_fp_ieee_inexact 0
		.amdhsa_exception_int_div_zero 0
	.end_amdhsa_kernel
	.section	.text._ZN7rocprim17ROCPRIM_400000_NS6detail17trampoline_kernelINS0_14default_configENS1_38merge_sort_block_merge_config_selectorIiNS0_10empty_typeEEEZZNS1_27merge_sort_block_merge_implIS3_N6thrust23THRUST_200600_302600_NS10device_ptrIiEEPS5_jNS1_19radix_merge_compareILb0ELb0EiNS0_19identity_decomposerEEEEE10hipError_tT0_T1_T2_jT3_P12ihipStream_tbPNSt15iterator_traitsISH_E10value_typeEPNSN_ISI_E10value_typeEPSJ_NS1_7vsmem_tEENKUlT_SH_SI_SJ_E_clISB_PiSC_SC_EESG_SW_SH_SI_SJ_EUlSW_E_NS1_11comp_targetILNS1_3genE2ELNS1_11target_archE906ELNS1_3gpuE6ELNS1_3repE0EEENS1_48merge_mergepath_partition_config_static_selectorELNS0_4arch9wavefront6targetE0EEEvSI_,"axG",@progbits,_ZN7rocprim17ROCPRIM_400000_NS6detail17trampoline_kernelINS0_14default_configENS1_38merge_sort_block_merge_config_selectorIiNS0_10empty_typeEEEZZNS1_27merge_sort_block_merge_implIS3_N6thrust23THRUST_200600_302600_NS10device_ptrIiEEPS5_jNS1_19radix_merge_compareILb0ELb0EiNS0_19identity_decomposerEEEEE10hipError_tT0_T1_T2_jT3_P12ihipStream_tbPNSt15iterator_traitsISH_E10value_typeEPNSN_ISI_E10value_typeEPSJ_NS1_7vsmem_tEENKUlT_SH_SI_SJ_E_clISB_PiSC_SC_EESG_SW_SH_SI_SJ_EUlSW_E_NS1_11comp_targetILNS1_3genE2ELNS1_11target_archE906ELNS1_3gpuE6ELNS1_3repE0EEENS1_48merge_mergepath_partition_config_static_selectorELNS0_4arch9wavefront6targetE0EEEvSI_,comdat
.Lfunc_end1141:
	.size	_ZN7rocprim17ROCPRIM_400000_NS6detail17trampoline_kernelINS0_14default_configENS1_38merge_sort_block_merge_config_selectorIiNS0_10empty_typeEEEZZNS1_27merge_sort_block_merge_implIS3_N6thrust23THRUST_200600_302600_NS10device_ptrIiEEPS5_jNS1_19radix_merge_compareILb0ELb0EiNS0_19identity_decomposerEEEEE10hipError_tT0_T1_T2_jT3_P12ihipStream_tbPNSt15iterator_traitsISH_E10value_typeEPNSN_ISI_E10value_typeEPSJ_NS1_7vsmem_tEENKUlT_SH_SI_SJ_E_clISB_PiSC_SC_EESG_SW_SH_SI_SJ_EUlSW_E_NS1_11comp_targetILNS1_3genE2ELNS1_11target_archE906ELNS1_3gpuE6ELNS1_3repE0EEENS1_48merge_mergepath_partition_config_static_selectorELNS0_4arch9wavefront6targetE0EEEvSI_, .Lfunc_end1141-_ZN7rocprim17ROCPRIM_400000_NS6detail17trampoline_kernelINS0_14default_configENS1_38merge_sort_block_merge_config_selectorIiNS0_10empty_typeEEEZZNS1_27merge_sort_block_merge_implIS3_N6thrust23THRUST_200600_302600_NS10device_ptrIiEEPS5_jNS1_19radix_merge_compareILb0ELb0EiNS0_19identity_decomposerEEEEE10hipError_tT0_T1_T2_jT3_P12ihipStream_tbPNSt15iterator_traitsISH_E10value_typeEPNSN_ISI_E10value_typeEPSJ_NS1_7vsmem_tEENKUlT_SH_SI_SJ_E_clISB_PiSC_SC_EESG_SW_SH_SI_SJ_EUlSW_E_NS1_11comp_targetILNS1_3genE2ELNS1_11target_archE906ELNS1_3gpuE6ELNS1_3repE0EEENS1_48merge_mergepath_partition_config_static_selectorELNS0_4arch9wavefront6targetE0EEEvSI_
                                        ; -- End function
	.set _ZN7rocprim17ROCPRIM_400000_NS6detail17trampoline_kernelINS0_14default_configENS1_38merge_sort_block_merge_config_selectorIiNS0_10empty_typeEEEZZNS1_27merge_sort_block_merge_implIS3_N6thrust23THRUST_200600_302600_NS10device_ptrIiEEPS5_jNS1_19radix_merge_compareILb0ELb0EiNS0_19identity_decomposerEEEEE10hipError_tT0_T1_T2_jT3_P12ihipStream_tbPNSt15iterator_traitsISH_E10value_typeEPNSN_ISI_E10value_typeEPSJ_NS1_7vsmem_tEENKUlT_SH_SI_SJ_E_clISB_PiSC_SC_EESG_SW_SH_SI_SJ_EUlSW_E_NS1_11comp_targetILNS1_3genE2ELNS1_11target_archE906ELNS1_3gpuE6ELNS1_3repE0EEENS1_48merge_mergepath_partition_config_static_selectorELNS0_4arch9wavefront6targetE0EEEvSI_.num_vgpr, 0
	.set _ZN7rocprim17ROCPRIM_400000_NS6detail17trampoline_kernelINS0_14default_configENS1_38merge_sort_block_merge_config_selectorIiNS0_10empty_typeEEEZZNS1_27merge_sort_block_merge_implIS3_N6thrust23THRUST_200600_302600_NS10device_ptrIiEEPS5_jNS1_19radix_merge_compareILb0ELb0EiNS0_19identity_decomposerEEEEE10hipError_tT0_T1_T2_jT3_P12ihipStream_tbPNSt15iterator_traitsISH_E10value_typeEPNSN_ISI_E10value_typeEPSJ_NS1_7vsmem_tEENKUlT_SH_SI_SJ_E_clISB_PiSC_SC_EESG_SW_SH_SI_SJ_EUlSW_E_NS1_11comp_targetILNS1_3genE2ELNS1_11target_archE906ELNS1_3gpuE6ELNS1_3repE0EEENS1_48merge_mergepath_partition_config_static_selectorELNS0_4arch9wavefront6targetE0EEEvSI_.num_agpr, 0
	.set _ZN7rocprim17ROCPRIM_400000_NS6detail17trampoline_kernelINS0_14default_configENS1_38merge_sort_block_merge_config_selectorIiNS0_10empty_typeEEEZZNS1_27merge_sort_block_merge_implIS3_N6thrust23THRUST_200600_302600_NS10device_ptrIiEEPS5_jNS1_19radix_merge_compareILb0ELb0EiNS0_19identity_decomposerEEEEE10hipError_tT0_T1_T2_jT3_P12ihipStream_tbPNSt15iterator_traitsISH_E10value_typeEPNSN_ISI_E10value_typeEPSJ_NS1_7vsmem_tEENKUlT_SH_SI_SJ_E_clISB_PiSC_SC_EESG_SW_SH_SI_SJ_EUlSW_E_NS1_11comp_targetILNS1_3genE2ELNS1_11target_archE906ELNS1_3gpuE6ELNS1_3repE0EEENS1_48merge_mergepath_partition_config_static_selectorELNS0_4arch9wavefront6targetE0EEEvSI_.numbered_sgpr, 0
	.set _ZN7rocprim17ROCPRIM_400000_NS6detail17trampoline_kernelINS0_14default_configENS1_38merge_sort_block_merge_config_selectorIiNS0_10empty_typeEEEZZNS1_27merge_sort_block_merge_implIS3_N6thrust23THRUST_200600_302600_NS10device_ptrIiEEPS5_jNS1_19radix_merge_compareILb0ELb0EiNS0_19identity_decomposerEEEEE10hipError_tT0_T1_T2_jT3_P12ihipStream_tbPNSt15iterator_traitsISH_E10value_typeEPNSN_ISI_E10value_typeEPSJ_NS1_7vsmem_tEENKUlT_SH_SI_SJ_E_clISB_PiSC_SC_EESG_SW_SH_SI_SJ_EUlSW_E_NS1_11comp_targetILNS1_3genE2ELNS1_11target_archE906ELNS1_3gpuE6ELNS1_3repE0EEENS1_48merge_mergepath_partition_config_static_selectorELNS0_4arch9wavefront6targetE0EEEvSI_.num_named_barrier, 0
	.set _ZN7rocprim17ROCPRIM_400000_NS6detail17trampoline_kernelINS0_14default_configENS1_38merge_sort_block_merge_config_selectorIiNS0_10empty_typeEEEZZNS1_27merge_sort_block_merge_implIS3_N6thrust23THRUST_200600_302600_NS10device_ptrIiEEPS5_jNS1_19radix_merge_compareILb0ELb0EiNS0_19identity_decomposerEEEEE10hipError_tT0_T1_T2_jT3_P12ihipStream_tbPNSt15iterator_traitsISH_E10value_typeEPNSN_ISI_E10value_typeEPSJ_NS1_7vsmem_tEENKUlT_SH_SI_SJ_E_clISB_PiSC_SC_EESG_SW_SH_SI_SJ_EUlSW_E_NS1_11comp_targetILNS1_3genE2ELNS1_11target_archE906ELNS1_3gpuE6ELNS1_3repE0EEENS1_48merge_mergepath_partition_config_static_selectorELNS0_4arch9wavefront6targetE0EEEvSI_.private_seg_size, 0
	.set _ZN7rocprim17ROCPRIM_400000_NS6detail17trampoline_kernelINS0_14default_configENS1_38merge_sort_block_merge_config_selectorIiNS0_10empty_typeEEEZZNS1_27merge_sort_block_merge_implIS3_N6thrust23THRUST_200600_302600_NS10device_ptrIiEEPS5_jNS1_19radix_merge_compareILb0ELb0EiNS0_19identity_decomposerEEEEE10hipError_tT0_T1_T2_jT3_P12ihipStream_tbPNSt15iterator_traitsISH_E10value_typeEPNSN_ISI_E10value_typeEPSJ_NS1_7vsmem_tEENKUlT_SH_SI_SJ_E_clISB_PiSC_SC_EESG_SW_SH_SI_SJ_EUlSW_E_NS1_11comp_targetILNS1_3genE2ELNS1_11target_archE906ELNS1_3gpuE6ELNS1_3repE0EEENS1_48merge_mergepath_partition_config_static_selectorELNS0_4arch9wavefront6targetE0EEEvSI_.uses_vcc, 0
	.set _ZN7rocprim17ROCPRIM_400000_NS6detail17trampoline_kernelINS0_14default_configENS1_38merge_sort_block_merge_config_selectorIiNS0_10empty_typeEEEZZNS1_27merge_sort_block_merge_implIS3_N6thrust23THRUST_200600_302600_NS10device_ptrIiEEPS5_jNS1_19radix_merge_compareILb0ELb0EiNS0_19identity_decomposerEEEEE10hipError_tT0_T1_T2_jT3_P12ihipStream_tbPNSt15iterator_traitsISH_E10value_typeEPNSN_ISI_E10value_typeEPSJ_NS1_7vsmem_tEENKUlT_SH_SI_SJ_E_clISB_PiSC_SC_EESG_SW_SH_SI_SJ_EUlSW_E_NS1_11comp_targetILNS1_3genE2ELNS1_11target_archE906ELNS1_3gpuE6ELNS1_3repE0EEENS1_48merge_mergepath_partition_config_static_selectorELNS0_4arch9wavefront6targetE0EEEvSI_.uses_flat_scratch, 0
	.set _ZN7rocprim17ROCPRIM_400000_NS6detail17trampoline_kernelINS0_14default_configENS1_38merge_sort_block_merge_config_selectorIiNS0_10empty_typeEEEZZNS1_27merge_sort_block_merge_implIS3_N6thrust23THRUST_200600_302600_NS10device_ptrIiEEPS5_jNS1_19radix_merge_compareILb0ELb0EiNS0_19identity_decomposerEEEEE10hipError_tT0_T1_T2_jT3_P12ihipStream_tbPNSt15iterator_traitsISH_E10value_typeEPNSN_ISI_E10value_typeEPSJ_NS1_7vsmem_tEENKUlT_SH_SI_SJ_E_clISB_PiSC_SC_EESG_SW_SH_SI_SJ_EUlSW_E_NS1_11comp_targetILNS1_3genE2ELNS1_11target_archE906ELNS1_3gpuE6ELNS1_3repE0EEENS1_48merge_mergepath_partition_config_static_selectorELNS0_4arch9wavefront6targetE0EEEvSI_.has_dyn_sized_stack, 0
	.set _ZN7rocprim17ROCPRIM_400000_NS6detail17trampoline_kernelINS0_14default_configENS1_38merge_sort_block_merge_config_selectorIiNS0_10empty_typeEEEZZNS1_27merge_sort_block_merge_implIS3_N6thrust23THRUST_200600_302600_NS10device_ptrIiEEPS5_jNS1_19radix_merge_compareILb0ELb0EiNS0_19identity_decomposerEEEEE10hipError_tT0_T1_T2_jT3_P12ihipStream_tbPNSt15iterator_traitsISH_E10value_typeEPNSN_ISI_E10value_typeEPSJ_NS1_7vsmem_tEENKUlT_SH_SI_SJ_E_clISB_PiSC_SC_EESG_SW_SH_SI_SJ_EUlSW_E_NS1_11comp_targetILNS1_3genE2ELNS1_11target_archE906ELNS1_3gpuE6ELNS1_3repE0EEENS1_48merge_mergepath_partition_config_static_selectorELNS0_4arch9wavefront6targetE0EEEvSI_.has_recursion, 0
	.set _ZN7rocprim17ROCPRIM_400000_NS6detail17trampoline_kernelINS0_14default_configENS1_38merge_sort_block_merge_config_selectorIiNS0_10empty_typeEEEZZNS1_27merge_sort_block_merge_implIS3_N6thrust23THRUST_200600_302600_NS10device_ptrIiEEPS5_jNS1_19radix_merge_compareILb0ELb0EiNS0_19identity_decomposerEEEEE10hipError_tT0_T1_T2_jT3_P12ihipStream_tbPNSt15iterator_traitsISH_E10value_typeEPNSN_ISI_E10value_typeEPSJ_NS1_7vsmem_tEENKUlT_SH_SI_SJ_E_clISB_PiSC_SC_EESG_SW_SH_SI_SJ_EUlSW_E_NS1_11comp_targetILNS1_3genE2ELNS1_11target_archE906ELNS1_3gpuE6ELNS1_3repE0EEENS1_48merge_mergepath_partition_config_static_selectorELNS0_4arch9wavefront6targetE0EEEvSI_.has_indirect_call, 0
	.section	.AMDGPU.csdata,"",@progbits
; Kernel info:
; codeLenInByte = 0
; TotalNumSgprs: 0
; NumVgprs: 0
; ScratchSize: 0
; MemoryBound: 0
; FloatMode: 240
; IeeeMode: 1
; LDSByteSize: 0 bytes/workgroup (compile time only)
; SGPRBlocks: 0
; VGPRBlocks: 0
; NumSGPRsForWavesPerEU: 1
; NumVGPRsForWavesPerEU: 1
; Occupancy: 16
; WaveLimiterHint : 0
; COMPUTE_PGM_RSRC2:SCRATCH_EN: 0
; COMPUTE_PGM_RSRC2:USER_SGPR: 6
; COMPUTE_PGM_RSRC2:TRAP_HANDLER: 0
; COMPUTE_PGM_RSRC2:TGID_X_EN: 1
; COMPUTE_PGM_RSRC2:TGID_Y_EN: 0
; COMPUTE_PGM_RSRC2:TGID_Z_EN: 0
; COMPUTE_PGM_RSRC2:TIDIG_COMP_CNT: 0
	.section	.text._ZN7rocprim17ROCPRIM_400000_NS6detail17trampoline_kernelINS0_14default_configENS1_38merge_sort_block_merge_config_selectorIiNS0_10empty_typeEEEZZNS1_27merge_sort_block_merge_implIS3_N6thrust23THRUST_200600_302600_NS10device_ptrIiEEPS5_jNS1_19radix_merge_compareILb0ELb0EiNS0_19identity_decomposerEEEEE10hipError_tT0_T1_T2_jT3_P12ihipStream_tbPNSt15iterator_traitsISH_E10value_typeEPNSN_ISI_E10value_typeEPSJ_NS1_7vsmem_tEENKUlT_SH_SI_SJ_E_clISB_PiSC_SC_EESG_SW_SH_SI_SJ_EUlSW_E_NS1_11comp_targetILNS1_3genE9ELNS1_11target_archE1100ELNS1_3gpuE3ELNS1_3repE0EEENS1_48merge_mergepath_partition_config_static_selectorELNS0_4arch9wavefront6targetE0EEEvSI_,"axG",@progbits,_ZN7rocprim17ROCPRIM_400000_NS6detail17trampoline_kernelINS0_14default_configENS1_38merge_sort_block_merge_config_selectorIiNS0_10empty_typeEEEZZNS1_27merge_sort_block_merge_implIS3_N6thrust23THRUST_200600_302600_NS10device_ptrIiEEPS5_jNS1_19radix_merge_compareILb0ELb0EiNS0_19identity_decomposerEEEEE10hipError_tT0_T1_T2_jT3_P12ihipStream_tbPNSt15iterator_traitsISH_E10value_typeEPNSN_ISI_E10value_typeEPSJ_NS1_7vsmem_tEENKUlT_SH_SI_SJ_E_clISB_PiSC_SC_EESG_SW_SH_SI_SJ_EUlSW_E_NS1_11comp_targetILNS1_3genE9ELNS1_11target_archE1100ELNS1_3gpuE3ELNS1_3repE0EEENS1_48merge_mergepath_partition_config_static_selectorELNS0_4arch9wavefront6targetE0EEEvSI_,comdat
	.protected	_ZN7rocprim17ROCPRIM_400000_NS6detail17trampoline_kernelINS0_14default_configENS1_38merge_sort_block_merge_config_selectorIiNS0_10empty_typeEEEZZNS1_27merge_sort_block_merge_implIS3_N6thrust23THRUST_200600_302600_NS10device_ptrIiEEPS5_jNS1_19radix_merge_compareILb0ELb0EiNS0_19identity_decomposerEEEEE10hipError_tT0_T1_T2_jT3_P12ihipStream_tbPNSt15iterator_traitsISH_E10value_typeEPNSN_ISI_E10value_typeEPSJ_NS1_7vsmem_tEENKUlT_SH_SI_SJ_E_clISB_PiSC_SC_EESG_SW_SH_SI_SJ_EUlSW_E_NS1_11comp_targetILNS1_3genE9ELNS1_11target_archE1100ELNS1_3gpuE3ELNS1_3repE0EEENS1_48merge_mergepath_partition_config_static_selectorELNS0_4arch9wavefront6targetE0EEEvSI_ ; -- Begin function _ZN7rocprim17ROCPRIM_400000_NS6detail17trampoline_kernelINS0_14default_configENS1_38merge_sort_block_merge_config_selectorIiNS0_10empty_typeEEEZZNS1_27merge_sort_block_merge_implIS3_N6thrust23THRUST_200600_302600_NS10device_ptrIiEEPS5_jNS1_19radix_merge_compareILb0ELb0EiNS0_19identity_decomposerEEEEE10hipError_tT0_T1_T2_jT3_P12ihipStream_tbPNSt15iterator_traitsISH_E10value_typeEPNSN_ISI_E10value_typeEPSJ_NS1_7vsmem_tEENKUlT_SH_SI_SJ_E_clISB_PiSC_SC_EESG_SW_SH_SI_SJ_EUlSW_E_NS1_11comp_targetILNS1_3genE9ELNS1_11target_archE1100ELNS1_3gpuE3ELNS1_3repE0EEENS1_48merge_mergepath_partition_config_static_selectorELNS0_4arch9wavefront6targetE0EEEvSI_
	.globl	_ZN7rocprim17ROCPRIM_400000_NS6detail17trampoline_kernelINS0_14default_configENS1_38merge_sort_block_merge_config_selectorIiNS0_10empty_typeEEEZZNS1_27merge_sort_block_merge_implIS3_N6thrust23THRUST_200600_302600_NS10device_ptrIiEEPS5_jNS1_19radix_merge_compareILb0ELb0EiNS0_19identity_decomposerEEEEE10hipError_tT0_T1_T2_jT3_P12ihipStream_tbPNSt15iterator_traitsISH_E10value_typeEPNSN_ISI_E10value_typeEPSJ_NS1_7vsmem_tEENKUlT_SH_SI_SJ_E_clISB_PiSC_SC_EESG_SW_SH_SI_SJ_EUlSW_E_NS1_11comp_targetILNS1_3genE9ELNS1_11target_archE1100ELNS1_3gpuE3ELNS1_3repE0EEENS1_48merge_mergepath_partition_config_static_selectorELNS0_4arch9wavefront6targetE0EEEvSI_
	.p2align	8
	.type	_ZN7rocprim17ROCPRIM_400000_NS6detail17trampoline_kernelINS0_14default_configENS1_38merge_sort_block_merge_config_selectorIiNS0_10empty_typeEEEZZNS1_27merge_sort_block_merge_implIS3_N6thrust23THRUST_200600_302600_NS10device_ptrIiEEPS5_jNS1_19radix_merge_compareILb0ELb0EiNS0_19identity_decomposerEEEEE10hipError_tT0_T1_T2_jT3_P12ihipStream_tbPNSt15iterator_traitsISH_E10value_typeEPNSN_ISI_E10value_typeEPSJ_NS1_7vsmem_tEENKUlT_SH_SI_SJ_E_clISB_PiSC_SC_EESG_SW_SH_SI_SJ_EUlSW_E_NS1_11comp_targetILNS1_3genE9ELNS1_11target_archE1100ELNS1_3gpuE3ELNS1_3repE0EEENS1_48merge_mergepath_partition_config_static_selectorELNS0_4arch9wavefront6targetE0EEEvSI_,@function
_ZN7rocprim17ROCPRIM_400000_NS6detail17trampoline_kernelINS0_14default_configENS1_38merge_sort_block_merge_config_selectorIiNS0_10empty_typeEEEZZNS1_27merge_sort_block_merge_implIS3_N6thrust23THRUST_200600_302600_NS10device_ptrIiEEPS5_jNS1_19radix_merge_compareILb0ELb0EiNS0_19identity_decomposerEEEEE10hipError_tT0_T1_T2_jT3_P12ihipStream_tbPNSt15iterator_traitsISH_E10value_typeEPNSN_ISI_E10value_typeEPSJ_NS1_7vsmem_tEENKUlT_SH_SI_SJ_E_clISB_PiSC_SC_EESG_SW_SH_SI_SJ_EUlSW_E_NS1_11comp_targetILNS1_3genE9ELNS1_11target_archE1100ELNS1_3gpuE3ELNS1_3repE0EEENS1_48merge_mergepath_partition_config_static_selectorELNS0_4arch9wavefront6targetE0EEEvSI_: ; @_ZN7rocprim17ROCPRIM_400000_NS6detail17trampoline_kernelINS0_14default_configENS1_38merge_sort_block_merge_config_selectorIiNS0_10empty_typeEEEZZNS1_27merge_sort_block_merge_implIS3_N6thrust23THRUST_200600_302600_NS10device_ptrIiEEPS5_jNS1_19radix_merge_compareILb0ELb0EiNS0_19identity_decomposerEEEEE10hipError_tT0_T1_T2_jT3_P12ihipStream_tbPNSt15iterator_traitsISH_E10value_typeEPNSN_ISI_E10value_typeEPSJ_NS1_7vsmem_tEENKUlT_SH_SI_SJ_E_clISB_PiSC_SC_EESG_SW_SH_SI_SJ_EUlSW_E_NS1_11comp_targetILNS1_3genE9ELNS1_11target_archE1100ELNS1_3gpuE3ELNS1_3repE0EEENS1_48merge_mergepath_partition_config_static_selectorELNS0_4arch9wavefront6targetE0EEEvSI_
; %bb.0:
	.section	.rodata,"a",@progbits
	.p2align	6, 0x0
	.amdhsa_kernel _ZN7rocprim17ROCPRIM_400000_NS6detail17trampoline_kernelINS0_14default_configENS1_38merge_sort_block_merge_config_selectorIiNS0_10empty_typeEEEZZNS1_27merge_sort_block_merge_implIS3_N6thrust23THRUST_200600_302600_NS10device_ptrIiEEPS5_jNS1_19radix_merge_compareILb0ELb0EiNS0_19identity_decomposerEEEEE10hipError_tT0_T1_T2_jT3_P12ihipStream_tbPNSt15iterator_traitsISH_E10value_typeEPNSN_ISI_E10value_typeEPSJ_NS1_7vsmem_tEENKUlT_SH_SI_SJ_E_clISB_PiSC_SC_EESG_SW_SH_SI_SJ_EUlSW_E_NS1_11comp_targetILNS1_3genE9ELNS1_11target_archE1100ELNS1_3gpuE3ELNS1_3repE0EEENS1_48merge_mergepath_partition_config_static_selectorELNS0_4arch9wavefront6targetE0EEEvSI_
		.amdhsa_group_segment_fixed_size 0
		.amdhsa_private_segment_fixed_size 0
		.amdhsa_kernarg_size 40
		.amdhsa_user_sgpr_count 6
		.amdhsa_user_sgpr_private_segment_buffer 1
		.amdhsa_user_sgpr_dispatch_ptr 0
		.amdhsa_user_sgpr_queue_ptr 0
		.amdhsa_user_sgpr_kernarg_segment_ptr 1
		.amdhsa_user_sgpr_dispatch_id 0
		.amdhsa_user_sgpr_flat_scratch_init 0
		.amdhsa_user_sgpr_private_segment_size 0
		.amdhsa_wavefront_size32 1
		.amdhsa_uses_dynamic_stack 0
		.amdhsa_system_sgpr_private_segment_wavefront_offset 0
		.amdhsa_system_sgpr_workgroup_id_x 1
		.amdhsa_system_sgpr_workgroup_id_y 0
		.amdhsa_system_sgpr_workgroup_id_z 0
		.amdhsa_system_sgpr_workgroup_info 0
		.amdhsa_system_vgpr_workitem_id 0
		.amdhsa_next_free_vgpr 1
		.amdhsa_next_free_sgpr 1
		.amdhsa_reserve_vcc 0
		.amdhsa_reserve_flat_scratch 0
		.amdhsa_float_round_mode_32 0
		.amdhsa_float_round_mode_16_64 0
		.amdhsa_float_denorm_mode_32 3
		.amdhsa_float_denorm_mode_16_64 3
		.amdhsa_dx10_clamp 1
		.amdhsa_ieee_mode 1
		.amdhsa_fp16_overflow 0
		.amdhsa_workgroup_processor_mode 1
		.amdhsa_memory_ordered 1
		.amdhsa_forward_progress 1
		.amdhsa_shared_vgpr_count 0
		.amdhsa_exception_fp_ieee_invalid_op 0
		.amdhsa_exception_fp_denorm_src 0
		.amdhsa_exception_fp_ieee_div_zero 0
		.amdhsa_exception_fp_ieee_overflow 0
		.amdhsa_exception_fp_ieee_underflow 0
		.amdhsa_exception_fp_ieee_inexact 0
		.amdhsa_exception_int_div_zero 0
	.end_amdhsa_kernel
	.section	.text._ZN7rocprim17ROCPRIM_400000_NS6detail17trampoline_kernelINS0_14default_configENS1_38merge_sort_block_merge_config_selectorIiNS0_10empty_typeEEEZZNS1_27merge_sort_block_merge_implIS3_N6thrust23THRUST_200600_302600_NS10device_ptrIiEEPS5_jNS1_19radix_merge_compareILb0ELb0EiNS0_19identity_decomposerEEEEE10hipError_tT0_T1_T2_jT3_P12ihipStream_tbPNSt15iterator_traitsISH_E10value_typeEPNSN_ISI_E10value_typeEPSJ_NS1_7vsmem_tEENKUlT_SH_SI_SJ_E_clISB_PiSC_SC_EESG_SW_SH_SI_SJ_EUlSW_E_NS1_11comp_targetILNS1_3genE9ELNS1_11target_archE1100ELNS1_3gpuE3ELNS1_3repE0EEENS1_48merge_mergepath_partition_config_static_selectorELNS0_4arch9wavefront6targetE0EEEvSI_,"axG",@progbits,_ZN7rocprim17ROCPRIM_400000_NS6detail17trampoline_kernelINS0_14default_configENS1_38merge_sort_block_merge_config_selectorIiNS0_10empty_typeEEEZZNS1_27merge_sort_block_merge_implIS3_N6thrust23THRUST_200600_302600_NS10device_ptrIiEEPS5_jNS1_19radix_merge_compareILb0ELb0EiNS0_19identity_decomposerEEEEE10hipError_tT0_T1_T2_jT3_P12ihipStream_tbPNSt15iterator_traitsISH_E10value_typeEPNSN_ISI_E10value_typeEPSJ_NS1_7vsmem_tEENKUlT_SH_SI_SJ_E_clISB_PiSC_SC_EESG_SW_SH_SI_SJ_EUlSW_E_NS1_11comp_targetILNS1_3genE9ELNS1_11target_archE1100ELNS1_3gpuE3ELNS1_3repE0EEENS1_48merge_mergepath_partition_config_static_selectorELNS0_4arch9wavefront6targetE0EEEvSI_,comdat
.Lfunc_end1142:
	.size	_ZN7rocprim17ROCPRIM_400000_NS6detail17trampoline_kernelINS0_14default_configENS1_38merge_sort_block_merge_config_selectorIiNS0_10empty_typeEEEZZNS1_27merge_sort_block_merge_implIS3_N6thrust23THRUST_200600_302600_NS10device_ptrIiEEPS5_jNS1_19radix_merge_compareILb0ELb0EiNS0_19identity_decomposerEEEEE10hipError_tT0_T1_T2_jT3_P12ihipStream_tbPNSt15iterator_traitsISH_E10value_typeEPNSN_ISI_E10value_typeEPSJ_NS1_7vsmem_tEENKUlT_SH_SI_SJ_E_clISB_PiSC_SC_EESG_SW_SH_SI_SJ_EUlSW_E_NS1_11comp_targetILNS1_3genE9ELNS1_11target_archE1100ELNS1_3gpuE3ELNS1_3repE0EEENS1_48merge_mergepath_partition_config_static_selectorELNS0_4arch9wavefront6targetE0EEEvSI_, .Lfunc_end1142-_ZN7rocprim17ROCPRIM_400000_NS6detail17trampoline_kernelINS0_14default_configENS1_38merge_sort_block_merge_config_selectorIiNS0_10empty_typeEEEZZNS1_27merge_sort_block_merge_implIS3_N6thrust23THRUST_200600_302600_NS10device_ptrIiEEPS5_jNS1_19radix_merge_compareILb0ELb0EiNS0_19identity_decomposerEEEEE10hipError_tT0_T1_T2_jT3_P12ihipStream_tbPNSt15iterator_traitsISH_E10value_typeEPNSN_ISI_E10value_typeEPSJ_NS1_7vsmem_tEENKUlT_SH_SI_SJ_E_clISB_PiSC_SC_EESG_SW_SH_SI_SJ_EUlSW_E_NS1_11comp_targetILNS1_3genE9ELNS1_11target_archE1100ELNS1_3gpuE3ELNS1_3repE0EEENS1_48merge_mergepath_partition_config_static_selectorELNS0_4arch9wavefront6targetE0EEEvSI_
                                        ; -- End function
	.set _ZN7rocprim17ROCPRIM_400000_NS6detail17trampoline_kernelINS0_14default_configENS1_38merge_sort_block_merge_config_selectorIiNS0_10empty_typeEEEZZNS1_27merge_sort_block_merge_implIS3_N6thrust23THRUST_200600_302600_NS10device_ptrIiEEPS5_jNS1_19radix_merge_compareILb0ELb0EiNS0_19identity_decomposerEEEEE10hipError_tT0_T1_T2_jT3_P12ihipStream_tbPNSt15iterator_traitsISH_E10value_typeEPNSN_ISI_E10value_typeEPSJ_NS1_7vsmem_tEENKUlT_SH_SI_SJ_E_clISB_PiSC_SC_EESG_SW_SH_SI_SJ_EUlSW_E_NS1_11comp_targetILNS1_3genE9ELNS1_11target_archE1100ELNS1_3gpuE3ELNS1_3repE0EEENS1_48merge_mergepath_partition_config_static_selectorELNS0_4arch9wavefront6targetE0EEEvSI_.num_vgpr, 0
	.set _ZN7rocprim17ROCPRIM_400000_NS6detail17trampoline_kernelINS0_14default_configENS1_38merge_sort_block_merge_config_selectorIiNS0_10empty_typeEEEZZNS1_27merge_sort_block_merge_implIS3_N6thrust23THRUST_200600_302600_NS10device_ptrIiEEPS5_jNS1_19radix_merge_compareILb0ELb0EiNS0_19identity_decomposerEEEEE10hipError_tT0_T1_T2_jT3_P12ihipStream_tbPNSt15iterator_traitsISH_E10value_typeEPNSN_ISI_E10value_typeEPSJ_NS1_7vsmem_tEENKUlT_SH_SI_SJ_E_clISB_PiSC_SC_EESG_SW_SH_SI_SJ_EUlSW_E_NS1_11comp_targetILNS1_3genE9ELNS1_11target_archE1100ELNS1_3gpuE3ELNS1_3repE0EEENS1_48merge_mergepath_partition_config_static_selectorELNS0_4arch9wavefront6targetE0EEEvSI_.num_agpr, 0
	.set _ZN7rocprim17ROCPRIM_400000_NS6detail17trampoline_kernelINS0_14default_configENS1_38merge_sort_block_merge_config_selectorIiNS0_10empty_typeEEEZZNS1_27merge_sort_block_merge_implIS3_N6thrust23THRUST_200600_302600_NS10device_ptrIiEEPS5_jNS1_19radix_merge_compareILb0ELb0EiNS0_19identity_decomposerEEEEE10hipError_tT0_T1_T2_jT3_P12ihipStream_tbPNSt15iterator_traitsISH_E10value_typeEPNSN_ISI_E10value_typeEPSJ_NS1_7vsmem_tEENKUlT_SH_SI_SJ_E_clISB_PiSC_SC_EESG_SW_SH_SI_SJ_EUlSW_E_NS1_11comp_targetILNS1_3genE9ELNS1_11target_archE1100ELNS1_3gpuE3ELNS1_3repE0EEENS1_48merge_mergepath_partition_config_static_selectorELNS0_4arch9wavefront6targetE0EEEvSI_.numbered_sgpr, 0
	.set _ZN7rocprim17ROCPRIM_400000_NS6detail17trampoline_kernelINS0_14default_configENS1_38merge_sort_block_merge_config_selectorIiNS0_10empty_typeEEEZZNS1_27merge_sort_block_merge_implIS3_N6thrust23THRUST_200600_302600_NS10device_ptrIiEEPS5_jNS1_19radix_merge_compareILb0ELb0EiNS0_19identity_decomposerEEEEE10hipError_tT0_T1_T2_jT3_P12ihipStream_tbPNSt15iterator_traitsISH_E10value_typeEPNSN_ISI_E10value_typeEPSJ_NS1_7vsmem_tEENKUlT_SH_SI_SJ_E_clISB_PiSC_SC_EESG_SW_SH_SI_SJ_EUlSW_E_NS1_11comp_targetILNS1_3genE9ELNS1_11target_archE1100ELNS1_3gpuE3ELNS1_3repE0EEENS1_48merge_mergepath_partition_config_static_selectorELNS0_4arch9wavefront6targetE0EEEvSI_.num_named_barrier, 0
	.set _ZN7rocprim17ROCPRIM_400000_NS6detail17trampoline_kernelINS0_14default_configENS1_38merge_sort_block_merge_config_selectorIiNS0_10empty_typeEEEZZNS1_27merge_sort_block_merge_implIS3_N6thrust23THRUST_200600_302600_NS10device_ptrIiEEPS5_jNS1_19radix_merge_compareILb0ELb0EiNS0_19identity_decomposerEEEEE10hipError_tT0_T1_T2_jT3_P12ihipStream_tbPNSt15iterator_traitsISH_E10value_typeEPNSN_ISI_E10value_typeEPSJ_NS1_7vsmem_tEENKUlT_SH_SI_SJ_E_clISB_PiSC_SC_EESG_SW_SH_SI_SJ_EUlSW_E_NS1_11comp_targetILNS1_3genE9ELNS1_11target_archE1100ELNS1_3gpuE3ELNS1_3repE0EEENS1_48merge_mergepath_partition_config_static_selectorELNS0_4arch9wavefront6targetE0EEEvSI_.private_seg_size, 0
	.set _ZN7rocprim17ROCPRIM_400000_NS6detail17trampoline_kernelINS0_14default_configENS1_38merge_sort_block_merge_config_selectorIiNS0_10empty_typeEEEZZNS1_27merge_sort_block_merge_implIS3_N6thrust23THRUST_200600_302600_NS10device_ptrIiEEPS5_jNS1_19radix_merge_compareILb0ELb0EiNS0_19identity_decomposerEEEEE10hipError_tT0_T1_T2_jT3_P12ihipStream_tbPNSt15iterator_traitsISH_E10value_typeEPNSN_ISI_E10value_typeEPSJ_NS1_7vsmem_tEENKUlT_SH_SI_SJ_E_clISB_PiSC_SC_EESG_SW_SH_SI_SJ_EUlSW_E_NS1_11comp_targetILNS1_3genE9ELNS1_11target_archE1100ELNS1_3gpuE3ELNS1_3repE0EEENS1_48merge_mergepath_partition_config_static_selectorELNS0_4arch9wavefront6targetE0EEEvSI_.uses_vcc, 0
	.set _ZN7rocprim17ROCPRIM_400000_NS6detail17trampoline_kernelINS0_14default_configENS1_38merge_sort_block_merge_config_selectorIiNS0_10empty_typeEEEZZNS1_27merge_sort_block_merge_implIS3_N6thrust23THRUST_200600_302600_NS10device_ptrIiEEPS5_jNS1_19radix_merge_compareILb0ELb0EiNS0_19identity_decomposerEEEEE10hipError_tT0_T1_T2_jT3_P12ihipStream_tbPNSt15iterator_traitsISH_E10value_typeEPNSN_ISI_E10value_typeEPSJ_NS1_7vsmem_tEENKUlT_SH_SI_SJ_E_clISB_PiSC_SC_EESG_SW_SH_SI_SJ_EUlSW_E_NS1_11comp_targetILNS1_3genE9ELNS1_11target_archE1100ELNS1_3gpuE3ELNS1_3repE0EEENS1_48merge_mergepath_partition_config_static_selectorELNS0_4arch9wavefront6targetE0EEEvSI_.uses_flat_scratch, 0
	.set _ZN7rocprim17ROCPRIM_400000_NS6detail17trampoline_kernelINS0_14default_configENS1_38merge_sort_block_merge_config_selectorIiNS0_10empty_typeEEEZZNS1_27merge_sort_block_merge_implIS3_N6thrust23THRUST_200600_302600_NS10device_ptrIiEEPS5_jNS1_19radix_merge_compareILb0ELb0EiNS0_19identity_decomposerEEEEE10hipError_tT0_T1_T2_jT3_P12ihipStream_tbPNSt15iterator_traitsISH_E10value_typeEPNSN_ISI_E10value_typeEPSJ_NS1_7vsmem_tEENKUlT_SH_SI_SJ_E_clISB_PiSC_SC_EESG_SW_SH_SI_SJ_EUlSW_E_NS1_11comp_targetILNS1_3genE9ELNS1_11target_archE1100ELNS1_3gpuE3ELNS1_3repE0EEENS1_48merge_mergepath_partition_config_static_selectorELNS0_4arch9wavefront6targetE0EEEvSI_.has_dyn_sized_stack, 0
	.set _ZN7rocprim17ROCPRIM_400000_NS6detail17trampoline_kernelINS0_14default_configENS1_38merge_sort_block_merge_config_selectorIiNS0_10empty_typeEEEZZNS1_27merge_sort_block_merge_implIS3_N6thrust23THRUST_200600_302600_NS10device_ptrIiEEPS5_jNS1_19radix_merge_compareILb0ELb0EiNS0_19identity_decomposerEEEEE10hipError_tT0_T1_T2_jT3_P12ihipStream_tbPNSt15iterator_traitsISH_E10value_typeEPNSN_ISI_E10value_typeEPSJ_NS1_7vsmem_tEENKUlT_SH_SI_SJ_E_clISB_PiSC_SC_EESG_SW_SH_SI_SJ_EUlSW_E_NS1_11comp_targetILNS1_3genE9ELNS1_11target_archE1100ELNS1_3gpuE3ELNS1_3repE0EEENS1_48merge_mergepath_partition_config_static_selectorELNS0_4arch9wavefront6targetE0EEEvSI_.has_recursion, 0
	.set _ZN7rocprim17ROCPRIM_400000_NS6detail17trampoline_kernelINS0_14default_configENS1_38merge_sort_block_merge_config_selectorIiNS0_10empty_typeEEEZZNS1_27merge_sort_block_merge_implIS3_N6thrust23THRUST_200600_302600_NS10device_ptrIiEEPS5_jNS1_19radix_merge_compareILb0ELb0EiNS0_19identity_decomposerEEEEE10hipError_tT0_T1_T2_jT3_P12ihipStream_tbPNSt15iterator_traitsISH_E10value_typeEPNSN_ISI_E10value_typeEPSJ_NS1_7vsmem_tEENKUlT_SH_SI_SJ_E_clISB_PiSC_SC_EESG_SW_SH_SI_SJ_EUlSW_E_NS1_11comp_targetILNS1_3genE9ELNS1_11target_archE1100ELNS1_3gpuE3ELNS1_3repE0EEENS1_48merge_mergepath_partition_config_static_selectorELNS0_4arch9wavefront6targetE0EEEvSI_.has_indirect_call, 0
	.section	.AMDGPU.csdata,"",@progbits
; Kernel info:
; codeLenInByte = 0
; TotalNumSgprs: 0
; NumVgprs: 0
; ScratchSize: 0
; MemoryBound: 0
; FloatMode: 240
; IeeeMode: 1
; LDSByteSize: 0 bytes/workgroup (compile time only)
; SGPRBlocks: 0
; VGPRBlocks: 0
; NumSGPRsForWavesPerEU: 1
; NumVGPRsForWavesPerEU: 1
; Occupancy: 16
; WaveLimiterHint : 0
; COMPUTE_PGM_RSRC2:SCRATCH_EN: 0
; COMPUTE_PGM_RSRC2:USER_SGPR: 6
; COMPUTE_PGM_RSRC2:TRAP_HANDLER: 0
; COMPUTE_PGM_RSRC2:TGID_X_EN: 1
; COMPUTE_PGM_RSRC2:TGID_Y_EN: 0
; COMPUTE_PGM_RSRC2:TGID_Z_EN: 0
; COMPUTE_PGM_RSRC2:TIDIG_COMP_CNT: 0
	.section	.text._ZN7rocprim17ROCPRIM_400000_NS6detail17trampoline_kernelINS0_14default_configENS1_38merge_sort_block_merge_config_selectorIiNS0_10empty_typeEEEZZNS1_27merge_sort_block_merge_implIS3_N6thrust23THRUST_200600_302600_NS10device_ptrIiEEPS5_jNS1_19radix_merge_compareILb0ELb0EiNS0_19identity_decomposerEEEEE10hipError_tT0_T1_T2_jT3_P12ihipStream_tbPNSt15iterator_traitsISH_E10value_typeEPNSN_ISI_E10value_typeEPSJ_NS1_7vsmem_tEENKUlT_SH_SI_SJ_E_clISB_PiSC_SC_EESG_SW_SH_SI_SJ_EUlSW_E_NS1_11comp_targetILNS1_3genE8ELNS1_11target_archE1030ELNS1_3gpuE2ELNS1_3repE0EEENS1_48merge_mergepath_partition_config_static_selectorELNS0_4arch9wavefront6targetE0EEEvSI_,"axG",@progbits,_ZN7rocprim17ROCPRIM_400000_NS6detail17trampoline_kernelINS0_14default_configENS1_38merge_sort_block_merge_config_selectorIiNS0_10empty_typeEEEZZNS1_27merge_sort_block_merge_implIS3_N6thrust23THRUST_200600_302600_NS10device_ptrIiEEPS5_jNS1_19radix_merge_compareILb0ELb0EiNS0_19identity_decomposerEEEEE10hipError_tT0_T1_T2_jT3_P12ihipStream_tbPNSt15iterator_traitsISH_E10value_typeEPNSN_ISI_E10value_typeEPSJ_NS1_7vsmem_tEENKUlT_SH_SI_SJ_E_clISB_PiSC_SC_EESG_SW_SH_SI_SJ_EUlSW_E_NS1_11comp_targetILNS1_3genE8ELNS1_11target_archE1030ELNS1_3gpuE2ELNS1_3repE0EEENS1_48merge_mergepath_partition_config_static_selectorELNS0_4arch9wavefront6targetE0EEEvSI_,comdat
	.protected	_ZN7rocprim17ROCPRIM_400000_NS6detail17trampoline_kernelINS0_14default_configENS1_38merge_sort_block_merge_config_selectorIiNS0_10empty_typeEEEZZNS1_27merge_sort_block_merge_implIS3_N6thrust23THRUST_200600_302600_NS10device_ptrIiEEPS5_jNS1_19radix_merge_compareILb0ELb0EiNS0_19identity_decomposerEEEEE10hipError_tT0_T1_T2_jT3_P12ihipStream_tbPNSt15iterator_traitsISH_E10value_typeEPNSN_ISI_E10value_typeEPSJ_NS1_7vsmem_tEENKUlT_SH_SI_SJ_E_clISB_PiSC_SC_EESG_SW_SH_SI_SJ_EUlSW_E_NS1_11comp_targetILNS1_3genE8ELNS1_11target_archE1030ELNS1_3gpuE2ELNS1_3repE0EEENS1_48merge_mergepath_partition_config_static_selectorELNS0_4arch9wavefront6targetE0EEEvSI_ ; -- Begin function _ZN7rocprim17ROCPRIM_400000_NS6detail17trampoline_kernelINS0_14default_configENS1_38merge_sort_block_merge_config_selectorIiNS0_10empty_typeEEEZZNS1_27merge_sort_block_merge_implIS3_N6thrust23THRUST_200600_302600_NS10device_ptrIiEEPS5_jNS1_19radix_merge_compareILb0ELb0EiNS0_19identity_decomposerEEEEE10hipError_tT0_T1_T2_jT3_P12ihipStream_tbPNSt15iterator_traitsISH_E10value_typeEPNSN_ISI_E10value_typeEPSJ_NS1_7vsmem_tEENKUlT_SH_SI_SJ_E_clISB_PiSC_SC_EESG_SW_SH_SI_SJ_EUlSW_E_NS1_11comp_targetILNS1_3genE8ELNS1_11target_archE1030ELNS1_3gpuE2ELNS1_3repE0EEENS1_48merge_mergepath_partition_config_static_selectorELNS0_4arch9wavefront6targetE0EEEvSI_
	.globl	_ZN7rocprim17ROCPRIM_400000_NS6detail17trampoline_kernelINS0_14default_configENS1_38merge_sort_block_merge_config_selectorIiNS0_10empty_typeEEEZZNS1_27merge_sort_block_merge_implIS3_N6thrust23THRUST_200600_302600_NS10device_ptrIiEEPS5_jNS1_19radix_merge_compareILb0ELb0EiNS0_19identity_decomposerEEEEE10hipError_tT0_T1_T2_jT3_P12ihipStream_tbPNSt15iterator_traitsISH_E10value_typeEPNSN_ISI_E10value_typeEPSJ_NS1_7vsmem_tEENKUlT_SH_SI_SJ_E_clISB_PiSC_SC_EESG_SW_SH_SI_SJ_EUlSW_E_NS1_11comp_targetILNS1_3genE8ELNS1_11target_archE1030ELNS1_3gpuE2ELNS1_3repE0EEENS1_48merge_mergepath_partition_config_static_selectorELNS0_4arch9wavefront6targetE0EEEvSI_
	.p2align	8
	.type	_ZN7rocprim17ROCPRIM_400000_NS6detail17trampoline_kernelINS0_14default_configENS1_38merge_sort_block_merge_config_selectorIiNS0_10empty_typeEEEZZNS1_27merge_sort_block_merge_implIS3_N6thrust23THRUST_200600_302600_NS10device_ptrIiEEPS5_jNS1_19radix_merge_compareILb0ELb0EiNS0_19identity_decomposerEEEEE10hipError_tT0_T1_T2_jT3_P12ihipStream_tbPNSt15iterator_traitsISH_E10value_typeEPNSN_ISI_E10value_typeEPSJ_NS1_7vsmem_tEENKUlT_SH_SI_SJ_E_clISB_PiSC_SC_EESG_SW_SH_SI_SJ_EUlSW_E_NS1_11comp_targetILNS1_3genE8ELNS1_11target_archE1030ELNS1_3gpuE2ELNS1_3repE0EEENS1_48merge_mergepath_partition_config_static_selectorELNS0_4arch9wavefront6targetE0EEEvSI_,@function
_ZN7rocprim17ROCPRIM_400000_NS6detail17trampoline_kernelINS0_14default_configENS1_38merge_sort_block_merge_config_selectorIiNS0_10empty_typeEEEZZNS1_27merge_sort_block_merge_implIS3_N6thrust23THRUST_200600_302600_NS10device_ptrIiEEPS5_jNS1_19radix_merge_compareILb0ELb0EiNS0_19identity_decomposerEEEEE10hipError_tT0_T1_T2_jT3_P12ihipStream_tbPNSt15iterator_traitsISH_E10value_typeEPNSN_ISI_E10value_typeEPSJ_NS1_7vsmem_tEENKUlT_SH_SI_SJ_E_clISB_PiSC_SC_EESG_SW_SH_SI_SJ_EUlSW_E_NS1_11comp_targetILNS1_3genE8ELNS1_11target_archE1030ELNS1_3gpuE2ELNS1_3repE0EEENS1_48merge_mergepath_partition_config_static_selectorELNS0_4arch9wavefront6targetE0EEEvSI_: ; @_ZN7rocprim17ROCPRIM_400000_NS6detail17trampoline_kernelINS0_14default_configENS1_38merge_sort_block_merge_config_selectorIiNS0_10empty_typeEEEZZNS1_27merge_sort_block_merge_implIS3_N6thrust23THRUST_200600_302600_NS10device_ptrIiEEPS5_jNS1_19radix_merge_compareILb0ELb0EiNS0_19identity_decomposerEEEEE10hipError_tT0_T1_T2_jT3_P12ihipStream_tbPNSt15iterator_traitsISH_E10value_typeEPNSN_ISI_E10value_typeEPSJ_NS1_7vsmem_tEENKUlT_SH_SI_SJ_E_clISB_PiSC_SC_EESG_SW_SH_SI_SJ_EUlSW_E_NS1_11comp_targetILNS1_3genE8ELNS1_11target_archE1030ELNS1_3gpuE2ELNS1_3repE0EEENS1_48merge_mergepath_partition_config_static_selectorELNS0_4arch9wavefront6targetE0EEEvSI_
; %bb.0:
	s_load_dword s0, s[4:5], 0x0
	v_lshl_or_b32 v0, s6, 7, v0
	s_waitcnt lgkmcnt(0)
	v_cmp_gt_u32_e32 vcc_lo, s0, v0
	s_and_saveexec_b32 s0, vcc_lo
	s_cbranch_execz .LBB1143_6
; %bb.1:
	s_load_dwordx2 s[0:1], s[4:5], 0x4
	s_waitcnt lgkmcnt(0)
	s_lshr_b32 s2, s0, 9
	s_and_b32 s2, s2, 0x7ffffe
	s_sub_i32 s3, 0, s2
	s_add_i32 s2, s2, -1
	v_and_b32_e32 v1, s3, v0
	v_and_b32_e32 v5, s2, v0
	s_mov_b32 s3, 0
	s_mov_b32 s2, exec_lo
	v_lshlrev_b32_e32 v1, 10, v1
	v_add_nc_u32_e32 v2, s0, v1
	v_min_u32_e32 v4, s1, v2
	v_min_u32_e32 v2, s1, v1
	v_add_nc_u32_e32 v3, s0, v4
	v_min_u32_e32 v1, s1, v3
	s_load_dwordx2 s[0:1], s[4:5], 0x20
	v_lshlrev_b32_e32 v3, 10, v5
	v_sub_nc_u32_e32 v5, v1, v2
	v_sub_nc_u32_e32 v6, v1, v4
	v_min_u32_e32 v1, v5, v3
	v_sub_nc_u32_e32 v3, v4, v2
	v_sub_nc_u32_e64 v6, v1, v6 clamp
	v_min_u32_e32 v7, v1, v3
	v_cmpx_lt_u32_e64 v6, v7
	s_cbranch_execz .LBB1143_5
; %bb.2:
	s_load_dwordx2 s[4:5], s[4:5], 0x10
	v_mov_b32_e32 v5, 0
	v_mov_b32_e32 v3, v5
	v_lshlrev_b64 v[10:11], 2, v[4:5]
	v_lshlrev_b64 v[8:9], 2, v[2:3]
	s_waitcnt lgkmcnt(0)
	v_add_co_u32 v3, vcc_lo, s4, v8
	v_add_co_ci_u32_e64 v8, null, s5, v9, vcc_lo
	v_add_co_u32 v9, vcc_lo, s4, v10
	v_add_co_ci_u32_e64 v10, null, s5, v11, vcc_lo
	.p2align	6
.LBB1143_3:                             ; =>This Inner Loop Header: Depth=1
	v_add_nc_u32_e32 v4, v7, v6
	v_mov_b32_e32 v12, v5
	v_lshrrev_b32_e32 v4, 1, v4
	v_xad_u32 v11, v4, -1, v1
	v_lshlrev_b64 v[13:14], 2, v[4:5]
	v_lshlrev_b64 v[11:12], 2, v[11:12]
	v_add_co_u32 v13, vcc_lo, v3, v13
	v_add_co_ci_u32_e64 v14, null, v8, v14, vcc_lo
	v_add_co_u32 v11, vcc_lo, v9, v11
	v_add_co_ci_u32_e64 v12, null, v10, v12, vcc_lo
	s_clause 0x1
	flat_load_dword v13, v[13:14]
	flat_load_dword v11, v[11:12]
	v_add_nc_u32_e32 v12, 1, v4
	s_waitcnt vmcnt(0) lgkmcnt(0)
	v_cmp_gt_i32_e32 vcc_lo, v13, v11
	v_cndmask_b32_e32 v7, v7, v4, vcc_lo
	v_cndmask_b32_e32 v6, v12, v6, vcc_lo
	v_cmp_ge_u32_e32 vcc_lo, v6, v7
	s_or_b32 s3, vcc_lo, s3
	s_andn2_b32 exec_lo, exec_lo, s3
	s_cbranch_execnz .LBB1143_3
; %bb.4:
	s_or_b32 exec_lo, exec_lo, s3
.LBB1143_5:
	s_or_b32 exec_lo, exec_lo, s2
	v_mov_b32_e32 v1, 0
	v_add_nc_u32_e32 v2, v6, v2
	v_lshlrev_b64 v[0:1], 2, v[0:1]
	s_waitcnt lgkmcnt(0)
	v_add_co_u32 v0, vcc_lo, s0, v0
	v_add_co_ci_u32_e64 v1, null, s1, v1, vcc_lo
	global_store_dword v[0:1], v2, off
.LBB1143_6:
	s_endpgm
	.section	.rodata,"a",@progbits
	.p2align	6, 0x0
	.amdhsa_kernel _ZN7rocprim17ROCPRIM_400000_NS6detail17trampoline_kernelINS0_14default_configENS1_38merge_sort_block_merge_config_selectorIiNS0_10empty_typeEEEZZNS1_27merge_sort_block_merge_implIS3_N6thrust23THRUST_200600_302600_NS10device_ptrIiEEPS5_jNS1_19radix_merge_compareILb0ELb0EiNS0_19identity_decomposerEEEEE10hipError_tT0_T1_T2_jT3_P12ihipStream_tbPNSt15iterator_traitsISH_E10value_typeEPNSN_ISI_E10value_typeEPSJ_NS1_7vsmem_tEENKUlT_SH_SI_SJ_E_clISB_PiSC_SC_EESG_SW_SH_SI_SJ_EUlSW_E_NS1_11comp_targetILNS1_3genE8ELNS1_11target_archE1030ELNS1_3gpuE2ELNS1_3repE0EEENS1_48merge_mergepath_partition_config_static_selectorELNS0_4arch9wavefront6targetE0EEEvSI_
		.amdhsa_group_segment_fixed_size 0
		.amdhsa_private_segment_fixed_size 0
		.amdhsa_kernarg_size 40
		.amdhsa_user_sgpr_count 6
		.amdhsa_user_sgpr_private_segment_buffer 1
		.amdhsa_user_sgpr_dispatch_ptr 0
		.amdhsa_user_sgpr_queue_ptr 0
		.amdhsa_user_sgpr_kernarg_segment_ptr 1
		.amdhsa_user_sgpr_dispatch_id 0
		.amdhsa_user_sgpr_flat_scratch_init 0
		.amdhsa_user_sgpr_private_segment_size 0
		.amdhsa_wavefront_size32 1
		.amdhsa_uses_dynamic_stack 0
		.amdhsa_system_sgpr_private_segment_wavefront_offset 0
		.amdhsa_system_sgpr_workgroup_id_x 1
		.amdhsa_system_sgpr_workgroup_id_y 0
		.amdhsa_system_sgpr_workgroup_id_z 0
		.amdhsa_system_sgpr_workgroup_info 0
		.amdhsa_system_vgpr_workitem_id 0
		.amdhsa_next_free_vgpr 15
		.amdhsa_next_free_sgpr 7
		.amdhsa_reserve_vcc 1
		.amdhsa_reserve_flat_scratch 1
		.amdhsa_float_round_mode_32 0
		.amdhsa_float_round_mode_16_64 0
		.amdhsa_float_denorm_mode_32 3
		.amdhsa_float_denorm_mode_16_64 3
		.amdhsa_dx10_clamp 1
		.amdhsa_ieee_mode 1
		.amdhsa_fp16_overflow 0
		.amdhsa_workgroup_processor_mode 1
		.amdhsa_memory_ordered 1
		.amdhsa_forward_progress 1
		.amdhsa_shared_vgpr_count 0
		.amdhsa_exception_fp_ieee_invalid_op 0
		.amdhsa_exception_fp_denorm_src 0
		.amdhsa_exception_fp_ieee_div_zero 0
		.amdhsa_exception_fp_ieee_overflow 0
		.amdhsa_exception_fp_ieee_underflow 0
		.amdhsa_exception_fp_ieee_inexact 0
		.amdhsa_exception_int_div_zero 0
	.end_amdhsa_kernel
	.section	.text._ZN7rocprim17ROCPRIM_400000_NS6detail17trampoline_kernelINS0_14default_configENS1_38merge_sort_block_merge_config_selectorIiNS0_10empty_typeEEEZZNS1_27merge_sort_block_merge_implIS3_N6thrust23THRUST_200600_302600_NS10device_ptrIiEEPS5_jNS1_19radix_merge_compareILb0ELb0EiNS0_19identity_decomposerEEEEE10hipError_tT0_T1_T2_jT3_P12ihipStream_tbPNSt15iterator_traitsISH_E10value_typeEPNSN_ISI_E10value_typeEPSJ_NS1_7vsmem_tEENKUlT_SH_SI_SJ_E_clISB_PiSC_SC_EESG_SW_SH_SI_SJ_EUlSW_E_NS1_11comp_targetILNS1_3genE8ELNS1_11target_archE1030ELNS1_3gpuE2ELNS1_3repE0EEENS1_48merge_mergepath_partition_config_static_selectorELNS0_4arch9wavefront6targetE0EEEvSI_,"axG",@progbits,_ZN7rocprim17ROCPRIM_400000_NS6detail17trampoline_kernelINS0_14default_configENS1_38merge_sort_block_merge_config_selectorIiNS0_10empty_typeEEEZZNS1_27merge_sort_block_merge_implIS3_N6thrust23THRUST_200600_302600_NS10device_ptrIiEEPS5_jNS1_19radix_merge_compareILb0ELb0EiNS0_19identity_decomposerEEEEE10hipError_tT0_T1_T2_jT3_P12ihipStream_tbPNSt15iterator_traitsISH_E10value_typeEPNSN_ISI_E10value_typeEPSJ_NS1_7vsmem_tEENKUlT_SH_SI_SJ_E_clISB_PiSC_SC_EESG_SW_SH_SI_SJ_EUlSW_E_NS1_11comp_targetILNS1_3genE8ELNS1_11target_archE1030ELNS1_3gpuE2ELNS1_3repE0EEENS1_48merge_mergepath_partition_config_static_selectorELNS0_4arch9wavefront6targetE0EEEvSI_,comdat
.Lfunc_end1143:
	.size	_ZN7rocprim17ROCPRIM_400000_NS6detail17trampoline_kernelINS0_14default_configENS1_38merge_sort_block_merge_config_selectorIiNS0_10empty_typeEEEZZNS1_27merge_sort_block_merge_implIS3_N6thrust23THRUST_200600_302600_NS10device_ptrIiEEPS5_jNS1_19radix_merge_compareILb0ELb0EiNS0_19identity_decomposerEEEEE10hipError_tT0_T1_T2_jT3_P12ihipStream_tbPNSt15iterator_traitsISH_E10value_typeEPNSN_ISI_E10value_typeEPSJ_NS1_7vsmem_tEENKUlT_SH_SI_SJ_E_clISB_PiSC_SC_EESG_SW_SH_SI_SJ_EUlSW_E_NS1_11comp_targetILNS1_3genE8ELNS1_11target_archE1030ELNS1_3gpuE2ELNS1_3repE0EEENS1_48merge_mergepath_partition_config_static_selectorELNS0_4arch9wavefront6targetE0EEEvSI_, .Lfunc_end1143-_ZN7rocprim17ROCPRIM_400000_NS6detail17trampoline_kernelINS0_14default_configENS1_38merge_sort_block_merge_config_selectorIiNS0_10empty_typeEEEZZNS1_27merge_sort_block_merge_implIS3_N6thrust23THRUST_200600_302600_NS10device_ptrIiEEPS5_jNS1_19radix_merge_compareILb0ELb0EiNS0_19identity_decomposerEEEEE10hipError_tT0_T1_T2_jT3_P12ihipStream_tbPNSt15iterator_traitsISH_E10value_typeEPNSN_ISI_E10value_typeEPSJ_NS1_7vsmem_tEENKUlT_SH_SI_SJ_E_clISB_PiSC_SC_EESG_SW_SH_SI_SJ_EUlSW_E_NS1_11comp_targetILNS1_3genE8ELNS1_11target_archE1030ELNS1_3gpuE2ELNS1_3repE0EEENS1_48merge_mergepath_partition_config_static_selectorELNS0_4arch9wavefront6targetE0EEEvSI_
                                        ; -- End function
	.set _ZN7rocprim17ROCPRIM_400000_NS6detail17trampoline_kernelINS0_14default_configENS1_38merge_sort_block_merge_config_selectorIiNS0_10empty_typeEEEZZNS1_27merge_sort_block_merge_implIS3_N6thrust23THRUST_200600_302600_NS10device_ptrIiEEPS5_jNS1_19radix_merge_compareILb0ELb0EiNS0_19identity_decomposerEEEEE10hipError_tT0_T1_T2_jT3_P12ihipStream_tbPNSt15iterator_traitsISH_E10value_typeEPNSN_ISI_E10value_typeEPSJ_NS1_7vsmem_tEENKUlT_SH_SI_SJ_E_clISB_PiSC_SC_EESG_SW_SH_SI_SJ_EUlSW_E_NS1_11comp_targetILNS1_3genE8ELNS1_11target_archE1030ELNS1_3gpuE2ELNS1_3repE0EEENS1_48merge_mergepath_partition_config_static_selectorELNS0_4arch9wavefront6targetE0EEEvSI_.num_vgpr, 15
	.set _ZN7rocprim17ROCPRIM_400000_NS6detail17trampoline_kernelINS0_14default_configENS1_38merge_sort_block_merge_config_selectorIiNS0_10empty_typeEEEZZNS1_27merge_sort_block_merge_implIS3_N6thrust23THRUST_200600_302600_NS10device_ptrIiEEPS5_jNS1_19radix_merge_compareILb0ELb0EiNS0_19identity_decomposerEEEEE10hipError_tT0_T1_T2_jT3_P12ihipStream_tbPNSt15iterator_traitsISH_E10value_typeEPNSN_ISI_E10value_typeEPSJ_NS1_7vsmem_tEENKUlT_SH_SI_SJ_E_clISB_PiSC_SC_EESG_SW_SH_SI_SJ_EUlSW_E_NS1_11comp_targetILNS1_3genE8ELNS1_11target_archE1030ELNS1_3gpuE2ELNS1_3repE0EEENS1_48merge_mergepath_partition_config_static_selectorELNS0_4arch9wavefront6targetE0EEEvSI_.num_agpr, 0
	.set _ZN7rocprim17ROCPRIM_400000_NS6detail17trampoline_kernelINS0_14default_configENS1_38merge_sort_block_merge_config_selectorIiNS0_10empty_typeEEEZZNS1_27merge_sort_block_merge_implIS3_N6thrust23THRUST_200600_302600_NS10device_ptrIiEEPS5_jNS1_19radix_merge_compareILb0ELb0EiNS0_19identity_decomposerEEEEE10hipError_tT0_T1_T2_jT3_P12ihipStream_tbPNSt15iterator_traitsISH_E10value_typeEPNSN_ISI_E10value_typeEPSJ_NS1_7vsmem_tEENKUlT_SH_SI_SJ_E_clISB_PiSC_SC_EESG_SW_SH_SI_SJ_EUlSW_E_NS1_11comp_targetILNS1_3genE8ELNS1_11target_archE1030ELNS1_3gpuE2ELNS1_3repE0EEENS1_48merge_mergepath_partition_config_static_selectorELNS0_4arch9wavefront6targetE0EEEvSI_.numbered_sgpr, 7
	.set _ZN7rocprim17ROCPRIM_400000_NS6detail17trampoline_kernelINS0_14default_configENS1_38merge_sort_block_merge_config_selectorIiNS0_10empty_typeEEEZZNS1_27merge_sort_block_merge_implIS3_N6thrust23THRUST_200600_302600_NS10device_ptrIiEEPS5_jNS1_19radix_merge_compareILb0ELb0EiNS0_19identity_decomposerEEEEE10hipError_tT0_T1_T2_jT3_P12ihipStream_tbPNSt15iterator_traitsISH_E10value_typeEPNSN_ISI_E10value_typeEPSJ_NS1_7vsmem_tEENKUlT_SH_SI_SJ_E_clISB_PiSC_SC_EESG_SW_SH_SI_SJ_EUlSW_E_NS1_11comp_targetILNS1_3genE8ELNS1_11target_archE1030ELNS1_3gpuE2ELNS1_3repE0EEENS1_48merge_mergepath_partition_config_static_selectorELNS0_4arch9wavefront6targetE0EEEvSI_.num_named_barrier, 0
	.set _ZN7rocprim17ROCPRIM_400000_NS6detail17trampoline_kernelINS0_14default_configENS1_38merge_sort_block_merge_config_selectorIiNS0_10empty_typeEEEZZNS1_27merge_sort_block_merge_implIS3_N6thrust23THRUST_200600_302600_NS10device_ptrIiEEPS5_jNS1_19radix_merge_compareILb0ELb0EiNS0_19identity_decomposerEEEEE10hipError_tT0_T1_T2_jT3_P12ihipStream_tbPNSt15iterator_traitsISH_E10value_typeEPNSN_ISI_E10value_typeEPSJ_NS1_7vsmem_tEENKUlT_SH_SI_SJ_E_clISB_PiSC_SC_EESG_SW_SH_SI_SJ_EUlSW_E_NS1_11comp_targetILNS1_3genE8ELNS1_11target_archE1030ELNS1_3gpuE2ELNS1_3repE0EEENS1_48merge_mergepath_partition_config_static_selectorELNS0_4arch9wavefront6targetE0EEEvSI_.private_seg_size, 0
	.set _ZN7rocprim17ROCPRIM_400000_NS6detail17trampoline_kernelINS0_14default_configENS1_38merge_sort_block_merge_config_selectorIiNS0_10empty_typeEEEZZNS1_27merge_sort_block_merge_implIS3_N6thrust23THRUST_200600_302600_NS10device_ptrIiEEPS5_jNS1_19radix_merge_compareILb0ELb0EiNS0_19identity_decomposerEEEEE10hipError_tT0_T1_T2_jT3_P12ihipStream_tbPNSt15iterator_traitsISH_E10value_typeEPNSN_ISI_E10value_typeEPSJ_NS1_7vsmem_tEENKUlT_SH_SI_SJ_E_clISB_PiSC_SC_EESG_SW_SH_SI_SJ_EUlSW_E_NS1_11comp_targetILNS1_3genE8ELNS1_11target_archE1030ELNS1_3gpuE2ELNS1_3repE0EEENS1_48merge_mergepath_partition_config_static_selectorELNS0_4arch9wavefront6targetE0EEEvSI_.uses_vcc, 1
	.set _ZN7rocprim17ROCPRIM_400000_NS6detail17trampoline_kernelINS0_14default_configENS1_38merge_sort_block_merge_config_selectorIiNS0_10empty_typeEEEZZNS1_27merge_sort_block_merge_implIS3_N6thrust23THRUST_200600_302600_NS10device_ptrIiEEPS5_jNS1_19radix_merge_compareILb0ELb0EiNS0_19identity_decomposerEEEEE10hipError_tT0_T1_T2_jT3_P12ihipStream_tbPNSt15iterator_traitsISH_E10value_typeEPNSN_ISI_E10value_typeEPSJ_NS1_7vsmem_tEENKUlT_SH_SI_SJ_E_clISB_PiSC_SC_EESG_SW_SH_SI_SJ_EUlSW_E_NS1_11comp_targetILNS1_3genE8ELNS1_11target_archE1030ELNS1_3gpuE2ELNS1_3repE0EEENS1_48merge_mergepath_partition_config_static_selectorELNS0_4arch9wavefront6targetE0EEEvSI_.uses_flat_scratch, 1
	.set _ZN7rocprim17ROCPRIM_400000_NS6detail17trampoline_kernelINS0_14default_configENS1_38merge_sort_block_merge_config_selectorIiNS0_10empty_typeEEEZZNS1_27merge_sort_block_merge_implIS3_N6thrust23THRUST_200600_302600_NS10device_ptrIiEEPS5_jNS1_19radix_merge_compareILb0ELb0EiNS0_19identity_decomposerEEEEE10hipError_tT0_T1_T2_jT3_P12ihipStream_tbPNSt15iterator_traitsISH_E10value_typeEPNSN_ISI_E10value_typeEPSJ_NS1_7vsmem_tEENKUlT_SH_SI_SJ_E_clISB_PiSC_SC_EESG_SW_SH_SI_SJ_EUlSW_E_NS1_11comp_targetILNS1_3genE8ELNS1_11target_archE1030ELNS1_3gpuE2ELNS1_3repE0EEENS1_48merge_mergepath_partition_config_static_selectorELNS0_4arch9wavefront6targetE0EEEvSI_.has_dyn_sized_stack, 0
	.set _ZN7rocprim17ROCPRIM_400000_NS6detail17trampoline_kernelINS0_14default_configENS1_38merge_sort_block_merge_config_selectorIiNS0_10empty_typeEEEZZNS1_27merge_sort_block_merge_implIS3_N6thrust23THRUST_200600_302600_NS10device_ptrIiEEPS5_jNS1_19radix_merge_compareILb0ELb0EiNS0_19identity_decomposerEEEEE10hipError_tT0_T1_T2_jT3_P12ihipStream_tbPNSt15iterator_traitsISH_E10value_typeEPNSN_ISI_E10value_typeEPSJ_NS1_7vsmem_tEENKUlT_SH_SI_SJ_E_clISB_PiSC_SC_EESG_SW_SH_SI_SJ_EUlSW_E_NS1_11comp_targetILNS1_3genE8ELNS1_11target_archE1030ELNS1_3gpuE2ELNS1_3repE0EEENS1_48merge_mergepath_partition_config_static_selectorELNS0_4arch9wavefront6targetE0EEEvSI_.has_recursion, 0
	.set _ZN7rocprim17ROCPRIM_400000_NS6detail17trampoline_kernelINS0_14default_configENS1_38merge_sort_block_merge_config_selectorIiNS0_10empty_typeEEEZZNS1_27merge_sort_block_merge_implIS3_N6thrust23THRUST_200600_302600_NS10device_ptrIiEEPS5_jNS1_19radix_merge_compareILb0ELb0EiNS0_19identity_decomposerEEEEE10hipError_tT0_T1_T2_jT3_P12ihipStream_tbPNSt15iterator_traitsISH_E10value_typeEPNSN_ISI_E10value_typeEPSJ_NS1_7vsmem_tEENKUlT_SH_SI_SJ_E_clISB_PiSC_SC_EESG_SW_SH_SI_SJ_EUlSW_E_NS1_11comp_targetILNS1_3genE8ELNS1_11target_archE1030ELNS1_3gpuE2ELNS1_3repE0EEENS1_48merge_mergepath_partition_config_static_selectorELNS0_4arch9wavefront6targetE0EEEvSI_.has_indirect_call, 0
	.section	.AMDGPU.csdata,"",@progbits
; Kernel info:
; codeLenInByte = 436
; TotalNumSgprs: 9
; NumVgprs: 15
; ScratchSize: 0
; MemoryBound: 0
; FloatMode: 240
; IeeeMode: 1
; LDSByteSize: 0 bytes/workgroup (compile time only)
; SGPRBlocks: 0
; VGPRBlocks: 1
; NumSGPRsForWavesPerEU: 9
; NumVGPRsForWavesPerEU: 15
; Occupancy: 16
; WaveLimiterHint : 0
; COMPUTE_PGM_RSRC2:SCRATCH_EN: 0
; COMPUTE_PGM_RSRC2:USER_SGPR: 6
; COMPUTE_PGM_RSRC2:TRAP_HANDLER: 0
; COMPUTE_PGM_RSRC2:TGID_X_EN: 1
; COMPUTE_PGM_RSRC2:TGID_Y_EN: 0
; COMPUTE_PGM_RSRC2:TGID_Z_EN: 0
; COMPUTE_PGM_RSRC2:TIDIG_COMP_CNT: 0
	.section	.text._ZN7rocprim17ROCPRIM_400000_NS6detail17trampoline_kernelINS0_14default_configENS1_38merge_sort_block_merge_config_selectorIiNS0_10empty_typeEEEZZNS1_27merge_sort_block_merge_implIS3_N6thrust23THRUST_200600_302600_NS10device_ptrIiEEPS5_jNS1_19radix_merge_compareILb0ELb0EiNS0_19identity_decomposerEEEEE10hipError_tT0_T1_T2_jT3_P12ihipStream_tbPNSt15iterator_traitsISH_E10value_typeEPNSN_ISI_E10value_typeEPSJ_NS1_7vsmem_tEENKUlT_SH_SI_SJ_E_clISB_PiSC_SC_EESG_SW_SH_SI_SJ_EUlSW_E0_NS1_11comp_targetILNS1_3genE0ELNS1_11target_archE4294967295ELNS1_3gpuE0ELNS1_3repE0EEENS1_38merge_mergepath_config_static_selectorELNS0_4arch9wavefront6targetE0EEEvSI_,"axG",@progbits,_ZN7rocprim17ROCPRIM_400000_NS6detail17trampoline_kernelINS0_14default_configENS1_38merge_sort_block_merge_config_selectorIiNS0_10empty_typeEEEZZNS1_27merge_sort_block_merge_implIS3_N6thrust23THRUST_200600_302600_NS10device_ptrIiEEPS5_jNS1_19radix_merge_compareILb0ELb0EiNS0_19identity_decomposerEEEEE10hipError_tT0_T1_T2_jT3_P12ihipStream_tbPNSt15iterator_traitsISH_E10value_typeEPNSN_ISI_E10value_typeEPSJ_NS1_7vsmem_tEENKUlT_SH_SI_SJ_E_clISB_PiSC_SC_EESG_SW_SH_SI_SJ_EUlSW_E0_NS1_11comp_targetILNS1_3genE0ELNS1_11target_archE4294967295ELNS1_3gpuE0ELNS1_3repE0EEENS1_38merge_mergepath_config_static_selectorELNS0_4arch9wavefront6targetE0EEEvSI_,comdat
	.protected	_ZN7rocprim17ROCPRIM_400000_NS6detail17trampoline_kernelINS0_14default_configENS1_38merge_sort_block_merge_config_selectorIiNS0_10empty_typeEEEZZNS1_27merge_sort_block_merge_implIS3_N6thrust23THRUST_200600_302600_NS10device_ptrIiEEPS5_jNS1_19radix_merge_compareILb0ELb0EiNS0_19identity_decomposerEEEEE10hipError_tT0_T1_T2_jT3_P12ihipStream_tbPNSt15iterator_traitsISH_E10value_typeEPNSN_ISI_E10value_typeEPSJ_NS1_7vsmem_tEENKUlT_SH_SI_SJ_E_clISB_PiSC_SC_EESG_SW_SH_SI_SJ_EUlSW_E0_NS1_11comp_targetILNS1_3genE0ELNS1_11target_archE4294967295ELNS1_3gpuE0ELNS1_3repE0EEENS1_38merge_mergepath_config_static_selectorELNS0_4arch9wavefront6targetE0EEEvSI_ ; -- Begin function _ZN7rocprim17ROCPRIM_400000_NS6detail17trampoline_kernelINS0_14default_configENS1_38merge_sort_block_merge_config_selectorIiNS0_10empty_typeEEEZZNS1_27merge_sort_block_merge_implIS3_N6thrust23THRUST_200600_302600_NS10device_ptrIiEEPS5_jNS1_19radix_merge_compareILb0ELb0EiNS0_19identity_decomposerEEEEE10hipError_tT0_T1_T2_jT3_P12ihipStream_tbPNSt15iterator_traitsISH_E10value_typeEPNSN_ISI_E10value_typeEPSJ_NS1_7vsmem_tEENKUlT_SH_SI_SJ_E_clISB_PiSC_SC_EESG_SW_SH_SI_SJ_EUlSW_E0_NS1_11comp_targetILNS1_3genE0ELNS1_11target_archE4294967295ELNS1_3gpuE0ELNS1_3repE0EEENS1_38merge_mergepath_config_static_selectorELNS0_4arch9wavefront6targetE0EEEvSI_
	.globl	_ZN7rocprim17ROCPRIM_400000_NS6detail17trampoline_kernelINS0_14default_configENS1_38merge_sort_block_merge_config_selectorIiNS0_10empty_typeEEEZZNS1_27merge_sort_block_merge_implIS3_N6thrust23THRUST_200600_302600_NS10device_ptrIiEEPS5_jNS1_19radix_merge_compareILb0ELb0EiNS0_19identity_decomposerEEEEE10hipError_tT0_T1_T2_jT3_P12ihipStream_tbPNSt15iterator_traitsISH_E10value_typeEPNSN_ISI_E10value_typeEPSJ_NS1_7vsmem_tEENKUlT_SH_SI_SJ_E_clISB_PiSC_SC_EESG_SW_SH_SI_SJ_EUlSW_E0_NS1_11comp_targetILNS1_3genE0ELNS1_11target_archE4294967295ELNS1_3gpuE0ELNS1_3repE0EEENS1_38merge_mergepath_config_static_selectorELNS0_4arch9wavefront6targetE0EEEvSI_
	.p2align	8
	.type	_ZN7rocprim17ROCPRIM_400000_NS6detail17trampoline_kernelINS0_14default_configENS1_38merge_sort_block_merge_config_selectorIiNS0_10empty_typeEEEZZNS1_27merge_sort_block_merge_implIS3_N6thrust23THRUST_200600_302600_NS10device_ptrIiEEPS5_jNS1_19radix_merge_compareILb0ELb0EiNS0_19identity_decomposerEEEEE10hipError_tT0_T1_T2_jT3_P12ihipStream_tbPNSt15iterator_traitsISH_E10value_typeEPNSN_ISI_E10value_typeEPSJ_NS1_7vsmem_tEENKUlT_SH_SI_SJ_E_clISB_PiSC_SC_EESG_SW_SH_SI_SJ_EUlSW_E0_NS1_11comp_targetILNS1_3genE0ELNS1_11target_archE4294967295ELNS1_3gpuE0ELNS1_3repE0EEENS1_38merge_mergepath_config_static_selectorELNS0_4arch9wavefront6targetE0EEEvSI_,@function
_ZN7rocprim17ROCPRIM_400000_NS6detail17trampoline_kernelINS0_14default_configENS1_38merge_sort_block_merge_config_selectorIiNS0_10empty_typeEEEZZNS1_27merge_sort_block_merge_implIS3_N6thrust23THRUST_200600_302600_NS10device_ptrIiEEPS5_jNS1_19radix_merge_compareILb0ELb0EiNS0_19identity_decomposerEEEEE10hipError_tT0_T1_T2_jT3_P12ihipStream_tbPNSt15iterator_traitsISH_E10value_typeEPNSN_ISI_E10value_typeEPSJ_NS1_7vsmem_tEENKUlT_SH_SI_SJ_E_clISB_PiSC_SC_EESG_SW_SH_SI_SJ_EUlSW_E0_NS1_11comp_targetILNS1_3genE0ELNS1_11target_archE4294967295ELNS1_3gpuE0ELNS1_3repE0EEENS1_38merge_mergepath_config_static_selectorELNS0_4arch9wavefront6targetE0EEEvSI_: ; @_ZN7rocprim17ROCPRIM_400000_NS6detail17trampoline_kernelINS0_14default_configENS1_38merge_sort_block_merge_config_selectorIiNS0_10empty_typeEEEZZNS1_27merge_sort_block_merge_implIS3_N6thrust23THRUST_200600_302600_NS10device_ptrIiEEPS5_jNS1_19radix_merge_compareILb0ELb0EiNS0_19identity_decomposerEEEEE10hipError_tT0_T1_T2_jT3_P12ihipStream_tbPNSt15iterator_traitsISH_E10value_typeEPNSN_ISI_E10value_typeEPSJ_NS1_7vsmem_tEENKUlT_SH_SI_SJ_E_clISB_PiSC_SC_EESG_SW_SH_SI_SJ_EUlSW_E0_NS1_11comp_targetILNS1_3genE0ELNS1_11target_archE4294967295ELNS1_3gpuE0ELNS1_3repE0EEENS1_38merge_mergepath_config_static_selectorELNS0_4arch9wavefront6targetE0EEEvSI_
; %bb.0:
	.section	.rodata,"a",@progbits
	.p2align	6, 0x0
	.amdhsa_kernel _ZN7rocprim17ROCPRIM_400000_NS6detail17trampoline_kernelINS0_14default_configENS1_38merge_sort_block_merge_config_selectorIiNS0_10empty_typeEEEZZNS1_27merge_sort_block_merge_implIS3_N6thrust23THRUST_200600_302600_NS10device_ptrIiEEPS5_jNS1_19radix_merge_compareILb0ELb0EiNS0_19identity_decomposerEEEEE10hipError_tT0_T1_T2_jT3_P12ihipStream_tbPNSt15iterator_traitsISH_E10value_typeEPNSN_ISI_E10value_typeEPSJ_NS1_7vsmem_tEENKUlT_SH_SI_SJ_E_clISB_PiSC_SC_EESG_SW_SH_SI_SJ_EUlSW_E0_NS1_11comp_targetILNS1_3genE0ELNS1_11target_archE4294967295ELNS1_3gpuE0ELNS1_3repE0EEENS1_38merge_mergepath_config_static_selectorELNS0_4arch9wavefront6targetE0EEEvSI_
		.amdhsa_group_segment_fixed_size 0
		.amdhsa_private_segment_fixed_size 0
		.amdhsa_kernarg_size 64
		.amdhsa_user_sgpr_count 6
		.amdhsa_user_sgpr_private_segment_buffer 1
		.amdhsa_user_sgpr_dispatch_ptr 0
		.amdhsa_user_sgpr_queue_ptr 0
		.amdhsa_user_sgpr_kernarg_segment_ptr 1
		.amdhsa_user_sgpr_dispatch_id 0
		.amdhsa_user_sgpr_flat_scratch_init 0
		.amdhsa_user_sgpr_private_segment_size 0
		.amdhsa_wavefront_size32 1
		.amdhsa_uses_dynamic_stack 0
		.amdhsa_system_sgpr_private_segment_wavefront_offset 0
		.amdhsa_system_sgpr_workgroup_id_x 1
		.amdhsa_system_sgpr_workgroup_id_y 0
		.amdhsa_system_sgpr_workgroup_id_z 0
		.amdhsa_system_sgpr_workgroup_info 0
		.amdhsa_system_vgpr_workitem_id 0
		.amdhsa_next_free_vgpr 1
		.amdhsa_next_free_sgpr 1
		.amdhsa_reserve_vcc 0
		.amdhsa_reserve_flat_scratch 0
		.amdhsa_float_round_mode_32 0
		.amdhsa_float_round_mode_16_64 0
		.amdhsa_float_denorm_mode_32 3
		.amdhsa_float_denorm_mode_16_64 3
		.amdhsa_dx10_clamp 1
		.amdhsa_ieee_mode 1
		.amdhsa_fp16_overflow 0
		.amdhsa_workgroup_processor_mode 1
		.amdhsa_memory_ordered 1
		.amdhsa_forward_progress 1
		.amdhsa_shared_vgpr_count 0
		.amdhsa_exception_fp_ieee_invalid_op 0
		.amdhsa_exception_fp_denorm_src 0
		.amdhsa_exception_fp_ieee_div_zero 0
		.amdhsa_exception_fp_ieee_overflow 0
		.amdhsa_exception_fp_ieee_underflow 0
		.amdhsa_exception_fp_ieee_inexact 0
		.amdhsa_exception_int_div_zero 0
	.end_amdhsa_kernel
	.section	.text._ZN7rocprim17ROCPRIM_400000_NS6detail17trampoline_kernelINS0_14default_configENS1_38merge_sort_block_merge_config_selectorIiNS0_10empty_typeEEEZZNS1_27merge_sort_block_merge_implIS3_N6thrust23THRUST_200600_302600_NS10device_ptrIiEEPS5_jNS1_19radix_merge_compareILb0ELb0EiNS0_19identity_decomposerEEEEE10hipError_tT0_T1_T2_jT3_P12ihipStream_tbPNSt15iterator_traitsISH_E10value_typeEPNSN_ISI_E10value_typeEPSJ_NS1_7vsmem_tEENKUlT_SH_SI_SJ_E_clISB_PiSC_SC_EESG_SW_SH_SI_SJ_EUlSW_E0_NS1_11comp_targetILNS1_3genE0ELNS1_11target_archE4294967295ELNS1_3gpuE0ELNS1_3repE0EEENS1_38merge_mergepath_config_static_selectorELNS0_4arch9wavefront6targetE0EEEvSI_,"axG",@progbits,_ZN7rocprim17ROCPRIM_400000_NS6detail17trampoline_kernelINS0_14default_configENS1_38merge_sort_block_merge_config_selectorIiNS0_10empty_typeEEEZZNS1_27merge_sort_block_merge_implIS3_N6thrust23THRUST_200600_302600_NS10device_ptrIiEEPS5_jNS1_19radix_merge_compareILb0ELb0EiNS0_19identity_decomposerEEEEE10hipError_tT0_T1_T2_jT3_P12ihipStream_tbPNSt15iterator_traitsISH_E10value_typeEPNSN_ISI_E10value_typeEPSJ_NS1_7vsmem_tEENKUlT_SH_SI_SJ_E_clISB_PiSC_SC_EESG_SW_SH_SI_SJ_EUlSW_E0_NS1_11comp_targetILNS1_3genE0ELNS1_11target_archE4294967295ELNS1_3gpuE0ELNS1_3repE0EEENS1_38merge_mergepath_config_static_selectorELNS0_4arch9wavefront6targetE0EEEvSI_,comdat
.Lfunc_end1144:
	.size	_ZN7rocprim17ROCPRIM_400000_NS6detail17trampoline_kernelINS0_14default_configENS1_38merge_sort_block_merge_config_selectorIiNS0_10empty_typeEEEZZNS1_27merge_sort_block_merge_implIS3_N6thrust23THRUST_200600_302600_NS10device_ptrIiEEPS5_jNS1_19radix_merge_compareILb0ELb0EiNS0_19identity_decomposerEEEEE10hipError_tT0_T1_T2_jT3_P12ihipStream_tbPNSt15iterator_traitsISH_E10value_typeEPNSN_ISI_E10value_typeEPSJ_NS1_7vsmem_tEENKUlT_SH_SI_SJ_E_clISB_PiSC_SC_EESG_SW_SH_SI_SJ_EUlSW_E0_NS1_11comp_targetILNS1_3genE0ELNS1_11target_archE4294967295ELNS1_3gpuE0ELNS1_3repE0EEENS1_38merge_mergepath_config_static_selectorELNS0_4arch9wavefront6targetE0EEEvSI_, .Lfunc_end1144-_ZN7rocprim17ROCPRIM_400000_NS6detail17trampoline_kernelINS0_14default_configENS1_38merge_sort_block_merge_config_selectorIiNS0_10empty_typeEEEZZNS1_27merge_sort_block_merge_implIS3_N6thrust23THRUST_200600_302600_NS10device_ptrIiEEPS5_jNS1_19radix_merge_compareILb0ELb0EiNS0_19identity_decomposerEEEEE10hipError_tT0_T1_T2_jT3_P12ihipStream_tbPNSt15iterator_traitsISH_E10value_typeEPNSN_ISI_E10value_typeEPSJ_NS1_7vsmem_tEENKUlT_SH_SI_SJ_E_clISB_PiSC_SC_EESG_SW_SH_SI_SJ_EUlSW_E0_NS1_11comp_targetILNS1_3genE0ELNS1_11target_archE4294967295ELNS1_3gpuE0ELNS1_3repE0EEENS1_38merge_mergepath_config_static_selectorELNS0_4arch9wavefront6targetE0EEEvSI_
                                        ; -- End function
	.set _ZN7rocprim17ROCPRIM_400000_NS6detail17trampoline_kernelINS0_14default_configENS1_38merge_sort_block_merge_config_selectorIiNS0_10empty_typeEEEZZNS1_27merge_sort_block_merge_implIS3_N6thrust23THRUST_200600_302600_NS10device_ptrIiEEPS5_jNS1_19radix_merge_compareILb0ELb0EiNS0_19identity_decomposerEEEEE10hipError_tT0_T1_T2_jT3_P12ihipStream_tbPNSt15iterator_traitsISH_E10value_typeEPNSN_ISI_E10value_typeEPSJ_NS1_7vsmem_tEENKUlT_SH_SI_SJ_E_clISB_PiSC_SC_EESG_SW_SH_SI_SJ_EUlSW_E0_NS1_11comp_targetILNS1_3genE0ELNS1_11target_archE4294967295ELNS1_3gpuE0ELNS1_3repE0EEENS1_38merge_mergepath_config_static_selectorELNS0_4arch9wavefront6targetE0EEEvSI_.num_vgpr, 0
	.set _ZN7rocprim17ROCPRIM_400000_NS6detail17trampoline_kernelINS0_14default_configENS1_38merge_sort_block_merge_config_selectorIiNS0_10empty_typeEEEZZNS1_27merge_sort_block_merge_implIS3_N6thrust23THRUST_200600_302600_NS10device_ptrIiEEPS5_jNS1_19radix_merge_compareILb0ELb0EiNS0_19identity_decomposerEEEEE10hipError_tT0_T1_T2_jT3_P12ihipStream_tbPNSt15iterator_traitsISH_E10value_typeEPNSN_ISI_E10value_typeEPSJ_NS1_7vsmem_tEENKUlT_SH_SI_SJ_E_clISB_PiSC_SC_EESG_SW_SH_SI_SJ_EUlSW_E0_NS1_11comp_targetILNS1_3genE0ELNS1_11target_archE4294967295ELNS1_3gpuE0ELNS1_3repE0EEENS1_38merge_mergepath_config_static_selectorELNS0_4arch9wavefront6targetE0EEEvSI_.num_agpr, 0
	.set _ZN7rocprim17ROCPRIM_400000_NS6detail17trampoline_kernelINS0_14default_configENS1_38merge_sort_block_merge_config_selectorIiNS0_10empty_typeEEEZZNS1_27merge_sort_block_merge_implIS3_N6thrust23THRUST_200600_302600_NS10device_ptrIiEEPS5_jNS1_19radix_merge_compareILb0ELb0EiNS0_19identity_decomposerEEEEE10hipError_tT0_T1_T2_jT3_P12ihipStream_tbPNSt15iterator_traitsISH_E10value_typeEPNSN_ISI_E10value_typeEPSJ_NS1_7vsmem_tEENKUlT_SH_SI_SJ_E_clISB_PiSC_SC_EESG_SW_SH_SI_SJ_EUlSW_E0_NS1_11comp_targetILNS1_3genE0ELNS1_11target_archE4294967295ELNS1_3gpuE0ELNS1_3repE0EEENS1_38merge_mergepath_config_static_selectorELNS0_4arch9wavefront6targetE0EEEvSI_.numbered_sgpr, 0
	.set _ZN7rocprim17ROCPRIM_400000_NS6detail17trampoline_kernelINS0_14default_configENS1_38merge_sort_block_merge_config_selectorIiNS0_10empty_typeEEEZZNS1_27merge_sort_block_merge_implIS3_N6thrust23THRUST_200600_302600_NS10device_ptrIiEEPS5_jNS1_19radix_merge_compareILb0ELb0EiNS0_19identity_decomposerEEEEE10hipError_tT0_T1_T2_jT3_P12ihipStream_tbPNSt15iterator_traitsISH_E10value_typeEPNSN_ISI_E10value_typeEPSJ_NS1_7vsmem_tEENKUlT_SH_SI_SJ_E_clISB_PiSC_SC_EESG_SW_SH_SI_SJ_EUlSW_E0_NS1_11comp_targetILNS1_3genE0ELNS1_11target_archE4294967295ELNS1_3gpuE0ELNS1_3repE0EEENS1_38merge_mergepath_config_static_selectorELNS0_4arch9wavefront6targetE0EEEvSI_.num_named_barrier, 0
	.set _ZN7rocprim17ROCPRIM_400000_NS6detail17trampoline_kernelINS0_14default_configENS1_38merge_sort_block_merge_config_selectorIiNS0_10empty_typeEEEZZNS1_27merge_sort_block_merge_implIS3_N6thrust23THRUST_200600_302600_NS10device_ptrIiEEPS5_jNS1_19radix_merge_compareILb0ELb0EiNS0_19identity_decomposerEEEEE10hipError_tT0_T1_T2_jT3_P12ihipStream_tbPNSt15iterator_traitsISH_E10value_typeEPNSN_ISI_E10value_typeEPSJ_NS1_7vsmem_tEENKUlT_SH_SI_SJ_E_clISB_PiSC_SC_EESG_SW_SH_SI_SJ_EUlSW_E0_NS1_11comp_targetILNS1_3genE0ELNS1_11target_archE4294967295ELNS1_3gpuE0ELNS1_3repE0EEENS1_38merge_mergepath_config_static_selectorELNS0_4arch9wavefront6targetE0EEEvSI_.private_seg_size, 0
	.set _ZN7rocprim17ROCPRIM_400000_NS6detail17trampoline_kernelINS0_14default_configENS1_38merge_sort_block_merge_config_selectorIiNS0_10empty_typeEEEZZNS1_27merge_sort_block_merge_implIS3_N6thrust23THRUST_200600_302600_NS10device_ptrIiEEPS5_jNS1_19radix_merge_compareILb0ELb0EiNS0_19identity_decomposerEEEEE10hipError_tT0_T1_T2_jT3_P12ihipStream_tbPNSt15iterator_traitsISH_E10value_typeEPNSN_ISI_E10value_typeEPSJ_NS1_7vsmem_tEENKUlT_SH_SI_SJ_E_clISB_PiSC_SC_EESG_SW_SH_SI_SJ_EUlSW_E0_NS1_11comp_targetILNS1_3genE0ELNS1_11target_archE4294967295ELNS1_3gpuE0ELNS1_3repE0EEENS1_38merge_mergepath_config_static_selectorELNS0_4arch9wavefront6targetE0EEEvSI_.uses_vcc, 0
	.set _ZN7rocprim17ROCPRIM_400000_NS6detail17trampoline_kernelINS0_14default_configENS1_38merge_sort_block_merge_config_selectorIiNS0_10empty_typeEEEZZNS1_27merge_sort_block_merge_implIS3_N6thrust23THRUST_200600_302600_NS10device_ptrIiEEPS5_jNS1_19radix_merge_compareILb0ELb0EiNS0_19identity_decomposerEEEEE10hipError_tT0_T1_T2_jT3_P12ihipStream_tbPNSt15iterator_traitsISH_E10value_typeEPNSN_ISI_E10value_typeEPSJ_NS1_7vsmem_tEENKUlT_SH_SI_SJ_E_clISB_PiSC_SC_EESG_SW_SH_SI_SJ_EUlSW_E0_NS1_11comp_targetILNS1_3genE0ELNS1_11target_archE4294967295ELNS1_3gpuE0ELNS1_3repE0EEENS1_38merge_mergepath_config_static_selectorELNS0_4arch9wavefront6targetE0EEEvSI_.uses_flat_scratch, 0
	.set _ZN7rocprim17ROCPRIM_400000_NS6detail17trampoline_kernelINS0_14default_configENS1_38merge_sort_block_merge_config_selectorIiNS0_10empty_typeEEEZZNS1_27merge_sort_block_merge_implIS3_N6thrust23THRUST_200600_302600_NS10device_ptrIiEEPS5_jNS1_19radix_merge_compareILb0ELb0EiNS0_19identity_decomposerEEEEE10hipError_tT0_T1_T2_jT3_P12ihipStream_tbPNSt15iterator_traitsISH_E10value_typeEPNSN_ISI_E10value_typeEPSJ_NS1_7vsmem_tEENKUlT_SH_SI_SJ_E_clISB_PiSC_SC_EESG_SW_SH_SI_SJ_EUlSW_E0_NS1_11comp_targetILNS1_3genE0ELNS1_11target_archE4294967295ELNS1_3gpuE0ELNS1_3repE0EEENS1_38merge_mergepath_config_static_selectorELNS0_4arch9wavefront6targetE0EEEvSI_.has_dyn_sized_stack, 0
	.set _ZN7rocprim17ROCPRIM_400000_NS6detail17trampoline_kernelINS0_14default_configENS1_38merge_sort_block_merge_config_selectorIiNS0_10empty_typeEEEZZNS1_27merge_sort_block_merge_implIS3_N6thrust23THRUST_200600_302600_NS10device_ptrIiEEPS5_jNS1_19radix_merge_compareILb0ELb0EiNS0_19identity_decomposerEEEEE10hipError_tT0_T1_T2_jT3_P12ihipStream_tbPNSt15iterator_traitsISH_E10value_typeEPNSN_ISI_E10value_typeEPSJ_NS1_7vsmem_tEENKUlT_SH_SI_SJ_E_clISB_PiSC_SC_EESG_SW_SH_SI_SJ_EUlSW_E0_NS1_11comp_targetILNS1_3genE0ELNS1_11target_archE4294967295ELNS1_3gpuE0ELNS1_3repE0EEENS1_38merge_mergepath_config_static_selectorELNS0_4arch9wavefront6targetE0EEEvSI_.has_recursion, 0
	.set _ZN7rocprim17ROCPRIM_400000_NS6detail17trampoline_kernelINS0_14default_configENS1_38merge_sort_block_merge_config_selectorIiNS0_10empty_typeEEEZZNS1_27merge_sort_block_merge_implIS3_N6thrust23THRUST_200600_302600_NS10device_ptrIiEEPS5_jNS1_19radix_merge_compareILb0ELb0EiNS0_19identity_decomposerEEEEE10hipError_tT0_T1_T2_jT3_P12ihipStream_tbPNSt15iterator_traitsISH_E10value_typeEPNSN_ISI_E10value_typeEPSJ_NS1_7vsmem_tEENKUlT_SH_SI_SJ_E_clISB_PiSC_SC_EESG_SW_SH_SI_SJ_EUlSW_E0_NS1_11comp_targetILNS1_3genE0ELNS1_11target_archE4294967295ELNS1_3gpuE0ELNS1_3repE0EEENS1_38merge_mergepath_config_static_selectorELNS0_4arch9wavefront6targetE0EEEvSI_.has_indirect_call, 0
	.section	.AMDGPU.csdata,"",@progbits
; Kernel info:
; codeLenInByte = 0
; TotalNumSgprs: 0
; NumVgprs: 0
; ScratchSize: 0
; MemoryBound: 0
; FloatMode: 240
; IeeeMode: 1
; LDSByteSize: 0 bytes/workgroup (compile time only)
; SGPRBlocks: 0
; VGPRBlocks: 0
; NumSGPRsForWavesPerEU: 1
; NumVGPRsForWavesPerEU: 1
; Occupancy: 16
; WaveLimiterHint : 0
; COMPUTE_PGM_RSRC2:SCRATCH_EN: 0
; COMPUTE_PGM_RSRC2:USER_SGPR: 6
; COMPUTE_PGM_RSRC2:TRAP_HANDLER: 0
; COMPUTE_PGM_RSRC2:TGID_X_EN: 1
; COMPUTE_PGM_RSRC2:TGID_Y_EN: 0
; COMPUTE_PGM_RSRC2:TGID_Z_EN: 0
; COMPUTE_PGM_RSRC2:TIDIG_COMP_CNT: 0
	.section	.text._ZN7rocprim17ROCPRIM_400000_NS6detail17trampoline_kernelINS0_14default_configENS1_38merge_sort_block_merge_config_selectorIiNS0_10empty_typeEEEZZNS1_27merge_sort_block_merge_implIS3_N6thrust23THRUST_200600_302600_NS10device_ptrIiEEPS5_jNS1_19radix_merge_compareILb0ELb0EiNS0_19identity_decomposerEEEEE10hipError_tT0_T1_T2_jT3_P12ihipStream_tbPNSt15iterator_traitsISH_E10value_typeEPNSN_ISI_E10value_typeEPSJ_NS1_7vsmem_tEENKUlT_SH_SI_SJ_E_clISB_PiSC_SC_EESG_SW_SH_SI_SJ_EUlSW_E0_NS1_11comp_targetILNS1_3genE10ELNS1_11target_archE1201ELNS1_3gpuE5ELNS1_3repE0EEENS1_38merge_mergepath_config_static_selectorELNS0_4arch9wavefront6targetE0EEEvSI_,"axG",@progbits,_ZN7rocprim17ROCPRIM_400000_NS6detail17trampoline_kernelINS0_14default_configENS1_38merge_sort_block_merge_config_selectorIiNS0_10empty_typeEEEZZNS1_27merge_sort_block_merge_implIS3_N6thrust23THRUST_200600_302600_NS10device_ptrIiEEPS5_jNS1_19radix_merge_compareILb0ELb0EiNS0_19identity_decomposerEEEEE10hipError_tT0_T1_T2_jT3_P12ihipStream_tbPNSt15iterator_traitsISH_E10value_typeEPNSN_ISI_E10value_typeEPSJ_NS1_7vsmem_tEENKUlT_SH_SI_SJ_E_clISB_PiSC_SC_EESG_SW_SH_SI_SJ_EUlSW_E0_NS1_11comp_targetILNS1_3genE10ELNS1_11target_archE1201ELNS1_3gpuE5ELNS1_3repE0EEENS1_38merge_mergepath_config_static_selectorELNS0_4arch9wavefront6targetE0EEEvSI_,comdat
	.protected	_ZN7rocprim17ROCPRIM_400000_NS6detail17trampoline_kernelINS0_14default_configENS1_38merge_sort_block_merge_config_selectorIiNS0_10empty_typeEEEZZNS1_27merge_sort_block_merge_implIS3_N6thrust23THRUST_200600_302600_NS10device_ptrIiEEPS5_jNS1_19radix_merge_compareILb0ELb0EiNS0_19identity_decomposerEEEEE10hipError_tT0_T1_T2_jT3_P12ihipStream_tbPNSt15iterator_traitsISH_E10value_typeEPNSN_ISI_E10value_typeEPSJ_NS1_7vsmem_tEENKUlT_SH_SI_SJ_E_clISB_PiSC_SC_EESG_SW_SH_SI_SJ_EUlSW_E0_NS1_11comp_targetILNS1_3genE10ELNS1_11target_archE1201ELNS1_3gpuE5ELNS1_3repE0EEENS1_38merge_mergepath_config_static_selectorELNS0_4arch9wavefront6targetE0EEEvSI_ ; -- Begin function _ZN7rocprim17ROCPRIM_400000_NS6detail17trampoline_kernelINS0_14default_configENS1_38merge_sort_block_merge_config_selectorIiNS0_10empty_typeEEEZZNS1_27merge_sort_block_merge_implIS3_N6thrust23THRUST_200600_302600_NS10device_ptrIiEEPS5_jNS1_19radix_merge_compareILb0ELb0EiNS0_19identity_decomposerEEEEE10hipError_tT0_T1_T2_jT3_P12ihipStream_tbPNSt15iterator_traitsISH_E10value_typeEPNSN_ISI_E10value_typeEPSJ_NS1_7vsmem_tEENKUlT_SH_SI_SJ_E_clISB_PiSC_SC_EESG_SW_SH_SI_SJ_EUlSW_E0_NS1_11comp_targetILNS1_3genE10ELNS1_11target_archE1201ELNS1_3gpuE5ELNS1_3repE0EEENS1_38merge_mergepath_config_static_selectorELNS0_4arch9wavefront6targetE0EEEvSI_
	.globl	_ZN7rocprim17ROCPRIM_400000_NS6detail17trampoline_kernelINS0_14default_configENS1_38merge_sort_block_merge_config_selectorIiNS0_10empty_typeEEEZZNS1_27merge_sort_block_merge_implIS3_N6thrust23THRUST_200600_302600_NS10device_ptrIiEEPS5_jNS1_19radix_merge_compareILb0ELb0EiNS0_19identity_decomposerEEEEE10hipError_tT0_T1_T2_jT3_P12ihipStream_tbPNSt15iterator_traitsISH_E10value_typeEPNSN_ISI_E10value_typeEPSJ_NS1_7vsmem_tEENKUlT_SH_SI_SJ_E_clISB_PiSC_SC_EESG_SW_SH_SI_SJ_EUlSW_E0_NS1_11comp_targetILNS1_3genE10ELNS1_11target_archE1201ELNS1_3gpuE5ELNS1_3repE0EEENS1_38merge_mergepath_config_static_selectorELNS0_4arch9wavefront6targetE0EEEvSI_
	.p2align	8
	.type	_ZN7rocprim17ROCPRIM_400000_NS6detail17trampoline_kernelINS0_14default_configENS1_38merge_sort_block_merge_config_selectorIiNS0_10empty_typeEEEZZNS1_27merge_sort_block_merge_implIS3_N6thrust23THRUST_200600_302600_NS10device_ptrIiEEPS5_jNS1_19radix_merge_compareILb0ELb0EiNS0_19identity_decomposerEEEEE10hipError_tT0_T1_T2_jT3_P12ihipStream_tbPNSt15iterator_traitsISH_E10value_typeEPNSN_ISI_E10value_typeEPSJ_NS1_7vsmem_tEENKUlT_SH_SI_SJ_E_clISB_PiSC_SC_EESG_SW_SH_SI_SJ_EUlSW_E0_NS1_11comp_targetILNS1_3genE10ELNS1_11target_archE1201ELNS1_3gpuE5ELNS1_3repE0EEENS1_38merge_mergepath_config_static_selectorELNS0_4arch9wavefront6targetE0EEEvSI_,@function
_ZN7rocprim17ROCPRIM_400000_NS6detail17trampoline_kernelINS0_14default_configENS1_38merge_sort_block_merge_config_selectorIiNS0_10empty_typeEEEZZNS1_27merge_sort_block_merge_implIS3_N6thrust23THRUST_200600_302600_NS10device_ptrIiEEPS5_jNS1_19radix_merge_compareILb0ELb0EiNS0_19identity_decomposerEEEEE10hipError_tT0_T1_T2_jT3_P12ihipStream_tbPNSt15iterator_traitsISH_E10value_typeEPNSN_ISI_E10value_typeEPSJ_NS1_7vsmem_tEENKUlT_SH_SI_SJ_E_clISB_PiSC_SC_EESG_SW_SH_SI_SJ_EUlSW_E0_NS1_11comp_targetILNS1_3genE10ELNS1_11target_archE1201ELNS1_3gpuE5ELNS1_3repE0EEENS1_38merge_mergepath_config_static_selectorELNS0_4arch9wavefront6targetE0EEEvSI_: ; @_ZN7rocprim17ROCPRIM_400000_NS6detail17trampoline_kernelINS0_14default_configENS1_38merge_sort_block_merge_config_selectorIiNS0_10empty_typeEEEZZNS1_27merge_sort_block_merge_implIS3_N6thrust23THRUST_200600_302600_NS10device_ptrIiEEPS5_jNS1_19radix_merge_compareILb0ELb0EiNS0_19identity_decomposerEEEEE10hipError_tT0_T1_T2_jT3_P12ihipStream_tbPNSt15iterator_traitsISH_E10value_typeEPNSN_ISI_E10value_typeEPSJ_NS1_7vsmem_tEENKUlT_SH_SI_SJ_E_clISB_PiSC_SC_EESG_SW_SH_SI_SJ_EUlSW_E0_NS1_11comp_targetILNS1_3genE10ELNS1_11target_archE1201ELNS1_3gpuE5ELNS1_3repE0EEENS1_38merge_mergepath_config_static_selectorELNS0_4arch9wavefront6targetE0EEEvSI_
; %bb.0:
	.section	.rodata,"a",@progbits
	.p2align	6, 0x0
	.amdhsa_kernel _ZN7rocprim17ROCPRIM_400000_NS6detail17trampoline_kernelINS0_14default_configENS1_38merge_sort_block_merge_config_selectorIiNS0_10empty_typeEEEZZNS1_27merge_sort_block_merge_implIS3_N6thrust23THRUST_200600_302600_NS10device_ptrIiEEPS5_jNS1_19radix_merge_compareILb0ELb0EiNS0_19identity_decomposerEEEEE10hipError_tT0_T1_T2_jT3_P12ihipStream_tbPNSt15iterator_traitsISH_E10value_typeEPNSN_ISI_E10value_typeEPSJ_NS1_7vsmem_tEENKUlT_SH_SI_SJ_E_clISB_PiSC_SC_EESG_SW_SH_SI_SJ_EUlSW_E0_NS1_11comp_targetILNS1_3genE10ELNS1_11target_archE1201ELNS1_3gpuE5ELNS1_3repE0EEENS1_38merge_mergepath_config_static_selectorELNS0_4arch9wavefront6targetE0EEEvSI_
		.amdhsa_group_segment_fixed_size 0
		.amdhsa_private_segment_fixed_size 0
		.amdhsa_kernarg_size 64
		.amdhsa_user_sgpr_count 6
		.amdhsa_user_sgpr_private_segment_buffer 1
		.amdhsa_user_sgpr_dispatch_ptr 0
		.amdhsa_user_sgpr_queue_ptr 0
		.amdhsa_user_sgpr_kernarg_segment_ptr 1
		.amdhsa_user_sgpr_dispatch_id 0
		.amdhsa_user_sgpr_flat_scratch_init 0
		.amdhsa_user_sgpr_private_segment_size 0
		.amdhsa_wavefront_size32 1
		.amdhsa_uses_dynamic_stack 0
		.amdhsa_system_sgpr_private_segment_wavefront_offset 0
		.amdhsa_system_sgpr_workgroup_id_x 1
		.amdhsa_system_sgpr_workgroup_id_y 0
		.amdhsa_system_sgpr_workgroup_id_z 0
		.amdhsa_system_sgpr_workgroup_info 0
		.amdhsa_system_vgpr_workitem_id 0
		.amdhsa_next_free_vgpr 1
		.amdhsa_next_free_sgpr 1
		.amdhsa_reserve_vcc 0
		.amdhsa_reserve_flat_scratch 0
		.amdhsa_float_round_mode_32 0
		.amdhsa_float_round_mode_16_64 0
		.amdhsa_float_denorm_mode_32 3
		.amdhsa_float_denorm_mode_16_64 3
		.amdhsa_dx10_clamp 1
		.amdhsa_ieee_mode 1
		.amdhsa_fp16_overflow 0
		.amdhsa_workgroup_processor_mode 1
		.amdhsa_memory_ordered 1
		.amdhsa_forward_progress 1
		.amdhsa_shared_vgpr_count 0
		.amdhsa_exception_fp_ieee_invalid_op 0
		.amdhsa_exception_fp_denorm_src 0
		.amdhsa_exception_fp_ieee_div_zero 0
		.amdhsa_exception_fp_ieee_overflow 0
		.amdhsa_exception_fp_ieee_underflow 0
		.amdhsa_exception_fp_ieee_inexact 0
		.amdhsa_exception_int_div_zero 0
	.end_amdhsa_kernel
	.section	.text._ZN7rocprim17ROCPRIM_400000_NS6detail17trampoline_kernelINS0_14default_configENS1_38merge_sort_block_merge_config_selectorIiNS0_10empty_typeEEEZZNS1_27merge_sort_block_merge_implIS3_N6thrust23THRUST_200600_302600_NS10device_ptrIiEEPS5_jNS1_19radix_merge_compareILb0ELb0EiNS0_19identity_decomposerEEEEE10hipError_tT0_T1_T2_jT3_P12ihipStream_tbPNSt15iterator_traitsISH_E10value_typeEPNSN_ISI_E10value_typeEPSJ_NS1_7vsmem_tEENKUlT_SH_SI_SJ_E_clISB_PiSC_SC_EESG_SW_SH_SI_SJ_EUlSW_E0_NS1_11comp_targetILNS1_3genE10ELNS1_11target_archE1201ELNS1_3gpuE5ELNS1_3repE0EEENS1_38merge_mergepath_config_static_selectorELNS0_4arch9wavefront6targetE0EEEvSI_,"axG",@progbits,_ZN7rocprim17ROCPRIM_400000_NS6detail17trampoline_kernelINS0_14default_configENS1_38merge_sort_block_merge_config_selectorIiNS0_10empty_typeEEEZZNS1_27merge_sort_block_merge_implIS3_N6thrust23THRUST_200600_302600_NS10device_ptrIiEEPS5_jNS1_19radix_merge_compareILb0ELb0EiNS0_19identity_decomposerEEEEE10hipError_tT0_T1_T2_jT3_P12ihipStream_tbPNSt15iterator_traitsISH_E10value_typeEPNSN_ISI_E10value_typeEPSJ_NS1_7vsmem_tEENKUlT_SH_SI_SJ_E_clISB_PiSC_SC_EESG_SW_SH_SI_SJ_EUlSW_E0_NS1_11comp_targetILNS1_3genE10ELNS1_11target_archE1201ELNS1_3gpuE5ELNS1_3repE0EEENS1_38merge_mergepath_config_static_selectorELNS0_4arch9wavefront6targetE0EEEvSI_,comdat
.Lfunc_end1145:
	.size	_ZN7rocprim17ROCPRIM_400000_NS6detail17trampoline_kernelINS0_14default_configENS1_38merge_sort_block_merge_config_selectorIiNS0_10empty_typeEEEZZNS1_27merge_sort_block_merge_implIS3_N6thrust23THRUST_200600_302600_NS10device_ptrIiEEPS5_jNS1_19radix_merge_compareILb0ELb0EiNS0_19identity_decomposerEEEEE10hipError_tT0_T1_T2_jT3_P12ihipStream_tbPNSt15iterator_traitsISH_E10value_typeEPNSN_ISI_E10value_typeEPSJ_NS1_7vsmem_tEENKUlT_SH_SI_SJ_E_clISB_PiSC_SC_EESG_SW_SH_SI_SJ_EUlSW_E0_NS1_11comp_targetILNS1_3genE10ELNS1_11target_archE1201ELNS1_3gpuE5ELNS1_3repE0EEENS1_38merge_mergepath_config_static_selectorELNS0_4arch9wavefront6targetE0EEEvSI_, .Lfunc_end1145-_ZN7rocprim17ROCPRIM_400000_NS6detail17trampoline_kernelINS0_14default_configENS1_38merge_sort_block_merge_config_selectorIiNS0_10empty_typeEEEZZNS1_27merge_sort_block_merge_implIS3_N6thrust23THRUST_200600_302600_NS10device_ptrIiEEPS5_jNS1_19radix_merge_compareILb0ELb0EiNS0_19identity_decomposerEEEEE10hipError_tT0_T1_T2_jT3_P12ihipStream_tbPNSt15iterator_traitsISH_E10value_typeEPNSN_ISI_E10value_typeEPSJ_NS1_7vsmem_tEENKUlT_SH_SI_SJ_E_clISB_PiSC_SC_EESG_SW_SH_SI_SJ_EUlSW_E0_NS1_11comp_targetILNS1_3genE10ELNS1_11target_archE1201ELNS1_3gpuE5ELNS1_3repE0EEENS1_38merge_mergepath_config_static_selectorELNS0_4arch9wavefront6targetE0EEEvSI_
                                        ; -- End function
	.set _ZN7rocprim17ROCPRIM_400000_NS6detail17trampoline_kernelINS0_14default_configENS1_38merge_sort_block_merge_config_selectorIiNS0_10empty_typeEEEZZNS1_27merge_sort_block_merge_implIS3_N6thrust23THRUST_200600_302600_NS10device_ptrIiEEPS5_jNS1_19radix_merge_compareILb0ELb0EiNS0_19identity_decomposerEEEEE10hipError_tT0_T1_T2_jT3_P12ihipStream_tbPNSt15iterator_traitsISH_E10value_typeEPNSN_ISI_E10value_typeEPSJ_NS1_7vsmem_tEENKUlT_SH_SI_SJ_E_clISB_PiSC_SC_EESG_SW_SH_SI_SJ_EUlSW_E0_NS1_11comp_targetILNS1_3genE10ELNS1_11target_archE1201ELNS1_3gpuE5ELNS1_3repE0EEENS1_38merge_mergepath_config_static_selectorELNS0_4arch9wavefront6targetE0EEEvSI_.num_vgpr, 0
	.set _ZN7rocprim17ROCPRIM_400000_NS6detail17trampoline_kernelINS0_14default_configENS1_38merge_sort_block_merge_config_selectorIiNS0_10empty_typeEEEZZNS1_27merge_sort_block_merge_implIS3_N6thrust23THRUST_200600_302600_NS10device_ptrIiEEPS5_jNS1_19radix_merge_compareILb0ELb0EiNS0_19identity_decomposerEEEEE10hipError_tT0_T1_T2_jT3_P12ihipStream_tbPNSt15iterator_traitsISH_E10value_typeEPNSN_ISI_E10value_typeEPSJ_NS1_7vsmem_tEENKUlT_SH_SI_SJ_E_clISB_PiSC_SC_EESG_SW_SH_SI_SJ_EUlSW_E0_NS1_11comp_targetILNS1_3genE10ELNS1_11target_archE1201ELNS1_3gpuE5ELNS1_3repE0EEENS1_38merge_mergepath_config_static_selectorELNS0_4arch9wavefront6targetE0EEEvSI_.num_agpr, 0
	.set _ZN7rocprim17ROCPRIM_400000_NS6detail17trampoline_kernelINS0_14default_configENS1_38merge_sort_block_merge_config_selectorIiNS0_10empty_typeEEEZZNS1_27merge_sort_block_merge_implIS3_N6thrust23THRUST_200600_302600_NS10device_ptrIiEEPS5_jNS1_19radix_merge_compareILb0ELb0EiNS0_19identity_decomposerEEEEE10hipError_tT0_T1_T2_jT3_P12ihipStream_tbPNSt15iterator_traitsISH_E10value_typeEPNSN_ISI_E10value_typeEPSJ_NS1_7vsmem_tEENKUlT_SH_SI_SJ_E_clISB_PiSC_SC_EESG_SW_SH_SI_SJ_EUlSW_E0_NS1_11comp_targetILNS1_3genE10ELNS1_11target_archE1201ELNS1_3gpuE5ELNS1_3repE0EEENS1_38merge_mergepath_config_static_selectorELNS0_4arch9wavefront6targetE0EEEvSI_.numbered_sgpr, 0
	.set _ZN7rocprim17ROCPRIM_400000_NS6detail17trampoline_kernelINS0_14default_configENS1_38merge_sort_block_merge_config_selectorIiNS0_10empty_typeEEEZZNS1_27merge_sort_block_merge_implIS3_N6thrust23THRUST_200600_302600_NS10device_ptrIiEEPS5_jNS1_19radix_merge_compareILb0ELb0EiNS0_19identity_decomposerEEEEE10hipError_tT0_T1_T2_jT3_P12ihipStream_tbPNSt15iterator_traitsISH_E10value_typeEPNSN_ISI_E10value_typeEPSJ_NS1_7vsmem_tEENKUlT_SH_SI_SJ_E_clISB_PiSC_SC_EESG_SW_SH_SI_SJ_EUlSW_E0_NS1_11comp_targetILNS1_3genE10ELNS1_11target_archE1201ELNS1_3gpuE5ELNS1_3repE0EEENS1_38merge_mergepath_config_static_selectorELNS0_4arch9wavefront6targetE0EEEvSI_.num_named_barrier, 0
	.set _ZN7rocprim17ROCPRIM_400000_NS6detail17trampoline_kernelINS0_14default_configENS1_38merge_sort_block_merge_config_selectorIiNS0_10empty_typeEEEZZNS1_27merge_sort_block_merge_implIS3_N6thrust23THRUST_200600_302600_NS10device_ptrIiEEPS5_jNS1_19radix_merge_compareILb0ELb0EiNS0_19identity_decomposerEEEEE10hipError_tT0_T1_T2_jT3_P12ihipStream_tbPNSt15iterator_traitsISH_E10value_typeEPNSN_ISI_E10value_typeEPSJ_NS1_7vsmem_tEENKUlT_SH_SI_SJ_E_clISB_PiSC_SC_EESG_SW_SH_SI_SJ_EUlSW_E0_NS1_11comp_targetILNS1_3genE10ELNS1_11target_archE1201ELNS1_3gpuE5ELNS1_3repE0EEENS1_38merge_mergepath_config_static_selectorELNS0_4arch9wavefront6targetE0EEEvSI_.private_seg_size, 0
	.set _ZN7rocprim17ROCPRIM_400000_NS6detail17trampoline_kernelINS0_14default_configENS1_38merge_sort_block_merge_config_selectorIiNS0_10empty_typeEEEZZNS1_27merge_sort_block_merge_implIS3_N6thrust23THRUST_200600_302600_NS10device_ptrIiEEPS5_jNS1_19radix_merge_compareILb0ELb0EiNS0_19identity_decomposerEEEEE10hipError_tT0_T1_T2_jT3_P12ihipStream_tbPNSt15iterator_traitsISH_E10value_typeEPNSN_ISI_E10value_typeEPSJ_NS1_7vsmem_tEENKUlT_SH_SI_SJ_E_clISB_PiSC_SC_EESG_SW_SH_SI_SJ_EUlSW_E0_NS1_11comp_targetILNS1_3genE10ELNS1_11target_archE1201ELNS1_3gpuE5ELNS1_3repE0EEENS1_38merge_mergepath_config_static_selectorELNS0_4arch9wavefront6targetE0EEEvSI_.uses_vcc, 0
	.set _ZN7rocprim17ROCPRIM_400000_NS6detail17trampoline_kernelINS0_14default_configENS1_38merge_sort_block_merge_config_selectorIiNS0_10empty_typeEEEZZNS1_27merge_sort_block_merge_implIS3_N6thrust23THRUST_200600_302600_NS10device_ptrIiEEPS5_jNS1_19radix_merge_compareILb0ELb0EiNS0_19identity_decomposerEEEEE10hipError_tT0_T1_T2_jT3_P12ihipStream_tbPNSt15iterator_traitsISH_E10value_typeEPNSN_ISI_E10value_typeEPSJ_NS1_7vsmem_tEENKUlT_SH_SI_SJ_E_clISB_PiSC_SC_EESG_SW_SH_SI_SJ_EUlSW_E0_NS1_11comp_targetILNS1_3genE10ELNS1_11target_archE1201ELNS1_3gpuE5ELNS1_3repE0EEENS1_38merge_mergepath_config_static_selectorELNS0_4arch9wavefront6targetE0EEEvSI_.uses_flat_scratch, 0
	.set _ZN7rocprim17ROCPRIM_400000_NS6detail17trampoline_kernelINS0_14default_configENS1_38merge_sort_block_merge_config_selectorIiNS0_10empty_typeEEEZZNS1_27merge_sort_block_merge_implIS3_N6thrust23THRUST_200600_302600_NS10device_ptrIiEEPS5_jNS1_19radix_merge_compareILb0ELb0EiNS0_19identity_decomposerEEEEE10hipError_tT0_T1_T2_jT3_P12ihipStream_tbPNSt15iterator_traitsISH_E10value_typeEPNSN_ISI_E10value_typeEPSJ_NS1_7vsmem_tEENKUlT_SH_SI_SJ_E_clISB_PiSC_SC_EESG_SW_SH_SI_SJ_EUlSW_E0_NS1_11comp_targetILNS1_3genE10ELNS1_11target_archE1201ELNS1_3gpuE5ELNS1_3repE0EEENS1_38merge_mergepath_config_static_selectorELNS0_4arch9wavefront6targetE0EEEvSI_.has_dyn_sized_stack, 0
	.set _ZN7rocprim17ROCPRIM_400000_NS6detail17trampoline_kernelINS0_14default_configENS1_38merge_sort_block_merge_config_selectorIiNS0_10empty_typeEEEZZNS1_27merge_sort_block_merge_implIS3_N6thrust23THRUST_200600_302600_NS10device_ptrIiEEPS5_jNS1_19radix_merge_compareILb0ELb0EiNS0_19identity_decomposerEEEEE10hipError_tT0_T1_T2_jT3_P12ihipStream_tbPNSt15iterator_traitsISH_E10value_typeEPNSN_ISI_E10value_typeEPSJ_NS1_7vsmem_tEENKUlT_SH_SI_SJ_E_clISB_PiSC_SC_EESG_SW_SH_SI_SJ_EUlSW_E0_NS1_11comp_targetILNS1_3genE10ELNS1_11target_archE1201ELNS1_3gpuE5ELNS1_3repE0EEENS1_38merge_mergepath_config_static_selectorELNS0_4arch9wavefront6targetE0EEEvSI_.has_recursion, 0
	.set _ZN7rocprim17ROCPRIM_400000_NS6detail17trampoline_kernelINS0_14default_configENS1_38merge_sort_block_merge_config_selectorIiNS0_10empty_typeEEEZZNS1_27merge_sort_block_merge_implIS3_N6thrust23THRUST_200600_302600_NS10device_ptrIiEEPS5_jNS1_19radix_merge_compareILb0ELb0EiNS0_19identity_decomposerEEEEE10hipError_tT0_T1_T2_jT3_P12ihipStream_tbPNSt15iterator_traitsISH_E10value_typeEPNSN_ISI_E10value_typeEPSJ_NS1_7vsmem_tEENKUlT_SH_SI_SJ_E_clISB_PiSC_SC_EESG_SW_SH_SI_SJ_EUlSW_E0_NS1_11comp_targetILNS1_3genE10ELNS1_11target_archE1201ELNS1_3gpuE5ELNS1_3repE0EEENS1_38merge_mergepath_config_static_selectorELNS0_4arch9wavefront6targetE0EEEvSI_.has_indirect_call, 0
	.section	.AMDGPU.csdata,"",@progbits
; Kernel info:
; codeLenInByte = 0
; TotalNumSgprs: 0
; NumVgprs: 0
; ScratchSize: 0
; MemoryBound: 0
; FloatMode: 240
; IeeeMode: 1
; LDSByteSize: 0 bytes/workgroup (compile time only)
; SGPRBlocks: 0
; VGPRBlocks: 0
; NumSGPRsForWavesPerEU: 1
; NumVGPRsForWavesPerEU: 1
; Occupancy: 16
; WaveLimiterHint : 0
; COMPUTE_PGM_RSRC2:SCRATCH_EN: 0
; COMPUTE_PGM_RSRC2:USER_SGPR: 6
; COMPUTE_PGM_RSRC2:TRAP_HANDLER: 0
; COMPUTE_PGM_RSRC2:TGID_X_EN: 1
; COMPUTE_PGM_RSRC2:TGID_Y_EN: 0
; COMPUTE_PGM_RSRC2:TGID_Z_EN: 0
; COMPUTE_PGM_RSRC2:TIDIG_COMP_CNT: 0
	.section	.text._ZN7rocprim17ROCPRIM_400000_NS6detail17trampoline_kernelINS0_14default_configENS1_38merge_sort_block_merge_config_selectorIiNS0_10empty_typeEEEZZNS1_27merge_sort_block_merge_implIS3_N6thrust23THRUST_200600_302600_NS10device_ptrIiEEPS5_jNS1_19radix_merge_compareILb0ELb0EiNS0_19identity_decomposerEEEEE10hipError_tT0_T1_T2_jT3_P12ihipStream_tbPNSt15iterator_traitsISH_E10value_typeEPNSN_ISI_E10value_typeEPSJ_NS1_7vsmem_tEENKUlT_SH_SI_SJ_E_clISB_PiSC_SC_EESG_SW_SH_SI_SJ_EUlSW_E0_NS1_11comp_targetILNS1_3genE5ELNS1_11target_archE942ELNS1_3gpuE9ELNS1_3repE0EEENS1_38merge_mergepath_config_static_selectorELNS0_4arch9wavefront6targetE0EEEvSI_,"axG",@progbits,_ZN7rocprim17ROCPRIM_400000_NS6detail17trampoline_kernelINS0_14default_configENS1_38merge_sort_block_merge_config_selectorIiNS0_10empty_typeEEEZZNS1_27merge_sort_block_merge_implIS3_N6thrust23THRUST_200600_302600_NS10device_ptrIiEEPS5_jNS1_19radix_merge_compareILb0ELb0EiNS0_19identity_decomposerEEEEE10hipError_tT0_T1_T2_jT3_P12ihipStream_tbPNSt15iterator_traitsISH_E10value_typeEPNSN_ISI_E10value_typeEPSJ_NS1_7vsmem_tEENKUlT_SH_SI_SJ_E_clISB_PiSC_SC_EESG_SW_SH_SI_SJ_EUlSW_E0_NS1_11comp_targetILNS1_3genE5ELNS1_11target_archE942ELNS1_3gpuE9ELNS1_3repE0EEENS1_38merge_mergepath_config_static_selectorELNS0_4arch9wavefront6targetE0EEEvSI_,comdat
	.protected	_ZN7rocprim17ROCPRIM_400000_NS6detail17trampoline_kernelINS0_14default_configENS1_38merge_sort_block_merge_config_selectorIiNS0_10empty_typeEEEZZNS1_27merge_sort_block_merge_implIS3_N6thrust23THRUST_200600_302600_NS10device_ptrIiEEPS5_jNS1_19radix_merge_compareILb0ELb0EiNS0_19identity_decomposerEEEEE10hipError_tT0_T1_T2_jT3_P12ihipStream_tbPNSt15iterator_traitsISH_E10value_typeEPNSN_ISI_E10value_typeEPSJ_NS1_7vsmem_tEENKUlT_SH_SI_SJ_E_clISB_PiSC_SC_EESG_SW_SH_SI_SJ_EUlSW_E0_NS1_11comp_targetILNS1_3genE5ELNS1_11target_archE942ELNS1_3gpuE9ELNS1_3repE0EEENS1_38merge_mergepath_config_static_selectorELNS0_4arch9wavefront6targetE0EEEvSI_ ; -- Begin function _ZN7rocprim17ROCPRIM_400000_NS6detail17trampoline_kernelINS0_14default_configENS1_38merge_sort_block_merge_config_selectorIiNS0_10empty_typeEEEZZNS1_27merge_sort_block_merge_implIS3_N6thrust23THRUST_200600_302600_NS10device_ptrIiEEPS5_jNS1_19radix_merge_compareILb0ELb0EiNS0_19identity_decomposerEEEEE10hipError_tT0_T1_T2_jT3_P12ihipStream_tbPNSt15iterator_traitsISH_E10value_typeEPNSN_ISI_E10value_typeEPSJ_NS1_7vsmem_tEENKUlT_SH_SI_SJ_E_clISB_PiSC_SC_EESG_SW_SH_SI_SJ_EUlSW_E0_NS1_11comp_targetILNS1_3genE5ELNS1_11target_archE942ELNS1_3gpuE9ELNS1_3repE0EEENS1_38merge_mergepath_config_static_selectorELNS0_4arch9wavefront6targetE0EEEvSI_
	.globl	_ZN7rocprim17ROCPRIM_400000_NS6detail17trampoline_kernelINS0_14default_configENS1_38merge_sort_block_merge_config_selectorIiNS0_10empty_typeEEEZZNS1_27merge_sort_block_merge_implIS3_N6thrust23THRUST_200600_302600_NS10device_ptrIiEEPS5_jNS1_19radix_merge_compareILb0ELb0EiNS0_19identity_decomposerEEEEE10hipError_tT0_T1_T2_jT3_P12ihipStream_tbPNSt15iterator_traitsISH_E10value_typeEPNSN_ISI_E10value_typeEPSJ_NS1_7vsmem_tEENKUlT_SH_SI_SJ_E_clISB_PiSC_SC_EESG_SW_SH_SI_SJ_EUlSW_E0_NS1_11comp_targetILNS1_3genE5ELNS1_11target_archE942ELNS1_3gpuE9ELNS1_3repE0EEENS1_38merge_mergepath_config_static_selectorELNS0_4arch9wavefront6targetE0EEEvSI_
	.p2align	8
	.type	_ZN7rocprim17ROCPRIM_400000_NS6detail17trampoline_kernelINS0_14default_configENS1_38merge_sort_block_merge_config_selectorIiNS0_10empty_typeEEEZZNS1_27merge_sort_block_merge_implIS3_N6thrust23THRUST_200600_302600_NS10device_ptrIiEEPS5_jNS1_19radix_merge_compareILb0ELb0EiNS0_19identity_decomposerEEEEE10hipError_tT0_T1_T2_jT3_P12ihipStream_tbPNSt15iterator_traitsISH_E10value_typeEPNSN_ISI_E10value_typeEPSJ_NS1_7vsmem_tEENKUlT_SH_SI_SJ_E_clISB_PiSC_SC_EESG_SW_SH_SI_SJ_EUlSW_E0_NS1_11comp_targetILNS1_3genE5ELNS1_11target_archE942ELNS1_3gpuE9ELNS1_3repE0EEENS1_38merge_mergepath_config_static_selectorELNS0_4arch9wavefront6targetE0EEEvSI_,@function
_ZN7rocprim17ROCPRIM_400000_NS6detail17trampoline_kernelINS0_14default_configENS1_38merge_sort_block_merge_config_selectorIiNS0_10empty_typeEEEZZNS1_27merge_sort_block_merge_implIS3_N6thrust23THRUST_200600_302600_NS10device_ptrIiEEPS5_jNS1_19radix_merge_compareILb0ELb0EiNS0_19identity_decomposerEEEEE10hipError_tT0_T1_T2_jT3_P12ihipStream_tbPNSt15iterator_traitsISH_E10value_typeEPNSN_ISI_E10value_typeEPSJ_NS1_7vsmem_tEENKUlT_SH_SI_SJ_E_clISB_PiSC_SC_EESG_SW_SH_SI_SJ_EUlSW_E0_NS1_11comp_targetILNS1_3genE5ELNS1_11target_archE942ELNS1_3gpuE9ELNS1_3repE0EEENS1_38merge_mergepath_config_static_selectorELNS0_4arch9wavefront6targetE0EEEvSI_: ; @_ZN7rocprim17ROCPRIM_400000_NS6detail17trampoline_kernelINS0_14default_configENS1_38merge_sort_block_merge_config_selectorIiNS0_10empty_typeEEEZZNS1_27merge_sort_block_merge_implIS3_N6thrust23THRUST_200600_302600_NS10device_ptrIiEEPS5_jNS1_19radix_merge_compareILb0ELb0EiNS0_19identity_decomposerEEEEE10hipError_tT0_T1_T2_jT3_P12ihipStream_tbPNSt15iterator_traitsISH_E10value_typeEPNSN_ISI_E10value_typeEPSJ_NS1_7vsmem_tEENKUlT_SH_SI_SJ_E_clISB_PiSC_SC_EESG_SW_SH_SI_SJ_EUlSW_E0_NS1_11comp_targetILNS1_3genE5ELNS1_11target_archE942ELNS1_3gpuE9ELNS1_3repE0EEENS1_38merge_mergepath_config_static_selectorELNS0_4arch9wavefront6targetE0EEEvSI_
; %bb.0:
	.section	.rodata,"a",@progbits
	.p2align	6, 0x0
	.amdhsa_kernel _ZN7rocprim17ROCPRIM_400000_NS6detail17trampoline_kernelINS0_14default_configENS1_38merge_sort_block_merge_config_selectorIiNS0_10empty_typeEEEZZNS1_27merge_sort_block_merge_implIS3_N6thrust23THRUST_200600_302600_NS10device_ptrIiEEPS5_jNS1_19radix_merge_compareILb0ELb0EiNS0_19identity_decomposerEEEEE10hipError_tT0_T1_T2_jT3_P12ihipStream_tbPNSt15iterator_traitsISH_E10value_typeEPNSN_ISI_E10value_typeEPSJ_NS1_7vsmem_tEENKUlT_SH_SI_SJ_E_clISB_PiSC_SC_EESG_SW_SH_SI_SJ_EUlSW_E0_NS1_11comp_targetILNS1_3genE5ELNS1_11target_archE942ELNS1_3gpuE9ELNS1_3repE0EEENS1_38merge_mergepath_config_static_selectorELNS0_4arch9wavefront6targetE0EEEvSI_
		.amdhsa_group_segment_fixed_size 0
		.amdhsa_private_segment_fixed_size 0
		.amdhsa_kernarg_size 64
		.amdhsa_user_sgpr_count 6
		.amdhsa_user_sgpr_private_segment_buffer 1
		.amdhsa_user_sgpr_dispatch_ptr 0
		.amdhsa_user_sgpr_queue_ptr 0
		.amdhsa_user_sgpr_kernarg_segment_ptr 1
		.amdhsa_user_sgpr_dispatch_id 0
		.amdhsa_user_sgpr_flat_scratch_init 0
		.amdhsa_user_sgpr_private_segment_size 0
		.amdhsa_wavefront_size32 1
		.amdhsa_uses_dynamic_stack 0
		.amdhsa_system_sgpr_private_segment_wavefront_offset 0
		.amdhsa_system_sgpr_workgroup_id_x 1
		.amdhsa_system_sgpr_workgroup_id_y 0
		.amdhsa_system_sgpr_workgroup_id_z 0
		.amdhsa_system_sgpr_workgroup_info 0
		.amdhsa_system_vgpr_workitem_id 0
		.amdhsa_next_free_vgpr 1
		.amdhsa_next_free_sgpr 1
		.amdhsa_reserve_vcc 0
		.amdhsa_reserve_flat_scratch 0
		.amdhsa_float_round_mode_32 0
		.amdhsa_float_round_mode_16_64 0
		.amdhsa_float_denorm_mode_32 3
		.amdhsa_float_denorm_mode_16_64 3
		.amdhsa_dx10_clamp 1
		.amdhsa_ieee_mode 1
		.amdhsa_fp16_overflow 0
		.amdhsa_workgroup_processor_mode 1
		.amdhsa_memory_ordered 1
		.amdhsa_forward_progress 1
		.amdhsa_shared_vgpr_count 0
		.amdhsa_exception_fp_ieee_invalid_op 0
		.amdhsa_exception_fp_denorm_src 0
		.amdhsa_exception_fp_ieee_div_zero 0
		.amdhsa_exception_fp_ieee_overflow 0
		.amdhsa_exception_fp_ieee_underflow 0
		.amdhsa_exception_fp_ieee_inexact 0
		.amdhsa_exception_int_div_zero 0
	.end_amdhsa_kernel
	.section	.text._ZN7rocprim17ROCPRIM_400000_NS6detail17trampoline_kernelINS0_14default_configENS1_38merge_sort_block_merge_config_selectorIiNS0_10empty_typeEEEZZNS1_27merge_sort_block_merge_implIS3_N6thrust23THRUST_200600_302600_NS10device_ptrIiEEPS5_jNS1_19radix_merge_compareILb0ELb0EiNS0_19identity_decomposerEEEEE10hipError_tT0_T1_T2_jT3_P12ihipStream_tbPNSt15iterator_traitsISH_E10value_typeEPNSN_ISI_E10value_typeEPSJ_NS1_7vsmem_tEENKUlT_SH_SI_SJ_E_clISB_PiSC_SC_EESG_SW_SH_SI_SJ_EUlSW_E0_NS1_11comp_targetILNS1_3genE5ELNS1_11target_archE942ELNS1_3gpuE9ELNS1_3repE0EEENS1_38merge_mergepath_config_static_selectorELNS0_4arch9wavefront6targetE0EEEvSI_,"axG",@progbits,_ZN7rocprim17ROCPRIM_400000_NS6detail17trampoline_kernelINS0_14default_configENS1_38merge_sort_block_merge_config_selectorIiNS0_10empty_typeEEEZZNS1_27merge_sort_block_merge_implIS3_N6thrust23THRUST_200600_302600_NS10device_ptrIiEEPS5_jNS1_19radix_merge_compareILb0ELb0EiNS0_19identity_decomposerEEEEE10hipError_tT0_T1_T2_jT3_P12ihipStream_tbPNSt15iterator_traitsISH_E10value_typeEPNSN_ISI_E10value_typeEPSJ_NS1_7vsmem_tEENKUlT_SH_SI_SJ_E_clISB_PiSC_SC_EESG_SW_SH_SI_SJ_EUlSW_E0_NS1_11comp_targetILNS1_3genE5ELNS1_11target_archE942ELNS1_3gpuE9ELNS1_3repE0EEENS1_38merge_mergepath_config_static_selectorELNS0_4arch9wavefront6targetE0EEEvSI_,comdat
.Lfunc_end1146:
	.size	_ZN7rocprim17ROCPRIM_400000_NS6detail17trampoline_kernelINS0_14default_configENS1_38merge_sort_block_merge_config_selectorIiNS0_10empty_typeEEEZZNS1_27merge_sort_block_merge_implIS3_N6thrust23THRUST_200600_302600_NS10device_ptrIiEEPS5_jNS1_19radix_merge_compareILb0ELb0EiNS0_19identity_decomposerEEEEE10hipError_tT0_T1_T2_jT3_P12ihipStream_tbPNSt15iterator_traitsISH_E10value_typeEPNSN_ISI_E10value_typeEPSJ_NS1_7vsmem_tEENKUlT_SH_SI_SJ_E_clISB_PiSC_SC_EESG_SW_SH_SI_SJ_EUlSW_E0_NS1_11comp_targetILNS1_3genE5ELNS1_11target_archE942ELNS1_3gpuE9ELNS1_3repE0EEENS1_38merge_mergepath_config_static_selectorELNS0_4arch9wavefront6targetE0EEEvSI_, .Lfunc_end1146-_ZN7rocprim17ROCPRIM_400000_NS6detail17trampoline_kernelINS0_14default_configENS1_38merge_sort_block_merge_config_selectorIiNS0_10empty_typeEEEZZNS1_27merge_sort_block_merge_implIS3_N6thrust23THRUST_200600_302600_NS10device_ptrIiEEPS5_jNS1_19radix_merge_compareILb0ELb0EiNS0_19identity_decomposerEEEEE10hipError_tT0_T1_T2_jT3_P12ihipStream_tbPNSt15iterator_traitsISH_E10value_typeEPNSN_ISI_E10value_typeEPSJ_NS1_7vsmem_tEENKUlT_SH_SI_SJ_E_clISB_PiSC_SC_EESG_SW_SH_SI_SJ_EUlSW_E0_NS1_11comp_targetILNS1_3genE5ELNS1_11target_archE942ELNS1_3gpuE9ELNS1_3repE0EEENS1_38merge_mergepath_config_static_selectorELNS0_4arch9wavefront6targetE0EEEvSI_
                                        ; -- End function
	.set _ZN7rocprim17ROCPRIM_400000_NS6detail17trampoline_kernelINS0_14default_configENS1_38merge_sort_block_merge_config_selectorIiNS0_10empty_typeEEEZZNS1_27merge_sort_block_merge_implIS3_N6thrust23THRUST_200600_302600_NS10device_ptrIiEEPS5_jNS1_19radix_merge_compareILb0ELb0EiNS0_19identity_decomposerEEEEE10hipError_tT0_T1_T2_jT3_P12ihipStream_tbPNSt15iterator_traitsISH_E10value_typeEPNSN_ISI_E10value_typeEPSJ_NS1_7vsmem_tEENKUlT_SH_SI_SJ_E_clISB_PiSC_SC_EESG_SW_SH_SI_SJ_EUlSW_E0_NS1_11comp_targetILNS1_3genE5ELNS1_11target_archE942ELNS1_3gpuE9ELNS1_3repE0EEENS1_38merge_mergepath_config_static_selectorELNS0_4arch9wavefront6targetE0EEEvSI_.num_vgpr, 0
	.set _ZN7rocprim17ROCPRIM_400000_NS6detail17trampoline_kernelINS0_14default_configENS1_38merge_sort_block_merge_config_selectorIiNS0_10empty_typeEEEZZNS1_27merge_sort_block_merge_implIS3_N6thrust23THRUST_200600_302600_NS10device_ptrIiEEPS5_jNS1_19radix_merge_compareILb0ELb0EiNS0_19identity_decomposerEEEEE10hipError_tT0_T1_T2_jT3_P12ihipStream_tbPNSt15iterator_traitsISH_E10value_typeEPNSN_ISI_E10value_typeEPSJ_NS1_7vsmem_tEENKUlT_SH_SI_SJ_E_clISB_PiSC_SC_EESG_SW_SH_SI_SJ_EUlSW_E0_NS1_11comp_targetILNS1_3genE5ELNS1_11target_archE942ELNS1_3gpuE9ELNS1_3repE0EEENS1_38merge_mergepath_config_static_selectorELNS0_4arch9wavefront6targetE0EEEvSI_.num_agpr, 0
	.set _ZN7rocprim17ROCPRIM_400000_NS6detail17trampoline_kernelINS0_14default_configENS1_38merge_sort_block_merge_config_selectorIiNS0_10empty_typeEEEZZNS1_27merge_sort_block_merge_implIS3_N6thrust23THRUST_200600_302600_NS10device_ptrIiEEPS5_jNS1_19radix_merge_compareILb0ELb0EiNS0_19identity_decomposerEEEEE10hipError_tT0_T1_T2_jT3_P12ihipStream_tbPNSt15iterator_traitsISH_E10value_typeEPNSN_ISI_E10value_typeEPSJ_NS1_7vsmem_tEENKUlT_SH_SI_SJ_E_clISB_PiSC_SC_EESG_SW_SH_SI_SJ_EUlSW_E0_NS1_11comp_targetILNS1_3genE5ELNS1_11target_archE942ELNS1_3gpuE9ELNS1_3repE0EEENS1_38merge_mergepath_config_static_selectorELNS0_4arch9wavefront6targetE0EEEvSI_.numbered_sgpr, 0
	.set _ZN7rocprim17ROCPRIM_400000_NS6detail17trampoline_kernelINS0_14default_configENS1_38merge_sort_block_merge_config_selectorIiNS0_10empty_typeEEEZZNS1_27merge_sort_block_merge_implIS3_N6thrust23THRUST_200600_302600_NS10device_ptrIiEEPS5_jNS1_19radix_merge_compareILb0ELb0EiNS0_19identity_decomposerEEEEE10hipError_tT0_T1_T2_jT3_P12ihipStream_tbPNSt15iterator_traitsISH_E10value_typeEPNSN_ISI_E10value_typeEPSJ_NS1_7vsmem_tEENKUlT_SH_SI_SJ_E_clISB_PiSC_SC_EESG_SW_SH_SI_SJ_EUlSW_E0_NS1_11comp_targetILNS1_3genE5ELNS1_11target_archE942ELNS1_3gpuE9ELNS1_3repE0EEENS1_38merge_mergepath_config_static_selectorELNS0_4arch9wavefront6targetE0EEEvSI_.num_named_barrier, 0
	.set _ZN7rocprim17ROCPRIM_400000_NS6detail17trampoline_kernelINS0_14default_configENS1_38merge_sort_block_merge_config_selectorIiNS0_10empty_typeEEEZZNS1_27merge_sort_block_merge_implIS3_N6thrust23THRUST_200600_302600_NS10device_ptrIiEEPS5_jNS1_19radix_merge_compareILb0ELb0EiNS0_19identity_decomposerEEEEE10hipError_tT0_T1_T2_jT3_P12ihipStream_tbPNSt15iterator_traitsISH_E10value_typeEPNSN_ISI_E10value_typeEPSJ_NS1_7vsmem_tEENKUlT_SH_SI_SJ_E_clISB_PiSC_SC_EESG_SW_SH_SI_SJ_EUlSW_E0_NS1_11comp_targetILNS1_3genE5ELNS1_11target_archE942ELNS1_3gpuE9ELNS1_3repE0EEENS1_38merge_mergepath_config_static_selectorELNS0_4arch9wavefront6targetE0EEEvSI_.private_seg_size, 0
	.set _ZN7rocprim17ROCPRIM_400000_NS6detail17trampoline_kernelINS0_14default_configENS1_38merge_sort_block_merge_config_selectorIiNS0_10empty_typeEEEZZNS1_27merge_sort_block_merge_implIS3_N6thrust23THRUST_200600_302600_NS10device_ptrIiEEPS5_jNS1_19radix_merge_compareILb0ELb0EiNS0_19identity_decomposerEEEEE10hipError_tT0_T1_T2_jT3_P12ihipStream_tbPNSt15iterator_traitsISH_E10value_typeEPNSN_ISI_E10value_typeEPSJ_NS1_7vsmem_tEENKUlT_SH_SI_SJ_E_clISB_PiSC_SC_EESG_SW_SH_SI_SJ_EUlSW_E0_NS1_11comp_targetILNS1_3genE5ELNS1_11target_archE942ELNS1_3gpuE9ELNS1_3repE0EEENS1_38merge_mergepath_config_static_selectorELNS0_4arch9wavefront6targetE0EEEvSI_.uses_vcc, 0
	.set _ZN7rocprim17ROCPRIM_400000_NS6detail17trampoline_kernelINS0_14default_configENS1_38merge_sort_block_merge_config_selectorIiNS0_10empty_typeEEEZZNS1_27merge_sort_block_merge_implIS3_N6thrust23THRUST_200600_302600_NS10device_ptrIiEEPS5_jNS1_19radix_merge_compareILb0ELb0EiNS0_19identity_decomposerEEEEE10hipError_tT0_T1_T2_jT3_P12ihipStream_tbPNSt15iterator_traitsISH_E10value_typeEPNSN_ISI_E10value_typeEPSJ_NS1_7vsmem_tEENKUlT_SH_SI_SJ_E_clISB_PiSC_SC_EESG_SW_SH_SI_SJ_EUlSW_E0_NS1_11comp_targetILNS1_3genE5ELNS1_11target_archE942ELNS1_3gpuE9ELNS1_3repE0EEENS1_38merge_mergepath_config_static_selectorELNS0_4arch9wavefront6targetE0EEEvSI_.uses_flat_scratch, 0
	.set _ZN7rocprim17ROCPRIM_400000_NS6detail17trampoline_kernelINS0_14default_configENS1_38merge_sort_block_merge_config_selectorIiNS0_10empty_typeEEEZZNS1_27merge_sort_block_merge_implIS3_N6thrust23THRUST_200600_302600_NS10device_ptrIiEEPS5_jNS1_19radix_merge_compareILb0ELb0EiNS0_19identity_decomposerEEEEE10hipError_tT0_T1_T2_jT3_P12ihipStream_tbPNSt15iterator_traitsISH_E10value_typeEPNSN_ISI_E10value_typeEPSJ_NS1_7vsmem_tEENKUlT_SH_SI_SJ_E_clISB_PiSC_SC_EESG_SW_SH_SI_SJ_EUlSW_E0_NS1_11comp_targetILNS1_3genE5ELNS1_11target_archE942ELNS1_3gpuE9ELNS1_3repE0EEENS1_38merge_mergepath_config_static_selectorELNS0_4arch9wavefront6targetE0EEEvSI_.has_dyn_sized_stack, 0
	.set _ZN7rocprim17ROCPRIM_400000_NS6detail17trampoline_kernelINS0_14default_configENS1_38merge_sort_block_merge_config_selectorIiNS0_10empty_typeEEEZZNS1_27merge_sort_block_merge_implIS3_N6thrust23THRUST_200600_302600_NS10device_ptrIiEEPS5_jNS1_19radix_merge_compareILb0ELb0EiNS0_19identity_decomposerEEEEE10hipError_tT0_T1_T2_jT3_P12ihipStream_tbPNSt15iterator_traitsISH_E10value_typeEPNSN_ISI_E10value_typeEPSJ_NS1_7vsmem_tEENKUlT_SH_SI_SJ_E_clISB_PiSC_SC_EESG_SW_SH_SI_SJ_EUlSW_E0_NS1_11comp_targetILNS1_3genE5ELNS1_11target_archE942ELNS1_3gpuE9ELNS1_3repE0EEENS1_38merge_mergepath_config_static_selectorELNS0_4arch9wavefront6targetE0EEEvSI_.has_recursion, 0
	.set _ZN7rocprim17ROCPRIM_400000_NS6detail17trampoline_kernelINS0_14default_configENS1_38merge_sort_block_merge_config_selectorIiNS0_10empty_typeEEEZZNS1_27merge_sort_block_merge_implIS3_N6thrust23THRUST_200600_302600_NS10device_ptrIiEEPS5_jNS1_19radix_merge_compareILb0ELb0EiNS0_19identity_decomposerEEEEE10hipError_tT0_T1_T2_jT3_P12ihipStream_tbPNSt15iterator_traitsISH_E10value_typeEPNSN_ISI_E10value_typeEPSJ_NS1_7vsmem_tEENKUlT_SH_SI_SJ_E_clISB_PiSC_SC_EESG_SW_SH_SI_SJ_EUlSW_E0_NS1_11comp_targetILNS1_3genE5ELNS1_11target_archE942ELNS1_3gpuE9ELNS1_3repE0EEENS1_38merge_mergepath_config_static_selectorELNS0_4arch9wavefront6targetE0EEEvSI_.has_indirect_call, 0
	.section	.AMDGPU.csdata,"",@progbits
; Kernel info:
; codeLenInByte = 0
; TotalNumSgprs: 0
; NumVgprs: 0
; ScratchSize: 0
; MemoryBound: 0
; FloatMode: 240
; IeeeMode: 1
; LDSByteSize: 0 bytes/workgroup (compile time only)
; SGPRBlocks: 0
; VGPRBlocks: 0
; NumSGPRsForWavesPerEU: 1
; NumVGPRsForWavesPerEU: 1
; Occupancy: 16
; WaveLimiterHint : 0
; COMPUTE_PGM_RSRC2:SCRATCH_EN: 0
; COMPUTE_PGM_RSRC2:USER_SGPR: 6
; COMPUTE_PGM_RSRC2:TRAP_HANDLER: 0
; COMPUTE_PGM_RSRC2:TGID_X_EN: 1
; COMPUTE_PGM_RSRC2:TGID_Y_EN: 0
; COMPUTE_PGM_RSRC2:TGID_Z_EN: 0
; COMPUTE_PGM_RSRC2:TIDIG_COMP_CNT: 0
	.section	.text._ZN7rocprim17ROCPRIM_400000_NS6detail17trampoline_kernelINS0_14default_configENS1_38merge_sort_block_merge_config_selectorIiNS0_10empty_typeEEEZZNS1_27merge_sort_block_merge_implIS3_N6thrust23THRUST_200600_302600_NS10device_ptrIiEEPS5_jNS1_19radix_merge_compareILb0ELb0EiNS0_19identity_decomposerEEEEE10hipError_tT0_T1_T2_jT3_P12ihipStream_tbPNSt15iterator_traitsISH_E10value_typeEPNSN_ISI_E10value_typeEPSJ_NS1_7vsmem_tEENKUlT_SH_SI_SJ_E_clISB_PiSC_SC_EESG_SW_SH_SI_SJ_EUlSW_E0_NS1_11comp_targetILNS1_3genE4ELNS1_11target_archE910ELNS1_3gpuE8ELNS1_3repE0EEENS1_38merge_mergepath_config_static_selectorELNS0_4arch9wavefront6targetE0EEEvSI_,"axG",@progbits,_ZN7rocprim17ROCPRIM_400000_NS6detail17trampoline_kernelINS0_14default_configENS1_38merge_sort_block_merge_config_selectorIiNS0_10empty_typeEEEZZNS1_27merge_sort_block_merge_implIS3_N6thrust23THRUST_200600_302600_NS10device_ptrIiEEPS5_jNS1_19radix_merge_compareILb0ELb0EiNS0_19identity_decomposerEEEEE10hipError_tT0_T1_T2_jT3_P12ihipStream_tbPNSt15iterator_traitsISH_E10value_typeEPNSN_ISI_E10value_typeEPSJ_NS1_7vsmem_tEENKUlT_SH_SI_SJ_E_clISB_PiSC_SC_EESG_SW_SH_SI_SJ_EUlSW_E0_NS1_11comp_targetILNS1_3genE4ELNS1_11target_archE910ELNS1_3gpuE8ELNS1_3repE0EEENS1_38merge_mergepath_config_static_selectorELNS0_4arch9wavefront6targetE0EEEvSI_,comdat
	.protected	_ZN7rocprim17ROCPRIM_400000_NS6detail17trampoline_kernelINS0_14default_configENS1_38merge_sort_block_merge_config_selectorIiNS0_10empty_typeEEEZZNS1_27merge_sort_block_merge_implIS3_N6thrust23THRUST_200600_302600_NS10device_ptrIiEEPS5_jNS1_19radix_merge_compareILb0ELb0EiNS0_19identity_decomposerEEEEE10hipError_tT0_T1_T2_jT3_P12ihipStream_tbPNSt15iterator_traitsISH_E10value_typeEPNSN_ISI_E10value_typeEPSJ_NS1_7vsmem_tEENKUlT_SH_SI_SJ_E_clISB_PiSC_SC_EESG_SW_SH_SI_SJ_EUlSW_E0_NS1_11comp_targetILNS1_3genE4ELNS1_11target_archE910ELNS1_3gpuE8ELNS1_3repE0EEENS1_38merge_mergepath_config_static_selectorELNS0_4arch9wavefront6targetE0EEEvSI_ ; -- Begin function _ZN7rocprim17ROCPRIM_400000_NS6detail17trampoline_kernelINS0_14default_configENS1_38merge_sort_block_merge_config_selectorIiNS0_10empty_typeEEEZZNS1_27merge_sort_block_merge_implIS3_N6thrust23THRUST_200600_302600_NS10device_ptrIiEEPS5_jNS1_19radix_merge_compareILb0ELb0EiNS0_19identity_decomposerEEEEE10hipError_tT0_T1_T2_jT3_P12ihipStream_tbPNSt15iterator_traitsISH_E10value_typeEPNSN_ISI_E10value_typeEPSJ_NS1_7vsmem_tEENKUlT_SH_SI_SJ_E_clISB_PiSC_SC_EESG_SW_SH_SI_SJ_EUlSW_E0_NS1_11comp_targetILNS1_3genE4ELNS1_11target_archE910ELNS1_3gpuE8ELNS1_3repE0EEENS1_38merge_mergepath_config_static_selectorELNS0_4arch9wavefront6targetE0EEEvSI_
	.globl	_ZN7rocprim17ROCPRIM_400000_NS6detail17trampoline_kernelINS0_14default_configENS1_38merge_sort_block_merge_config_selectorIiNS0_10empty_typeEEEZZNS1_27merge_sort_block_merge_implIS3_N6thrust23THRUST_200600_302600_NS10device_ptrIiEEPS5_jNS1_19radix_merge_compareILb0ELb0EiNS0_19identity_decomposerEEEEE10hipError_tT0_T1_T2_jT3_P12ihipStream_tbPNSt15iterator_traitsISH_E10value_typeEPNSN_ISI_E10value_typeEPSJ_NS1_7vsmem_tEENKUlT_SH_SI_SJ_E_clISB_PiSC_SC_EESG_SW_SH_SI_SJ_EUlSW_E0_NS1_11comp_targetILNS1_3genE4ELNS1_11target_archE910ELNS1_3gpuE8ELNS1_3repE0EEENS1_38merge_mergepath_config_static_selectorELNS0_4arch9wavefront6targetE0EEEvSI_
	.p2align	8
	.type	_ZN7rocprim17ROCPRIM_400000_NS6detail17trampoline_kernelINS0_14default_configENS1_38merge_sort_block_merge_config_selectorIiNS0_10empty_typeEEEZZNS1_27merge_sort_block_merge_implIS3_N6thrust23THRUST_200600_302600_NS10device_ptrIiEEPS5_jNS1_19radix_merge_compareILb0ELb0EiNS0_19identity_decomposerEEEEE10hipError_tT0_T1_T2_jT3_P12ihipStream_tbPNSt15iterator_traitsISH_E10value_typeEPNSN_ISI_E10value_typeEPSJ_NS1_7vsmem_tEENKUlT_SH_SI_SJ_E_clISB_PiSC_SC_EESG_SW_SH_SI_SJ_EUlSW_E0_NS1_11comp_targetILNS1_3genE4ELNS1_11target_archE910ELNS1_3gpuE8ELNS1_3repE0EEENS1_38merge_mergepath_config_static_selectorELNS0_4arch9wavefront6targetE0EEEvSI_,@function
_ZN7rocprim17ROCPRIM_400000_NS6detail17trampoline_kernelINS0_14default_configENS1_38merge_sort_block_merge_config_selectorIiNS0_10empty_typeEEEZZNS1_27merge_sort_block_merge_implIS3_N6thrust23THRUST_200600_302600_NS10device_ptrIiEEPS5_jNS1_19radix_merge_compareILb0ELb0EiNS0_19identity_decomposerEEEEE10hipError_tT0_T1_T2_jT3_P12ihipStream_tbPNSt15iterator_traitsISH_E10value_typeEPNSN_ISI_E10value_typeEPSJ_NS1_7vsmem_tEENKUlT_SH_SI_SJ_E_clISB_PiSC_SC_EESG_SW_SH_SI_SJ_EUlSW_E0_NS1_11comp_targetILNS1_3genE4ELNS1_11target_archE910ELNS1_3gpuE8ELNS1_3repE0EEENS1_38merge_mergepath_config_static_selectorELNS0_4arch9wavefront6targetE0EEEvSI_: ; @_ZN7rocprim17ROCPRIM_400000_NS6detail17trampoline_kernelINS0_14default_configENS1_38merge_sort_block_merge_config_selectorIiNS0_10empty_typeEEEZZNS1_27merge_sort_block_merge_implIS3_N6thrust23THRUST_200600_302600_NS10device_ptrIiEEPS5_jNS1_19radix_merge_compareILb0ELb0EiNS0_19identity_decomposerEEEEE10hipError_tT0_T1_T2_jT3_P12ihipStream_tbPNSt15iterator_traitsISH_E10value_typeEPNSN_ISI_E10value_typeEPSJ_NS1_7vsmem_tEENKUlT_SH_SI_SJ_E_clISB_PiSC_SC_EESG_SW_SH_SI_SJ_EUlSW_E0_NS1_11comp_targetILNS1_3genE4ELNS1_11target_archE910ELNS1_3gpuE8ELNS1_3repE0EEENS1_38merge_mergepath_config_static_selectorELNS0_4arch9wavefront6targetE0EEEvSI_
; %bb.0:
	.section	.rodata,"a",@progbits
	.p2align	6, 0x0
	.amdhsa_kernel _ZN7rocprim17ROCPRIM_400000_NS6detail17trampoline_kernelINS0_14default_configENS1_38merge_sort_block_merge_config_selectorIiNS0_10empty_typeEEEZZNS1_27merge_sort_block_merge_implIS3_N6thrust23THRUST_200600_302600_NS10device_ptrIiEEPS5_jNS1_19radix_merge_compareILb0ELb0EiNS0_19identity_decomposerEEEEE10hipError_tT0_T1_T2_jT3_P12ihipStream_tbPNSt15iterator_traitsISH_E10value_typeEPNSN_ISI_E10value_typeEPSJ_NS1_7vsmem_tEENKUlT_SH_SI_SJ_E_clISB_PiSC_SC_EESG_SW_SH_SI_SJ_EUlSW_E0_NS1_11comp_targetILNS1_3genE4ELNS1_11target_archE910ELNS1_3gpuE8ELNS1_3repE0EEENS1_38merge_mergepath_config_static_selectorELNS0_4arch9wavefront6targetE0EEEvSI_
		.amdhsa_group_segment_fixed_size 0
		.amdhsa_private_segment_fixed_size 0
		.amdhsa_kernarg_size 64
		.amdhsa_user_sgpr_count 6
		.amdhsa_user_sgpr_private_segment_buffer 1
		.amdhsa_user_sgpr_dispatch_ptr 0
		.amdhsa_user_sgpr_queue_ptr 0
		.amdhsa_user_sgpr_kernarg_segment_ptr 1
		.amdhsa_user_sgpr_dispatch_id 0
		.amdhsa_user_sgpr_flat_scratch_init 0
		.amdhsa_user_sgpr_private_segment_size 0
		.amdhsa_wavefront_size32 1
		.amdhsa_uses_dynamic_stack 0
		.amdhsa_system_sgpr_private_segment_wavefront_offset 0
		.amdhsa_system_sgpr_workgroup_id_x 1
		.amdhsa_system_sgpr_workgroup_id_y 0
		.amdhsa_system_sgpr_workgroup_id_z 0
		.amdhsa_system_sgpr_workgroup_info 0
		.amdhsa_system_vgpr_workitem_id 0
		.amdhsa_next_free_vgpr 1
		.amdhsa_next_free_sgpr 1
		.amdhsa_reserve_vcc 0
		.amdhsa_reserve_flat_scratch 0
		.amdhsa_float_round_mode_32 0
		.amdhsa_float_round_mode_16_64 0
		.amdhsa_float_denorm_mode_32 3
		.amdhsa_float_denorm_mode_16_64 3
		.amdhsa_dx10_clamp 1
		.amdhsa_ieee_mode 1
		.amdhsa_fp16_overflow 0
		.amdhsa_workgroup_processor_mode 1
		.amdhsa_memory_ordered 1
		.amdhsa_forward_progress 1
		.amdhsa_shared_vgpr_count 0
		.amdhsa_exception_fp_ieee_invalid_op 0
		.amdhsa_exception_fp_denorm_src 0
		.amdhsa_exception_fp_ieee_div_zero 0
		.amdhsa_exception_fp_ieee_overflow 0
		.amdhsa_exception_fp_ieee_underflow 0
		.amdhsa_exception_fp_ieee_inexact 0
		.amdhsa_exception_int_div_zero 0
	.end_amdhsa_kernel
	.section	.text._ZN7rocprim17ROCPRIM_400000_NS6detail17trampoline_kernelINS0_14default_configENS1_38merge_sort_block_merge_config_selectorIiNS0_10empty_typeEEEZZNS1_27merge_sort_block_merge_implIS3_N6thrust23THRUST_200600_302600_NS10device_ptrIiEEPS5_jNS1_19radix_merge_compareILb0ELb0EiNS0_19identity_decomposerEEEEE10hipError_tT0_T1_T2_jT3_P12ihipStream_tbPNSt15iterator_traitsISH_E10value_typeEPNSN_ISI_E10value_typeEPSJ_NS1_7vsmem_tEENKUlT_SH_SI_SJ_E_clISB_PiSC_SC_EESG_SW_SH_SI_SJ_EUlSW_E0_NS1_11comp_targetILNS1_3genE4ELNS1_11target_archE910ELNS1_3gpuE8ELNS1_3repE0EEENS1_38merge_mergepath_config_static_selectorELNS0_4arch9wavefront6targetE0EEEvSI_,"axG",@progbits,_ZN7rocprim17ROCPRIM_400000_NS6detail17trampoline_kernelINS0_14default_configENS1_38merge_sort_block_merge_config_selectorIiNS0_10empty_typeEEEZZNS1_27merge_sort_block_merge_implIS3_N6thrust23THRUST_200600_302600_NS10device_ptrIiEEPS5_jNS1_19radix_merge_compareILb0ELb0EiNS0_19identity_decomposerEEEEE10hipError_tT0_T1_T2_jT3_P12ihipStream_tbPNSt15iterator_traitsISH_E10value_typeEPNSN_ISI_E10value_typeEPSJ_NS1_7vsmem_tEENKUlT_SH_SI_SJ_E_clISB_PiSC_SC_EESG_SW_SH_SI_SJ_EUlSW_E0_NS1_11comp_targetILNS1_3genE4ELNS1_11target_archE910ELNS1_3gpuE8ELNS1_3repE0EEENS1_38merge_mergepath_config_static_selectorELNS0_4arch9wavefront6targetE0EEEvSI_,comdat
.Lfunc_end1147:
	.size	_ZN7rocprim17ROCPRIM_400000_NS6detail17trampoline_kernelINS0_14default_configENS1_38merge_sort_block_merge_config_selectorIiNS0_10empty_typeEEEZZNS1_27merge_sort_block_merge_implIS3_N6thrust23THRUST_200600_302600_NS10device_ptrIiEEPS5_jNS1_19radix_merge_compareILb0ELb0EiNS0_19identity_decomposerEEEEE10hipError_tT0_T1_T2_jT3_P12ihipStream_tbPNSt15iterator_traitsISH_E10value_typeEPNSN_ISI_E10value_typeEPSJ_NS1_7vsmem_tEENKUlT_SH_SI_SJ_E_clISB_PiSC_SC_EESG_SW_SH_SI_SJ_EUlSW_E0_NS1_11comp_targetILNS1_3genE4ELNS1_11target_archE910ELNS1_3gpuE8ELNS1_3repE0EEENS1_38merge_mergepath_config_static_selectorELNS0_4arch9wavefront6targetE0EEEvSI_, .Lfunc_end1147-_ZN7rocprim17ROCPRIM_400000_NS6detail17trampoline_kernelINS0_14default_configENS1_38merge_sort_block_merge_config_selectorIiNS0_10empty_typeEEEZZNS1_27merge_sort_block_merge_implIS3_N6thrust23THRUST_200600_302600_NS10device_ptrIiEEPS5_jNS1_19radix_merge_compareILb0ELb0EiNS0_19identity_decomposerEEEEE10hipError_tT0_T1_T2_jT3_P12ihipStream_tbPNSt15iterator_traitsISH_E10value_typeEPNSN_ISI_E10value_typeEPSJ_NS1_7vsmem_tEENKUlT_SH_SI_SJ_E_clISB_PiSC_SC_EESG_SW_SH_SI_SJ_EUlSW_E0_NS1_11comp_targetILNS1_3genE4ELNS1_11target_archE910ELNS1_3gpuE8ELNS1_3repE0EEENS1_38merge_mergepath_config_static_selectorELNS0_4arch9wavefront6targetE0EEEvSI_
                                        ; -- End function
	.set _ZN7rocprim17ROCPRIM_400000_NS6detail17trampoline_kernelINS0_14default_configENS1_38merge_sort_block_merge_config_selectorIiNS0_10empty_typeEEEZZNS1_27merge_sort_block_merge_implIS3_N6thrust23THRUST_200600_302600_NS10device_ptrIiEEPS5_jNS1_19radix_merge_compareILb0ELb0EiNS0_19identity_decomposerEEEEE10hipError_tT0_T1_T2_jT3_P12ihipStream_tbPNSt15iterator_traitsISH_E10value_typeEPNSN_ISI_E10value_typeEPSJ_NS1_7vsmem_tEENKUlT_SH_SI_SJ_E_clISB_PiSC_SC_EESG_SW_SH_SI_SJ_EUlSW_E0_NS1_11comp_targetILNS1_3genE4ELNS1_11target_archE910ELNS1_3gpuE8ELNS1_3repE0EEENS1_38merge_mergepath_config_static_selectorELNS0_4arch9wavefront6targetE0EEEvSI_.num_vgpr, 0
	.set _ZN7rocprim17ROCPRIM_400000_NS6detail17trampoline_kernelINS0_14default_configENS1_38merge_sort_block_merge_config_selectorIiNS0_10empty_typeEEEZZNS1_27merge_sort_block_merge_implIS3_N6thrust23THRUST_200600_302600_NS10device_ptrIiEEPS5_jNS1_19radix_merge_compareILb0ELb0EiNS0_19identity_decomposerEEEEE10hipError_tT0_T1_T2_jT3_P12ihipStream_tbPNSt15iterator_traitsISH_E10value_typeEPNSN_ISI_E10value_typeEPSJ_NS1_7vsmem_tEENKUlT_SH_SI_SJ_E_clISB_PiSC_SC_EESG_SW_SH_SI_SJ_EUlSW_E0_NS1_11comp_targetILNS1_3genE4ELNS1_11target_archE910ELNS1_3gpuE8ELNS1_3repE0EEENS1_38merge_mergepath_config_static_selectorELNS0_4arch9wavefront6targetE0EEEvSI_.num_agpr, 0
	.set _ZN7rocprim17ROCPRIM_400000_NS6detail17trampoline_kernelINS0_14default_configENS1_38merge_sort_block_merge_config_selectorIiNS0_10empty_typeEEEZZNS1_27merge_sort_block_merge_implIS3_N6thrust23THRUST_200600_302600_NS10device_ptrIiEEPS5_jNS1_19radix_merge_compareILb0ELb0EiNS0_19identity_decomposerEEEEE10hipError_tT0_T1_T2_jT3_P12ihipStream_tbPNSt15iterator_traitsISH_E10value_typeEPNSN_ISI_E10value_typeEPSJ_NS1_7vsmem_tEENKUlT_SH_SI_SJ_E_clISB_PiSC_SC_EESG_SW_SH_SI_SJ_EUlSW_E0_NS1_11comp_targetILNS1_3genE4ELNS1_11target_archE910ELNS1_3gpuE8ELNS1_3repE0EEENS1_38merge_mergepath_config_static_selectorELNS0_4arch9wavefront6targetE0EEEvSI_.numbered_sgpr, 0
	.set _ZN7rocprim17ROCPRIM_400000_NS6detail17trampoline_kernelINS0_14default_configENS1_38merge_sort_block_merge_config_selectorIiNS0_10empty_typeEEEZZNS1_27merge_sort_block_merge_implIS3_N6thrust23THRUST_200600_302600_NS10device_ptrIiEEPS5_jNS1_19radix_merge_compareILb0ELb0EiNS0_19identity_decomposerEEEEE10hipError_tT0_T1_T2_jT3_P12ihipStream_tbPNSt15iterator_traitsISH_E10value_typeEPNSN_ISI_E10value_typeEPSJ_NS1_7vsmem_tEENKUlT_SH_SI_SJ_E_clISB_PiSC_SC_EESG_SW_SH_SI_SJ_EUlSW_E0_NS1_11comp_targetILNS1_3genE4ELNS1_11target_archE910ELNS1_3gpuE8ELNS1_3repE0EEENS1_38merge_mergepath_config_static_selectorELNS0_4arch9wavefront6targetE0EEEvSI_.num_named_barrier, 0
	.set _ZN7rocprim17ROCPRIM_400000_NS6detail17trampoline_kernelINS0_14default_configENS1_38merge_sort_block_merge_config_selectorIiNS0_10empty_typeEEEZZNS1_27merge_sort_block_merge_implIS3_N6thrust23THRUST_200600_302600_NS10device_ptrIiEEPS5_jNS1_19radix_merge_compareILb0ELb0EiNS0_19identity_decomposerEEEEE10hipError_tT0_T1_T2_jT3_P12ihipStream_tbPNSt15iterator_traitsISH_E10value_typeEPNSN_ISI_E10value_typeEPSJ_NS1_7vsmem_tEENKUlT_SH_SI_SJ_E_clISB_PiSC_SC_EESG_SW_SH_SI_SJ_EUlSW_E0_NS1_11comp_targetILNS1_3genE4ELNS1_11target_archE910ELNS1_3gpuE8ELNS1_3repE0EEENS1_38merge_mergepath_config_static_selectorELNS0_4arch9wavefront6targetE0EEEvSI_.private_seg_size, 0
	.set _ZN7rocprim17ROCPRIM_400000_NS6detail17trampoline_kernelINS0_14default_configENS1_38merge_sort_block_merge_config_selectorIiNS0_10empty_typeEEEZZNS1_27merge_sort_block_merge_implIS3_N6thrust23THRUST_200600_302600_NS10device_ptrIiEEPS5_jNS1_19radix_merge_compareILb0ELb0EiNS0_19identity_decomposerEEEEE10hipError_tT0_T1_T2_jT3_P12ihipStream_tbPNSt15iterator_traitsISH_E10value_typeEPNSN_ISI_E10value_typeEPSJ_NS1_7vsmem_tEENKUlT_SH_SI_SJ_E_clISB_PiSC_SC_EESG_SW_SH_SI_SJ_EUlSW_E0_NS1_11comp_targetILNS1_3genE4ELNS1_11target_archE910ELNS1_3gpuE8ELNS1_3repE0EEENS1_38merge_mergepath_config_static_selectorELNS0_4arch9wavefront6targetE0EEEvSI_.uses_vcc, 0
	.set _ZN7rocprim17ROCPRIM_400000_NS6detail17trampoline_kernelINS0_14default_configENS1_38merge_sort_block_merge_config_selectorIiNS0_10empty_typeEEEZZNS1_27merge_sort_block_merge_implIS3_N6thrust23THRUST_200600_302600_NS10device_ptrIiEEPS5_jNS1_19radix_merge_compareILb0ELb0EiNS0_19identity_decomposerEEEEE10hipError_tT0_T1_T2_jT3_P12ihipStream_tbPNSt15iterator_traitsISH_E10value_typeEPNSN_ISI_E10value_typeEPSJ_NS1_7vsmem_tEENKUlT_SH_SI_SJ_E_clISB_PiSC_SC_EESG_SW_SH_SI_SJ_EUlSW_E0_NS1_11comp_targetILNS1_3genE4ELNS1_11target_archE910ELNS1_3gpuE8ELNS1_3repE0EEENS1_38merge_mergepath_config_static_selectorELNS0_4arch9wavefront6targetE0EEEvSI_.uses_flat_scratch, 0
	.set _ZN7rocprim17ROCPRIM_400000_NS6detail17trampoline_kernelINS0_14default_configENS1_38merge_sort_block_merge_config_selectorIiNS0_10empty_typeEEEZZNS1_27merge_sort_block_merge_implIS3_N6thrust23THRUST_200600_302600_NS10device_ptrIiEEPS5_jNS1_19radix_merge_compareILb0ELb0EiNS0_19identity_decomposerEEEEE10hipError_tT0_T1_T2_jT3_P12ihipStream_tbPNSt15iterator_traitsISH_E10value_typeEPNSN_ISI_E10value_typeEPSJ_NS1_7vsmem_tEENKUlT_SH_SI_SJ_E_clISB_PiSC_SC_EESG_SW_SH_SI_SJ_EUlSW_E0_NS1_11comp_targetILNS1_3genE4ELNS1_11target_archE910ELNS1_3gpuE8ELNS1_3repE0EEENS1_38merge_mergepath_config_static_selectorELNS0_4arch9wavefront6targetE0EEEvSI_.has_dyn_sized_stack, 0
	.set _ZN7rocprim17ROCPRIM_400000_NS6detail17trampoline_kernelINS0_14default_configENS1_38merge_sort_block_merge_config_selectorIiNS0_10empty_typeEEEZZNS1_27merge_sort_block_merge_implIS3_N6thrust23THRUST_200600_302600_NS10device_ptrIiEEPS5_jNS1_19radix_merge_compareILb0ELb0EiNS0_19identity_decomposerEEEEE10hipError_tT0_T1_T2_jT3_P12ihipStream_tbPNSt15iterator_traitsISH_E10value_typeEPNSN_ISI_E10value_typeEPSJ_NS1_7vsmem_tEENKUlT_SH_SI_SJ_E_clISB_PiSC_SC_EESG_SW_SH_SI_SJ_EUlSW_E0_NS1_11comp_targetILNS1_3genE4ELNS1_11target_archE910ELNS1_3gpuE8ELNS1_3repE0EEENS1_38merge_mergepath_config_static_selectorELNS0_4arch9wavefront6targetE0EEEvSI_.has_recursion, 0
	.set _ZN7rocprim17ROCPRIM_400000_NS6detail17trampoline_kernelINS0_14default_configENS1_38merge_sort_block_merge_config_selectorIiNS0_10empty_typeEEEZZNS1_27merge_sort_block_merge_implIS3_N6thrust23THRUST_200600_302600_NS10device_ptrIiEEPS5_jNS1_19radix_merge_compareILb0ELb0EiNS0_19identity_decomposerEEEEE10hipError_tT0_T1_T2_jT3_P12ihipStream_tbPNSt15iterator_traitsISH_E10value_typeEPNSN_ISI_E10value_typeEPSJ_NS1_7vsmem_tEENKUlT_SH_SI_SJ_E_clISB_PiSC_SC_EESG_SW_SH_SI_SJ_EUlSW_E0_NS1_11comp_targetILNS1_3genE4ELNS1_11target_archE910ELNS1_3gpuE8ELNS1_3repE0EEENS1_38merge_mergepath_config_static_selectorELNS0_4arch9wavefront6targetE0EEEvSI_.has_indirect_call, 0
	.section	.AMDGPU.csdata,"",@progbits
; Kernel info:
; codeLenInByte = 0
; TotalNumSgprs: 0
; NumVgprs: 0
; ScratchSize: 0
; MemoryBound: 0
; FloatMode: 240
; IeeeMode: 1
; LDSByteSize: 0 bytes/workgroup (compile time only)
; SGPRBlocks: 0
; VGPRBlocks: 0
; NumSGPRsForWavesPerEU: 1
; NumVGPRsForWavesPerEU: 1
; Occupancy: 16
; WaveLimiterHint : 0
; COMPUTE_PGM_RSRC2:SCRATCH_EN: 0
; COMPUTE_PGM_RSRC2:USER_SGPR: 6
; COMPUTE_PGM_RSRC2:TRAP_HANDLER: 0
; COMPUTE_PGM_RSRC2:TGID_X_EN: 1
; COMPUTE_PGM_RSRC2:TGID_Y_EN: 0
; COMPUTE_PGM_RSRC2:TGID_Z_EN: 0
; COMPUTE_PGM_RSRC2:TIDIG_COMP_CNT: 0
	.section	.text._ZN7rocprim17ROCPRIM_400000_NS6detail17trampoline_kernelINS0_14default_configENS1_38merge_sort_block_merge_config_selectorIiNS0_10empty_typeEEEZZNS1_27merge_sort_block_merge_implIS3_N6thrust23THRUST_200600_302600_NS10device_ptrIiEEPS5_jNS1_19radix_merge_compareILb0ELb0EiNS0_19identity_decomposerEEEEE10hipError_tT0_T1_T2_jT3_P12ihipStream_tbPNSt15iterator_traitsISH_E10value_typeEPNSN_ISI_E10value_typeEPSJ_NS1_7vsmem_tEENKUlT_SH_SI_SJ_E_clISB_PiSC_SC_EESG_SW_SH_SI_SJ_EUlSW_E0_NS1_11comp_targetILNS1_3genE3ELNS1_11target_archE908ELNS1_3gpuE7ELNS1_3repE0EEENS1_38merge_mergepath_config_static_selectorELNS0_4arch9wavefront6targetE0EEEvSI_,"axG",@progbits,_ZN7rocprim17ROCPRIM_400000_NS6detail17trampoline_kernelINS0_14default_configENS1_38merge_sort_block_merge_config_selectorIiNS0_10empty_typeEEEZZNS1_27merge_sort_block_merge_implIS3_N6thrust23THRUST_200600_302600_NS10device_ptrIiEEPS5_jNS1_19radix_merge_compareILb0ELb0EiNS0_19identity_decomposerEEEEE10hipError_tT0_T1_T2_jT3_P12ihipStream_tbPNSt15iterator_traitsISH_E10value_typeEPNSN_ISI_E10value_typeEPSJ_NS1_7vsmem_tEENKUlT_SH_SI_SJ_E_clISB_PiSC_SC_EESG_SW_SH_SI_SJ_EUlSW_E0_NS1_11comp_targetILNS1_3genE3ELNS1_11target_archE908ELNS1_3gpuE7ELNS1_3repE0EEENS1_38merge_mergepath_config_static_selectorELNS0_4arch9wavefront6targetE0EEEvSI_,comdat
	.protected	_ZN7rocprim17ROCPRIM_400000_NS6detail17trampoline_kernelINS0_14default_configENS1_38merge_sort_block_merge_config_selectorIiNS0_10empty_typeEEEZZNS1_27merge_sort_block_merge_implIS3_N6thrust23THRUST_200600_302600_NS10device_ptrIiEEPS5_jNS1_19radix_merge_compareILb0ELb0EiNS0_19identity_decomposerEEEEE10hipError_tT0_T1_T2_jT3_P12ihipStream_tbPNSt15iterator_traitsISH_E10value_typeEPNSN_ISI_E10value_typeEPSJ_NS1_7vsmem_tEENKUlT_SH_SI_SJ_E_clISB_PiSC_SC_EESG_SW_SH_SI_SJ_EUlSW_E0_NS1_11comp_targetILNS1_3genE3ELNS1_11target_archE908ELNS1_3gpuE7ELNS1_3repE0EEENS1_38merge_mergepath_config_static_selectorELNS0_4arch9wavefront6targetE0EEEvSI_ ; -- Begin function _ZN7rocprim17ROCPRIM_400000_NS6detail17trampoline_kernelINS0_14default_configENS1_38merge_sort_block_merge_config_selectorIiNS0_10empty_typeEEEZZNS1_27merge_sort_block_merge_implIS3_N6thrust23THRUST_200600_302600_NS10device_ptrIiEEPS5_jNS1_19radix_merge_compareILb0ELb0EiNS0_19identity_decomposerEEEEE10hipError_tT0_T1_T2_jT3_P12ihipStream_tbPNSt15iterator_traitsISH_E10value_typeEPNSN_ISI_E10value_typeEPSJ_NS1_7vsmem_tEENKUlT_SH_SI_SJ_E_clISB_PiSC_SC_EESG_SW_SH_SI_SJ_EUlSW_E0_NS1_11comp_targetILNS1_3genE3ELNS1_11target_archE908ELNS1_3gpuE7ELNS1_3repE0EEENS1_38merge_mergepath_config_static_selectorELNS0_4arch9wavefront6targetE0EEEvSI_
	.globl	_ZN7rocprim17ROCPRIM_400000_NS6detail17trampoline_kernelINS0_14default_configENS1_38merge_sort_block_merge_config_selectorIiNS0_10empty_typeEEEZZNS1_27merge_sort_block_merge_implIS3_N6thrust23THRUST_200600_302600_NS10device_ptrIiEEPS5_jNS1_19radix_merge_compareILb0ELb0EiNS0_19identity_decomposerEEEEE10hipError_tT0_T1_T2_jT3_P12ihipStream_tbPNSt15iterator_traitsISH_E10value_typeEPNSN_ISI_E10value_typeEPSJ_NS1_7vsmem_tEENKUlT_SH_SI_SJ_E_clISB_PiSC_SC_EESG_SW_SH_SI_SJ_EUlSW_E0_NS1_11comp_targetILNS1_3genE3ELNS1_11target_archE908ELNS1_3gpuE7ELNS1_3repE0EEENS1_38merge_mergepath_config_static_selectorELNS0_4arch9wavefront6targetE0EEEvSI_
	.p2align	8
	.type	_ZN7rocprim17ROCPRIM_400000_NS6detail17trampoline_kernelINS0_14default_configENS1_38merge_sort_block_merge_config_selectorIiNS0_10empty_typeEEEZZNS1_27merge_sort_block_merge_implIS3_N6thrust23THRUST_200600_302600_NS10device_ptrIiEEPS5_jNS1_19radix_merge_compareILb0ELb0EiNS0_19identity_decomposerEEEEE10hipError_tT0_T1_T2_jT3_P12ihipStream_tbPNSt15iterator_traitsISH_E10value_typeEPNSN_ISI_E10value_typeEPSJ_NS1_7vsmem_tEENKUlT_SH_SI_SJ_E_clISB_PiSC_SC_EESG_SW_SH_SI_SJ_EUlSW_E0_NS1_11comp_targetILNS1_3genE3ELNS1_11target_archE908ELNS1_3gpuE7ELNS1_3repE0EEENS1_38merge_mergepath_config_static_selectorELNS0_4arch9wavefront6targetE0EEEvSI_,@function
_ZN7rocprim17ROCPRIM_400000_NS6detail17trampoline_kernelINS0_14default_configENS1_38merge_sort_block_merge_config_selectorIiNS0_10empty_typeEEEZZNS1_27merge_sort_block_merge_implIS3_N6thrust23THRUST_200600_302600_NS10device_ptrIiEEPS5_jNS1_19radix_merge_compareILb0ELb0EiNS0_19identity_decomposerEEEEE10hipError_tT0_T1_T2_jT3_P12ihipStream_tbPNSt15iterator_traitsISH_E10value_typeEPNSN_ISI_E10value_typeEPSJ_NS1_7vsmem_tEENKUlT_SH_SI_SJ_E_clISB_PiSC_SC_EESG_SW_SH_SI_SJ_EUlSW_E0_NS1_11comp_targetILNS1_3genE3ELNS1_11target_archE908ELNS1_3gpuE7ELNS1_3repE0EEENS1_38merge_mergepath_config_static_selectorELNS0_4arch9wavefront6targetE0EEEvSI_: ; @_ZN7rocprim17ROCPRIM_400000_NS6detail17trampoline_kernelINS0_14default_configENS1_38merge_sort_block_merge_config_selectorIiNS0_10empty_typeEEEZZNS1_27merge_sort_block_merge_implIS3_N6thrust23THRUST_200600_302600_NS10device_ptrIiEEPS5_jNS1_19radix_merge_compareILb0ELb0EiNS0_19identity_decomposerEEEEE10hipError_tT0_T1_T2_jT3_P12ihipStream_tbPNSt15iterator_traitsISH_E10value_typeEPNSN_ISI_E10value_typeEPSJ_NS1_7vsmem_tEENKUlT_SH_SI_SJ_E_clISB_PiSC_SC_EESG_SW_SH_SI_SJ_EUlSW_E0_NS1_11comp_targetILNS1_3genE3ELNS1_11target_archE908ELNS1_3gpuE7ELNS1_3repE0EEENS1_38merge_mergepath_config_static_selectorELNS0_4arch9wavefront6targetE0EEEvSI_
; %bb.0:
	.section	.rodata,"a",@progbits
	.p2align	6, 0x0
	.amdhsa_kernel _ZN7rocprim17ROCPRIM_400000_NS6detail17trampoline_kernelINS0_14default_configENS1_38merge_sort_block_merge_config_selectorIiNS0_10empty_typeEEEZZNS1_27merge_sort_block_merge_implIS3_N6thrust23THRUST_200600_302600_NS10device_ptrIiEEPS5_jNS1_19radix_merge_compareILb0ELb0EiNS0_19identity_decomposerEEEEE10hipError_tT0_T1_T2_jT3_P12ihipStream_tbPNSt15iterator_traitsISH_E10value_typeEPNSN_ISI_E10value_typeEPSJ_NS1_7vsmem_tEENKUlT_SH_SI_SJ_E_clISB_PiSC_SC_EESG_SW_SH_SI_SJ_EUlSW_E0_NS1_11comp_targetILNS1_3genE3ELNS1_11target_archE908ELNS1_3gpuE7ELNS1_3repE0EEENS1_38merge_mergepath_config_static_selectorELNS0_4arch9wavefront6targetE0EEEvSI_
		.amdhsa_group_segment_fixed_size 0
		.amdhsa_private_segment_fixed_size 0
		.amdhsa_kernarg_size 64
		.amdhsa_user_sgpr_count 6
		.amdhsa_user_sgpr_private_segment_buffer 1
		.amdhsa_user_sgpr_dispatch_ptr 0
		.amdhsa_user_sgpr_queue_ptr 0
		.amdhsa_user_sgpr_kernarg_segment_ptr 1
		.amdhsa_user_sgpr_dispatch_id 0
		.amdhsa_user_sgpr_flat_scratch_init 0
		.amdhsa_user_sgpr_private_segment_size 0
		.amdhsa_wavefront_size32 1
		.amdhsa_uses_dynamic_stack 0
		.amdhsa_system_sgpr_private_segment_wavefront_offset 0
		.amdhsa_system_sgpr_workgroup_id_x 1
		.amdhsa_system_sgpr_workgroup_id_y 0
		.amdhsa_system_sgpr_workgroup_id_z 0
		.amdhsa_system_sgpr_workgroup_info 0
		.amdhsa_system_vgpr_workitem_id 0
		.amdhsa_next_free_vgpr 1
		.amdhsa_next_free_sgpr 1
		.amdhsa_reserve_vcc 0
		.amdhsa_reserve_flat_scratch 0
		.amdhsa_float_round_mode_32 0
		.amdhsa_float_round_mode_16_64 0
		.amdhsa_float_denorm_mode_32 3
		.amdhsa_float_denorm_mode_16_64 3
		.amdhsa_dx10_clamp 1
		.amdhsa_ieee_mode 1
		.amdhsa_fp16_overflow 0
		.amdhsa_workgroup_processor_mode 1
		.amdhsa_memory_ordered 1
		.amdhsa_forward_progress 1
		.amdhsa_shared_vgpr_count 0
		.amdhsa_exception_fp_ieee_invalid_op 0
		.amdhsa_exception_fp_denorm_src 0
		.amdhsa_exception_fp_ieee_div_zero 0
		.amdhsa_exception_fp_ieee_overflow 0
		.amdhsa_exception_fp_ieee_underflow 0
		.amdhsa_exception_fp_ieee_inexact 0
		.amdhsa_exception_int_div_zero 0
	.end_amdhsa_kernel
	.section	.text._ZN7rocprim17ROCPRIM_400000_NS6detail17trampoline_kernelINS0_14default_configENS1_38merge_sort_block_merge_config_selectorIiNS0_10empty_typeEEEZZNS1_27merge_sort_block_merge_implIS3_N6thrust23THRUST_200600_302600_NS10device_ptrIiEEPS5_jNS1_19radix_merge_compareILb0ELb0EiNS0_19identity_decomposerEEEEE10hipError_tT0_T1_T2_jT3_P12ihipStream_tbPNSt15iterator_traitsISH_E10value_typeEPNSN_ISI_E10value_typeEPSJ_NS1_7vsmem_tEENKUlT_SH_SI_SJ_E_clISB_PiSC_SC_EESG_SW_SH_SI_SJ_EUlSW_E0_NS1_11comp_targetILNS1_3genE3ELNS1_11target_archE908ELNS1_3gpuE7ELNS1_3repE0EEENS1_38merge_mergepath_config_static_selectorELNS0_4arch9wavefront6targetE0EEEvSI_,"axG",@progbits,_ZN7rocprim17ROCPRIM_400000_NS6detail17trampoline_kernelINS0_14default_configENS1_38merge_sort_block_merge_config_selectorIiNS0_10empty_typeEEEZZNS1_27merge_sort_block_merge_implIS3_N6thrust23THRUST_200600_302600_NS10device_ptrIiEEPS5_jNS1_19radix_merge_compareILb0ELb0EiNS0_19identity_decomposerEEEEE10hipError_tT0_T1_T2_jT3_P12ihipStream_tbPNSt15iterator_traitsISH_E10value_typeEPNSN_ISI_E10value_typeEPSJ_NS1_7vsmem_tEENKUlT_SH_SI_SJ_E_clISB_PiSC_SC_EESG_SW_SH_SI_SJ_EUlSW_E0_NS1_11comp_targetILNS1_3genE3ELNS1_11target_archE908ELNS1_3gpuE7ELNS1_3repE0EEENS1_38merge_mergepath_config_static_selectorELNS0_4arch9wavefront6targetE0EEEvSI_,comdat
.Lfunc_end1148:
	.size	_ZN7rocprim17ROCPRIM_400000_NS6detail17trampoline_kernelINS0_14default_configENS1_38merge_sort_block_merge_config_selectorIiNS0_10empty_typeEEEZZNS1_27merge_sort_block_merge_implIS3_N6thrust23THRUST_200600_302600_NS10device_ptrIiEEPS5_jNS1_19radix_merge_compareILb0ELb0EiNS0_19identity_decomposerEEEEE10hipError_tT0_T1_T2_jT3_P12ihipStream_tbPNSt15iterator_traitsISH_E10value_typeEPNSN_ISI_E10value_typeEPSJ_NS1_7vsmem_tEENKUlT_SH_SI_SJ_E_clISB_PiSC_SC_EESG_SW_SH_SI_SJ_EUlSW_E0_NS1_11comp_targetILNS1_3genE3ELNS1_11target_archE908ELNS1_3gpuE7ELNS1_3repE0EEENS1_38merge_mergepath_config_static_selectorELNS0_4arch9wavefront6targetE0EEEvSI_, .Lfunc_end1148-_ZN7rocprim17ROCPRIM_400000_NS6detail17trampoline_kernelINS0_14default_configENS1_38merge_sort_block_merge_config_selectorIiNS0_10empty_typeEEEZZNS1_27merge_sort_block_merge_implIS3_N6thrust23THRUST_200600_302600_NS10device_ptrIiEEPS5_jNS1_19radix_merge_compareILb0ELb0EiNS0_19identity_decomposerEEEEE10hipError_tT0_T1_T2_jT3_P12ihipStream_tbPNSt15iterator_traitsISH_E10value_typeEPNSN_ISI_E10value_typeEPSJ_NS1_7vsmem_tEENKUlT_SH_SI_SJ_E_clISB_PiSC_SC_EESG_SW_SH_SI_SJ_EUlSW_E0_NS1_11comp_targetILNS1_3genE3ELNS1_11target_archE908ELNS1_3gpuE7ELNS1_3repE0EEENS1_38merge_mergepath_config_static_selectorELNS0_4arch9wavefront6targetE0EEEvSI_
                                        ; -- End function
	.set _ZN7rocprim17ROCPRIM_400000_NS6detail17trampoline_kernelINS0_14default_configENS1_38merge_sort_block_merge_config_selectorIiNS0_10empty_typeEEEZZNS1_27merge_sort_block_merge_implIS3_N6thrust23THRUST_200600_302600_NS10device_ptrIiEEPS5_jNS1_19radix_merge_compareILb0ELb0EiNS0_19identity_decomposerEEEEE10hipError_tT0_T1_T2_jT3_P12ihipStream_tbPNSt15iterator_traitsISH_E10value_typeEPNSN_ISI_E10value_typeEPSJ_NS1_7vsmem_tEENKUlT_SH_SI_SJ_E_clISB_PiSC_SC_EESG_SW_SH_SI_SJ_EUlSW_E0_NS1_11comp_targetILNS1_3genE3ELNS1_11target_archE908ELNS1_3gpuE7ELNS1_3repE0EEENS1_38merge_mergepath_config_static_selectorELNS0_4arch9wavefront6targetE0EEEvSI_.num_vgpr, 0
	.set _ZN7rocprim17ROCPRIM_400000_NS6detail17trampoline_kernelINS0_14default_configENS1_38merge_sort_block_merge_config_selectorIiNS0_10empty_typeEEEZZNS1_27merge_sort_block_merge_implIS3_N6thrust23THRUST_200600_302600_NS10device_ptrIiEEPS5_jNS1_19radix_merge_compareILb0ELb0EiNS0_19identity_decomposerEEEEE10hipError_tT0_T1_T2_jT3_P12ihipStream_tbPNSt15iterator_traitsISH_E10value_typeEPNSN_ISI_E10value_typeEPSJ_NS1_7vsmem_tEENKUlT_SH_SI_SJ_E_clISB_PiSC_SC_EESG_SW_SH_SI_SJ_EUlSW_E0_NS1_11comp_targetILNS1_3genE3ELNS1_11target_archE908ELNS1_3gpuE7ELNS1_3repE0EEENS1_38merge_mergepath_config_static_selectorELNS0_4arch9wavefront6targetE0EEEvSI_.num_agpr, 0
	.set _ZN7rocprim17ROCPRIM_400000_NS6detail17trampoline_kernelINS0_14default_configENS1_38merge_sort_block_merge_config_selectorIiNS0_10empty_typeEEEZZNS1_27merge_sort_block_merge_implIS3_N6thrust23THRUST_200600_302600_NS10device_ptrIiEEPS5_jNS1_19radix_merge_compareILb0ELb0EiNS0_19identity_decomposerEEEEE10hipError_tT0_T1_T2_jT3_P12ihipStream_tbPNSt15iterator_traitsISH_E10value_typeEPNSN_ISI_E10value_typeEPSJ_NS1_7vsmem_tEENKUlT_SH_SI_SJ_E_clISB_PiSC_SC_EESG_SW_SH_SI_SJ_EUlSW_E0_NS1_11comp_targetILNS1_3genE3ELNS1_11target_archE908ELNS1_3gpuE7ELNS1_3repE0EEENS1_38merge_mergepath_config_static_selectorELNS0_4arch9wavefront6targetE0EEEvSI_.numbered_sgpr, 0
	.set _ZN7rocprim17ROCPRIM_400000_NS6detail17trampoline_kernelINS0_14default_configENS1_38merge_sort_block_merge_config_selectorIiNS0_10empty_typeEEEZZNS1_27merge_sort_block_merge_implIS3_N6thrust23THRUST_200600_302600_NS10device_ptrIiEEPS5_jNS1_19radix_merge_compareILb0ELb0EiNS0_19identity_decomposerEEEEE10hipError_tT0_T1_T2_jT3_P12ihipStream_tbPNSt15iterator_traitsISH_E10value_typeEPNSN_ISI_E10value_typeEPSJ_NS1_7vsmem_tEENKUlT_SH_SI_SJ_E_clISB_PiSC_SC_EESG_SW_SH_SI_SJ_EUlSW_E0_NS1_11comp_targetILNS1_3genE3ELNS1_11target_archE908ELNS1_3gpuE7ELNS1_3repE0EEENS1_38merge_mergepath_config_static_selectorELNS0_4arch9wavefront6targetE0EEEvSI_.num_named_barrier, 0
	.set _ZN7rocprim17ROCPRIM_400000_NS6detail17trampoline_kernelINS0_14default_configENS1_38merge_sort_block_merge_config_selectorIiNS0_10empty_typeEEEZZNS1_27merge_sort_block_merge_implIS3_N6thrust23THRUST_200600_302600_NS10device_ptrIiEEPS5_jNS1_19radix_merge_compareILb0ELb0EiNS0_19identity_decomposerEEEEE10hipError_tT0_T1_T2_jT3_P12ihipStream_tbPNSt15iterator_traitsISH_E10value_typeEPNSN_ISI_E10value_typeEPSJ_NS1_7vsmem_tEENKUlT_SH_SI_SJ_E_clISB_PiSC_SC_EESG_SW_SH_SI_SJ_EUlSW_E0_NS1_11comp_targetILNS1_3genE3ELNS1_11target_archE908ELNS1_3gpuE7ELNS1_3repE0EEENS1_38merge_mergepath_config_static_selectorELNS0_4arch9wavefront6targetE0EEEvSI_.private_seg_size, 0
	.set _ZN7rocprim17ROCPRIM_400000_NS6detail17trampoline_kernelINS0_14default_configENS1_38merge_sort_block_merge_config_selectorIiNS0_10empty_typeEEEZZNS1_27merge_sort_block_merge_implIS3_N6thrust23THRUST_200600_302600_NS10device_ptrIiEEPS5_jNS1_19radix_merge_compareILb0ELb0EiNS0_19identity_decomposerEEEEE10hipError_tT0_T1_T2_jT3_P12ihipStream_tbPNSt15iterator_traitsISH_E10value_typeEPNSN_ISI_E10value_typeEPSJ_NS1_7vsmem_tEENKUlT_SH_SI_SJ_E_clISB_PiSC_SC_EESG_SW_SH_SI_SJ_EUlSW_E0_NS1_11comp_targetILNS1_3genE3ELNS1_11target_archE908ELNS1_3gpuE7ELNS1_3repE0EEENS1_38merge_mergepath_config_static_selectorELNS0_4arch9wavefront6targetE0EEEvSI_.uses_vcc, 0
	.set _ZN7rocprim17ROCPRIM_400000_NS6detail17trampoline_kernelINS0_14default_configENS1_38merge_sort_block_merge_config_selectorIiNS0_10empty_typeEEEZZNS1_27merge_sort_block_merge_implIS3_N6thrust23THRUST_200600_302600_NS10device_ptrIiEEPS5_jNS1_19radix_merge_compareILb0ELb0EiNS0_19identity_decomposerEEEEE10hipError_tT0_T1_T2_jT3_P12ihipStream_tbPNSt15iterator_traitsISH_E10value_typeEPNSN_ISI_E10value_typeEPSJ_NS1_7vsmem_tEENKUlT_SH_SI_SJ_E_clISB_PiSC_SC_EESG_SW_SH_SI_SJ_EUlSW_E0_NS1_11comp_targetILNS1_3genE3ELNS1_11target_archE908ELNS1_3gpuE7ELNS1_3repE0EEENS1_38merge_mergepath_config_static_selectorELNS0_4arch9wavefront6targetE0EEEvSI_.uses_flat_scratch, 0
	.set _ZN7rocprim17ROCPRIM_400000_NS6detail17trampoline_kernelINS0_14default_configENS1_38merge_sort_block_merge_config_selectorIiNS0_10empty_typeEEEZZNS1_27merge_sort_block_merge_implIS3_N6thrust23THRUST_200600_302600_NS10device_ptrIiEEPS5_jNS1_19radix_merge_compareILb0ELb0EiNS0_19identity_decomposerEEEEE10hipError_tT0_T1_T2_jT3_P12ihipStream_tbPNSt15iterator_traitsISH_E10value_typeEPNSN_ISI_E10value_typeEPSJ_NS1_7vsmem_tEENKUlT_SH_SI_SJ_E_clISB_PiSC_SC_EESG_SW_SH_SI_SJ_EUlSW_E0_NS1_11comp_targetILNS1_3genE3ELNS1_11target_archE908ELNS1_3gpuE7ELNS1_3repE0EEENS1_38merge_mergepath_config_static_selectorELNS0_4arch9wavefront6targetE0EEEvSI_.has_dyn_sized_stack, 0
	.set _ZN7rocprim17ROCPRIM_400000_NS6detail17trampoline_kernelINS0_14default_configENS1_38merge_sort_block_merge_config_selectorIiNS0_10empty_typeEEEZZNS1_27merge_sort_block_merge_implIS3_N6thrust23THRUST_200600_302600_NS10device_ptrIiEEPS5_jNS1_19radix_merge_compareILb0ELb0EiNS0_19identity_decomposerEEEEE10hipError_tT0_T1_T2_jT3_P12ihipStream_tbPNSt15iterator_traitsISH_E10value_typeEPNSN_ISI_E10value_typeEPSJ_NS1_7vsmem_tEENKUlT_SH_SI_SJ_E_clISB_PiSC_SC_EESG_SW_SH_SI_SJ_EUlSW_E0_NS1_11comp_targetILNS1_3genE3ELNS1_11target_archE908ELNS1_3gpuE7ELNS1_3repE0EEENS1_38merge_mergepath_config_static_selectorELNS0_4arch9wavefront6targetE0EEEvSI_.has_recursion, 0
	.set _ZN7rocprim17ROCPRIM_400000_NS6detail17trampoline_kernelINS0_14default_configENS1_38merge_sort_block_merge_config_selectorIiNS0_10empty_typeEEEZZNS1_27merge_sort_block_merge_implIS3_N6thrust23THRUST_200600_302600_NS10device_ptrIiEEPS5_jNS1_19radix_merge_compareILb0ELb0EiNS0_19identity_decomposerEEEEE10hipError_tT0_T1_T2_jT3_P12ihipStream_tbPNSt15iterator_traitsISH_E10value_typeEPNSN_ISI_E10value_typeEPSJ_NS1_7vsmem_tEENKUlT_SH_SI_SJ_E_clISB_PiSC_SC_EESG_SW_SH_SI_SJ_EUlSW_E0_NS1_11comp_targetILNS1_3genE3ELNS1_11target_archE908ELNS1_3gpuE7ELNS1_3repE0EEENS1_38merge_mergepath_config_static_selectorELNS0_4arch9wavefront6targetE0EEEvSI_.has_indirect_call, 0
	.section	.AMDGPU.csdata,"",@progbits
; Kernel info:
; codeLenInByte = 0
; TotalNumSgprs: 0
; NumVgprs: 0
; ScratchSize: 0
; MemoryBound: 0
; FloatMode: 240
; IeeeMode: 1
; LDSByteSize: 0 bytes/workgroup (compile time only)
; SGPRBlocks: 0
; VGPRBlocks: 0
; NumSGPRsForWavesPerEU: 1
; NumVGPRsForWavesPerEU: 1
; Occupancy: 16
; WaveLimiterHint : 0
; COMPUTE_PGM_RSRC2:SCRATCH_EN: 0
; COMPUTE_PGM_RSRC2:USER_SGPR: 6
; COMPUTE_PGM_RSRC2:TRAP_HANDLER: 0
; COMPUTE_PGM_RSRC2:TGID_X_EN: 1
; COMPUTE_PGM_RSRC2:TGID_Y_EN: 0
; COMPUTE_PGM_RSRC2:TGID_Z_EN: 0
; COMPUTE_PGM_RSRC2:TIDIG_COMP_CNT: 0
	.section	.text._ZN7rocprim17ROCPRIM_400000_NS6detail17trampoline_kernelINS0_14default_configENS1_38merge_sort_block_merge_config_selectorIiNS0_10empty_typeEEEZZNS1_27merge_sort_block_merge_implIS3_N6thrust23THRUST_200600_302600_NS10device_ptrIiEEPS5_jNS1_19radix_merge_compareILb0ELb0EiNS0_19identity_decomposerEEEEE10hipError_tT0_T1_T2_jT3_P12ihipStream_tbPNSt15iterator_traitsISH_E10value_typeEPNSN_ISI_E10value_typeEPSJ_NS1_7vsmem_tEENKUlT_SH_SI_SJ_E_clISB_PiSC_SC_EESG_SW_SH_SI_SJ_EUlSW_E0_NS1_11comp_targetILNS1_3genE2ELNS1_11target_archE906ELNS1_3gpuE6ELNS1_3repE0EEENS1_38merge_mergepath_config_static_selectorELNS0_4arch9wavefront6targetE0EEEvSI_,"axG",@progbits,_ZN7rocprim17ROCPRIM_400000_NS6detail17trampoline_kernelINS0_14default_configENS1_38merge_sort_block_merge_config_selectorIiNS0_10empty_typeEEEZZNS1_27merge_sort_block_merge_implIS3_N6thrust23THRUST_200600_302600_NS10device_ptrIiEEPS5_jNS1_19radix_merge_compareILb0ELb0EiNS0_19identity_decomposerEEEEE10hipError_tT0_T1_T2_jT3_P12ihipStream_tbPNSt15iterator_traitsISH_E10value_typeEPNSN_ISI_E10value_typeEPSJ_NS1_7vsmem_tEENKUlT_SH_SI_SJ_E_clISB_PiSC_SC_EESG_SW_SH_SI_SJ_EUlSW_E0_NS1_11comp_targetILNS1_3genE2ELNS1_11target_archE906ELNS1_3gpuE6ELNS1_3repE0EEENS1_38merge_mergepath_config_static_selectorELNS0_4arch9wavefront6targetE0EEEvSI_,comdat
	.protected	_ZN7rocprim17ROCPRIM_400000_NS6detail17trampoline_kernelINS0_14default_configENS1_38merge_sort_block_merge_config_selectorIiNS0_10empty_typeEEEZZNS1_27merge_sort_block_merge_implIS3_N6thrust23THRUST_200600_302600_NS10device_ptrIiEEPS5_jNS1_19radix_merge_compareILb0ELb0EiNS0_19identity_decomposerEEEEE10hipError_tT0_T1_T2_jT3_P12ihipStream_tbPNSt15iterator_traitsISH_E10value_typeEPNSN_ISI_E10value_typeEPSJ_NS1_7vsmem_tEENKUlT_SH_SI_SJ_E_clISB_PiSC_SC_EESG_SW_SH_SI_SJ_EUlSW_E0_NS1_11comp_targetILNS1_3genE2ELNS1_11target_archE906ELNS1_3gpuE6ELNS1_3repE0EEENS1_38merge_mergepath_config_static_selectorELNS0_4arch9wavefront6targetE0EEEvSI_ ; -- Begin function _ZN7rocprim17ROCPRIM_400000_NS6detail17trampoline_kernelINS0_14default_configENS1_38merge_sort_block_merge_config_selectorIiNS0_10empty_typeEEEZZNS1_27merge_sort_block_merge_implIS3_N6thrust23THRUST_200600_302600_NS10device_ptrIiEEPS5_jNS1_19radix_merge_compareILb0ELb0EiNS0_19identity_decomposerEEEEE10hipError_tT0_T1_T2_jT3_P12ihipStream_tbPNSt15iterator_traitsISH_E10value_typeEPNSN_ISI_E10value_typeEPSJ_NS1_7vsmem_tEENKUlT_SH_SI_SJ_E_clISB_PiSC_SC_EESG_SW_SH_SI_SJ_EUlSW_E0_NS1_11comp_targetILNS1_3genE2ELNS1_11target_archE906ELNS1_3gpuE6ELNS1_3repE0EEENS1_38merge_mergepath_config_static_selectorELNS0_4arch9wavefront6targetE0EEEvSI_
	.globl	_ZN7rocprim17ROCPRIM_400000_NS6detail17trampoline_kernelINS0_14default_configENS1_38merge_sort_block_merge_config_selectorIiNS0_10empty_typeEEEZZNS1_27merge_sort_block_merge_implIS3_N6thrust23THRUST_200600_302600_NS10device_ptrIiEEPS5_jNS1_19radix_merge_compareILb0ELb0EiNS0_19identity_decomposerEEEEE10hipError_tT0_T1_T2_jT3_P12ihipStream_tbPNSt15iterator_traitsISH_E10value_typeEPNSN_ISI_E10value_typeEPSJ_NS1_7vsmem_tEENKUlT_SH_SI_SJ_E_clISB_PiSC_SC_EESG_SW_SH_SI_SJ_EUlSW_E0_NS1_11comp_targetILNS1_3genE2ELNS1_11target_archE906ELNS1_3gpuE6ELNS1_3repE0EEENS1_38merge_mergepath_config_static_selectorELNS0_4arch9wavefront6targetE0EEEvSI_
	.p2align	8
	.type	_ZN7rocprim17ROCPRIM_400000_NS6detail17trampoline_kernelINS0_14default_configENS1_38merge_sort_block_merge_config_selectorIiNS0_10empty_typeEEEZZNS1_27merge_sort_block_merge_implIS3_N6thrust23THRUST_200600_302600_NS10device_ptrIiEEPS5_jNS1_19radix_merge_compareILb0ELb0EiNS0_19identity_decomposerEEEEE10hipError_tT0_T1_T2_jT3_P12ihipStream_tbPNSt15iterator_traitsISH_E10value_typeEPNSN_ISI_E10value_typeEPSJ_NS1_7vsmem_tEENKUlT_SH_SI_SJ_E_clISB_PiSC_SC_EESG_SW_SH_SI_SJ_EUlSW_E0_NS1_11comp_targetILNS1_3genE2ELNS1_11target_archE906ELNS1_3gpuE6ELNS1_3repE0EEENS1_38merge_mergepath_config_static_selectorELNS0_4arch9wavefront6targetE0EEEvSI_,@function
_ZN7rocprim17ROCPRIM_400000_NS6detail17trampoline_kernelINS0_14default_configENS1_38merge_sort_block_merge_config_selectorIiNS0_10empty_typeEEEZZNS1_27merge_sort_block_merge_implIS3_N6thrust23THRUST_200600_302600_NS10device_ptrIiEEPS5_jNS1_19radix_merge_compareILb0ELb0EiNS0_19identity_decomposerEEEEE10hipError_tT0_T1_T2_jT3_P12ihipStream_tbPNSt15iterator_traitsISH_E10value_typeEPNSN_ISI_E10value_typeEPSJ_NS1_7vsmem_tEENKUlT_SH_SI_SJ_E_clISB_PiSC_SC_EESG_SW_SH_SI_SJ_EUlSW_E0_NS1_11comp_targetILNS1_3genE2ELNS1_11target_archE906ELNS1_3gpuE6ELNS1_3repE0EEENS1_38merge_mergepath_config_static_selectorELNS0_4arch9wavefront6targetE0EEEvSI_: ; @_ZN7rocprim17ROCPRIM_400000_NS6detail17trampoline_kernelINS0_14default_configENS1_38merge_sort_block_merge_config_selectorIiNS0_10empty_typeEEEZZNS1_27merge_sort_block_merge_implIS3_N6thrust23THRUST_200600_302600_NS10device_ptrIiEEPS5_jNS1_19radix_merge_compareILb0ELb0EiNS0_19identity_decomposerEEEEE10hipError_tT0_T1_T2_jT3_P12ihipStream_tbPNSt15iterator_traitsISH_E10value_typeEPNSN_ISI_E10value_typeEPSJ_NS1_7vsmem_tEENKUlT_SH_SI_SJ_E_clISB_PiSC_SC_EESG_SW_SH_SI_SJ_EUlSW_E0_NS1_11comp_targetILNS1_3genE2ELNS1_11target_archE906ELNS1_3gpuE6ELNS1_3repE0EEENS1_38merge_mergepath_config_static_selectorELNS0_4arch9wavefront6targetE0EEEvSI_
; %bb.0:
	.section	.rodata,"a",@progbits
	.p2align	6, 0x0
	.amdhsa_kernel _ZN7rocprim17ROCPRIM_400000_NS6detail17trampoline_kernelINS0_14default_configENS1_38merge_sort_block_merge_config_selectorIiNS0_10empty_typeEEEZZNS1_27merge_sort_block_merge_implIS3_N6thrust23THRUST_200600_302600_NS10device_ptrIiEEPS5_jNS1_19radix_merge_compareILb0ELb0EiNS0_19identity_decomposerEEEEE10hipError_tT0_T1_T2_jT3_P12ihipStream_tbPNSt15iterator_traitsISH_E10value_typeEPNSN_ISI_E10value_typeEPSJ_NS1_7vsmem_tEENKUlT_SH_SI_SJ_E_clISB_PiSC_SC_EESG_SW_SH_SI_SJ_EUlSW_E0_NS1_11comp_targetILNS1_3genE2ELNS1_11target_archE906ELNS1_3gpuE6ELNS1_3repE0EEENS1_38merge_mergepath_config_static_selectorELNS0_4arch9wavefront6targetE0EEEvSI_
		.amdhsa_group_segment_fixed_size 0
		.amdhsa_private_segment_fixed_size 0
		.amdhsa_kernarg_size 64
		.amdhsa_user_sgpr_count 6
		.amdhsa_user_sgpr_private_segment_buffer 1
		.amdhsa_user_sgpr_dispatch_ptr 0
		.amdhsa_user_sgpr_queue_ptr 0
		.amdhsa_user_sgpr_kernarg_segment_ptr 1
		.amdhsa_user_sgpr_dispatch_id 0
		.amdhsa_user_sgpr_flat_scratch_init 0
		.amdhsa_user_sgpr_private_segment_size 0
		.amdhsa_wavefront_size32 1
		.amdhsa_uses_dynamic_stack 0
		.amdhsa_system_sgpr_private_segment_wavefront_offset 0
		.amdhsa_system_sgpr_workgroup_id_x 1
		.amdhsa_system_sgpr_workgroup_id_y 0
		.amdhsa_system_sgpr_workgroup_id_z 0
		.amdhsa_system_sgpr_workgroup_info 0
		.amdhsa_system_vgpr_workitem_id 0
		.amdhsa_next_free_vgpr 1
		.amdhsa_next_free_sgpr 1
		.amdhsa_reserve_vcc 0
		.amdhsa_reserve_flat_scratch 0
		.amdhsa_float_round_mode_32 0
		.amdhsa_float_round_mode_16_64 0
		.amdhsa_float_denorm_mode_32 3
		.amdhsa_float_denorm_mode_16_64 3
		.amdhsa_dx10_clamp 1
		.amdhsa_ieee_mode 1
		.amdhsa_fp16_overflow 0
		.amdhsa_workgroup_processor_mode 1
		.amdhsa_memory_ordered 1
		.amdhsa_forward_progress 1
		.amdhsa_shared_vgpr_count 0
		.amdhsa_exception_fp_ieee_invalid_op 0
		.amdhsa_exception_fp_denorm_src 0
		.amdhsa_exception_fp_ieee_div_zero 0
		.amdhsa_exception_fp_ieee_overflow 0
		.amdhsa_exception_fp_ieee_underflow 0
		.amdhsa_exception_fp_ieee_inexact 0
		.amdhsa_exception_int_div_zero 0
	.end_amdhsa_kernel
	.section	.text._ZN7rocprim17ROCPRIM_400000_NS6detail17trampoline_kernelINS0_14default_configENS1_38merge_sort_block_merge_config_selectorIiNS0_10empty_typeEEEZZNS1_27merge_sort_block_merge_implIS3_N6thrust23THRUST_200600_302600_NS10device_ptrIiEEPS5_jNS1_19radix_merge_compareILb0ELb0EiNS0_19identity_decomposerEEEEE10hipError_tT0_T1_T2_jT3_P12ihipStream_tbPNSt15iterator_traitsISH_E10value_typeEPNSN_ISI_E10value_typeEPSJ_NS1_7vsmem_tEENKUlT_SH_SI_SJ_E_clISB_PiSC_SC_EESG_SW_SH_SI_SJ_EUlSW_E0_NS1_11comp_targetILNS1_3genE2ELNS1_11target_archE906ELNS1_3gpuE6ELNS1_3repE0EEENS1_38merge_mergepath_config_static_selectorELNS0_4arch9wavefront6targetE0EEEvSI_,"axG",@progbits,_ZN7rocprim17ROCPRIM_400000_NS6detail17trampoline_kernelINS0_14default_configENS1_38merge_sort_block_merge_config_selectorIiNS0_10empty_typeEEEZZNS1_27merge_sort_block_merge_implIS3_N6thrust23THRUST_200600_302600_NS10device_ptrIiEEPS5_jNS1_19radix_merge_compareILb0ELb0EiNS0_19identity_decomposerEEEEE10hipError_tT0_T1_T2_jT3_P12ihipStream_tbPNSt15iterator_traitsISH_E10value_typeEPNSN_ISI_E10value_typeEPSJ_NS1_7vsmem_tEENKUlT_SH_SI_SJ_E_clISB_PiSC_SC_EESG_SW_SH_SI_SJ_EUlSW_E0_NS1_11comp_targetILNS1_3genE2ELNS1_11target_archE906ELNS1_3gpuE6ELNS1_3repE0EEENS1_38merge_mergepath_config_static_selectorELNS0_4arch9wavefront6targetE0EEEvSI_,comdat
.Lfunc_end1149:
	.size	_ZN7rocprim17ROCPRIM_400000_NS6detail17trampoline_kernelINS0_14default_configENS1_38merge_sort_block_merge_config_selectorIiNS0_10empty_typeEEEZZNS1_27merge_sort_block_merge_implIS3_N6thrust23THRUST_200600_302600_NS10device_ptrIiEEPS5_jNS1_19radix_merge_compareILb0ELb0EiNS0_19identity_decomposerEEEEE10hipError_tT0_T1_T2_jT3_P12ihipStream_tbPNSt15iterator_traitsISH_E10value_typeEPNSN_ISI_E10value_typeEPSJ_NS1_7vsmem_tEENKUlT_SH_SI_SJ_E_clISB_PiSC_SC_EESG_SW_SH_SI_SJ_EUlSW_E0_NS1_11comp_targetILNS1_3genE2ELNS1_11target_archE906ELNS1_3gpuE6ELNS1_3repE0EEENS1_38merge_mergepath_config_static_selectorELNS0_4arch9wavefront6targetE0EEEvSI_, .Lfunc_end1149-_ZN7rocprim17ROCPRIM_400000_NS6detail17trampoline_kernelINS0_14default_configENS1_38merge_sort_block_merge_config_selectorIiNS0_10empty_typeEEEZZNS1_27merge_sort_block_merge_implIS3_N6thrust23THRUST_200600_302600_NS10device_ptrIiEEPS5_jNS1_19radix_merge_compareILb0ELb0EiNS0_19identity_decomposerEEEEE10hipError_tT0_T1_T2_jT3_P12ihipStream_tbPNSt15iterator_traitsISH_E10value_typeEPNSN_ISI_E10value_typeEPSJ_NS1_7vsmem_tEENKUlT_SH_SI_SJ_E_clISB_PiSC_SC_EESG_SW_SH_SI_SJ_EUlSW_E0_NS1_11comp_targetILNS1_3genE2ELNS1_11target_archE906ELNS1_3gpuE6ELNS1_3repE0EEENS1_38merge_mergepath_config_static_selectorELNS0_4arch9wavefront6targetE0EEEvSI_
                                        ; -- End function
	.set _ZN7rocprim17ROCPRIM_400000_NS6detail17trampoline_kernelINS0_14default_configENS1_38merge_sort_block_merge_config_selectorIiNS0_10empty_typeEEEZZNS1_27merge_sort_block_merge_implIS3_N6thrust23THRUST_200600_302600_NS10device_ptrIiEEPS5_jNS1_19radix_merge_compareILb0ELb0EiNS0_19identity_decomposerEEEEE10hipError_tT0_T1_T2_jT3_P12ihipStream_tbPNSt15iterator_traitsISH_E10value_typeEPNSN_ISI_E10value_typeEPSJ_NS1_7vsmem_tEENKUlT_SH_SI_SJ_E_clISB_PiSC_SC_EESG_SW_SH_SI_SJ_EUlSW_E0_NS1_11comp_targetILNS1_3genE2ELNS1_11target_archE906ELNS1_3gpuE6ELNS1_3repE0EEENS1_38merge_mergepath_config_static_selectorELNS0_4arch9wavefront6targetE0EEEvSI_.num_vgpr, 0
	.set _ZN7rocprim17ROCPRIM_400000_NS6detail17trampoline_kernelINS0_14default_configENS1_38merge_sort_block_merge_config_selectorIiNS0_10empty_typeEEEZZNS1_27merge_sort_block_merge_implIS3_N6thrust23THRUST_200600_302600_NS10device_ptrIiEEPS5_jNS1_19radix_merge_compareILb0ELb0EiNS0_19identity_decomposerEEEEE10hipError_tT0_T1_T2_jT3_P12ihipStream_tbPNSt15iterator_traitsISH_E10value_typeEPNSN_ISI_E10value_typeEPSJ_NS1_7vsmem_tEENKUlT_SH_SI_SJ_E_clISB_PiSC_SC_EESG_SW_SH_SI_SJ_EUlSW_E0_NS1_11comp_targetILNS1_3genE2ELNS1_11target_archE906ELNS1_3gpuE6ELNS1_3repE0EEENS1_38merge_mergepath_config_static_selectorELNS0_4arch9wavefront6targetE0EEEvSI_.num_agpr, 0
	.set _ZN7rocprim17ROCPRIM_400000_NS6detail17trampoline_kernelINS0_14default_configENS1_38merge_sort_block_merge_config_selectorIiNS0_10empty_typeEEEZZNS1_27merge_sort_block_merge_implIS3_N6thrust23THRUST_200600_302600_NS10device_ptrIiEEPS5_jNS1_19radix_merge_compareILb0ELb0EiNS0_19identity_decomposerEEEEE10hipError_tT0_T1_T2_jT3_P12ihipStream_tbPNSt15iterator_traitsISH_E10value_typeEPNSN_ISI_E10value_typeEPSJ_NS1_7vsmem_tEENKUlT_SH_SI_SJ_E_clISB_PiSC_SC_EESG_SW_SH_SI_SJ_EUlSW_E0_NS1_11comp_targetILNS1_3genE2ELNS1_11target_archE906ELNS1_3gpuE6ELNS1_3repE0EEENS1_38merge_mergepath_config_static_selectorELNS0_4arch9wavefront6targetE0EEEvSI_.numbered_sgpr, 0
	.set _ZN7rocprim17ROCPRIM_400000_NS6detail17trampoline_kernelINS0_14default_configENS1_38merge_sort_block_merge_config_selectorIiNS0_10empty_typeEEEZZNS1_27merge_sort_block_merge_implIS3_N6thrust23THRUST_200600_302600_NS10device_ptrIiEEPS5_jNS1_19radix_merge_compareILb0ELb0EiNS0_19identity_decomposerEEEEE10hipError_tT0_T1_T2_jT3_P12ihipStream_tbPNSt15iterator_traitsISH_E10value_typeEPNSN_ISI_E10value_typeEPSJ_NS1_7vsmem_tEENKUlT_SH_SI_SJ_E_clISB_PiSC_SC_EESG_SW_SH_SI_SJ_EUlSW_E0_NS1_11comp_targetILNS1_3genE2ELNS1_11target_archE906ELNS1_3gpuE6ELNS1_3repE0EEENS1_38merge_mergepath_config_static_selectorELNS0_4arch9wavefront6targetE0EEEvSI_.num_named_barrier, 0
	.set _ZN7rocprim17ROCPRIM_400000_NS6detail17trampoline_kernelINS0_14default_configENS1_38merge_sort_block_merge_config_selectorIiNS0_10empty_typeEEEZZNS1_27merge_sort_block_merge_implIS3_N6thrust23THRUST_200600_302600_NS10device_ptrIiEEPS5_jNS1_19radix_merge_compareILb0ELb0EiNS0_19identity_decomposerEEEEE10hipError_tT0_T1_T2_jT3_P12ihipStream_tbPNSt15iterator_traitsISH_E10value_typeEPNSN_ISI_E10value_typeEPSJ_NS1_7vsmem_tEENKUlT_SH_SI_SJ_E_clISB_PiSC_SC_EESG_SW_SH_SI_SJ_EUlSW_E0_NS1_11comp_targetILNS1_3genE2ELNS1_11target_archE906ELNS1_3gpuE6ELNS1_3repE0EEENS1_38merge_mergepath_config_static_selectorELNS0_4arch9wavefront6targetE0EEEvSI_.private_seg_size, 0
	.set _ZN7rocprim17ROCPRIM_400000_NS6detail17trampoline_kernelINS0_14default_configENS1_38merge_sort_block_merge_config_selectorIiNS0_10empty_typeEEEZZNS1_27merge_sort_block_merge_implIS3_N6thrust23THRUST_200600_302600_NS10device_ptrIiEEPS5_jNS1_19radix_merge_compareILb0ELb0EiNS0_19identity_decomposerEEEEE10hipError_tT0_T1_T2_jT3_P12ihipStream_tbPNSt15iterator_traitsISH_E10value_typeEPNSN_ISI_E10value_typeEPSJ_NS1_7vsmem_tEENKUlT_SH_SI_SJ_E_clISB_PiSC_SC_EESG_SW_SH_SI_SJ_EUlSW_E0_NS1_11comp_targetILNS1_3genE2ELNS1_11target_archE906ELNS1_3gpuE6ELNS1_3repE0EEENS1_38merge_mergepath_config_static_selectorELNS0_4arch9wavefront6targetE0EEEvSI_.uses_vcc, 0
	.set _ZN7rocprim17ROCPRIM_400000_NS6detail17trampoline_kernelINS0_14default_configENS1_38merge_sort_block_merge_config_selectorIiNS0_10empty_typeEEEZZNS1_27merge_sort_block_merge_implIS3_N6thrust23THRUST_200600_302600_NS10device_ptrIiEEPS5_jNS1_19radix_merge_compareILb0ELb0EiNS0_19identity_decomposerEEEEE10hipError_tT0_T1_T2_jT3_P12ihipStream_tbPNSt15iterator_traitsISH_E10value_typeEPNSN_ISI_E10value_typeEPSJ_NS1_7vsmem_tEENKUlT_SH_SI_SJ_E_clISB_PiSC_SC_EESG_SW_SH_SI_SJ_EUlSW_E0_NS1_11comp_targetILNS1_3genE2ELNS1_11target_archE906ELNS1_3gpuE6ELNS1_3repE0EEENS1_38merge_mergepath_config_static_selectorELNS0_4arch9wavefront6targetE0EEEvSI_.uses_flat_scratch, 0
	.set _ZN7rocprim17ROCPRIM_400000_NS6detail17trampoline_kernelINS0_14default_configENS1_38merge_sort_block_merge_config_selectorIiNS0_10empty_typeEEEZZNS1_27merge_sort_block_merge_implIS3_N6thrust23THRUST_200600_302600_NS10device_ptrIiEEPS5_jNS1_19radix_merge_compareILb0ELb0EiNS0_19identity_decomposerEEEEE10hipError_tT0_T1_T2_jT3_P12ihipStream_tbPNSt15iterator_traitsISH_E10value_typeEPNSN_ISI_E10value_typeEPSJ_NS1_7vsmem_tEENKUlT_SH_SI_SJ_E_clISB_PiSC_SC_EESG_SW_SH_SI_SJ_EUlSW_E0_NS1_11comp_targetILNS1_3genE2ELNS1_11target_archE906ELNS1_3gpuE6ELNS1_3repE0EEENS1_38merge_mergepath_config_static_selectorELNS0_4arch9wavefront6targetE0EEEvSI_.has_dyn_sized_stack, 0
	.set _ZN7rocprim17ROCPRIM_400000_NS6detail17trampoline_kernelINS0_14default_configENS1_38merge_sort_block_merge_config_selectorIiNS0_10empty_typeEEEZZNS1_27merge_sort_block_merge_implIS3_N6thrust23THRUST_200600_302600_NS10device_ptrIiEEPS5_jNS1_19radix_merge_compareILb0ELb0EiNS0_19identity_decomposerEEEEE10hipError_tT0_T1_T2_jT3_P12ihipStream_tbPNSt15iterator_traitsISH_E10value_typeEPNSN_ISI_E10value_typeEPSJ_NS1_7vsmem_tEENKUlT_SH_SI_SJ_E_clISB_PiSC_SC_EESG_SW_SH_SI_SJ_EUlSW_E0_NS1_11comp_targetILNS1_3genE2ELNS1_11target_archE906ELNS1_3gpuE6ELNS1_3repE0EEENS1_38merge_mergepath_config_static_selectorELNS0_4arch9wavefront6targetE0EEEvSI_.has_recursion, 0
	.set _ZN7rocprim17ROCPRIM_400000_NS6detail17trampoline_kernelINS0_14default_configENS1_38merge_sort_block_merge_config_selectorIiNS0_10empty_typeEEEZZNS1_27merge_sort_block_merge_implIS3_N6thrust23THRUST_200600_302600_NS10device_ptrIiEEPS5_jNS1_19radix_merge_compareILb0ELb0EiNS0_19identity_decomposerEEEEE10hipError_tT0_T1_T2_jT3_P12ihipStream_tbPNSt15iterator_traitsISH_E10value_typeEPNSN_ISI_E10value_typeEPSJ_NS1_7vsmem_tEENKUlT_SH_SI_SJ_E_clISB_PiSC_SC_EESG_SW_SH_SI_SJ_EUlSW_E0_NS1_11comp_targetILNS1_3genE2ELNS1_11target_archE906ELNS1_3gpuE6ELNS1_3repE0EEENS1_38merge_mergepath_config_static_selectorELNS0_4arch9wavefront6targetE0EEEvSI_.has_indirect_call, 0
	.section	.AMDGPU.csdata,"",@progbits
; Kernel info:
; codeLenInByte = 0
; TotalNumSgprs: 0
; NumVgprs: 0
; ScratchSize: 0
; MemoryBound: 0
; FloatMode: 240
; IeeeMode: 1
; LDSByteSize: 0 bytes/workgroup (compile time only)
; SGPRBlocks: 0
; VGPRBlocks: 0
; NumSGPRsForWavesPerEU: 1
; NumVGPRsForWavesPerEU: 1
; Occupancy: 16
; WaveLimiterHint : 0
; COMPUTE_PGM_RSRC2:SCRATCH_EN: 0
; COMPUTE_PGM_RSRC2:USER_SGPR: 6
; COMPUTE_PGM_RSRC2:TRAP_HANDLER: 0
; COMPUTE_PGM_RSRC2:TGID_X_EN: 1
; COMPUTE_PGM_RSRC2:TGID_Y_EN: 0
; COMPUTE_PGM_RSRC2:TGID_Z_EN: 0
; COMPUTE_PGM_RSRC2:TIDIG_COMP_CNT: 0
	.section	.text._ZN7rocprim17ROCPRIM_400000_NS6detail17trampoline_kernelINS0_14default_configENS1_38merge_sort_block_merge_config_selectorIiNS0_10empty_typeEEEZZNS1_27merge_sort_block_merge_implIS3_N6thrust23THRUST_200600_302600_NS10device_ptrIiEEPS5_jNS1_19radix_merge_compareILb0ELb0EiNS0_19identity_decomposerEEEEE10hipError_tT0_T1_T2_jT3_P12ihipStream_tbPNSt15iterator_traitsISH_E10value_typeEPNSN_ISI_E10value_typeEPSJ_NS1_7vsmem_tEENKUlT_SH_SI_SJ_E_clISB_PiSC_SC_EESG_SW_SH_SI_SJ_EUlSW_E0_NS1_11comp_targetILNS1_3genE9ELNS1_11target_archE1100ELNS1_3gpuE3ELNS1_3repE0EEENS1_38merge_mergepath_config_static_selectorELNS0_4arch9wavefront6targetE0EEEvSI_,"axG",@progbits,_ZN7rocprim17ROCPRIM_400000_NS6detail17trampoline_kernelINS0_14default_configENS1_38merge_sort_block_merge_config_selectorIiNS0_10empty_typeEEEZZNS1_27merge_sort_block_merge_implIS3_N6thrust23THRUST_200600_302600_NS10device_ptrIiEEPS5_jNS1_19radix_merge_compareILb0ELb0EiNS0_19identity_decomposerEEEEE10hipError_tT0_T1_T2_jT3_P12ihipStream_tbPNSt15iterator_traitsISH_E10value_typeEPNSN_ISI_E10value_typeEPSJ_NS1_7vsmem_tEENKUlT_SH_SI_SJ_E_clISB_PiSC_SC_EESG_SW_SH_SI_SJ_EUlSW_E0_NS1_11comp_targetILNS1_3genE9ELNS1_11target_archE1100ELNS1_3gpuE3ELNS1_3repE0EEENS1_38merge_mergepath_config_static_selectorELNS0_4arch9wavefront6targetE0EEEvSI_,comdat
	.protected	_ZN7rocprim17ROCPRIM_400000_NS6detail17trampoline_kernelINS0_14default_configENS1_38merge_sort_block_merge_config_selectorIiNS0_10empty_typeEEEZZNS1_27merge_sort_block_merge_implIS3_N6thrust23THRUST_200600_302600_NS10device_ptrIiEEPS5_jNS1_19radix_merge_compareILb0ELb0EiNS0_19identity_decomposerEEEEE10hipError_tT0_T1_T2_jT3_P12ihipStream_tbPNSt15iterator_traitsISH_E10value_typeEPNSN_ISI_E10value_typeEPSJ_NS1_7vsmem_tEENKUlT_SH_SI_SJ_E_clISB_PiSC_SC_EESG_SW_SH_SI_SJ_EUlSW_E0_NS1_11comp_targetILNS1_3genE9ELNS1_11target_archE1100ELNS1_3gpuE3ELNS1_3repE0EEENS1_38merge_mergepath_config_static_selectorELNS0_4arch9wavefront6targetE0EEEvSI_ ; -- Begin function _ZN7rocprim17ROCPRIM_400000_NS6detail17trampoline_kernelINS0_14default_configENS1_38merge_sort_block_merge_config_selectorIiNS0_10empty_typeEEEZZNS1_27merge_sort_block_merge_implIS3_N6thrust23THRUST_200600_302600_NS10device_ptrIiEEPS5_jNS1_19radix_merge_compareILb0ELb0EiNS0_19identity_decomposerEEEEE10hipError_tT0_T1_T2_jT3_P12ihipStream_tbPNSt15iterator_traitsISH_E10value_typeEPNSN_ISI_E10value_typeEPSJ_NS1_7vsmem_tEENKUlT_SH_SI_SJ_E_clISB_PiSC_SC_EESG_SW_SH_SI_SJ_EUlSW_E0_NS1_11comp_targetILNS1_3genE9ELNS1_11target_archE1100ELNS1_3gpuE3ELNS1_3repE0EEENS1_38merge_mergepath_config_static_selectorELNS0_4arch9wavefront6targetE0EEEvSI_
	.globl	_ZN7rocprim17ROCPRIM_400000_NS6detail17trampoline_kernelINS0_14default_configENS1_38merge_sort_block_merge_config_selectorIiNS0_10empty_typeEEEZZNS1_27merge_sort_block_merge_implIS3_N6thrust23THRUST_200600_302600_NS10device_ptrIiEEPS5_jNS1_19radix_merge_compareILb0ELb0EiNS0_19identity_decomposerEEEEE10hipError_tT0_T1_T2_jT3_P12ihipStream_tbPNSt15iterator_traitsISH_E10value_typeEPNSN_ISI_E10value_typeEPSJ_NS1_7vsmem_tEENKUlT_SH_SI_SJ_E_clISB_PiSC_SC_EESG_SW_SH_SI_SJ_EUlSW_E0_NS1_11comp_targetILNS1_3genE9ELNS1_11target_archE1100ELNS1_3gpuE3ELNS1_3repE0EEENS1_38merge_mergepath_config_static_selectorELNS0_4arch9wavefront6targetE0EEEvSI_
	.p2align	8
	.type	_ZN7rocprim17ROCPRIM_400000_NS6detail17trampoline_kernelINS0_14default_configENS1_38merge_sort_block_merge_config_selectorIiNS0_10empty_typeEEEZZNS1_27merge_sort_block_merge_implIS3_N6thrust23THRUST_200600_302600_NS10device_ptrIiEEPS5_jNS1_19radix_merge_compareILb0ELb0EiNS0_19identity_decomposerEEEEE10hipError_tT0_T1_T2_jT3_P12ihipStream_tbPNSt15iterator_traitsISH_E10value_typeEPNSN_ISI_E10value_typeEPSJ_NS1_7vsmem_tEENKUlT_SH_SI_SJ_E_clISB_PiSC_SC_EESG_SW_SH_SI_SJ_EUlSW_E0_NS1_11comp_targetILNS1_3genE9ELNS1_11target_archE1100ELNS1_3gpuE3ELNS1_3repE0EEENS1_38merge_mergepath_config_static_selectorELNS0_4arch9wavefront6targetE0EEEvSI_,@function
_ZN7rocprim17ROCPRIM_400000_NS6detail17trampoline_kernelINS0_14default_configENS1_38merge_sort_block_merge_config_selectorIiNS0_10empty_typeEEEZZNS1_27merge_sort_block_merge_implIS3_N6thrust23THRUST_200600_302600_NS10device_ptrIiEEPS5_jNS1_19radix_merge_compareILb0ELb0EiNS0_19identity_decomposerEEEEE10hipError_tT0_T1_T2_jT3_P12ihipStream_tbPNSt15iterator_traitsISH_E10value_typeEPNSN_ISI_E10value_typeEPSJ_NS1_7vsmem_tEENKUlT_SH_SI_SJ_E_clISB_PiSC_SC_EESG_SW_SH_SI_SJ_EUlSW_E0_NS1_11comp_targetILNS1_3genE9ELNS1_11target_archE1100ELNS1_3gpuE3ELNS1_3repE0EEENS1_38merge_mergepath_config_static_selectorELNS0_4arch9wavefront6targetE0EEEvSI_: ; @_ZN7rocprim17ROCPRIM_400000_NS6detail17trampoline_kernelINS0_14default_configENS1_38merge_sort_block_merge_config_selectorIiNS0_10empty_typeEEEZZNS1_27merge_sort_block_merge_implIS3_N6thrust23THRUST_200600_302600_NS10device_ptrIiEEPS5_jNS1_19radix_merge_compareILb0ELb0EiNS0_19identity_decomposerEEEEE10hipError_tT0_T1_T2_jT3_P12ihipStream_tbPNSt15iterator_traitsISH_E10value_typeEPNSN_ISI_E10value_typeEPSJ_NS1_7vsmem_tEENKUlT_SH_SI_SJ_E_clISB_PiSC_SC_EESG_SW_SH_SI_SJ_EUlSW_E0_NS1_11comp_targetILNS1_3genE9ELNS1_11target_archE1100ELNS1_3gpuE3ELNS1_3repE0EEENS1_38merge_mergepath_config_static_selectorELNS0_4arch9wavefront6targetE0EEEvSI_
; %bb.0:
	.section	.rodata,"a",@progbits
	.p2align	6, 0x0
	.amdhsa_kernel _ZN7rocprim17ROCPRIM_400000_NS6detail17trampoline_kernelINS0_14default_configENS1_38merge_sort_block_merge_config_selectorIiNS0_10empty_typeEEEZZNS1_27merge_sort_block_merge_implIS3_N6thrust23THRUST_200600_302600_NS10device_ptrIiEEPS5_jNS1_19radix_merge_compareILb0ELb0EiNS0_19identity_decomposerEEEEE10hipError_tT0_T1_T2_jT3_P12ihipStream_tbPNSt15iterator_traitsISH_E10value_typeEPNSN_ISI_E10value_typeEPSJ_NS1_7vsmem_tEENKUlT_SH_SI_SJ_E_clISB_PiSC_SC_EESG_SW_SH_SI_SJ_EUlSW_E0_NS1_11comp_targetILNS1_3genE9ELNS1_11target_archE1100ELNS1_3gpuE3ELNS1_3repE0EEENS1_38merge_mergepath_config_static_selectorELNS0_4arch9wavefront6targetE0EEEvSI_
		.amdhsa_group_segment_fixed_size 0
		.amdhsa_private_segment_fixed_size 0
		.amdhsa_kernarg_size 64
		.amdhsa_user_sgpr_count 6
		.amdhsa_user_sgpr_private_segment_buffer 1
		.amdhsa_user_sgpr_dispatch_ptr 0
		.amdhsa_user_sgpr_queue_ptr 0
		.amdhsa_user_sgpr_kernarg_segment_ptr 1
		.amdhsa_user_sgpr_dispatch_id 0
		.amdhsa_user_sgpr_flat_scratch_init 0
		.amdhsa_user_sgpr_private_segment_size 0
		.amdhsa_wavefront_size32 1
		.amdhsa_uses_dynamic_stack 0
		.amdhsa_system_sgpr_private_segment_wavefront_offset 0
		.amdhsa_system_sgpr_workgroup_id_x 1
		.amdhsa_system_sgpr_workgroup_id_y 0
		.amdhsa_system_sgpr_workgroup_id_z 0
		.amdhsa_system_sgpr_workgroup_info 0
		.amdhsa_system_vgpr_workitem_id 0
		.amdhsa_next_free_vgpr 1
		.amdhsa_next_free_sgpr 1
		.amdhsa_reserve_vcc 0
		.amdhsa_reserve_flat_scratch 0
		.amdhsa_float_round_mode_32 0
		.amdhsa_float_round_mode_16_64 0
		.amdhsa_float_denorm_mode_32 3
		.amdhsa_float_denorm_mode_16_64 3
		.amdhsa_dx10_clamp 1
		.amdhsa_ieee_mode 1
		.amdhsa_fp16_overflow 0
		.amdhsa_workgroup_processor_mode 1
		.amdhsa_memory_ordered 1
		.amdhsa_forward_progress 1
		.amdhsa_shared_vgpr_count 0
		.amdhsa_exception_fp_ieee_invalid_op 0
		.amdhsa_exception_fp_denorm_src 0
		.amdhsa_exception_fp_ieee_div_zero 0
		.amdhsa_exception_fp_ieee_overflow 0
		.amdhsa_exception_fp_ieee_underflow 0
		.amdhsa_exception_fp_ieee_inexact 0
		.amdhsa_exception_int_div_zero 0
	.end_amdhsa_kernel
	.section	.text._ZN7rocprim17ROCPRIM_400000_NS6detail17trampoline_kernelINS0_14default_configENS1_38merge_sort_block_merge_config_selectorIiNS0_10empty_typeEEEZZNS1_27merge_sort_block_merge_implIS3_N6thrust23THRUST_200600_302600_NS10device_ptrIiEEPS5_jNS1_19radix_merge_compareILb0ELb0EiNS0_19identity_decomposerEEEEE10hipError_tT0_T1_T2_jT3_P12ihipStream_tbPNSt15iterator_traitsISH_E10value_typeEPNSN_ISI_E10value_typeEPSJ_NS1_7vsmem_tEENKUlT_SH_SI_SJ_E_clISB_PiSC_SC_EESG_SW_SH_SI_SJ_EUlSW_E0_NS1_11comp_targetILNS1_3genE9ELNS1_11target_archE1100ELNS1_3gpuE3ELNS1_3repE0EEENS1_38merge_mergepath_config_static_selectorELNS0_4arch9wavefront6targetE0EEEvSI_,"axG",@progbits,_ZN7rocprim17ROCPRIM_400000_NS6detail17trampoline_kernelINS0_14default_configENS1_38merge_sort_block_merge_config_selectorIiNS0_10empty_typeEEEZZNS1_27merge_sort_block_merge_implIS3_N6thrust23THRUST_200600_302600_NS10device_ptrIiEEPS5_jNS1_19radix_merge_compareILb0ELb0EiNS0_19identity_decomposerEEEEE10hipError_tT0_T1_T2_jT3_P12ihipStream_tbPNSt15iterator_traitsISH_E10value_typeEPNSN_ISI_E10value_typeEPSJ_NS1_7vsmem_tEENKUlT_SH_SI_SJ_E_clISB_PiSC_SC_EESG_SW_SH_SI_SJ_EUlSW_E0_NS1_11comp_targetILNS1_3genE9ELNS1_11target_archE1100ELNS1_3gpuE3ELNS1_3repE0EEENS1_38merge_mergepath_config_static_selectorELNS0_4arch9wavefront6targetE0EEEvSI_,comdat
.Lfunc_end1150:
	.size	_ZN7rocprim17ROCPRIM_400000_NS6detail17trampoline_kernelINS0_14default_configENS1_38merge_sort_block_merge_config_selectorIiNS0_10empty_typeEEEZZNS1_27merge_sort_block_merge_implIS3_N6thrust23THRUST_200600_302600_NS10device_ptrIiEEPS5_jNS1_19radix_merge_compareILb0ELb0EiNS0_19identity_decomposerEEEEE10hipError_tT0_T1_T2_jT3_P12ihipStream_tbPNSt15iterator_traitsISH_E10value_typeEPNSN_ISI_E10value_typeEPSJ_NS1_7vsmem_tEENKUlT_SH_SI_SJ_E_clISB_PiSC_SC_EESG_SW_SH_SI_SJ_EUlSW_E0_NS1_11comp_targetILNS1_3genE9ELNS1_11target_archE1100ELNS1_3gpuE3ELNS1_3repE0EEENS1_38merge_mergepath_config_static_selectorELNS0_4arch9wavefront6targetE0EEEvSI_, .Lfunc_end1150-_ZN7rocprim17ROCPRIM_400000_NS6detail17trampoline_kernelINS0_14default_configENS1_38merge_sort_block_merge_config_selectorIiNS0_10empty_typeEEEZZNS1_27merge_sort_block_merge_implIS3_N6thrust23THRUST_200600_302600_NS10device_ptrIiEEPS5_jNS1_19radix_merge_compareILb0ELb0EiNS0_19identity_decomposerEEEEE10hipError_tT0_T1_T2_jT3_P12ihipStream_tbPNSt15iterator_traitsISH_E10value_typeEPNSN_ISI_E10value_typeEPSJ_NS1_7vsmem_tEENKUlT_SH_SI_SJ_E_clISB_PiSC_SC_EESG_SW_SH_SI_SJ_EUlSW_E0_NS1_11comp_targetILNS1_3genE9ELNS1_11target_archE1100ELNS1_3gpuE3ELNS1_3repE0EEENS1_38merge_mergepath_config_static_selectorELNS0_4arch9wavefront6targetE0EEEvSI_
                                        ; -- End function
	.set _ZN7rocprim17ROCPRIM_400000_NS6detail17trampoline_kernelINS0_14default_configENS1_38merge_sort_block_merge_config_selectorIiNS0_10empty_typeEEEZZNS1_27merge_sort_block_merge_implIS3_N6thrust23THRUST_200600_302600_NS10device_ptrIiEEPS5_jNS1_19radix_merge_compareILb0ELb0EiNS0_19identity_decomposerEEEEE10hipError_tT0_T1_T2_jT3_P12ihipStream_tbPNSt15iterator_traitsISH_E10value_typeEPNSN_ISI_E10value_typeEPSJ_NS1_7vsmem_tEENKUlT_SH_SI_SJ_E_clISB_PiSC_SC_EESG_SW_SH_SI_SJ_EUlSW_E0_NS1_11comp_targetILNS1_3genE9ELNS1_11target_archE1100ELNS1_3gpuE3ELNS1_3repE0EEENS1_38merge_mergepath_config_static_selectorELNS0_4arch9wavefront6targetE0EEEvSI_.num_vgpr, 0
	.set _ZN7rocprim17ROCPRIM_400000_NS6detail17trampoline_kernelINS0_14default_configENS1_38merge_sort_block_merge_config_selectorIiNS0_10empty_typeEEEZZNS1_27merge_sort_block_merge_implIS3_N6thrust23THRUST_200600_302600_NS10device_ptrIiEEPS5_jNS1_19radix_merge_compareILb0ELb0EiNS0_19identity_decomposerEEEEE10hipError_tT0_T1_T2_jT3_P12ihipStream_tbPNSt15iterator_traitsISH_E10value_typeEPNSN_ISI_E10value_typeEPSJ_NS1_7vsmem_tEENKUlT_SH_SI_SJ_E_clISB_PiSC_SC_EESG_SW_SH_SI_SJ_EUlSW_E0_NS1_11comp_targetILNS1_3genE9ELNS1_11target_archE1100ELNS1_3gpuE3ELNS1_3repE0EEENS1_38merge_mergepath_config_static_selectorELNS0_4arch9wavefront6targetE0EEEvSI_.num_agpr, 0
	.set _ZN7rocprim17ROCPRIM_400000_NS6detail17trampoline_kernelINS0_14default_configENS1_38merge_sort_block_merge_config_selectorIiNS0_10empty_typeEEEZZNS1_27merge_sort_block_merge_implIS3_N6thrust23THRUST_200600_302600_NS10device_ptrIiEEPS5_jNS1_19radix_merge_compareILb0ELb0EiNS0_19identity_decomposerEEEEE10hipError_tT0_T1_T2_jT3_P12ihipStream_tbPNSt15iterator_traitsISH_E10value_typeEPNSN_ISI_E10value_typeEPSJ_NS1_7vsmem_tEENKUlT_SH_SI_SJ_E_clISB_PiSC_SC_EESG_SW_SH_SI_SJ_EUlSW_E0_NS1_11comp_targetILNS1_3genE9ELNS1_11target_archE1100ELNS1_3gpuE3ELNS1_3repE0EEENS1_38merge_mergepath_config_static_selectorELNS0_4arch9wavefront6targetE0EEEvSI_.numbered_sgpr, 0
	.set _ZN7rocprim17ROCPRIM_400000_NS6detail17trampoline_kernelINS0_14default_configENS1_38merge_sort_block_merge_config_selectorIiNS0_10empty_typeEEEZZNS1_27merge_sort_block_merge_implIS3_N6thrust23THRUST_200600_302600_NS10device_ptrIiEEPS5_jNS1_19radix_merge_compareILb0ELb0EiNS0_19identity_decomposerEEEEE10hipError_tT0_T1_T2_jT3_P12ihipStream_tbPNSt15iterator_traitsISH_E10value_typeEPNSN_ISI_E10value_typeEPSJ_NS1_7vsmem_tEENKUlT_SH_SI_SJ_E_clISB_PiSC_SC_EESG_SW_SH_SI_SJ_EUlSW_E0_NS1_11comp_targetILNS1_3genE9ELNS1_11target_archE1100ELNS1_3gpuE3ELNS1_3repE0EEENS1_38merge_mergepath_config_static_selectorELNS0_4arch9wavefront6targetE0EEEvSI_.num_named_barrier, 0
	.set _ZN7rocprim17ROCPRIM_400000_NS6detail17trampoline_kernelINS0_14default_configENS1_38merge_sort_block_merge_config_selectorIiNS0_10empty_typeEEEZZNS1_27merge_sort_block_merge_implIS3_N6thrust23THRUST_200600_302600_NS10device_ptrIiEEPS5_jNS1_19radix_merge_compareILb0ELb0EiNS0_19identity_decomposerEEEEE10hipError_tT0_T1_T2_jT3_P12ihipStream_tbPNSt15iterator_traitsISH_E10value_typeEPNSN_ISI_E10value_typeEPSJ_NS1_7vsmem_tEENKUlT_SH_SI_SJ_E_clISB_PiSC_SC_EESG_SW_SH_SI_SJ_EUlSW_E0_NS1_11comp_targetILNS1_3genE9ELNS1_11target_archE1100ELNS1_3gpuE3ELNS1_3repE0EEENS1_38merge_mergepath_config_static_selectorELNS0_4arch9wavefront6targetE0EEEvSI_.private_seg_size, 0
	.set _ZN7rocprim17ROCPRIM_400000_NS6detail17trampoline_kernelINS0_14default_configENS1_38merge_sort_block_merge_config_selectorIiNS0_10empty_typeEEEZZNS1_27merge_sort_block_merge_implIS3_N6thrust23THRUST_200600_302600_NS10device_ptrIiEEPS5_jNS1_19radix_merge_compareILb0ELb0EiNS0_19identity_decomposerEEEEE10hipError_tT0_T1_T2_jT3_P12ihipStream_tbPNSt15iterator_traitsISH_E10value_typeEPNSN_ISI_E10value_typeEPSJ_NS1_7vsmem_tEENKUlT_SH_SI_SJ_E_clISB_PiSC_SC_EESG_SW_SH_SI_SJ_EUlSW_E0_NS1_11comp_targetILNS1_3genE9ELNS1_11target_archE1100ELNS1_3gpuE3ELNS1_3repE0EEENS1_38merge_mergepath_config_static_selectorELNS0_4arch9wavefront6targetE0EEEvSI_.uses_vcc, 0
	.set _ZN7rocprim17ROCPRIM_400000_NS6detail17trampoline_kernelINS0_14default_configENS1_38merge_sort_block_merge_config_selectorIiNS0_10empty_typeEEEZZNS1_27merge_sort_block_merge_implIS3_N6thrust23THRUST_200600_302600_NS10device_ptrIiEEPS5_jNS1_19radix_merge_compareILb0ELb0EiNS0_19identity_decomposerEEEEE10hipError_tT0_T1_T2_jT3_P12ihipStream_tbPNSt15iterator_traitsISH_E10value_typeEPNSN_ISI_E10value_typeEPSJ_NS1_7vsmem_tEENKUlT_SH_SI_SJ_E_clISB_PiSC_SC_EESG_SW_SH_SI_SJ_EUlSW_E0_NS1_11comp_targetILNS1_3genE9ELNS1_11target_archE1100ELNS1_3gpuE3ELNS1_3repE0EEENS1_38merge_mergepath_config_static_selectorELNS0_4arch9wavefront6targetE0EEEvSI_.uses_flat_scratch, 0
	.set _ZN7rocprim17ROCPRIM_400000_NS6detail17trampoline_kernelINS0_14default_configENS1_38merge_sort_block_merge_config_selectorIiNS0_10empty_typeEEEZZNS1_27merge_sort_block_merge_implIS3_N6thrust23THRUST_200600_302600_NS10device_ptrIiEEPS5_jNS1_19radix_merge_compareILb0ELb0EiNS0_19identity_decomposerEEEEE10hipError_tT0_T1_T2_jT3_P12ihipStream_tbPNSt15iterator_traitsISH_E10value_typeEPNSN_ISI_E10value_typeEPSJ_NS1_7vsmem_tEENKUlT_SH_SI_SJ_E_clISB_PiSC_SC_EESG_SW_SH_SI_SJ_EUlSW_E0_NS1_11comp_targetILNS1_3genE9ELNS1_11target_archE1100ELNS1_3gpuE3ELNS1_3repE0EEENS1_38merge_mergepath_config_static_selectorELNS0_4arch9wavefront6targetE0EEEvSI_.has_dyn_sized_stack, 0
	.set _ZN7rocprim17ROCPRIM_400000_NS6detail17trampoline_kernelINS0_14default_configENS1_38merge_sort_block_merge_config_selectorIiNS0_10empty_typeEEEZZNS1_27merge_sort_block_merge_implIS3_N6thrust23THRUST_200600_302600_NS10device_ptrIiEEPS5_jNS1_19radix_merge_compareILb0ELb0EiNS0_19identity_decomposerEEEEE10hipError_tT0_T1_T2_jT3_P12ihipStream_tbPNSt15iterator_traitsISH_E10value_typeEPNSN_ISI_E10value_typeEPSJ_NS1_7vsmem_tEENKUlT_SH_SI_SJ_E_clISB_PiSC_SC_EESG_SW_SH_SI_SJ_EUlSW_E0_NS1_11comp_targetILNS1_3genE9ELNS1_11target_archE1100ELNS1_3gpuE3ELNS1_3repE0EEENS1_38merge_mergepath_config_static_selectorELNS0_4arch9wavefront6targetE0EEEvSI_.has_recursion, 0
	.set _ZN7rocprim17ROCPRIM_400000_NS6detail17trampoline_kernelINS0_14default_configENS1_38merge_sort_block_merge_config_selectorIiNS0_10empty_typeEEEZZNS1_27merge_sort_block_merge_implIS3_N6thrust23THRUST_200600_302600_NS10device_ptrIiEEPS5_jNS1_19radix_merge_compareILb0ELb0EiNS0_19identity_decomposerEEEEE10hipError_tT0_T1_T2_jT3_P12ihipStream_tbPNSt15iterator_traitsISH_E10value_typeEPNSN_ISI_E10value_typeEPSJ_NS1_7vsmem_tEENKUlT_SH_SI_SJ_E_clISB_PiSC_SC_EESG_SW_SH_SI_SJ_EUlSW_E0_NS1_11comp_targetILNS1_3genE9ELNS1_11target_archE1100ELNS1_3gpuE3ELNS1_3repE0EEENS1_38merge_mergepath_config_static_selectorELNS0_4arch9wavefront6targetE0EEEvSI_.has_indirect_call, 0
	.section	.AMDGPU.csdata,"",@progbits
; Kernel info:
; codeLenInByte = 0
; TotalNumSgprs: 0
; NumVgprs: 0
; ScratchSize: 0
; MemoryBound: 0
; FloatMode: 240
; IeeeMode: 1
; LDSByteSize: 0 bytes/workgroup (compile time only)
; SGPRBlocks: 0
; VGPRBlocks: 0
; NumSGPRsForWavesPerEU: 1
; NumVGPRsForWavesPerEU: 1
; Occupancy: 16
; WaveLimiterHint : 0
; COMPUTE_PGM_RSRC2:SCRATCH_EN: 0
; COMPUTE_PGM_RSRC2:USER_SGPR: 6
; COMPUTE_PGM_RSRC2:TRAP_HANDLER: 0
; COMPUTE_PGM_RSRC2:TGID_X_EN: 1
; COMPUTE_PGM_RSRC2:TGID_Y_EN: 0
; COMPUTE_PGM_RSRC2:TGID_Z_EN: 0
; COMPUTE_PGM_RSRC2:TIDIG_COMP_CNT: 0
	.section	.text._ZN7rocprim17ROCPRIM_400000_NS6detail17trampoline_kernelINS0_14default_configENS1_38merge_sort_block_merge_config_selectorIiNS0_10empty_typeEEEZZNS1_27merge_sort_block_merge_implIS3_N6thrust23THRUST_200600_302600_NS10device_ptrIiEEPS5_jNS1_19radix_merge_compareILb0ELb0EiNS0_19identity_decomposerEEEEE10hipError_tT0_T1_T2_jT3_P12ihipStream_tbPNSt15iterator_traitsISH_E10value_typeEPNSN_ISI_E10value_typeEPSJ_NS1_7vsmem_tEENKUlT_SH_SI_SJ_E_clISB_PiSC_SC_EESG_SW_SH_SI_SJ_EUlSW_E0_NS1_11comp_targetILNS1_3genE8ELNS1_11target_archE1030ELNS1_3gpuE2ELNS1_3repE0EEENS1_38merge_mergepath_config_static_selectorELNS0_4arch9wavefront6targetE0EEEvSI_,"axG",@progbits,_ZN7rocprim17ROCPRIM_400000_NS6detail17trampoline_kernelINS0_14default_configENS1_38merge_sort_block_merge_config_selectorIiNS0_10empty_typeEEEZZNS1_27merge_sort_block_merge_implIS3_N6thrust23THRUST_200600_302600_NS10device_ptrIiEEPS5_jNS1_19radix_merge_compareILb0ELb0EiNS0_19identity_decomposerEEEEE10hipError_tT0_T1_T2_jT3_P12ihipStream_tbPNSt15iterator_traitsISH_E10value_typeEPNSN_ISI_E10value_typeEPSJ_NS1_7vsmem_tEENKUlT_SH_SI_SJ_E_clISB_PiSC_SC_EESG_SW_SH_SI_SJ_EUlSW_E0_NS1_11comp_targetILNS1_3genE8ELNS1_11target_archE1030ELNS1_3gpuE2ELNS1_3repE0EEENS1_38merge_mergepath_config_static_selectorELNS0_4arch9wavefront6targetE0EEEvSI_,comdat
	.protected	_ZN7rocprim17ROCPRIM_400000_NS6detail17trampoline_kernelINS0_14default_configENS1_38merge_sort_block_merge_config_selectorIiNS0_10empty_typeEEEZZNS1_27merge_sort_block_merge_implIS3_N6thrust23THRUST_200600_302600_NS10device_ptrIiEEPS5_jNS1_19radix_merge_compareILb0ELb0EiNS0_19identity_decomposerEEEEE10hipError_tT0_T1_T2_jT3_P12ihipStream_tbPNSt15iterator_traitsISH_E10value_typeEPNSN_ISI_E10value_typeEPSJ_NS1_7vsmem_tEENKUlT_SH_SI_SJ_E_clISB_PiSC_SC_EESG_SW_SH_SI_SJ_EUlSW_E0_NS1_11comp_targetILNS1_3genE8ELNS1_11target_archE1030ELNS1_3gpuE2ELNS1_3repE0EEENS1_38merge_mergepath_config_static_selectorELNS0_4arch9wavefront6targetE0EEEvSI_ ; -- Begin function _ZN7rocprim17ROCPRIM_400000_NS6detail17trampoline_kernelINS0_14default_configENS1_38merge_sort_block_merge_config_selectorIiNS0_10empty_typeEEEZZNS1_27merge_sort_block_merge_implIS3_N6thrust23THRUST_200600_302600_NS10device_ptrIiEEPS5_jNS1_19radix_merge_compareILb0ELb0EiNS0_19identity_decomposerEEEEE10hipError_tT0_T1_T2_jT3_P12ihipStream_tbPNSt15iterator_traitsISH_E10value_typeEPNSN_ISI_E10value_typeEPSJ_NS1_7vsmem_tEENKUlT_SH_SI_SJ_E_clISB_PiSC_SC_EESG_SW_SH_SI_SJ_EUlSW_E0_NS1_11comp_targetILNS1_3genE8ELNS1_11target_archE1030ELNS1_3gpuE2ELNS1_3repE0EEENS1_38merge_mergepath_config_static_selectorELNS0_4arch9wavefront6targetE0EEEvSI_
	.globl	_ZN7rocprim17ROCPRIM_400000_NS6detail17trampoline_kernelINS0_14default_configENS1_38merge_sort_block_merge_config_selectorIiNS0_10empty_typeEEEZZNS1_27merge_sort_block_merge_implIS3_N6thrust23THRUST_200600_302600_NS10device_ptrIiEEPS5_jNS1_19radix_merge_compareILb0ELb0EiNS0_19identity_decomposerEEEEE10hipError_tT0_T1_T2_jT3_P12ihipStream_tbPNSt15iterator_traitsISH_E10value_typeEPNSN_ISI_E10value_typeEPSJ_NS1_7vsmem_tEENKUlT_SH_SI_SJ_E_clISB_PiSC_SC_EESG_SW_SH_SI_SJ_EUlSW_E0_NS1_11comp_targetILNS1_3genE8ELNS1_11target_archE1030ELNS1_3gpuE2ELNS1_3repE0EEENS1_38merge_mergepath_config_static_selectorELNS0_4arch9wavefront6targetE0EEEvSI_
	.p2align	8
	.type	_ZN7rocprim17ROCPRIM_400000_NS6detail17trampoline_kernelINS0_14default_configENS1_38merge_sort_block_merge_config_selectorIiNS0_10empty_typeEEEZZNS1_27merge_sort_block_merge_implIS3_N6thrust23THRUST_200600_302600_NS10device_ptrIiEEPS5_jNS1_19radix_merge_compareILb0ELb0EiNS0_19identity_decomposerEEEEE10hipError_tT0_T1_T2_jT3_P12ihipStream_tbPNSt15iterator_traitsISH_E10value_typeEPNSN_ISI_E10value_typeEPSJ_NS1_7vsmem_tEENKUlT_SH_SI_SJ_E_clISB_PiSC_SC_EESG_SW_SH_SI_SJ_EUlSW_E0_NS1_11comp_targetILNS1_3genE8ELNS1_11target_archE1030ELNS1_3gpuE2ELNS1_3repE0EEENS1_38merge_mergepath_config_static_selectorELNS0_4arch9wavefront6targetE0EEEvSI_,@function
_ZN7rocprim17ROCPRIM_400000_NS6detail17trampoline_kernelINS0_14default_configENS1_38merge_sort_block_merge_config_selectorIiNS0_10empty_typeEEEZZNS1_27merge_sort_block_merge_implIS3_N6thrust23THRUST_200600_302600_NS10device_ptrIiEEPS5_jNS1_19radix_merge_compareILb0ELb0EiNS0_19identity_decomposerEEEEE10hipError_tT0_T1_T2_jT3_P12ihipStream_tbPNSt15iterator_traitsISH_E10value_typeEPNSN_ISI_E10value_typeEPSJ_NS1_7vsmem_tEENKUlT_SH_SI_SJ_E_clISB_PiSC_SC_EESG_SW_SH_SI_SJ_EUlSW_E0_NS1_11comp_targetILNS1_3genE8ELNS1_11target_archE1030ELNS1_3gpuE2ELNS1_3repE0EEENS1_38merge_mergepath_config_static_selectorELNS0_4arch9wavefront6targetE0EEEvSI_: ; @_ZN7rocprim17ROCPRIM_400000_NS6detail17trampoline_kernelINS0_14default_configENS1_38merge_sort_block_merge_config_selectorIiNS0_10empty_typeEEEZZNS1_27merge_sort_block_merge_implIS3_N6thrust23THRUST_200600_302600_NS10device_ptrIiEEPS5_jNS1_19radix_merge_compareILb0ELb0EiNS0_19identity_decomposerEEEEE10hipError_tT0_T1_T2_jT3_P12ihipStream_tbPNSt15iterator_traitsISH_E10value_typeEPNSN_ISI_E10value_typeEPSJ_NS1_7vsmem_tEENKUlT_SH_SI_SJ_E_clISB_PiSC_SC_EESG_SW_SH_SI_SJ_EUlSW_E0_NS1_11comp_targetILNS1_3genE8ELNS1_11target_archE1030ELNS1_3gpuE2ELNS1_3repE0EEENS1_38merge_mergepath_config_static_selectorELNS0_4arch9wavefront6targetE0EEEvSI_
; %bb.0:
	s_clause 0x1
	s_load_dwordx2 s[12:13], s[4:5], 0x40
	s_load_dword s1, s[4:5], 0x30
	s_add_u32 s2, s4, 64
	s_addc_u32 s3, s5, 0
	s_waitcnt lgkmcnt(0)
	s_mul_i32 s0, s13, s8
	s_add_i32 s0, s0, s7
	s_mul_i32 s0, s0, s12
	s_add_i32 s0, s0, s6
	s_cmp_ge_u32 s0, s1
	s_cbranch_scc1 .LBB1151_27
; %bb.1:
	s_clause 0x2
	s_load_dwordx2 s[8:9], s[4:5], 0x28
	s_load_dwordx2 s[10:11], s[4:5], 0x38
	;; [unrolled: 1-line block ×3, first 2 shown]
	s_mov_b32 s1, 0
	v_mov_b32_e32 v2, 0
	s_mov_b32 s21, s1
                                        ; implicit-def: $vgpr5
	global_load_dword v1, v2, s[2:3] offset:14
	s_waitcnt lgkmcnt(0)
	s_lshr_b32 s22, s8, 10
	s_cmp_lg_u32 s0, s22
	s_cselect_b32 s7, -1, 0
	s_lshl_b64 s[14:15], s[0:1], 2
	s_add_u32 s10, s10, s14
	s_addc_u32 s11, s11, s15
	s_load_dwordx2 s[14:15], s[10:11], 0x0
	s_lshr_b32 s10, s9, 9
	s_and_b32 s10, s10, 0x7ffffe
	s_sub_i32 s11, 0, s10
	s_lshl_b32 s10, s0, 10
	s_and_b32 s13, s0, s11
	s_or_b32 s11, s0, s11
	s_lshl_b32 s16, s13, 11
	s_lshl_b32 s13, s13, 10
	s_add_i32 s16, s16, s9
	s_sub_i32 s17, s10, s13
	s_sub_i32 s13, s16, s13
	s_add_i32 s16, s16, s17
	s_min_u32 s17, s8, s13
	s_add_i32 s13, s13, s9
	s_waitcnt lgkmcnt(0)
	s_sub_i32 s9, s16, s14
	s_sub_i32 s16, s16, s15
	s_min_u32 s20, s8, s9
	s_addk_i32 s16, 0x400
	s_cmp_eq_u32 s11, -1
	s_cselect_b32 s9, s13, s16
	s_cselect_b32 s11, s17, s15
	s_mov_b32 s15, s1
	s_min_u32 s13, s9, s8
	s_lshl_b64 s[16:17], s[14:15], 2
	s_sub_i32 s9, s11, s14
	s_sub_i32 s11, s13, s20
	s_add_u32 s15, s18, s16
	s_addc_u32 s16, s19, s17
	s_lshl_b64 s[20:21], s[20:21], 2
	s_add_u32 s13, s18, s20
	s_addc_u32 s14, s19, s21
	s_cmp_lt_u32 s6, s12
	s_cselect_b32 s6, 12, 18
	s_add_u32 s2, s2, s6
	s_addc_u32 s3, s3, 0
	s_cmp_eq_u32 s0, s22
	global_load_ushort v3, v2, s[2:3]
	s_mov_b32 s0, -1
	s_waitcnt vmcnt(1)
	v_lshrrev_b32_e32 v4, 16, v1
	v_and_b32_e32 v1, 0xffff, v1
	v_mul_lo_u32 v1, v1, v4
                                        ; implicit-def: $vgpr4
	s_waitcnt vmcnt(0)
	v_mul_lo_u32 v7, v1, v3
	v_lshlrev_b32_e32 v3, 2, v0
                                        ; implicit-def: $vgpr1
	v_add_nc_u32_e32 v6, v7, v0
	s_cbranch_scc0 .LBB1151_17
; %bb.2:
	s_andn2_b32 vcc_lo, exec_lo, s0
	s_cbranch_vccz .LBB1151_18
.LBB1151_3:
	v_mov_b32_e32 v2, 0
	s_and_saveexec_b32 s2, s1
	s_cbranch_execz .LBB1151_5
.LBB1151_4:
	v_mov_b32_e32 v7, 0
	v_mov_b32_e32 v2, v7
	v_lshlrev_b64 v[8:9], 2, v[1:2]
	v_add_co_u32 v8, vcc_lo, s15, v8
	v_add_co_ci_u32_e64 v9, null, s16, v9, vcc_lo
	v_sub_co_u32 v6, vcc_lo, v1, s9
	v_lshlrev_b64 v[1:2], 2, v[6:7]
	v_add_co_u32 v1, s0, s13, v1
	v_add_co_ci_u32_e64 v2, null, s14, v2, s0
	v_cndmask_b32_e32 v1, v1, v8, vcc_lo
	v_cndmask_b32_e32 v2, v2, v9, vcc_lo
	global_load_dword v2, v[1:2], off
.LBB1151_5:
	s_or_b32 exec_lo, exec_lo, s2
	s_load_dwordx2 s[4:5], s[4:5], 0x10
	v_lshlrev_b32_e32 v1, 1, v0
	s_mov_b32 s0, exec_lo
	s_waitcnt vmcnt(0)
	ds_write2st64_b32 v3, v4, v2 offset1:8
	s_waitcnt lgkmcnt(0)
	s_barrier
	v_min_u32_e32 v7, v5, v1
	buffer_gl0_inv
	v_sub_nc_u32_e64 v6, v7, s11 clamp
	v_min_u32_e32 v8, s9, v7
	v_cmpx_lt_u32_e64 v6, v8
	s_cbranch_execz .LBB1151_9
; %bb.6:
	v_lshlrev_b32_e32 v9, 2, v7
	s_mov_b32 s1, 0
	v_lshl_add_u32 v9, s9, 2, v9
	.p2align	6
.LBB1151_7:                             ; =>This Inner Loop Header: Depth=1
	v_add_nc_u32_e32 v10, v8, v6
	v_lshrrev_b32_e32 v10, 1, v10
	v_not_b32_e32 v11, v10
	v_lshlrev_b32_e32 v12, 2, v10
	v_add_nc_u32_e32 v13, 1, v10
	v_lshl_add_u32 v11, v11, 2, v9
	ds_read_b32 v12, v12
	ds_read_b32 v11, v11
	s_waitcnt lgkmcnt(0)
	v_cmp_gt_i32_e32 vcc_lo, v12, v11
	v_cndmask_b32_e32 v8, v8, v10, vcc_lo
	v_cndmask_b32_e32 v6, v13, v6, vcc_lo
	v_cmp_ge_u32_e32 vcc_lo, v6, v8
	s_or_b32 s1, vcc_lo, s1
	s_andn2_b32 exec_lo, exec_lo, s1
	s_cbranch_execnz .LBB1151_7
; %bb.8:
	s_or_b32 exec_lo, exec_lo, s1
.LBB1151_9:
	s_or_b32 exec_lo, exec_lo, s0
	v_sub_nc_u32_e32 v7, v7, v6
	v_cmp_ge_u32_e32 vcc_lo, s9, v6
	v_add_nc_u32_e32 v7, s9, v7
	v_cmp_le_u32_e64 s0, v7, v5
	s_or_b32 s0, vcc_lo, s0
	s_and_saveexec_b32 s3, s0
	s_cbranch_execz .LBB1151_15
; %bb.10:
	v_cmp_gt_u32_e32 vcc_lo, s9, v6
                                        ; implicit-def: $vgpr2
	s_and_saveexec_b32 s0, vcc_lo
; %bb.11:
	v_lshlrev_b32_e32 v2, 2, v6
	ds_read_b32 v2, v2
; %bb.12:
	s_or_b32 exec_lo, exec_lo, s0
	v_cmp_ge_u32_e64 s0, v7, v5
	s_mov_b32 s2, exec_lo
                                        ; implicit-def: $vgpr4
	v_cmpx_lt_u32_e64 v7, v5
; %bb.13:
	v_lshlrev_b32_e32 v4, 2, v7
	ds_read_b32 v4, v4
; %bb.14:
	s_or_b32 exec_lo, exec_lo, s2
	s_waitcnt lgkmcnt(0)
	v_cmp_le_i32_e64 s1, v2, v4
	s_and_b32 s1, vcc_lo, s1
	s_or_b32 vcc_lo, s0, s1
	v_cndmask_b32_e32 v8, v7, v6, vcc_lo
	v_cndmask_b32_e64 v9, v5, s9, vcc_lo
	v_add_nc_u32_e32 v8, 1, v8
	v_add_nc_u32_e32 v9, -1, v9
	v_cndmask_b32_e32 v6, v6, v8, vcc_lo
	v_min_u32_e32 v9, v8, v9
	v_cndmask_b32_e32 v7, v8, v7, vcc_lo
	v_cmp_gt_u32_e64 s0, s9, v6
	v_lshlrev_b32_e32 v9, 2, v9
	v_cmp_ge_u32_e64 s2, v7, v5
	ds_read_b32 v9, v9
	s_waitcnt lgkmcnt(0)
	v_cndmask_b32_e32 v10, v9, v4, vcc_lo
	v_cndmask_b32_e32 v9, v2, v9, vcc_lo
	;; [unrolled: 1-line block ×3, first 2 shown]
	v_cmp_le_i32_e64 s1, v9, v10
	s_and_b32 s0, s0, s1
	s_or_b32 vcc_lo, s2, s0
	v_cndmask_b32_e32 v2, v10, v9, vcc_lo
.LBB1151_15:
	s_or_b32 exec_lo, exec_lo, s3
	v_lshrrev_b32_e32 v6, 2, v0
	v_or_b32_e32 v5, 0x200, v0
	v_lshrrev_b32_e32 v7, 3, v0
	s_mov_b32 s11, 0
	v_and_b32_e32 v6, 0x7c, v6
	v_lshrrev_b32_e32 v8, 3, v5
	s_lshl_b64 s[0:1], s[10:11], 2
	s_barrier
	s_add_u32 s0, s4, s0
	v_lshl_add_u32 v1, v1, 2, v6
	v_and_b32_e32 v6, 60, v7
	v_and_b32_e32 v7, 0x7c, v8
	buffer_gl0_inv
	s_barrier
	buffer_gl0_inv
	s_addc_u32 s1, s5, s1
	ds_write2_b32 v1, v4, v2 offset1:1
	v_add_co_u32 v1, s0, s0, v3
	v_add_nc_u32_e32 v4, v6, v3
	v_add_nc_u32_e32 v6, v7, v3
	v_add_co_ci_u32_e64 v2, null, s1, 0, s0
	s_and_b32 vcc_lo, exec_lo, s7
	s_waitcnt lgkmcnt(0)
	s_cbranch_vccz .LBB1151_21
; %bb.16:
	s_barrier
	buffer_gl0_inv
	ds_read_b32 v7, v4
	ds_read_b32 v3, v6 offset:2048
	s_mov_b32 s11, -1
	s_waitcnt lgkmcnt(1)
	global_store_dword v[1:2], v7, off
	s_cbranch_execz .LBB1151_22
	s_branch .LBB1151_25
.LBB1151_17:
	v_sub_co_u32 v1, vcc_lo, v0, s9
	v_add_co_u32 v4, s0, s15, v3
	v_add_co_ci_u32_e64 v5, null, s16, 0, s0
	v_lshlrev_b64 v[1:2], 2, v[1:2]
	s_mov_b32 s1, -1
	v_add_co_u32 v1, s0, s13, v1
	v_add_co_ci_u32_e64 v2, null, s14, v2, s0
	s_add_i32 s0, s11, s9
	v_cndmask_b32_e32 v1, v1, v4, vcc_lo
	v_cndmask_b32_e32 v2, v2, v5, vcc_lo
	v_mov_b32_e32 v5, s0
	global_load_dword v4, v[1:2], off
	v_add_nc_u32_e32 v1, v7, v0
	s_cbranch_execnz .LBB1151_3
.LBB1151_18:
	s_waitcnt vmcnt(0)
	v_mov_b32_e32 v4, 0
	s_add_i32 s2, s11, s9
	s_mov_b32 s1, exec_lo
	v_cmpx_gt_u32_e64 s2, v0
	s_cbranch_execz .LBB1151_20
; %bb.19:
	v_sub_co_u32 v1, vcc_lo, v0, s9
	v_mov_b32_e32 v2, 0
	v_add_co_u32 v4, s0, s15, v3
	v_add_co_ci_u32_e64 v5, null, s16, 0, s0
	v_lshlrev_b64 v[1:2], 2, v[1:2]
	v_add_co_u32 v1, s0, s13, v1
	v_add_co_ci_u32_e64 v2, null, s14, v2, s0
	v_cndmask_b32_e32 v1, v1, v4, vcc_lo
	v_cndmask_b32_e32 v2, v2, v5, vcc_lo
	global_load_dword v4, v[1:2], off
.LBB1151_20:
	s_or_b32 exec_lo, exec_lo, s1
	v_cmp_gt_u32_e64 s1, s2, v6
	v_mov_b32_e32 v5, s2
	v_mov_b32_e32 v1, v6
	;; [unrolled: 1-line block ×3, first 2 shown]
	s_and_saveexec_b32 s2, s1
	s_cbranch_execnz .LBB1151_4
	s_branch .LBB1151_5
.LBB1151_21:
                                        ; implicit-def: $vgpr3
.LBB1151_22:
	s_barrier
	s_waitcnt lgkmcnt(0)
	s_waitcnt_vscnt null, 0x0
	buffer_gl0_inv
	ds_read_b32 v3, v6 offset:2048
	s_sub_i32 s0, s8, s10
	s_mov_b32 s1, exec_lo
	v_cmpx_gt_u32_e64 s0, v0
	s_cbranch_execz .LBB1151_24
; %bb.23:
	ds_read_b32 v0, v4
	s_waitcnt lgkmcnt(0)
	global_store_dword v[1:2], v0, off
.LBB1151_24:
	s_or_b32 exec_lo, exec_lo, s1
	v_cmp_gt_u32_e64 s11, s0, v5
.LBB1151_25:
	s_and_saveexec_b32 s0, s11
	s_cbranch_execz .LBB1151_27
; %bb.26:
	v_add_co_u32 v0, vcc_lo, 0x800, v1
	v_add_co_ci_u32_e64 v1, null, 0, v2, vcc_lo
	s_waitcnt lgkmcnt(0)
	global_store_dword v[0:1], v3, off
.LBB1151_27:
	s_endpgm
	.section	.rodata,"a",@progbits
	.p2align	6, 0x0
	.amdhsa_kernel _ZN7rocprim17ROCPRIM_400000_NS6detail17trampoline_kernelINS0_14default_configENS1_38merge_sort_block_merge_config_selectorIiNS0_10empty_typeEEEZZNS1_27merge_sort_block_merge_implIS3_N6thrust23THRUST_200600_302600_NS10device_ptrIiEEPS5_jNS1_19radix_merge_compareILb0ELb0EiNS0_19identity_decomposerEEEEE10hipError_tT0_T1_T2_jT3_P12ihipStream_tbPNSt15iterator_traitsISH_E10value_typeEPNSN_ISI_E10value_typeEPSJ_NS1_7vsmem_tEENKUlT_SH_SI_SJ_E_clISB_PiSC_SC_EESG_SW_SH_SI_SJ_EUlSW_E0_NS1_11comp_targetILNS1_3genE8ELNS1_11target_archE1030ELNS1_3gpuE2ELNS1_3repE0EEENS1_38merge_mergepath_config_static_selectorELNS0_4arch9wavefront6targetE0EEEvSI_
		.amdhsa_group_segment_fixed_size 4224
		.amdhsa_private_segment_fixed_size 0
		.amdhsa_kernarg_size 320
		.amdhsa_user_sgpr_count 6
		.amdhsa_user_sgpr_private_segment_buffer 1
		.amdhsa_user_sgpr_dispatch_ptr 0
		.amdhsa_user_sgpr_queue_ptr 0
		.amdhsa_user_sgpr_kernarg_segment_ptr 1
		.amdhsa_user_sgpr_dispatch_id 0
		.amdhsa_user_sgpr_flat_scratch_init 0
		.amdhsa_user_sgpr_private_segment_size 0
		.amdhsa_wavefront_size32 1
		.amdhsa_uses_dynamic_stack 0
		.amdhsa_system_sgpr_private_segment_wavefront_offset 0
		.amdhsa_system_sgpr_workgroup_id_x 1
		.amdhsa_system_sgpr_workgroup_id_y 1
		.amdhsa_system_sgpr_workgroup_id_z 1
		.amdhsa_system_sgpr_workgroup_info 0
		.amdhsa_system_vgpr_workitem_id 0
		.amdhsa_next_free_vgpr 14
		.amdhsa_next_free_sgpr 23
		.amdhsa_reserve_vcc 1
		.amdhsa_reserve_flat_scratch 0
		.amdhsa_float_round_mode_32 0
		.amdhsa_float_round_mode_16_64 0
		.amdhsa_float_denorm_mode_32 3
		.amdhsa_float_denorm_mode_16_64 3
		.amdhsa_dx10_clamp 1
		.amdhsa_ieee_mode 1
		.amdhsa_fp16_overflow 0
		.amdhsa_workgroup_processor_mode 1
		.amdhsa_memory_ordered 1
		.amdhsa_forward_progress 1
		.amdhsa_shared_vgpr_count 0
		.amdhsa_exception_fp_ieee_invalid_op 0
		.amdhsa_exception_fp_denorm_src 0
		.amdhsa_exception_fp_ieee_div_zero 0
		.amdhsa_exception_fp_ieee_overflow 0
		.amdhsa_exception_fp_ieee_underflow 0
		.amdhsa_exception_fp_ieee_inexact 0
		.amdhsa_exception_int_div_zero 0
	.end_amdhsa_kernel
	.section	.text._ZN7rocprim17ROCPRIM_400000_NS6detail17trampoline_kernelINS0_14default_configENS1_38merge_sort_block_merge_config_selectorIiNS0_10empty_typeEEEZZNS1_27merge_sort_block_merge_implIS3_N6thrust23THRUST_200600_302600_NS10device_ptrIiEEPS5_jNS1_19radix_merge_compareILb0ELb0EiNS0_19identity_decomposerEEEEE10hipError_tT0_T1_T2_jT3_P12ihipStream_tbPNSt15iterator_traitsISH_E10value_typeEPNSN_ISI_E10value_typeEPSJ_NS1_7vsmem_tEENKUlT_SH_SI_SJ_E_clISB_PiSC_SC_EESG_SW_SH_SI_SJ_EUlSW_E0_NS1_11comp_targetILNS1_3genE8ELNS1_11target_archE1030ELNS1_3gpuE2ELNS1_3repE0EEENS1_38merge_mergepath_config_static_selectorELNS0_4arch9wavefront6targetE0EEEvSI_,"axG",@progbits,_ZN7rocprim17ROCPRIM_400000_NS6detail17trampoline_kernelINS0_14default_configENS1_38merge_sort_block_merge_config_selectorIiNS0_10empty_typeEEEZZNS1_27merge_sort_block_merge_implIS3_N6thrust23THRUST_200600_302600_NS10device_ptrIiEEPS5_jNS1_19radix_merge_compareILb0ELb0EiNS0_19identity_decomposerEEEEE10hipError_tT0_T1_T2_jT3_P12ihipStream_tbPNSt15iterator_traitsISH_E10value_typeEPNSN_ISI_E10value_typeEPSJ_NS1_7vsmem_tEENKUlT_SH_SI_SJ_E_clISB_PiSC_SC_EESG_SW_SH_SI_SJ_EUlSW_E0_NS1_11comp_targetILNS1_3genE8ELNS1_11target_archE1030ELNS1_3gpuE2ELNS1_3repE0EEENS1_38merge_mergepath_config_static_selectorELNS0_4arch9wavefront6targetE0EEEvSI_,comdat
.Lfunc_end1151:
	.size	_ZN7rocprim17ROCPRIM_400000_NS6detail17trampoline_kernelINS0_14default_configENS1_38merge_sort_block_merge_config_selectorIiNS0_10empty_typeEEEZZNS1_27merge_sort_block_merge_implIS3_N6thrust23THRUST_200600_302600_NS10device_ptrIiEEPS5_jNS1_19radix_merge_compareILb0ELb0EiNS0_19identity_decomposerEEEEE10hipError_tT0_T1_T2_jT3_P12ihipStream_tbPNSt15iterator_traitsISH_E10value_typeEPNSN_ISI_E10value_typeEPSJ_NS1_7vsmem_tEENKUlT_SH_SI_SJ_E_clISB_PiSC_SC_EESG_SW_SH_SI_SJ_EUlSW_E0_NS1_11comp_targetILNS1_3genE8ELNS1_11target_archE1030ELNS1_3gpuE2ELNS1_3repE0EEENS1_38merge_mergepath_config_static_selectorELNS0_4arch9wavefront6targetE0EEEvSI_, .Lfunc_end1151-_ZN7rocprim17ROCPRIM_400000_NS6detail17trampoline_kernelINS0_14default_configENS1_38merge_sort_block_merge_config_selectorIiNS0_10empty_typeEEEZZNS1_27merge_sort_block_merge_implIS3_N6thrust23THRUST_200600_302600_NS10device_ptrIiEEPS5_jNS1_19radix_merge_compareILb0ELb0EiNS0_19identity_decomposerEEEEE10hipError_tT0_T1_T2_jT3_P12ihipStream_tbPNSt15iterator_traitsISH_E10value_typeEPNSN_ISI_E10value_typeEPSJ_NS1_7vsmem_tEENKUlT_SH_SI_SJ_E_clISB_PiSC_SC_EESG_SW_SH_SI_SJ_EUlSW_E0_NS1_11comp_targetILNS1_3genE8ELNS1_11target_archE1030ELNS1_3gpuE2ELNS1_3repE0EEENS1_38merge_mergepath_config_static_selectorELNS0_4arch9wavefront6targetE0EEEvSI_
                                        ; -- End function
	.set _ZN7rocprim17ROCPRIM_400000_NS6detail17trampoline_kernelINS0_14default_configENS1_38merge_sort_block_merge_config_selectorIiNS0_10empty_typeEEEZZNS1_27merge_sort_block_merge_implIS3_N6thrust23THRUST_200600_302600_NS10device_ptrIiEEPS5_jNS1_19radix_merge_compareILb0ELb0EiNS0_19identity_decomposerEEEEE10hipError_tT0_T1_T2_jT3_P12ihipStream_tbPNSt15iterator_traitsISH_E10value_typeEPNSN_ISI_E10value_typeEPSJ_NS1_7vsmem_tEENKUlT_SH_SI_SJ_E_clISB_PiSC_SC_EESG_SW_SH_SI_SJ_EUlSW_E0_NS1_11comp_targetILNS1_3genE8ELNS1_11target_archE1030ELNS1_3gpuE2ELNS1_3repE0EEENS1_38merge_mergepath_config_static_selectorELNS0_4arch9wavefront6targetE0EEEvSI_.num_vgpr, 14
	.set _ZN7rocprim17ROCPRIM_400000_NS6detail17trampoline_kernelINS0_14default_configENS1_38merge_sort_block_merge_config_selectorIiNS0_10empty_typeEEEZZNS1_27merge_sort_block_merge_implIS3_N6thrust23THRUST_200600_302600_NS10device_ptrIiEEPS5_jNS1_19radix_merge_compareILb0ELb0EiNS0_19identity_decomposerEEEEE10hipError_tT0_T1_T2_jT3_P12ihipStream_tbPNSt15iterator_traitsISH_E10value_typeEPNSN_ISI_E10value_typeEPSJ_NS1_7vsmem_tEENKUlT_SH_SI_SJ_E_clISB_PiSC_SC_EESG_SW_SH_SI_SJ_EUlSW_E0_NS1_11comp_targetILNS1_3genE8ELNS1_11target_archE1030ELNS1_3gpuE2ELNS1_3repE0EEENS1_38merge_mergepath_config_static_selectorELNS0_4arch9wavefront6targetE0EEEvSI_.num_agpr, 0
	.set _ZN7rocprim17ROCPRIM_400000_NS6detail17trampoline_kernelINS0_14default_configENS1_38merge_sort_block_merge_config_selectorIiNS0_10empty_typeEEEZZNS1_27merge_sort_block_merge_implIS3_N6thrust23THRUST_200600_302600_NS10device_ptrIiEEPS5_jNS1_19radix_merge_compareILb0ELb0EiNS0_19identity_decomposerEEEEE10hipError_tT0_T1_T2_jT3_P12ihipStream_tbPNSt15iterator_traitsISH_E10value_typeEPNSN_ISI_E10value_typeEPSJ_NS1_7vsmem_tEENKUlT_SH_SI_SJ_E_clISB_PiSC_SC_EESG_SW_SH_SI_SJ_EUlSW_E0_NS1_11comp_targetILNS1_3genE8ELNS1_11target_archE1030ELNS1_3gpuE2ELNS1_3repE0EEENS1_38merge_mergepath_config_static_selectorELNS0_4arch9wavefront6targetE0EEEvSI_.numbered_sgpr, 23
	.set _ZN7rocprim17ROCPRIM_400000_NS6detail17trampoline_kernelINS0_14default_configENS1_38merge_sort_block_merge_config_selectorIiNS0_10empty_typeEEEZZNS1_27merge_sort_block_merge_implIS3_N6thrust23THRUST_200600_302600_NS10device_ptrIiEEPS5_jNS1_19radix_merge_compareILb0ELb0EiNS0_19identity_decomposerEEEEE10hipError_tT0_T1_T2_jT3_P12ihipStream_tbPNSt15iterator_traitsISH_E10value_typeEPNSN_ISI_E10value_typeEPSJ_NS1_7vsmem_tEENKUlT_SH_SI_SJ_E_clISB_PiSC_SC_EESG_SW_SH_SI_SJ_EUlSW_E0_NS1_11comp_targetILNS1_3genE8ELNS1_11target_archE1030ELNS1_3gpuE2ELNS1_3repE0EEENS1_38merge_mergepath_config_static_selectorELNS0_4arch9wavefront6targetE0EEEvSI_.num_named_barrier, 0
	.set _ZN7rocprim17ROCPRIM_400000_NS6detail17trampoline_kernelINS0_14default_configENS1_38merge_sort_block_merge_config_selectorIiNS0_10empty_typeEEEZZNS1_27merge_sort_block_merge_implIS3_N6thrust23THRUST_200600_302600_NS10device_ptrIiEEPS5_jNS1_19radix_merge_compareILb0ELb0EiNS0_19identity_decomposerEEEEE10hipError_tT0_T1_T2_jT3_P12ihipStream_tbPNSt15iterator_traitsISH_E10value_typeEPNSN_ISI_E10value_typeEPSJ_NS1_7vsmem_tEENKUlT_SH_SI_SJ_E_clISB_PiSC_SC_EESG_SW_SH_SI_SJ_EUlSW_E0_NS1_11comp_targetILNS1_3genE8ELNS1_11target_archE1030ELNS1_3gpuE2ELNS1_3repE0EEENS1_38merge_mergepath_config_static_selectorELNS0_4arch9wavefront6targetE0EEEvSI_.private_seg_size, 0
	.set _ZN7rocprim17ROCPRIM_400000_NS6detail17trampoline_kernelINS0_14default_configENS1_38merge_sort_block_merge_config_selectorIiNS0_10empty_typeEEEZZNS1_27merge_sort_block_merge_implIS3_N6thrust23THRUST_200600_302600_NS10device_ptrIiEEPS5_jNS1_19radix_merge_compareILb0ELb0EiNS0_19identity_decomposerEEEEE10hipError_tT0_T1_T2_jT3_P12ihipStream_tbPNSt15iterator_traitsISH_E10value_typeEPNSN_ISI_E10value_typeEPSJ_NS1_7vsmem_tEENKUlT_SH_SI_SJ_E_clISB_PiSC_SC_EESG_SW_SH_SI_SJ_EUlSW_E0_NS1_11comp_targetILNS1_3genE8ELNS1_11target_archE1030ELNS1_3gpuE2ELNS1_3repE0EEENS1_38merge_mergepath_config_static_selectorELNS0_4arch9wavefront6targetE0EEEvSI_.uses_vcc, 1
	.set _ZN7rocprim17ROCPRIM_400000_NS6detail17trampoline_kernelINS0_14default_configENS1_38merge_sort_block_merge_config_selectorIiNS0_10empty_typeEEEZZNS1_27merge_sort_block_merge_implIS3_N6thrust23THRUST_200600_302600_NS10device_ptrIiEEPS5_jNS1_19radix_merge_compareILb0ELb0EiNS0_19identity_decomposerEEEEE10hipError_tT0_T1_T2_jT3_P12ihipStream_tbPNSt15iterator_traitsISH_E10value_typeEPNSN_ISI_E10value_typeEPSJ_NS1_7vsmem_tEENKUlT_SH_SI_SJ_E_clISB_PiSC_SC_EESG_SW_SH_SI_SJ_EUlSW_E0_NS1_11comp_targetILNS1_3genE8ELNS1_11target_archE1030ELNS1_3gpuE2ELNS1_3repE0EEENS1_38merge_mergepath_config_static_selectorELNS0_4arch9wavefront6targetE0EEEvSI_.uses_flat_scratch, 0
	.set _ZN7rocprim17ROCPRIM_400000_NS6detail17trampoline_kernelINS0_14default_configENS1_38merge_sort_block_merge_config_selectorIiNS0_10empty_typeEEEZZNS1_27merge_sort_block_merge_implIS3_N6thrust23THRUST_200600_302600_NS10device_ptrIiEEPS5_jNS1_19radix_merge_compareILb0ELb0EiNS0_19identity_decomposerEEEEE10hipError_tT0_T1_T2_jT3_P12ihipStream_tbPNSt15iterator_traitsISH_E10value_typeEPNSN_ISI_E10value_typeEPSJ_NS1_7vsmem_tEENKUlT_SH_SI_SJ_E_clISB_PiSC_SC_EESG_SW_SH_SI_SJ_EUlSW_E0_NS1_11comp_targetILNS1_3genE8ELNS1_11target_archE1030ELNS1_3gpuE2ELNS1_3repE0EEENS1_38merge_mergepath_config_static_selectorELNS0_4arch9wavefront6targetE0EEEvSI_.has_dyn_sized_stack, 0
	.set _ZN7rocprim17ROCPRIM_400000_NS6detail17trampoline_kernelINS0_14default_configENS1_38merge_sort_block_merge_config_selectorIiNS0_10empty_typeEEEZZNS1_27merge_sort_block_merge_implIS3_N6thrust23THRUST_200600_302600_NS10device_ptrIiEEPS5_jNS1_19radix_merge_compareILb0ELb0EiNS0_19identity_decomposerEEEEE10hipError_tT0_T1_T2_jT3_P12ihipStream_tbPNSt15iterator_traitsISH_E10value_typeEPNSN_ISI_E10value_typeEPSJ_NS1_7vsmem_tEENKUlT_SH_SI_SJ_E_clISB_PiSC_SC_EESG_SW_SH_SI_SJ_EUlSW_E0_NS1_11comp_targetILNS1_3genE8ELNS1_11target_archE1030ELNS1_3gpuE2ELNS1_3repE0EEENS1_38merge_mergepath_config_static_selectorELNS0_4arch9wavefront6targetE0EEEvSI_.has_recursion, 0
	.set _ZN7rocprim17ROCPRIM_400000_NS6detail17trampoline_kernelINS0_14default_configENS1_38merge_sort_block_merge_config_selectorIiNS0_10empty_typeEEEZZNS1_27merge_sort_block_merge_implIS3_N6thrust23THRUST_200600_302600_NS10device_ptrIiEEPS5_jNS1_19radix_merge_compareILb0ELb0EiNS0_19identity_decomposerEEEEE10hipError_tT0_T1_T2_jT3_P12ihipStream_tbPNSt15iterator_traitsISH_E10value_typeEPNSN_ISI_E10value_typeEPSJ_NS1_7vsmem_tEENKUlT_SH_SI_SJ_E_clISB_PiSC_SC_EESG_SW_SH_SI_SJ_EUlSW_E0_NS1_11comp_targetILNS1_3genE8ELNS1_11target_archE1030ELNS1_3gpuE2ELNS1_3repE0EEENS1_38merge_mergepath_config_static_selectorELNS0_4arch9wavefront6targetE0EEEvSI_.has_indirect_call, 0
	.section	.AMDGPU.csdata,"",@progbits
; Kernel info:
; codeLenInByte = 1396
; TotalNumSgprs: 25
; NumVgprs: 14
; ScratchSize: 0
; MemoryBound: 0
; FloatMode: 240
; IeeeMode: 1
; LDSByteSize: 4224 bytes/workgroup (compile time only)
; SGPRBlocks: 0
; VGPRBlocks: 1
; NumSGPRsForWavesPerEU: 25
; NumVGPRsForWavesPerEU: 14
; Occupancy: 16
; WaveLimiterHint : 1
; COMPUTE_PGM_RSRC2:SCRATCH_EN: 0
; COMPUTE_PGM_RSRC2:USER_SGPR: 6
; COMPUTE_PGM_RSRC2:TRAP_HANDLER: 0
; COMPUTE_PGM_RSRC2:TGID_X_EN: 1
; COMPUTE_PGM_RSRC2:TGID_Y_EN: 1
; COMPUTE_PGM_RSRC2:TGID_Z_EN: 1
; COMPUTE_PGM_RSRC2:TIDIG_COMP_CNT: 0
	.section	.text._ZN7rocprim17ROCPRIM_400000_NS6detail17trampoline_kernelINS0_14default_configENS1_38merge_sort_block_merge_config_selectorIiNS0_10empty_typeEEEZZNS1_27merge_sort_block_merge_implIS3_N6thrust23THRUST_200600_302600_NS10device_ptrIiEEPS5_jNS1_19radix_merge_compareILb0ELb0EiNS0_19identity_decomposerEEEEE10hipError_tT0_T1_T2_jT3_P12ihipStream_tbPNSt15iterator_traitsISH_E10value_typeEPNSN_ISI_E10value_typeEPSJ_NS1_7vsmem_tEENKUlT_SH_SI_SJ_E_clISB_PiSC_SC_EESG_SW_SH_SI_SJ_EUlSW_E1_NS1_11comp_targetILNS1_3genE0ELNS1_11target_archE4294967295ELNS1_3gpuE0ELNS1_3repE0EEENS1_36merge_oddeven_config_static_selectorELNS0_4arch9wavefront6targetE0EEEvSI_,"axG",@progbits,_ZN7rocprim17ROCPRIM_400000_NS6detail17trampoline_kernelINS0_14default_configENS1_38merge_sort_block_merge_config_selectorIiNS0_10empty_typeEEEZZNS1_27merge_sort_block_merge_implIS3_N6thrust23THRUST_200600_302600_NS10device_ptrIiEEPS5_jNS1_19radix_merge_compareILb0ELb0EiNS0_19identity_decomposerEEEEE10hipError_tT0_T1_T2_jT3_P12ihipStream_tbPNSt15iterator_traitsISH_E10value_typeEPNSN_ISI_E10value_typeEPSJ_NS1_7vsmem_tEENKUlT_SH_SI_SJ_E_clISB_PiSC_SC_EESG_SW_SH_SI_SJ_EUlSW_E1_NS1_11comp_targetILNS1_3genE0ELNS1_11target_archE4294967295ELNS1_3gpuE0ELNS1_3repE0EEENS1_36merge_oddeven_config_static_selectorELNS0_4arch9wavefront6targetE0EEEvSI_,comdat
	.protected	_ZN7rocprim17ROCPRIM_400000_NS6detail17trampoline_kernelINS0_14default_configENS1_38merge_sort_block_merge_config_selectorIiNS0_10empty_typeEEEZZNS1_27merge_sort_block_merge_implIS3_N6thrust23THRUST_200600_302600_NS10device_ptrIiEEPS5_jNS1_19radix_merge_compareILb0ELb0EiNS0_19identity_decomposerEEEEE10hipError_tT0_T1_T2_jT3_P12ihipStream_tbPNSt15iterator_traitsISH_E10value_typeEPNSN_ISI_E10value_typeEPSJ_NS1_7vsmem_tEENKUlT_SH_SI_SJ_E_clISB_PiSC_SC_EESG_SW_SH_SI_SJ_EUlSW_E1_NS1_11comp_targetILNS1_3genE0ELNS1_11target_archE4294967295ELNS1_3gpuE0ELNS1_3repE0EEENS1_36merge_oddeven_config_static_selectorELNS0_4arch9wavefront6targetE0EEEvSI_ ; -- Begin function _ZN7rocprim17ROCPRIM_400000_NS6detail17trampoline_kernelINS0_14default_configENS1_38merge_sort_block_merge_config_selectorIiNS0_10empty_typeEEEZZNS1_27merge_sort_block_merge_implIS3_N6thrust23THRUST_200600_302600_NS10device_ptrIiEEPS5_jNS1_19radix_merge_compareILb0ELb0EiNS0_19identity_decomposerEEEEE10hipError_tT0_T1_T2_jT3_P12ihipStream_tbPNSt15iterator_traitsISH_E10value_typeEPNSN_ISI_E10value_typeEPSJ_NS1_7vsmem_tEENKUlT_SH_SI_SJ_E_clISB_PiSC_SC_EESG_SW_SH_SI_SJ_EUlSW_E1_NS1_11comp_targetILNS1_3genE0ELNS1_11target_archE4294967295ELNS1_3gpuE0ELNS1_3repE0EEENS1_36merge_oddeven_config_static_selectorELNS0_4arch9wavefront6targetE0EEEvSI_
	.globl	_ZN7rocprim17ROCPRIM_400000_NS6detail17trampoline_kernelINS0_14default_configENS1_38merge_sort_block_merge_config_selectorIiNS0_10empty_typeEEEZZNS1_27merge_sort_block_merge_implIS3_N6thrust23THRUST_200600_302600_NS10device_ptrIiEEPS5_jNS1_19radix_merge_compareILb0ELb0EiNS0_19identity_decomposerEEEEE10hipError_tT0_T1_T2_jT3_P12ihipStream_tbPNSt15iterator_traitsISH_E10value_typeEPNSN_ISI_E10value_typeEPSJ_NS1_7vsmem_tEENKUlT_SH_SI_SJ_E_clISB_PiSC_SC_EESG_SW_SH_SI_SJ_EUlSW_E1_NS1_11comp_targetILNS1_3genE0ELNS1_11target_archE4294967295ELNS1_3gpuE0ELNS1_3repE0EEENS1_36merge_oddeven_config_static_selectorELNS0_4arch9wavefront6targetE0EEEvSI_
	.p2align	8
	.type	_ZN7rocprim17ROCPRIM_400000_NS6detail17trampoline_kernelINS0_14default_configENS1_38merge_sort_block_merge_config_selectorIiNS0_10empty_typeEEEZZNS1_27merge_sort_block_merge_implIS3_N6thrust23THRUST_200600_302600_NS10device_ptrIiEEPS5_jNS1_19radix_merge_compareILb0ELb0EiNS0_19identity_decomposerEEEEE10hipError_tT0_T1_T2_jT3_P12ihipStream_tbPNSt15iterator_traitsISH_E10value_typeEPNSN_ISI_E10value_typeEPSJ_NS1_7vsmem_tEENKUlT_SH_SI_SJ_E_clISB_PiSC_SC_EESG_SW_SH_SI_SJ_EUlSW_E1_NS1_11comp_targetILNS1_3genE0ELNS1_11target_archE4294967295ELNS1_3gpuE0ELNS1_3repE0EEENS1_36merge_oddeven_config_static_selectorELNS0_4arch9wavefront6targetE0EEEvSI_,@function
_ZN7rocprim17ROCPRIM_400000_NS6detail17trampoline_kernelINS0_14default_configENS1_38merge_sort_block_merge_config_selectorIiNS0_10empty_typeEEEZZNS1_27merge_sort_block_merge_implIS3_N6thrust23THRUST_200600_302600_NS10device_ptrIiEEPS5_jNS1_19radix_merge_compareILb0ELb0EiNS0_19identity_decomposerEEEEE10hipError_tT0_T1_T2_jT3_P12ihipStream_tbPNSt15iterator_traitsISH_E10value_typeEPNSN_ISI_E10value_typeEPSJ_NS1_7vsmem_tEENKUlT_SH_SI_SJ_E_clISB_PiSC_SC_EESG_SW_SH_SI_SJ_EUlSW_E1_NS1_11comp_targetILNS1_3genE0ELNS1_11target_archE4294967295ELNS1_3gpuE0ELNS1_3repE0EEENS1_36merge_oddeven_config_static_selectorELNS0_4arch9wavefront6targetE0EEEvSI_: ; @_ZN7rocprim17ROCPRIM_400000_NS6detail17trampoline_kernelINS0_14default_configENS1_38merge_sort_block_merge_config_selectorIiNS0_10empty_typeEEEZZNS1_27merge_sort_block_merge_implIS3_N6thrust23THRUST_200600_302600_NS10device_ptrIiEEPS5_jNS1_19radix_merge_compareILb0ELb0EiNS0_19identity_decomposerEEEEE10hipError_tT0_T1_T2_jT3_P12ihipStream_tbPNSt15iterator_traitsISH_E10value_typeEPNSN_ISI_E10value_typeEPSJ_NS1_7vsmem_tEENKUlT_SH_SI_SJ_E_clISB_PiSC_SC_EESG_SW_SH_SI_SJ_EUlSW_E1_NS1_11comp_targetILNS1_3genE0ELNS1_11target_archE4294967295ELNS1_3gpuE0ELNS1_3repE0EEENS1_36merge_oddeven_config_static_selectorELNS0_4arch9wavefront6targetE0EEEvSI_
; %bb.0:
	.section	.rodata,"a",@progbits
	.p2align	6, 0x0
	.amdhsa_kernel _ZN7rocprim17ROCPRIM_400000_NS6detail17trampoline_kernelINS0_14default_configENS1_38merge_sort_block_merge_config_selectorIiNS0_10empty_typeEEEZZNS1_27merge_sort_block_merge_implIS3_N6thrust23THRUST_200600_302600_NS10device_ptrIiEEPS5_jNS1_19radix_merge_compareILb0ELb0EiNS0_19identity_decomposerEEEEE10hipError_tT0_T1_T2_jT3_P12ihipStream_tbPNSt15iterator_traitsISH_E10value_typeEPNSN_ISI_E10value_typeEPSJ_NS1_7vsmem_tEENKUlT_SH_SI_SJ_E_clISB_PiSC_SC_EESG_SW_SH_SI_SJ_EUlSW_E1_NS1_11comp_targetILNS1_3genE0ELNS1_11target_archE4294967295ELNS1_3gpuE0ELNS1_3repE0EEENS1_36merge_oddeven_config_static_selectorELNS0_4arch9wavefront6targetE0EEEvSI_
		.amdhsa_group_segment_fixed_size 0
		.amdhsa_private_segment_fixed_size 0
		.amdhsa_kernarg_size 48
		.amdhsa_user_sgpr_count 6
		.amdhsa_user_sgpr_private_segment_buffer 1
		.amdhsa_user_sgpr_dispatch_ptr 0
		.amdhsa_user_sgpr_queue_ptr 0
		.amdhsa_user_sgpr_kernarg_segment_ptr 1
		.amdhsa_user_sgpr_dispatch_id 0
		.amdhsa_user_sgpr_flat_scratch_init 0
		.amdhsa_user_sgpr_private_segment_size 0
		.amdhsa_wavefront_size32 1
		.amdhsa_uses_dynamic_stack 0
		.amdhsa_system_sgpr_private_segment_wavefront_offset 0
		.amdhsa_system_sgpr_workgroup_id_x 1
		.amdhsa_system_sgpr_workgroup_id_y 0
		.amdhsa_system_sgpr_workgroup_id_z 0
		.amdhsa_system_sgpr_workgroup_info 0
		.amdhsa_system_vgpr_workitem_id 0
		.amdhsa_next_free_vgpr 1
		.amdhsa_next_free_sgpr 1
		.amdhsa_reserve_vcc 0
		.amdhsa_reserve_flat_scratch 0
		.amdhsa_float_round_mode_32 0
		.amdhsa_float_round_mode_16_64 0
		.amdhsa_float_denorm_mode_32 3
		.amdhsa_float_denorm_mode_16_64 3
		.amdhsa_dx10_clamp 1
		.amdhsa_ieee_mode 1
		.amdhsa_fp16_overflow 0
		.amdhsa_workgroup_processor_mode 1
		.amdhsa_memory_ordered 1
		.amdhsa_forward_progress 1
		.amdhsa_shared_vgpr_count 0
		.amdhsa_exception_fp_ieee_invalid_op 0
		.amdhsa_exception_fp_denorm_src 0
		.amdhsa_exception_fp_ieee_div_zero 0
		.amdhsa_exception_fp_ieee_overflow 0
		.amdhsa_exception_fp_ieee_underflow 0
		.amdhsa_exception_fp_ieee_inexact 0
		.amdhsa_exception_int_div_zero 0
	.end_amdhsa_kernel
	.section	.text._ZN7rocprim17ROCPRIM_400000_NS6detail17trampoline_kernelINS0_14default_configENS1_38merge_sort_block_merge_config_selectorIiNS0_10empty_typeEEEZZNS1_27merge_sort_block_merge_implIS3_N6thrust23THRUST_200600_302600_NS10device_ptrIiEEPS5_jNS1_19radix_merge_compareILb0ELb0EiNS0_19identity_decomposerEEEEE10hipError_tT0_T1_T2_jT3_P12ihipStream_tbPNSt15iterator_traitsISH_E10value_typeEPNSN_ISI_E10value_typeEPSJ_NS1_7vsmem_tEENKUlT_SH_SI_SJ_E_clISB_PiSC_SC_EESG_SW_SH_SI_SJ_EUlSW_E1_NS1_11comp_targetILNS1_3genE0ELNS1_11target_archE4294967295ELNS1_3gpuE0ELNS1_3repE0EEENS1_36merge_oddeven_config_static_selectorELNS0_4arch9wavefront6targetE0EEEvSI_,"axG",@progbits,_ZN7rocprim17ROCPRIM_400000_NS6detail17trampoline_kernelINS0_14default_configENS1_38merge_sort_block_merge_config_selectorIiNS0_10empty_typeEEEZZNS1_27merge_sort_block_merge_implIS3_N6thrust23THRUST_200600_302600_NS10device_ptrIiEEPS5_jNS1_19radix_merge_compareILb0ELb0EiNS0_19identity_decomposerEEEEE10hipError_tT0_T1_T2_jT3_P12ihipStream_tbPNSt15iterator_traitsISH_E10value_typeEPNSN_ISI_E10value_typeEPSJ_NS1_7vsmem_tEENKUlT_SH_SI_SJ_E_clISB_PiSC_SC_EESG_SW_SH_SI_SJ_EUlSW_E1_NS1_11comp_targetILNS1_3genE0ELNS1_11target_archE4294967295ELNS1_3gpuE0ELNS1_3repE0EEENS1_36merge_oddeven_config_static_selectorELNS0_4arch9wavefront6targetE0EEEvSI_,comdat
.Lfunc_end1152:
	.size	_ZN7rocprim17ROCPRIM_400000_NS6detail17trampoline_kernelINS0_14default_configENS1_38merge_sort_block_merge_config_selectorIiNS0_10empty_typeEEEZZNS1_27merge_sort_block_merge_implIS3_N6thrust23THRUST_200600_302600_NS10device_ptrIiEEPS5_jNS1_19radix_merge_compareILb0ELb0EiNS0_19identity_decomposerEEEEE10hipError_tT0_T1_T2_jT3_P12ihipStream_tbPNSt15iterator_traitsISH_E10value_typeEPNSN_ISI_E10value_typeEPSJ_NS1_7vsmem_tEENKUlT_SH_SI_SJ_E_clISB_PiSC_SC_EESG_SW_SH_SI_SJ_EUlSW_E1_NS1_11comp_targetILNS1_3genE0ELNS1_11target_archE4294967295ELNS1_3gpuE0ELNS1_3repE0EEENS1_36merge_oddeven_config_static_selectorELNS0_4arch9wavefront6targetE0EEEvSI_, .Lfunc_end1152-_ZN7rocprim17ROCPRIM_400000_NS6detail17trampoline_kernelINS0_14default_configENS1_38merge_sort_block_merge_config_selectorIiNS0_10empty_typeEEEZZNS1_27merge_sort_block_merge_implIS3_N6thrust23THRUST_200600_302600_NS10device_ptrIiEEPS5_jNS1_19radix_merge_compareILb0ELb0EiNS0_19identity_decomposerEEEEE10hipError_tT0_T1_T2_jT3_P12ihipStream_tbPNSt15iterator_traitsISH_E10value_typeEPNSN_ISI_E10value_typeEPSJ_NS1_7vsmem_tEENKUlT_SH_SI_SJ_E_clISB_PiSC_SC_EESG_SW_SH_SI_SJ_EUlSW_E1_NS1_11comp_targetILNS1_3genE0ELNS1_11target_archE4294967295ELNS1_3gpuE0ELNS1_3repE0EEENS1_36merge_oddeven_config_static_selectorELNS0_4arch9wavefront6targetE0EEEvSI_
                                        ; -- End function
	.set _ZN7rocprim17ROCPRIM_400000_NS6detail17trampoline_kernelINS0_14default_configENS1_38merge_sort_block_merge_config_selectorIiNS0_10empty_typeEEEZZNS1_27merge_sort_block_merge_implIS3_N6thrust23THRUST_200600_302600_NS10device_ptrIiEEPS5_jNS1_19radix_merge_compareILb0ELb0EiNS0_19identity_decomposerEEEEE10hipError_tT0_T1_T2_jT3_P12ihipStream_tbPNSt15iterator_traitsISH_E10value_typeEPNSN_ISI_E10value_typeEPSJ_NS1_7vsmem_tEENKUlT_SH_SI_SJ_E_clISB_PiSC_SC_EESG_SW_SH_SI_SJ_EUlSW_E1_NS1_11comp_targetILNS1_3genE0ELNS1_11target_archE4294967295ELNS1_3gpuE0ELNS1_3repE0EEENS1_36merge_oddeven_config_static_selectorELNS0_4arch9wavefront6targetE0EEEvSI_.num_vgpr, 0
	.set _ZN7rocprim17ROCPRIM_400000_NS6detail17trampoline_kernelINS0_14default_configENS1_38merge_sort_block_merge_config_selectorIiNS0_10empty_typeEEEZZNS1_27merge_sort_block_merge_implIS3_N6thrust23THRUST_200600_302600_NS10device_ptrIiEEPS5_jNS1_19radix_merge_compareILb0ELb0EiNS0_19identity_decomposerEEEEE10hipError_tT0_T1_T2_jT3_P12ihipStream_tbPNSt15iterator_traitsISH_E10value_typeEPNSN_ISI_E10value_typeEPSJ_NS1_7vsmem_tEENKUlT_SH_SI_SJ_E_clISB_PiSC_SC_EESG_SW_SH_SI_SJ_EUlSW_E1_NS1_11comp_targetILNS1_3genE0ELNS1_11target_archE4294967295ELNS1_3gpuE0ELNS1_3repE0EEENS1_36merge_oddeven_config_static_selectorELNS0_4arch9wavefront6targetE0EEEvSI_.num_agpr, 0
	.set _ZN7rocprim17ROCPRIM_400000_NS6detail17trampoline_kernelINS0_14default_configENS1_38merge_sort_block_merge_config_selectorIiNS0_10empty_typeEEEZZNS1_27merge_sort_block_merge_implIS3_N6thrust23THRUST_200600_302600_NS10device_ptrIiEEPS5_jNS1_19radix_merge_compareILb0ELb0EiNS0_19identity_decomposerEEEEE10hipError_tT0_T1_T2_jT3_P12ihipStream_tbPNSt15iterator_traitsISH_E10value_typeEPNSN_ISI_E10value_typeEPSJ_NS1_7vsmem_tEENKUlT_SH_SI_SJ_E_clISB_PiSC_SC_EESG_SW_SH_SI_SJ_EUlSW_E1_NS1_11comp_targetILNS1_3genE0ELNS1_11target_archE4294967295ELNS1_3gpuE0ELNS1_3repE0EEENS1_36merge_oddeven_config_static_selectorELNS0_4arch9wavefront6targetE0EEEvSI_.numbered_sgpr, 0
	.set _ZN7rocprim17ROCPRIM_400000_NS6detail17trampoline_kernelINS0_14default_configENS1_38merge_sort_block_merge_config_selectorIiNS0_10empty_typeEEEZZNS1_27merge_sort_block_merge_implIS3_N6thrust23THRUST_200600_302600_NS10device_ptrIiEEPS5_jNS1_19radix_merge_compareILb0ELb0EiNS0_19identity_decomposerEEEEE10hipError_tT0_T1_T2_jT3_P12ihipStream_tbPNSt15iterator_traitsISH_E10value_typeEPNSN_ISI_E10value_typeEPSJ_NS1_7vsmem_tEENKUlT_SH_SI_SJ_E_clISB_PiSC_SC_EESG_SW_SH_SI_SJ_EUlSW_E1_NS1_11comp_targetILNS1_3genE0ELNS1_11target_archE4294967295ELNS1_3gpuE0ELNS1_3repE0EEENS1_36merge_oddeven_config_static_selectorELNS0_4arch9wavefront6targetE0EEEvSI_.num_named_barrier, 0
	.set _ZN7rocprim17ROCPRIM_400000_NS6detail17trampoline_kernelINS0_14default_configENS1_38merge_sort_block_merge_config_selectorIiNS0_10empty_typeEEEZZNS1_27merge_sort_block_merge_implIS3_N6thrust23THRUST_200600_302600_NS10device_ptrIiEEPS5_jNS1_19radix_merge_compareILb0ELb0EiNS0_19identity_decomposerEEEEE10hipError_tT0_T1_T2_jT3_P12ihipStream_tbPNSt15iterator_traitsISH_E10value_typeEPNSN_ISI_E10value_typeEPSJ_NS1_7vsmem_tEENKUlT_SH_SI_SJ_E_clISB_PiSC_SC_EESG_SW_SH_SI_SJ_EUlSW_E1_NS1_11comp_targetILNS1_3genE0ELNS1_11target_archE4294967295ELNS1_3gpuE0ELNS1_3repE0EEENS1_36merge_oddeven_config_static_selectorELNS0_4arch9wavefront6targetE0EEEvSI_.private_seg_size, 0
	.set _ZN7rocprim17ROCPRIM_400000_NS6detail17trampoline_kernelINS0_14default_configENS1_38merge_sort_block_merge_config_selectorIiNS0_10empty_typeEEEZZNS1_27merge_sort_block_merge_implIS3_N6thrust23THRUST_200600_302600_NS10device_ptrIiEEPS5_jNS1_19radix_merge_compareILb0ELb0EiNS0_19identity_decomposerEEEEE10hipError_tT0_T1_T2_jT3_P12ihipStream_tbPNSt15iterator_traitsISH_E10value_typeEPNSN_ISI_E10value_typeEPSJ_NS1_7vsmem_tEENKUlT_SH_SI_SJ_E_clISB_PiSC_SC_EESG_SW_SH_SI_SJ_EUlSW_E1_NS1_11comp_targetILNS1_3genE0ELNS1_11target_archE4294967295ELNS1_3gpuE0ELNS1_3repE0EEENS1_36merge_oddeven_config_static_selectorELNS0_4arch9wavefront6targetE0EEEvSI_.uses_vcc, 0
	.set _ZN7rocprim17ROCPRIM_400000_NS6detail17trampoline_kernelINS0_14default_configENS1_38merge_sort_block_merge_config_selectorIiNS0_10empty_typeEEEZZNS1_27merge_sort_block_merge_implIS3_N6thrust23THRUST_200600_302600_NS10device_ptrIiEEPS5_jNS1_19radix_merge_compareILb0ELb0EiNS0_19identity_decomposerEEEEE10hipError_tT0_T1_T2_jT3_P12ihipStream_tbPNSt15iterator_traitsISH_E10value_typeEPNSN_ISI_E10value_typeEPSJ_NS1_7vsmem_tEENKUlT_SH_SI_SJ_E_clISB_PiSC_SC_EESG_SW_SH_SI_SJ_EUlSW_E1_NS1_11comp_targetILNS1_3genE0ELNS1_11target_archE4294967295ELNS1_3gpuE0ELNS1_3repE0EEENS1_36merge_oddeven_config_static_selectorELNS0_4arch9wavefront6targetE0EEEvSI_.uses_flat_scratch, 0
	.set _ZN7rocprim17ROCPRIM_400000_NS6detail17trampoline_kernelINS0_14default_configENS1_38merge_sort_block_merge_config_selectorIiNS0_10empty_typeEEEZZNS1_27merge_sort_block_merge_implIS3_N6thrust23THRUST_200600_302600_NS10device_ptrIiEEPS5_jNS1_19radix_merge_compareILb0ELb0EiNS0_19identity_decomposerEEEEE10hipError_tT0_T1_T2_jT3_P12ihipStream_tbPNSt15iterator_traitsISH_E10value_typeEPNSN_ISI_E10value_typeEPSJ_NS1_7vsmem_tEENKUlT_SH_SI_SJ_E_clISB_PiSC_SC_EESG_SW_SH_SI_SJ_EUlSW_E1_NS1_11comp_targetILNS1_3genE0ELNS1_11target_archE4294967295ELNS1_3gpuE0ELNS1_3repE0EEENS1_36merge_oddeven_config_static_selectorELNS0_4arch9wavefront6targetE0EEEvSI_.has_dyn_sized_stack, 0
	.set _ZN7rocprim17ROCPRIM_400000_NS6detail17trampoline_kernelINS0_14default_configENS1_38merge_sort_block_merge_config_selectorIiNS0_10empty_typeEEEZZNS1_27merge_sort_block_merge_implIS3_N6thrust23THRUST_200600_302600_NS10device_ptrIiEEPS5_jNS1_19radix_merge_compareILb0ELb0EiNS0_19identity_decomposerEEEEE10hipError_tT0_T1_T2_jT3_P12ihipStream_tbPNSt15iterator_traitsISH_E10value_typeEPNSN_ISI_E10value_typeEPSJ_NS1_7vsmem_tEENKUlT_SH_SI_SJ_E_clISB_PiSC_SC_EESG_SW_SH_SI_SJ_EUlSW_E1_NS1_11comp_targetILNS1_3genE0ELNS1_11target_archE4294967295ELNS1_3gpuE0ELNS1_3repE0EEENS1_36merge_oddeven_config_static_selectorELNS0_4arch9wavefront6targetE0EEEvSI_.has_recursion, 0
	.set _ZN7rocprim17ROCPRIM_400000_NS6detail17trampoline_kernelINS0_14default_configENS1_38merge_sort_block_merge_config_selectorIiNS0_10empty_typeEEEZZNS1_27merge_sort_block_merge_implIS3_N6thrust23THRUST_200600_302600_NS10device_ptrIiEEPS5_jNS1_19radix_merge_compareILb0ELb0EiNS0_19identity_decomposerEEEEE10hipError_tT0_T1_T2_jT3_P12ihipStream_tbPNSt15iterator_traitsISH_E10value_typeEPNSN_ISI_E10value_typeEPSJ_NS1_7vsmem_tEENKUlT_SH_SI_SJ_E_clISB_PiSC_SC_EESG_SW_SH_SI_SJ_EUlSW_E1_NS1_11comp_targetILNS1_3genE0ELNS1_11target_archE4294967295ELNS1_3gpuE0ELNS1_3repE0EEENS1_36merge_oddeven_config_static_selectorELNS0_4arch9wavefront6targetE0EEEvSI_.has_indirect_call, 0
	.section	.AMDGPU.csdata,"",@progbits
; Kernel info:
; codeLenInByte = 0
; TotalNumSgprs: 0
; NumVgprs: 0
; ScratchSize: 0
; MemoryBound: 0
; FloatMode: 240
; IeeeMode: 1
; LDSByteSize: 0 bytes/workgroup (compile time only)
; SGPRBlocks: 0
; VGPRBlocks: 0
; NumSGPRsForWavesPerEU: 1
; NumVGPRsForWavesPerEU: 1
; Occupancy: 16
; WaveLimiterHint : 0
; COMPUTE_PGM_RSRC2:SCRATCH_EN: 0
; COMPUTE_PGM_RSRC2:USER_SGPR: 6
; COMPUTE_PGM_RSRC2:TRAP_HANDLER: 0
; COMPUTE_PGM_RSRC2:TGID_X_EN: 1
; COMPUTE_PGM_RSRC2:TGID_Y_EN: 0
; COMPUTE_PGM_RSRC2:TGID_Z_EN: 0
; COMPUTE_PGM_RSRC2:TIDIG_COMP_CNT: 0
	.section	.text._ZN7rocprim17ROCPRIM_400000_NS6detail17trampoline_kernelINS0_14default_configENS1_38merge_sort_block_merge_config_selectorIiNS0_10empty_typeEEEZZNS1_27merge_sort_block_merge_implIS3_N6thrust23THRUST_200600_302600_NS10device_ptrIiEEPS5_jNS1_19radix_merge_compareILb0ELb0EiNS0_19identity_decomposerEEEEE10hipError_tT0_T1_T2_jT3_P12ihipStream_tbPNSt15iterator_traitsISH_E10value_typeEPNSN_ISI_E10value_typeEPSJ_NS1_7vsmem_tEENKUlT_SH_SI_SJ_E_clISB_PiSC_SC_EESG_SW_SH_SI_SJ_EUlSW_E1_NS1_11comp_targetILNS1_3genE10ELNS1_11target_archE1201ELNS1_3gpuE5ELNS1_3repE0EEENS1_36merge_oddeven_config_static_selectorELNS0_4arch9wavefront6targetE0EEEvSI_,"axG",@progbits,_ZN7rocprim17ROCPRIM_400000_NS6detail17trampoline_kernelINS0_14default_configENS1_38merge_sort_block_merge_config_selectorIiNS0_10empty_typeEEEZZNS1_27merge_sort_block_merge_implIS3_N6thrust23THRUST_200600_302600_NS10device_ptrIiEEPS5_jNS1_19radix_merge_compareILb0ELb0EiNS0_19identity_decomposerEEEEE10hipError_tT0_T1_T2_jT3_P12ihipStream_tbPNSt15iterator_traitsISH_E10value_typeEPNSN_ISI_E10value_typeEPSJ_NS1_7vsmem_tEENKUlT_SH_SI_SJ_E_clISB_PiSC_SC_EESG_SW_SH_SI_SJ_EUlSW_E1_NS1_11comp_targetILNS1_3genE10ELNS1_11target_archE1201ELNS1_3gpuE5ELNS1_3repE0EEENS1_36merge_oddeven_config_static_selectorELNS0_4arch9wavefront6targetE0EEEvSI_,comdat
	.protected	_ZN7rocprim17ROCPRIM_400000_NS6detail17trampoline_kernelINS0_14default_configENS1_38merge_sort_block_merge_config_selectorIiNS0_10empty_typeEEEZZNS1_27merge_sort_block_merge_implIS3_N6thrust23THRUST_200600_302600_NS10device_ptrIiEEPS5_jNS1_19radix_merge_compareILb0ELb0EiNS0_19identity_decomposerEEEEE10hipError_tT0_T1_T2_jT3_P12ihipStream_tbPNSt15iterator_traitsISH_E10value_typeEPNSN_ISI_E10value_typeEPSJ_NS1_7vsmem_tEENKUlT_SH_SI_SJ_E_clISB_PiSC_SC_EESG_SW_SH_SI_SJ_EUlSW_E1_NS1_11comp_targetILNS1_3genE10ELNS1_11target_archE1201ELNS1_3gpuE5ELNS1_3repE0EEENS1_36merge_oddeven_config_static_selectorELNS0_4arch9wavefront6targetE0EEEvSI_ ; -- Begin function _ZN7rocprim17ROCPRIM_400000_NS6detail17trampoline_kernelINS0_14default_configENS1_38merge_sort_block_merge_config_selectorIiNS0_10empty_typeEEEZZNS1_27merge_sort_block_merge_implIS3_N6thrust23THRUST_200600_302600_NS10device_ptrIiEEPS5_jNS1_19radix_merge_compareILb0ELb0EiNS0_19identity_decomposerEEEEE10hipError_tT0_T1_T2_jT3_P12ihipStream_tbPNSt15iterator_traitsISH_E10value_typeEPNSN_ISI_E10value_typeEPSJ_NS1_7vsmem_tEENKUlT_SH_SI_SJ_E_clISB_PiSC_SC_EESG_SW_SH_SI_SJ_EUlSW_E1_NS1_11comp_targetILNS1_3genE10ELNS1_11target_archE1201ELNS1_3gpuE5ELNS1_3repE0EEENS1_36merge_oddeven_config_static_selectorELNS0_4arch9wavefront6targetE0EEEvSI_
	.globl	_ZN7rocprim17ROCPRIM_400000_NS6detail17trampoline_kernelINS0_14default_configENS1_38merge_sort_block_merge_config_selectorIiNS0_10empty_typeEEEZZNS1_27merge_sort_block_merge_implIS3_N6thrust23THRUST_200600_302600_NS10device_ptrIiEEPS5_jNS1_19radix_merge_compareILb0ELb0EiNS0_19identity_decomposerEEEEE10hipError_tT0_T1_T2_jT3_P12ihipStream_tbPNSt15iterator_traitsISH_E10value_typeEPNSN_ISI_E10value_typeEPSJ_NS1_7vsmem_tEENKUlT_SH_SI_SJ_E_clISB_PiSC_SC_EESG_SW_SH_SI_SJ_EUlSW_E1_NS1_11comp_targetILNS1_3genE10ELNS1_11target_archE1201ELNS1_3gpuE5ELNS1_3repE0EEENS1_36merge_oddeven_config_static_selectorELNS0_4arch9wavefront6targetE0EEEvSI_
	.p2align	8
	.type	_ZN7rocprim17ROCPRIM_400000_NS6detail17trampoline_kernelINS0_14default_configENS1_38merge_sort_block_merge_config_selectorIiNS0_10empty_typeEEEZZNS1_27merge_sort_block_merge_implIS3_N6thrust23THRUST_200600_302600_NS10device_ptrIiEEPS5_jNS1_19radix_merge_compareILb0ELb0EiNS0_19identity_decomposerEEEEE10hipError_tT0_T1_T2_jT3_P12ihipStream_tbPNSt15iterator_traitsISH_E10value_typeEPNSN_ISI_E10value_typeEPSJ_NS1_7vsmem_tEENKUlT_SH_SI_SJ_E_clISB_PiSC_SC_EESG_SW_SH_SI_SJ_EUlSW_E1_NS1_11comp_targetILNS1_3genE10ELNS1_11target_archE1201ELNS1_3gpuE5ELNS1_3repE0EEENS1_36merge_oddeven_config_static_selectorELNS0_4arch9wavefront6targetE0EEEvSI_,@function
_ZN7rocprim17ROCPRIM_400000_NS6detail17trampoline_kernelINS0_14default_configENS1_38merge_sort_block_merge_config_selectorIiNS0_10empty_typeEEEZZNS1_27merge_sort_block_merge_implIS3_N6thrust23THRUST_200600_302600_NS10device_ptrIiEEPS5_jNS1_19radix_merge_compareILb0ELb0EiNS0_19identity_decomposerEEEEE10hipError_tT0_T1_T2_jT3_P12ihipStream_tbPNSt15iterator_traitsISH_E10value_typeEPNSN_ISI_E10value_typeEPSJ_NS1_7vsmem_tEENKUlT_SH_SI_SJ_E_clISB_PiSC_SC_EESG_SW_SH_SI_SJ_EUlSW_E1_NS1_11comp_targetILNS1_3genE10ELNS1_11target_archE1201ELNS1_3gpuE5ELNS1_3repE0EEENS1_36merge_oddeven_config_static_selectorELNS0_4arch9wavefront6targetE0EEEvSI_: ; @_ZN7rocprim17ROCPRIM_400000_NS6detail17trampoline_kernelINS0_14default_configENS1_38merge_sort_block_merge_config_selectorIiNS0_10empty_typeEEEZZNS1_27merge_sort_block_merge_implIS3_N6thrust23THRUST_200600_302600_NS10device_ptrIiEEPS5_jNS1_19radix_merge_compareILb0ELb0EiNS0_19identity_decomposerEEEEE10hipError_tT0_T1_T2_jT3_P12ihipStream_tbPNSt15iterator_traitsISH_E10value_typeEPNSN_ISI_E10value_typeEPSJ_NS1_7vsmem_tEENKUlT_SH_SI_SJ_E_clISB_PiSC_SC_EESG_SW_SH_SI_SJ_EUlSW_E1_NS1_11comp_targetILNS1_3genE10ELNS1_11target_archE1201ELNS1_3gpuE5ELNS1_3repE0EEENS1_36merge_oddeven_config_static_selectorELNS0_4arch9wavefront6targetE0EEEvSI_
; %bb.0:
	.section	.rodata,"a",@progbits
	.p2align	6, 0x0
	.amdhsa_kernel _ZN7rocprim17ROCPRIM_400000_NS6detail17trampoline_kernelINS0_14default_configENS1_38merge_sort_block_merge_config_selectorIiNS0_10empty_typeEEEZZNS1_27merge_sort_block_merge_implIS3_N6thrust23THRUST_200600_302600_NS10device_ptrIiEEPS5_jNS1_19radix_merge_compareILb0ELb0EiNS0_19identity_decomposerEEEEE10hipError_tT0_T1_T2_jT3_P12ihipStream_tbPNSt15iterator_traitsISH_E10value_typeEPNSN_ISI_E10value_typeEPSJ_NS1_7vsmem_tEENKUlT_SH_SI_SJ_E_clISB_PiSC_SC_EESG_SW_SH_SI_SJ_EUlSW_E1_NS1_11comp_targetILNS1_3genE10ELNS1_11target_archE1201ELNS1_3gpuE5ELNS1_3repE0EEENS1_36merge_oddeven_config_static_selectorELNS0_4arch9wavefront6targetE0EEEvSI_
		.amdhsa_group_segment_fixed_size 0
		.amdhsa_private_segment_fixed_size 0
		.amdhsa_kernarg_size 48
		.amdhsa_user_sgpr_count 6
		.amdhsa_user_sgpr_private_segment_buffer 1
		.amdhsa_user_sgpr_dispatch_ptr 0
		.amdhsa_user_sgpr_queue_ptr 0
		.amdhsa_user_sgpr_kernarg_segment_ptr 1
		.amdhsa_user_sgpr_dispatch_id 0
		.amdhsa_user_sgpr_flat_scratch_init 0
		.amdhsa_user_sgpr_private_segment_size 0
		.amdhsa_wavefront_size32 1
		.amdhsa_uses_dynamic_stack 0
		.amdhsa_system_sgpr_private_segment_wavefront_offset 0
		.amdhsa_system_sgpr_workgroup_id_x 1
		.amdhsa_system_sgpr_workgroup_id_y 0
		.amdhsa_system_sgpr_workgroup_id_z 0
		.amdhsa_system_sgpr_workgroup_info 0
		.amdhsa_system_vgpr_workitem_id 0
		.amdhsa_next_free_vgpr 1
		.amdhsa_next_free_sgpr 1
		.amdhsa_reserve_vcc 0
		.amdhsa_reserve_flat_scratch 0
		.amdhsa_float_round_mode_32 0
		.amdhsa_float_round_mode_16_64 0
		.amdhsa_float_denorm_mode_32 3
		.amdhsa_float_denorm_mode_16_64 3
		.amdhsa_dx10_clamp 1
		.amdhsa_ieee_mode 1
		.amdhsa_fp16_overflow 0
		.amdhsa_workgroup_processor_mode 1
		.amdhsa_memory_ordered 1
		.amdhsa_forward_progress 1
		.amdhsa_shared_vgpr_count 0
		.amdhsa_exception_fp_ieee_invalid_op 0
		.amdhsa_exception_fp_denorm_src 0
		.amdhsa_exception_fp_ieee_div_zero 0
		.amdhsa_exception_fp_ieee_overflow 0
		.amdhsa_exception_fp_ieee_underflow 0
		.amdhsa_exception_fp_ieee_inexact 0
		.amdhsa_exception_int_div_zero 0
	.end_amdhsa_kernel
	.section	.text._ZN7rocprim17ROCPRIM_400000_NS6detail17trampoline_kernelINS0_14default_configENS1_38merge_sort_block_merge_config_selectorIiNS0_10empty_typeEEEZZNS1_27merge_sort_block_merge_implIS3_N6thrust23THRUST_200600_302600_NS10device_ptrIiEEPS5_jNS1_19radix_merge_compareILb0ELb0EiNS0_19identity_decomposerEEEEE10hipError_tT0_T1_T2_jT3_P12ihipStream_tbPNSt15iterator_traitsISH_E10value_typeEPNSN_ISI_E10value_typeEPSJ_NS1_7vsmem_tEENKUlT_SH_SI_SJ_E_clISB_PiSC_SC_EESG_SW_SH_SI_SJ_EUlSW_E1_NS1_11comp_targetILNS1_3genE10ELNS1_11target_archE1201ELNS1_3gpuE5ELNS1_3repE0EEENS1_36merge_oddeven_config_static_selectorELNS0_4arch9wavefront6targetE0EEEvSI_,"axG",@progbits,_ZN7rocprim17ROCPRIM_400000_NS6detail17trampoline_kernelINS0_14default_configENS1_38merge_sort_block_merge_config_selectorIiNS0_10empty_typeEEEZZNS1_27merge_sort_block_merge_implIS3_N6thrust23THRUST_200600_302600_NS10device_ptrIiEEPS5_jNS1_19radix_merge_compareILb0ELb0EiNS0_19identity_decomposerEEEEE10hipError_tT0_T1_T2_jT3_P12ihipStream_tbPNSt15iterator_traitsISH_E10value_typeEPNSN_ISI_E10value_typeEPSJ_NS1_7vsmem_tEENKUlT_SH_SI_SJ_E_clISB_PiSC_SC_EESG_SW_SH_SI_SJ_EUlSW_E1_NS1_11comp_targetILNS1_3genE10ELNS1_11target_archE1201ELNS1_3gpuE5ELNS1_3repE0EEENS1_36merge_oddeven_config_static_selectorELNS0_4arch9wavefront6targetE0EEEvSI_,comdat
.Lfunc_end1153:
	.size	_ZN7rocprim17ROCPRIM_400000_NS6detail17trampoline_kernelINS0_14default_configENS1_38merge_sort_block_merge_config_selectorIiNS0_10empty_typeEEEZZNS1_27merge_sort_block_merge_implIS3_N6thrust23THRUST_200600_302600_NS10device_ptrIiEEPS5_jNS1_19radix_merge_compareILb0ELb0EiNS0_19identity_decomposerEEEEE10hipError_tT0_T1_T2_jT3_P12ihipStream_tbPNSt15iterator_traitsISH_E10value_typeEPNSN_ISI_E10value_typeEPSJ_NS1_7vsmem_tEENKUlT_SH_SI_SJ_E_clISB_PiSC_SC_EESG_SW_SH_SI_SJ_EUlSW_E1_NS1_11comp_targetILNS1_3genE10ELNS1_11target_archE1201ELNS1_3gpuE5ELNS1_3repE0EEENS1_36merge_oddeven_config_static_selectorELNS0_4arch9wavefront6targetE0EEEvSI_, .Lfunc_end1153-_ZN7rocprim17ROCPRIM_400000_NS6detail17trampoline_kernelINS0_14default_configENS1_38merge_sort_block_merge_config_selectorIiNS0_10empty_typeEEEZZNS1_27merge_sort_block_merge_implIS3_N6thrust23THRUST_200600_302600_NS10device_ptrIiEEPS5_jNS1_19radix_merge_compareILb0ELb0EiNS0_19identity_decomposerEEEEE10hipError_tT0_T1_T2_jT3_P12ihipStream_tbPNSt15iterator_traitsISH_E10value_typeEPNSN_ISI_E10value_typeEPSJ_NS1_7vsmem_tEENKUlT_SH_SI_SJ_E_clISB_PiSC_SC_EESG_SW_SH_SI_SJ_EUlSW_E1_NS1_11comp_targetILNS1_3genE10ELNS1_11target_archE1201ELNS1_3gpuE5ELNS1_3repE0EEENS1_36merge_oddeven_config_static_selectorELNS0_4arch9wavefront6targetE0EEEvSI_
                                        ; -- End function
	.set _ZN7rocprim17ROCPRIM_400000_NS6detail17trampoline_kernelINS0_14default_configENS1_38merge_sort_block_merge_config_selectorIiNS0_10empty_typeEEEZZNS1_27merge_sort_block_merge_implIS3_N6thrust23THRUST_200600_302600_NS10device_ptrIiEEPS5_jNS1_19radix_merge_compareILb0ELb0EiNS0_19identity_decomposerEEEEE10hipError_tT0_T1_T2_jT3_P12ihipStream_tbPNSt15iterator_traitsISH_E10value_typeEPNSN_ISI_E10value_typeEPSJ_NS1_7vsmem_tEENKUlT_SH_SI_SJ_E_clISB_PiSC_SC_EESG_SW_SH_SI_SJ_EUlSW_E1_NS1_11comp_targetILNS1_3genE10ELNS1_11target_archE1201ELNS1_3gpuE5ELNS1_3repE0EEENS1_36merge_oddeven_config_static_selectorELNS0_4arch9wavefront6targetE0EEEvSI_.num_vgpr, 0
	.set _ZN7rocprim17ROCPRIM_400000_NS6detail17trampoline_kernelINS0_14default_configENS1_38merge_sort_block_merge_config_selectorIiNS0_10empty_typeEEEZZNS1_27merge_sort_block_merge_implIS3_N6thrust23THRUST_200600_302600_NS10device_ptrIiEEPS5_jNS1_19radix_merge_compareILb0ELb0EiNS0_19identity_decomposerEEEEE10hipError_tT0_T1_T2_jT3_P12ihipStream_tbPNSt15iterator_traitsISH_E10value_typeEPNSN_ISI_E10value_typeEPSJ_NS1_7vsmem_tEENKUlT_SH_SI_SJ_E_clISB_PiSC_SC_EESG_SW_SH_SI_SJ_EUlSW_E1_NS1_11comp_targetILNS1_3genE10ELNS1_11target_archE1201ELNS1_3gpuE5ELNS1_3repE0EEENS1_36merge_oddeven_config_static_selectorELNS0_4arch9wavefront6targetE0EEEvSI_.num_agpr, 0
	.set _ZN7rocprim17ROCPRIM_400000_NS6detail17trampoline_kernelINS0_14default_configENS1_38merge_sort_block_merge_config_selectorIiNS0_10empty_typeEEEZZNS1_27merge_sort_block_merge_implIS3_N6thrust23THRUST_200600_302600_NS10device_ptrIiEEPS5_jNS1_19radix_merge_compareILb0ELb0EiNS0_19identity_decomposerEEEEE10hipError_tT0_T1_T2_jT3_P12ihipStream_tbPNSt15iterator_traitsISH_E10value_typeEPNSN_ISI_E10value_typeEPSJ_NS1_7vsmem_tEENKUlT_SH_SI_SJ_E_clISB_PiSC_SC_EESG_SW_SH_SI_SJ_EUlSW_E1_NS1_11comp_targetILNS1_3genE10ELNS1_11target_archE1201ELNS1_3gpuE5ELNS1_3repE0EEENS1_36merge_oddeven_config_static_selectorELNS0_4arch9wavefront6targetE0EEEvSI_.numbered_sgpr, 0
	.set _ZN7rocprim17ROCPRIM_400000_NS6detail17trampoline_kernelINS0_14default_configENS1_38merge_sort_block_merge_config_selectorIiNS0_10empty_typeEEEZZNS1_27merge_sort_block_merge_implIS3_N6thrust23THRUST_200600_302600_NS10device_ptrIiEEPS5_jNS1_19radix_merge_compareILb0ELb0EiNS0_19identity_decomposerEEEEE10hipError_tT0_T1_T2_jT3_P12ihipStream_tbPNSt15iterator_traitsISH_E10value_typeEPNSN_ISI_E10value_typeEPSJ_NS1_7vsmem_tEENKUlT_SH_SI_SJ_E_clISB_PiSC_SC_EESG_SW_SH_SI_SJ_EUlSW_E1_NS1_11comp_targetILNS1_3genE10ELNS1_11target_archE1201ELNS1_3gpuE5ELNS1_3repE0EEENS1_36merge_oddeven_config_static_selectorELNS0_4arch9wavefront6targetE0EEEvSI_.num_named_barrier, 0
	.set _ZN7rocprim17ROCPRIM_400000_NS6detail17trampoline_kernelINS0_14default_configENS1_38merge_sort_block_merge_config_selectorIiNS0_10empty_typeEEEZZNS1_27merge_sort_block_merge_implIS3_N6thrust23THRUST_200600_302600_NS10device_ptrIiEEPS5_jNS1_19radix_merge_compareILb0ELb0EiNS0_19identity_decomposerEEEEE10hipError_tT0_T1_T2_jT3_P12ihipStream_tbPNSt15iterator_traitsISH_E10value_typeEPNSN_ISI_E10value_typeEPSJ_NS1_7vsmem_tEENKUlT_SH_SI_SJ_E_clISB_PiSC_SC_EESG_SW_SH_SI_SJ_EUlSW_E1_NS1_11comp_targetILNS1_3genE10ELNS1_11target_archE1201ELNS1_3gpuE5ELNS1_3repE0EEENS1_36merge_oddeven_config_static_selectorELNS0_4arch9wavefront6targetE0EEEvSI_.private_seg_size, 0
	.set _ZN7rocprim17ROCPRIM_400000_NS6detail17trampoline_kernelINS0_14default_configENS1_38merge_sort_block_merge_config_selectorIiNS0_10empty_typeEEEZZNS1_27merge_sort_block_merge_implIS3_N6thrust23THRUST_200600_302600_NS10device_ptrIiEEPS5_jNS1_19radix_merge_compareILb0ELb0EiNS0_19identity_decomposerEEEEE10hipError_tT0_T1_T2_jT3_P12ihipStream_tbPNSt15iterator_traitsISH_E10value_typeEPNSN_ISI_E10value_typeEPSJ_NS1_7vsmem_tEENKUlT_SH_SI_SJ_E_clISB_PiSC_SC_EESG_SW_SH_SI_SJ_EUlSW_E1_NS1_11comp_targetILNS1_3genE10ELNS1_11target_archE1201ELNS1_3gpuE5ELNS1_3repE0EEENS1_36merge_oddeven_config_static_selectorELNS0_4arch9wavefront6targetE0EEEvSI_.uses_vcc, 0
	.set _ZN7rocprim17ROCPRIM_400000_NS6detail17trampoline_kernelINS0_14default_configENS1_38merge_sort_block_merge_config_selectorIiNS0_10empty_typeEEEZZNS1_27merge_sort_block_merge_implIS3_N6thrust23THRUST_200600_302600_NS10device_ptrIiEEPS5_jNS1_19radix_merge_compareILb0ELb0EiNS0_19identity_decomposerEEEEE10hipError_tT0_T1_T2_jT3_P12ihipStream_tbPNSt15iterator_traitsISH_E10value_typeEPNSN_ISI_E10value_typeEPSJ_NS1_7vsmem_tEENKUlT_SH_SI_SJ_E_clISB_PiSC_SC_EESG_SW_SH_SI_SJ_EUlSW_E1_NS1_11comp_targetILNS1_3genE10ELNS1_11target_archE1201ELNS1_3gpuE5ELNS1_3repE0EEENS1_36merge_oddeven_config_static_selectorELNS0_4arch9wavefront6targetE0EEEvSI_.uses_flat_scratch, 0
	.set _ZN7rocprim17ROCPRIM_400000_NS6detail17trampoline_kernelINS0_14default_configENS1_38merge_sort_block_merge_config_selectorIiNS0_10empty_typeEEEZZNS1_27merge_sort_block_merge_implIS3_N6thrust23THRUST_200600_302600_NS10device_ptrIiEEPS5_jNS1_19radix_merge_compareILb0ELb0EiNS0_19identity_decomposerEEEEE10hipError_tT0_T1_T2_jT3_P12ihipStream_tbPNSt15iterator_traitsISH_E10value_typeEPNSN_ISI_E10value_typeEPSJ_NS1_7vsmem_tEENKUlT_SH_SI_SJ_E_clISB_PiSC_SC_EESG_SW_SH_SI_SJ_EUlSW_E1_NS1_11comp_targetILNS1_3genE10ELNS1_11target_archE1201ELNS1_3gpuE5ELNS1_3repE0EEENS1_36merge_oddeven_config_static_selectorELNS0_4arch9wavefront6targetE0EEEvSI_.has_dyn_sized_stack, 0
	.set _ZN7rocprim17ROCPRIM_400000_NS6detail17trampoline_kernelINS0_14default_configENS1_38merge_sort_block_merge_config_selectorIiNS0_10empty_typeEEEZZNS1_27merge_sort_block_merge_implIS3_N6thrust23THRUST_200600_302600_NS10device_ptrIiEEPS5_jNS1_19radix_merge_compareILb0ELb0EiNS0_19identity_decomposerEEEEE10hipError_tT0_T1_T2_jT3_P12ihipStream_tbPNSt15iterator_traitsISH_E10value_typeEPNSN_ISI_E10value_typeEPSJ_NS1_7vsmem_tEENKUlT_SH_SI_SJ_E_clISB_PiSC_SC_EESG_SW_SH_SI_SJ_EUlSW_E1_NS1_11comp_targetILNS1_3genE10ELNS1_11target_archE1201ELNS1_3gpuE5ELNS1_3repE0EEENS1_36merge_oddeven_config_static_selectorELNS0_4arch9wavefront6targetE0EEEvSI_.has_recursion, 0
	.set _ZN7rocprim17ROCPRIM_400000_NS6detail17trampoline_kernelINS0_14default_configENS1_38merge_sort_block_merge_config_selectorIiNS0_10empty_typeEEEZZNS1_27merge_sort_block_merge_implIS3_N6thrust23THRUST_200600_302600_NS10device_ptrIiEEPS5_jNS1_19radix_merge_compareILb0ELb0EiNS0_19identity_decomposerEEEEE10hipError_tT0_T1_T2_jT3_P12ihipStream_tbPNSt15iterator_traitsISH_E10value_typeEPNSN_ISI_E10value_typeEPSJ_NS1_7vsmem_tEENKUlT_SH_SI_SJ_E_clISB_PiSC_SC_EESG_SW_SH_SI_SJ_EUlSW_E1_NS1_11comp_targetILNS1_3genE10ELNS1_11target_archE1201ELNS1_3gpuE5ELNS1_3repE0EEENS1_36merge_oddeven_config_static_selectorELNS0_4arch9wavefront6targetE0EEEvSI_.has_indirect_call, 0
	.section	.AMDGPU.csdata,"",@progbits
; Kernel info:
; codeLenInByte = 0
; TotalNumSgprs: 0
; NumVgprs: 0
; ScratchSize: 0
; MemoryBound: 0
; FloatMode: 240
; IeeeMode: 1
; LDSByteSize: 0 bytes/workgroup (compile time only)
; SGPRBlocks: 0
; VGPRBlocks: 0
; NumSGPRsForWavesPerEU: 1
; NumVGPRsForWavesPerEU: 1
; Occupancy: 16
; WaveLimiterHint : 0
; COMPUTE_PGM_RSRC2:SCRATCH_EN: 0
; COMPUTE_PGM_RSRC2:USER_SGPR: 6
; COMPUTE_PGM_RSRC2:TRAP_HANDLER: 0
; COMPUTE_PGM_RSRC2:TGID_X_EN: 1
; COMPUTE_PGM_RSRC2:TGID_Y_EN: 0
; COMPUTE_PGM_RSRC2:TGID_Z_EN: 0
; COMPUTE_PGM_RSRC2:TIDIG_COMP_CNT: 0
	.section	.text._ZN7rocprim17ROCPRIM_400000_NS6detail17trampoline_kernelINS0_14default_configENS1_38merge_sort_block_merge_config_selectorIiNS0_10empty_typeEEEZZNS1_27merge_sort_block_merge_implIS3_N6thrust23THRUST_200600_302600_NS10device_ptrIiEEPS5_jNS1_19radix_merge_compareILb0ELb0EiNS0_19identity_decomposerEEEEE10hipError_tT0_T1_T2_jT3_P12ihipStream_tbPNSt15iterator_traitsISH_E10value_typeEPNSN_ISI_E10value_typeEPSJ_NS1_7vsmem_tEENKUlT_SH_SI_SJ_E_clISB_PiSC_SC_EESG_SW_SH_SI_SJ_EUlSW_E1_NS1_11comp_targetILNS1_3genE5ELNS1_11target_archE942ELNS1_3gpuE9ELNS1_3repE0EEENS1_36merge_oddeven_config_static_selectorELNS0_4arch9wavefront6targetE0EEEvSI_,"axG",@progbits,_ZN7rocprim17ROCPRIM_400000_NS6detail17trampoline_kernelINS0_14default_configENS1_38merge_sort_block_merge_config_selectorIiNS0_10empty_typeEEEZZNS1_27merge_sort_block_merge_implIS3_N6thrust23THRUST_200600_302600_NS10device_ptrIiEEPS5_jNS1_19radix_merge_compareILb0ELb0EiNS0_19identity_decomposerEEEEE10hipError_tT0_T1_T2_jT3_P12ihipStream_tbPNSt15iterator_traitsISH_E10value_typeEPNSN_ISI_E10value_typeEPSJ_NS1_7vsmem_tEENKUlT_SH_SI_SJ_E_clISB_PiSC_SC_EESG_SW_SH_SI_SJ_EUlSW_E1_NS1_11comp_targetILNS1_3genE5ELNS1_11target_archE942ELNS1_3gpuE9ELNS1_3repE0EEENS1_36merge_oddeven_config_static_selectorELNS0_4arch9wavefront6targetE0EEEvSI_,comdat
	.protected	_ZN7rocprim17ROCPRIM_400000_NS6detail17trampoline_kernelINS0_14default_configENS1_38merge_sort_block_merge_config_selectorIiNS0_10empty_typeEEEZZNS1_27merge_sort_block_merge_implIS3_N6thrust23THRUST_200600_302600_NS10device_ptrIiEEPS5_jNS1_19radix_merge_compareILb0ELb0EiNS0_19identity_decomposerEEEEE10hipError_tT0_T1_T2_jT3_P12ihipStream_tbPNSt15iterator_traitsISH_E10value_typeEPNSN_ISI_E10value_typeEPSJ_NS1_7vsmem_tEENKUlT_SH_SI_SJ_E_clISB_PiSC_SC_EESG_SW_SH_SI_SJ_EUlSW_E1_NS1_11comp_targetILNS1_3genE5ELNS1_11target_archE942ELNS1_3gpuE9ELNS1_3repE0EEENS1_36merge_oddeven_config_static_selectorELNS0_4arch9wavefront6targetE0EEEvSI_ ; -- Begin function _ZN7rocprim17ROCPRIM_400000_NS6detail17trampoline_kernelINS0_14default_configENS1_38merge_sort_block_merge_config_selectorIiNS0_10empty_typeEEEZZNS1_27merge_sort_block_merge_implIS3_N6thrust23THRUST_200600_302600_NS10device_ptrIiEEPS5_jNS1_19radix_merge_compareILb0ELb0EiNS0_19identity_decomposerEEEEE10hipError_tT0_T1_T2_jT3_P12ihipStream_tbPNSt15iterator_traitsISH_E10value_typeEPNSN_ISI_E10value_typeEPSJ_NS1_7vsmem_tEENKUlT_SH_SI_SJ_E_clISB_PiSC_SC_EESG_SW_SH_SI_SJ_EUlSW_E1_NS1_11comp_targetILNS1_3genE5ELNS1_11target_archE942ELNS1_3gpuE9ELNS1_3repE0EEENS1_36merge_oddeven_config_static_selectorELNS0_4arch9wavefront6targetE0EEEvSI_
	.globl	_ZN7rocprim17ROCPRIM_400000_NS6detail17trampoline_kernelINS0_14default_configENS1_38merge_sort_block_merge_config_selectorIiNS0_10empty_typeEEEZZNS1_27merge_sort_block_merge_implIS3_N6thrust23THRUST_200600_302600_NS10device_ptrIiEEPS5_jNS1_19radix_merge_compareILb0ELb0EiNS0_19identity_decomposerEEEEE10hipError_tT0_T1_T2_jT3_P12ihipStream_tbPNSt15iterator_traitsISH_E10value_typeEPNSN_ISI_E10value_typeEPSJ_NS1_7vsmem_tEENKUlT_SH_SI_SJ_E_clISB_PiSC_SC_EESG_SW_SH_SI_SJ_EUlSW_E1_NS1_11comp_targetILNS1_3genE5ELNS1_11target_archE942ELNS1_3gpuE9ELNS1_3repE0EEENS1_36merge_oddeven_config_static_selectorELNS0_4arch9wavefront6targetE0EEEvSI_
	.p2align	8
	.type	_ZN7rocprim17ROCPRIM_400000_NS6detail17trampoline_kernelINS0_14default_configENS1_38merge_sort_block_merge_config_selectorIiNS0_10empty_typeEEEZZNS1_27merge_sort_block_merge_implIS3_N6thrust23THRUST_200600_302600_NS10device_ptrIiEEPS5_jNS1_19radix_merge_compareILb0ELb0EiNS0_19identity_decomposerEEEEE10hipError_tT0_T1_T2_jT3_P12ihipStream_tbPNSt15iterator_traitsISH_E10value_typeEPNSN_ISI_E10value_typeEPSJ_NS1_7vsmem_tEENKUlT_SH_SI_SJ_E_clISB_PiSC_SC_EESG_SW_SH_SI_SJ_EUlSW_E1_NS1_11comp_targetILNS1_3genE5ELNS1_11target_archE942ELNS1_3gpuE9ELNS1_3repE0EEENS1_36merge_oddeven_config_static_selectorELNS0_4arch9wavefront6targetE0EEEvSI_,@function
_ZN7rocprim17ROCPRIM_400000_NS6detail17trampoline_kernelINS0_14default_configENS1_38merge_sort_block_merge_config_selectorIiNS0_10empty_typeEEEZZNS1_27merge_sort_block_merge_implIS3_N6thrust23THRUST_200600_302600_NS10device_ptrIiEEPS5_jNS1_19radix_merge_compareILb0ELb0EiNS0_19identity_decomposerEEEEE10hipError_tT0_T1_T2_jT3_P12ihipStream_tbPNSt15iterator_traitsISH_E10value_typeEPNSN_ISI_E10value_typeEPSJ_NS1_7vsmem_tEENKUlT_SH_SI_SJ_E_clISB_PiSC_SC_EESG_SW_SH_SI_SJ_EUlSW_E1_NS1_11comp_targetILNS1_3genE5ELNS1_11target_archE942ELNS1_3gpuE9ELNS1_3repE0EEENS1_36merge_oddeven_config_static_selectorELNS0_4arch9wavefront6targetE0EEEvSI_: ; @_ZN7rocprim17ROCPRIM_400000_NS6detail17trampoline_kernelINS0_14default_configENS1_38merge_sort_block_merge_config_selectorIiNS0_10empty_typeEEEZZNS1_27merge_sort_block_merge_implIS3_N6thrust23THRUST_200600_302600_NS10device_ptrIiEEPS5_jNS1_19radix_merge_compareILb0ELb0EiNS0_19identity_decomposerEEEEE10hipError_tT0_T1_T2_jT3_P12ihipStream_tbPNSt15iterator_traitsISH_E10value_typeEPNSN_ISI_E10value_typeEPSJ_NS1_7vsmem_tEENKUlT_SH_SI_SJ_E_clISB_PiSC_SC_EESG_SW_SH_SI_SJ_EUlSW_E1_NS1_11comp_targetILNS1_3genE5ELNS1_11target_archE942ELNS1_3gpuE9ELNS1_3repE0EEENS1_36merge_oddeven_config_static_selectorELNS0_4arch9wavefront6targetE0EEEvSI_
; %bb.0:
	.section	.rodata,"a",@progbits
	.p2align	6, 0x0
	.amdhsa_kernel _ZN7rocprim17ROCPRIM_400000_NS6detail17trampoline_kernelINS0_14default_configENS1_38merge_sort_block_merge_config_selectorIiNS0_10empty_typeEEEZZNS1_27merge_sort_block_merge_implIS3_N6thrust23THRUST_200600_302600_NS10device_ptrIiEEPS5_jNS1_19radix_merge_compareILb0ELb0EiNS0_19identity_decomposerEEEEE10hipError_tT0_T1_T2_jT3_P12ihipStream_tbPNSt15iterator_traitsISH_E10value_typeEPNSN_ISI_E10value_typeEPSJ_NS1_7vsmem_tEENKUlT_SH_SI_SJ_E_clISB_PiSC_SC_EESG_SW_SH_SI_SJ_EUlSW_E1_NS1_11comp_targetILNS1_3genE5ELNS1_11target_archE942ELNS1_3gpuE9ELNS1_3repE0EEENS1_36merge_oddeven_config_static_selectorELNS0_4arch9wavefront6targetE0EEEvSI_
		.amdhsa_group_segment_fixed_size 0
		.amdhsa_private_segment_fixed_size 0
		.amdhsa_kernarg_size 48
		.amdhsa_user_sgpr_count 6
		.amdhsa_user_sgpr_private_segment_buffer 1
		.amdhsa_user_sgpr_dispatch_ptr 0
		.amdhsa_user_sgpr_queue_ptr 0
		.amdhsa_user_sgpr_kernarg_segment_ptr 1
		.amdhsa_user_sgpr_dispatch_id 0
		.amdhsa_user_sgpr_flat_scratch_init 0
		.amdhsa_user_sgpr_private_segment_size 0
		.amdhsa_wavefront_size32 1
		.amdhsa_uses_dynamic_stack 0
		.amdhsa_system_sgpr_private_segment_wavefront_offset 0
		.amdhsa_system_sgpr_workgroup_id_x 1
		.amdhsa_system_sgpr_workgroup_id_y 0
		.amdhsa_system_sgpr_workgroup_id_z 0
		.amdhsa_system_sgpr_workgroup_info 0
		.amdhsa_system_vgpr_workitem_id 0
		.amdhsa_next_free_vgpr 1
		.amdhsa_next_free_sgpr 1
		.amdhsa_reserve_vcc 0
		.amdhsa_reserve_flat_scratch 0
		.amdhsa_float_round_mode_32 0
		.amdhsa_float_round_mode_16_64 0
		.amdhsa_float_denorm_mode_32 3
		.amdhsa_float_denorm_mode_16_64 3
		.amdhsa_dx10_clamp 1
		.amdhsa_ieee_mode 1
		.amdhsa_fp16_overflow 0
		.amdhsa_workgroup_processor_mode 1
		.amdhsa_memory_ordered 1
		.amdhsa_forward_progress 1
		.amdhsa_shared_vgpr_count 0
		.amdhsa_exception_fp_ieee_invalid_op 0
		.amdhsa_exception_fp_denorm_src 0
		.amdhsa_exception_fp_ieee_div_zero 0
		.amdhsa_exception_fp_ieee_overflow 0
		.amdhsa_exception_fp_ieee_underflow 0
		.amdhsa_exception_fp_ieee_inexact 0
		.amdhsa_exception_int_div_zero 0
	.end_amdhsa_kernel
	.section	.text._ZN7rocprim17ROCPRIM_400000_NS6detail17trampoline_kernelINS0_14default_configENS1_38merge_sort_block_merge_config_selectorIiNS0_10empty_typeEEEZZNS1_27merge_sort_block_merge_implIS3_N6thrust23THRUST_200600_302600_NS10device_ptrIiEEPS5_jNS1_19radix_merge_compareILb0ELb0EiNS0_19identity_decomposerEEEEE10hipError_tT0_T1_T2_jT3_P12ihipStream_tbPNSt15iterator_traitsISH_E10value_typeEPNSN_ISI_E10value_typeEPSJ_NS1_7vsmem_tEENKUlT_SH_SI_SJ_E_clISB_PiSC_SC_EESG_SW_SH_SI_SJ_EUlSW_E1_NS1_11comp_targetILNS1_3genE5ELNS1_11target_archE942ELNS1_3gpuE9ELNS1_3repE0EEENS1_36merge_oddeven_config_static_selectorELNS0_4arch9wavefront6targetE0EEEvSI_,"axG",@progbits,_ZN7rocprim17ROCPRIM_400000_NS6detail17trampoline_kernelINS0_14default_configENS1_38merge_sort_block_merge_config_selectorIiNS0_10empty_typeEEEZZNS1_27merge_sort_block_merge_implIS3_N6thrust23THRUST_200600_302600_NS10device_ptrIiEEPS5_jNS1_19radix_merge_compareILb0ELb0EiNS0_19identity_decomposerEEEEE10hipError_tT0_T1_T2_jT3_P12ihipStream_tbPNSt15iterator_traitsISH_E10value_typeEPNSN_ISI_E10value_typeEPSJ_NS1_7vsmem_tEENKUlT_SH_SI_SJ_E_clISB_PiSC_SC_EESG_SW_SH_SI_SJ_EUlSW_E1_NS1_11comp_targetILNS1_3genE5ELNS1_11target_archE942ELNS1_3gpuE9ELNS1_3repE0EEENS1_36merge_oddeven_config_static_selectorELNS0_4arch9wavefront6targetE0EEEvSI_,comdat
.Lfunc_end1154:
	.size	_ZN7rocprim17ROCPRIM_400000_NS6detail17trampoline_kernelINS0_14default_configENS1_38merge_sort_block_merge_config_selectorIiNS0_10empty_typeEEEZZNS1_27merge_sort_block_merge_implIS3_N6thrust23THRUST_200600_302600_NS10device_ptrIiEEPS5_jNS1_19radix_merge_compareILb0ELb0EiNS0_19identity_decomposerEEEEE10hipError_tT0_T1_T2_jT3_P12ihipStream_tbPNSt15iterator_traitsISH_E10value_typeEPNSN_ISI_E10value_typeEPSJ_NS1_7vsmem_tEENKUlT_SH_SI_SJ_E_clISB_PiSC_SC_EESG_SW_SH_SI_SJ_EUlSW_E1_NS1_11comp_targetILNS1_3genE5ELNS1_11target_archE942ELNS1_3gpuE9ELNS1_3repE0EEENS1_36merge_oddeven_config_static_selectorELNS0_4arch9wavefront6targetE0EEEvSI_, .Lfunc_end1154-_ZN7rocprim17ROCPRIM_400000_NS6detail17trampoline_kernelINS0_14default_configENS1_38merge_sort_block_merge_config_selectorIiNS0_10empty_typeEEEZZNS1_27merge_sort_block_merge_implIS3_N6thrust23THRUST_200600_302600_NS10device_ptrIiEEPS5_jNS1_19radix_merge_compareILb0ELb0EiNS0_19identity_decomposerEEEEE10hipError_tT0_T1_T2_jT3_P12ihipStream_tbPNSt15iterator_traitsISH_E10value_typeEPNSN_ISI_E10value_typeEPSJ_NS1_7vsmem_tEENKUlT_SH_SI_SJ_E_clISB_PiSC_SC_EESG_SW_SH_SI_SJ_EUlSW_E1_NS1_11comp_targetILNS1_3genE5ELNS1_11target_archE942ELNS1_3gpuE9ELNS1_3repE0EEENS1_36merge_oddeven_config_static_selectorELNS0_4arch9wavefront6targetE0EEEvSI_
                                        ; -- End function
	.set _ZN7rocprim17ROCPRIM_400000_NS6detail17trampoline_kernelINS0_14default_configENS1_38merge_sort_block_merge_config_selectorIiNS0_10empty_typeEEEZZNS1_27merge_sort_block_merge_implIS3_N6thrust23THRUST_200600_302600_NS10device_ptrIiEEPS5_jNS1_19radix_merge_compareILb0ELb0EiNS0_19identity_decomposerEEEEE10hipError_tT0_T1_T2_jT3_P12ihipStream_tbPNSt15iterator_traitsISH_E10value_typeEPNSN_ISI_E10value_typeEPSJ_NS1_7vsmem_tEENKUlT_SH_SI_SJ_E_clISB_PiSC_SC_EESG_SW_SH_SI_SJ_EUlSW_E1_NS1_11comp_targetILNS1_3genE5ELNS1_11target_archE942ELNS1_3gpuE9ELNS1_3repE0EEENS1_36merge_oddeven_config_static_selectorELNS0_4arch9wavefront6targetE0EEEvSI_.num_vgpr, 0
	.set _ZN7rocprim17ROCPRIM_400000_NS6detail17trampoline_kernelINS0_14default_configENS1_38merge_sort_block_merge_config_selectorIiNS0_10empty_typeEEEZZNS1_27merge_sort_block_merge_implIS3_N6thrust23THRUST_200600_302600_NS10device_ptrIiEEPS5_jNS1_19radix_merge_compareILb0ELb0EiNS0_19identity_decomposerEEEEE10hipError_tT0_T1_T2_jT3_P12ihipStream_tbPNSt15iterator_traitsISH_E10value_typeEPNSN_ISI_E10value_typeEPSJ_NS1_7vsmem_tEENKUlT_SH_SI_SJ_E_clISB_PiSC_SC_EESG_SW_SH_SI_SJ_EUlSW_E1_NS1_11comp_targetILNS1_3genE5ELNS1_11target_archE942ELNS1_3gpuE9ELNS1_3repE0EEENS1_36merge_oddeven_config_static_selectorELNS0_4arch9wavefront6targetE0EEEvSI_.num_agpr, 0
	.set _ZN7rocprim17ROCPRIM_400000_NS6detail17trampoline_kernelINS0_14default_configENS1_38merge_sort_block_merge_config_selectorIiNS0_10empty_typeEEEZZNS1_27merge_sort_block_merge_implIS3_N6thrust23THRUST_200600_302600_NS10device_ptrIiEEPS5_jNS1_19radix_merge_compareILb0ELb0EiNS0_19identity_decomposerEEEEE10hipError_tT0_T1_T2_jT3_P12ihipStream_tbPNSt15iterator_traitsISH_E10value_typeEPNSN_ISI_E10value_typeEPSJ_NS1_7vsmem_tEENKUlT_SH_SI_SJ_E_clISB_PiSC_SC_EESG_SW_SH_SI_SJ_EUlSW_E1_NS1_11comp_targetILNS1_3genE5ELNS1_11target_archE942ELNS1_3gpuE9ELNS1_3repE0EEENS1_36merge_oddeven_config_static_selectorELNS0_4arch9wavefront6targetE0EEEvSI_.numbered_sgpr, 0
	.set _ZN7rocprim17ROCPRIM_400000_NS6detail17trampoline_kernelINS0_14default_configENS1_38merge_sort_block_merge_config_selectorIiNS0_10empty_typeEEEZZNS1_27merge_sort_block_merge_implIS3_N6thrust23THRUST_200600_302600_NS10device_ptrIiEEPS5_jNS1_19radix_merge_compareILb0ELb0EiNS0_19identity_decomposerEEEEE10hipError_tT0_T1_T2_jT3_P12ihipStream_tbPNSt15iterator_traitsISH_E10value_typeEPNSN_ISI_E10value_typeEPSJ_NS1_7vsmem_tEENKUlT_SH_SI_SJ_E_clISB_PiSC_SC_EESG_SW_SH_SI_SJ_EUlSW_E1_NS1_11comp_targetILNS1_3genE5ELNS1_11target_archE942ELNS1_3gpuE9ELNS1_3repE0EEENS1_36merge_oddeven_config_static_selectorELNS0_4arch9wavefront6targetE0EEEvSI_.num_named_barrier, 0
	.set _ZN7rocprim17ROCPRIM_400000_NS6detail17trampoline_kernelINS0_14default_configENS1_38merge_sort_block_merge_config_selectorIiNS0_10empty_typeEEEZZNS1_27merge_sort_block_merge_implIS3_N6thrust23THRUST_200600_302600_NS10device_ptrIiEEPS5_jNS1_19radix_merge_compareILb0ELb0EiNS0_19identity_decomposerEEEEE10hipError_tT0_T1_T2_jT3_P12ihipStream_tbPNSt15iterator_traitsISH_E10value_typeEPNSN_ISI_E10value_typeEPSJ_NS1_7vsmem_tEENKUlT_SH_SI_SJ_E_clISB_PiSC_SC_EESG_SW_SH_SI_SJ_EUlSW_E1_NS1_11comp_targetILNS1_3genE5ELNS1_11target_archE942ELNS1_3gpuE9ELNS1_3repE0EEENS1_36merge_oddeven_config_static_selectorELNS0_4arch9wavefront6targetE0EEEvSI_.private_seg_size, 0
	.set _ZN7rocprim17ROCPRIM_400000_NS6detail17trampoline_kernelINS0_14default_configENS1_38merge_sort_block_merge_config_selectorIiNS0_10empty_typeEEEZZNS1_27merge_sort_block_merge_implIS3_N6thrust23THRUST_200600_302600_NS10device_ptrIiEEPS5_jNS1_19radix_merge_compareILb0ELb0EiNS0_19identity_decomposerEEEEE10hipError_tT0_T1_T2_jT3_P12ihipStream_tbPNSt15iterator_traitsISH_E10value_typeEPNSN_ISI_E10value_typeEPSJ_NS1_7vsmem_tEENKUlT_SH_SI_SJ_E_clISB_PiSC_SC_EESG_SW_SH_SI_SJ_EUlSW_E1_NS1_11comp_targetILNS1_3genE5ELNS1_11target_archE942ELNS1_3gpuE9ELNS1_3repE0EEENS1_36merge_oddeven_config_static_selectorELNS0_4arch9wavefront6targetE0EEEvSI_.uses_vcc, 0
	.set _ZN7rocprim17ROCPRIM_400000_NS6detail17trampoline_kernelINS0_14default_configENS1_38merge_sort_block_merge_config_selectorIiNS0_10empty_typeEEEZZNS1_27merge_sort_block_merge_implIS3_N6thrust23THRUST_200600_302600_NS10device_ptrIiEEPS5_jNS1_19radix_merge_compareILb0ELb0EiNS0_19identity_decomposerEEEEE10hipError_tT0_T1_T2_jT3_P12ihipStream_tbPNSt15iterator_traitsISH_E10value_typeEPNSN_ISI_E10value_typeEPSJ_NS1_7vsmem_tEENKUlT_SH_SI_SJ_E_clISB_PiSC_SC_EESG_SW_SH_SI_SJ_EUlSW_E1_NS1_11comp_targetILNS1_3genE5ELNS1_11target_archE942ELNS1_3gpuE9ELNS1_3repE0EEENS1_36merge_oddeven_config_static_selectorELNS0_4arch9wavefront6targetE0EEEvSI_.uses_flat_scratch, 0
	.set _ZN7rocprim17ROCPRIM_400000_NS6detail17trampoline_kernelINS0_14default_configENS1_38merge_sort_block_merge_config_selectorIiNS0_10empty_typeEEEZZNS1_27merge_sort_block_merge_implIS3_N6thrust23THRUST_200600_302600_NS10device_ptrIiEEPS5_jNS1_19radix_merge_compareILb0ELb0EiNS0_19identity_decomposerEEEEE10hipError_tT0_T1_T2_jT3_P12ihipStream_tbPNSt15iterator_traitsISH_E10value_typeEPNSN_ISI_E10value_typeEPSJ_NS1_7vsmem_tEENKUlT_SH_SI_SJ_E_clISB_PiSC_SC_EESG_SW_SH_SI_SJ_EUlSW_E1_NS1_11comp_targetILNS1_3genE5ELNS1_11target_archE942ELNS1_3gpuE9ELNS1_3repE0EEENS1_36merge_oddeven_config_static_selectorELNS0_4arch9wavefront6targetE0EEEvSI_.has_dyn_sized_stack, 0
	.set _ZN7rocprim17ROCPRIM_400000_NS6detail17trampoline_kernelINS0_14default_configENS1_38merge_sort_block_merge_config_selectorIiNS0_10empty_typeEEEZZNS1_27merge_sort_block_merge_implIS3_N6thrust23THRUST_200600_302600_NS10device_ptrIiEEPS5_jNS1_19radix_merge_compareILb0ELb0EiNS0_19identity_decomposerEEEEE10hipError_tT0_T1_T2_jT3_P12ihipStream_tbPNSt15iterator_traitsISH_E10value_typeEPNSN_ISI_E10value_typeEPSJ_NS1_7vsmem_tEENKUlT_SH_SI_SJ_E_clISB_PiSC_SC_EESG_SW_SH_SI_SJ_EUlSW_E1_NS1_11comp_targetILNS1_3genE5ELNS1_11target_archE942ELNS1_3gpuE9ELNS1_3repE0EEENS1_36merge_oddeven_config_static_selectorELNS0_4arch9wavefront6targetE0EEEvSI_.has_recursion, 0
	.set _ZN7rocprim17ROCPRIM_400000_NS6detail17trampoline_kernelINS0_14default_configENS1_38merge_sort_block_merge_config_selectorIiNS0_10empty_typeEEEZZNS1_27merge_sort_block_merge_implIS3_N6thrust23THRUST_200600_302600_NS10device_ptrIiEEPS5_jNS1_19radix_merge_compareILb0ELb0EiNS0_19identity_decomposerEEEEE10hipError_tT0_T1_T2_jT3_P12ihipStream_tbPNSt15iterator_traitsISH_E10value_typeEPNSN_ISI_E10value_typeEPSJ_NS1_7vsmem_tEENKUlT_SH_SI_SJ_E_clISB_PiSC_SC_EESG_SW_SH_SI_SJ_EUlSW_E1_NS1_11comp_targetILNS1_3genE5ELNS1_11target_archE942ELNS1_3gpuE9ELNS1_3repE0EEENS1_36merge_oddeven_config_static_selectorELNS0_4arch9wavefront6targetE0EEEvSI_.has_indirect_call, 0
	.section	.AMDGPU.csdata,"",@progbits
; Kernel info:
; codeLenInByte = 0
; TotalNumSgprs: 0
; NumVgprs: 0
; ScratchSize: 0
; MemoryBound: 0
; FloatMode: 240
; IeeeMode: 1
; LDSByteSize: 0 bytes/workgroup (compile time only)
; SGPRBlocks: 0
; VGPRBlocks: 0
; NumSGPRsForWavesPerEU: 1
; NumVGPRsForWavesPerEU: 1
; Occupancy: 16
; WaveLimiterHint : 0
; COMPUTE_PGM_RSRC2:SCRATCH_EN: 0
; COMPUTE_PGM_RSRC2:USER_SGPR: 6
; COMPUTE_PGM_RSRC2:TRAP_HANDLER: 0
; COMPUTE_PGM_RSRC2:TGID_X_EN: 1
; COMPUTE_PGM_RSRC2:TGID_Y_EN: 0
; COMPUTE_PGM_RSRC2:TGID_Z_EN: 0
; COMPUTE_PGM_RSRC2:TIDIG_COMP_CNT: 0
	.section	.text._ZN7rocprim17ROCPRIM_400000_NS6detail17trampoline_kernelINS0_14default_configENS1_38merge_sort_block_merge_config_selectorIiNS0_10empty_typeEEEZZNS1_27merge_sort_block_merge_implIS3_N6thrust23THRUST_200600_302600_NS10device_ptrIiEEPS5_jNS1_19radix_merge_compareILb0ELb0EiNS0_19identity_decomposerEEEEE10hipError_tT0_T1_T2_jT3_P12ihipStream_tbPNSt15iterator_traitsISH_E10value_typeEPNSN_ISI_E10value_typeEPSJ_NS1_7vsmem_tEENKUlT_SH_SI_SJ_E_clISB_PiSC_SC_EESG_SW_SH_SI_SJ_EUlSW_E1_NS1_11comp_targetILNS1_3genE4ELNS1_11target_archE910ELNS1_3gpuE8ELNS1_3repE0EEENS1_36merge_oddeven_config_static_selectorELNS0_4arch9wavefront6targetE0EEEvSI_,"axG",@progbits,_ZN7rocprim17ROCPRIM_400000_NS6detail17trampoline_kernelINS0_14default_configENS1_38merge_sort_block_merge_config_selectorIiNS0_10empty_typeEEEZZNS1_27merge_sort_block_merge_implIS3_N6thrust23THRUST_200600_302600_NS10device_ptrIiEEPS5_jNS1_19radix_merge_compareILb0ELb0EiNS0_19identity_decomposerEEEEE10hipError_tT0_T1_T2_jT3_P12ihipStream_tbPNSt15iterator_traitsISH_E10value_typeEPNSN_ISI_E10value_typeEPSJ_NS1_7vsmem_tEENKUlT_SH_SI_SJ_E_clISB_PiSC_SC_EESG_SW_SH_SI_SJ_EUlSW_E1_NS1_11comp_targetILNS1_3genE4ELNS1_11target_archE910ELNS1_3gpuE8ELNS1_3repE0EEENS1_36merge_oddeven_config_static_selectorELNS0_4arch9wavefront6targetE0EEEvSI_,comdat
	.protected	_ZN7rocprim17ROCPRIM_400000_NS6detail17trampoline_kernelINS0_14default_configENS1_38merge_sort_block_merge_config_selectorIiNS0_10empty_typeEEEZZNS1_27merge_sort_block_merge_implIS3_N6thrust23THRUST_200600_302600_NS10device_ptrIiEEPS5_jNS1_19radix_merge_compareILb0ELb0EiNS0_19identity_decomposerEEEEE10hipError_tT0_T1_T2_jT3_P12ihipStream_tbPNSt15iterator_traitsISH_E10value_typeEPNSN_ISI_E10value_typeEPSJ_NS1_7vsmem_tEENKUlT_SH_SI_SJ_E_clISB_PiSC_SC_EESG_SW_SH_SI_SJ_EUlSW_E1_NS1_11comp_targetILNS1_3genE4ELNS1_11target_archE910ELNS1_3gpuE8ELNS1_3repE0EEENS1_36merge_oddeven_config_static_selectorELNS0_4arch9wavefront6targetE0EEEvSI_ ; -- Begin function _ZN7rocprim17ROCPRIM_400000_NS6detail17trampoline_kernelINS0_14default_configENS1_38merge_sort_block_merge_config_selectorIiNS0_10empty_typeEEEZZNS1_27merge_sort_block_merge_implIS3_N6thrust23THRUST_200600_302600_NS10device_ptrIiEEPS5_jNS1_19radix_merge_compareILb0ELb0EiNS0_19identity_decomposerEEEEE10hipError_tT0_T1_T2_jT3_P12ihipStream_tbPNSt15iterator_traitsISH_E10value_typeEPNSN_ISI_E10value_typeEPSJ_NS1_7vsmem_tEENKUlT_SH_SI_SJ_E_clISB_PiSC_SC_EESG_SW_SH_SI_SJ_EUlSW_E1_NS1_11comp_targetILNS1_3genE4ELNS1_11target_archE910ELNS1_3gpuE8ELNS1_3repE0EEENS1_36merge_oddeven_config_static_selectorELNS0_4arch9wavefront6targetE0EEEvSI_
	.globl	_ZN7rocprim17ROCPRIM_400000_NS6detail17trampoline_kernelINS0_14default_configENS1_38merge_sort_block_merge_config_selectorIiNS0_10empty_typeEEEZZNS1_27merge_sort_block_merge_implIS3_N6thrust23THRUST_200600_302600_NS10device_ptrIiEEPS5_jNS1_19radix_merge_compareILb0ELb0EiNS0_19identity_decomposerEEEEE10hipError_tT0_T1_T2_jT3_P12ihipStream_tbPNSt15iterator_traitsISH_E10value_typeEPNSN_ISI_E10value_typeEPSJ_NS1_7vsmem_tEENKUlT_SH_SI_SJ_E_clISB_PiSC_SC_EESG_SW_SH_SI_SJ_EUlSW_E1_NS1_11comp_targetILNS1_3genE4ELNS1_11target_archE910ELNS1_3gpuE8ELNS1_3repE0EEENS1_36merge_oddeven_config_static_selectorELNS0_4arch9wavefront6targetE0EEEvSI_
	.p2align	8
	.type	_ZN7rocprim17ROCPRIM_400000_NS6detail17trampoline_kernelINS0_14default_configENS1_38merge_sort_block_merge_config_selectorIiNS0_10empty_typeEEEZZNS1_27merge_sort_block_merge_implIS3_N6thrust23THRUST_200600_302600_NS10device_ptrIiEEPS5_jNS1_19radix_merge_compareILb0ELb0EiNS0_19identity_decomposerEEEEE10hipError_tT0_T1_T2_jT3_P12ihipStream_tbPNSt15iterator_traitsISH_E10value_typeEPNSN_ISI_E10value_typeEPSJ_NS1_7vsmem_tEENKUlT_SH_SI_SJ_E_clISB_PiSC_SC_EESG_SW_SH_SI_SJ_EUlSW_E1_NS1_11comp_targetILNS1_3genE4ELNS1_11target_archE910ELNS1_3gpuE8ELNS1_3repE0EEENS1_36merge_oddeven_config_static_selectorELNS0_4arch9wavefront6targetE0EEEvSI_,@function
_ZN7rocprim17ROCPRIM_400000_NS6detail17trampoline_kernelINS0_14default_configENS1_38merge_sort_block_merge_config_selectorIiNS0_10empty_typeEEEZZNS1_27merge_sort_block_merge_implIS3_N6thrust23THRUST_200600_302600_NS10device_ptrIiEEPS5_jNS1_19radix_merge_compareILb0ELb0EiNS0_19identity_decomposerEEEEE10hipError_tT0_T1_T2_jT3_P12ihipStream_tbPNSt15iterator_traitsISH_E10value_typeEPNSN_ISI_E10value_typeEPSJ_NS1_7vsmem_tEENKUlT_SH_SI_SJ_E_clISB_PiSC_SC_EESG_SW_SH_SI_SJ_EUlSW_E1_NS1_11comp_targetILNS1_3genE4ELNS1_11target_archE910ELNS1_3gpuE8ELNS1_3repE0EEENS1_36merge_oddeven_config_static_selectorELNS0_4arch9wavefront6targetE0EEEvSI_: ; @_ZN7rocprim17ROCPRIM_400000_NS6detail17trampoline_kernelINS0_14default_configENS1_38merge_sort_block_merge_config_selectorIiNS0_10empty_typeEEEZZNS1_27merge_sort_block_merge_implIS3_N6thrust23THRUST_200600_302600_NS10device_ptrIiEEPS5_jNS1_19radix_merge_compareILb0ELb0EiNS0_19identity_decomposerEEEEE10hipError_tT0_T1_T2_jT3_P12ihipStream_tbPNSt15iterator_traitsISH_E10value_typeEPNSN_ISI_E10value_typeEPSJ_NS1_7vsmem_tEENKUlT_SH_SI_SJ_E_clISB_PiSC_SC_EESG_SW_SH_SI_SJ_EUlSW_E1_NS1_11comp_targetILNS1_3genE4ELNS1_11target_archE910ELNS1_3gpuE8ELNS1_3repE0EEENS1_36merge_oddeven_config_static_selectorELNS0_4arch9wavefront6targetE0EEEvSI_
; %bb.0:
	.section	.rodata,"a",@progbits
	.p2align	6, 0x0
	.amdhsa_kernel _ZN7rocprim17ROCPRIM_400000_NS6detail17trampoline_kernelINS0_14default_configENS1_38merge_sort_block_merge_config_selectorIiNS0_10empty_typeEEEZZNS1_27merge_sort_block_merge_implIS3_N6thrust23THRUST_200600_302600_NS10device_ptrIiEEPS5_jNS1_19radix_merge_compareILb0ELb0EiNS0_19identity_decomposerEEEEE10hipError_tT0_T1_T2_jT3_P12ihipStream_tbPNSt15iterator_traitsISH_E10value_typeEPNSN_ISI_E10value_typeEPSJ_NS1_7vsmem_tEENKUlT_SH_SI_SJ_E_clISB_PiSC_SC_EESG_SW_SH_SI_SJ_EUlSW_E1_NS1_11comp_targetILNS1_3genE4ELNS1_11target_archE910ELNS1_3gpuE8ELNS1_3repE0EEENS1_36merge_oddeven_config_static_selectorELNS0_4arch9wavefront6targetE0EEEvSI_
		.amdhsa_group_segment_fixed_size 0
		.amdhsa_private_segment_fixed_size 0
		.amdhsa_kernarg_size 48
		.amdhsa_user_sgpr_count 6
		.amdhsa_user_sgpr_private_segment_buffer 1
		.amdhsa_user_sgpr_dispatch_ptr 0
		.amdhsa_user_sgpr_queue_ptr 0
		.amdhsa_user_sgpr_kernarg_segment_ptr 1
		.amdhsa_user_sgpr_dispatch_id 0
		.amdhsa_user_sgpr_flat_scratch_init 0
		.amdhsa_user_sgpr_private_segment_size 0
		.amdhsa_wavefront_size32 1
		.amdhsa_uses_dynamic_stack 0
		.amdhsa_system_sgpr_private_segment_wavefront_offset 0
		.amdhsa_system_sgpr_workgroup_id_x 1
		.amdhsa_system_sgpr_workgroup_id_y 0
		.amdhsa_system_sgpr_workgroup_id_z 0
		.amdhsa_system_sgpr_workgroup_info 0
		.amdhsa_system_vgpr_workitem_id 0
		.amdhsa_next_free_vgpr 1
		.amdhsa_next_free_sgpr 1
		.amdhsa_reserve_vcc 0
		.amdhsa_reserve_flat_scratch 0
		.amdhsa_float_round_mode_32 0
		.amdhsa_float_round_mode_16_64 0
		.amdhsa_float_denorm_mode_32 3
		.amdhsa_float_denorm_mode_16_64 3
		.amdhsa_dx10_clamp 1
		.amdhsa_ieee_mode 1
		.amdhsa_fp16_overflow 0
		.amdhsa_workgroup_processor_mode 1
		.amdhsa_memory_ordered 1
		.amdhsa_forward_progress 1
		.amdhsa_shared_vgpr_count 0
		.amdhsa_exception_fp_ieee_invalid_op 0
		.amdhsa_exception_fp_denorm_src 0
		.amdhsa_exception_fp_ieee_div_zero 0
		.amdhsa_exception_fp_ieee_overflow 0
		.amdhsa_exception_fp_ieee_underflow 0
		.amdhsa_exception_fp_ieee_inexact 0
		.amdhsa_exception_int_div_zero 0
	.end_amdhsa_kernel
	.section	.text._ZN7rocprim17ROCPRIM_400000_NS6detail17trampoline_kernelINS0_14default_configENS1_38merge_sort_block_merge_config_selectorIiNS0_10empty_typeEEEZZNS1_27merge_sort_block_merge_implIS3_N6thrust23THRUST_200600_302600_NS10device_ptrIiEEPS5_jNS1_19radix_merge_compareILb0ELb0EiNS0_19identity_decomposerEEEEE10hipError_tT0_T1_T2_jT3_P12ihipStream_tbPNSt15iterator_traitsISH_E10value_typeEPNSN_ISI_E10value_typeEPSJ_NS1_7vsmem_tEENKUlT_SH_SI_SJ_E_clISB_PiSC_SC_EESG_SW_SH_SI_SJ_EUlSW_E1_NS1_11comp_targetILNS1_3genE4ELNS1_11target_archE910ELNS1_3gpuE8ELNS1_3repE0EEENS1_36merge_oddeven_config_static_selectorELNS0_4arch9wavefront6targetE0EEEvSI_,"axG",@progbits,_ZN7rocprim17ROCPRIM_400000_NS6detail17trampoline_kernelINS0_14default_configENS1_38merge_sort_block_merge_config_selectorIiNS0_10empty_typeEEEZZNS1_27merge_sort_block_merge_implIS3_N6thrust23THRUST_200600_302600_NS10device_ptrIiEEPS5_jNS1_19radix_merge_compareILb0ELb0EiNS0_19identity_decomposerEEEEE10hipError_tT0_T1_T2_jT3_P12ihipStream_tbPNSt15iterator_traitsISH_E10value_typeEPNSN_ISI_E10value_typeEPSJ_NS1_7vsmem_tEENKUlT_SH_SI_SJ_E_clISB_PiSC_SC_EESG_SW_SH_SI_SJ_EUlSW_E1_NS1_11comp_targetILNS1_3genE4ELNS1_11target_archE910ELNS1_3gpuE8ELNS1_3repE0EEENS1_36merge_oddeven_config_static_selectorELNS0_4arch9wavefront6targetE0EEEvSI_,comdat
.Lfunc_end1155:
	.size	_ZN7rocprim17ROCPRIM_400000_NS6detail17trampoline_kernelINS0_14default_configENS1_38merge_sort_block_merge_config_selectorIiNS0_10empty_typeEEEZZNS1_27merge_sort_block_merge_implIS3_N6thrust23THRUST_200600_302600_NS10device_ptrIiEEPS5_jNS1_19radix_merge_compareILb0ELb0EiNS0_19identity_decomposerEEEEE10hipError_tT0_T1_T2_jT3_P12ihipStream_tbPNSt15iterator_traitsISH_E10value_typeEPNSN_ISI_E10value_typeEPSJ_NS1_7vsmem_tEENKUlT_SH_SI_SJ_E_clISB_PiSC_SC_EESG_SW_SH_SI_SJ_EUlSW_E1_NS1_11comp_targetILNS1_3genE4ELNS1_11target_archE910ELNS1_3gpuE8ELNS1_3repE0EEENS1_36merge_oddeven_config_static_selectorELNS0_4arch9wavefront6targetE0EEEvSI_, .Lfunc_end1155-_ZN7rocprim17ROCPRIM_400000_NS6detail17trampoline_kernelINS0_14default_configENS1_38merge_sort_block_merge_config_selectorIiNS0_10empty_typeEEEZZNS1_27merge_sort_block_merge_implIS3_N6thrust23THRUST_200600_302600_NS10device_ptrIiEEPS5_jNS1_19radix_merge_compareILb0ELb0EiNS0_19identity_decomposerEEEEE10hipError_tT0_T1_T2_jT3_P12ihipStream_tbPNSt15iterator_traitsISH_E10value_typeEPNSN_ISI_E10value_typeEPSJ_NS1_7vsmem_tEENKUlT_SH_SI_SJ_E_clISB_PiSC_SC_EESG_SW_SH_SI_SJ_EUlSW_E1_NS1_11comp_targetILNS1_3genE4ELNS1_11target_archE910ELNS1_3gpuE8ELNS1_3repE0EEENS1_36merge_oddeven_config_static_selectorELNS0_4arch9wavefront6targetE0EEEvSI_
                                        ; -- End function
	.set _ZN7rocprim17ROCPRIM_400000_NS6detail17trampoline_kernelINS0_14default_configENS1_38merge_sort_block_merge_config_selectorIiNS0_10empty_typeEEEZZNS1_27merge_sort_block_merge_implIS3_N6thrust23THRUST_200600_302600_NS10device_ptrIiEEPS5_jNS1_19radix_merge_compareILb0ELb0EiNS0_19identity_decomposerEEEEE10hipError_tT0_T1_T2_jT3_P12ihipStream_tbPNSt15iterator_traitsISH_E10value_typeEPNSN_ISI_E10value_typeEPSJ_NS1_7vsmem_tEENKUlT_SH_SI_SJ_E_clISB_PiSC_SC_EESG_SW_SH_SI_SJ_EUlSW_E1_NS1_11comp_targetILNS1_3genE4ELNS1_11target_archE910ELNS1_3gpuE8ELNS1_3repE0EEENS1_36merge_oddeven_config_static_selectorELNS0_4arch9wavefront6targetE0EEEvSI_.num_vgpr, 0
	.set _ZN7rocprim17ROCPRIM_400000_NS6detail17trampoline_kernelINS0_14default_configENS1_38merge_sort_block_merge_config_selectorIiNS0_10empty_typeEEEZZNS1_27merge_sort_block_merge_implIS3_N6thrust23THRUST_200600_302600_NS10device_ptrIiEEPS5_jNS1_19radix_merge_compareILb0ELb0EiNS0_19identity_decomposerEEEEE10hipError_tT0_T1_T2_jT3_P12ihipStream_tbPNSt15iterator_traitsISH_E10value_typeEPNSN_ISI_E10value_typeEPSJ_NS1_7vsmem_tEENKUlT_SH_SI_SJ_E_clISB_PiSC_SC_EESG_SW_SH_SI_SJ_EUlSW_E1_NS1_11comp_targetILNS1_3genE4ELNS1_11target_archE910ELNS1_3gpuE8ELNS1_3repE0EEENS1_36merge_oddeven_config_static_selectorELNS0_4arch9wavefront6targetE0EEEvSI_.num_agpr, 0
	.set _ZN7rocprim17ROCPRIM_400000_NS6detail17trampoline_kernelINS0_14default_configENS1_38merge_sort_block_merge_config_selectorIiNS0_10empty_typeEEEZZNS1_27merge_sort_block_merge_implIS3_N6thrust23THRUST_200600_302600_NS10device_ptrIiEEPS5_jNS1_19radix_merge_compareILb0ELb0EiNS0_19identity_decomposerEEEEE10hipError_tT0_T1_T2_jT3_P12ihipStream_tbPNSt15iterator_traitsISH_E10value_typeEPNSN_ISI_E10value_typeEPSJ_NS1_7vsmem_tEENKUlT_SH_SI_SJ_E_clISB_PiSC_SC_EESG_SW_SH_SI_SJ_EUlSW_E1_NS1_11comp_targetILNS1_3genE4ELNS1_11target_archE910ELNS1_3gpuE8ELNS1_3repE0EEENS1_36merge_oddeven_config_static_selectorELNS0_4arch9wavefront6targetE0EEEvSI_.numbered_sgpr, 0
	.set _ZN7rocprim17ROCPRIM_400000_NS6detail17trampoline_kernelINS0_14default_configENS1_38merge_sort_block_merge_config_selectorIiNS0_10empty_typeEEEZZNS1_27merge_sort_block_merge_implIS3_N6thrust23THRUST_200600_302600_NS10device_ptrIiEEPS5_jNS1_19radix_merge_compareILb0ELb0EiNS0_19identity_decomposerEEEEE10hipError_tT0_T1_T2_jT3_P12ihipStream_tbPNSt15iterator_traitsISH_E10value_typeEPNSN_ISI_E10value_typeEPSJ_NS1_7vsmem_tEENKUlT_SH_SI_SJ_E_clISB_PiSC_SC_EESG_SW_SH_SI_SJ_EUlSW_E1_NS1_11comp_targetILNS1_3genE4ELNS1_11target_archE910ELNS1_3gpuE8ELNS1_3repE0EEENS1_36merge_oddeven_config_static_selectorELNS0_4arch9wavefront6targetE0EEEvSI_.num_named_barrier, 0
	.set _ZN7rocprim17ROCPRIM_400000_NS6detail17trampoline_kernelINS0_14default_configENS1_38merge_sort_block_merge_config_selectorIiNS0_10empty_typeEEEZZNS1_27merge_sort_block_merge_implIS3_N6thrust23THRUST_200600_302600_NS10device_ptrIiEEPS5_jNS1_19radix_merge_compareILb0ELb0EiNS0_19identity_decomposerEEEEE10hipError_tT0_T1_T2_jT3_P12ihipStream_tbPNSt15iterator_traitsISH_E10value_typeEPNSN_ISI_E10value_typeEPSJ_NS1_7vsmem_tEENKUlT_SH_SI_SJ_E_clISB_PiSC_SC_EESG_SW_SH_SI_SJ_EUlSW_E1_NS1_11comp_targetILNS1_3genE4ELNS1_11target_archE910ELNS1_3gpuE8ELNS1_3repE0EEENS1_36merge_oddeven_config_static_selectorELNS0_4arch9wavefront6targetE0EEEvSI_.private_seg_size, 0
	.set _ZN7rocprim17ROCPRIM_400000_NS6detail17trampoline_kernelINS0_14default_configENS1_38merge_sort_block_merge_config_selectorIiNS0_10empty_typeEEEZZNS1_27merge_sort_block_merge_implIS3_N6thrust23THRUST_200600_302600_NS10device_ptrIiEEPS5_jNS1_19radix_merge_compareILb0ELb0EiNS0_19identity_decomposerEEEEE10hipError_tT0_T1_T2_jT3_P12ihipStream_tbPNSt15iterator_traitsISH_E10value_typeEPNSN_ISI_E10value_typeEPSJ_NS1_7vsmem_tEENKUlT_SH_SI_SJ_E_clISB_PiSC_SC_EESG_SW_SH_SI_SJ_EUlSW_E1_NS1_11comp_targetILNS1_3genE4ELNS1_11target_archE910ELNS1_3gpuE8ELNS1_3repE0EEENS1_36merge_oddeven_config_static_selectorELNS0_4arch9wavefront6targetE0EEEvSI_.uses_vcc, 0
	.set _ZN7rocprim17ROCPRIM_400000_NS6detail17trampoline_kernelINS0_14default_configENS1_38merge_sort_block_merge_config_selectorIiNS0_10empty_typeEEEZZNS1_27merge_sort_block_merge_implIS3_N6thrust23THRUST_200600_302600_NS10device_ptrIiEEPS5_jNS1_19radix_merge_compareILb0ELb0EiNS0_19identity_decomposerEEEEE10hipError_tT0_T1_T2_jT3_P12ihipStream_tbPNSt15iterator_traitsISH_E10value_typeEPNSN_ISI_E10value_typeEPSJ_NS1_7vsmem_tEENKUlT_SH_SI_SJ_E_clISB_PiSC_SC_EESG_SW_SH_SI_SJ_EUlSW_E1_NS1_11comp_targetILNS1_3genE4ELNS1_11target_archE910ELNS1_3gpuE8ELNS1_3repE0EEENS1_36merge_oddeven_config_static_selectorELNS0_4arch9wavefront6targetE0EEEvSI_.uses_flat_scratch, 0
	.set _ZN7rocprim17ROCPRIM_400000_NS6detail17trampoline_kernelINS0_14default_configENS1_38merge_sort_block_merge_config_selectorIiNS0_10empty_typeEEEZZNS1_27merge_sort_block_merge_implIS3_N6thrust23THRUST_200600_302600_NS10device_ptrIiEEPS5_jNS1_19radix_merge_compareILb0ELb0EiNS0_19identity_decomposerEEEEE10hipError_tT0_T1_T2_jT3_P12ihipStream_tbPNSt15iterator_traitsISH_E10value_typeEPNSN_ISI_E10value_typeEPSJ_NS1_7vsmem_tEENKUlT_SH_SI_SJ_E_clISB_PiSC_SC_EESG_SW_SH_SI_SJ_EUlSW_E1_NS1_11comp_targetILNS1_3genE4ELNS1_11target_archE910ELNS1_3gpuE8ELNS1_3repE0EEENS1_36merge_oddeven_config_static_selectorELNS0_4arch9wavefront6targetE0EEEvSI_.has_dyn_sized_stack, 0
	.set _ZN7rocprim17ROCPRIM_400000_NS6detail17trampoline_kernelINS0_14default_configENS1_38merge_sort_block_merge_config_selectorIiNS0_10empty_typeEEEZZNS1_27merge_sort_block_merge_implIS3_N6thrust23THRUST_200600_302600_NS10device_ptrIiEEPS5_jNS1_19radix_merge_compareILb0ELb0EiNS0_19identity_decomposerEEEEE10hipError_tT0_T1_T2_jT3_P12ihipStream_tbPNSt15iterator_traitsISH_E10value_typeEPNSN_ISI_E10value_typeEPSJ_NS1_7vsmem_tEENKUlT_SH_SI_SJ_E_clISB_PiSC_SC_EESG_SW_SH_SI_SJ_EUlSW_E1_NS1_11comp_targetILNS1_3genE4ELNS1_11target_archE910ELNS1_3gpuE8ELNS1_3repE0EEENS1_36merge_oddeven_config_static_selectorELNS0_4arch9wavefront6targetE0EEEvSI_.has_recursion, 0
	.set _ZN7rocprim17ROCPRIM_400000_NS6detail17trampoline_kernelINS0_14default_configENS1_38merge_sort_block_merge_config_selectorIiNS0_10empty_typeEEEZZNS1_27merge_sort_block_merge_implIS3_N6thrust23THRUST_200600_302600_NS10device_ptrIiEEPS5_jNS1_19radix_merge_compareILb0ELb0EiNS0_19identity_decomposerEEEEE10hipError_tT0_T1_T2_jT3_P12ihipStream_tbPNSt15iterator_traitsISH_E10value_typeEPNSN_ISI_E10value_typeEPSJ_NS1_7vsmem_tEENKUlT_SH_SI_SJ_E_clISB_PiSC_SC_EESG_SW_SH_SI_SJ_EUlSW_E1_NS1_11comp_targetILNS1_3genE4ELNS1_11target_archE910ELNS1_3gpuE8ELNS1_3repE0EEENS1_36merge_oddeven_config_static_selectorELNS0_4arch9wavefront6targetE0EEEvSI_.has_indirect_call, 0
	.section	.AMDGPU.csdata,"",@progbits
; Kernel info:
; codeLenInByte = 0
; TotalNumSgprs: 0
; NumVgprs: 0
; ScratchSize: 0
; MemoryBound: 0
; FloatMode: 240
; IeeeMode: 1
; LDSByteSize: 0 bytes/workgroup (compile time only)
; SGPRBlocks: 0
; VGPRBlocks: 0
; NumSGPRsForWavesPerEU: 1
; NumVGPRsForWavesPerEU: 1
; Occupancy: 16
; WaveLimiterHint : 0
; COMPUTE_PGM_RSRC2:SCRATCH_EN: 0
; COMPUTE_PGM_RSRC2:USER_SGPR: 6
; COMPUTE_PGM_RSRC2:TRAP_HANDLER: 0
; COMPUTE_PGM_RSRC2:TGID_X_EN: 1
; COMPUTE_PGM_RSRC2:TGID_Y_EN: 0
; COMPUTE_PGM_RSRC2:TGID_Z_EN: 0
; COMPUTE_PGM_RSRC2:TIDIG_COMP_CNT: 0
	.section	.text._ZN7rocprim17ROCPRIM_400000_NS6detail17trampoline_kernelINS0_14default_configENS1_38merge_sort_block_merge_config_selectorIiNS0_10empty_typeEEEZZNS1_27merge_sort_block_merge_implIS3_N6thrust23THRUST_200600_302600_NS10device_ptrIiEEPS5_jNS1_19radix_merge_compareILb0ELb0EiNS0_19identity_decomposerEEEEE10hipError_tT0_T1_T2_jT3_P12ihipStream_tbPNSt15iterator_traitsISH_E10value_typeEPNSN_ISI_E10value_typeEPSJ_NS1_7vsmem_tEENKUlT_SH_SI_SJ_E_clISB_PiSC_SC_EESG_SW_SH_SI_SJ_EUlSW_E1_NS1_11comp_targetILNS1_3genE3ELNS1_11target_archE908ELNS1_3gpuE7ELNS1_3repE0EEENS1_36merge_oddeven_config_static_selectorELNS0_4arch9wavefront6targetE0EEEvSI_,"axG",@progbits,_ZN7rocprim17ROCPRIM_400000_NS6detail17trampoline_kernelINS0_14default_configENS1_38merge_sort_block_merge_config_selectorIiNS0_10empty_typeEEEZZNS1_27merge_sort_block_merge_implIS3_N6thrust23THRUST_200600_302600_NS10device_ptrIiEEPS5_jNS1_19radix_merge_compareILb0ELb0EiNS0_19identity_decomposerEEEEE10hipError_tT0_T1_T2_jT3_P12ihipStream_tbPNSt15iterator_traitsISH_E10value_typeEPNSN_ISI_E10value_typeEPSJ_NS1_7vsmem_tEENKUlT_SH_SI_SJ_E_clISB_PiSC_SC_EESG_SW_SH_SI_SJ_EUlSW_E1_NS1_11comp_targetILNS1_3genE3ELNS1_11target_archE908ELNS1_3gpuE7ELNS1_3repE0EEENS1_36merge_oddeven_config_static_selectorELNS0_4arch9wavefront6targetE0EEEvSI_,comdat
	.protected	_ZN7rocprim17ROCPRIM_400000_NS6detail17trampoline_kernelINS0_14default_configENS1_38merge_sort_block_merge_config_selectorIiNS0_10empty_typeEEEZZNS1_27merge_sort_block_merge_implIS3_N6thrust23THRUST_200600_302600_NS10device_ptrIiEEPS5_jNS1_19radix_merge_compareILb0ELb0EiNS0_19identity_decomposerEEEEE10hipError_tT0_T1_T2_jT3_P12ihipStream_tbPNSt15iterator_traitsISH_E10value_typeEPNSN_ISI_E10value_typeEPSJ_NS1_7vsmem_tEENKUlT_SH_SI_SJ_E_clISB_PiSC_SC_EESG_SW_SH_SI_SJ_EUlSW_E1_NS1_11comp_targetILNS1_3genE3ELNS1_11target_archE908ELNS1_3gpuE7ELNS1_3repE0EEENS1_36merge_oddeven_config_static_selectorELNS0_4arch9wavefront6targetE0EEEvSI_ ; -- Begin function _ZN7rocprim17ROCPRIM_400000_NS6detail17trampoline_kernelINS0_14default_configENS1_38merge_sort_block_merge_config_selectorIiNS0_10empty_typeEEEZZNS1_27merge_sort_block_merge_implIS3_N6thrust23THRUST_200600_302600_NS10device_ptrIiEEPS5_jNS1_19radix_merge_compareILb0ELb0EiNS0_19identity_decomposerEEEEE10hipError_tT0_T1_T2_jT3_P12ihipStream_tbPNSt15iterator_traitsISH_E10value_typeEPNSN_ISI_E10value_typeEPSJ_NS1_7vsmem_tEENKUlT_SH_SI_SJ_E_clISB_PiSC_SC_EESG_SW_SH_SI_SJ_EUlSW_E1_NS1_11comp_targetILNS1_3genE3ELNS1_11target_archE908ELNS1_3gpuE7ELNS1_3repE0EEENS1_36merge_oddeven_config_static_selectorELNS0_4arch9wavefront6targetE0EEEvSI_
	.globl	_ZN7rocprim17ROCPRIM_400000_NS6detail17trampoline_kernelINS0_14default_configENS1_38merge_sort_block_merge_config_selectorIiNS0_10empty_typeEEEZZNS1_27merge_sort_block_merge_implIS3_N6thrust23THRUST_200600_302600_NS10device_ptrIiEEPS5_jNS1_19radix_merge_compareILb0ELb0EiNS0_19identity_decomposerEEEEE10hipError_tT0_T1_T2_jT3_P12ihipStream_tbPNSt15iterator_traitsISH_E10value_typeEPNSN_ISI_E10value_typeEPSJ_NS1_7vsmem_tEENKUlT_SH_SI_SJ_E_clISB_PiSC_SC_EESG_SW_SH_SI_SJ_EUlSW_E1_NS1_11comp_targetILNS1_3genE3ELNS1_11target_archE908ELNS1_3gpuE7ELNS1_3repE0EEENS1_36merge_oddeven_config_static_selectorELNS0_4arch9wavefront6targetE0EEEvSI_
	.p2align	8
	.type	_ZN7rocprim17ROCPRIM_400000_NS6detail17trampoline_kernelINS0_14default_configENS1_38merge_sort_block_merge_config_selectorIiNS0_10empty_typeEEEZZNS1_27merge_sort_block_merge_implIS3_N6thrust23THRUST_200600_302600_NS10device_ptrIiEEPS5_jNS1_19radix_merge_compareILb0ELb0EiNS0_19identity_decomposerEEEEE10hipError_tT0_T1_T2_jT3_P12ihipStream_tbPNSt15iterator_traitsISH_E10value_typeEPNSN_ISI_E10value_typeEPSJ_NS1_7vsmem_tEENKUlT_SH_SI_SJ_E_clISB_PiSC_SC_EESG_SW_SH_SI_SJ_EUlSW_E1_NS1_11comp_targetILNS1_3genE3ELNS1_11target_archE908ELNS1_3gpuE7ELNS1_3repE0EEENS1_36merge_oddeven_config_static_selectorELNS0_4arch9wavefront6targetE0EEEvSI_,@function
_ZN7rocprim17ROCPRIM_400000_NS6detail17trampoline_kernelINS0_14default_configENS1_38merge_sort_block_merge_config_selectorIiNS0_10empty_typeEEEZZNS1_27merge_sort_block_merge_implIS3_N6thrust23THRUST_200600_302600_NS10device_ptrIiEEPS5_jNS1_19radix_merge_compareILb0ELb0EiNS0_19identity_decomposerEEEEE10hipError_tT0_T1_T2_jT3_P12ihipStream_tbPNSt15iterator_traitsISH_E10value_typeEPNSN_ISI_E10value_typeEPSJ_NS1_7vsmem_tEENKUlT_SH_SI_SJ_E_clISB_PiSC_SC_EESG_SW_SH_SI_SJ_EUlSW_E1_NS1_11comp_targetILNS1_3genE3ELNS1_11target_archE908ELNS1_3gpuE7ELNS1_3repE0EEENS1_36merge_oddeven_config_static_selectorELNS0_4arch9wavefront6targetE0EEEvSI_: ; @_ZN7rocprim17ROCPRIM_400000_NS6detail17trampoline_kernelINS0_14default_configENS1_38merge_sort_block_merge_config_selectorIiNS0_10empty_typeEEEZZNS1_27merge_sort_block_merge_implIS3_N6thrust23THRUST_200600_302600_NS10device_ptrIiEEPS5_jNS1_19radix_merge_compareILb0ELb0EiNS0_19identity_decomposerEEEEE10hipError_tT0_T1_T2_jT3_P12ihipStream_tbPNSt15iterator_traitsISH_E10value_typeEPNSN_ISI_E10value_typeEPSJ_NS1_7vsmem_tEENKUlT_SH_SI_SJ_E_clISB_PiSC_SC_EESG_SW_SH_SI_SJ_EUlSW_E1_NS1_11comp_targetILNS1_3genE3ELNS1_11target_archE908ELNS1_3gpuE7ELNS1_3repE0EEENS1_36merge_oddeven_config_static_selectorELNS0_4arch9wavefront6targetE0EEEvSI_
; %bb.0:
	.section	.rodata,"a",@progbits
	.p2align	6, 0x0
	.amdhsa_kernel _ZN7rocprim17ROCPRIM_400000_NS6detail17trampoline_kernelINS0_14default_configENS1_38merge_sort_block_merge_config_selectorIiNS0_10empty_typeEEEZZNS1_27merge_sort_block_merge_implIS3_N6thrust23THRUST_200600_302600_NS10device_ptrIiEEPS5_jNS1_19radix_merge_compareILb0ELb0EiNS0_19identity_decomposerEEEEE10hipError_tT0_T1_T2_jT3_P12ihipStream_tbPNSt15iterator_traitsISH_E10value_typeEPNSN_ISI_E10value_typeEPSJ_NS1_7vsmem_tEENKUlT_SH_SI_SJ_E_clISB_PiSC_SC_EESG_SW_SH_SI_SJ_EUlSW_E1_NS1_11comp_targetILNS1_3genE3ELNS1_11target_archE908ELNS1_3gpuE7ELNS1_3repE0EEENS1_36merge_oddeven_config_static_selectorELNS0_4arch9wavefront6targetE0EEEvSI_
		.amdhsa_group_segment_fixed_size 0
		.amdhsa_private_segment_fixed_size 0
		.amdhsa_kernarg_size 48
		.amdhsa_user_sgpr_count 6
		.amdhsa_user_sgpr_private_segment_buffer 1
		.amdhsa_user_sgpr_dispatch_ptr 0
		.amdhsa_user_sgpr_queue_ptr 0
		.amdhsa_user_sgpr_kernarg_segment_ptr 1
		.amdhsa_user_sgpr_dispatch_id 0
		.amdhsa_user_sgpr_flat_scratch_init 0
		.amdhsa_user_sgpr_private_segment_size 0
		.amdhsa_wavefront_size32 1
		.amdhsa_uses_dynamic_stack 0
		.amdhsa_system_sgpr_private_segment_wavefront_offset 0
		.amdhsa_system_sgpr_workgroup_id_x 1
		.amdhsa_system_sgpr_workgroup_id_y 0
		.amdhsa_system_sgpr_workgroup_id_z 0
		.amdhsa_system_sgpr_workgroup_info 0
		.amdhsa_system_vgpr_workitem_id 0
		.amdhsa_next_free_vgpr 1
		.amdhsa_next_free_sgpr 1
		.amdhsa_reserve_vcc 0
		.amdhsa_reserve_flat_scratch 0
		.amdhsa_float_round_mode_32 0
		.amdhsa_float_round_mode_16_64 0
		.amdhsa_float_denorm_mode_32 3
		.amdhsa_float_denorm_mode_16_64 3
		.amdhsa_dx10_clamp 1
		.amdhsa_ieee_mode 1
		.amdhsa_fp16_overflow 0
		.amdhsa_workgroup_processor_mode 1
		.amdhsa_memory_ordered 1
		.amdhsa_forward_progress 1
		.amdhsa_shared_vgpr_count 0
		.amdhsa_exception_fp_ieee_invalid_op 0
		.amdhsa_exception_fp_denorm_src 0
		.amdhsa_exception_fp_ieee_div_zero 0
		.amdhsa_exception_fp_ieee_overflow 0
		.amdhsa_exception_fp_ieee_underflow 0
		.amdhsa_exception_fp_ieee_inexact 0
		.amdhsa_exception_int_div_zero 0
	.end_amdhsa_kernel
	.section	.text._ZN7rocprim17ROCPRIM_400000_NS6detail17trampoline_kernelINS0_14default_configENS1_38merge_sort_block_merge_config_selectorIiNS0_10empty_typeEEEZZNS1_27merge_sort_block_merge_implIS3_N6thrust23THRUST_200600_302600_NS10device_ptrIiEEPS5_jNS1_19radix_merge_compareILb0ELb0EiNS0_19identity_decomposerEEEEE10hipError_tT0_T1_T2_jT3_P12ihipStream_tbPNSt15iterator_traitsISH_E10value_typeEPNSN_ISI_E10value_typeEPSJ_NS1_7vsmem_tEENKUlT_SH_SI_SJ_E_clISB_PiSC_SC_EESG_SW_SH_SI_SJ_EUlSW_E1_NS1_11comp_targetILNS1_3genE3ELNS1_11target_archE908ELNS1_3gpuE7ELNS1_3repE0EEENS1_36merge_oddeven_config_static_selectorELNS0_4arch9wavefront6targetE0EEEvSI_,"axG",@progbits,_ZN7rocprim17ROCPRIM_400000_NS6detail17trampoline_kernelINS0_14default_configENS1_38merge_sort_block_merge_config_selectorIiNS0_10empty_typeEEEZZNS1_27merge_sort_block_merge_implIS3_N6thrust23THRUST_200600_302600_NS10device_ptrIiEEPS5_jNS1_19radix_merge_compareILb0ELb0EiNS0_19identity_decomposerEEEEE10hipError_tT0_T1_T2_jT3_P12ihipStream_tbPNSt15iterator_traitsISH_E10value_typeEPNSN_ISI_E10value_typeEPSJ_NS1_7vsmem_tEENKUlT_SH_SI_SJ_E_clISB_PiSC_SC_EESG_SW_SH_SI_SJ_EUlSW_E1_NS1_11comp_targetILNS1_3genE3ELNS1_11target_archE908ELNS1_3gpuE7ELNS1_3repE0EEENS1_36merge_oddeven_config_static_selectorELNS0_4arch9wavefront6targetE0EEEvSI_,comdat
.Lfunc_end1156:
	.size	_ZN7rocprim17ROCPRIM_400000_NS6detail17trampoline_kernelINS0_14default_configENS1_38merge_sort_block_merge_config_selectorIiNS0_10empty_typeEEEZZNS1_27merge_sort_block_merge_implIS3_N6thrust23THRUST_200600_302600_NS10device_ptrIiEEPS5_jNS1_19radix_merge_compareILb0ELb0EiNS0_19identity_decomposerEEEEE10hipError_tT0_T1_T2_jT3_P12ihipStream_tbPNSt15iterator_traitsISH_E10value_typeEPNSN_ISI_E10value_typeEPSJ_NS1_7vsmem_tEENKUlT_SH_SI_SJ_E_clISB_PiSC_SC_EESG_SW_SH_SI_SJ_EUlSW_E1_NS1_11comp_targetILNS1_3genE3ELNS1_11target_archE908ELNS1_3gpuE7ELNS1_3repE0EEENS1_36merge_oddeven_config_static_selectorELNS0_4arch9wavefront6targetE0EEEvSI_, .Lfunc_end1156-_ZN7rocprim17ROCPRIM_400000_NS6detail17trampoline_kernelINS0_14default_configENS1_38merge_sort_block_merge_config_selectorIiNS0_10empty_typeEEEZZNS1_27merge_sort_block_merge_implIS3_N6thrust23THRUST_200600_302600_NS10device_ptrIiEEPS5_jNS1_19radix_merge_compareILb0ELb0EiNS0_19identity_decomposerEEEEE10hipError_tT0_T1_T2_jT3_P12ihipStream_tbPNSt15iterator_traitsISH_E10value_typeEPNSN_ISI_E10value_typeEPSJ_NS1_7vsmem_tEENKUlT_SH_SI_SJ_E_clISB_PiSC_SC_EESG_SW_SH_SI_SJ_EUlSW_E1_NS1_11comp_targetILNS1_3genE3ELNS1_11target_archE908ELNS1_3gpuE7ELNS1_3repE0EEENS1_36merge_oddeven_config_static_selectorELNS0_4arch9wavefront6targetE0EEEvSI_
                                        ; -- End function
	.set _ZN7rocprim17ROCPRIM_400000_NS6detail17trampoline_kernelINS0_14default_configENS1_38merge_sort_block_merge_config_selectorIiNS0_10empty_typeEEEZZNS1_27merge_sort_block_merge_implIS3_N6thrust23THRUST_200600_302600_NS10device_ptrIiEEPS5_jNS1_19radix_merge_compareILb0ELb0EiNS0_19identity_decomposerEEEEE10hipError_tT0_T1_T2_jT3_P12ihipStream_tbPNSt15iterator_traitsISH_E10value_typeEPNSN_ISI_E10value_typeEPSJ_NS1_7vsmem_tEENKUlT_SH_SI_SJ_E_clISB_PiSC_SC_EESG_SW_SH_SI_SJ_EUlSW_E1_NS1_11comp_targetILNS1_3genE3ELNS1_11target_archE908ELNS1_3gpuE7ELNS1_3repE0EEENS1_36merge_oddeven_config_static_selectorELNS0_4arch9wavefront6targetE0EEEvSI_.num_vgpr, 0
	.set _ZN7rocprim17ROCPRIM_400000_NS6detail17trampoline_kernelINS0_14default_configENS1_38merge_sort_block_merge_config_selectorIiNS0_10empty_typeEEEZZNS1_27merge_sort_block_merge_implIS3_N6thrust23THRUST_200600_302600_NS10device_ptrIiEEPS5_jNS1_19radix_merge_compareILb0ELb0EiNS0_19identity_decomposerEEEEE10hipError_tT0_T1_T2_jT3_P12ihipStream_tbPNSt15iterator_traitsISH_E10value_typeEPNSN_ISI_E10value_typeEPSJ_NS1_7vsmem_tEENKUlT_SH_SI_SJ_E_clISB_PiSC_SC_EESG_SW_SH_SI_SJ_EUlSW_E1_NS1_11comp_targetILNS1_3genE3ELNS1_11target_archE908ELNS1_3gpuE7ELNS1_3repE0EEENS1_36merge_oddeven_config_static_selectorELNS0_4arch9wavefront6targetE0EEEvSI_.num_agpr, 0
	.set _ZN7rocprim17ROCPRIM_400000_NS6detail17trampoline_kernelINS0_14default_configENS1_38merge_sort_block_merge_config_selectorIiNS0_10empty_typeEEEZZNS1_27merge_sort_block_merge_implIS3_N6thrust23THRUST_200600_302600_NS10device_ptrIiEEPS5_jNS1_19radix_merge_compareILb0ELb0EiNS0_19identity_decomposerEEEEE10hipError_tT0_T1_T2_jT3_P12ihipStream_tbPNSt15iterator_traitsISH_E10value_typeEPNSN_ISI_E10value_typeEPSJ_NS1_7vsmem_tEENKUlT_SH_SI_SJ_E_clISB_PiSC_SC_EESG_SW_SH_SI_SJ_EUlSW_E1_NS1_11comp_targetILNS1_3genE3ELNS1_11target_archE908ELNS1_3gpuE7ELNS1_3repE0EEENS1_36merge_oddeven_config_static_selectorELNS0_4arch9wavefront6targetE0EEEvSI_.numbered_sgpr, 0
	.set _ZN7rocprim17ROCPRIM_400000_NS6detail17trampoline_kernelINS0_14default_configENS1_38merge_sort_block_merge_config_selectorIiNS0_10empty_typeEEEZZNS1_27merge_sort_block_merge_implIS3_N6thrust23THRUST_200600_302600_NS10device_ptrIiEEPS5_jNS1_19radix_merge_compareILb0ELb0EiNS0_19identity_decomposerEEEEE10hipError_tT0_T1_T2_jT3_P12ihipStream_tbPNSt15iterator_traitsISH_E10value_typeEPNSN_ISI_E10value_typeEPSJ_NS1_7vsmem_tEENKUlT_SH_SI_SJ_E_clISB_PiSC_SC_EESG_SW_SH_SI_SJ_EUlSW_E1_NS1_11comp_targetILNS1_3genE3ELNS1_11target_archE908ELNS1_3gpuE7ELNS1_3repE0EEENS1_36merge_oddeven_config_static_selectorELNS0_4arch9wavefront6targetE0EEEvSI_.num_named_barrier, 0
	.set _ZN7rocprim17ROCPRIM_400000_NS6detail17trampoline_kernelINS0_14default_configENS1_38merge_sort_block_merge_config_selectorIiNS0_10empty_typeEEEZZNS1_27merge_sort_block_merge_implIS3_N6thrust23THRUST_200600_302600_NS10device_ptrIiEEPS5_jNS1_19radix_merge_compareILb0ELb0EiNS0_19identity_decomposerEEEEE10hipError_tT0_T1_T2_jT3_P12ihipStream_tbPNSt15iterator_traitsISH_E10value_typeEPNSN_ISI_E10value_typeEPSJ_NS1_7vsmem_tEENKUlT_SH_SI_SJ_E_clISB_PiSC_SC_EESG_SW_SH_SI_SJ_EUlSW_E1_NS1_11comp_targetILNS1_3genE3ELNS1_11target_archE908ELNS1_3gpuE7ELNS1_3repE0EEENS1_36merge_oddeven_config_static_selectorELNS0_4arch9wavefront6targetE0EEEvSI_.private_seg_size, 0
	.set _ZN7rocprim17ROCPRIM_400000_NS6detail17trampoline_kernelINS0_14default_configENS1_38merge_sort_block_merge_config_selectorIiNS0_10empty_typeEEEZZNS1_27merge_sort_block_merge_implIS3_N6thrust23THRUST_200600_302600_NS10device_ptrIiEEPS5_jNS1_19radix_merge_compareILb0ELb0EiNS0_19identity_decomposerEEEEE10hipError_tT0_T1_T2_jT3_P12ihipStream_tbPNSt15iterator_traitsISH_E10value_typeEPNSN_ISI_E10value_typeEPSJ_NS1_7vsmem_tEENKUlT_SH_SI_SJ_E_clISB_PiSC_SC_EESG_SW_SH_SI_SJ_EUlSW_E1_NS1_11comp_targetILNS1_3genE3ELNS1_11target_archE908ELNS1_3gpuE7ELNS1_3repE0EEENS1_36merge_oddeven_config_static_selectorELNS0_4arch9wavefront6targetE0EEEvSI_.uses_vcc, 0
	.set _ZN7rocprim17ROCPRIM_400000_NS6detail17trampoline_kernelINS0_14default_configENS1_38merge_sort_block_merge_config_selectorIiNS0_10empty_typeEEEZZNS1_27merge_sort_block_merge_implIS3_N6thrust23THRUST_200600_302600_NS10device_ptrIiEEPS5_jNS1_19radix_merge_compareILb0ELb0EiNS0_19identity_decomposerEEEEE10hipError_tT0_T1_T2_jT3_P12ihipStream_tbPNSt15iterator_traitsISH_E10value_typeEPNSN_ISI_E10value_typeEPSJ_NS1_7vsmem_tEENKUlT_SH_SI_SJ_E_clISB_PiSC_SC_EESG_SW_SH_SI_SJ_EUlSW_E1_NS1_11comp_targetILNS1_3genE3ELNS1_11target_archE908ELNS1_3gpuE7ELNS1_3repE0EEENS1_36merge_oddeven_config_static_selectorELNS0_4arch9wavefront6targetE0EEEvSI_.uses_flat_scratch, 0
	.set _ZN7rocprim17ROCPRIM_400000_NS6detail17trampoline_kernelINS0_14default_configENS1_38merge_sort_block_merge_config_selectorIiNS0_10empty_typeEEEZZNS1_27merge_sort_block_merge_implIS3_N6thrust23THRUST_200600_302600_NS10device_ptrIiEEPS5_jNS1_19radix_merge_compareILb0ELb0EiNS0_19identity_decomposerEEEEE10hipError_tT0_T1_T2_jT3_P12ihipStream_tbPNSt15iterator_traitsISH_E10value_typeEPNSN_ISI_E10value_typeEPSJ_NS1_7vsmem_tEENKUlT_SH_SI_SJ_E_clISB_PiSC_SC_EESG_SW_SH_SI_SJ_EUlSW_E1_NS1_11comp_targetILNS1_3genE3ELNS1_11target_archE908ELNS1_3gpuE7ELNS1_3repE0EEENS1_36merge_oddeven_config_static_selectorELNS0_4arch9wavefront6targetE0EEEvSI_.has_dyn_sized_stack, 0
	.set _ZN7rocprim17ROCPRIM_400000_NS6detail17trampoline_kernelINS0_14default_configENS1_38merge_sort_block_merge_config_selectorIiNS0_10empty_typeEEEZZNS1_27merge_sort_block_merge_implIS3_N6thrust23THRUST_200600_302600_NS10device_ptrIiEEPS5_jNS1_19radix_merge_compareILb0ELb0EiNS0_19identity_decomposerEEEEE10hipError_tT0_T1_T2_jT3_P12ihipStream_tbPNSt15iterator_traitsISH_E10value_typeEPNSN_ISI_E10value_typeEPSJ_NS1_7vsmem_tEENKUlT_SH_SI_SJ_E_clISB_PiSC_SC_EESG_SW_SH_SI_SJ_EUlSW_E1_NS1_11comp_targetILNS1_3genE3ELNS1_11target_archE908ELNS1_3gpuE7ELNS1_3repE0EEENS1_36merge_oddeven_config_static_selectorELNS0_4arch9wavefront6targetE0EEEvSI_.has_recursion, 0
	.set _ZN7rocprim17ROCPRIM_400000_NS6detail17trampoline_kernelINS0_14default_configENS1_38merge_sort_block_merge_config_selectorIiNS0_10empty_typeEEEZZNS1_27merge_sort_block_merge_implIS3_N6thrust23THRUST_200600_302600_NS10device_ptrIiEEPS5_jNS1_19radix_merge_compareILb0ELb0EiNS0_19identity_decomposerEEEEE10hipError_tT0_T1_T2_jT3_P12ihipStream_tbPNSt15iterator_traitsISH_E10value_typeEPNSN_ISI_E10value_typeEPSJ_NS1_7vsmem_tEENKUlT_SH_SI_SJ_E_clISB_PiSC_SC_EESG_SW_SH_SI_SJ_EUlSW_E1_NS1_11comp_targetILNS1_3genE3ELNS1_11target_archE908ELNS1_3gpuE7ELNS1_3repE0EEENS1_36merge_oddeven_config_static_selectorELNS0_4arch9wavefront6targetE0EEEvSI_.has_indirect_call, 0
	.section	.AMDGPU.csdata,"",@progbits
; Kernel info:
; codeLenInByte = 0
; TotalNumSgprs: 0
; NumVgprs: 0
; ScratchSize: 0
; MemoryBound: 0
; FloatMode: 240
; IeeeMode: 1
; LDSByteSize: 0 bytes/workgroup (compile time only)
; SGPRBlocks: 0
; VGPRBlocks: 0
; NumSGPRsForWavesPerEU: 1
; NumVGPRsForWavesPerEU: 1
; Occupancy: 16
; WaveLimiterHint : 0
; COMPUTE_PGM_RSRC2:SCRATCH_EN: 0
; COMPUTE_PGM_RSRC2:USER_SGPR: 6
; COMPUTE_PGM_RSRC2:TRAP_HANDLER: 0
; COMPUTE_PGM_RSRC2:TGID_X_EN: 1
; COMPUTE_PGM_RSRC2:TGID_Y_EN: 0
; COMPUTE_PGM_RSRC2:TGID_Z_EN: 0
; COMPUTE_PGM_RSRC2:TIDIG_COMP_CNT: 0
	.section	.text._ZN7rocprim17ROCPRIM_400000_NS6detail17trampoline_kernelINS0_14default_configENS1_38merge_sort_block_merge_config_selectorIiNS0_10empty_typeEEEZZNS1_27merge_sort_block_merge_implIS3_N6thrust23THRUST_200600_302600_NS10device_ptrIiEEPS5_jNS1_19radix_merge_compareILb0ELb0EiNS0_19identity_decomposerEEEEE10hipError_tT0_T1_T2_jT3_P12ihipStream_tbPNSt15iterator_traitsISH_E10value_typeEPNSN_ISI_E10value_typeEPSJ_NS1_7vsmem_tEENKUlT_SH_SI_SJ_E_clISB_PiSC_SC_EESG_SW_SH_SI_SJ_EUlSW_E1_NS1_11comp_targetILNS1_3genE2ELNS1_11target_archE906ELNS1_3gpuE6ELNS1_3repE0EEENS1_36merge_oddeven_config_static_selectorELNS0_4arch9wavefront6targetE0EEEvSI_,"axG",@progbits,_ZN7rocprim17ROCPRIM_400000_NS6detail17trampoline_kernelINS0_14default_configENS1_38merge_sort_block_merge_config_selectorIiNS0_10empty_typeEEEZZNS1_27merge_sort_block_merge_implIS3_N6thrust23THRUST_200600_302600_NS10device_ptrIiEEPS5_jNS1_19radix_merge_compareILb0ELb0EiNS0_19identity_decomposerEEEEE10hipError_tT0_T1_T2_jT3_P12ihipStream_tbPNSt15iterator_traitsISH_E10value_typeEPNSN_ISI_E10value_typeEPSJ_NS1_7vsmem_tEENKUlT_SH_SI_SJ_E_clISB_PiSC_SC_EESG_SW_SH_SI_SJ_EUlSW_E1_NS1_11comp_targetILNS1_3genE2ELNS1_11target_archE906ELNS1_3gpuE6ELNS1_3repE0EEENS1_36merge_oddeven_config_static_selectorELNS0_4arch9wavefront6targetE0EEEvSI_,comdat
	.protected	_ZN7rocprim17ROCPRIM_400000_NS6detail17trampoline_kernelINS0_14default_configENS1_38merge_sort_block_merge_config_selectorIiNS0_10empty_typeEEEZZNS1_27merge_sort_block_merge_implIS3_N6thrust23THRUST_200600_302600_NS10device_ptrIiEEPS5_jNS1_19radix_merge_compareILb0ELb0EiNS0_19identity_decomposerEEEEE10hipError_tT0_T1_T2_jT3_P12ihipStream_tbPNSt15iterator_traitsISH_E10value_typeEPNSN_ISI_E10value_typeEPSJ_NS1_7vsmem_tEENKUlT_SH_SI_SJ_E_clISB_PiSC_SC_EESG_SW_SH_SI_SJ_EUlSW_E1_NS1_11comp_targetILNS1_3genE2ELNS1_11target_archE906ELNS1_3gpuE6ELNS1_3repE0EEENS1_36merge_oddeven_config_static_selectorELNS0_4arch9wavefront6targetE0EEEvSI_ ; -- Begin function _ZN7rocprim17ROCPRIM_400000_NS6detail17trampoline_kernelINS0_14default_configENS1_38merge_sort_block_merge_config_selectorIiNS0_10empty_typeEEEZZNS1_27merge_sort_block_merge_implIS3_N6thrust23THRUST_200600_302600_NS10device_ptrIiEEPS5_jNS1_19radix_merge_compareILb0ELb0EiNS0_19identity_decomposerEEEEE10hipError_tT0_T1_T2_jT3_P12ihipStream_tbPNSt15iterator_traitsISH_E10value_typeEPNSN_ISI_E10value_typeEPSJ_NS1_7vsmem_tEENKUlT_SH_SI_SJ_E_clISB_PiSC_SC_EESG_SW_SH_SI_SJ_EUlSW_E1_NS1_11comp_targetILNS1_3genE2ELNS1_11target_archE906ELNS1_3gpuE6ELNS1_3repE0EEENS1_36merge_oddeven_config_static_selectorELNS0_4arch9wavefront6targetE0EEEvSI_
	.globl	_ZN7rocprim17ROCPRIM_400000_NS6detail17trampoline_kernelINS0_14default_configENS1_38merge_sort_block_merge_config_selectorIiNS0_10empty_typeEEEZZNS1_27merge_sort_block_merge_implIS3_N6thrust23THRUST_200600_302600_NS10device_ptrIiEEPS5_jNS1_19radix_merge_compareILb0ELb0EiNS0_19identity_decomposerEEEEE10hipError_tT0_T1_T2_jT3_P12ihipStream_tbPNSt15iterator_traitsISH_E10value_typeEPNSN_ISI_E10value_typeEPSJ_NS1_7vsmem_tEENKUlT_SH_SI_SJ_E_clISB_PiSC_SC_EESG_SW_SH_SI_SJ_EUlSW_E1_NS1_11comp_targetILNS1_3genE2ELNS1_11target_archE906ELNS1_3gpuE6ELNS1_3repE0EEENS1_36merge_oddeven_config_static_selectorELNS0_4arch9wavefront6targetE0EEEvSI_
	.p2align	8
	.type	_ZN7rocprim17ROCPRIM_400000_NS6detail17trampoline_kernelINS0_14default_configENS1_38merge_sort_block_merge_config_selectorIiNS0_10empty_typeEEEZZNS1_27merge_sort_block_merge_implIS3_N6thrust23THRUST_200600_302600_NS10device_ptrIiEEPS5_jNS1_19radix_merge_compareILb0ELb0EiNS0_19identity_decomposerEEEEE10hipError_tT0_T1_T2_jT3_P12ihipStream_tbPNSt15iterator_traitsISH_E10value_typeEPNSN_ISI_E10value_typeEPSJ_NS1_7vsmem_tEENKUlT_SH_SI_SJ_E_clISB_PiSC_SC_EESG_SW_SH_SI_SJ_EUlSW_E1_NS1_11comp_targetILNS1_3genE2ELNS1_11target_archE906ELNS1_3gpuE6ELNS1_3repE0EEENS1_36merge_oddeven_config_static_selectorELNS0_4arch9wavefront6targetE0EEEvSI_,@function
_ZN7rocprim17ROCPRIM_400000_NS6detail17trampoline_kernelINS0_14default_configENS1_38merge_sort_block_merge_config_selectorIiNS0_10empty_typeEEEZZNS1_27merge_sort_block_merge_implIS3_N6thrust23THRUST_200600_302600_NS10device_ptrIiEEPS5_jNS1_19radix_merge_compareILb0ELb0EiNS0_19identity_decomposerEEEEE10hipError_tT0_T1_T2_jT3_P12ihipStream_tbPNSt15iterator_traitsISH_E10value_typeEPNSN_ISI_E10value_typeEPSJ_NS1_7vsmem_tEENKUlT_SH_SI_SJ_E_clISB_PiSC_SC_EESG_SW_SH_SI_SJ_EUlSW_E1_NS1_11comp_targetILNS1_3genE2ELNS1_11target_archE906ELNS1_3gpuE6ELNS1_3repE0EEENS1_36merge_oddeven_config_static_selectorELNS0_4arch9wavefront6targetE0EEEvSI_: ; @_ZN7rocprim17ROCPRIM_400000_NS6detail17trampoline_kernelINS0_14default_configENS1_38merge_sort_block_merge_config_selectorIiNS0_10empty_typeEEEZZNS1_27merge_sort_block_merge_implIS3_N6thrust23THRUST_200600_302600_NS10device_ptrIiEEPS5_jNS1_19radix_merge_compareILb0ELb0EiNS0_19identity_decomposerEEEEE10hipError_tT0_T1_T2_jT3_P12ihipStream_tbPNSt15iterator_traitsISH_E10value_typeEPNSN_ISI_E10value_typeEPSJ_NS1_7vsmem_tEENKUlT_SH_SI_SJ_E_clISB_PiSC_SC_EESG_SW_SH_SI_SJ_EUlSW_E1_NS1_11comp_targetILNS1_3genE2ELNS1_11target_archE906ELNS1_3gpuE6ELNS1_3repE0EEENS1_36merge_oddeven_config_static_selectorELNS0_4arch9wavefront6targetE0EEEvSI_
; %bb.0:
	.section	.rodata,"a",@progbits
	.p2align	6, 0x0
	.amdhsa_kernel _ZN7rocprim17ROCPRIM_400000_NS6detail17trampoline_kernelINS0_14default_configENS1_38merge_sort_block_merge_config_selectorIiNS0_10empty_typeEEEZZNS1_27merge_sort_block_merge_implIS3_N6thrust23THRUST_200600_302600_NS10device_ptrIiEEPS5_jNS1_19radix_merge_compareILb0ELb0EiNS0_19identity_decomposerEEEEE10hipError_tT0_T1_T2_jT3_P12ihipStream_tbPNSt15iterator_traitsISH_E10value_typeEPNSN_ISI_E10value_typeEPSJ_NS1_7vsmem_tEENKUlT_SH_SI_SJ_E_clISB_PiSC_SC_EESG_SW_SH_SI_SJ_EUlSW_E1_NS1_11comp_targetILNS1_3genE2ELNS1_11target_archE906ELNS1_3gpuE6ELNS1_3repE0EEENS1_36merge_oddeven_config_static_selectorELNS0_4arch9wavefront6targetE0EEEvSI_
		.amdhsa_group_segment_fixed_size 0
		.amdhsa_private_segment_fixed_size 0
		.amdhsa_kernarg_size 48
		.amdhsa_user_sgpr_count 6
		.amdhsa_user_sgpr_private_segment_buffer 1
		.amdhsa_user_sgpr_dispatch_ptr 0
		.amdhsa_user_sgpr_queue_ptr 0
		.amdhsa_user_sgpr_kernarg_segment_ptr 1
		.amdhsa_user_sgpr_dispatch_id 0
		.amdhsa_user_sgpr_flat_scratch_init 0
		.amdhsa_user_sgpr_private_segment_size 0
		.amdhsa_wavefront_size32 1
		.amdhsa_uses_dynamic_stack 0
		.amdhsa_system_sgpr_private_segment_wavefront_offset 0
		.amdhsa_system_sgpr_workgroup_id_x 1
		.amdhsa_system_sgpr_workgroup_id_y 0
		.amdhsa_system_sgpr_workgroup_id_z 0
		.amdhsa_system_sgpr_workgroup_info 0
		.amdhsa_system_vgpr_workitem_id 0
		.amdhsa_next_free_vgpr 1
		.amdhsa_next_free_sgpr 1
		.amdhsa_reserve_vcc 0
		.amdhsa_reserve_flat_scratch 0
		.amdhsa_float_round_mode_32 0
		.amdhsa_float_round_mode_16_64 0
		.amdhsa_float_denorm_mode_32 3
		.amdhsa_float_denorm_mode_16_64 3
		.amdhsa_dx10_clamp 1
		.amdhsa_ieee_mode 1
		.amdhsa_fp16_overflow 0
		.amdhsa_workgroup_processor_mode 1
		.amdhsa_memory_ordered 1
		.amdhsa_forward_progress 1
		.amdhsa_shared_vgpr_count 0
		.amdhsa_exception_fp_ieee_invalid_op 0
		.amdhsa_exception_fp_denorm_src 0
		.amdhsa_exception_fp_ieee_div_zero 0
		.amdhsa_exception_fp_ieee_overflow 0
		.amdhsa_exception_fp_ieee_underflow 0
		.amdhsa_exception_fp_ieee_inexact 0
		.amdhsa_exception_int_div_zero 0
	.end_amdhsa_kernel
	.section	.text._ZN7rocprim17ROCPRIM_400000_NS6detail17trampoline_kernelINS0_14default_configENS1_38merge_sort_block_merge_config_selectorIiNS0_10empty_typeEEEZZNS1_27merge_sort_block_merge_implIS3_N6thrust23THRUST_200600_302600_NS10device_ptrIiEEPS5_jNS1_19radix_merge_compareILb0ELb0EiNS0_19identity_decomposerEEEEE10hipError_tT0_T1_T2_jT3_P12ihipStream_tbPNSt15iterator_traitsISH_E10value_typeEPNSN_ISI_E10value_typeEPSJ_NS1_7vsmem_tEENKUlT_SH_SI_SJ_E_clISB_PiSC_SC_EESG_SW_SH_SI_SJ_EUlSW_E1_NS1_11comp_targetILNS1_3genE2ELNS1_11target_archE906ELNS1_3gpuE6ELNS1_3repE0EEENS1_36merge_oddeven_config_static_selectorELNS0_4arch9wavefront6targetE0EEEvSI_,"axG",@progbits,_ZN7rocprim17ROCPRIM_400000_NS6detail17trampoline_kernelINS0_14default_configENS1_38merge_sort_block_merge_config_selectorIiNS0_10empty_typeEEEZZNS1_27merge_sort_block_merge_implIS3_N6thrust23THRUST_200600_302600_NS10device_ptrIiEEPS5_jNS1_19radix_merge_compareILb0ELb0EiNS0_19identity_decomposerEEEEE10hipError_tT0_T1_T2_jT3_P12ihipStream_tbPNSt15iterator_traitsISH_E10value_typeEPNSN_ISI_E10value_typeEPSJ_NS1_7vsmem_tEENKUlT_SH_SI_SJ_E_clISB_PiSC_SC_EESG_SW_SH_SI_SJ_EUlSW_E1_NS1_11comp_targetILNS1_3genE2ELNS1_11target_archE906ELNS1_3gpuE6ELNS1_3repE0EEENS1_36merge_oddeven_config_static_selectorELNS0_4arch9wavefront6targetE0EEEvSI_,comdat
.Lfunc_end1157:
	.size	_ZN7rocprim17ROCPRIM_400000_NS6detail17trampoline_kernelINS0_14default_configENS1_38merge_sort_block_merge_config_selectorIiNS0_10empty_typeEEEZZNS1_27merge_sort_block_merge_implIS3_N6thrust23THRUST_200600_302600_NS10device_ptrIiEEPS5_jNS1_19radix_merge_compareILb0ELb0EiNS0_19identity_decomposerEEEEE10hipError_tT0_T1_T2_jT3_P12ihipStream_tbPNSt15iterator_traitsISH_E10value_typeEPNSN_ISI_E10value_typeEPSJ_NS1_7vsmem_tEENKUlT_SH_SI_SJ_E_clISB_PiSC_SC_EESG_SW_SH_SI_SJ_EUlSW_E1_NS1_11comp_targetILNS1_3genE2ELNS1_11target_archE906ELNS1_3gpuE6ELNS1_3repE0EEENS1_36merge_oddeven_config_static_selectorELNS0_4arch9wavefront6targetE0EEEvSI_, .Lfunc_end1157-_ZN7rocprim17ROCPRIM_400000_NS6detail17trampoline_kernelINS0_14default_configENS1_38merge_sort_block_merge_config_selectorIiNS0_10empty_typeEEEZZNS1_27merge_sort_block_merge_implIS3_N6thrust23THRUST_200600_302600_NS10device_ptrIiEEPS5_jNS1_19radix_merge_compareILb0ELb0EiNS0_19identity_decomposerEEEEE10hipError_tT0_T1_T2_jT3_P12ihipStream_tbPNSt15iterator_traitsISH_E10value_typeEPNSN_ISI_E10value_typeEPSJ_NS1_7vsmem_tEENKUlT_SH_SI_SJ_E_clISB_PiSC_SC_EESG_SW_SH_SI_SJ_EUlSW_E1_NS1_11comp_targetILNS1_3genE2ELNS1_11target_archE906ELNS1_3gpuE6ELNS1_3repE0EEENS1_36merge_oddeven_config_static_selectorELNS0_4arch9wavefront6targetE0EEEvSI_
                                        ; -- End function
	.set _ZN7rocprim17ROCPRIM_400000_NS6detail17trampoline_kernelINS0_14default_configENS1_38merge_sort_block_merge_config_selectorIiNS0_10empty_typeEEEZZNS1_27merge_sort_block_merge_implIS3_N6thrust23THRUST_200600_302600_NS10device_ptrIiEEPS5_jNS1_19radix_merge_compareILb0ELb0EiNS0_19identity_decomposerEEEEE10hipError_tT0_T1_T2_jT3_P12ihipStream_tbPNSt15iterator_traitsISH_E10value_typeEPNSN_ISI_E10value_typeEPSJ_NS1_7vsmem_tEENKUlT_SH_SI_SJ_E_clISB_PiSC_SC_EESG_SW_SH_SI_SJ_EUlSW_E1_NS1_11comp_targetILNS1_3genE2ELNS1_11target_archE906ELNS1_3gpuE6ELNS1_3repE0EEENS1_36merge_oddeven_config_static_selectorELNS0_4arch9wavefront6targetE0EEEvSI_.num_vgpr, 0
	.set _ZN7rocprim17ROCPRIM_400000_NS6detail17trampoline_kernelINS0_14default_configENS1_38merge_sort_block_merge_config_selectorIiNS0_10empty_typeEEEZZNS1_27merge_sort_block_merge_implIS3_N6thrust23THRUST_200600_302600_NS10device_ptrIiEEPS5_jNS1_19radix_merge_compareILb0ELb0EiNS0_19identity_decomposerEEEEE10hipError_tT0_T1_T2_jT3_P12ihipStream_tbPNSt15iterator_traitsISH_E10value_typeEPNSN_ISI_E10value_typeEPSJ_NS1_7vsmem_tEENKUlT_SH_SI_SJ_E_clISB_PiSC_SC_EESG_SW_SH_SI_SJ_EUlSW_E1_NS1_11comp_targetILNS1_3genE2ELNS1_11target_archE906ELNS1_3gpuE6ELNS1_3repE0EEENS1_36merge_oddeven_config_static_selectorELNS0_4arch9wavefront6targetE0EEEvSI_.num_agpr, 0
	.set _ZN7rocprim17ROCPRIM_400000_NS6detail17trampoline_kernelINS0_14default_configENS1_38merge_sort_block_merge_config_selectorIiNS0_10empty_typeEEEZZNS1_27merge_sort_block_merge_implIS3_N6thrust23THRUST_200600_302600_NS10device_ptrIiEEPS5_jNS1_19radix_merge_compareILb0ELb0EiNS0_19identity_decomposerEEEEE10hipError_tT0_T1_T2_jT3_P12ihipStream_tbPNSt15iterator_traitsISH_E10value_typeEPNSN_ISI_E10value_typeEPSJ_NS1_7vsmem_tEENKUlT_SH_SI_SJ_E_clISB_PiSC_SC_EESG_SW_SH_SI_SJ_EUlSW_E1_NS1_11comp_targetILNS1_3genE2ELNS1_11target_archE906ELNS1_3gpuE6ELNS1_3repE0EEENS1_36merge_oddeven_config_static_selectorELNS0_4arch9wavefront6targetE0EEEvSI_.numbered_sgpr, 0
	.set _ZN7rocprim17ROCPRIM_400000_NS6detail17trampoline_kernelINS0_14default_configENS1_38merge_sort_block_merge_config_selectorIiNS0_10empty_typeEEEZZNS1_27merge_sort_block_merge_implIS3_N6thrust23THRUST_200600_302600_NS10device_ptrIiEEPS5_jNS1_19radix_merge_compareILb0ELb0EiNS0_19identity_decomposerEEEEE10hipError_tT0_T1_T2_jT3_P12ihipStream_tbPNSt15iterator_traitsISH_E10value_typeEPNSN_ISI_E10value_typeEPSJ_NS1_7vsmem_tEENKUlT_SH_SI_SJ_E_clISB_PiSC_SC_EESG_SW_SH_SI_SJ_EUlSW_E1_NS1_11comp_targetILNS1_3genE2ELNS1_11target_archE906ELNS1_3gpuE6ELNS1_3repE0EEENS1_36merge_oddeven_config_static_selectorELNS0_4arch9wavefront6targetE0EEEvSI_.num_named_barrier, 0
	.set _ZN7rocprim17ROCPRIM_400000_NS6detail17trampoline_kernelINS0_14default_configENS1_38merge_sort_block_merge_config_selectorIiNS0_10empty_typeEEEZZNS1_27merge_sort_block_merge_implIS3_N6thrust23THRUST_200600_302600_NS10device_ptrIiEEPS5_jNS1_19radix_merge_compareILb0ELb0EiNS0_19identity_decomposerEEEEE10hipError_tT0_T1_T2_jT3_P12ihipStream_tbPNSt15iterator_traitsISH_E10value_typeEPNSN_ISI_E10value_typeEPSJ_NS1_7vsmem_tEENKUlT_SH_SI_SJ_E_clISB_PiSC_SC_EESG_SW_SH_SI_SJ_EUlSW_E1_NS1_11comp_targetILNS1_3genE2ELNS1_11target_archE906ELNS1_3gpuE6ELNS1_3repE0EEENS1_36merge_oddeven_config_static_selectorELNS0_4arch9wavefront6targetE0EEEvSI_.private_seg_size, 0
	.set _ZN7rocprim17ROCPRIM_400000_NS6detail17trampoline_kernelINS0_14default_configENS1_38merge_sort_block_merge_config_selectorIiNS0_10empty_typeEEEZZNS1_27merge_sort_block_merge_implIS3_N6thrust23THRUST_200600_302600_NS10device_ptrIiEEPS5_jNS1_19radix_merge_compareILb0ELb0EiNS0_19identity_decomposerEEEEE10hipError_tT0_T1_T2_jT3_P12ihipStream_tbPNSt15iterator_traitsISH_E10value_typeEPNSN_ISI_E10value_typeEPSJ_NS1_7vsmem_tEENKUlT_SH_SI_SJ_E_clISB_PiSC_SC_EESG_SW_SH_SI_SJ_EUlSW_E1_NS1_11comp_targetILNS1_3genE2ELNS1_11target_archE906ELNS1_3gpuE6ELNS1_3repE0EEENS1_36merge_oddeven_config_static_selectorELNS0_4arch9wavefront6targetE0EEEvSI_.uses_vcc, 0
	.set _ZN7rocprim17ROCPRIM_400000_NS6detail17trampoline_kernelINS0_14default_configENS1_38merge_sort_block_merge_config_selectorIiNS0_10empty_typeEEEZZNS1_27merge_sort_block_merge_implIS3_N6thrust23THRUST_200600_302600_NS10device_ptrIiEEPS5_jNS1_19radix_merge_compareILb0ELb0EiNS0_19identity_decomposerEEEEE10hipError_tT0_T1_T2_jT3_P12ihipStream_tbPNSt15iterator_traitsISH_E10value_typeEPNSN_ISI_E10value_typeEPSJ_NS1_7vsmem_tEENKUlT_SH_SI_SJ_E_clISB_PiSC_SC_EESG_SW_SH_SI_SJ_EUlSW_E1_NS1_11comp_targetILNS1_3genE2ELNS1_11target_archE906ELNS1_3gpuE6ELNS1_3repE0EEENS1_36merge_oddeven_config_static_selectorELNS0_4arch9wavefront6targetE0EEEvSI_.uses_flat_scratch, 0
	.set _ZN7rocprim17ROCPRIM_400000_NS6detail17trampoline_kernelINS0_14default_configENS1_38merge_sort_block_merge_config_selectorIiNS0_10empty_typeEEEZZNS1_27merge_sort_block_merge_implIS3_N6thrust23THRUST_200600_302600_NS10device_ptrIiEEPS5_jNS1_19radix_merge_compareILb0ELb0EiNS0_19identity_decomposerEEEEE10hipError_tT0_T1_T2_jT3_P12ihipStream_tbPNSt15iterator_traitsISH_E10value_typeEPNSN_ISI_E10value_typeEPSJ_NS1_7vsmem_tEENKUlT_SH_SI_SJ_E_clISB_PiSC_SC_EESG_SW_SH_SI_SJ_EUlSW_E1_NS1_11comp_targetILNS1_3genE2ELNS1_11target_archE906ELNS1_3gpuE6ELNS1_3repE0EEENS1_36merge_oddeven_config_static_selectorELNS0_4arch9wavefront6targetE0EEEvSI_.has_dyn_sized_stack, 0
	.set _ZN7rocprim17ROCPRIM_400000_NS6detail17trampoline_kernelINS0_14default_configENS1_38merge_sort_block_merge_config_selectorIiNS0_10empty_typeEEEZZNS1_27merge_sort_block_merge_implIS3_N6thrust23THRUST_200600_302600_NS10device_ptrIiEEPS5_jNS1_19radix_merge_compareILb0ELb0EiNS0_19identity_decomposerEEEEE10hipError_tT0_T1_T2_jT3_P12ihipStream_tbPNSt15iterator_traitsISH_E10value_typeEPNSN_ISI_E10value_typeEPSJ_NS1_7vsmem_tEENKUlT_SH_SI_SJ_E_clISB_PiSC_SC_EESG_SW_SH_SI_SJ_EUlSW_E1_NS1_11comp_targetILNS1_3genE2ELNS1_11target_archE906ELNS1_3gpuE6ELNS1_3repE0EEENS1_36merge_oddeven_config_static_selectorELNS0_4arch9wavefront6targetE0EEEvSI_.has_recursion, 0
	.set _ZN7rocprim17ROCPRIM_400000_NS6detail17trampoline_kernelINS0_14default_configENS1_38merge_sort_block_merge_config_selectorIiNS0_10empty_typeEEEZZNS1_27merge_sort_block_merge_implIS3_N6thrust23THRUST_200600_302600_NS10device_ptrIiEEPS5_jNS1_19radix_merge_compareILb0ELb0EiNS0_19identity_decomposerEEEEE10hipError_tT0_T1_T2_jT3_P12ihipStream_tbPNSt15iterator_traitsISH_E10value_typeEPNSN_ISI_E10value_typeEPSJ_NS1_7vsmem_tEENKUlT_SH_SI_SJ_E_clISB_PiSC_SC_EESG_SW_SH_SI_SJ_EUlSW_E1_NS1_11comp_targetILNS1_3genE2ELNS1_11target_archE906ELNS1_3gpuE6ELNS1_3repE0EEENS1_36merge_oddeven_config_static_selectorELNS0_4arch9wavefront6targetE0EEEvSI_.has_indirect_call, 0
	.section	.AMDGPU.csdata,"",@progbits
; Kernel info:
; codeLenInByte = 0
; TotalNumSgprs: 0
; NumVgprs: 0
; ScratchSize: 0
; MemoryBound: 0
; FloatMode: 240
; IeeeMode: 1
; LDSByteSize: 0 bytes/workgroup (compile time only)
; SGPRBlocks: 0
; VGPRBlocks: 0
; NumSGPRsForWavesPerEU: 1
; NumVGPRsForWavesPerEU: 1
; Occupancy: 16
; WaveLimiterHint : 0
; COMPUTE_PGM_RSRC2:SCRATCH_EN: 0
; COMPUTE_PGM_RSRC2:USER_SGPR: 6
; COMPUTE_PGM_RSRC2:TRAP_HANDLER: 0
; COMPUTE_PGM_RSRC2:TGID_X_EN: 1
; COMPUTE_PGM_RSRC2:TGID_Y_EN: 0
; COMPUTE_PGM_RSRC2:TGID_Z_EN: 0
; COMPUTE_PGM_RSRC2:TIDIG_COMP_CNT: 0
	.section	.text._ZN7rocprim17ROCPRIM_400000_NS6detail17trampoline_kernelINS0_14default_configENS1_38merge_sort_block_merge_config_selectorIiNS0_10empty_typeEEEZZNS1_27merge_sort_block_merge_implIS3_N6thrust23THRUST_200600_302600_NS10device_ptrIiEEPS5_jNS1_19radix_merge_compareILb0ELb0EiNS0_19identity_decomposerEEEEE10hipError_tT0_T1_T2_jT3_P12ihipStream_tbPNSt15iterator_traitsISH_E10value_typeEPNSN_ISI_E10value_typeEPSJ_NS1_7vsmem_tEENKUlT_SH_SI_SJ_E_clISB_PiSC_SC_EESG_SW_SH_SI_SJ_EUlSW_E1_NS1_11comp_targetILNS1_3genE9ELNS1_11target_archE1100ELNS1_3gpuE3ELNS1_3repE0EEENS1_36merge_oddeven_config_static_selectorELNS0_4arch9wavefront6targetE0EEEvSI_,"axG",@progbits,_ZN7rocprim17ROCPRIM_400000_NS6detail17trampoline_kernelINS0_14default_configENS1_38merge_sort_block_merge_config_selectorIiNS0_10empty_typeEEEZZNS1_27merge_sort_block_merge_implIS3_N6thrust23THRUST_200600_302600_NS10device_ptrIiEEPS5_jNS1_19radix_merge_compareILb0ELb0EiNS0_19identity_decomposerEEEEE10hipError_tT0_T1_T2_jT3_P12ihipStream_tbPNSt15iterator_traitsISH_E10value_typeEPNSN_ISI_E10value_typeEPSJ_NS1_7vsmem_tEENKUlT_SH_SI_SJ_E_clISB_PiSC_SC_EESG_SW_SH_SI_SJ_EUlSW_E1_NS1_11comp_targetILNS1_3genE9ELNS1_11target_archE1100ELNS1_3gpuE3ELNS1_3repE0EEENS1_36merge_oddeven_config_static_selectorELNS0_4arch9wavefront6targetE0EEEvSI_,comdat
	.protected	_ZN7rocprim17ROCPRIM_400000_NS6detail17trampoline_kernelINS0_14default_configENS1_38merge_sort_block_merge_config_selectorIiNS0_10empty_typeEEEZZNS1_27merge_sort_block_merge_implIS3_N6thrust23THRUST_200600_302600_NS10device_ptrIiEEPS5_jNS1_19radix_merge_compareILb0ELb0EiNS0_19identity_decomposerEEEEE10hipError_tT0_T1_T2_jT3_P12ihipStream_tbPNSt15iterator_traitsISH_E10value_typeEPNSN_ISI_E10value_typeEPSJ_NS1_7vsmem_tEENKUlT_SH_SI_SJ_E_clISB_PiSC_SC_EESG_SW_SH_SI_SJ_EUlSW_E1_NS1_11comp_targetILNS1_3genE9ELNS1_11target_archE1100ELNS1_3gpuE3ELNS1_3repE0EEENS1_36merge_oddeven_config_static_selectorELNS0_4arch9wavefront6targetE0EEEvSI_ ; -- Begin function _ZN7rocprim17ROCPRIM_400000_NS6detail17trampoline_kernelINS0_14default_configENS1_38merge_sort_block_merge_config_selectorIiNS0_10empty_typeEEEZZNS1_27merge_sort_block_merge_implIS3_N6thrust23THRUST_200600_302600_NS10device_ptrIiEEPS5_jNS1_19radix_merge_compareILb0ELb0EiNS0_19identity_decomposerEEEEE10hipError_tT0_T1_T2_jT3_P12ihipStream_tbPNSt15iterator_traitsISH_E10value_typeEPNSN_ISI_E10value_typeEPSJ_NS1_7vsmem_tEENKUlT_SH_SI_SJ_E_clISB_PiSC_SC_EESG_SW_SH_SI_SJ_EUlSW_E1_NS1_11comp_targetILNS1_3genE9ELNS1_11target_archE1100ELNS1_3gpuE3ELNS1_3repE0EEENS1_36merge_oddeven_config_static_selectorELNS0_4arch9wavefront6targetE0EEEvSI_
	.globl	_ZN7rocprim17ROCPRIM_400000_NS6detail17trampoline_kernelINS0_14default_configENS1_38merge_sort_block_merge_config_selectorIiNS0_10empty_typeEEEZZNS1_27merge_sort_block_merge_implIS3_N6thrust23THRUST_200600_302600_NS10device_ptrIiEEPS5_jNS1_19radix_merge_compareILb0ELb0EiNS0_19identity_decomposerEEEEE10hipError_tT0_T1_T2_jT3_P12ihipStream_tbPNSt15iterator_traitsISH_E10value_typeEPNSN_ISI_E10value_typeEPSJ_NS1_7vsmem_tEENKUlT_SH_SI_SJ_E_clISB_PiSC_SC_EESG_SW_SH_SI_SJ_EUlSW_E1_NS1_11comp_targetILNS1_3genE9ELNS1_11target_archE1100ELNS1_3gpuE3ELNS1_3repE0EEENS1_36merge_oddeven_config_static_selectorELNS0_4arch9wavefront6targetE0EEEvSI_
	.p2align	8
	.type	_ZN7rocprim17ROCPRIM_400000_NS6detail17trampoline_kernelINS0_14default_configENS1_38merge_sort_block_merge_config_selectorIiNS0_10empty_typeEEEZZNS1_27merge_sort_block_merge_implIS3_N6thrust23THRUST_200600_302600_NS10device_ptrIiEEPS5_jNS1_19radix_merge_compareILb0ELb0EiNS0_19identity_decomposerEEEEE10hipError_tT0_T1_T2_jT3_P12ihipStream_tbPNSt15iterator_traitsISH_E10value_typeEPNSN_ISI_E10value_typeEPSJ_NS1_7vsmem_tEENKUlT_SH_SI_SJ_E_clISB_PiSC_SC_EESG_SW_SH_SI_SJ_EUlSW_E1_NS1_11comp_targetILNS1_3genE9ELNS1_11target_archE1100ELNS1_3gpuE3ELNS1_3repE0EEENS1_36merge_oddeven_config_static_selectorELNS0_4arch9wavefront6targetE0EEEvSI_,@function
_ZN7rocprim17ROCPRIM_400000_NS6detail17trampoline_kernelINS0_14default_configENS1_38merge_sort_block_merge_config_selectorIiNS0_10empty_typeEEEZZNS1_27merge_sort_block_merge_implIS3_N6thrust23THRUST_200600_302600_NS10device_ptrIiEEPS5_jNS1_19radix_merge_compareILb0ELb0EiNS0_19identity_decomposerEEEEE10hipError_tT0_T1_T2_jT3_P12ihipStream_tbPNSt15iterator_traitsISH_E10value_typeEPNSN_ISI_E10value_typeEPSJ_NS1_7vsmem_tEENKUlT_SH_SI_SJ_E_clISB_PiSC_SC_EESG_SW_SH_SI_SJ_EUlSW_E1_NS1_11comp_targetILNS1_3genE9ELNS1_11target_archE1100ELNS1_3gpuE3ELNS1_3repE0EEENS1_36merge_oddeven_config_static_selectorELNS0_4arch9wavefront6targetE0EEEvSI_: ; @_ZN7rocprim17ROCPRIM_400000_NS6detail17trampoline_kernelINS0_14default_configENS1_38merge_sort_block_merge_config_selectorIiNS0_10empty_typeEEEZZNS1_27merge_sort_block_merge_implIS3_N6thrust23THRUST_200600_302600_NS10device_ptrIiEEPS5_jNS1_19radix_merge_compareILb0ELb0EiNS0_19identity_decomposerEEEEE10hipError_tT0_T1_T2_jT3_P12ihipStream_tbPNSt15iterator_traitsISH_E10value_typeEPNSN_ISI_E10value_typeEPSJ_NS1_7vsmem_tEENKUlT_SH_SI_SJ_E_clISB_PiSC_SC_EESG_SW_SH_SI_SJ_EUlSW_E1_NS1_11comp_targetILNS1_3genE9ELNS1_11target_archE1100ELNS1_3gpuE3ELNS1_3repE0EEENS1_36merge_oddeven_config_static_selectorELNS0_4arch9wavefront6targetE0EEEvSI_
; %bb.0:
	.section	.rodata,"a",@progbits
	.p2align	6, 0x0
	.amdhsa_kernel _ZN7rocprim17ROCPRIM_400000_NS6detail17trampoline_kernelINS0_14default_configENS1_38merge_sort_block_merge_config_selectorIiNS0_10empty_typeEEEZZNS1_27merge_sort_block_merge_implIS3_N6thrust23THRUST_200600_302600_NS10device_ptrIiEEPS5_jNS1_19radix_merge_compareILb0ELb0EiNS0_19identity_decomposerEEEEE10hipError_tT0_T1_T2_jT3_P12ihipStream_tbPNSt15iterator_traitsISH_E10value_typeEPNSN_ISI_E10value_typeEPSJ_NS1_7vsmem_tEENKUlT_SH_SI_SJ_E_clISB_PiSC_SC_EESG_SW_SH_SI_SJ_EUlSW_E1_NS1_11comp_targetILNS1_3genE9ELNS1_11target_archE1100ELNS1_3gpuE3ELNS1_3repE0EEENS1_36merge_oddeven_config_static_selectorELNS0_4arch9wavefront6targetE0EEEvSI_
		.amdhsa_group_segment_fixed_size 0
		.amdhsa_private_segment_fixed_size 0
		.amdhsa_kernarg_size 48
		.amdhsa_user_sgpr_count 6
		.amdhsa_user_sgpr_private_segment_buffer 1
		.amdhsa_user_sgpr_dispatch_ptr 0
		.amdhsa_user_sgpr_queue_ptr 0
		.amdhsa_user_sgpr_kernarg_segment_ptr 1
		.amdhsa_user_sgpr_dispatch_id 0
		.amdhsa_user_sgpr_flat_scratch_init 0
		.amdhsa_user_sgpr_private_segment_size 0
		.amdhsa_wavefront_size32 1
		.amdhsa_uses_dynamic_stack 0
		.amdhsa_system_sgpr_private_segment_wavefront_offset 0
		.amdhsa_system_sgpr_workgroup_id_x 1
		.amdhsa_system_sgpr_workgroup_id_y 0
		.amdhsa_system_sgpr_workgroup_id_z 0
		.amdhsa_system_sgpr_workgroup_info 0
		.amdhsa_system_vgpr_workitem_id 0
		.amdhsa_next_free_vgpr 1
		.amdhsa_next_free_sgpr 1
		.amdhsa_reserve_vcc 0
		.amdhsa_reserve_flat_scratch 0
		.amdhsa_float_round_mode_32 0
		.amdhsa_float_round_mode_16_64 0
		.amdhsa_float_denorm_mode_32 3
		.amdhsa_float_denorm_mode_16_64 3
		.amdhsa_dx10_clamp 1
		.amdhsa_ieee_mode 1
		.amdhsa_fp16_overflow 0
		.amdhsa_workgroup_processor_mode 1
		.amdhsa_memory_ordered 1
		.amdhsa_forward_progress 1
		.amdhsa_shared_vgpr_count 0
		.amdhsa_exception_fp_ieee_invalid_op 0
		.amdhsa_exception_fp_denorm_src 0
		.amdhsa_exception_fp_ieee_div_zero 0
		.amdhsa_exception_fp_ieee_overflow 0
		.amdhsa_exception_fp_ieee_underflow 0
		.amdhsa_exception_fp_ieee_inexact 0
		.amdhsa_exception_int_div_zero 0
	.end_amdhsa_kernel
	.section	.text._ZN7rocprim17ROCPRIM_400000_NS6detail17trampoline_kernelINS0_14default_configENS1_38merge_sort_block_merge_config_selectorIiNS0_10empty_typeEEEZZNS1_27merge_sort_block_merge_implIS3_N6thrust23THRUST_200600_302600_NS10device_ptrIiEEPS5_jNS1_19radix_merge_compareILb0ELb0EiNS0_19identity_decomposerEEEEE10hipError_tT0_T1_T2_jT3_P12ihipStream_tbPNSt15iterator_traitsISH_E10value_typeEPNSN_ISI_E10value_typeEPSJ_NS1_7vsmem_tEENKUlT_SH_SI_SJ_E_clISB_PiSC_SC_EESG_SW_SH_SI_SJ_EUlSW_E1_NS1_11comp_targetILNS1_3genE9ELNS1_11target_archE1100ELNS1_3gpuE3ELNS1_3repE0EEENS1_36merge_oddeven_config_static_selectorELNS0_4arch9wavefront6targetE0EEEvSI_,"axG",@progbits,_ZN7rocprim17ROCPRIM_400000_NS6detail17trampoline_kernelINS0_14default_configENS1_38merge_sort_block_merge_config_selectorIiNS0_10empty_typeEEEZZNS1_27merge_sort_block_merge_implIS3_N6thrust23THRUST_200600_302600_NS10device_ptrIiEEPS5_jNS1_19radix_merge_compareILb0ELb0EiNS0_19identity_decomposerEEEEE10hipError_tT0_T1_T2_jT3_P12ihipStream_tbPNSt15iterator_traitsISH_E10value_typeEPNSN_ISI_E10value_typeEPSJ_NS1_7vsmem_tEENKUlT_SH_SI_SJ_E_clISB_PiSC_SC_EESG_SW_SH_SI_SJ_EUlSW_E1_NS1_11comp_targetILNS1_3genE9ELNS1_11target_archE1100ELNS1_3gpuE3ELNS1_3repE0EEENS1_36merge_oddeven_config_static_selectorELNS0_4arch9wavefront6targetE0EEEvSI_,comdat
.Lfunc_end1158:
	.size	_ZN7rocprim17ROCPRIM_400000_NS6detail17trampoline_kernelINS0_14default_configENS1_38merge_sort_block_merge_config_selectorIiNS0_10empty_typeEEEZZNS1_27merge_sort_block_merge_implIS3_N6thrust23THRUST_200600_302600_NS10device_ptrIiEEPS5_jNS1_19radix_merge_compareILb0ELb0EiNS0_19identity_decomposerEEEEE10hipError_tT0_T1_T2_jT3_P12ihipStream_tbPNSt15iterator_traitsISH_E10value_typeEPNSN_ISI_E10value_typeEPSJ_NS1_7vsmem_tEENKUlT_SH_SI_SJ_E_clISB_PiSC_SC_EESG_SW_SH_SI_SJ_EUlSW_E1_NS1_11comp_targetILNS1_3genE9ELNS1_11target_archE1100ELNS1_3gpuE3ELNS1_3repE0EEENS1_36merge_oddeven_config_static_selectorELNS0_4arch9wavefront6targetE0EEEvSI_, .Lfunc_end1158-_ZN7rocprim17ROCPRIM_400000_NS6detail17trampoline_kernelINS0_14default_configENS1_38merge_sort_block_merge_config_selectorIiNS0_10empty_typeEEEZZNS1_27merge_sort_block_merge_implIS3_N6thrust23THRUST_200600_302600_NS10device_ptrIiEEPS5_jNS1_19radix_merge_compareILb0ELb0EiNS0_19identity_decomposerEEEEE10hipError_tT0_T1_T2_jT3_P12ihipStream_tbPNSt15iterator_traitsISH_E10value_typeEPNSN_ISI_E10value_typeEPSJ_NS1_7vsmem_tEENKUlT_SH_SI_SJ_E_clISB_PiSC_SC_EESG_SW_SH_SI_SJ_EUlSW_E1_NS1_11comp_targetILNS1_3genE9ELNS1_11target_archE1100ELNS1_3gpuE3ELNS1_3repE0EEENS1_36merge_oddeven_config_static_selectorELNS0_4arch9wavefront6targetE0EEEvSI_
                                        ; -- End function
	.set _ZN7rocprim17ROCPRIM_400000_NS6detail17trampoline_kernelINS0_14default_configENS1_38merge_sort_block_merge_config_selectorIiNS0_10empty_typeEEEZZNS1_27merge_sort_block_merge_implIS3_N6thrust23THRUST_200600_302600_NS10device_ptrIiEEPS5_jNS1_19radix_merge_compareILb0ELb0EiNS0_19identity_decomposerEEEEE10hipError_tT0_T1_T2_jT3_P12ihipStream_tbPNSt15iterator_traitsISH_E10value_typeEPNSN_ISI_E10value_typeEPSJ_NS1_7vsmem_tEENKUlT_SH_SI_SJ_E_clISB_PiSC_SC_EESG_SW_SH_SI_SJ_EUlSW_E1_NS1_11comp_targetILNS1_3genE9ELNS1_11target_archE1100ELNS1_3gpuE3ELNS1_3repE0EEENS1_36merge_oddeven_config_static_selectorELNS0_4arch9wavefront6targetE0EEEvSI_.num_vgpr, 0
	.set _ZN7rocprim17ROCPRIM_400000_NS6detail17trampoline_kernelINS0_14default_configENS1_38merge_sort_block_merge_config_selectorIiNS0_10empty_typeEEEZZNS1_27merge_sort_block_merge_implIS3_N6thrust23THRUST_200600_302600_NS10device_ptrIiEEPS5_jNS1_19radix_merge_compareILb0ELb0EiNS0_19identity_decomposerEEEEE10hipError_tT0_T1_T2_jT3_P12ihipStream_tbPNSt15iterator_traitsISH_E10value_typeEPNSN_ISI_E10value_typeEPSJ_NS1_7vsmem_tEENKUlT_SH_SI_SJ_E_clISB_PiSC_SC_EESG_SW_SH_SI_SJ_EUlSW_E1_NS1_11comp_targetILNS1_3genE9ELNS1_11target_archE1100ELNS1_3gpuE3ELNS1_3repE0EEENS1_36merge_oddeven_config_static_selectorELNS0_4arch9wavefront6targetE0EEEvSI_.num_agpr, 0
	.set _ZN7rocprim17ROCPRIM_400000_NS6detail17trampoline_kernelINS0_14default_configENS1_38merge_sort_block_merge_config_selectorIiNS0_10empty_typeEEEZZNS1_27merge_sort_block_merge_implIS3_N6thrust23THRUST_200600_302600_NS10device_ptrIiEEPS5_jNS1_19radix_merge_compareILb0ELb0EiNS0_19identity_decomposerEEEEE10hipError_tT0_T1_T2_jT3_P12ihipStream_tbPNSt15iterator_traitsISH_E10value_typeEPNSN_ISI_E10value_typeEPSJ_NS1_7vsmem_tEENKUlT_SH_SI_SJ_E_clISB_PiSC_SC_EESG_SW_SH_SI_SJ_EUlSW_E1_NS1_11comp_targetILNS1_3genE9ELNS1_11target_archE1100ELNS1_3gpuE3ELNS1_3repE0EEENS1_36merge_oddeven_config_static_selectorELNS0_4arch9wavefront6targetE0EEEvSI_.numbered_sgpr, 0
	.set _ZN7rocprim17ROCPRIM_400000_NS6detail17trampoline_kernelINS0_14default_configENS1_38merge_sort_block_merge_config_selectorIiNS0_10empty_typeEEEZZNS1_27merge_sort_block_merge_implIS3_N6thrust23THRUST_200600_302600_NS10device_ptrIiEEPS5_jNS1_19radix_merge_compareILb0ELb0EiNS0_19identity_decomposerEEEEE10hipError_tT0_T1_T2_jT3_P12ihipStream_tbPNSt15iterator_traitsISH_E10value_typeEPNSN_ISI_E10value_typeEPSJ_NS1_7vsmem_tEENKUlT_SH_SI_SJ_E_clISB_PiSC_SC_EESG_SW_SH_SI_SJ_EUlSW_E1_NS1_11comp_targetILNS1_3genE9ELNS1_11target_archE1100ELNS1_3gpuE3ELNS1_3repE0EEENS1_36merge_oddeven_config_static_selectorELNS0_4arch9wavefront6targetE0EEEvSI_.num_named_barrier, 0
	.set _ZN7rocprim17ROCPRIM_400000_NS6detail17trampoline_kernelINS0_14default_configENS1_38merge_sort_block_merge_config_selectorIiNS0_10empty_typeEEEZZNS1_27merge_sort_block_merge_implIS3_N6thrust23THRUST_200600_302600_NS10device_ptrIiEEPS5_jNS1_19radix_merge_compareILb0ELb0EiNS0_19identity_decomposerEEEEE10hipError_tT0_T1_T2_jT3_P12ihipStream_tbPNSt15iterator_traitsISH_E10value_typeEPNSN_ISI_E10value_typeEPSJ_NS1_7vsmem_tEENKUlT_SH_SI_SJ_E_clISB_PiSC_SC_EESG_SW_SH_SI_SJ_EUlSW_E1_NS1_11comp_targetILNS1_3genE9ELNS1_11target_archE1100ELNS1_3gpuE3ELNS1_3repE0EEENS1_36merge_oddeven_config_static_selectorELNS0_4arch9wavefront6targetE0EEEvSI_.private_seg_size, 0
	.set _ZN7rocprim17ROCPRIM_400000_NS6detail17trampoline_kernelINS0_14default_configENS1_38merge_sort_block_merge_config_selectorIiNS0_10empty_typeEEEZZNS1_27merge_sort_block_merge_implIS3_N6thrust23THRUST_200600_302600_NS10device_ptrIiEEPS5_jNS1_19radix_merge_compareILb0ELb0EiNS0_19identity_decomposerEEEEE10hipError_tT0_T1_T2_jT3_P12ihipStream_tbPNSt15iterator_traitsISH_E10value_typeEPNSN_ISI_E10value_typeEPSJ_NS1_7vsmem_tEENKUlT_SH_SI_SJ_E_clISB_PiSC_SC_EESG_SW_SH_SI_SJ_EUlSW_E1_NS1_11comp_targetILNS1_3genE9ELNS1_11target_archE1100ELNS1_3gpuE3ELNS1_3repE0EEENS1_36merge_oddeven_config_static_selectorELNS0_4arch9wavefront6targetE0EEEvSI_.uses_vcc, 0
	.set _ZN7rocprim17ROCPRIM_400000_NS6detail17trampoline_kernelINS0_14default_configENS1_38merge_sort_block_merge_config_selectorIiNS0_10empty_typeEEEZZNS1_27merge_sort_block_merge_implIS3_N6thrust23THRUST_200600_302600_NS10device_ptrIiEEPS5_jNS1_19radix_merge_compareILb0ELb0EiNS0_19identity_decomposerEEEEE10hipError_tT0_T1_T2_jT3_P12ihipStream_tbPNSt15iterator_traitsISH_E10value_typeEPNSN_ISI_E10value_typeEPSJ_NS1_7vsmem_tEENKUlT_SH_SI_SJ_E_clISB_PiSC_SC_EESG_SW_SH_SI_SJ_EUlSW_E1_NS1_11comp_targetILNS1_3genE9ELNS1_11target_archE1100ELNS1_3gpuE3ELNS1_3repE0EEENS1_36merge_oddeven_config_static_selectorELNS0_4arch9wavefront6targetE0EEEvSI_.uses_flat_scratch, 0
	.set _ZN7rocprim17ROCPRIM_400000_NS6detail17trampoline_kernelINS0_14default_configENS1_38merge_sort_block_merge_config_selectorIiNS0_10empty_typeEEEZZNS1_27merge_sort_block_merge_implIS3_N6thrust23THRUST_200600_302600_NS10device_ptrIiEEPS5_jNS1_19radix_merge_compareILb0ELb0EiNS0_19identity_decomposerEEEEE10hipError_tT0_T1_T2_jT3_P12ihipStream_tbPNSt15iterator_traitsISH_E10value_typeEPNSN_ISI_E10value_typeEPSJ_NS1_7vsmem_tEENKUlT_SH_SI_SJ_E_clISB_PiSC_SC_EESG_SW_SH_SI_SJ_EUlSW_E1_NS1_11comp_targetILNS1_3genE9ELNS1_11target_archE1100ELNS1_3gpuE3ELNS1_3repE0EEENS1_36merge_oddeven_config_static_selectorELNS0_4arch9wavefront6targetE0EEEvSI_.has_dyn_sized_stack, 0
	.set _ZN7rocprim17ROCPRIM_400000_NS6detail17trampoline_kernelINS0_14default_configENS1_38merge_sort_block_merge_config_selectorIiNS0_10empty_typeEEEZZNS1_27merge_sort_block_merge_implIS3_N6thrust23THRUST_200600_302600_NS10device_ptrIiEEPS5_jNS1_19radix_merge_compareILb0ELb0EiNS0_19identity_decomposerEEEEE10hipError_tT0_T1_T2_jT3_P12ihipStream_tbPNSt15iterator_traitsISH_E10value_typeEPNSN_ISI_E10value_typeEPSJ_NS1_7vsmem_tEENKUlT_SH_SI_SJ_E_clISB_PiSC_SC_EESG_SW_SH_SI_SJ_EUlSW_E1_NS1_11comp_targetILNS1_3genE9ELNS1_11target_archE1100ELNS1_3gpuE3ELNS1_3repE0EEENS1_36merge_oddeven_config_static_selectorELNS0_4arch9wavefront6targetE0EEEvSI_.has_recursion, 0
	.set _ZN7rocprim17ROCPRIM_400000_NS6detail17trampoline_kernelINS0_14default_configENS1_38merge_sort_block_merge_config_selectorIiNS0_10empty_typeEEEZZNS1_27merge_sort_block_merge_implIS3_N6thrust23THRUST_200600_302600_NS10device_ptrIiEEPS5_jNS1_19radix_merge_compareILb0ELb0EiNS0_19identity_decomposerEEEEE10hipError_tT0_T1_T2_jT3_P12ihipStream_tbPNSt15iterator_traitsISH_E10value_typeEPNSN_ISI_E10value_typeEPSJ_NS1_7vsmem_tEENKUlT_SH_SI_SJ_E_clISB_PiSC_SC_EESG_SW_SH_SI_SJ_EUlSW_E1_NS1_11comp_targetILNS1_3genE9ELNS1_11target_archE1100ELNS1_3gpuE3ELNS1_3repE0EEENS1_36merge_oddeven_config_static_selectorELNS0_4arch9wavefront6targetE0EEEvSI_.has_indirect_call, 0
	.section	.AMDGPU.csdata,"",@progbits
; Kernel info:
; codeLenInByte = 0
; TotalNumSgprs: 0
; NumVgprs: 0
; ScratchSize: 0
; MemoryBound: 0
; FloatMode: 240
; IeeeMode: 1
; LDSByteSize: 0 bytes/workgroup (compile time only)
; SGPRBlocks: 0
; VGPRBlocks: 0
; NumSGPRsForWavesPerEU: 1
; NumVGPRsForWavesPerEU: 1
; Occupancy: 16
; WaveLimiterHint : 0
; COMPUTE_PGM_RSRC2:SCRATCH_EN: 0
; COMPUTE_PGM_RSRC2:USER_SGPR: 6
; COMPUTE_PGM_RSRC2:TRAP_HANDLER: 0
; COMPUTE_PGM_RSRC2:TGID_X_EN: 1
; COMPUTE_PGM_RSRC2:TGID_Y_EN: 0
; COMPUTE_PGM_RSRC2:TGID_Z_EN: 0
; COMPUTE_PGM_RSRC2:TIDIG_COMP_CNT: 0
	.section	.text._ZN7rocprim17ROCPRIM_400000_NS6detail17trampoline_kernelINS0_14default_configENS1_38merge_sort_block_merge_config_selectorIiNS0_10empty_typeEEEZZNS1_27merge_sort_block_merge_implIS3_N6thrust23THRUST_200600_302600_NS10device_ptrIiEEPS5_jNS1_19radix_merge_compareILb0ELb0EiNS0_19identity_decomposerEEEEE10hipError_tT0_T1_T2_jT3_P12ihipStream_tbPNSt15iterator_traitsISH_E10value_typeEPNSN_ISI_E10value_typeEPSJ_NS1_7vsmem_tEENKUlT_SH_SI_SJ_E_clISB_PiSC_SC_EESG_SW_SH_SI_SJ_EUlSW_E1_NS1_11comp_targetILNS1_3genE8ELNS1_11target_archE1030ELNS1_3gpuE2ELNS1_3repE0EEENS1_36merge_oddeven_config_static_selectorELNS0_4arch9wavefront6targetE0EEEvSI_,"axG",@progbits,_ZN7rocprim17ROCPRIM_400000_NS6detail17trampoline_kernelINS0_14default_configENS1_38merge_sort_block_merge_config_selectorIiNS0_10empty_typeEEEZZNS1_27merge_sort_block_merge_implIS3_N6thrust23THRUST_200600_302600_NS10device_ptrIiEEPS5_jNS1_19radix_merge_compareILb0ELb0EiNS0_19identity_decomposerEEEEE10hipError_tT0_T1_T2_jT3_P12ihipStream_tbPNSt15iterator_traitsISH_E10value_typeEPNSN_ISI_E10value_typeEPSJ_NS1_7vsmem_tEENKUlT_SH_SI_SJ_E_clISB_PiSC_SC_EESG_SW_SH_SI_SJ_EUlSW_E1_NS1_11comp_targetILNS1_3genE8ELNS1_11target_archE1030ELNS1_3gpuE2ELNS1_3repE0EEENS1_36merge_oddeven_config_static_selectorELNS0_4arch9wavefront6targetE0EEEvSI_,comdat
	.protected	_ZN7rocprim17ROCPRIM_400000_NS6detail17trampoline_kernelINS0_14default_configENS1_38merge_sort_block_merge_config_selectorIiNS0_10empty_typeEEEZZNS1_27merge_sort_block_merge_implIS3_N6thrust23THRUST_200600_302600_NS10device_ptrIiEEPS5_jNS1_19radix_merge_compareILb0ELb0EiNS0_19identity_decomposerEEEEE10hipError_tT0_T1_T2_jT3_P12ihipStream_tbPNSt15iterator_traitsISH_E10value_typeEPNSN_ISI_E10value_typeEPSJ_NS1_7vsmem_tEENKUlT_SH_SI_SJ_E_clISB_PiSC_SC_EESG_SW_SH_SI_SJ_EUlSW_E1_NS1_11comp_targetILNS1_3genE8ELNS1_11target_archE1030ELNS1_3gpuE2ELNS1_3repE0EEENS1_36merge_oddeven_config_static_selectorELNS0_4arch9wavefront6targetE0EEEvSI_ ; -- Begin function _ZN7rocprim17ROCPRIM_400000_NS6detail17trampoline_kernelINS0_14default_configENS1_38merge_sort_block_merge_config_selectorIiNS0_10empty_typeEEEZZNS1_27merge_sort_block_merge_implIS3_N6thrust23THRUST_200600_302600_NS10device_ptrIiEEPS5_jNS1_19radix_merge_compareILb0ELb0EiNS0_19identity_decomposerEEEEE10hipError_tT0_T1_T2_jT3_P12ihipStream_tbPNSt15iterator_traitsISH_E10value_typeEPNSN_ISI_E10value_typeEPSJ_NS1_7vsmem_tEENKUlT_SH_SI_SJ_E_clISB_PiSC_SC_EESG_SW_SH_SI_SJ_EUlSW_E1_NS1_11comp_targetILNS1_3genE8ELNS1_11target_archE1030ELNS1_3gpuE2ELNS1_3repE0EEENS1_36merge_oddeven_config_static_selectorELNS0_4arch9wavefront6targetE0EEEvSI_
	.globl	_ZN7rocprim17ROCPRIM_400000_NS6detail17trampoline_kernelINS0_14default_configENS1_38merge_sort_block_merge_config_selectorIiNS0_10empty_typeEEEZZNS1_27merge_sort_block_merge_implIS3_N6thrust23THRUST_200600_302600_NS10device_ptrIiEEPS5_jNS1_19radix_merge_compareILb0ELb0EiNS0_19identity_decomposerEEEEE10hipError_tT0_T1_T2_jT3_P12ihipStream_tbPNSt15iterator_traitsISH_E10value_typeEPNSN_ISI_E10value_typeEPSJ_NS1_7vsmem_tEENKUlT_SH_SI_SJ_E_clISB_PiSC_SC_EESG_SW_SH_SI_SJ_EUlSW_E1_NS1_11comp_targetILNS1_3genE8ELNS1_11target_archE1030ELNS1_3gpuE2ELNS1_3repE0EEENS1_36merge_oddeven_config_static_selectorELNS0_4arch9wavefront6targetE0EEEvSI_
	.p2align	8
	.type	_ZN7rocprim17ROCPRIM_400000_NS6detail17trampoline_kernelINS0_14default_configENS1_38merge_sort_block_merge_config_selectorIiNS0_10empty_typeEEEZZNS1_27merge_sort_block_merge_implIS3_N6thrust23THRUST_200600_302600_NS10device_ptrIiEEPS5_jNS1_19radix_merge_compareILb0ELb0EiNS0_19identity_decomposerEEEEE10hipError_tT0_T1_T2_jT3_P12ihipStream_tbPNSt15iterator_traitsISH_E10value_typeEPNSN_ISI_E10value_typeEPSJ_NS1_7vsmem_tEENKUlT_SH_SI_SJ_E_clISB_PiSC_SC_EESG_SW_SH_SI_SJ_EUlSW_E1_NS1_11comp_targetILNS1_3genE8ELNS1_11target_archE1030ELNS1_3gpuE2ELNS1_3repE0EEENS1_36merge_oddeven_config_static_selectorELNS0_4arch9wavefront6targetE0EEEvSI_,@function
_ZN7rocprim17ROCPRIM_400000_NS6detail17trampoline_kernelINS0_14default_configENS1_38merge_sort_block_merge_config_selectorIiNS0_10empty_typeEEEZZNS1_27merge_sort_block_merge_implIS3_N6thrust23THRUST_200600_302600_NS10device_ptrIiEEPS5_jNS1_19radix_merge_compareILb0ELb0EiNS0_19identity_decomposerEEEEE10hipError_tT0_T1_T2_jT3_P12ihipStream_tbPNSt15iterator_traitsISH_E10value_typeEPNSN_ISI_E10value_typeEPSJ_NS1_7vsmem_tEENKUlT_SH_SI_SJ_E_clISB_PiSC_SC_EESG_SW_SH_SI_SJ_EUlSW_E1_NS1_11comp_targetILNS1_3genE8ELNS1_11target_archE1030ELNS1_3gpuE2ELNS1_3repE0EEENS1_36merge_oddeven_config_static_selectorELNS0_4arch9wavefront6targetE0EEEvSI_: ; @_ZN7rocprim17ROCPRIM_400000_NS6detail17trampoline_kernelINS0_14default_configENS1_38merge_sort_block_merge_config_selectorIiNS0_10empty_typeEEEZZNS1_27merge_sort_block_merge_implIS3_N6thrust23THRUST_200600_302600_NS10device_ptrIiEEPS5_jNS1_19radix_merge_compareILb0ELb0EiNS0_19identity_decomposerEEEEE10hipError_tT0_T1_T2_jT3_P12ihipStream_tbPNSt15iterator_traitsISH_E10value_typeEPNSN_ISI_E10value_typeEPSJ_NS1_7vsmem_tEENKUlT_SH_SI_SJ_E_clISB_PiSC_SC_EESG_SW_SH_SI_SJ_EUlSW_E1_NS1_11comp_targetILNS1_3genE8ELNS1_11target_archE1030ELNS1_3gpuE2ELNS1_3repE0EEENS1_36merge_oddeven_config_static_selectorELNS0_4arch9wavefront6targetE0EEEvSI_
; %bb.0:
	s_load_dword s7, s[4:5], 0x20
	s_waitcnt lgkmcnt(0)
	s_lshr_b32 s0, s7, 8
	s_cmp_lg_u32 s6, s0
	s_cselect_b32 s13, -1, 0
	s_cmp_eq_u32 s6, s0
	s_cselect_b32 s12, -1, 0
	s_lshl_b32 s2, s6, 8
	s_sub_i32 s0, s7, s2
	v_cmp_gt_u32_e64 s1, s0, v0
	s_or_b32 s0, s13, s1
	s_and_saveexec_b32 s3, s0
	s_cbranch_execz .LBB1159_20
; %bb.1:
	s_load_dwordx4 s[8:11], s[4:5], 0x0
	s_mov_b32 s3, 0
	v_lshlrev_b32_e32 v1, 2, v0
	s_lshl_b64 s[14:15], s[2:3], 2
	s_load_dword s5, s[4:5], 0x24
	v_add_nc_u32_e32 v0, s2, v0
	s_waitcnt lgkmcnt(0)
	s_add_u32 s14, s8, s14
	s_addc_u32 s15, s9, s15
	global_load_dword v2, v1, s[14:15]
	s_lshr_b32 s0, s5, 8
	s_sub_i32 s4, 0, s0
	s_and_b32 s4, s6, s4
	s_and_b32 s0, s4, s0
	s_lshl_b32 s6, s4, 8
	s_sub_i32 s4, 0, s5
	s_cmp_eq_u32 s0, 0
	s_cselect_b32 s0, -1, 0
	s_and_b32 s14, s0, exec_lo
	s_cselect_b32 s4, s5, s4
	s_add_i32 s4, s4, s6
	s_cmp_gt_u32 s7, s4
	s_cbranch_scc1 .LBB1159_3
; %bb.2:
	v_cmp_gt_u32_e32 vcc_lo, s7, v0
	s_or_b32 s3, vcc_lo, s13
	s_and_b32 s3, s3, exec_lo
	s_cbranch_execz .LBB1159_4
	s_branch .LBB1159_18
.LBB1159_3:
.LBB1159_4:
	s_min_u32 s2, s4, s7
	s_and_b32 vcc_lo, exec_lo, s12
	s_add_i32 s13, s6, s2
	s_min_u32 s6, s6, s2
	v_subrev_nc_u32_e32 v0, s13, v0
	s_add_i32 s5, s2, s5
	s_min_u32 s5, s5, s7
	v_add_nc_u32_e32 v3, s6, v0
	s_cbranch_vccz .LBB1159_12
; %bb.5:
                                        ; implicit-def: $vgpr0
	s_and_saveexec_b32 s6, s1
	s_cbranch_execz .LBB1159_11
; %bb.6:
	v_mov_b32_e32 v4, s2
	s_cmp_ge_u32 s4, s5
	s_cbranch_scc1 .LBB1159_10
; %bb.7:
	v_mov_b32_e32 v5, s5
	v_mov_b32_e32 v4, s2
	;; [unrolled: 1-line block ×3, first 2 shown]
	s_mov_b32 s1, 0
	.p2align	6
.LBB1159_8:                             ; =>This Inner Loop Header: Depth=1
	v_add_nc_u32_e32 v0, v4, v5
	v_lshrrev_b32_e32 v0, 1, v0
	v_lshlrev_b64 v[6:7], 2, v[0:1]
	v_add_co_u32 v6, vcc_lo, s8, v6
	v_add_co_ci_u32_e64 v7, null, s9, v7, vcc_lo
	global_load_dword v6, v[6:7], off
	s_waitcnt vmcnt(0)
	v_cmp_gt_i32_e32 vcc_lo, v2, v6
	v_cndmask_b32_e64 v7, 0, 1, vcc_lo
	v_cmp_le_i32_e32 vcc_lo, v6, v2
	v_cndmask_b32_e64 v6, 0, 1, vcc_lo
	v_cndmask_b32_e64 v6, v6, v7, s0
	v_add_nc_u32_e32 v7, 1, v0
	v_and_b32_e32 v6, 1, v6
	v_cmp_eq_u32_e32 vcc_lo, 1, v6
	v_cndmask_b32_e32 v5, v0, v5, vcc_lo
	v_cndmask_b32_e32 v4, v4, v7, vcc_lo
	v_cmp_ge_u32_e32 vcc_lo, v4, v5
	s_or_b32 s1, vcc_lo, s1
	s_andn2_b32 exec_lo, exec_lo, s1
	s_cbranch_execnz .LBB1159_8
; %bb.9:
	s_or_b32 exec_lo, exec_lo, s1
.LBB1159_10:
	v_add_nc_u32_e32 v0, v4, v3
	s_or_b32 s3, s3, exec_lo
.LBB1159_11:
	s_or_b32 exec_lo, exec_lo, s6
	s_branch .LBB1159_18
.LBB1159_12:
                                        ; implicit-def: $vgpr0
	s_cbranch_execz .LBB1159_18
; %bb.13:
	v_mov_b32_e32 v4, s2
	s_cmp_ge_u32 s4, s5
	s_cbranch_scc1 .LBB1159_17
; %bb.14:
	v_mov_b32_e32 v5, s5
	v_mov_b32_e32 v4, s2
	;; [unrolled: 1-line block ×3, first 2 shown]
	s_mov_b32 s1, 0
	.p2align	6
.LBB1159_15:                            ; =>This Inner Loop Header: Depth=1
	v_add_nc_u32_e32 v0, v4, v5
	v_lshrrev_b32_e32 v0, 1, v0
	v_lshlrev_b64 v[6:7], 2, v[0:1]
	v_add_co_u32 v6, vcc_lo, s8, v6
	v_add_co_ci_u32_e64 v7, null, s9, v7, vcc_lo
	global_load_dword v6, v[6:7], off
	s_waitcnt vmcnt(0)
	v_cmp_gt_i32_e32 vcc_lo, v2, v6
	v_cndmask_b32_e64 v7, 0, 1, vcc_lo
	v_cmp_le_i32_e32 vcc_lo, v6, v2
	v_cndmask_b32_e64 v6, 0, 1, vcc_lo
	v_cndmask_b32_e64 v6, v6, v7, s0
	v_add_nc_u32_e32 v7, 1, v0
	v_and_b32_e32 v6, 1, v6
	v_cmp_eq_u32_e32 vcc_lo, 1, v6
	v_cndmask_b32_e32 v5, v0, v5, vcc_lo
	v_cndmask_b32_e32 v4, v4, v7, vcc_lo
	v_cmp_ge_u32_e32 vcc_lo, v4, v5
	s_or_b32 s1, vcc_lo, s1
	s_andn2_b32 exec_lo, exec_lo, s1
	s_cbranch_execnz .LBB1159_15
; %bb.16:
	s_or_b32 exec_lo, exec_lo, s1
.LBB1159_17:
	v_add_nc_u32_e32 v0, v4, v3
	s_mov_b32 s3, -1
.LBB1159_18:
	s_and_b32 exec_lo, exec_lo, s3
	s_cbranch_execz .LBB1159_20
; %bb.19:
	v_mov_b32_e32 v1, 0
	v_lshlrev_b64 v[0:1], 2, v[0:1]
	v_add_co_u32 v0, vcc_lo, s10, v0
	v_add_co_ci_u32_e64 v1, null, s11, v1, vcc_lo
	s_waitcnt vmcnt(0)
	global_store_dword v[0:1], v2, off
.LBB1159_20:
	s_endpgm
	.section	.rodata,"a",@progbits
	.p2align	6, 0x0
	.amdhsa_kernel _ZN7rocprim17ROCPRIM_400000_NS6detail17trampoline_kernelINS0_14default_configENS1_38merge_sort_block_merge_config_selectorIiNS0_10empty_typeEEEZZNS1_27merge_sort_block_merge_implIS3_N6thrust23THRUST_200600_302600_NS10device_ptrIiEEPS5_jNS1_19radix_merge_compareILb0ELb0EiNS0_19identity_decomposerEEEEE10hipError_tT0_T1_T2_jT3_P12ihipStream_tbPNSt15iterator_traitsISH_E10value_typeEPNSN_ISI_E10value_typeEPSJ_NS1_7vsmem_tEENKUlT_SH_SI_SJ_E_clISB_PiSC_SC_EESG_SW_SH_SI_SJ_EUlSW_E1_NS1_11comp_targetILNS1_3genE8ELNS1_11target_archE1030ELNS1_3gpuE2ELNS1_3repE0EEENS1_36merge_oddeven_config_static_selectorELNS0_4arch9wavefront6targetE0EEEvSI_
		.amdhsa_group_segment_fixed_size 0
		.amdhsa_private_segment_fixed_size 0
		.amdhsa_kernarg_size 48
		.amdhsa_user_sgpr_count 6
		.amdhsa_user_sgpr_private_segment_buffer 1
		.amdhsa_user_sgpr_dispatch_ptr 0
		.amdhsa_user_sgpr_queue_ptr 0
		.amdhsa_user_sgpr_kernarg_segment_ptr 1
		.amdhsa_user_sgpr_dispatch_id 0
		.amdhsa_user_sgpr_flat_scratch_init 0
		.amdhsa_user_sgpr_private_segment_size 0
		.amdhsa_wavefront_size32 1
		.amdhsa_uses_dynamic_stack 0
		.amdhsa_system_sgpr_private_segment_wavefront_offset 0
		.amdhsa_system_sgpr_workgroup_id_x 1
		.amdhsa_system_sgpr_workgroup_id_y 0
		.amdhsa_system_sgpr_workgroup_id_z 0
		.amdhsa_system_sgpr_workgroup_info 0
		.amdhsa_system_vgpr_workitem_id 0
		.amdhsa_next_free_vgpr 8
		.amdhsa_next_free_sgpr 16
		.amdhsa_reserve_vcc 1
		.amdhsa_reserve_flat_scratch 0
		.amdhsa_float_round_mode_32 0
		.amdhsa_float_round_mode_16_64 0
		.amdhsa_float_denorm_mode_32 3
		.amdhsa_float_denorm_mode_16_64 3
		.amdhsa_dx10_clamp 1
		.amdhsa_ieee_mode 1
		.amdhsa_fp16_overflow 0
		.amdhsa_workgroup_processor_mode 1
		.amdhsa_memory_ordered 1
		.amdhsa_forward_progress 1
		.amdhsa_shared_vgpr_count 0
		.amdhsa_exception_fp_ieee_invalid_op 0
		.amdhsa_exception_fp_denorm_src 0
		.amdhsa_exception_fp_ieee_div_zero 0
		.amdhsa_exception_fp_ieee_overflow 0
		.amdhsa_exception_fp_ieee_underflow 0
		.amdhsa_exception_fp_ieee_inexact 0
		.amdhsa_exception_int_div_zero 0
	.end_amdhsa_kernel
	.section	.text._ZN7rocprim17ROCPRIM_400000_NS6detail17trampoline_kernelINS0_14default_configENS1_38merge_sort_block_merge_config_selectorIiNS0_10empty_typeEEEZZNS1_27merge_sort_block_merge_implIS3_N6thrust23THRUST_200600_302600_NS10device_ptrIiEEPS5_jNS1_19radix_merge_compareILb0ELb0EiNS0_19identity_decomposerEEEEE10hipError_tT0_T1_T2_jT3_P12ihipStream_tbPNSt15iterator_traitsISH_E10value_typeEPNSN_ISI_E10value_typeEPSJ_NS1_7vsmem_tEENKUlT_SH_SI_SJ_E_clISB_PiSC_SC_EESG_SW_SH_SI_SJ_EUlSW_E1_NS1_11comp_targetILNS1_3genE8ELNS1_11target_archE1030ELNS1_3gpuE2ELNS1_3repE0EEENS1_36merge_oddeven_config_static_selectorELNS0_4arch9wavefront6targetE0EEEvSI_,"axG",@progbits,_ZN7rocprim17ROCPRIM_400000_NS6detail17trampoline_kernelINS0_14default_configENS1_38merge_sort_block_merge_config_selectorIiNS0_10empty_typeEEEZZNS1_27merge_sort_block_merge_implIS3_N6thrust23THRUST_200600_302600_NS10device_ptrIiEEPS5_jNS1_19radix_merge_compareILb0ELb0EiNS0_19identity_decomposerEEEEE10hipError_tT0_T1_T2_jT3_P12ihipStream_tbPNSt15iterator_traitsISH_E10value_typeEPNSN_ISI_E10value_typeEPSJ_NS1_7vsmem_tEENKUlT_SH_SI_SJ_E_clISB_PiSC_SC_EESG_SW_SH_SI_SJ_EUlSW_E1_NS1_11comp_targetILNS1_3genE8ELNS1_11target_archE1030ELNS1_3gpuE2ELNS1_3repE0EEENS1_36merge_oddeven_config_static_selectorELNS0_4arch9wavefront6targetE0EEEvSI_,comdat
.Lfunc_end1159:
	.size	_ZN7rocprim17ROCPRIM_400000_NS6detail17trampoline_kernelINS0_14default_configENS1_38merge_sort_block_merge_config_selectorIiNS0_10empty_typeEEEZZNS1_27merge_sort_block_merge_implIS3_N6thrust23THRUST_200600_302600_NS10device_ptrIiEEPS5_jNS1_19radix_merge_compareILb0ELb0EiNS0_19identity_decomposerEEEEE10hipError_tT0_T1_T2_jT3_P12ihipStream_tbPNSt15iterator_traitsISH_E10value_typeEPNSN_ISI_E10value_typeEPSJ_NS1_7vsmem_tEENKUlT_SH_SI_SJ_E_clISB_PiSC_SC_EESG_SW_SH_SI_SJ_EUlSW_E1_NS1_11comp_targetILNS1_3genE8ELNS1_11target_archE1030ELNS1_3gpuE2ELNS1_3repE0EEENS1_36merge_oddeven_config_static_selectorELNS0_4arch9wavefront6targetE0EEEvSI_, .Lfunc_end1159-_ZN7rocprim17ROCPRIM_400000_NS6detail17trampoline_kernelINS0_14default_configENS1_38merge_sort_block_merge_config_selectorIiNS0_10empty_typeEEEZZNS1_27merge_sort_block_merge_implIS3_N6thrust23THRUST_200600_302600_NS10device_ptrIiEEPS5_jNS1_19radix_merge_compareILb0ELb0EiNS0_19identity_decomposerEEEEE10hipError_tT0_T1_T2_jT3_P12ihipStream_tbPNSt15iterator_traitsISH_E10value_typeEPNSN_ISI_E10value_typeEPSJ_NS1_7vsmem_tEENKUlT_SH_SI_SJ_E_clISB_PiSC_SC_EESG_SW_SH_SI_SJ_EUlSW_E1_NS1_11comp_targetILNS1_3genE8ELNS1_11target_archE1030ELNS1_3gpuE2ELNS1_3repE0EEENS1_36merge_oddeven_config_static_selectorELNS0_4arch9wavefront6targetE0EEEvSI_
                                        ; -- End function
	.set _ZN7rocprim17ROCPRIM_400000_NS6detail17trampoline_kernelINS0_14default_configENS1_38merge_sort_block_merge_config_selectorIiNS0_10empty_typeEEEZZNS1_27merge_sort_block_merge_implIS3_N6thrust23THRUST_200600_302600_NS10device_ptrIiEEPS5_jNS1_19radix_merge_compareILb0ELb0EiNS0_19identity_decomposerEEEEE10hipError_tT0_T1_T2_jT3_P12ihipStream_tbPNSt15iterator_traitsISH_E10value_typeEPNSN_ISI_E10value_typeEPSJ_NS1_7vsmem_tEENKUlT_SH_SI_SJ_E_clISB_PiSC_SC_EESG_SW_SH_SI_SJ_EUlSW_E1_NS1_11comp_targetILNS1_3genE8ELNS1_11target_archE1030ELNS1_3gpuE2ELNS1_3repE0EEENS1_36merge_oddeven_config_static_selectorELNS0_4arch9wavefront6targetE0EEEvSI_.num_vgpr, 8
	.set _ZN7rocprim17ROCPRIM_400000_NS6detail17trampoline_kernelINS0_14default_configENS1_38merge_sort_block_merge_config_selectorIiNS0_10empty_typeEEEZZNS1_27merge_sort_block_merge_implIS3_N6thrust23THRUST_200600_302600_NS10device_ptrIiEEPS5_jNS1_19radix_merge_compareILb0ELb0EiNS0_19identity_decomposerEEEEE10hipError_tT0_T1_T2_jT3_P12ihipStream_tbPNSt15iterator_traitsISH_E10value_typeEPNSN_ISI_E10value_typeEPSJ_NS1_7vsmem_tEENKUlT_SH_SI_SJ_E_clISB_PiSC_SC_EESG_SW_SH_SI_SJ_EUlSW_E1_NS1_11comp_targetILNS1_3genE8ELNS1_11target_archE1030ELNS1_3gpuE2ELNS1_3repE0EEENS1_36merge_oddeven_config_static_selectorELNS0_4arch9wavefront6targetE0EEEvSI_.num_agpr, 0
	.set _ZN7rocprim17ROCPRIM_400000_NS6detail17trampoline_kernelINS0_14default_configENS1_38merge_sort_block_merge_config_selectorIiNS0_10empty_typeEEEZZNS1_27merge_sort_block_merge_implIS3_N6thrust23THRUST_200600_302600_NS10device_ptrIiEEPS5_jNS1_19radix_merge_compareILb0ELb0EiNS0_19identity_decomposerEEEEE10hipError_tT0_T1_T2_jT3_P12ihipStream_tbPNSt15iterator_traitsISH_E10value_typeEPNSN_ISI_E10value_typeEPSJ_NS1_7vsmem_tEENKUlT_SH_SI_SJ_E_clISB_PiSC_SC_EESG_SW_SH_SI_SJ_EUlSW_E1_NS1_11comp_targetILNS1_3genE8ELNS1_11target_archE1030ELNS1_3gpuE2ELNS1_3repE0EEENS1_36merge_oddeven_config_static_selectorELNS0_4arch9wavefront6targetE0EEEvSI_.numbered_sgpr, 16
	.set _ZN7rocprim17ROCPRIM_400000_NS6detail17trampoline_kernelINS0_14default_configENS1_38merge_sort_block_merge_config_selectorIiNS0_10empty_typeEEEZZNS1_27merge_sort_block_merge_implIS3_N6thrust23THRUST_200600_302600_NS10device_ptrIiEEPS5_jNS1_19radix_merge_compareILb0ELb0EiNS0_19identity_decomposerEEEEE10hipError_tT0_T1_T2_jT3_P12ihipStream_tbPNSt15iterator_traitsISH_E10value_typeEPNSN_ISI_E10value_typeEPSJ_NS1_7vsmem_tEENKUlT_SH_SI_SJ_E_clISB_PiSC_SC_EESG_SW_SH_SI_SJ_EUlSW_E1_NS1_11comp_targetILNS1_3genE8ELNS1_11target_archE1030ELNS1_3gpuE2ELNS1_3repE0EEENS1_36merge_oddeven_config_static_selectorELNS0_4arch9wavefront6targetE0EEEvSI_.num_named_barrier, 0
	.set _ZN7rocprim17ROCPRIM_400000_NS6detail17trampoline_kernelINS0_14default_configENS1_38merge_sort_block_merge_config_selectorIiNS0_10empty_typeEEEZZNS1_27merge_sort_block_merge_implIS3_N6thrust23THRUST_200600_302600_NS10device_ptrIiEEPS5_jNS1_19radix_merge_compareILb0ELb0EiNS0_19identity_decomposerEEEEE10hipError_tT0_T1_T2_jT3_P12ihipStream_tbPNSt15iterator_traitsISH_E10value_typeEPNSN_ISI_E10value_typeEPSJ_NS1_7vsmem_tEENKUlT_SH_SI_SJ_E_clISB_PiSC_SC_EESG_SW_SH_SI_SJ_EUlSW_E1_NS1_11comp_targetILNS1_3genE8ELNS1_11target_archE1030ELNS1_3gpuE2ELNS1_3repE0EEENS1_36merge_oddeven_config_static_selectorELNS0_4arch9wavefront6targetE0EEEvSI_.private_seg_size, 0
	.set _ZN7rocprim17ROCPRIM_400000_NS6detail17trampoline_kernelINS0_14default_configENS1_38merge_sort_block_merge_config_selectorIiNS0_10empty_typeEEEZZNS1_27merge_sort_block_merge_implIS3_N6thrust23THRUST_200600_302600_NS10device_ptrIiEEPS5_jNS1_19radix_merge_compareILb0ELb0EiNS0_19identity_decomposerEEEEE10hipError_tT0_T1_T2_jT3_P12ihipStream_tbPNSt15iterator_traitsISH_E10value_typeEPNSN_ISI_E10value_typeEPSJ_NS1_7vsmem_tEENKUlT_SH_SI_SJ_E_clISB_PiSC_SC_EESG_SW_SH_SI_SJ_EUlSW_E1_NS1_11comp_targetILNS1_3genE8ELNS1_11target_archE1030ELNS1_3gpuE2ELNS1_3repE0EEENS1_36merge_oddeven_config_static_selectorELNS0_4arch9wavefront6targetE0EEEvSI_.uses_vcc, 1
	.set _ZN7rocprim17ROCPRIM_400000_NS6detail17trampoline_kernelINS0_14default_configENS1_38merge_sort_block_merge_config_selectorIiNS0_10empty_typeEEEZZNS1_27merge_sort_block_merge_implIS3_N6thrust23THRUST_200600_302600_NS10device_ptrIiEEPS5_jNS1_19radix_merge_compareILb0ELb0EiNS0_19identity_decomposerEEEEE10hipError_tT0_T1_T2_jT3_P12ihipStream_tbPNSt15iterator_traitsISH_E10value_typeEPNSN_ISI_E10value_typeEPSJ_NS1_7vsmem_tEENKUlT_SH_SI_SJ_E_clISB_PiSC_SC_EESG_SW_SH_SI_SJ_EUlSW_E1_NS1_11comp_targetILNS1_3genE8ELNS1_11target_archE1030ELNS1_3gpuE2ELNS1_3repE0EEENS1_36merge_oddeven_config_static_selectorELNS0_4arch9wavefront6targetE0EEEvSI_.uses_flat_scratch, 0
	.set _ZN7rocprim17ROCPRIM_400000_NS6detail17trampoline_kernelINS0_14default_configENS1_38merge_sort_block_merge_config_selectorIiNS0_10empty_typeEEEZZNS1_27merge_sort_block_merge_implIS3_N6thrust23THRUST_200600_302600_NS10device_ptrIiEEPS5_jNS1_19radix_merge_compareILb0ELb0EiNS0_19identity_decomposerEEEEE10hipError_tT0_T1_T2_jT3_P12ihipStream_tbPNSt15iterator_traitsISH_E10value_typeEPNSN_ISI_E10value_typeEPSJ_NS1_7vsmem_tEENKUlT_SH_SI_SJ_E_clISB_PiSC_SC_EESG_SW_SH_SI_SJ_EUlSW_E1_NS1_11comp_targetILNS1_3genE8ELNS1_11target_archE1030ELNS1_3gpuE2ELNS1_3repE0EEENS1_36merge_oddeven_config_static_selectorELNS0_4arch9wavefront6targetE0EEEvSI_.has_dyn_sized_stack, 0
	.set _ZN7rocprim17ROCPRIM_400000_NS6detail17trampoline_kernelINS0_14default_configENS1_38merge_sort_block_merge_config_selectorIiNS0_10empty_typeEEEZZNS1_27merge_sort_block_merge_implIS3_N6thrust23THRUST_200600_302600_NS10device_ptrIiEEPS5_jNS1_19radix_merge_compareILb0ELb0EiNS0_19identity_decomposerEEEEE10hipError_tT0_T1_T2_jT3_P12ihipStream_tbPNSt15iterator_traitsISH_E10value_typeEPNSN_ISI_E10value_typeEPSJ_NS1_7vsmem_tEENKUlT_SH_SI_SJ_E_clISB_PiSC_SC_EESG_SW_SH_SI_SJ_EUlSW_E1_NS1_11comp_targetILNS1_3genE8ELNS1_11target_archE1030ELNS1_3gpuE2ELNS1_3repE0EEENS1_36merge_oddeven_config_static_selectorELNS0_4arch9wavefront6targetE0EEEvSI_.has_recursion, 0
	.set _ZN7rocprim17ROCPRIM_400000_NS6detail17trampoline_kernelINS0_14default_configENS1_38merge_sort_block_merge_config_selectorIiNS0_10empty_typeEEEZZNS1_27merge_sort_block_merge_implIS3_N6thrust23THRUST_200600_302600_NS10device_ptrIiEEPS5_jNS1_19radix_merge_compareILb0ELb0EiNS0_19identity_decomposerEEEEE10hipError_tT0_T1_T2_jT3_P12ihipStream_tbPNSt15iterator_traitsISH_E10value_typeEPNSN_ISI_E10value_typeEPSJ_NS1_7vsmem_tEENKUlT_SH_SI_SJ_E_clISB_PiSC_SC_EESG_SW_SH_SI_SJ_EUlSW_E1_NS1_11comp_targetILNS1_3genE8ELNS1_11target_archE1030ELNS1_3gpuE2ELNS1_3repE0EEENS1_36merge_oddeven_config_static_selectorELNS0_4arch9wavefront6targetE0EEEvSI_.has_indirect_call, 0
	.section	.AMDGPU.csdata,"",@progbits
; Kernel info:
; codeLenInByte = 624
; TotalNumSgprs: 18
; NumVgprs: 8
; ScratchSize: 0
; MemoryBound: 0
; FloatMode: 240
; IeeeMode: 1
; LDSByteSize: 0 bytes/workgroup (compile time only)
; SGPRBlocks: 0
; VGPRBlocks: 0
; NumSGPRsForWavesPerEU: 18
; NumVGPRsForWavesPerEU: 8
; Occupancy: 16
; WaveLimiterHint : 0
; COMPUTE_PGM_RSRC2:SCRATCH_EN: 0
; COMPUTE_PGM_RSRC2:USER_SGPR: 6
; COMPUTE_PGM_RSRC2:TRAP_HANDLER: 0
; COMPUTE_PGM_RSRC2:TGID_X_EN: 1
; COMPUTE_PGM_RSRC2:TGID_Y_EN: 0
; COMPUTE_PGM_RSRC2:TGID_Z_EN: 0
; COMPUTE_PGM_RSRC2:TIDIG_COMP_CNT: 0
	.section	.text._ZN7rocprim17ROCPRIM_400000_NS6detail17trampoline_kernelINS0_14default_configENS1_25transform_config_selectorIiLb0EEEZNS1_14transform_implILb0ES3_S5_PiN6thrust23THRUST_200600_302600_NS10device_ptrIiEENS0_8identityIiEEEE10hipError_tT2_T3_mT4_P12ihipStream_tbEUlT_E_NS1_11comp_targetILNS1_3genE0ELNS1_11target_archE4294967295ELNS1_3gpuE0ELNS1_3repE0EEENS1_30default_config_static_selectorELNS0_4arch9wavefront6targetE0EEEvT1_,"axG",@progbits,_ZN7rocprim17ROCPRIM_400000_NS6detail17trampoline_kernelINS0_14default_configENS1_25transform_config_selectorIiLb0EEEZNS1_14transform_implILb0ES3_S5_PiN6thrust23THRUST_200600_302600_NS10device_ptrIiEENS0_8identityIiEEEE10hipError_tT2_T3_mT4_P12ihipStream_tbEUlT_E_NS1_11comp_targetILNS1_3genE0ELNS1_11target_archE4294967295ELNS1_3gpuE0ELNS1_3repE0EEENS1_30default_config_static_selectorELNS0_4arch9wavefront6targetE0EEEvT1_,comdat
	.protected	_ZN7rocprim17ROCPRIM_400000_NS6detail17trampoline_kernelINS0_14default_configENS1_25transform_config_selectorIiLb0EEEZNS1_14transform_implILb0ES3_S5_PiN6thrust23THRUST_200600_302600_NS10device_ptrIiEENS0_8identityIiEEEE10hipError_tT2_T3_mT4_P12ihipStream_tbEUlT_E_NS1_11comp_targetILNS1_3genE0ELNS1_11target_archE4294967295ELNS1_3gpuE0ELNS1_3repE0EEENS1_30default_config_static_selectorELNS0_4arch9wavefront6targetE0EEEvT1_ ; -- Begin function _ZN7rocprim17ROCPRIM_400000_NS6detail17trampoline_kernelINS0_14default_configENS1_25transform_config_selectorIiLb0EEEZNS1_14transform_implILb0ES3_S5_PiN6thrust23THRUST_200600_302600_NS10device_ptrIiEENS0_8identityIiEEEE10hipError_tT2_T3_mT4_P12ihipStream_tbEUlT_E_NS1_11comp_targetILNS1_3genE0ELNS1_11target_archE4294967295ELNS1_3gpuE0ELNS1_3repE0EEENS1_30default_config_static_selectorELNS0_4arch9wavefront6targetE0EEEvT1_
	.globl	_ZN7rocprim17ROCPRIM_400000_NS6detail17trampoline_kernelINS0_14default_configENS1_25transform_config_selectorIiLb0EEEZNS1_14transform_implILb0ES3_S5_PiN6thrust23THRUST_200600_302600_NS10device_ptrIiEENS0_8identityIiEEEE10hipError_tT2_T3_mT4_P12ihipStream_tbEUlT_E_NS1_11comp_targetILNS1_3genE0ELNS1_11target_archE4294967295ELNS1_3gpuE0ELNS1_3repE0EEENS1_30default_config_static_selectorELNS0_4arch9wavefront6targetE0EEEvT1_
	.p2align	8
	.type	_ZN7rocprim17ROCPRIM_400000_NS6detail17trampoline_kernelINS0_14default_configENS1_25transform_config_selectorIiLb0EEEZNS1_14transform_implILb0ES3_S5_PiN6thrust23THRUST_200600_302600_NS10device_ptrIiEENS0_8identityIiEEEE10hipError_tT2_T3_mT4_P12ihipStream_tbEUlT_E_NS1_11comp_targetILNS1_3genE0ELNS1_11target_archE4294967295ELNS1_3gpuE0ELNS1_3repE0EEENS1_30default_config_static_selectorELNS0_4arch9wavefront6targetE0EEEvT1_,@function
_ZN7rocprim17ROCPRIM_400000_NS6detail17trampoline_kernelINS0_14default_configENS1_25transform_config_selectorIiLb0EEEZNS1_14transform_implILb0ES3_S5_PiN6thrust23THRUST_200600_302600_NS10device_ptrIiEENS0_8identityIiEEEE10hipError_tT2_T3_mT4_P12ihipStream_tbEUlT_E_NS1_11comp_targetILNS1_3genE0ELNS1_11target_archE4294967295ELNS1_3gpuE0ELNS1_3repE0EEENS1_30default_config_static_selectorELNS0_4arch9wavefront6targetE0EEEvT1_: ; @_ZN7rocprim17ROCPRIM_400000_NS6detail17trampoline_kernelINS0_14default_configENS1_25transform_config_selectorIiLb0EEEZNS1_14transform_implILb0ES3_S5_PiN6thrust23THRUST_200600_302600_NS10device_ptrIiEENS0_8identityIiEEEE10hipError_tT2_T3_mT4_P12ihipStream_tbEUlT_E_NS1_11comp_targetILNS1_3genE0ELNS1_11target_archE4294967295ELNS1_3gpuE0ELNS1_3repE0EEENS1_30default_config_static_selectorELNS0_4arch9wavefront6targetE0EEEvT1_
; %bb.0:
	.section	.rodata,"a",@progbits
	.p2align	6, 0x0
	.amdhsa_kernel _ZN7rocprim17ROCPRIM_400000_NS6detail17trampoline_kernelINS0_14default_configENS1_25transform_config_selectorIiLb0EEEZNS1_14transform_implILb0ES3_S5_PiN6thrust23THRUST_200600_302600_NS10device_ptrIiEENS0_8identityIiEEEE10hipError_tT2_T3_mT4_P12ihipStream_tbEUlT_E_NS1_11comp_targetILNS1_3genE0ELNS1_11target_archE4294967295ELNS1_3gpuE0ELNS1_3repE0EEENS1_30default_config_static_selectorELNS0_4arch9wavefront6targetE0EEEvT1_
		.amdhsa_group_segment_fixed_size 0
		.amdhsa_private_segment_fixed_size 0
		.amdhsa_kernarg_size 40
		.amdhsa_user_sgpr_count 6
		.amdhsa_user_sgpr_private_segment_buffer 1
		.amdhsa_user_sgpr_dispatch_ptr 0
		.amdhsa_user_sgpr_queue_ptr 0
		.amdhsa_user_sgpr_kernarg_segment_ptr 1
		.amdhsa_user_sgpr_dispatch_id 0
		.amdhsa_user_sgpr_flat_scratch_init 0
		.amdhsa_user_sgpr_private_segment_size 0
		.amdhsa_wavefront_size32 1
		.amdhsa_uses_dynamic_stack 0
		.amdhsa_system_sgpr_private_segment_wavefront_offset 0
		.amdhsa_system_sgpr_workgroup_id_x 1
		.amdhsa_system_sgpr_workgroup_id_y 0
		.amdhsa_system_sgpr_workgroup_id_z 0
		.amdhsa_system_sgpr_workgroup_info 0
		.amdhsa_system_vgpr_workitem_id 0
		.amdhsa_next_free_vgpr 1
		.amdhsa_next_free_sgpr 1
		.amdhsa_reserve_vcc 0
		.amdhsa_reserve_flat_scratch 0
		.amdhsa_float_round_mode_32 0
		.amdhsa_float_round_mode_16_64 0
		.amdhsa_float_denorm_mode_32 3
		.amdhsa_float_denorm_mode_16_64 3
		.amdhsa_dx10_clamp 1
		.amdhsa_ieee_mode 1
		.amdhsa_fp16_overflow 0
		.amdhsa_workgroup_processor_mode 1
		.amdhsa_memory_ordered 1
		.amdhsa_forward_progress 1
		.amdhsa_shared_vgpr_count 0
		.amdhsa_exception_fp_ieee_invalid_op 0
		.amdhsa_exception_fp_denorm_src 0
		.amdhsa_exception_fp_ieee_div_zero 0
		.amdhsa_exception_fp_ieee_overflow 0
		.amdhsa_exception_fp_ieee_underflow 0
		.amdhsa_exception_fp_ieee_inexact 0
		.amdhsa_exception_int_div_zero 0
	.end_amdhsa_kernel
	.section	.text._ZN7rocprim17ROCPRIM_400000_NS6detail17trampoline_kernelINS0_14default_configENS1_25transform_config_selectorIiLb0EEEZNS1_14transform_implILb0ES3_S5_PiN6thrust23THRUST_200600_302600_NS10device_ptrIiEENS0_8identityIiEEEE10hipError_tT2_T3_mT4_P12ihipStream_tbEUlT_E_NS1_11comp_targetILNS1_3genE0ELNS1_11target_archE4294967295ELNS1_3gpuE0ELNS1_3repE0EEENS1_30default_config_static_selectorELNS0_4arch9wavefront6targetE0EEEvT1_,"axG",@progbits,_ZN7rocprim17ROCPRIM_400000_NS6detail17trampoline_kernelINS0_14default_configENS1_25transform_config_selectorIiLb0EEEZNS1_14transform_implILb0ES3_S5_PiN6thrust23THRUST_200600_302600_NS10device_ptrIiEENS0_8identityIiEEEE10hipError_tT2_T3_mT4_P12ihipStream_tbEUlT_E_NS1_11comp_targetILNS1_3genE0ELNS1_11target_archE4294967295ELNS1_3gpuE0ELNS1_3repE0EEENS1_30default_config_static_selectorELNS0_4arch9wavefront6targetE0EEEvT1_,comdat
.Lfunc_end1160:
	.size	_ZN7rocprim17ROCPRIM_400000_NS6detail17trampoline_kernelINS0_14default_configENS1_25transform_config_selectorIiLb0EEEZNS1_14transform_implILb0ES3_S5_PiN6thrust23THRUST_200600_302600_NS10device_ptrIiEENS0_8identityIiEEEE10hipError_tT2_T3_mT4_P12ihipStream_tbEUlT_E_NS1_11comp_targetILNS1_3genE0ELNS1_11target_archE4294967295ELNS1_3gpuE0ELNS1_3repE0EEENS1_30default_config_static_selectorELNS0_4arch9wavefront6targetE0EEEvT1_, .Lfunc_end1160-_ZN7rocprim17ROCPRIM_400000_NS6detail17trampoline_kernelINS0_14default_configENS1_25transform_config_selectorIiLb0EEEZNS1_14transform_implILb0ES3_S5_PiN6thrust23THRUST_200600_302600_NS10device_ptrIiEENS0_8identityIiEEEE10hipError_tT2_T3_mT4_P12ihipStream_tbEUlT_E_NS1_11comp_targetILNS1_3genE0ELNS1_11target_archE4294967295ELNS1_3gpuE0ELNS1_3repE0EEENS1_30default_config_static_selectorELNS0_4arch9wavefront6targetE0EEEvT1_
                                        ; -- End function
	.set _ZN7rocprim17ROCPRIM_400000_NS6detail17trampoline_kernelINS0_14default_configENS1_25transform_config_selectorIiLb0EEEZNS1_14transform_implILb0ES3_S5_PiN6thrust23THRUST_200600_302600_NS10device_ptrIiEENS0_8identityIiEEEE10hipError_tT2_T3_mT4_P12ihipStream_tbEUlT_E_NS1_11comp_targetILNS1_3genE0ELNS1_11target_archE4294967295ELNS1_3gpuE0ELNS1_3repE0EEENS1_30default_config_static_selectorELNS0_4arch9wavefront6targetE0EEEvT1_.num_vgpr, 0
	.set _ZN7rocprim17ROCPRIM_400000_NS6detail17trampoline_kernelINS0_14default_configENS1_25transform_config_selectorIiLb0EEEZNS1_14transform_implILb0ES3_S5_PiN6thrust23THRUST_200600_302600_NS10device_ptrIiEENS0_8identityIiEEEE10hipError_tT2_T3_mT4_P12ihipStream_tbEUlT_E_NS1_11comp_targetILNS1_3genE0ELNS1_11target_archE4294967295ELNS1_3gpuE0ELNS1_3repE0EEENS1_30default_config_static_selectorELNS0_4arch9wavefront6targetE0EEEvT1_.num_agpr, 0
	.set _ZN7rocprim17ROCPRIM_400000_NS6detail17trampoline_kernelINS0_14default_configENS1_25transform_config_selectorIiLb0EEEZNS1_14transform_implILb0ES3_S5_PiN6thrust23THRUST_200600_302600_NS10device_ptrIiEENS0_8identityIiEEEE10hipError_tT2_T3_mT4_P12ihipStream_tbEUlT_E_NS1_11comp_targetILNS1_3genE0ELNS1_11target_archE4294967295ELNS1_3gpuE0ELNS1_3repE0EEENS1_30default_config_static_selectorELNS0_4arch9wavefront6targetE0EEEvT1_.numbered_sgpr, 0
	.set _ZN7rocprim17ROCPRIM_400000_NS6detail17trampoline_kernelINS0_14default_configENS1_25transform_config_selectorIiLb0EEEZNS1_14transform_implILb0ES3_S5_PiN6thrust23THRUST_200600_302600_NS10device_ptrIiEENS0_8identityIiEEEE10hipError_tT2_T3_mT4_P12ihipStream_tbEUlT_E_NS1_11comp_targetILNS1_3genE0ELNS1_11target_archE4294967295ELNS1_3gpuE0ELNS1_3repE0EEENS1_30default_config_static_selectorELNS0_4arch9wavefront6targetE0EEEvT1_.num_named_barrier, 0
	.set _ZN7rocprim17ROCPRIM_400000_NS6detail17trampoline_kernelINS0_14default_configENS1_25transform_config_selectorIiLb0EEEZNS1_14transform_implILb0ES3_S5_PiN6thrust23THRUST_200600_302600_NS10device_ptrIiEENS0_8identityIiEEEE10hipError_tT2_T3_mT4_P12ihipStream_tbEUlT_E_NS1_11comp_targetILNS1_3genE0ELNS1_11target_archE4294967295ELNS1_3gpuE0ELNS1_3repE0EEENS1_30default_config_static_selectorELNS0_4arch9wavefront6targetE0EEEvT1_.private_seg_size, 0
	.set _ZN7rocprim17ROCPRIM_400000_NS6detail17trampoline_kernelINS0_14default_configENS1_25transform_config_selectorIiLb0EEEZNS1_14transform_implILb0ES3_S5_PiN6thrust23THRUST_200600_302600_NS10device_ptrIiEENS0_8identityIiEEEE10hipError_tT2_T3_mT4_P12ihipStream_tbEUlT_E_NS1_11comp_targetILNS1_3genE0ELNS1_11target_archE4294967295ELNS1_3gpuE0ELNS1_3repE0EEENS1_30default_config_static_selectorELNS0_4arch9wavefront6targetE0EEEvT1_.uses_vcc, 0
	.set _ZN7rocprim17ROCPRIM_400000_NS6detail17trampoline_kernelINS0_14default_configENS1_25transform_config_selectorIiLb0EEEZNS1_14transform_implILb0ES3_S5_PiN6thrust23THRUST_200600_302600_NS10device_ptrIiEENS0_8identityIiEEEE10hipError_tT2_T3_mT4_P12ihipStream_tbEUlT_E_NS1_11comp_targetILNS1_3genE0ELNS1_11target_archE4294967295ELNS1_3gpuE0ELNS1_3repE0EEENS1_30default_config_static_selectorELNS0_4arch9wavefront6targetE0EEEvT1_.uses_flat_scratch, 0
	.set _ZN7rocprim17ROCPRIM_400000_NS6detail17trampoline_kernelINS0_14default_configENS1_25transform_config_selectorIiLb0EEEZNS1_14transform_implILb0ES3_S5_PiN6thrust23THRUST_200600_302600_NS10device_ptrIiEENS0_8identityIiEEEE10hipError_tT2_T3_mT4_P12ihipStream_tbEUlT_E_NS1_11comp_targetILNS1_3genE0ELNS1_11target_archE4294967295ELNS1_3gpuE0ELNS1_3repE0EEENS1_30default_config_static_selectorELNS0_4arch9wavefront6targetE0EEEvT1_.has_dyn_sized_stack, 0
	.set _ZN7rocprim17ROCPRIM_400000_NS6detail17trampoline_kernelINS0_14default_configENS1_25transform_config_selectorIiLb0EEEZNS1_14transform_implILb0ES3_S5_PiN6thrust23THRUST_200600_302600_NS10device_ptrIiEENS0_8identityIiEEEE10hipError_tT2_T3_mT4_P12ihipStream_tbEUlT_E_NS1_11comp_targetILNS1_3genE0ELNS1_11target_archE4294967295ELNS1_3gpuE0ELNS1_3repE0EEENS1_30default_config_static_selectorELNS0_4arch9wavefront6targetE0EEEvT1_.has_recursion, 0
	.set _ZN7rocprim17ROCPRIM_400000_NS6detail17trampoline_kernelINS0_14default_configENS1_25transform_config_selectorIiLb0EEEZNS1_14transform_implILb0ES3_S5_PiN6thrust23THRUST_200600_302600_NS10device_ptrIiEENS0_8identityIiEEEE10hipError_tT2_T3_mT4_P12ihipStream_tbEUlT_E_NS1_11comp_targetILNS1_3genE0ELNS1_11target_archE4294967295ELNS1_3gpuE0ELNS1_3repE0EEENS1_30default_config_static_selectorELNS0_4arch9wavefront6targetE0EEEvT1_.has_indirect_call, 0
	.section	.AMDGPU.csdata,"",@progbits
; Kernel info:
; codeLenInByte = 0
; TotalNumSgprs: 0
; NumVgprs: 0
; ScratchSize: 0
; MemoryBound: 0
; FloatMode: 240
; IeeeMode: 1
; LDSByteSize: 0 bytes/workgroup (compile time only)
; SGPRBlocks: 0
; VGPRBlocks: 0
; NumSGPRsForWavesPerEU: 1
; NumVGPRsForWavesPerEU: 1
; Occupancy: 16
; WaveLimiterHint : 0
; COMPUTE_PGM_RSRC2:SCRATCH_EN: 0
; COMPUTE_PGM_RSRC2:USER_SGPR: 6
; COMPUTE_PGM_RSRC2:TRAP_HANDLER: 0
; COMPUTE_PGM_RSRC2:TGID_X_EN: 1
; COMPUTE_PGM_RSRC2:TGID_Y_EN: 0
; COMPUTE_PGM_RSRC2:TGID_Z_EN: 0
; COMPUTE_PGM_RSRC2:TIDIG_COMP_CNT: 0
	.section	.text._ZN7rocprim17ROCPRIM_400000_NS6detail17trampoline_kernelINS0_14default_configENS1_25transform_config_selectorIiLb0EEEZNS1_14transform_implILb0ES3_S5_PiN6thrust23THRUST_200600_302600_NS10device_ptrIiEENS0_8identityIiEEEE10hipError_tT2_T3_mT4_P12ihipStream_tbEUlT_E_NS1_11comp_targetILNS1_3genE5ELNS1_11target_archE942ELNS1_3gpuE9ELNS1_3repE0EEENS1_30default_config_static_selectorELNS0_4arch9wavefront6targetE0EEEvT1_,"axG",@progbits,_ZN7rocprim17ROCPRIM_400000_NS6detail17trampoline_kernelINS0_14default_configENS1_25transform_config_selectorIiLb0EEEZNS1_14transform_implILb0ES3_S5_PiN6thrust23THRUST_200600_302600_NS10device_ptrIiEENS0_8identityIiEEEE10hipError_tT2_T3_mT4_P12ihipStream_tbEUlT_E_NS1_11comp_targetILNS1_3genE5ELNS1_11target_archE942ELNS1_3gpuE9ELNS1_3repE0EEENS1_30default_config_static_selectorELNS0_4arch9wavefront6targetE0EEEvT1_,comdat
	.protected	_ZN7rocprim17ROCPRIM_400000_NS6detail17trampoline_kernelINS0_14default_configENS1_25transform_config_selectorIiLb0EEEZNS1_14transform_implILb0ES3_S5_PiN6thrust23THRUST_200600_302600_NS10device_ptrIiEENS0_8identityIiEEEE10hipError_tT2_T3_mT4_P12ihipStream_tbEUlT_E_NS1_11comp_targetILNS1_3genE5ELNS1_11target_archE942ELNS1_3gpuE9ELNS1_3repE0EEENS1_30default_config_static_selectorELNS0_4arch9wavefront6targetE0EEEvT1_ ; -- Begin function _ZN7rocprim17ROCPRIM_400000_NS6detail17trampoline_kernelINS0_14default_configENS1_25transform_config_selectorIiLb0EEEZNS1_14transform_implILb0ES3_S5_PiN6thrust23THRUST_200600_302600_NS10device_ptrIiEENS0_8identityIiEEEE10hipError_tT2_T3_mT4_P12ihipStream_tbEUlT_E_NS1_11comp_targetILNS1_3genE5ELNS1_11target_archE942ELNS1_3gpuE9ELNS1_3repE0EEENS1_30default_config_static_selectorELNS0_4arch9wavefront6targetE0EEEvT1_
	.globl	_ZN7rocprim17ROCPRIM_400000_NS6detail17trampoline_kernelINS0_14default_configENS1_25transform_config_selectorIiLb0EEEZNS1_14transform_implILb0ES3_S5_PiN6thrust23THRUST_200600_302600_NS10device_ptrIiEENS0_8identityIiEEEE10hipError_tT2_T3_mT4_P12ihipStream_tbEUlT_E_NS1_11comp_targetILNS1_3genE5ELNS1_11target_archE942ELNS1_3gpuE9ELNS1_3repE0EEENS1_30default_config_static_selectorELNS0_4arch9wavefront6targetE0EEEvT1_
	.p2align	8
	.type	_ZN7rocprim17ROCPRIM_400000_NS6detail17trampoline_kernelINS0_14default_configENS1_25transform_config_selectorIiLb0EEEZNS1_14transform_implILb0ES3_S5_PiN6thrust23THRUST_200600_302600_NS10device_ptrIiEENS0_8identityIiEEEE10hipError_tT2_T3_mT4_P12ihipStream_tbEUlT_E_NS1_11comp_targetILNS1_3genE5ELNS1_11target_archE942ELNS1_3gpuE9ELNS1_3repE0EEENS1_30default_config_static_selectorELNS0_4arch9wavefront6targetE0EEEvT1_,@function
_ZN7rocprim17ROCPRIM_400000_NS6detail17trampoline_kernelINS0_14default_configENS1_25transform_config_selectorIiLb0EEEZNS1_14transform_implILb0ES3_S5_PiN6thrust23THRUST_200600_302600_NS10device_ptrIiEENS0_8identityIiEEEE10hipError_tT2_T3_mT4_P12ihipStream_tbEUlT_E_NS1_11comp_targetILNS1_3genE5ELNS1_11target_archE942ELNS1_3gpuE9ELNS1_3repE0EEENS1_30default_config_static_selectorELNS0_4arch9wavefront6targetE0EEEvT1_: ; @_ZN7rocprim17ROCPRIM_400000_NS6detail17trampoline_kernelINS0_14default_configENS1_25transform_config_selectorIiLb0EEEZNS1_14transform_implILb0ES3_S5_PiN6thrust23THRUST_200600_302600_NS10device_ptrIiEENS0_8identityIiEEEE10hipError_tT2_T3_mT4_P12ihipStream_tbEUlT_E_NS1_11comp_targetILNS1_3genE5ELNS1_11target_archE942ELNS1_3gpuE9ELNS1_3repE0EEENS1_30default_config_static_selectorELNS0_4arch9wavefront6targetE0EEEvT1_
; %bb.0:
	.section	.rodata,"a",@progbits
	.p2align	6, 0x0
	.amdhsa_kernel _ZN7rocprim17ROCPRIM_400000_NS6detail17trampoline_kernelINS0_14default_configENS1_25transform_config_selectorIiLb0EEEZNS1_14transform_implILb0ES3_S5_PiN6thrust23THRUST_200600_302600_NS10device_ptrIiEENS0_8identityIiEEEE10hipError_tT2_T3_mT4_P12ihipStream_tbEUlT_E_NS1_11comp_targetILNS1_3genE5ELNS1_11target_archE942ELNS1_3gpuE9ELNS1_3repE0EEENS1_30default_config_static_selectorELNS0_4arch9wavefront6targetE0EEEvT1_
		.amdhsa_group_segment_fixed_size 0
		.amdhsa_private_segment_fixed_size 0
		.amdhsa_kernarg_size 40
		.amdhsa_user_sgpr_count 6
		.amdhsa_user_sgpr_private_segment_buffer 1
		.amdhsa_user_sgpr_dispatch_ptr 0
		.amdhsa_user_sgpr_queue_ptr 0
		.amdhsa_user_sgpr_kernarg_segment_ptr 1
		.amdhsa_user_sgpr_dispatch_id 0
		.amdhsa_user_sgpr_flat_scratch_init 0
		.amdhsa_user_sgpr_private_segment_size 0
		.amdhsa_wavefront_size32 1
		.amdhsa_uses_dynamic_stack 0
		.amdhsa_system_sgpr_private_segment_wavefront_offset 0
		.amdhsa_system_sgpr_workgroup_id_x 1
		.amdhsa_system_sgpr_workgroup_id_y 0
		.amdhsa_system_sgpr_workgroup_id_z 0
		.amdhsa_system_sgpr_workgroup_info 0
		.amdhsa_system_vgpr_workitem_id 0
		.amdhsa_next_free_vgpr 1
		.amdhsa_next_free_sgpr 1
		.amdhsa_reserve_vcc 0
		.amdhsa_reserve_flat_scratch 0
		.amdhsa_float_round_mode_32 0
		.amdhsa_float_round_mode_16_64 0
		.amdhsa_float_denorm_mode_32 3
		.amdhsa_float_denorm_mode_16_64 3
		.amdhsa_dx10_clamp 1
		.amdhsa_ieee_mode 1
		.amdhsa_fp16_overflow 0
		.amdhsa_workgroup_processor_mode 1
		.amdhsa_memory_ordered 1
		.amdhsa_forward_progress 1
		.amdhsa_shared_vgpr_count 0
		.amdhsa_exception_fp_ieee_invalid_op 0
		.amdhsa_exception_fp_denorm_src 0
		.amdhsa_exception_fp_ieee_div_zero 0
		.amdhsa_exception_fp_ieee_overflow 0
		.amdhsa_exception_fp_ieee_underflow 0
		.amdhsa_exception_fp_ieee_inexact 0
		.amdhsa_exception_int_div_zero 0
	.end_amdhsa_kernel
	.section	.text._ZN7rocprim17ROCPRIM_400000_NS6detail17trampoline_kernelINS0_14default_configENS1_25transform_config_selectorIiLb0EEEZNS1_14transform_implILb0ES3_S5_PiN6thrust23THRUST_200600_302600_NS10device_ptrIiEENS0_8identityIiEEEE10hipError_tT2_T3_mT4_P12ihipStream_tbEUlT_E_NS1_11comp_targetILNS1_3genE5ELNS1_11target_archE942ELNS1_3gpuE9ELNS1_3repE0EEENS1_30default_config_static_selectorELNS0_4arch9wavefront6targetE0EEEvT1_,"axG",@progbits,_ZN7rocprim17ROCPRIM_400000_NS6detail17trampoline_kernelINS0_14default_configENS1_25transform_config_selectorIiLb0EEEZNS1_14transform_implILb0ES3_S5_PiN6thrust23THRUST_200600_302600_NS10device_ptrIiEENS0_8identityIiEEEE10hipError_tT2_T3_mT4_P12ihipStream_tbEUlT_E_NS1_11comp_targetILNS1_3genE5ELNS1_11target_archE942ELNS1_3gpuE9ELNS1_3repE0EEENS1_30default_config_static_selectorELNS0_4arch9wavefront6targetE0EEEvT1_,comdat
.Lfunc_end1161:
	.size	_ZN7rocprim17ROCPRIM_400000_NS6detail17trampoline_kernelINS0_14default_configENS1_25transform_config_selectorIiLb0EEEZNS1_14transform_implILb0ES3_S5_PiN6thrust23THRUST_200600_302600_NS10device_ptrIiEENS0_8identityIiEEEE10hipError_tT2_T3_mT4_P12ihipStream_tbEUlT_E_NS1_11comp_targetILNS1_3genE5ELNS1_11target_archE942ELNS1_3gpuE9ELNS1_3repE0EEENS1_30default_config_static_selectorELNS0_4arch9wavefront6targetE0EEEvT1_, .Lfunc_end1161-_ZN7rocprim17ROCPRIM_400000_NS6detail17trampoline_kernelINS0_14default_configENS1_25transform_config_selectorIiLb0EEEZNS1_14transform_implILb0ES3_S5_PiN6thrust23THRUST_200600_302600_NS10device_ptrIiEENS0_8identityIiEEEE10hipError_tT2_T3_mT4_P12ihipStream_tbEUlT_E_NS1_11comp_targetILNS1_3genE5ELNS1_11target_archE942ELNS1_3gpuE9ELNS1_3repE0EEENS1_30default_config_static_selectorELNS0_4arch9wavefront6targetE0EEEvT1_
                                        ; -- End function
	.set _ZN7rocprim17ROCPRIM_400000_NS6detail17trampoline_kernelINS0_14default_configENS1_25transform_config_selectorIiLb0EEEZNS1_14transform_implILb0ES3_S5_PiN6thrust23THRUST_200600_302600_NS10device_ptrIiEENS0_8identityIiEEEE10hipError_tT2_T3_mT4_P12ihipStream_tbEUlT_E_NS1_11comp_targetILNS1_3genE5ELNS1_11target_archE942ELNS1_3gpuE9ELNS1_3repE0EEENS1_30default_config_static_selectorELNS0_4arch9wavefront6targetE0EEEvT1_.num_vgpr, 0
	.set _ZN7rocprim17ROCPRIM_400000_NS6detail17trampoline_kernelINS0_14default_configENS1_25transform_config_selectorIiLb0EEEZNS1_14transform_implILb0ES3_S5_PiN6thrust23THRUST_200600_302600_NS10device_ptrIiEENS0_8identityIiEEEE10hipError_tT2_T3_mT4_P12ihipStream_tbEUlT_E_NS1_11comp_targetILNS1_3genE5ELNS1_11target_archE942ELNS1_3gpuE9ELNS1_3repE0EEENS1_30default_config_static_selectorELNS0_4arch9wavefront6targetE0EEEvT1_.num_agpr, 0
	.set _ZN7rocprim17ROCPRIM_400000_NS6detail17trampoline_kernelINS0_14default_configENS1_25transform_config_selectorIiLb0EEEZNS1_14transform_implILb0ES3_S5_PiN6thrust23THRUST_200600_302600_NS10device_ptrIiEENS0_8identityIiEEEE10hipError_tT2_T3_mT4_P12ihipStream_tbEUlT_E_NS1_11comp_targetILNS1_3genE5ELNS1_11target_archE942ELNS1_3gpuE9ELNS1_3repE0EEENS1_30default_config_static_selectorELNS0_4arch9wavefront6targetE0EEEvT1_.numbered_sgpr, 0
	.set _ZN7rocprim17ROCPRIM_400000_NS6detail17trampoline_kernelINS0_14default_configENS1_25transform_config_selectorIiLb0EEEZNS1_14transform_implILb0ES3_S5_PiN6thrust23THRUST_200600_302600_NS10device_ptrIiEENS0_8identityIiEEEE10hipError_tT2_T3_mT4_P12ihipStream_tbEUlT_E_NS1_11comp_targetILNS1_3genE5ELNS1_11target_archE942ELNS1_3gpuE9ELNS1_3repE0EEENS1_30default_config_static_selectorELNS0_4arch9wavefront6targetE0EEEvT1_.num_named_barrier, 0
	.set _ZN7rocprim17ROCPRIM_400000_NS6detail17trampoline_kernelINS0_14default_configENS1_25transform_config_selectorIiLb0EEEZNS1_14transform_implILb0ES3_S5_PiN6thrust23THRUST_200600_302600_NS10device_ptrIiEENS0_8identityIiEEEE10hipError_tT2_T3_mT4_P12ihipStream_tbEUlT_E_NS1_11comp_targetILNS1_3genE5ELNS1_11target_archE942ELNS1_3gpuE9ELNS1_3repE0EEENS1_30default_config_static_selectorELNS0_4arch9wavefront6targetE0EEEvT1_.private_seg_size, 0
	.set _ZN7rocprim17ROCPRIM_400000_NS6detail17trampoline_kernelINS0_14default_configENS1_25transform_config_selectorIiLb0EEEZNS1_14transform_implILb0ES3_S5_PiN6thrust23THRUST_200600_302600_NS10device_ptrIiEENS0_8identityIiEEEE10hipError_tT2_T3_mT4_P12ihipStream_tbEUlT_E_NS1_11comp_targetILNS1_3genE5ELNS1_11target_archE942ELNS1_3gpuE9ELNS1_3repE0EEENS1_30default_config_static_selectorELNS0_4arch9wavefront6targetE0EEEvT1_.uses_vcc, 0
	.set _ZN7rocprim17ROCPRIM_400000_NS6detail17trampoline_kernelINS0_14default_configENS1_25transform_config_selectorIiLb0EEEZNS1_14transform_implILb0ES3_S5_PiN6thrust23THRUST_200600_302600_NS10device_ptrIiEENS0_8identityIiEEEE10hipError_tT2_T3_mT4_P12ihipStream_tbEUlT_E_NS1_11comp_targetILNS1_3genE5ELNS1_11target_archE942ELNS1_3gpuE9ELNS1_3repE0EEENS1_30default_config_static_selectorELNS0_4arch9wavefront6targetE0EEEvT1_.uses_flat_scratch, 0
	.set _ZN7rocprim17ROCPRIM_400000_NS6detail17trampoline_kernelINS0_14default_configENS1_25transform_config_selectorIiLb0EEEZNS1_14transform_implILb0ES3_S5_PiN6thrust23THRUST_200600_302600_NS10device_ptrIiEENS0_8identityIiEEEE10hipError_tT2_T3_mT4_P12ihipStream_tbEUlT_E_NS1_11comp_targetILNS1_3genE5ELNS1_11target_archE942ELNS1_3gpuE9ELNS1_3repE0EEENS1_30default_config_static_selectorELNS0_4arch9wavefront6targetE0EEEvT1_.has_dyn_sized_stack, 0
	.set _ZN7rocprim17ROCPRIM_400000_NS6detail17trampoline_kernelINS0_14default_configENS1_25transform_config_selectorIiLb0EEEZNS1_14transform_implILb0ES3_S5_PiN6thrust23THRUST_200600_302600_NS10device_ptrIiEENS0_8identityIiEEEE10hipError_tT2_T3_mT4_P12ihipStream_tbEUlT_E_NS1_11comp_targetILNS1_3genE5ELNS1_11target_archE942ELNS1_3gpuE9ELNS1_3repE0EEENS1_30default_config_static_selectorELNS0_4arch9wavefront6targetE0EEEvT1_.has_recursion, 0
	.set _ZN7rocprim17ROCPRIM_400000_NS6detail17trampoline_kernelINS0_14default_configENS1_25transform_config_selectorIiLb0EEEZNS1_14transform_implILb0ES3_S5_PiN6thrust23THRUST_200600_302600_NS10device_ptrIiEENS0_8identityIiEEEE10hipError_tT2_T3_mT4_P12ihipStream_tbEUlT_E_NS1_11comp_targetILNS1_3genE5ELNS1_11target_archE942ELNS1_3gpuE9ELNS1_3repE0EEENS1_30default_config_static_selectorELNS0_4arch9wavefront6targetE0EEEvT1_.has_indirect_call, 0
	.section	.AMDGPU.csdata,"",@progbits
; Kernel info:
; codeLenInByte = 0
; TotalNumSgprs: 0
; NumVgprs: 0
; ScratchSize: 0
; MemoryBound: 0
; FloatMode: 240
; IeeeMode: 1
; LDSByteSize: 0 bytes/workgroup (compile time only)
; SGPRBlocks: 0
; VGPRBlocks: 0
; NumSGPRsForWavesPerEU: 1
; NumVGPRsForWavesPerEU: 1
; Occupancy: 16
; WaveLimiterHint : 0
; COMPUTE_PGM_RSRC2:SCRATCH_EN: 0
; COMPUTE_PGM_RSRC2:USER_SGPR: 6
; COMPUTE_PGM_RSRC2:TRAP_HANDLER: 0
; COMPUTE_PGM_RSRC2:TGID_X_EN: 1
; COMPUTE_PGM_RSRC2:TGID_Y_EN: 0
; COMPUTE_PGM_RSRC2:TGID_Z_EN: 0
; COMPUTE_PGM_RSRC2:TIDIG_COMP_CNT: 0
	.section	.text._ZN7rocprim17ROCPRIM_400000_NS6detail17trampoline_kernelINS0_14default_configENS1_25transform_config_selectorIiLb0EEEZNS1_14transform_implILb0ES3_S5_PiN6thrust23THRUST_200600_302600_NS10device_ptrIiEENS0_8identityIiEEEE10hipError_tT2_T3_mT4_P12ihipStream_tbEUlT_E_NS1_11comp_targetILNS1_3genE4ELNS1_11target_archE910ELNS1_3gpuE8ELNS1_3repE0EEENS1_30default_config_static_selectorELNS0_4arch9wavefront6targetE0EEEvT1_,"axG",@progbits,_ZN7rocprim17ROCPRIM_400000_NS6detail17trampoline_kernelINS0_14default_configENS1_25transform_config_selectorIiLb0EEEZNS1_14transform_implILb0ES3_S5_PiN6thrust23THRUST_200600_302600_NS10device_ptrIiEENS0_8identityIiEEEE10hipError_tT2_T3_mT4_P12ihipStream_tbEUlT_E_NS1_11comp_targetILNS1_3genE4ELNS1_11target_archE910ELNS1_3gpuE8ELNS1_3repE0EEENS1_30default_config_static_selectorELNS0_4arch9wavefront6targetE0EEEvT1_,comdat
	.protected	_ZN7rocprim17ROCPRIM_400000_NS6detail17trampoline_kernelINS0_14default_configENS1_25transform_config_selectorIiLb0EEEZNS1_14transform_implILb0ES3_S5_PiN6thrust23THRUST_200600_302600_NS10device_ptrIiEENS0_8identityIiEEEE10hipError_tT2_T3_mT4_P12ihipStream_tbEUlT_E_NS1_11comp_targetILNS1_3genE4ELNS1_11target_archE910ELNS1_3gpuE8ELNS1_3repE0EEENS1_30default_config_static_selectorELNS0_4arch9wavefront6targetE0EEEvT1_ ; -- Begin function _ZN7rocprim17ROCPRIM_400000_NS6detail17trampoline_kernelINS0_14default_configENS1_25transform_config_selectorIiLb0EEEZNS1_14transform_implILb0ES3_S5_PiN6thrust23THRUST_200600_302600_NS10device_ptrIiEENS0_8identityIiEEEE10hipError_tT2_T3_mT4_P12ihipStream_tbEUlT_E_NS1_11comp_targetILNS1_3genE4ELNS1_11target_archE910ELNS1_3gpuE8ELNS1_3repE0EEENS1_30default_config_static_selectorELNS0_4arch9wavefront6targetE0EEEvT1_
	.globl	_ZN7rocprim17ROCPRIM_400000_NS6detail17trampoline_kernelINS0_14default_configENS1_25transform_config_selectorIiLb0EEEZNS1_14transform_implILb0ES3_S5_PiN6thrust23THRUST_200600_302600_NS10device_ptrIiEENS0_8identityIiEEEE10hipError_tT2_T3_mT4_P12ihipStream_tbEUlT_E_NS1_11comp_targetILNS1_3genE4ELNS1_11target_archE910ELNS1_3gpuE8ELNS1_3repE0EEENS1_30default_config_static_selectorELNS0_4arch9wavefront6targetE0EEEvT1_
	.p2align	8
	.type	_ZN7rocprim17ROCPRIM_400000_NS6detail17trampoline_kernelINS0_14default_configENS1_25transform_config_selectorIiLb0EEEZNS1_14transform_implILb0ES3_S5_PiN6thrust23THRUST_200600_302600_NS10device_ptrIiEENS0_8identityIiEEEE10hipError_tT2_T3_mT4_P12ihipStream_tbEUlT_E_NS1_11comp_targetILNS1_3genE4ELNS1_11target_archE910ELNS1_3gpuE8ELNS1_3repE0EEENS1_30default_config_static_selectorELNS0_4arch9wavefront6targetE0EEEvT1_,@function
_ZN7rocprim17ROCPRIM_400000_NS6detail17trampoline_kernelINS0_14default_configENS1_25transform_config_selectorIiLb0EEEZNS1_14transform_implILb0ES3_S5_PiN6thrust23THRUST_200600_302600_NS10device_ptrIiEENS0_8identityIiEEEE10hipError_tT2_T3_mT4_P12ihipStream_tbEUlT_E_NS1_11comp_targetILNS1_3genE4ELNS1_11target_archE910ELNS1_3gpuE8ELNS1_3repE0EEENS1_30default_config_static_selectorELNS0_4arch9wavefront6targetE0EEEvT1_: ; @_ZN7rocprim17ROCPRIM_400000_NS6detail17trampoline_kernelINS0_14default_configENS1_25transform_config_selectorIiLb0EEEZNS1_14transform_implILb0ES3_S5_PiN6thrust23THRUST_200600_302600_NS10device_ptrIiEENS0_8identityIiEEEE10hipError_tT2_T3_mT4_P12ihipStream_tbEUlT_E_NS1_11comp_targetILNS1_3genE4ELNS1_11target_archE910ELNS1_3gpuE8ELNS1_3repE0EEENS1_30default_config_static_selectorELNS0_4arch9wavefront6targetE0EEEvT1_
; %bb.0:
	.section	.rodata,"a",@progbits
	.p2align	6, 0x0
	.amdhsa_kernel _ZN7rocprim17ROCPRIM_400000_NS6detail17trampoline_kernelINS0_14default_configENS1_25transform_config_selectorIiLb0EEEZNS1_14transform_implILb0ES3_S5_PiN6thrust23THRUST_200600_302600_NS10device_ptrIiEENS0_8identityIiEEEE10hipError_tT2_T3_mT4_P12ihipStream_tbEUlT_E_NS1_11comp_targetILNS1_3genE4ELNS1_11target_archE910ELNS1_3gpuE8ELNS1_3repE0EEENS1_30default_config_static_selectorELNS0_4arch9wavefront6targetE0EEEvT1_
		.amdhsa_group_segment_fixed_size 0
		.amdhsa_private_segment_fixed_size 0
		.amdhsa_kernarg_size 40
		.amdhsa_user_sgpr_count 6
		.amdhsa_user_sgpr_private_segment_buffer 1
		.amdhsa_user_sgpr_dispatch_ptr 0
		.amdhsa_user_sgpr_queue_ptr 0
		.amdhsa_user_sgpr_kernarg_segment_ptr 1
		.amdhsa_user_sgpr_dispatch_id 0
		.amdhsa_user_sgpr_flat_scratch_init 0
		.amdhsa_user_sgpr_private_segment_size 0
		.amdhsa_wavefront_size32 1
		.amdhsa_uses_dynamic_stack 0
		.amdhsa_system_sgpr_private_segment_wavefront_offset 0
		.amdhsa_system_sgpr_workgroup_id_x 1
		.amdhsa_system_sgpr_workgroup_id_y 0
		.amdhsa_system_sgpr_workgroup_id_z 0
		.amdhsa_system_sgpr_workgroup_info 0
		.amdhsa_system_vgpr_workitem_id 0
		.amdhsa_next_free_vgpr 1
		.amdhsa_next_free_sgpr 1
		.amdhsa_reserve_vcc 0
		.amdhsa_reserve_flat_scratch 0
		.amdhsa_float_round_mode_32 0
		.amdhsa_float_round_mode_16_64 0
		.amdhsa_float_denorm_mode_32 3
		.amdhsa_float_denorm_mode_16_64 3
		.amdhsa_dx10_clamp 1
		.amdhsa_ieee_mode 1
		.amdhsa_fp16_overflow 0
		.amdhsa_workgroup_processor_mode 1
		.amdhsa_memory_ordered 1
		.amdhsa_forward_progress 1
		.amdhsa_shared_vgpr_count 0
		.amdhsa_exception_fp_ieee_invalid_op 0
		.amdhsa_exception_fp_denorm_src 0
		.amdhsa_exception_fp_ieee_div_zero 0
		.amdhsa_exception_fp_ieee_overflow 0
		.amdhsa_exception_fp_ieee_underflow 0
		.amdhsa_exception_fp_ieee_inexact 0
		.amdhsa_exception_int_div_zero 0
	.end_amdhsa_kernel
	.section	.text._ZN7rocprim17ROCPRIM_400000_NS6detail17trampoline_kernelINS0_14default_configENS1_25transform_config_selectorIiLb0EEEZNS1_14transform_implILb0ES3_S5_PiN6thrust23THRUST_200600_302600_NS10device_ptrIiEENS0_8identityIiEEEE10hipError_tT2_T3_mT4_P12ihipStream_tbEUlT_E_NS1_11comp_targetILNS1_3genE4ELNS1_11target_archE910ELNS1_3gpuE8ELNS1_3repE0EEENS1_30default_config_static_selectorELNS0_4arch9wavefront6targetE0EEEvT1_,"axG",@progbits,_ZN7rocprim17ROCPRIM_400000_NS6detail17trampoline_kernelINS0_14default_configENS1_25transform_config_selectorIiLb0EEEZNS1_14transform_implILb0ES3_S5_PiN6thrust23THRUST_200600_302600_NS10device_ptrIiEENS0_8identityIiEEEE10hipError_tT2_T3_mT4_P12ihipStream_tbEUlT_E_NS1_11comp_targetILNS1_3genE4ELNS1_11target_archE910ELNS1_3gpuE8ELNS1_3repE0EEENS1_30default_config_static_selectorELNS0_4arch9wavefront6targetE0EEEvT1_,comdat
.Lfunc_end1162:
	.size	_ZN7rocprim17ROCPRIM_400000_NS6detail17trampoline_kernelINS0_14default_configENS1_25transform_config_selectorIiLb0EEEZNS1_14transform_implILb0ES3_S5_PiN6thrust23THRUST_200600_302600_NS10device_ptrIiEENS0_8identityIiEEEE10hipError_tT2_T3_mT4_P12ihipStream_tbEUlT_E_NS1_11comp_targetILNS1_3genE4ELNS1_11target_archE910ELNS1_3gpuE8ELNS1_3repE0EEENS1_30default_config_static_selectorELNS0_4arch9wavefront6targetE0EEEvT1_, .Lfunc_end1162-_ZN7rocprim17ROCPRIM_400000_NS6detail17trampoline_kernelINS0_14default_configENS1_25transform_config_selectorIiLb0EEEZNS1_14transform_implILb0ES3_S5_PiN6thrust23THRUST_200600_302600_NS10device_ptrIiEENS0_8identityIiEEEE10hipError_tT2_T3_mT4_P12ihipStream_tbEUlT_E_NS1_11comp_targetILNS1_3genE4ELNS1_11target_archE910ELNS1_3gpuE8ELNS1_3repE0EEENS1_30default_config_static_selectorELNS0_4arch9wavefront6targetE0EEEvT1_
                                        ; -- End function
	.set _ZN7rocprim17ROCPRIM_400000_NS6detail17trampoline_kernelINS0_14default_configENS1_25transform_config_selectorIiLb0EEEZNS1_14transform_implILb0ES3_S5_PiN6thrust23THRUST_200600_302600_NS10device_ptrIiEENS0_8identityIiEEEE10hipError_tT2_T3_mT4_P12ihipStream_tbEUlT_E_NS1_11comp_targetILNS1_3genE4ELNS1_11target_archE910ELNS1_3gpuE8ELNS1_3repE0EEENS1_30default_config_static_selectorELNS0_4arch9wavefront6targetE0EEEvT1_.num_vgpr, 0
	.set _ZN7rocprim17ROCPRIM_400000_NS6detail17trampoline_kernelINS0_14default_configENS1_25transform_config_selectorIiLb0EEEZNS1_14transform_implILb0ES3_S5_PiN6thrust23THRUST_200600_302600_NS10device_ptrIiEENS0_8identityIiEEEE10hipError_tT2_T3_mT4_P12ihipStream_tbEUlT_E_NS1_11comp_targetILNS1_3genE4ELNS1_11target_archE910ELNS1_3gpuE8ELNS1_3repE0EEENS1_30default_config_static_selectorELNS0_4arch9wavefront6targetE0EEEvT1_.num_agpr, 0
	.set _ZN7rocprim17ROCPRIM_400000_NS6detail17trampoline_kernelINS0_14default_configENS1_25transform_config_selectorIiLb0EEEZNS1_14transform_implILb0ES3_S5_PiN6thrust23THRUST_200600_302600_NS10device_ptrIiEENS0_8identityIiEEEE10hipError_tT2_T3_mT4_P12ihipStream_tbEUlT_E_NS1_11comp_targetILNS1_3genE4ELNS1_11target_archE910ELNS1_3gpuE8ELNS1_3repE0EEENS1_30default_config_static_selectorELNS0_4arch9wavefront6targetE0EEEvT1_.numbered_sgpr, 0
	.set _ZN7rocprim17ROCPRIM_400000_NS6detail17trampoline_kernelINS0_14default_configENS1_25transform_config_selectorIiLb0EEEZNS1_14transform_implILb0ES3_S5_PiN6thrust23THRUST_200600_302600_NS10device_ptrIiEENS0_8identityIiEEEE10hipError_tT2_T3_mT4_P12ihipStream_tbEUlT_E_NS1_11comp_targetILNS1_3genE4ELNS1_11target_archE910ELNS1_3gpuE8ELNS1_3repE0EEENS1_30default_config_static_selectorELNS0_4arch9wavefront6targetE0EEEvT1_.num_named_barrier, 0
	.set _ZN7rocprim17ROCPRIM_400000_NS6detail17trampoline_kernelINS0_14default_configENS1_25transform_config_selectorIiLb0EEEZNS1_14transform_implILb0ES3_S5_PiN6thrust23THRUST_200600_302600_NS10device_ptrIiEENS0_8identityIiEEEE10hipError_tT2_T3_mT4_P12ihipStream_tbEUlT_E_NS1_11comp_targetILNS1_3genE4ELNS1_11target_archE910ELNS1_3gpuE8ELNS1_3repE0EEENS1_30default_config_static_selectorELNS0_4arch9wavefront6targetE0EEEvT1_.private_seg_size, 0
	.set _ZN7rocprim17ROCPRIM_400000_NS6detail17trampoline_kernelINS0_14default_configENS1_25transform_config_selectorIiLb0EEEZNS1_14transform_implILb0ES3_S5_PiN6thrust23THRUST_200600_302600_NS10device_ptrIiEENS0_8identityIiEEEE10hipError_tT2_T3_mT4_P12ihipStream_tbEUlT_E_NS1_11comp_targetILNS1_3genE4ELNS1_11target_archE910ELNS1_3gpuE8ELNS1_3repE0EEENS1_30default_config_static_selectorELNS0_4arch9wavefront6targetE0EEEvT1_.uses_vcc, 0
	.set _ZN7rocprim17ROCPRIM_400000_NS6detail17trampoline_kernelINS0_14default_configENS1_25transform_config_selectorIiLb0EEEZNS1_14transform_implILb0ES3_S5_PiN6thrust23THRUST_200600_302600_NS10device_ptrIiEENS0_8identityIiEEEE10hipError_tT2_T3_mT4_P12ihipStream_tbEUlT_E_NS1_11comp_targetILNS1_3genE4ELNS1_11target_archE910ELNS1_3gpuE8ELNS1_3repE0EEENS1_30default_config_static_selectorELNS0_4arch9wavefront6targetE0EEEvT1_.uses_flat_scratch, 0
	.set _ZN7rocprim17ROCPRIM_400000_NS6detail17trampoline_kernelINS0_14default_configENS1_25transform_config_selectorIiLb0EEEZNS1_14transform_implILb0ES3_S5_PiN6thrust23THRUST_200600_302600_NS10device_ptrIiEENS0_8identityIiEEEE10hipError_tT2_T3_mT4_P12ihipStream_tbEUlT_E_NS1_11comp_targetILNS1_3genE4ELNS1_11target_archE910ELNS1_3gpuE8ELNS1_3repE0EEENS1_30default_config_static_selectorELNS0_4arch9wavefront6targetE0EEEvT1_.has_dyn_sized_stack, 0
	.set _ZN7rocprim17ROCPRIM_400000_NS6detail17trampoline_kernelINS0_14default_configENS1_25transform_config_selectorIiLb0EEEZNS1_14transform_implILb0ES3_S5_PiN6thrust23THRUST_200600_302600_NS10device_ptrIiEENS0_8identityIiEEEE10hipError_tT2_T3_mT4_P12ihipStream_tbEUlT_E_NS1_11comp_targetILNS1_3genE4ELNS1_11target_archE910ELNS1_3gpuE8ELNS1_3repE0EEENS1_30default_config_static_selectorELNS0_4arch9wavefront6targetE0EEEvT1_.has_recursion, 0
	.set _ZN7rocprim17ROCPRIM_400000_NS6detail17trampoline_kernelINS0_14default_configENS1_25transform_config_selectorIiLb0EEEZNS1_14transform_implILb0ES3_S5_PiN6thrust23THRUST_200600_302600_NS10device_ptrIiEENS0_8identityIiEEEE10hipError_tT2_T3_mT4_P12ihipStream_tbEUlT_E_NS1_11comp_targetILNS1_3genE4ELNS1_11target_archE910ELNS1_3gpuE8ELNS1_3repE0EEENS1_30default_config_static_selectorELNS0_4arch9wavefront6targetE0EEEvT1_.has_indirect_call, 0
	.section	.AMDGPU.csdata,"",@progbits
; Kernel info:
; codeLenInByte = 0
; TotalNumSgprs: 0
; NumVgprs: 0
; ScratchSize: 0
; MemoryBound: 0
; FloatMode: 240
; IeeeMode: 1
; LDSByteSize: 0 bytes/workgroup (compile time only)
; SGPRBlocks: 0
; VGPRBlocks: 0
; NumSGPRsForWavesPerEU: 1
; NumVGPRsForWavesPerEU: 1
; Occupancy: 16
; WaveLimiterHint : 0
; COMPUTE_PGM_RSRC2:SCRATCH_EN: 0
; COMPUTE_PGM_RSRC2:USER_SGPR: 6
; COMPUTE_PGM_RSRC2:TRAP_HANDLER: 0
; COMPUTE_PGM_RSRC2:TGID_X_EN: 1
; COMPUTE_PGM_RSRC2:TGID_Y_EN: 0
; COMPUTE_PGM_RSRC2:TGID_Z_EN: 0
; COMPUTE_PGM_RSRC2:TIDIG_COMP_CNT: 0
	.section	.text._ZN7rocprim17ROCPRIM_400000_NS6detail17trampoline_kernelINS0_14default_configENS1_25transform_config_selectorIiLb0EEEZNS1_14transform_implILb0ES3_S5_PiN6thrust23THRUST_200600_302600_NS10device_ptrIiEENS0_8identityIiEEEE10hipError_tT2_T3_mT4_P12ihipStream_tbEUlT_E_NS1_11comp_targetILNS1_3genE3ELNS1_11target_archE908ELNS1_3gpuE7ELNS1_3repE0EEENS1_30default_config_static_selectorELNS0_4arch9wavefront6targetE0EEEvT1_,"axG",@progbits,_ZN7rocprim17ROCPRIM_400000_NS6detail17trampoline_kernelINS0_14default_configENS1_25transform_config_selectorIiLb0EEEZNS1_14transform_implILb0ES3_S5_PiN6thrust23THRUST_200600_302600_NS10device_ptrIiEENS0_8identityIiEEEE10hipError_tT2_T3_mT4_P12ihipStream_tbEUlT_E_NS1_11comp_targetILNS1_3genE3ELNS1_11target_archE908ELNS1_3gpuE7ELNS1_3repE0EEENS1_30default_config_static_selectorELNS0_4arch9wavefront6targetE0EEEvT1_,comdat
	.protected	_ZN7rocprim17ROCPRIM_400000_NS6detail17trampoline_kernelINS0_14default_configENS1_25transform_config_selectorIiLb0EEEZNS1_14transform_implILb0ES3_S5_PiN6thrust23THRUST_200600_302600_NS10device_ptrIiEENS0_8identityIiEEEE10hipError_tT2_T3_mT4_P12ihipStream_tbEUlT_E_NS1_11comp_targetILNS1_3genE3ELNS1_11target_archE908ELNS1_3gpuE7ELNS1_3repE0EEENS1_30default_config_static_selectorELNS0_4arch9wavefront6targetE0EEEvT1_ ; -- Begin function _ZN7rocprim17ROCPRIM_400000_NS6detail17trampoline_kernelINS0_14default_configENS1_25transform_config_selectorIiLb0EEEZNS1_14transform_implILb0ES3_S5_PiN6thrust23THRUST_200600_302600_NS10device_ptrIiEENS0_8identityIiEEEE10hipError_tT2_T3_mT4_P12ihipStream_tbEUlT_E_NS1_11comp_targetILNS1_3genE3ELNS1_11target_archE908ELNS1_3gpuE7ELNS1_3repE0EEENS1_30default_config_static_selectorELNS0_4arch9wavefront6targetE0EEEvT1_
	.globl	_ZN7rocprim17ROCPRIM_400000_NS6detail17trampoline_kernelINS0_14default_configENS1_25transform_config_selectorIiLb0EEEZNS1_14transform_implILb0ES3_S5_PiN6thrust23THRUST_200600_302600_NS10device_ptrIiEENS0_8identityIiEEEE10hipError_tT2_T3_mT4_P12ihipStream_tbEUlT_E_NS1_11comp_targetILNS1_3genE3ELNS1_11target_archE908ELNS1_3gpuE7ELNS1_3repE0EEENS1_30default_config_static_selectorELNS0_4arch9wavefront6targetE0EEEvT1_
	.p2align	8
	.type	_ZN7rocprim17ROCPRIM_400000_NS6detail17trampoline_kernelINS0_14default_configENS1_25transform_config_selectorIiLb0EEEZNS1_14transform_implILb0ES3_S5_PiN6thrust23THRUST_200600_302600_NS10device_ptrIiEENS0_8identityIiEEEE10hipError_tT2_T3_mT4_P12ihipStream_tbEUlT_E_NS1_11comp_targetILNS1_3genE3ELNS1_11target_archE908ELNS1_3gpuE7ELNS1_3repE0EEENS1_30default_config_static_selectorELNS0_4arch9wavefront6targetE0EEEvT1_,@function
_ZN7rocprim17ROCPRIM_400000_NS6detail17trampoline_kernelINS0_14default_configENS1_25transform_config_selectorIiLb0EEEZNS1_14transform_implILb0ES3_S5_PiN6thrust23THRUST_200600_302600_NS10device_ptrIiEENS0_8identityIiEEEE10hipError_tT2_T3_mT4_P12ihipStream_tbEUlT_E_NS1_11comp_targetILNS1_3genE3ELNS1_11target_archE908ELNS1_3gpuE7ELNS1_3repE0EEENS1_30default_config_static_selectorELNS0_4arch9wavefront6targetE0EEEvT1_: ; @_ZN7rocprim17ROCPRIM_400000_NS6detail17trampoline_kernelINS0_14default_configENS1_25transform_config_selectorIiLb0EEEZNS1_14transform_implILb0ES3_S5_PiN6thrust23THRUST_200600_302600_NS10device_ptrIiEENS0_8identityIiEEEE10hipError_tT2_T3_mT4_P12ihipStream_tbEUlT_E_NS1_11comp_targetILNS1_3genE3ELNS1_11target_archE908ELNS1_3gpuE7ELNS1_3repE0EEENS1_30default_config_static_selectorELNS0_4arch9wavefront6targetE0EEEvT1_
; %bb.0:
	.section	.rodata,"a",@progbits
	.p2align	6, 0x0
	.amdhsa_kernel _ZN7rocprim17ROCPRIM_400000_NS6detail17trampoline_kernelINS0_14default_configENS1_25transform_config_selectorIiLb0EEEZNS1_14transform_implILb0ES3_S5_PiN6thrust23THRUST_200600_302600_NS10device_ptrIiEENS0_8identityIiEEEE10hipError_tT2_T3_mT4_P12ihipStream_tbEUlT_E_NS1_11comp_targetILNS1_3genE3ELNS1_11target_archE908ELNS1_3gpuE7ELNS1_3repE0EEENS1_30default_config_static_selectorELNS0_4arch9wavefront6targetE0EEEvT1_
		.amdhsa_group_segment_fixed_size 0
		.amdhsa_private_segment_fixed_size 0
		.amdhsa_kernarg_size 40
		.amdhsa_user_sgpr_count 6
		.amdhsa_user_sgpr_private_segment_buffer 1
		.amdhsa_user_sgpr_dispatch_ptr 0
		.amdhsa_user_sgpr_queue_ptr 0
		.amdhsa_user_sgpr_kernarg_segment_ptr 1
		.amdhsa_user_sgpr_dispatch_id 0
		.amdhsa_user_sgpr_flat_scratch_init 0
		.amdhsa_user_sgpr_private_segment_size 0
		.amdhsa_wavefront_size32 1
		.amdhsa_uses_dynamic_stack 0
		.amdhsa_system_sgpr_private_segment_wavefront_offset 0
		.amdhsa_system_sgpr_workgroup_id_x 1
		.amdhsa_system_sgpr_workgroup_id_y 0
		.amdhsa_system_sgpr_workgroup_id_z 0
		.amdhsa_system_sgpr_workgroup_info 0
		.amdhsa_system_vgpr_workitem_id 0
		.amdhsa_next_free_vgpr 1
		.amdhsa_next_free_sgpr 1
		.amdhsa_reserve_vcc 0
		.amdhsa_reserve_flat_scratch 0
		.amdhsa_float_round_mode_32 0
		.amdhsa_float_round_mode_16_64 0
		.amdhsa_float_denorm_mode_32 3
		.amdhsa_float_denorm_mode_16_64 3
		.amdhsa_dx10_clamp 1
		.amdhsa_ieee_mode 1
		.amdhsa_fp16_overflow 0
		.amdhsa_workgroup_processor_mode 1
		.amdhsa_memory_ordered 1
		.amdhsa_forward_progress 1
		.amdhsa_shared_vgpr_count 0
		.amdhsa_exception_fp_ieee_invalid_op 0
		.amdhsa_exception_fp_denorm_src 0
		.amdhsa_exception_fp_ieee_div_zero 0
		.amdhsa_exception_fp_ieee_overflow 0
		.amdhsa_exception_fp_ieee_underflow 0
		.amdhsa_exception_fp_ieee_inexact 0
		.amdhsa_exception_int_div_zero 0
	.end_amdhsa_kernel
	.section	.text._ZN7rocprim17ROCPRIM_400000_NS6detail17trampoline_kernelINS0_14default_configENS1_25transform_config_selectorIiLb0EEEZNS1_14transform_implILb0ES3_S5_PiN6thrust23THRUST_200600_302600_NS10device_ptrIiEENS0_8identityIiEEEE10hipError_tT2_T3_mT4_P12ihipStream_tbEUlT_E_NS1_11comp_targetILNS1_3genE3ELNS1_11target_archE908ELNS1_3gpuE7ELNS1_3repE0EEENS1_30default_config_static_selectorELNS0_4arch9wavefront6targetE0EEEvT1_,"axG",@progbits,_ZN7rocprim17ROCPRIM_400000_NS6detail17trampoline_kernelINS0_14default_configENS1_25transform_config_selectorIiLb0EEEZNS1_14transform_implILb0ES3_S5_PiN6thrust23THRUST_200600_302600_NS10device_ptrIiEENS0_8identityIiEEEE10hipError_tT2_T3_mT4_P12ihipStream_tbEUlT_E_NS1_11comp_targetILNS1_3genE3ELNS1_11target_archE908ELNS1_3gpuE7ELNS1_3repE0EEENS1_30default_config_static_selectorELNS0_4arch9wavefront6targetE0EEEvT1_,comdat
.Lfunc_end1163:
	.size	_ZN7rocprim17ROCPRIM_400000_NS6detail17trampoline_kernelINS0_14default_configENS1_25transform_config_selectorIiLb0EEEZNS1_14transform_implILb0ES3_S5_PiN6thrust23THRUST_200600_302600_NS10device_ptrIiEENS0_8identityIiEEEE10hipError_tT2_T3_mT4_P12ihipStream_tbEUlT_E_NS1_11comp_targetILNS1_3genE3ELNS1_11target_archE908ELNS1_3gpuE7ELNS1_3repE0EEENS1_30default_config_static_selectorELNS0_4arch9wavefront6targetE0EEEvT1_, .Lfunc_end1163-_ZN7rocprim17ROCPRIM_400000_NS6detail17trampoline_kernelINS0_14default_configENS1_25transform_config_selectorIiLb0EEEZNS1_14transform_implILb0ES3_S5_PiN6thrust23THRUST_200600_302600_NS10device_ptrIiEENS0_8identityIiEEEE10hipError_tT2_T3_mT4_P12ihipStream_tbEUlT_E_NS1_11comp_targetILNS1_3genE3ELNS1_11target_archE908ELNS1_3gpuE7ELNS1_3repE0EEENS1_30default_config_static_selectorELNS0_4arch9wavefront6targetE0EEEvT1_
                                        ; -- End function
	.set _ZN7rocprim17ROCPRIM_400000_NS6detail17trampoline_kernelINS0_14default_configENS1_25transform_config_selectorIiLb0EEEZNS1_14transform_implILb0ES3_S5_PiN6thrust23THRUST_200600_302600_NS10device_ptrIiEENS0_8identityIiEEEE10hipError_tT2_T3_mT4_P12ihipStream_tbEUlT_E_NS1_11comp_targetILNS1_3genE3ELNS1_11target_archE908ELNS1_3gpuE7ELNS1_3repE0EEENS1_30default_config_static_selectorELNS0_4arch9wavefront6targetE0EEEvT1_.num_vgpr, 0
	.set _ZN7rocprim17ROCPRIM_400000_NS6detail17trampoline_kernelINS0_14default_configENS1_25transform_config_selectorIiLb0EEEZNS1_14transform_implILb0ES3_S5_PiN6thrust23THRUST_200600_302600_NS10device_ptrIiEENS0_8identityIiEEEE10hipError_tT2_T3_mT4_P12ihipStream_tbEUlT_E_NS1_11comp_targetILNS1_3genE3ELNS1_11target_archE908ELNS1_3gpuE7ELNS1_3repE0EEENS1_30default_config_static_selectorELNS0_4arch9wavefront6targetE0EEEvT1_.num_agpr, 0
	.set _ZN7rocprim17ROCPRIM_400000_NS6detail17trampoline_kernelINS0_14default_configENS1_25transform_config_selectorIiLb0EEEZNS1_14transform_implILb0ES3_S5_PiN6thrust23THRUST_200600_302600_NS10device_ptrIiEENS0_8identityIiEEEE10hipError_tT2_T3_mT4_P12ihipStream_tbEUlT_E_NS1_11comp_targetILNS1_3genE3ELNS1_11target_archE908ELNS1_3gpuE7ELNS1_3repE0EEENS1_30default_config_static_selectorELNS0_4arch9wavefront6targetE0EEEvT1_.numbered_sgpr, 0
	.set _ZN7rocprim17ROCPRIM_400000_NS6detail17trampoline_kernelINS0_14default_configENS1_25transform_config_selectorIiLb0EEEZNS1_14transform_implILb0ES3_S5_PiN6thrust23THRUST_200600_302600_NS10device_ptrIiEENS0_8identityIiEEEE10hipError_tT2_T3_mT4_P12ihipStream_tbEUlT_E_NS1_11comp_targetILNS1_3genE3ELNS1_11target_archE908ELNS1_3gpuE7ELNS1_3repE0EEENS1_30default_config_static_selectorELNS0_4arch9wavefront6targetE0EEEvT1_.num_named_barrier, 0
	.set _ZN7rocprim17ROCPRIM_400000_NS6detail17trampoline_kernelINS0_14default_configENS1_25transform_config_selectorIiLb0EEEZNS1_14transform_implILb0ES3_S5_PiN6thrust23THRUST_200600_302600_NS10device_ptrIiEENS0_8identityIiEEEE10hipError_tT2_T3_mT4_P12ihipStream_tbEUlT_E_NS1_11comp_targetILNS1_3genE3ELNS1_11target_archE908ELNS1_3gpuE7ELNS1_3repE0EEENS1_30default_config_static_selectorELNS0_4arch9wavefront6targetE0EEEvT1_.private_seg_size, 0
	.set _ZN7rocprim17ROCPRIM_400000_NS6detail17trampoline_kernelINS0_14default_configENS1_25transform_config_selectorIiLb0EEEZNS1_14transform_implILb0ES3_S5_PiN6thrust23THRUST_200600_302600_NS10device_ptrIiEENS0_8identityIiEEEE10hipError_tT2_T3_mT4_P12ihipStream_tbEUlT_E_NS1_11comp_targetILNS1_3genE3ELNS1_11target_archE908ELNS1_3gpuE7ELNS1_3repE0EEENS1_30default_config_static_selectorELNS0_4arch9wavefront6targetE0EEEvT1_.uses_vcc, 0
	.set _ZN7rocprim17ROCPRIM_400000_NS6detail17trampoline_kernelINS0_14default_configENS1_25transform_config_selectorIiLb0EEEZNS1_14transform_implILb0ES3_S5_PiN6thrust23THRUST_200600_302600_NS10device_ptrIiEENS0_8identityIiEEEE10hipError_tT2_T3_mT4_P12ihipStream_tbEUlT_E_NS1_11comp_targetILNS1_3genE3ELNS1_11target_archE908ELNS1_3gpuE7ELNS1_3repE0EEENS1_30default_config_static_selectorELNS0_4arch9wavefront6targetE0EEEvT1_.uses_flat_scratch, 0
	.set _ZN7rocprim17ROCPRIM_400000_NS6detail17trampoline_kernelINS0_14default_configENS1_25transform_config_selectorIiLb0EEEZNS1_14transform_implILb0ES3_S5_PiN6thrust23THRUST_200600_302600_NS10device_ptrIiEENS0_8identityIiEEEE10hipError_tT2_T3_mT4_P12ihipStream_tbEUlT_E_NS1_11comp_targetILNS1_3genE3ELNS1_11target_archE908ELNS1_3gpuE7ELNS1_3repE0EEENS1_30default_config_static_selectorELNS0_4arch9wavefront6targetE0EEEvT1_.has_dyn_sized_stack, 0
	.set _ZN7rocprim17ROCPRIM_400000_NS6detail17trampoline_kernelINS0_14default_configENS1_25transform_config_selectorIiLb0EEEZNS1_14transform_implILb0ES3_S5_PiN6thrust23THRUST_200600_302600_NS10device_ptrIiEENS0_8identityIiEEEE10hipError_tT2_T3_mT4_P12ihipStream_tbEUlT_E_NS1_11comp_targetILNS1_3genE3ELNS1_11target_archE908ELNS1_3gpuE7ELNS1_3repE0EEENS1_30default_config_static_selectorELNS0_4arch9wavefront6targetE0EEEvT1_.has_recursion, 0
	.set _ZN7rocprim17ROCPRIM_400000_NS6detail17trampoline_kernelINS0_14default_configENS1_25transform_config_selectorIiLb0EEEZNS1_14transform_implILb0ES3_S5_PiN6thrust23THRUST_200600_302600_NS10device_ptrIiEENS0_8identityIiEEEE10hipError_tT2_T3_mT4_P12ihipStream_tbEUlT_E_NS1_11comp_targetILNS1_3genE3ELNS1_11target_archE908ELNS1_3gpuE7ELNS1_3repE0EEENS1_30default_config_static_selectorELNS0_4arch9wavefront6targetE0EEEvT1_.has_indirect_call, 0
	.section	.AMDGPU.csdata,"",@progbits
; Kernel info:
; codeLenInByte = 0
; TotalNumSgprs: 0
; NumVgprs: 0
; ScratchSize: 0
; MemoryBound: 0
; FloatMode: 240
; IeeeMode: 1
; LDSByteSize: 0 bytes/workgroup (compile time only)
; SGPRBlocks: 0
; VGPRBlocks: 0
; NumSGPRsForWavesPerEU: 1
; NumVGPRsForWavesPerEU: 1
; Occupancy: 16
; WaveLimiterHint : 0
; COMPUTE_PGM_RSRC2:SCRATCH_EN: 0
; COMPUTE_PGM_RSRC2:USER_SGPR: 6
; COMPUTE_PGM_RSRC2:TRAP_HANDLER: 0
; COMPUTE_PGM_RSRC2:TGID_X_EN: 1
; COMPUTE_PGM_RSRC2:TGID_Y_EN: 0
; COMPUTE_PGM_RSRC2:TGID_Z_EN: 0
; COMPUTE_PGM_RSRC2:TIDIG_COMP_CNT: 0
	.section	.text._ZN7rocprim17ROCPRIM_400000_NS6detail17trampoline_kernelINS0_14default_configENS1_25transform_config_selectorIiLb0EEEZNS1_14transform_implILb0ES3_S5_PiN6thrust23THRUST_200600_302600_NS10device_ptrIiEENS0_8identityIiEEEE10hipError_tT2_T3_mT4_P12ihipStream_tbEUlT_E_NS1_11comp_targetILNS1_3genE2ELNS1_11target_archE906ELNS1_3gpuE6ELNS1_3repE0EEENS1_30default_config_static_selectorELNS0_4arch9wavefront6targetE0EEEvT1_,"axG",@progbits,_ZN7rocprim17ROCPRIM_400000_NS6detail17trampoline_kernelINS0_14default_configENS1_25transform_config_selectorIiLb0EEEZNS1_14transform_implILb0ES3_S5_PiN6thrust23THRUST_200600_302600_NS10device_ptrIiEENS0_8identityIiEEEE10hipError_tT2_T3_mT4_P12ihipStream_tbEUlT_E_NS1_11comp_targetILNS1_3genE2ELNS1_11target_archE906ELNS1_3gpuE6ELNS1_3repE0EEENS1_30default_config_static_selectorELNS0_4arch9wavefront6targetE0EEEvT1_,comdat
	.protected	_ZN7rocprim17ROCPRIM_400000_NS6detail17trampoline_kernelINS0_14default_configENS1_25transform_config_selectorIiLb0EEEZNS1_14transform_implILb0ES3_S5_PiN6thrust23THRUST_200600_302600_NS10device_ptrIiEENS0_8identityIiEEEE10hipError_tT2_T3_mT4_P12ihipStream_tbEUlT_E_NS1_11comp_targetILNS1_3genE2ELNS1_11target_archE906ELNS1_3gpuE6ELNS1_3repE0EEENS1_30default_config_static_selectorELNS0_4arch9wavefront6targetE0EEEvT1_ ; -- Begin function _ZN7rocprim17ROCPRIM_400000_NS6detail17trampoline_kernelINS0_14default_configENS1_25transform_config_selectorIiLb0EEEZNS1_14transform_implILb0ES3_S5_PiN6thrust23THRUST_200600_302600_NS10device_ptrIiEENS0_8identityIiEEEE10hipError_tT2_T3_mT4_P12ihipStream_tbEUlT_E_NS1_11comp_targetILNS1_3genE2ELNS1_11target_archE906ELNS1_3gpuE6ELNS1_3repE0EEENS1_30default_config_static_selectorELNS0_4arch9wavefront6targetE0EEEvT1_
	.globl	_ZN7rocprim17ROCPRIM_400000_NS6detail17trampoline_kernelINS0_14default_configENS1_25transform_config_selectorIiLb0EEEZNS1_14transform_implILb0ES3_S5_PiN6thrust23THRUST_200600_302600_NS10device_ptrIiEENS0_8identityIiEEEE10hipError_tT2_T3_mT4_P12ihipStream_tbEUlT_E_NS1_11comp_targetILNS1_3genE2ELNS1_11target_archE906ELNS1_3gpuE6ELNS1_3repE0EEENS1_30default_config_static_selectorELNS0_4arch9wavefront6targetE0EEEvT1_
	.p2align	8
	.type	_ZN7rocprim17ROCPRIM_400000_NS6detail17trampoline_kernelINS0_14default_configENS1_25transform_config_selectorIiLb0EEEZNS1_14transform_implILb0ES3_S5_PiN6thrust23THRUST_200600_302600_NS10device_ptrIiEENS0_8identityIiEEEE10hipError_tT2_T3_mT4_P12ihipStream_tbEUlT_E_NS1_11comp_targetILNS1_3genE2ELNS1_11target_archE906ELNS1_3gpuE6ELNS1_3repE0EEENS1_30default_config_static_selectorELNS0_4arch9wavefront6targetE0EEEvT1_,@function
_ZN7rocprim17ROCPRIM_400000_NS6detail17trampoline_kernelINS0_14default_configENS1_25transform_config_selectorIiLb0EEEZNS1_14transform_implILb0ES3_S5_PiN6thrust23THRUST_200600_302600_NS10device_ptrIiEENS0_8identityIiEEEE10hipError_tT2_T3_mT4_P12ihipStream_tbEUlT_E_NS1_11comp_targetILNS1_3genE2ELNS1_11target_archE906ELNS1_3gpuE6ELNS1_3repE0EEENS1_30default_config_static_selectorELNS0_4arch9wavefront6targetE0EEEvT1_: ; @_ZN7rocprim17ROCPRIM_400000_NS6detail17trampoline_kernelINS0_14default_configENS1_25transform_config_selectorIiLb0EEEZNS1_14transform_implILb0ES3_S5_PiN6thrust23THRUST_200600_302600_NS10device_ptrIiEENS0_8identityIiEEEE10hipError_tT2_T3_mT4_P12ihipStream_tbEUlT_E_NS1_11comp_targetILNS1_3genE2ELNS1_11target_archE906ELNS1_3gpuE6ELNS1_3repE0EEENS1_30default_config_static_selectorELNS0_4arch9wavefront6targetE0EEEvT1_
; %bb.0:
	.section	.rodata,"a",@progbits
	.p2align	6, 0x0
	.amdhsa_kernel _ZN7rocprim17ROCPRIM_400000_NS6detail17trampoline_kernelINS0_14default_configENS1_25transform_config_selectorIiLb0EEEZNS1_14transform_implILb0ES3_S5_PiN6thrust23THRUST_200600_302600_NS10device_ptrIiEENS0_8identityIiEEEE10hipError_tT2_T3_mT4_P12ihipStream_tbEUlT_E_NS1_11comp_targetILNS1_3genE2ELNS1_11target_archE906ELNS1_3gpuE6ELNS1_3repE0EEENS1_30default_config_static_selectorELNS0_4arch9wavefront6targetE0EEEvT1_
		.amdhsa_group_segment_fixed_size 0
		.amdhsa_private_segment_fixed_size 0
		.amdhsa_kernarg_size 40
		.amdhsa_user_sgpr_count 6
		.amdhsa_user_sgpr_private_segment_buffer 1
		.amdhsa_user_sgpr_dispatch_ptr 0
		.amdhsa_user_sgpr_queue_ptr 0
		.amdhsa_user_sgpr_kernarg_segment_ptr 1
		.amdhsa_user_sgpr_dispatch_id 0
		.amdhsa_user_sgpr_flat_scratch_init 0
		.amdhsa_user_sgpr_private_segment_size 0
		.amdhsa_wavefront_size32 1
		.amdhsa_uses_dynamic_stack 0
		.amdhsa_system_sgpr_private_segment_wavefront_offset 0
		.amdhsa_system_sgpr_workgroup_id_x 1
		.amdhsa_system_sgpr_workgroup_id_y 0
		.amdhsa_system_sgpr_workgroup_id_z 0
		.amdhsa_system_sgpr_workgroup_info 0
		.amdhsa_system_vgpr_workitem_id 0
		.amdhsa_next_free_vgpr 1
		.amdhsa_next_free_sgpr 1
		.amdhsa_reserve_vcc 0
		.amdhsa_reserve_flat_scratch 0
		.amdhsa_float_round_mode_32 0
		.amdhsa_float_round_mode_16_64 0
		.amdhsa_float_denorm_mode_32 3
		.amdhsa_float_denorm_mode_16_64 3
		.amdhsa_dx10_clamp 1
		.amdhsa_ieee_mode 1
		.amdhsa_fp16_overflow 0
		.amdhsa_workgroup_processor_mode 1
		.amdhsa_memory_ordered 1
		.amdhsa_forward_progress 1
		.amdhsa_shared_vgpr_count 0
		.amdhsa_exception_fp_ieee_invalid_op 0
		.amdhsa_exception_fp_denorm_src 0
		.amdhsa_exception_fp_ieee_div_zero 0
		.amdhsa_exception_fp_ieee_overflow 0
		.amdhsa_exception_fp_ieee_underflow 0
		.amdhsa_exception_fp_ieee_inexact 0
		.amdhsa_exception_int_div_zero 0
	.end_amdhsa_kernel
	.section	.text._ZN7rocprim17ROCPRIM_400000_NS6detail17trampoline_kernelINS0_14default_configENS1_25transform_config_selectorIiLb0EEEZNS1_14transform_implILb0ES3_S5_PiN6thrust23THRUST_200600_302600_NS10device_ptrIiEENS0_8identityIiEEEE10hipError_tT2_T3_mT4_P12ihipStream_tbEUlT_E_NS1_11comp_targetILNS1_3genE2ELNS1_11target_archE906ELNS1_3gpuE6ELNS1_3repE0EEENS1_30default_config_static_selectorELNS0_4arch9wavefront6targetE0EEEvT1_,"axG",@progbits,_ZN7rocprim17ROCPRIM_400000_NS6detail17trampoline_kernelINS0_14default_configENS1_25transform_config_selectorIiLb0EEEZNS1_14transform_implILb0ES3_S5_PiN6thrust23THRUST_200600_302600_NS10device_ptrIiEENS0_8identityIiEEEE10hipError_tT2_T3_mT4_P12ihipStream_tbEUlT_E_NS1_11comp_targetILNS1_3genE2ELNS1_11target_archE906ELNS1_3gpuE6ELNS1_3repE0EEENS1_30default_config_static_selectorELNS0_4arch9wavefront6targetE0EEEvT1_,comdat
.Lfunc_end1164:
	.size	_ZN7rocprim17ROCPRIM_400000_NS6detail17trampoline_kernelINS0_14default_configENS1_25transform_config_selectorIiLb0EEEZNS1_14transform_implILb0ES3_S5_PiN6thrust23THRUST_200600_302600_NS10device_ptrIiEENS0_8identityIiEEEE10hipError_tT2_T3_mT4_P12ihipStream_tbEUlT_E_NS1_11comp_targetILNS1_3genE2ELNS1_11target_archE906ELNS1_3gpuE6ELNS1_3repE0EEENS1_30default_config_static_selectorELNS0_4arch9wavefront6targetE0EEEvT1_, .Lfunc_end1164-_ZN7rocprim17ROCPRIM_400000_NS6detail17trampoline_kernelINS0_14default_configENS1_25transform_config_selectorIiLb0EEEZNS1_14transform_implILb0ES3_S5_PiN6thrust23THRUST_200600_302600_NS10device_ptrIiEENS0_8identityIiEEEE10hipError_tT2_T3_mT4_P12ihipStream_tbEUlT_E_NS1_11comp_targetILNS1_3genE2ELNS1_11target_archE906ELNS1_3gpuE6ELNS1_3repE0EEENS1_30default_config_static_selectorELNS0_4arch9wavefront6targetE0EEEvT1_
                                        ; -- End function
	.set _ZN7rocprim17ROCPRIM_400000_NS6detail17trampoline_kernelINS0_14default_configENS1_25transform_config_selectorIiLb0EEEZNS1_14transform_implILb0ES3_S5_PiN6thrust23THRUST_200600_302600_NS10device_ptrIiEENS0_8identityIiEEEE10hipError_tT2_T3_mT4_P12ihipStream_tbEUlT_E_NS1_11comp_targetILNS1_3genE2ELNS1_11target_archE906ELNS1_3gpuE6ELNS1_3repE0EEENS1_30default_config_static_selectorELNS0_4arch9wavefront6targetE0EEEvT1_.num_vgpr, 0
	.set _ZN7rocprim17ROCPRIM_400000_NS6detail17trampoline_kernelINS0_14default_configENS1_25transform_config_selectorIiLb0EEEZNS1_14transform_implILb0ES3_S5_PiN6thrust23THRUST_200600_302600_NS10device_ptrIiEENS0_8identityIiEEEE10hipError_tT2_T3_mT4_P12ihipStream_tbEUlT_E_NS1_11comp_targetILNS1_3genE2ELNS1_11target_archE906ELNS1_3gpuE6ELNS1_3repE0EEENS1_30default_config_static_selectorELNS0_4arch9wavefront6targetE0EEEvT1_.num_agpr, 0
	.set _ZN7rocprim17ROCPRIM_400000_NS6detail17trampoline_kernelINS0_14default_configENS1_25transform_config_selectorIiLb0EEEZNS1_14transform_implILb0ES3_S5_PiN6thrust23THRUST_200600_302600_NS10device_ptrIiEENS0_8identityIiEEEE10hipError_tT2_T3_mT4_P12ihipStream_tbEUlT_E_NS1_11comp_targetILNS1_3genE2ELNS1_11target_archE906ELNS1_3gpuE6ELNS1_3repE0EEENS1_30default_config_static_selectorELNS0_4arch9wavefront6targetE0EEEvT1_.numbered_sgpr, 0
	.set _ZN7rocprim17ROCPRIM_400000_NS6detail17trampoline_kernelINS0_14default_configENS1_25transform_config_selectorIiLb0EEEZNS1_14transform_implILb0ES3_S5_PiN6thrust23THRUST_200600_302600_NS10device_ptrIiEENS0_8identityIiEEEE10hipError_tT2_T3_mT4_P12ihipStream_tbEUlT_E_NS1_11comp_targetILNS1_3genE2ELNS1_11target_archE906ELNS1_3gpuE6ELNS1_3repE0EEENS1_30default_config_static_selectorELNS0_4arch9wavefront6targetE0EEEvT1_.num_named_barrier, 0
	.set _ZN7rocprim17ROCPRIM_400000_NS6detail17trampoline_kernelINS0_14default_configENS1_25transform_config_selectorIiLb0EEEZNS1_14transform_implILb0ES3_S5_PiN6thrust23THRUST_200600_302600_NS10device_ptrIiEENS0_8identityIiEEEE10hipError_tT2_T3_mT4_P12ihipStream_tbEUlT_E_NS1_11comp_targetILNS1_3genE2ELNS1_11target_archE906ELNS1_3gpuE6ELNS1_3repE0EEENS1_30default_config_static_selectorELNS0_4arch9wavefront6targetE0EEEvT1_.private_seg_size, 0
	.set _ZN7rocprim17ROCPRIM_400000_NS6detail17trampoline_kernelINS0_14default_configENS1_25transform_config_selectorIiLb0EEEZNS1_14transform_implILb0ES3_S5_PiN6thrust23THRUST_200600_302600_NS10device_ptrIiEENS0_8identityIiEEEE10hipError_tT2_T3_mT4_P12ihipStream_tbEUlT_E_NS1_11comp_targetILNS1_3genE2ELNS1_11target_archE906ELNS1_3gpuE6ELNS1_3repE0EEENS1_30default_config_static_selectorELNS0_4arch9wavefront6targetE0EEEvT1_.uses_vcc, 0
	.set _ZN7rocprim17ROCPRIM_400000_NS6detail17trampoline_kernelINS0_14default_configENS1_25transform_config_selectorIiLb0EEEZNS1_14transform_implILb0ES3_S5_PiN6thrust23THRUST_200600_302600_NS10device_ptrIiEENS0_8identityIiEEEE10hipError_tT2_T3_mT4_P12ihipStream_tbEUlT_E_NS1_11comp_targetILNS1_3genE2ELNS1_11target_archE906ELNS1_3gpuE6ELNS1_3repE0EEENS1_30default_config_static_selectorELNS0_4arch9wavefront6targetE0EEEvT1_.uses_flat_scratch, 0
	.set _ZN7rocprim17ROCPRIM_400000_NS6detail17trampoline_kernelINS0_14default_configENS1_25transform_config_selectorIiLb0EEEZNS1_14transform_implILb0ES3_S5_PiN6thrust23THRUST_200600_302600_NS10device_ptrIiEENS0_8identityIiEEEE10hipError_tT2_T3_mT4_P12ihipStream_tbEUlT_E_NS1_11comp_targetILNS1_3genE2ELNS1_11target_archE906ELNS1_3gpuE6ELNS1_3repE0EEENS1_30default_config_static_selectorELNS0_4arch9wavefront6targetE0EEEvT1_.has_dyn_sized_stack, 0
	.set _ZN7rocprim17ROCPRIM_400000_NS6detail17trampoline_kernelINS0_14default_configENS1_25transform_config_selectorIiLb0EEEZNS1_14transform_implILb0ES3_S5_PiN6thrust23THRUST_200600_302600_NS10device_ptrIiEENS0_8identityIiEEEE10hipError_tT2_T3_mT4_P12ihipStream_tbEUlT_E_NS1_11comp_targetILNS1_3genE2ELNS1_11target_archE906ELNS1_3gpuE6ELNS1_3repE0EEENS1_30default_config_static_selectorELNS0_4arch9wavefront6targetE0EEEvT1_.has_recursion, 0
	.set _ZN7rocprim17ROCPRIM_400000_NS6detail17trampoline_kernelINS0_14default_configENS1_25transform_config_selectorIiLb0EEEZNS1_14transform_implILb0ES3_S5_PiN6thrust23THRUST_200600_302600_NS10device_ptrIiEENS0_8identityIiEEEE10hipError_tT2_T3_mT4_P12ihipStream_tbEUlT_E_NS1_11comp_targetILNS1_3genE2ELNS1_11target_archE906ELNS1_3gpuE6ELNS1_3repE0EEENS1_30default_config_static_selectorELNS0_4arch9wavefront6targetE0EEEvT1_.has_indirect_call, 0
	.section	.AMDGPU.csdata,"",@progbits
; Kernel info:
; codeLenInByte = 0
; TotalNumSgprs: 0
; NumVgprs: 0
; ScratchSize: 0
; MemoryBound: 0
; FloatMode: 240
; IeeeMode: 1
; LDSByteSize: 0 bytes/workgroup (compile time only)
; SGPRBlocks: 0
; VGPRBlocks: 0
; NumSGPRsForWavesPerEU: 1
; NumVGPRsForWavesPerEU: 1
; Occupancy: 16
; WaveLimiterHint : 0
; COMPUTE_PGM_RSRC2:SCRATCH_EN: 0
; COMPUTE_PGM_RSRC2:USER_SGPR: 6
; COMPUTE_PGM_RSRC2:TRAP_HANDLER: 0
; COMPUTE_PGM_RSRC2:TGID_X_EN: 1
; COMPUTE_PGM_RSRC2:TGID_Y_EN: 0
; COMPUTE_PGM_RSRC2:TGID_Z_EN: 0
; COMPUTE_PGM_RSRC2:TIDIG_COMP_CNT: 0
	.section	.text._ZN7rocprim17ROCPRIM_400000_NS6detail17trampoline_kernelINS0_14default_configENS1_25transform_config_selectorIiLb0EEEZNS1_14transform_implILb0ES3_S5_PiN6thrust23THRUST_200600_302600_NS10device_ptrIiEENS0_8identityIiEEEE10hipError_tT2_T3_mT4_P12ihipStream_tbEUlT_E_NS1_11comp_targetILNS1_3genE10ELNS1_11target_archE1201ELNS1_3gpuE5ELNS1_3repE0EEENS1_30default_config_static_selectorELNS0_4arch9wavefront6targetE0EEEvT1_,"axG",@progbits,_ZN7rocprim17ROCPRIM_400000_NS6detail17trampoline_kernelINS0_14default_configENS1_25transform_config_selectorIiLb0EEEZNS1_14transform_implILb0ES3_S5_PiN6thrust23THRUST_200600_302600_NS10device_ptrIiEENS0_8identityIiEEEE10hipError_tT2_T3_mT4_P12ihipStream_tbEUlT_E_NS1_11comp_targetILNS1_3genE10ELNS1_11target_archE1201ELNS1_3gpuE5ELNS1_3repE0EEENS1_30default_config_static_selectorELNS0_4arch9wavefront6targetE0EEEvT1_,comdat
	.protected	_ZN7rocprim17ROCPRIM_400000_NS6detail17trampoline_kernelINS0_14default_configENS1_25transform_config_selectorIiLb0EEEZNS1_14transform_implILb0ES3_S5_PiN6thrust23THRUST_200600_302600_NS10device_ptrIiEENS0_8identityIiEEEE10hipError_tT2_T3_mT4_P12ihipStream_tbEUlT_E_NS1_11comp_targetILNS1_3genE10ELNS1_11target_archE1201ELNS1_3gpuE5ELNS1_3repE0EEENS1_30default_config_static_selectorELNS0_4arch9wavefront6targetE0EEEvT1_ ; -- Begin function _ZN7rocprim17ROCPRIM_400000_NS6detail17trampoline_kernelINS0_14default_configENS1_25transform_config_selectorIiLb0EEEZNS1_14transform_implILb0ES3_S5_PiN6thrust23THRUST_200600_302600_NS10device_ptrIiEENS0_8identityIiEEEE10hipError_tT2_T3_mT4_P12ihipStream_tbEUlT_E_NS1_11comp_targetILNS1_3genE10ELNS1_11target_archE1201ELNS1_3gpuE5ELNS1_3repE0EEENS1_30default_config_static_selectorELNS0_4arch9wavefront6targetE0EEEvT1_
	.globl	_ZN7rocprim17ROCPRIM_400000_NS6detail17trampoline_kernelINS0_14default_configENS1_25transform_config_selectorIiLb0EEEZNS1_14transform_implILb0ES3_S5_PiN6thrust23THRUST_200600_302600_NS10device_ptrIiEENS0_8identityIiEEEE10hipError_tT2_T3_mT4_P12ihipStream_tbEUlT_E_NS1_11comp_targetILNS1_3genE10ELNS1_11target_archE1201ELNS1_3gpuE5ELNS1_3repE0EEENS1_30default_config_static_selectorELNS0_4arch9wavefront6targetE0EEEvT1_
	.p2align	8
	.type	_ZN7rocprim17ROCPRIM_400000_NS6detail17trampoline_kernelINS0_14default_configENS1_25transform_config_selectorIiLb0EEEZNS1_14transform_implILb0ES3_S5_PiN6thrust23THRUST_200600_302600_NS10device_ptrIiEENS0_8identityIiEEEE10hipError_tT2_T3_mT4_P12ihipStream_tbEUlT_E_NS1_11comp_targetILNS1_3genE10ELNS1_11target_archE1201ELNS1_3gpuE5ELNS1_3repE0EEENS1_30default_config_static_selectorELNS0_4arch9wavefront6targetE0EEEvT1_,@function
_ZN7rocprim17ROCPRIM_400000_NS6detail17trampoline_kernelINS0_14default_configENS1_25transform_config_selectorIiLb0EEEZNS1_14transform_implILb0ES3_S5_PiN6thrust23THRUST_200600_302600_NS10device_ptrIiEENS0_8identityIiEEEE10hipError_tT2_T3_mT4_P12ihipStream_tbEUlT_E_NS1_11comp_targetILNS1_3genE10ELNS1_11target_archE1201ELNS1_3gpuE5ELNS1_3repE0EEENS1_30default_config_static_selectorELNS0_4arch9wavefront6targetE0EEEvT1_: ; @_ZN7rocprim17ROCPRIM_400000_NS6detail17trampoline_kernelINS0_14default_configENS1_25transform_config_selectorIiLb0EEEZNS1_14transform_implILb0ES3_S5_PiN6thrust23THRUST_200600_302600_NS10device_ptrIiEENS0_8identityIiEEEE10hipError_tT2_T3_mT4_P12ihipStream_tbEUlT_E_NS1_11comp_targetILNS1_3genE10ELNS1_11target_archE1201ELNS1_3gpuE5ELNS1_3repE0EEENS1_30default_config_static_selectorELNS0_4arch9wavefront6targetE0EEEvT1_
; %bb.0:
	.section	.rodata,"a",@progbits
	.p2align	6, 0x0
	.amdhsa_kernel _ZN7rocprim17ROCPRIM_400000_NS6detail17trampoline_kernelINS0_14default_configENS1_25transform_config_selectorIiLb0EEEZNS1_14transform_implILb0ES3_S5_PiN6thrust23THRUST_200600_302600_NS10device_ptrIiEENS0_8identityIiEEEE10hipError_tT2_T3_mT4_P12ihipStream_tbEUlT_E_NS1_11comp_targetILNS1_3genE10ELNS1_11target_archE1201ELNS1_3gpuE5ELNS1_3repE0EEENS1_30default_config_static_selectorELNS0_4arch9wavefront6targetE0EEEvT1_
		.amdhsa_group_segment_fixed_size 0
		.amdhsa_private_segment_fixed_size 0
		.amdhsa_kernarg_size 40
		.amdhsa_user_sgpr_count 6
		.amdhsa_user_sgpr_private_segment_buffer 1
		.amdhsa_user_sgpr_dispatch_ptr 0
		.amdhsa_user_sgpr_queue_ptr 0
		.amdhsa_user_sgpr_kernarg_segment_ptr 1
		.amdhsa_user_sgpr_dispatch_id 0
		.amdhsa_user_sgpr_flat_scratch_init 0
		.amdhsa_user_sgpr_private_segment_size 0
		.amdhsa_wavefront_size32 1
		.amdhsa_uses_dynamic_stack 0
		.amdhsa_system_sgpr_private_segment_wavefront_offset 0
		.amdhsa_system_sgpr_workgroup_id_x 1
		.amdhsa_system_sgpr_workgroup_id_y 0
		.amdhsa_system_sgpr_workgroup_id_z 0
		.amdhsa_system_sgpr_workgroup_info 0
		.amdhsa_system_vgpr_workitem_id 0
		.amdhsa_next_free_vgpr 1
		.amdhsa_next_free_sgpr 1
		.amdhsa_reserve_vcc 0
		.amdhsa_reserve_flat_scratch 0
		.amdhsa_float_round_mode_32 0
		.amdhsa_float_round_mode_16_64 0
		.amdhsa_float_denorm_mode_32 3
		.amdhsa_float_denorm_mode_16_64 3
		.amdhsa_dx10_clamp 1
		.amdhsa_ieee_mode 1
		.amdhsa_fp16_overflow 0
		.amdhsa_workgroup_processor_mode 1
		.amdhsa_memory_ordered 1
		.amdhsa_forward_progress 1
		.amdhsa_shared_vgpr_count 0
		.amdhsa_exception_fp_ieee_invalid_op 0
		.amdhsa_exception_fp_denorm_src 0
		.amdhsa_exception_fp_ieee_div_zero 0
		.amdhsa_exception_fp_ieee_overflow 0
		.amdhsa_exception_fp_ieee_underflow 0
		.amdhsa_exception_fp_ieee_inexact 0
		.amdhsa_exception_int_div_zero 0
	.end_amdhsa_kernel
	.section	.text._ZN7rocprim17ROCPRIM_400000_NS6detail17trampoline_kernelINS0_14default_configENS1_25transform_config_selectorIiLb0EEEZNS1_14transform_implILb0ES3_S5_PiN6thrust23THRUST_200600_302600_NS10device_ptrIiEENS0_8identityIiEEEE10hipError_tT2_T3_mT4_P12ihipStream_tbEUlT_E_NS1_11comp_targetILNS1_3genE10ELNS1_11target_archE1201ELNS1_3gpuE5ELNS1_3repE0EEENS1_30default_config_static_selectorELNS0_4arch9wavefront6targetE0EEEvT1_,"axG",@progbits,_ZN7rocprim17ROCPRIM_400000_NS6detail17trampoline_kernelINS0_14default_configENS1_25transform_config_selectorIiLb0EEEZNS1_14transform_implILb0ES3_S5_PiN6thrust23THRUST_200600_302600_NS10device_ptrIiEENS0_8identityIiEEEE10hipError_tT2_T3_mT4_P12ihipStream_tbEUlT_E_NS1_11comp_targetILNS1_3genE10ELNS1_11target_archE1201ELNS1_3gpuE5ELNS1_3repE0EEENS1_30default_config_static_selectorELNS0_4arch9wavefront6targetE0EEEvT1_,comdat
.Lfunc_end1165:
	.size	_ZN7rocprim17ROCPRIM_400000_NS6detail17trampoline_kernelINS0_14default_configENS1_25transform_config_selectorIiLb0EEEZNS1_14transform_implILb0ES3_S5_PiN6thrust23THRUST_200600_302600_NS10device_ptrIiEENS0_8identityIiEEEE10hipError_tT2_T3_mT4_P12ihipStream_tbEUlT_E_NS1_11comp_targetILNS1_3genE10ELNS1_11target_archE1201ELNS1_3gpuE5ELNS1_3repE0EEENS1_30default_config_static_selectorELNS0_4arch9wavefront6targetE0EEEvT1_, .Lfunc_end1165-_ZN7rocprim17ROCPRIM_400000_NS6detail17trampoline_kernelINS0_14default_configENS1_25transform_config_selectorIiLb0EEEZNS1_14transform_implILb0ES3_S5_PiN6thrust23THRUST_200600_302600_NS10device_ptrIiEENS0_8identityIiEEEE10hipError_tT2_T3_mT4_P12ihipStream_tbEUlT_E_NS1_11comp_targetILNS1_3genE10ELNS1_11target_archE1201ELNS1_3gpuE5ELNS1_3repE0EEENS1_30default_config_static_selectorELNS0_4arch9wavefront6targetE0EEEvT1_
                                        ; -- End function
	.set _ZN7rocprim17ROCPRIM_400000_NS6detail17trampoline_kernelINS0_14default_configENS1_25transform_config_selectorIiLb0EEEZNS1_14transform_implILb0ES3_S5_PiN6thrust23THRUST_200600_302600_NS10device_ptrIiEENS0_8identityIiEEEE10hipError_tT2_T3_mT4_P12ihipStream_tbEUlT_E_NS1_11comp_targetILNS1_3genE10ELNS1_11target_archE1201ELNS1_3gpuE5ELNS1_3repE0EEENS1_30default_config_static_selectorELNS0_4arch9wavefront6targetE0EEEvT1_.num_vgpr, 0
	.set _ZN7rocprim17ROCPRIM_400000_NS6detail17trampoline_kernelINS0_14default_configENS1_25transform_config_selectorIiLb0EEEZNS1_14transform_implILb0ES3_S5_PiN6thrust23THRUST_200600_302600_NS10device_ptrIiEENS0_8identityIiEEEE10hipError_tT2_T3_mT4_P12ihipStream_tbEUlT_E_NS1_11comp_targetILNS1_3genE10ELNS1_11target_archE1201ELNS1_3gpuE5ELNS1_3repE0EEENS1_30default_config_static_selectorELNS0_4arch9wavefront6targetE0EEEvT1_.num_agpr, 0
	.set _ZN7rocprim17ROCPRIM_400000_NS6detail17trampoline_kernelINS0_14default_configENS1_25transform_config_selectorIiLb0EEEZNS1_14transform_implILb0ES3_S5_PiN6thrust23THRUST_200600_302600_NS10device_ptrIiEENS0_8identityIiEEEE10hipError_tT2_T3_mT4_P12ihipStream_tbEUlT_E_NS1_11comp_targetILNS1_3genE10ELNS1_11target_archE1201ELNS1_3gpuE5ELNS1_3repE0EEENS1_30default_config_static_selectorELNS0_4arch9wavefront6targetE0EEEvT1_.numbered_sgpr, 0
	.set _ZN7rocprim17ROCPRIM_400000_NS6detail17trampoline_kernelINS0_14default_configENS1_25transform_config_selectorIiLb0EEEZNS1_14transform_implILb0ES3_S5_PiN6thrust23THRUST_200600_302600_NS10device_ptrIiEENS0_8identityIiEEEE10hipError_tT2_T3_mT4_P12ihipStream_tbEUlT_E_NS1_11comp_targetILNS1_3genE10ELNS1_11target_archE1201ELNS1_3gpuE5ELNS1_3repE0EEENS1_30default_config_static_selectorELNS0_4arch9wavefront6targetE0EEEvT1_.num_named_barrier, 0
	.set _ZN7rocprim17ROCPRIM_400000_NS6detail17trampoline_kernelINS0_14default_configENS1_25transform_config_selectorIiLb0EEEZNS1_14transform_implILb0ES3_S5_PiN6thrust23THRUST_200600_302600_NS10device_ptrIiEENS0_8identityIiEEEE10hipError_tT2_T3_mT4_P12ihipStream_tbEUlT_E_NS1_11comp_targetILNS1_3genE10ELNS1_11target_archE1201ELNS1_3gpuE5ELNS1_3repE0EEENS1_30default_config_static_selectorELNS0_4arch9wavefront6targetE0EEEvT1_.private_seg_size, 0
	.set _ZN7rocprim17ROCPRIM_400000_NS6detail17trampoline_kernelINS0_14default_configENS1_25transform_config_selectorIiLb0EEEZNS1_14transform_implILb0ES3_S5_PiN6thrust23THRUST_200600_302600_NS10device_ptrIiEENS0_8identityIiEEEE10hipError_tT2_T3_mT4_P12ihipStream_tbEUlT_E_NS1_11comp_targetILNS1_3genE10ELNS1_11target_archE1201ELNS1_3gpuE5ELNS1_3repE0EEENS1_30default_config_static_selectorELNS0_4arch9wavefront6targetE0EEEvT1_.uses_vcc, 0
	.set _ZN7rocprim17ROCPRIM_400000_NS6detail17trampoline_kernelINS0_14default_configENS1_25transform_config_selectorIiLb0EEEZNS1_14transform_implILb0ES3_S5_PiN6thrust23THRUST_200600_302600_NS10device_ptrIiEENS0_8identityIiEEEE10hipError_tT2_T3_mT4_P12ihipStream_tbEUlT_E_NS1_11comp_targetILNS1_3genE10ELNS1_11target_archE1201ELNS1_3gpuE5ELNS1_3repE0EEENS1_30default_config_static_selectorELNS0_4arch9wavefront6targetE0EEEvT1_.uses_flat_scratch, 0
	.set _ZN7rocprim17ROCPRIM_400000_NS6detail17trampoline_kernelINS0_14default_configENS1_25transform_config_selectorIiLb0EEEZNS1_14transform_implILb0ES3_S5_PiN6thrust23THRUST_200600_302600_NS10device_ptrIiEENS0_8identityIiEEEE10hipError_tT2_T3_mT4_P12ihipStream_tbEUlT_E_NS1_11comp_targetILNS1_3genE10ELNS1_11target_archE1201ELNS1_3gpuE5ELNS1_3repE0EEENS1_30default_config_static_selectorELNS0_4arch9wavefront6targetE0EEEvT1_.has_dyn_sized_stack, 0
	.set _ZN7rocprim17ROCPRIM_400000_NS6detail17trampoline_kernelINS0_14default_configENS1_25transform_config_selectorIiLb0EEEZNS1_14transform_implILb0ES3_S5_PiN6thrust23THRUST_200600_302600_NS10device_ptrIiEENS0_8identityIiEEEE10hipError_tT2_T3_mT4_P12ihipStream_tbEUlT_E_NS1_11comp_targetILNS1_3genE10ELNS1_11target_archE1201ELNS1_3gpuE5ELNS1_3repE0EEENS1_30default_config_static_selectorELNS0_4arch9wavefront6targetE0EEEvT1_.has_recursion, 0
	.set _ZN7rocprim17ROCPRIM_400000_NS6detail17trampoline_kernelINS0_14default_configENS1_25transform_config_selectorIiLb0EEEZNS1_14transform_implILb0ES3_S5_PiN6thrust23THRUST_200600_302600_NS10device_ptrIiEENS0_8identityIiEEEE10hipError_tT2_T3_mT4_P12ihipStream_tbEUlT_E_NS1_11comp_targetILNS1_3genE10ELNS1_11target_archE1201ELNS1_3gpuE5ELNS1_3repE0EEENS1_30default_config_static_selectorELNS0_4arch9wavefront6targetE0EEEvT1_.has_indirect_call, 0
	.section	.AMDGPU.csdata,"",@progbits
; Kernel info:
; codeLenInByte = 0
; TotalNumSgprs: 0
; NumVgprs: 0
; ScratchSize: 0
; MemoryBound: 0
; FloatMode: 240
; IeeeMode: 1
; LDSByteSize: 0 bytes/workgroup (compile time only)
; SGPRBlocks: 0
; VGPRBlocks: 0
; NumSGPRsForWavesPerEU: 1
; NumVGPRsForWavesPerEU: 1
; Occupancy: 16
; WaveLimiterHint : 0
; COMPUTE_PGM_RSRC2:SCRATCH_EN: 0
; COMPUTE_PGM_RSRC2:USER_SGPR: 6
; COMPUTE_PGM_RSRC2:TRAP_HANDLER: 0
; COMPUTE_PGM_RSRC2:TGID_X_EN: 1
; COMPUTE_PGM_RSRC2:TGID_Y_EN: 0
; COMPUTE_PGM_RSRC2:TGID_Z_EN: 0
; COMPUTE_PGM_RSRC2:TIDIG_COMP_CNT: 0
	.section	.text._ZN7rocprim17ROCPRIM_400000_NS6detail17trampoline_kernelINS0_14default_configENS1_25transform_config_selectorIiLb0EEEZNS1_14transform_implILb0ES3_S5_PiN6thrust23THRUST_200600_302600_NS10device_ptrIiEENS0_8identityIiEEEE10hipError_tT2_T3_mT4_P12ihipStream_tbEUlT_E_NS1_11comp_targetILNS1_3genE10ELNS1_11target_archE1200ELNS1_3gpuE4ELNS1_3repE0EEENS1_30default_config_static_selectorELNS0_4arch9wavefront6targetE0EEEvT1_,"axG",@progbits,_ZN7rocprim17ROCPRIM_400000_NS6detail17trampoline_kernelINS0_14default_configENS1_25transform_config_selectorIiLb0EEEZNS1_14transform_implILb0ES3_S5_PiN6thrust23THRUST_200600_302600_NS10device_ptrIiEENS0_8identityIiEEEE10hipError_tT2_T3_mT4_P12ihipStream_tbEUlT_E_NS1_11comp_targetILNS1_3genE10ELNS1_11target_archE1200ELNS1_3gpuE4ELNS1_3repE0EEENS1_30default_config_static_selectorELNS0_4arch9wavefront6targetE0EEEvT1_,comdat
	.protected	_ZN7rocprim17ROCPRIM_400000_NS6detail17trampoline_kernelINS0_14default_configENS1_25transform_config_selectorIiLb0EEEZNS1_14transform_implILb0ES3_S5_PiN6thrust23THRUST_200600_302600_NS10device_ptrIiEENS0_8identityIiEEEE10hipError_tT2_T3_mT4_P12ihipStream_tbEUlT_E_NS1_11comp_targetILNS1_3genE10ELNS1_11target_archE1200ELNS1_3gpuE4ELNS1_3repE0EEENS1_30default_config_static_selectorELNS0_4arch9wavefront6targetE0EEEvT1_ ; -- Begin function _ZN7rocprim17ROCPRIM_400000_NS6detail17trampoline_kernelINS0_14default_configENS1_25transform_config_selectorIiLb0EEEZNS1_14transform_implILb0ES3_S5_PiN6thrust23THRUST_200600_302600_NS10device_ptrIiEENS0_8identityIiEEEE10hipError_tT2_T3_mT4_P12ihipStream_tbEUlT_E_NS1_11comp_targetILNS1_3genE10ELNS1_11target_archE1200ELNS1_3gpuE4ELNS1_3repE0EEENS1_30default_config_static_selectorELNS0_4arch9wavefront6targetE0EEEvT1_
	.globl	_ZN7rocprim17ROCPRIM_400000_NS6detail17trampoline_kernelINS0_14default_configENS1_25transform_config_selectorIiLb0EEEZNS1_14transform_implILb0ES3_S5_PiN6thrust23THRUST_200600_302600_NS10device_ptrIiEENS0_8identityIiEEEE10hipError_tT2_T3_mT4_P12ihipStream_tbEUlT_E_NS1_11comp_targetILNS1_3genE10ELNS1_11target_archE1200ELNS1_3gpuE4ELNS1_3repE0EEENS1_30default_config_static_selectorELNS0_4arch9wavefront6targetE0EEEvT1_
	.p2align	8
	.type	_ZN7rocprim17ROCPRIM_400000_NS6detail17trampoline_kernelINS0_14default_configENS1_25transform_config_selectorIiLb0EEEZNS1_14transform_implILb0ES3_S5_PiN6thrust23THRUST_200600_302600_NS10device_ptrIiEENS0_8identityIiEEEE10hipError_tT2_T3_mT4_P12ihipStream_tbEUlT_E_NS1_11comp_targetILNS1_3genE10ELNS1_11target_archE1200ELNS1_3gpuE4ELNS1_3repE0EEENS1_30default_config_static_selectorELNS0_4arch9wavefront6targetE0EEEvT1_,@function
_ZN7rocprim17ROCPRIM_400000_NS6detail17trampoline_kernelINS0_14default_configENS1_25transform_config_selectorIiLb0EEEZNS1_14transform_implILb0ES3_S5_PiN6thrust23THRUST_200600_302600_NS10device_ptrIiEENS0_8identityIiEEEE10hipError_tT2_T3_mT4_P12ihipStream_tbEUlT_E_NS1_11comp_targetILNS1_3genE10ELNS1_11target_archE1200ELNS1_3gpuE4ELNS1_3repE0EEENS1_30default_config_static_selectorELNS0_4arch9wavefront6targetE0EEEvT1_: ; @_ZN7rocprim17ROCPRIM_400000_NS6detail17trampoline_kernelINS0_14default_configENS1_25transform_config_selectorIiLb0EEEZNS1_14transform_implILb0ES3_S5_PiN6thrust23THRUST_200600_302600_NS10device_ptrIiEENS0_8identityIiEEEE10hipError_tT2_T3_mT4_P12ihipStream_tbEUlT_E_NS1_11comp_targetILNS1_3genE10ELNS1_11target_archE1200ELNS1_3gpuE4ELNS1_3repE0EEENS1_30default_config_static_selectorELNS0_4arch9wavefront6targetE0EEEvT1_
; %bb.0:
	.section	.rodata,"a",@progbits
	.p2align	6, 0x0
	.amdhsa_kernel _ZN7rocprim17ROCPRIM_400000_NS6detail17trampoline_kernelINS0_14default_configENS1_25transform_config_selectorIiLb0EEEZNS1_14transform_implILb0ES3_S5_PiN6thrust23THRUST_200600_302600_NS10device_ptrIiEENS0_8identityIiEEEE10hipError_tT2_T3_mT4_P12ihipStream_tbEUlT_E_NS1_11comp_targetILNS1_3genE10ELNS1_11target_archE1200ELNS1_3gpuE4ELNS1_3repE0EEENS1_30default_config_static_selectorELNS0_4arch9wavefront6targetE0EEEvT1_
		.amdhsa_group_segment_fixed_size 0
		.amdhsa_private_segment_fixed_size 0
		.amdhsa_kernarg_size 40
		.amdhsa_user_sgpr_count 6
		.amdhsa_user_sgpr_private_segment_buffer 1
		.amdhsa_user_sgpr_dispatch_ptr 0
		.amdhsa_user_sgpr_queue_ptr 0
		.amdhsa_user_sgpr_kernarg_segment_ptr 1
		.amdhsa_user_sgpr_dispatch_id 0
		.amdhsa_user_sgpr_flat_scratch_init 0
		.amdhsa_user_sgpr_private_segment_size 0
		.amdhsa_wavefront_size32 1
		.amdhsa_uses_dynamic_stack 0
		.amdhsa_system_sgpr_private_segment_wavefront_offset 0
		.amdhsa_system_sgpr_workgroup_id_x 1
		.amdhsa_system_sgpr_workgroup_id_y 0
		.amdhsa_system_sgpr_workgroup_id_z 0
		.amdhsa_system_sgpr_workgroup_info 0
		.amdhsa_system_vgpr_workitem_id 0
		.amdhsa_next_free_vgpr 1
		.amdhsa_next_free_sgpr 1
		.amdhsa_reserve_vcc 0
		.amdhsa_reserve_flat_scratch 0
		.amdhsa_float_round_mode_32 0
		.amdhsa_float_round_mode_16_64 0
		.amdhsa_float_denorm_mode_32 3
		.amdhsa_float_denorm_mode_16_64 3
		.amdhsa_dx10_clamp 1
		.amdhsa_ieee_mode 1
		.amdhsa_fp16_overflow 0
		.amdhsa_workgroup_processor_mode 1
		.amdhsa_memory_ordered 1
		.amdhsa_forward_progress 1
		.amdhsa_shared_vgpr_count 0
		.amdhsa_exception_fp_ieee_invalid_op 0
		.amdhsa_exception_fp_denorm_src 0
		.amdhsa_exception_fp_ieee_div_zero 0
		.amdhsa_exception_fp_ieee_overflow 0
		.amdhsa_exception_fp_ieee_underflow 0
		.amdhsa_exception_fp_ieee_inexact 0
		.amdhsa_exception_int_div_zero 0
	.end_amdhsa_kernel
	.section	.text._ZN7rocprim17ROCPRIM_400000_NS6detail17trampoline_kernelINS0_14default_configENS1_25transform_config_selectorIiLb0EEEZNS1_14transform_implILb0ES3_S5_PiN6thrust23THRUST_200600_302600_NS10device_ptrIiEENS0_8identityIiEEEE10hipError_tT2_T3_mT4_P12ihipStream_tbEUlT_E_NS1_11comp_targetILNS1_3genE10ELNS1_11target_archE1200ELNS1_3gpuE4ELNS1_3repE0EEENS1_30default_config_static_selectorELNS0_4arch9wavefront6targetE0EEEvT1_,"axG",@progbits,_ZN7rocprim17ROCPRIM_400000_NS6detail17trampoline_kernelINS0_14default_configENS1_25transform_config_selectorIiLb0EEEZNS1_14transform_implILb0ES3_S5_PiN6thrust23THRUST_200600_302600_NS10device_ptrIiEENS0_8identityIiEEEE10hipError_tT2_T3_mT4_P12ihipStream_tbEUlT_E_NS1_11comp_targetILNS1_3genE10ELNS1_11target_archE1200ELNS1_3gpuE4ELNS1_3repE0EEENS1_30default_config_static_selectorELNS0_4arch9wavefront6targetE0EEEvT1_,comdat
.Lfunc_end1166:
	.size	_ZN7rocprim17ROCPRIM_400000_NS6detail17trampoline_kernelINS0_14default_configENS1_25transform_config_selectorIiLb0EEEZNS1_14transform_implILb0ES3_S5_PiN6thrust23THRUST_200600_302600_NS10device_ptrIiEENS0_8identityIiEEEE10hipError_tT2_T3_mT4_P12ihipStream_tbEUlT_E_NS1_11comp_targetILNS1_3genE10ELNS1_11target_archE1200ELNS1_3gpuE4ELNS1_3repE0EEENS1_30default_config_static_selectorELNS0_4arch9wavefront6targetE0EEEvT1_, .Lfunc_end1166-_ZN7rocprim17ROCPRIM_400000_NS6detail17trampoline_kernelINS0_14default_configENS1_25transform_config_selectorIiLb0EEEZNS1_14transform_implILb0ES3_S5_PiN6thrust23THRUST_200600_302600_NS10device_ptrIiEENS0_8identityIiEEEE10hipError_tT2_T3_mT4_P12ihipStream_tbEUlT_E_NS1_11comp_targetILNS1_3genE10ELNS1_11target_archE1200ELNS1_3gpuE4ELNS1_3repE0EEENS1_30default_config_static_selectorELNS0_4arch9wavefront6targetE0EEEvT1_
                                        ; -- End function
	.set _ZN7rocprim17ROCPRIM_400000_NS6detail17trampoline_kernelINS0_14default_configENS1_25transform_config_selectorIiLb0EEEZNS1_14transform_implILb0ES3_S5_PiN6thrust23THRUST_200600_302600_NS10device_ptrIiEENS0_8identityIiEEEE10hipError_tT2_T3_mT4_P12ihipStream_tbEUlT_E_NS1_11comp_targetILNS1_3genE10ELNS1_11target_archE1200ELNS1_3gpuE4ELNS1_3repE0EEENS1_30default_config_static_selectorELNS0_4arch9wavefront6targetE0EEEvT1_.num_vgpr, 0
	.set _ZN7rocprim17ROCPRIM_400000_NS6detail17trampoline_kernelINS0_14default_configENS1_25transform_config_selectorIiLb0EEEZNS1_14transform_implILb0ES3_S5_PiN6thrust23THRUST_200600_302600_NS10device_ptrIiEENS0_8identityIiEEEE10hipError_tT2_T3_mT4_P12ihipStream_tbEUlT_E_NS1_11comp_targetILNS1_3genE10ELNS1_11target_archE1200ELNS1_3gpuE4ELNS1_3repE0EEENS1_30default_config_static_selectorELNS0_4arch9wavefront6targetE0EEEvT1_.num_agpr, 0
	.set _ZN7rocprim17ROCPRIM_400000_NS6detail17trampoline_kernelINS0_14default_configENS1_25transform_config_selectorIiLb0EEEZNS1_14transform_implILb0ES3_S5_PiN6thrust23THRUST_200600_302600_NS10device_ptrIiEENS0_8identityIiEEEE10hipError_tT2_T3_mT4_P12ihipStream_tbEUlT_E_NS1_11comp_targetILNS1_3genE10ELNS1_11target_archE1200ELNS1_3gpuE4ELNS1_3repE0EEENS1_30default_config_static_selectorELNS0_4arch9wavefront6targetE0EEEvT1_.numbered_sgpr, 0
	.set _ZN7rocprim17ROCPRIM_400000_NS6detail17trampoline_kernelINS0_14default_configENS1_25transform_config_selectorIiLb0EEEZNS1_14transform_implILb0ES3_S5_PiN6thrust23THRUST_200600_302600_NS10device_ptrIiEENS0_8identityIiEEEE10hipError_tT2_T3_mT4_P12ihipStream_tbEUlT_E_NS1_11comp_targetILNS1_3genE10ELNS1_11target_archE1200ELNS1_3gpuE4ELNS1_3repE0EEENS1_30default_config_static_selectorELNS0_4arch9wavefront6targetE0EEEvT1_.num_named_barrier, 0
	.set _ZN7rocprim17ROCPRIM_400000_NS6detail17trampoline_kernelINS0_14default_configENS1_25transform_config_selectorIiLb0EEEZNS1_14transform_implILb0ES3_S5_PiN6thrust23THRUST_200600_302600_NS10device_ptrIiEENS0_8identityIiEEEE10hipError_tT2_T3_mT4_P12ihipStream_tbEUlT_E_NS1_11comp_targetILNS1_3genE10ELNS1_11target_archE1200ELNS1_3gpuE4ELNS1_3repE0EEENS1_30default_config_static_selectorELNS0_4arch9wavefront6targetE0EEEvT1_.private_seg_size, 0
	.set _ZN7rocprim17ROCPRIM_400000_NS6detail17trampoline_kernelINS0_14default_configENS1_25transform_config_selectorIiLb0EEEZNS1_14transform_implILb0ES3_S5_PiN6thrust23THRUST_200600_302600_NS10device_ptrIiEENS0_8identityIiEEEE10hipError_tT2_T3_mT4_P12ihipStream_tbEUlT_E_NS1_11comp_targetILNS1_3genE10ELNS1_11target_archE1200ELNS1_3gpuE4ELNS1_3repE0EEENS1_30default_config_static_selectorELNS0_4arch9wavefront6targetE0EEEvT1_.uses_vcc, 0
	.set _ZN7rocprim17ROCPRIM_400000_NS6detail17trampoline_kernelINS0_14default_configENS1_25transform_config_selectorIiLb0EEEZNS1_14transform_implILb0ES3_S5_PiN6thrust23THRUST_200600_302600_NS10device_ptrIiEENS0_8identityIiEEEE10hipError_tT2_T3_mT4_P12ihipStream_tbEUlT_E_NS1_11comp_targetILNS1_3genE10ELNS1_11target_archE1200ELNS1_3gpuE4ELNS1_3repE0EEENS1_30default_config_static_selectorELNS0_4arch9wavefront6targetE0EEEvT1_.uses_flat_scratch, 0
	.set _ZN7rocprim17ROCPRIM_400000_NS6detail17trampoline_kernelINS0_14default_configENS1_25transform_config_selectorIiLb0EEEZNS1_14transform_implILb0ES3_S5_PiN6thrust23THRUST_200600_302600_NS10device_ptrIiEENS0_8identityIiEEEE10hipError_tT2_T3_mT4_P12ihipStream_tbEUlT_E_NS1_11comp_targetILNS1_3genE10ELNS1_11target_archE1200ELNS1_3gpuE4ELNS1_3repE0EEENS1_30default_config_static_selectorELNS0_4arch9wavefront6targetE0EEEvT1_.has_dyn_sized_stack, 0
	.set _ZN7rocprim17ROCPRIM_400000_NS6detail17trampoline_kernelINS0_14default_configENS1_25transform_config_selectorIiLb0EEEZNS1_14transform_implILb0ES3_S5_PiN6thrust23THRUST_200600_302600_NS10device_ptrIiEENS0_8identityIiEEEE10hipError_tT2_T3_mT4_P12ihipStream_tbEUlT_E_NS1_11comp_targetILNS1_3genE10ELNS1_11target_archE1200ELNS1_3gpuE4ELNS1_3repE0EEENS1_30default_config_static_selectorELNS0_4arch9wavefront6targetE0EEEvT1_.has_recursion, 0
	.set _ZN7rocprim17ROCPRIM_400000_NS6detail17trampoline_kernelINS0_14default_configENS1_25transform_config_selectorIiLb0EEEZNS1_14transform_implILb0ES3_S5_PiN6thrust23THRUST_200600_302600_NS10device_ptrIiEENS0_8identityIiEEEE10hipError_tT2_T3_mT4_P12ihipStream_tbEUlT_E_NS1_11comp_targetILNS1_3genE10ELNS1_11target_archE1200ELNS1_3gpuE4ELNS1_3repE0EEENS1_30default_config_static_selectorELNS0_4arch9wavefront6targetE0EEEvT1_.has_indirect_call, 0
	.section	.AMDGPU.csdata,"",@progbits
; Kernel info:
; codeLenInByte = 0
; TotalNumSgprs: 0
; NumVgprs: 0
; ScratchSize: 0
; MemoryBound: 0
; FloatMode: 240
; IeeeMode: 1
; LDSByteSize: 0 bytes/workgroup (compile time only)
; SGPRBlocks: 0
; VGPRBlocks: 0
; NumSGPRsForWavesPerEU: 1
; NumVGPRsForWavesPerEU: 1
; Occupancy: 16
; WaveLimiterHint : 0
; COMPUTE_PGM_RSRC2:SCRATCH_EN: 0
; COMPUTE_PGM_RSRC2:USER_SGPR: 6
; COMPUTE_PGM_RSRC2:TRAP_HANDLER: 0
; COMPUTE_PGM_RSRC2:TGID_X_EN: 1
; COMPUTE_PGM_RSRC2:TGID_Y_EN: 0
; COMPUTE_PGM_RSRC2:TGID_Z_EN: 0
; COMPUTE_PGM_RSRC2:TIDIG_COMP_CNT: 0
	.section	.text._ZN7rocprim17ROCPRIM_400000_NS6detail17trampoline_kernelINS0_14default_configENS1_25transform_config_selectorIiLb0EEEZNS1_14transform_implILb0ES3_S5_PiN6thrust23THRUST_200600_302600_NS10device_ptrIiEENS0_8identityIiEEEE10hipError_tT2_T3_mT4_P12ihipStream_tbEUlT_E_NS1_11comp_targetILNS1_3genE9ELNS1_11target_archE1100ELNS1_3gpuE3ELNS1_3repE0EEENS1_30default_config_static_selectorELNS0_4arch9wavefront6targetE0EEEvT1_,"axG",@progbits,_ZN7rocprim17ROCPRIM_400000_NS6detail17trampoline_kernelINS0_14default_configENS1_25transform_config_selectorIiLb0EEEZNS1_14transform_implILb0ES3_S5_PiN6thrust23THRUST_200600_302600_NS10device_ptrIiEENS0_8identityIiEEEE10hipError_tT2_T3_mT4_P12ihipStream_tbEUlT_E_NS1_11comp_targetILNS1_3genE9ELNS1_11target_archE1100ELNS1_3gpuE3ELNS1_3repE0EEENS1_30default_config_static_selectorELNS0_4arch9wavefront6targetE0EEEvT1_,comdat
	.protected	_ZN7rocprim17ROCPRIM_400000_NS6detail17trampoline_kernelINS0_14default_configENS1_25transform_config_selectorIiLb0EEEZNS1_14transform_implILb0ES3_S5_PiN6thrust23THRUST_200600_302600_NS10device_ptrIiEENS0_8identityIiEEEE10hipError_tT2_T3_mT4_P12ihipStream_tbEUlT_E_NS1_11comp_targetILNS1_3genE9ELNS1_11target_archE1100ELNS1_3gpuE3ELNS1_3repE0EEENS1_30default_config_static_selectorELNS0_4arch9wavefront6targetE0EEEvT1_ ; -- Begin function _ZN7rocprim17ROCPRIM_400000_NS6detail17trampoline_kernelINS0_14default_configENS1_25transform_config_selectorIiLb0EEEZNS1_14transform_implILb0ES3_S5_PiN6thrust23THRUST_200600_302600_NS10device_ptrIiEENS0_8identityIiEEEE10hipError_tT2_T3_mT4_P12ihipStream_tbEUlT_E_NS1_11comp_targetILNS1_3genE9ELNS1_11target_archE1100ELNS1_3gpuE3ELNS1_3repE0EEENS1_30default_config_static_selectorELNS0_4arch9wavefront6targetE0EEEvT1_
	.globl	_ZN7rocprim17ROCPRIM_400000_NS6detail17trampoline_kernelINS0_14default_configENS1_25transform_config_selectorIiLb0EEEZNS1_14transform_implILb0ES3_S5_PiN6thrust23THRUST_200600_302600_NS10device_ptrIiEENS0_8identityIiEEEE10hipError_tT2_T3_mT4_P12ihipStream_tbEUlT_E_NS1_11comp_targetILNS1_3genE9ELNS1_11target_archE1100ELNS1_3gpuE3ELNS1_3repE0EEENS1_30default_config_static_selectorELNS0_4arch9wavefront6targetE0EEEvT1_
	.p2align	8
	.type	_ZN7rocprim17ROCPRIM_400000_NS6detail17trampoline_kernelINS0_14default_configENS1_25transform_config_selectorIiLb0EEEZNS1_14transform_implILb0ES3_S5_PiN6thrust23THRUST_200600_302600_NS10device_ptrIiEENS0_8identityIiEEEE10hipError_tT2_T3_mT4_P12ihipStream_tbEUlT_E_NS1_11comp_targetILNS1_3genE9ELNS1_11target_archE1100ELNS1_3gpuE3ELNS1_3repE0EEENS1_30default_config_static_selectorELNS0_4arch9wavefront6targetE0EEEvT1_,@function
_ZN7rocprim17ROCPRIM_400000_NS6detail17trampoline_kernelINS0_14default_configENS1_25transform_config_selectorIiLb0EEEZNS1_14transform_implILb0ES3_S5_PiN6thrust23THRUST_200600_302600_NS10device_ptrIiEENS0_8identityIiEEEE10hipError_tT2_T3_mT4_P12ihipStream_tbEUlT_E_NS1_11comp_targetILNS1_3genE9ELNS1_11target_archE1100ELNS1_3gpuE3ELNS1_3repE0EEENS1_30default_config_static_selectorELNS0_4arch9wavefront6targetE0EEEvT1_: ; @_ZN7rocprim17ROCPRIM_400000_NS6detail17trampoline_kernelINS0_14default_configENS1_25transform_config_selectorIiLb0EEEZNS1_14transform_implILb0ES3_S5_PiN6thrust23THRUST_200600_302600_NS10device_ptrIiEENS0_8identityIiEEEE10hipError_tT2_T3_mT4_P12ihipStream_tbEUlT_E_NS1_11comp_targetILNS1_3genE9ELNS1_11target_archE1100ELNS1_3gpuE3ELNS1_3repE0EEENS1_30default_config_static_selectorELNS0_4arch9wavefront6targetE0EEEvT1_
; %bb.0:
	.section	.rodata,"a",@progbits
	.p2align	6, 0x0
	.amdhsa_kernel _ZN7rocprim17ROCPRIM_400000_NS6detail17trampoline_kernelINS0_14default_configENS1_25transform_config_selectorIiLb0EEEZNS1_14transform_implILb0ES3_S5_PiN6thrust23THRUST_200600_302600_NS10device_ptrIiEENS0_8identityIiEEEE10hipError_tT2_T3_mT4_P12ihipStream_tbEUlT_E_NS1_11comp_targetILNS1_3genE9ELNS1_11target_archE1100ELNS1_3gpuE3ELNS1_3repE0EEENS1_30default_config_static_selectorELNS0_4arch9wavefront6targetE0EEEvT1_
		.amdhsa_group_segment_fixed_size 0
		.amdhsa_private_segment_fixed_size 0
		.amdhsa_kernarg_size 40
		.amdhsa_user_sgpr_count 6
		.amdhsa_user_sgpr_private_segment_buffer 1
		.amdhsa_user_sgpr_dispatch_ptr 0
		.amdhsa_user_sgpr_queue_ptr 0
		.amdhsa_user_sgpr_kernarg_segment_ptr 1
		.amdhsa_user_sgpr_dispatch_id 0
		.amdhsa_user_sgpr_flat_scratch_init 0
		.amdhsa_user_sgpr_private_segment_size 0
		.amdhsa_wavefront_size32 1
		.amdhsa_uses_dynamic_stack 0
		.amdhsa_system_sgpr_private_segment_wavefront_offset 0
		.amdhsa_system_sgpr_workgroup_id_x 1
		.amdhsa_system_sgpr_workgroup_id_y 0
		.amdhsa_system_sgpr_workgroup_id_z 0
		.amdhsa_system_sgpr_workgroup_info 0
		.amdhsa_system_vgpr_workitem_id 0
		.amdhsa_next_free_vgpr 1
		.amdhsa_next_free_sgpr 1
		.amdhsa_reserve_vcc 0
		.amdhsa_reserve_flat_scratch 0
		.amdhsa_float_round_mode_32 0
		.amdhsa_float_round_mode_16_64 0
		.amdhsa_float_denorm_mode_32 3
		.amdhsa_float_denorm_mode_16_64 3
		.amdhsa_dx10_clamp 1
		.amdhsa_ieee_mode 1
		.amdhsa_fp16_overflow 0
		.amdhsa_workgroup_processor_mode 1
		.amdhsa_memory_ordered 1
		.amdhsa_forward_progress 1
		.amdhsa_shared_vgpr_count 0
		.amdhsa_exception_fp_ieee_invalid_op 0
		.amdhsa_exception_fp_denorm_src 0
		.amdhsa_exception_fp_ieee_div_zero 0
		.amdhsa_exception_fp_ieee_overflow 0
		.amdhsa_exception_fp_ieee_underflow 0
		.amdhsa_exception_fp_ieee_inexact 0
		.amdhsa_exception_int_div_zero 0
	.end_amdhsa_kernel
	.section	.text._ZN7rocprim17ROCPRIM_400000_NS6detail17trampoline_kernelINS0_14default_configENS1_25transform_config_selectorIiLb0EEEZNS1_14transform_implILb0ES3_S5_PiN6thrust23THRUST_200600_302600_NS10device_ptrIiEENS0_8identityIiEEEE10hipError_tT2_T3_mT4_P12ihipStream_tbEUlT_E_NS1_11comp_targetILNS1_3genE9ELNS1_11target_archE1100ELNS1_3gpuE3ELNS1_3repE0EEENS1_30default_config_static_selectorELNS0_4arch9wavefront6targetE0EEEvT1_,"axG",@progbits,_ZN7rocprim17ROCPRIM_400000_NS6detail17trampoline_kernelINS0_14default_configENS1_25transform_config_selectorIiLb0EEEZNS1_14transform_implILb0ES3_S5_PiN6thrust23THRUST_200600_302600_NS10device_ptrIiEENS0_8identityIiEEEE10hipError_tT2_T3_mT4_P12ihipStream_tbEUlT_E_NS1_11comp_targetILNS1_3genE9ELNS1_11target_archE1100ELNS1_3gpuE3ELNS1_3repE0EEENS1_30default_config_static_selectorELNS0_4arch9wavefront6targetE0EEEvT1_,comdat
.Lfunc_end1167:
	.size	_ZN7rocprim17ROCPRIM_400000_NS6detail17trampoline_kernelINS0_14default_configENS1_25transform_config_selectorIiLb0EEEZNS1_14transform_implILb0ES3_S5_PiN6thrust23THRUST_200600_302600_NS10device_ptrIiEENS0_8identityIiEEEE10hipError_tT2_T3_mT4_P12ihipStream_tbEUlT_E_NS1_11comp_targetILNS1_3genE9ELNS1_11target_archE1100ELNS1_3gpuE3ELNS1_3repE0EEENS1_30default_config_static_selectorELNS0_4arch9wavefront6targetE0EEEvT1_, .Lfunc_end1167-_ZN7rocprim17ROCPRIM_400000_NS6detail17trampoline_kernelINS0_14default_configENS1_25transform_config_selectorIiLb0EEEZNS1_14transform_implILb0ES3_S5_PiN6thrust23THRUST_200600_302600_NS10device_ptrIiEENS0_8identityIiEEEE10hipError_tT2_T3_mT4_P12ihipStream_tbEUlT_E_NS1_11comp_targetILNS1_3genE9ELNS1_11target_archE1100ELNS1_3gpuE3ELNS1_3repE0EEENS1_30default_config_static_selectorELNS0_4arch9wavefront6targetE0EEEvT1_
                                        ; -- End function
	.set _ZN7rocprim17ROCPRIM_400000_NS6detail17trampoline_kernelINS0_14default_configENS1_25transform_config_selectorIiLb0EEEZNS1_14transform_implILb0ES3_S5_PiN6thrust23THRUST_200600_302600_NS10device_ptrIiEENS0_8identityIiEEEE10hipError_tT2_T3_mT4_P12ihipStream_tbEUlT_E_NS1_11comp_targetILNS1_3genE9ELNS1_11target_archE1100ELNS1_3gpuE3ELNS1_3repE0EEENS1_30default_config_static_selectorELNS0_4arch9wavefront6targetE0EEEvT1_.num_vgpr, 0
	.set _ZN7rocprim17ROCPRIM_400000_NS6detail17trampoline_kernelINS0_14default_configENS1_25transform_config_selectorIiLb0EEEZNS1_14transform_implILb0ES3_S5_PiN6thrust23THRUST_200600_302600_NS10device_ptrIiEENS0_8identityIiEEEE10hipError_tT2_T3_mT4_P12ihipStream_tbEUlT_E_NS1_11comp_targetILNS1_3genE9ELNS1_11target_archE1100ELNS1_3gpuE3ELNS1_3repE0EEENS1_30default_config_static_selectorELNS0_4arch9wavefront6targetE0EEEvT1_.num_agpr, 0
	.set _ZN7rocprim17ROCPRIM_400000_NS6detail17trampoline_kernelINS0_14default_configENS1_25transform_config_selectorIiLb0EEEZNS1_14transform_implILb0ES3_S5_PiN6thrust23THRUST_200600_302600_NS10device_ptrIiEENS0_8identityIiEEEE10hipError_tT2_T3_mT4_P12ihipStream_tbEUlT_E_NS1_11comp_targetILNS1_3genE9ELNS1_11target_archE1100ELNS1_3gpuE3ELNS1_3repE0EEENS1_30default_config_static_selectorELNS0_4arch9wavefront6targetE0EEEvT1_.numbered_sgpr, 0
	.set _ZN7rocprim17ROCPRIM_400000_NS6detail17trampoline_kernelINS0_14default_configENS1_25transform_config_selectorIiLb0EEEZNS1_14transform_implILb0ES3_S5_PiN6thrust23THRUST_200600_302600_NS10device_ptrIiEENS0_8identityIiEEEE10hipError_tT2_T3_mT4_P12ihipStream_tbEUlT_E_NS1_11comp_targetILNS1_3genE9ELNS1_11target_archE1100ELNS1_3gpuE3ELNS1_3repE0EEENS1_30default_config_static_selectorELNS0_4arch9wavefront6targetE0EEEvT1_.num_named_barrier, 0
	.set _ZN7rocprim17ROCPRIM_400000_NS6detail17trampoline_kernelINS0_14default_configENS1_25transform_config_selectorIiLb0EEEZNS1_14transform_implILb0ES3_S5_PiN6thrust23THRUST_200600_302600_NS10device_ptrIiEENS0_8identityIiEEEE10hipError_tT2_T3_mT4_P12ihipStream_tbEUlT_E_NS1_11comp_targetILNS1_3genE9ELNS1_11target_archE1100ELNS1_3gpuE3ELNS1_3repE0EEENS1_30default_config_static_selectorELNS0_4arch9wavefront6targetE0EEEvT1_.private_seg_size, 0
	.set _ZN7rocprim17ROCPRIM_400000_NS6detail17trampoline_kernelINS0_14default_configENS1_25transform_config_selectorIiLb0EEEZNS1_14transform_implILb0ES3_S5_PiN6thrust23THRUST_200600_302600_NS10device_ptrIiEENS0_8identityIiEEEE10hipError_tT2_T3_mT4_P12ihipStream_tbEUlT_E_NS1_11comp_targetILNS1_3genE9ELNS1_11target_archE1100ELNS1_3gpuE3ELNS1_3repE0EEENS1_30default_config_static_selectorELNS0_4arch9wavefront6targetE0EEEvT1_.uses_vcc, 0
	.set _ZN7rocprim17ROCPRIM_400000_NS6detail17trampoline_kernelINS0_14default_configENS1_25transform_config_selectorIiLb0EEEZNS1_14transform_implILb0ES3_S5_PiN6thrust23THRUST_200600_302600_NS10device_ptrIiEENS0_8identityIiEEEE10hipError_tT2_T3_mT4_P12ihipStream_tbEUlT_E_NS1_11comp_targetILNS1_3genE9ELNS1_11target_archE1100ELNS1_3gpuE3ELNS1_3repE0EEENS1_30default_config_static_selectorELNS0_4arch9wavefront6targetE0EEEvT1_.uses_flat_scratch, 0
	.set _ZN7rocprim17ROCPRIM_400000_NS6detail17trampoline_kernelINS0_14default_configENS1_25transform_config_selectorIiLb0EEEZNS1_14transform_implILb0ES3_S5_PiN6thrust23THRUST_200600_302600_NS10device_ptrIiEENS0_8identityIiEEEE10hipError_tT2_T3_mT4_P12ihipStream_tbEUlT_E_NS1_11comp_targetILNS1_3genE9ELNS1_11target_archE1100ELNS1_3gpuE3ELNS1_3repE0EEENS1_30default_config_static_selectorELNS0_4arch9wavefront6targetE0EEEvT1_.has_dyn_sized_stack, 0
	.set _ZN7rocprim17ROCPRIM_400000_NS6detail17trampoline_kernelINS0_14default_configENS1_25transform_config_selectorIiLb0EEEZNS1_14transform_implILb0ES3_S5_PiN6thrust23THRUST_200600_302600_NS10device_ptrIiEENS0_8identityIiEEEE10hipError_tT2_T3_mT4_P12ihipStream_tbEUlT_E_NS1_11comp_targetILNS1_3genE9ELNS1_11target_archE1100ELNS1_3gpuE3ELNS1_3repE0EEENS1_30default_config_static_selectorELNS0_4arch9wavefront6targetE0EEEvT1_.has_recursion, 0
	.set _ZN7rocprim17ROCPRIM_400000_NS6detail17trampoline_kernelINS0_14default_configENS1_25transform_config_selectorIiLb0EEEZNS1_14transform_implILb0ES3_S5_PiN6thrust23THRUST_200600_302600_NS10device_ptrIiEENS0_8identityIiEEEE10hipError_tT2_T3_mT4_P12ihipStream_tbEUlT_E_NS1_11comp_targetILNS1_3genE9ELNS1_11target_archE1100ELNS1_3gpuE3ELNS1_3repE0EEENS1_30default_config_static_selectorELNS0_4arch9wavefront6targetE0EEEvT1_.has_indirect_call, 0
	.section	.AMDGPU.csdata,"",@progbits
; Kernel info:
; codeLenInByte = 0
; TotalNumSgprs: 0
; NumVgprs: 0
; ScratchSize: 0
; MemoryBound: 0
; FloatMode: 240
; IeeeMode: 1
; LDSByteSize: 0 bytes/workgroup (compile time only)
; SGPRBlocks: 0
; VGPRBlocks: 0
; NumSGPRsForWavesPerEU: 1
; NumVGPRsForWavesPerEU: 1
; Occupancy: 16
; WaveLimiterHint : 0
; COMPUTE_PGM_RSRC2:SCRATCH_EN: 0
; COMPUTE_PGM_RSRC2:USER_SGPR: 6
; COMPUTE_PGM_RSRC2:TRAP_HANDLER: 0
; COMPUTE_PGM_RSRC2:TGID_X_EN: 1
; COMPUTE_PGM_RSRC2:TGID_Y_EN: 0
; COMPUTE_PGM_RSRC2:TGID_Z_EN: 0
; COMPUTE_PGM_RSRC2:TIDIG_COMP_CNT: 0
	.section	.text._ZN7rocprim17ROCPRIM_400000_NS6detail17trampoline_kernelINS0_14default_configENS1_25transform_config_selectorIiLb0EEEZNS1_14transform_implILb0ES3_S5_PiN6thrust23THRUST_200600_302600_NS10device_ptrIiEENS0_8identityIiEEEE10hipError_tT2_T3_mT4_P12ihipStream_tbEUlT_E_NS1_11comp_targetILNS1_3genE8ELNS1_11target_archE1030ELNS1_3gpuE2ELNS1_3repE0EEENS1_30default_config_static_selectorELNS0_4arch9wavefront6targetE0EEEvT1_,"axG",@progbits,_ZN7rocprim17ROCPRIM_400000_NS6detail17trampoline_kernelINS0_14default_configENS1_25transform_config_selectorIiLb0EEEZNS1_14transform_implILb0ES3_S5_PiN6thrust23THRUST_200600_302600_NS10device_ptrIiEENS0_8identityIiEEEE10hipError_tT2_T3_mT4_P12ihipStream_tbEUlT_E_NS1_11comp_targetILNS1_3genE8ELNS1_11target_archE1030ELNS1_3gpuE2ELNS1_3repE0EEENS1_30default_config_static_selectorELNS0_4arch9wavefront6targetE0EEEvT1_,comdat
	.protected	_ZN7rocprim17ROCPRIM_400000_NS6detail17trampoline_kernelINS0_14default_configENS1_25transform_config_selectorIiLb0EEEZNS1_14transform_implILb0ES3_S5_PiN6thrust23THRUST_200600_302600_NS10device_ptrIiEENS0_8identityIiEEEE10hipError_tT2_T3_mT4_P12ihipStream_tbEUlT_E_NS1_11comp_targetILNS1_3genE8ELNS1_11target_archE1030ELNS1_3gpuE2ELNS1_3repE0EEENS1_30default_config_static_selectorELNS0_4arch9wavefront6targetE0EEEvT1_ ; -- Begin function _ZN7rocprim17ROCPRIM_400000_NS6detail17trampoline_kernelINS0_14default_configENS1_25transform_config_selectorIiLb0EEEZNS1_14transform_implILb0ES3_S5_PiN6thrust23THRUST_200600_302600_NS10device_ptrIiEENS0_8identityIiEEEE10hipError_tT2_T3_mT4_P12ihipStream_tbEUlT_E_NS1_11comp_targetILNS1_3genE8ELNS1_11target_archE1030ELNS1_3gpuE2ELNS1_3repE0EEENS1_30default_config_static_selectorELNS0_4arch9wavefront6targetE0EEEvT1_
	.globl	_ZN7rocprim17ROCPRIM_400000_NS6detail17trampoline_kernelINS0_14default_configENS1_25transform_config_selectorIiLb0EEEZNS1_14transform_implILb0ES3_S5_PiN6thrust23THRUST_200600_302600_NS10device_ptrIiEENS0_8identityIiEEEE10hipError_tT2_T3_mT4_P12ihipStream_tbEUlT_E_NS1_11comp_targetILNS1_3genE8ELNS1_11target_archE1030ELNS1_3gpuE2ELNS1_3repE0EEENS1_30default_config_static_selectorELNS0_4arch9wavefront6targetE0EEEvT1_
	.p2align	8
	.type	_ZN7rocprim17ROCPRIM_400000_NS6detail17trampoline_kernelINS0_14default_configENS1_25transform_config_selectorIiLb0EEEZNS1_14transform_implILb0ES3_S5_PiN6thrust23THRUST_200600_302600_NS10device_ptrIiEENS0_8identityIiEEEE10hipError_tT2_T3_mT4_P12ihipStream_tbEUlT_E_NS1_11comp_targetILNS1_3genE8ELNS1_11target_archE1030ELNS1_3gpuE2ELNS1_3repE0EEENS1_30default_config_static_selectorELNS0_4arch9wavefront6targetE0EEEvT1_,@function
_ZN7rocprim17ROCPRIM_400000_NS6detail17trampoline_kernelINS0_14default_configENS1_25transform_config_selectorIiLb0EEEZNS1_14transform_implILb0ES3_S5_PiN6thrust23THRUST_200600_302600_NS10device_ptrIiEENS0_8identityIiEEEE10hipError_tT2_T3_mT4_P12ihipStream_tbEUlT_E_NS1_11comp_targetILNS1_3genE8ELNS1_11target_archE1030ELNS1_3gpuE2ELNS1_3repE0EEENS1_30default_config_static_selectorELNS0_4arch9wavefront6targetE0EEEvT1_: ; @_ZN7rocprim17ROCPRIM_400000_NS6detail17trampoline_kernelINS0_14default_configENS1_25transform_config_selectorIiLb0EEEZNS1_14transform_implILb0ES3_S5_PiN6thrust23THRUST_200600_302600_NS10device_ptrIiEENS0_8identityIiEEEE10hipError_tT2_T3_mT4_P12ihipStream_tbEUlT_E_NS1_11comp_targetILNS1_3genE8ELNS1_11target_archE1030ELNS1_3gpuE2ELNS1_3repE0EEENS1_30default_config_static_selectorELNS0_4arch9wavefront6targetE0EEEvT1_
; %bb.0:
	s_clause 0x1
	s_load_dword s0, s[4:5], 0x28
	s_load_dword s1, s[4:5], 0x10
	s_waitcnt lgkmcnt(0)
	s_add_i32 s2, s0, -1
	s_lshl_b32 s0, s6, 8
	s_cmp_lg_u32 s6, s2
	s_cselect_b32 s2, -1, 0
	s_sub_i32 s1, s1, s0
	v_cmp_gt_u32_e32 vcc_lo, s1, v0
	s_or_b32 s1, vcc_lo, s2
	s_and_saveexec_b32 s2, s1
	s_cbranch_execz .LBB1168_2
; %bb.1:
	s_clause 0x1
	s_load_dwordx4 s[8:11], s[4:5], 0x0
	s_load_dwordx2 s[2:3], s[4:5], 0x18
	s_mov_b32 s1, 0
	v_lshlrev_b32_e32 v0, 2, v0
	s_waitcnt lgkmcnt(0)
	s_lshl_b64 s[4:5], s[10:11], 2
	s_add_u32 s6, s8, s4
	s_addc_u32 s7, s9, s5
	s_lshl_b64 s[0:1], s[0:1], 2
	s_add_u32 s6, s6, s0
	s_addc_u32 s7, s7, s1
	s_add_u32 s2, s2, s4
	global_load_dword v2, v0, s[6:7]
	s_addc_u32 s3, s3, s5
	s_add_u32 s0, s2, s0
	s_addc_u32 s1, s3, s1
	v_add_co_u32 v0, s0, s0, v0
	v_add_co_ci_u32_e64 v1, null, s1, 0, s0
	s_waitcnt vmcnt(0)
	flat_store_dword v[0:1], v2
.LBB1168_2:
	s_endpgm
	.section	.rodata,"a",@progbits
	.p2align	6, 0x0
	.amdhsa_kernel _ZN7rocprim17ROCPRIM_400000_NS6detail17trampoline_kernelINS0_14default_configENS1_25transform_config_selectorIiLb0EEEZNS1_14transform_implILb0ES3_S5_PiN6thrust23THRUST_200600_302600_NS10device_ptrIiEENS0_8identityIiEEEE10hipError_tT2_T3_mT4_P12ihipStream_tbEUlT_E_NS1_11comp_targetILNS1_3genE8ELNS1_11target_archE1030ELNS1_3gpuE2ELNS1_3repE0EEENS1_30default_config_static_selectorELNS0_4arch9wavefront6targetE0EEEvT1_
		.amdhsa_group_segment_fixed_size 0
		.amdhsa_private_segment_fixed_size 0
		.amdhsa_kernarg_size 296
		.amdhsa_user_sgpr_count 6
		.amdhsa_user_sgpr_private_segment_buffer 1
		.amdhsa_user_sgpr_dispatch_ptr 0
		.amdhsa_user_sgpr_queue_ptr 0
		.amdhsa_user_sgpr_kernarg_segment_ptr 1
		.amdhsa_user_sgpr_dispatch_id 0
		.amdhsa_user_sgpr_flat_scratch_init 0
		.amdhsa_user_sgpr_private_segment_size 0
		.amdhsa_wavefront_size32 1
		.amdhsa_uses_dynamic_stack 0
		.amdhsa_system_sgpr_private_segment_wavefront_offset 0
		.amdhsa_system_sgpr_workgroup_id_x 1
		.amdhsa_system_sgpr_workgroup_id_y 0
		.amdhsa_system_sgpr_workgroup_id_z 0
		.amdhsa_system_sgpr_workgroup_info 0
		.amdhsa_system_vgpr_workitem_id 0
		.amdhsa_next_free_vgpr 3
		.amdhsa_next_free_sgpr 12
		.amdhsa_reserve_vcc 1
		.amdhsa_reserve_flat_scratch 0
		.amdhsa_float_round_mode_32 0
		.amdhsa_float_round_mode_16_64 0
		.amdhsa_float_denorm_mode_32 3
		.amdhsa_float_denorm_mode_16_64 3
		.amdhsa_dx10_clamp 1
		.amdhsa_ieee_mode 1
		.amdhsa_fp16_overflow 0
		.amdhsa_workgroup_processor_mode 1
		.amdhsa_memory_ordered 1
		.amdhsa_forward_progress 1
		.amdhsa_shared_vgpr_count 0
		.amdhsa_exception_fp_ieee_invalid_op 0
		.amdhsa_exception_fp_denorm_src 0
		.amdhsa_exception_fp_ieee_div_zero 0
		.amdhsa_exception_fp_ieee_overflow 0
		.amdhsa_exception_fp_ieee_underflow 0
		.amdhsa_exception_fp_ieee_inexact 0
		.amdhsa_exception_int_div_zero 0
	.end_amdhsa_kernel
	.section	.text._ZN7rocprim17ROCPRIM_400000_NS6detail17trampoline_kernelINS0_14default_configENS1_25transform_config_selectorIiLb0EEEZNS1_14transform_implILb0ES3_S5_PiN6thrust23THRUST_200600_302600_NS10device_ptrIiEENS0_8identityIiEEEE10hipError_tT2_T3_mT4_P12ihipStream_tbEUlT_E_NS1_11comp_targetILNS1_3genE8ELNS1_11target_archE1030ELNS1_3gpuE2ELNS1_3repE0EEENS1_30default_config_static_selectorELNS0_4arch9wavefront6targetE0EEEvT1_,"axG",@progbits,_ZN7rocprim17ROCPRIM_400000_NS6detail17trampoline_kernelINS0_14default_configENS1_25transform_config_selectorIiLb0EEEZNS1_14transform_implILb0ES3_S5_PiN6thrust23THRUST_200600_302600_NS10device_ptrIiEENS0_8identityIiEEEE10hipError_tT2_T3_mT4_P12ihipStream_tbEUlT_E_NS1_11comp_targetILNS1_3genE8ELNS1_11target_archE1030ELNS1_3gpuE2ELNS1_3repE0EEENS1_30default_config_static_selectorELNS0_4arch9wavefront6targetE0EEEvT1_,comdat
.Lfunc_end1168:
	.size	_ZN7rocprim17ROCPRIM_400000_NS6detail17trampoline_kernelINS0_14default_configENS1_25transform_config_selectorIiLb0EEEZNS1_14transform_implILb0ES3_S5_PiN6thrust23THRUST_200600_302600_NS10device_ptrIiEENS0_8identityIiEEEE10hipError_tT2_T3_mT4_P12ihipStream_tbEUlT_E_NS1_11comp_targetILNS1_3genE8ELNS1_11target_archE1030ELNS1_3gpuE2ELNS1_3repE0EEENS1_30default_config_static_selectorELNS0_4arch9wavefront6targetE0EEEvT1_, .Lfunc_end1168-_ZN7rocprim17ROCPRIM_400000_NS6detail17trampoline_kernelINS0_14default_configENS1_25transform_config_selectorIiLb0EEEZNS1_14transform_implILb0ES3_S5_PiN6thrust23THRUST_200600_302600_NS10device_ptrIiEENS0_8identityIiEEEE10hipError_tT2_T3_mT4_P12ihipStream_tbEUlT_E_NS1_11comp_targetILNS1_3genE8ELNS1_11target_archE1030ELNS1_3gpuE2ELNS1_3repE0EEENS1_30default_config_static_selectorELNS0_4arch9wavefront6targetE0EEEvT1_
                                        ; -- End function
	.set _ZN7rocprim17ROCPRIM_400000_NS6detail17trampoline_kernelINS0_14default_configENS1_25transform_config_selectorIiLb0EEEZNS1_14transform_implILb0ES3_S5_PiN6thrust23THRUST_200600_302600_NS10device_ptrIiEENS0_8identityIiEEEE10hipError_tT2_T3_mT4_P12ihipStream_tbEUlT_E_NS1_11comp_targetILNS1_3genE8ELNS1_11target_archE1030ELNS1_3gpuE2ELNS1_3repE0EEENS1_30default_config_static_selectorELNS0_4arch9wavefront6targetE0EEEvT1_.num_vgpr, 3
	.set _ZN7rocprim17ROCPRIM_400000_NS6detail17trampoline_kernelINS0_14default_configENS1_25transform_config_selectorIiLb0EEEZNS1_14transform_implILb0ES3_S5_PiN6thrust23THRUST_200600_302600_NS10device_ptrIiEENS0_8identityIiEEEE10hipError_tT2_T3_mT4_P12ihipStream_tbEUlT_E_NS1_11comp_targetILNS1_3genE8ELNS1_11target_archE1030ELNS1_3gpuE2ELNS1_3repE0EEENS1_30default_config_static_selectorELNS0_4arch9wavefront6targetE0EEEvT1_.num_agpr, 0
	.set _ZN7rocprim17ROCPRIM_400000_NS6detail17trampoline_kernelINS0_14default_configENS1_25transform_config_selectorIiLb0EEEZNS1_14transform_implILb0ES3_S5_PiN6thrust23THRUST_200600_302600_NS10device_ptrIiEENS0_8identityIiEEEE10hipError_tT2_T3_mT4_P12ihipStream_tbEUlT_E_NS1_11comp_targetILNS1_3genE8ELNS1_11target_archE1030ELNS1_3gpuE2ELNS1_3repE0EEENS1_30default_config_static_selectorELNS0_4arch9wavefront6targetE0EEEvT1_.numbered_sgpr, 12
	.set _ZN7rocprim17ROCPRIM_400000_NS6detail17trampoline_kernelINS0_14default_configENS1_25transform_config_selectorIiLb0EEEZNS1_14transform_implILb0ES3_S5_PiN6thrust23THRUST_200600_302600_NS10device_ptrIiEENS0_8identityIiEEEE10hipError_tT2_T3_mT4_P12ihipStream_tbEUlT_E_NS1_11comp_targetILNS1_3genE8ELNS1_11target_archE1030ELNS1_3gpuE2ELNS1_3repE0EEENS1_30default_config_static_selectorELNS0_4arch9wavefront6targetE0EEEvT1_.num_named_barrier, 0
	.set _ZN7rocprim17ROCPRIM_400000_NS6detail17trampoline_kernelINS0_14default_configENS1_25transform_config_selectorIiLb0EEEZNS1_14transform_implILb0ES3_S5_PiN6thrust23THRUST_200600_302600_NS10device_ptrIiEENS0_8identityIiEEEE10hipError_tT2_T3_mT4_P12ihipStream_tbEUlT_E_NS1_11comp_targetILNS1_3genE8ELNS1_11target_archE1030ELNS1_3gpuE2ELNS1_3repE0EEENS1_30default_config_static_selectorELNS0_4arch9wavefront6targetE0EEEvT1_.private_seg_size, 0
	.set _ZN7rocprim17ROCPRIM_400000_NS6detail17trampoline_kernelINS0_14default_configENS1_25transform_config_selectorIiLb0EEEZNS1_14transform_implILb0ES3_S5_PiN6thrust23THRUST_200600_302600_NS10device_ptrIiEENS0_8identityIiEEEE10hipError_tT2_T3_mT4_P12ihipStream_tbEUlT_E_NS1_11comp_targetILNS1_3genE8ELNS1_11target_archE1030ELNS1_3gpuE2ELNS1_3repE0EEENS1_30default_config_static_selectorELNS0_4arch9wavefront6targetE0EEEvT1_.uses_vcc, 1
	.set _ZN7rocprim17ROCPRIM_400000_NS6detail17trampoline_kernelINS0_14default_configENS1_25transform_config_selectorIiLb0EEEZNS1_14transform_implILb0ES3_S5_PiN6thrust23THRUST_200600_302600_NS10device_ptrIiEENS0_8identityIiEEEE10hipError_tT2_T3_mT4_P12ihipStream_tbEUlT_E_NS1_11comp_targetILNS1_3genE8ELNS1_11target_archE1030ELNS1_3gpuE2ELNS1_3repE0EEENS1_30default_config_static_selectorELNS0_4arch9wavefront6targetE0EEEvT1_.uses_flat_scratch, 0
	.set _ZN7rocprim17ROCPRIM_400000_NS6detail17trampoline_kernelINS0_14default_configENS1_25transform_config_selectorIiLb0EEEZNS1_14transform_implILb0ES3_S5_PiN6thrust23THRUST_200600_302600_NS10device_ptrIiEENS0_8identityIiEEEE10hipError_tT2_T3_mT4_P12ihipStream_tbEUlT_E_NS1_11comp_targetILNS1_3genE8ELNS1_11target_archE1030ELNS1_3gpuE2ELNS1_3repE0EEENS1_30default_config_static_selectorELNS0_4arch9wavefront6targetE0EEEvT1_.has_dyn_sized_stack, 0
	.set _ZN7rocprim17ROCPRIM_400000_NS6detail17trampoline_kernelINS0_14default_configENS1_25transform_config_selectorIiLb0EEEZNS1_14transform_implILb0ES3_S5_PiN6thrust23THRUST_200600_302600_NS10device_ptrIiEENS0_8identityIiEEEE10hipError_tT2_T3_mT4_P12ihipStream_tbEUlT_E_NS1_11comp_targetILNS1_3genE8ELNS1_11target_archE1030ELNS1_3gpuE2ELNS1_3repE0EEENS1_30default_config_static_selectorELNS0_4arch9wavefront6targetE0EEEvT1_.has_recursion, 0
	.set _ZN7rocprim17ROCPRIM_400000_NS6detail17trampoline_kernelINS0_14default_configENS1_25transform_config_selectorIiLb0EEEZNS1_14transform_implILb0ES3_S5_PiN6thrust23THRUST_200600_302600_NS10device_ptrIiEENS0_8identityIiEEEE10hipError_tT2_T3_mT4_P12ihipStream_tbEUlT_E_NS1_11comp_targetILNS1_3genE8ELNS1_11target_archE1030ELNS1_3gpuE2ELNS1_3repE0EEENS1_30default_config_static_selectorELNS0_4arch9wavefront6targetE0EEEvT1_.has_indirect_call, 0
	.section	.AMDGPU.csdata,"",@progbits
; Kernel info:
; codeLenInByte = 172
; TotalNumSgprs: 14
; NumVgprs: 3
; ScratchSize: 0
; MemoryBound: 0
; FloatMode: 240
; IeeeMode: 1
; LDSByteSize: 0 bytes/workgroup (compile time only)
; SGPRBlocks: 0
; VGPRBlocks: 0
; NumSGPRsForWavesPerEU: 14
; NumVGPRsForWavesPerEU: 3
; Occupancy: 16
; WaveLimiterHint : 0
; COMPUTE_PGM_RSRC2:SCRATCH_EN: 0
; COMPUTE_PGM_RSRC2:USER_SGPR: 6
; COMPUTE_PGM_RSRC2:TRAP_HANDLER: 0
; COMPUTE_PGM_RSRC2:TGID_X_EN: 1
; COMPUTE_PGM_RSRC2:TGID_Y_EN: 0
; COMPUTE_PGM_RSRC2:TGID_Z_EN: 0
; COMPUTE_PGM_RSRC2:TIDIG_COMP_CNT: 0
	.section	.text._ZN7rocprim17ROCPRIM_400000_NS6detail17trampoline_kernelINS0_14default_configENS1_38merge_sort_block_merge_config_selectorIiNS0_10empty_typeEEEZZNS1_27merge_sort_block_merge_implIS3_N6thrust23THRUST_200600_302600_NS10device_ptrIiEEPS5_jNS1_19radix_merge_compareILb0ELb1EiNS0_19identity_decomposerEEEEE10hipError_tT0_T1_T2_jT3_P12ihipStream_tbPNSt15iterator_traitsISH_E10value_typeEPNSN_ISI_E10value_typeEPSJ_NS1_7vsmem_tEENKUlT_SH_SI_SJ_E_clIPiSB_SC_SC_EESG_SW_SH_SI_SJ_EUlSW_E_NS1_11comp_targetILNS1_3genE0ELNS1_11target_archE4294967295ELNS1_3gpuE0ELNS1_3repE0EEENS1_48merge_mergepath_partition_config_static_selectorELNS0_4arch9wavefront6targetE0EEEvSI_,"axG",@progbits,_ZN7rocprim17ROCPRIM_400000_NS6detail17trampoline_kernelINS0_14default_configENS1_38merge_sort_block_merge_config_selectorIiNS0_10empty_typeEEEZZNS1_27merge_sort_block_merge_implIS3_N6thrust23THRUST_200600_302600_NS10device_ptrIiEEPS5_jNS1_19radix_merge_compareILb0ELb1EiNS0_19identity_decomposerEEEEE10hipError_tT0_T1_T2_jT3_P12ihipStream_tbPNSt15iterator_traitsISH_E10value_typeEPNSN_ISI_E10value_typeEPSJ_NS1_7vsmem_tEENKUlT_SH_SI_SJ_E_clIPiSB_SC_SC_EESG_SW_SH_SI_SJ_EUlSW_E_NS1_11comp_targetILNS1_3genE0ELNS1_11target_archE4294967295ELNS1_3gpuE0ELNS1_3repE0EEENS1_48merge_mergepath_partition_config_static_selectorELNS0_4arch9wavefront6targetE0EEEvSI_,comdat
	.protected	_ZN7rocprim17ROCPRIM_400000_NS6detail17trampoline_kernelINS0_14default_configENS1_38merge_sort_block_merge_config_selectorIiNS0_10empty_typeEEEZZNS1_27merge_sort_block_merge_implIS3_N6thrust23THRUST_200600_302600_NS10device_ptrIiEEPS5_jNS1_19radix_merge_compareILb0ELb1EiNS0_19identity_decomposerEEEEE10hipError_tT0_T1_T2_jT3_P12ihipStream_tbPNSt15iterator_traitsISH_E10value_typeEPNSN_ISI_E10value_typeEPSJ_NS1_7vsmem_tEENKUlT_SH_SI_SJ_E_clIPiSB_SC_SC_EESG_SW_SH_SI_SJ_EUlSW_E_NS1_11comp_targetILNS1_3genE0ELNS1_11target_archE4294967295ELNS1_3gpuE0ELNS1_3repE0EEENS1_48merge_mergepath_partition_config_static_selectorELNS0_4arch9wavefront6targetE0EEEvSI_ ; -- Begin function _ZN7rocprim17ROCPRIM_400000_NS6detail17trampoline_kernelINS0_14default_configENS1_38merge_sort_block_merge_config_selectorIiNS0_10empty_typeEEEZZNS1_27merge_sort_block_merge_implIS3_N6thrust23THRUST_200600_302600_NS10device_ptrIiEEPS5_jNS1_19radix_merge_compareILb0ELb1EiNS0_19identity_decomposerEEEEE10hipError_tT0_T1_T2_jT3_P12ihipStream_tbPNSt15iterator_traitsISH_E10value_typeEPNSN_ISI_E10value_typeEPSJ_NS1_7vsmem_tEENKUlT_SH_SI_SJ_E_clIPiSB_SC_SC_EESG_SW_SH_SI_SJ_EUlSW_E_NS1_11comp_targetILNS1_3genE0ELNS1_11target_archE4294967295ELNS1_3gpuE0ELNS1_3repE0EEENS1_48merge_mergepath_partition_config_static_selectorELNS0_4arch9wavefront6targetE0EEEvSI_
	.globl	_ZN7rocprim17ROCPRIM_400000_NS6detail17trampoline_kernelINS0_14default_configENS1_38merge_sort_block_merge_config_selectorIiNS0_10empty_typeEEEZZNS1_27merge_sort_block_merge_implIS3_N6thrust23THRUST_200600_302600_NS10device_ptrIiEEPS5_jNS1_19radix_merge_compareILb0ELb1EiNS0_19identity_decomposerEEEEE10hipError_tT0_T1_T2_jT3_P12ihipStream_tbPNSt15iterator_traitsISH_E10value_typeEPNSN_ISI_E10value_typeEPSJ_NS1_7vsmem_tEENKUlT_SH_SI_SJ_E_clIPiSB_SC_SC_EESG_SW_SH_SI_SJ_EUlSW_E_NS1_11comp_targetILNS1_3genE0ELNS1_11target_archE4294967295ELNS1_3gpuE0ELNS1_3repE0EEENS1_48merge_mergepath_partition_config_static_selectorELNS0_4arch9wavefront6targetE0EEEvSI_
	.p2align	8
	.type	_ZN7rocprim17ROCPRIM_400000_NS6detail17trampoline_kernelINS0_14default_configENS1_38merge_sort_block_merge_config_selectorIiNS0_10empty_typeEEEZZNS1_27merge_sort_block_merge_implIS3_N6thrust23THRUST_200600_302600_NS10device_ptrIiEEPS5_jNS1_19radix_merge_compareILb0ELb1EiNS0_19identity_decomposerEEEEE10hipError_tT0_T1_T2_jT3_P12ihipStream_tbPNSt15iterator_traitsISH_E10value_typeEPNSN_ISI_E10value_typeEPSJ_NS1_7vsmem_tEENKUlT_SH_SI_SJ_E_clIPiSB_SC_SC_EESG_SW_SH_SI_SJ_EUlSW_E_NS1_11comp_targetILNS1_3genE0ELNS1_11target_archE4294967295ELNS1_3gpuE0ELNS1_3repE0EEENS1_48merge_mergepath_partition_config_static_selectorELNS0_4arch9wavefront6targetE0EEEvSI_,@function
_ZN7rocprim17ROCPRIM_400000_NS6detail17trampoline_kernelINS0_14default_configENS1_38merge_sort_block_merge_config_selectorIiNS0_10empty_typeEEEZZNS1_27merge_sort_block_merge_implIS3_N6thrust23THRUST_200600_302600_NS10device_ptrIiEEPS5_jNS1_19radix_merge_compareILb0ELb1EiNS0_19identity_decomposerEEEEE10hipError_tT0_T1_T2_jT3_P12ihipStream_tbPNSt15iterator_traitsISH_E10value_typeEPNSN_ISI_E10value_typeEPSJ_NS1_7vsmem_tEENKUlT_SH_SI_SJ_E_clIPiSB_SC_SC_EESG_SW_SH_SI_SJ_EUlSW_E_NS1_11comp_targetILNS1_3genE0ELNS1_11target_archE4294967295ELNS1_3gpuE0ELNS1_3repE0EEENS1_48merge_mergepath_partition_config_static_selectorELNS0_4arch9wavefront6targetE0EEEvSI_: ; @_ZN7rocprim17ROCPRIM_400000_NS6detail17trampoline_kernelINS0_14default_configENS1_38merge_sort_block_merge_config_selectorIiNS0_10empty_typeEEEZZNS1_27merge_sort_block_merge_implIS3_N6thrust23THRUST_200600_302600_NS10device_ptrIiEEPS5_jNS1_19radix_merge_compareILb0ELb1EiNS0_19identity_decomposerEEEEE10hipError_tT0_T1_T2_jT3_P12ihipStream_tbPNSt15iterator_traitsISH_E10value_typeEPNSN_ISI_E10value_typeEPSJ_NS1_7vsmem_tEENKUlT_SH_SI_SJ_E_clIPiSB_SC_SC_EESG_SW_SH_SI_SJ_EUlSW_E_NS1_11comp_targetILNS1_3genE0ELNS1_11target_archE4294967295ELNS1_3gpuE0ELNS1_3repE0EEENS1_48merge_mergepath_partition_config_static_selectorELNS0_4arch9wavefront6targetE0EEEvSI_
; %bb.0:
	.section	.rodata,"a",@progbits
	.p2align	6, 0x0
	.amdhsa_kernel _ZN7rocprim17ROCPRIM_400000_NS6detail17trampoline_kernelINS0_14default_configENS1_38merge_sort_block_merge_config_selectorIiNS0_10empty_typeEEEZZNS1_27merge_sort_block_merge_implIS3_N6thrust23THRUST_200600_302600_NS10device_ptrIiEEPS5_jNS1_19radix_merge_compareILb0ELb1EiNS0_19identity_decomposerEEEEE10hipError_tT0_T1_T2_jT3_P12ihipStream_tbPNSt15iterator_traitsISH_E10value_typeEPNSN_ISI_E10value_typeEPSJ_NS1_7vsmem_tEENKUlT_SH_SI_SJ_E_clIPiSB_SC_SC_EESG_SW_SH_SI_SJ_EUlSW_E_NS1_11comp_targetILNS1_3genE0ELNS1_11target_archE4294967295ELNS1_3gpuE0ELNS1_3repE0EEENS1_48merge_mergepath_partition_config_static_selectorELNS0_4arch9wavefront6targetE0EEEvSI_
		.amdhsa_group_segment_fixed_size 0
		.amdhsa_private_segment_fixed_size 0
		.amdhsa_kernarg_size 40
		.amdhsa_user_sgpr_count 6
		.amdhsa_user_sgpr_private_segment_buffer 1
		.amdhsa_user_sgpr_dispatch_ptr 0
		.amdhsa_user_sgpr_queue_ptr 0
		.amdhsa_user_sgpr_kernarg_segment_ptr 1
		.amdhsa_user_sgpr_dispatch_id 0
		.amdhsa_user_sgpr_flat_scratch_init 0
		.amdhsa_user_sgpr_private_segment_size 0
		.amdhsa_wavefront_size32 1
		.amdhsa_uses_dynamic_stack 0
		.amdhsa_system_sgpr_private_segment_wavefront_offset 0
		.amdhsa_system_sgpr_workgroup_id_x 1
		.amdhsa_system_sgpr_workgroup_id_y 0
		.amdhsa_system_sgpr_workgroup_id_z 0
		.amdhsa_system_sgpr_workgroup_info 0
		.amdhsa_system_vgpr_workitem_id 0
		.amdhsa_next_free_vgpr 1
		.amdhsa_next_free_sgpr 1
		.amdhsa_reserve_vcc 0
		.amdhsa_reserve_flat_scratch 0
		.amdhsa_float_round_mode_32 0
		.amdhsa_float_round_mode_16_64 0
		.amdhsa_float_denorm_mode_32 3
		.amdhsa_float_denorm_mode_16_64 3
		.amdhsa_dx10_clamp 1
		.amdhsa_ieee_mode 1
		.amdhsa_fp16_overflow 0
		.amdhsa_workgroup_processor_mode 1
		.amdhsa_memory_ordered 1
		.amdhsa_forward_progress 1
		.amdhsa_shared_vgpr_count 0
		.amdhsa_exception_fp_ieee_invalid_op 0
		.amdhsa_exception_fp_denorm_src 0
		.amdhsa_exception_fp_ieee_div_zero 0
		.amdhsa_exception_fp_ieee_overflow 0
		.amdhsa_exception_fp_ieee_underflow 0
		.amdhsa_exception_fp_ieee_inexact 0
		.amdhsa_exception_int_div_zero 0
	.end_amdhsa_kernel
	.section	.text._ZN7rocprim17ROCPRIM_400000_NS6detail17trampoline_kernelINS0_14default_configENS1_38merge_sort_block_merge_config_selectorIiNS0_10empty_typeEEEZZNS1_27merge_sort_block_merge_implIS3_N6thrust23THRUST_200600_302600_NS10device_ptrIiEEPS5_jNS1_19radix_merge_compareILb0ELb1EiNS0_19identity_decomposerEEEEE10hipError_tT0_T1_T2_jT3_P12ihipStream_tbPNSt15iterator_traitsISH_E10value_typeEPNSN_ISI_E10value_typeEPSJ_NS1_7vsmem_tEENKUlT_SH_SI_SJ_E_clIPiSB_SC_SC_EESG_SW_SH_SI_SJ_EUlSW_E_NS1_11comp_targetILNS1_3genE0ELNS1_11target_archE4294967295ELNS1_3gpuE0ELNS1_3repE0EEENS1_48merge_mergepath_partition_config_static_selectorELNS0_4arch9wavefront6targetE0EEEvSI_,"axG",@progbits,_ZN7rocprim17ROCPRIM_400000_NS6detail17trampoline_kernelINS0_14default_configENS1_38merge_sort_block_merge_config_selectorIiNS0_10empty_typeEEEZZNS1_27merge_sort_block_merge_implIS3_N6thrust23THRUST_200600_302600_NS10device_ptrIiEEPS5_jNS1_19radix_merge_compareILb0ELb1EiNS0_19identity_decomposerEEEEE10hipError_tT0_T1_T2_jT3_P12ihipStream_tbPNSt15iterator_traitsISH_E10value_typeEPNSN_ISI_E10value_typeEPSJ_NS1_7vsmem_tEENKUlT_SH_SI_SJ_E_clIPiSB_SC_SC_EESG_SW_SH_SI_SJ_EUlSW_E_NS1_11comp_targetILNS1_3genE0ELNS1_11target_archE4294967295ELNS1_3gpuE0ELNS1_3repE0EEENS1_48merge_mergepath_partition_config_static_selectorELNS0_4arch9wavefront6targetE0EEEvSI_,comdat
.Lfunc_end1169:
	.size	_ZN7rocprim17ROCPRIM_400000_NS6detail17trampoline_kernelINS0_14default_configENS1_38merge_sort_block_merge_config_selectorIiNS0_10empty_typeEEEZZNS1_27merge_sort_block_merge_implIS3_N6thrust23THRUST_200600_302600_NS10device_ptrIiEEPS5_jNS1_19radix_merge_compareILb0ELb1EiNS0_19identity_decomposerEEEEE10hipError_tT0_T1_T2_jT3_P12ihipStream_tbPNSt15iterator_traitsISH_E10value_typeEPNSN_ISI_E10value_typeEPSJ_NS1_7vsmem_tEENKUlT_SH_SI_SJ_E_clIPiSB_SC_SC_EESG_SW_SH_SI_SJ_EUlSW_E_NS1_11comp_targetILNS1_3genE0ELNS1_11target_archE4294967295ELNS1_3gpuE0ELNS1_3repE0EEENS1_48merge_mergepath_partition_config_static_selectorELNS0_4arch9wavefront6targetE0EEEvSI_, .Lfunc_end1169-_ZN7rocprim17ROCPRIM_400000_NS6detail17trampoline_kernelINS0_14default_configENS1_38merge_sort_block_merge_config_selectorIiNS0_10empty_typeEEEZZNS1_27merge_sort_block_merge_implIS3_N6thrust23THRUST_200600_302600_NS10device_ptrIiEEPS5_jNS1_19radix_merge_compareILb0ELb1EiNS0_19identity_decomposerEEEEE10hipError_tT0_T1_T2_jT3_P12ihipStream_tbPNSt15iterator_traitsISH_E10value_typeEPNSN_ISI_E10value_typeEPSJ_NS1_7vsmem_tEENKUlT_SH_SI_SJ_E_clIPiSB_SC_SC_EESG_SW_SH_SI_SJ_EUlSW_E_NS1_11comp_targetILNS1_3genE0ELNS1_11target_archE4294967295ELNS1_3gpuE0ELNS1_3repE0EEENS1_48merge_mergepath_partition_config_static_selectorELNS0_4arch9wavefront6targetE0EEEvSI_
                                        ; -- End function
	.set _ZN7rocprim17ROCPRIM_400000_NS6detail17trampoline_kernelINS0_14default_configENS1_38merge_sort_block_merge_config_selectorIiNS0_10empty_typeEEEZZNS1_27merge_sort_block_merge_implIS3_N6thrust23THRUST_200600_302600_NS10device_ptrIiEEPS5_jNS1_19radix_merge_compareILb0ELb1EiNS0_19identity_decomposerEEEEE10hipError_tT0_T1_T2_jT3_P12ihipStream_tbPNSt15iterator_traitsISH_E10value_typeEPNSN_ISI_E10value_typeEPSJ_NS1_7vsmem_tEENKUlT_SH_SI_SJ_E_clIPiSB_SC_SC_EESG_SW_SH_SI_SJ_EUlSW_E_NS1_11comp_targetILNS1_3genE0ELNS1_11target_archE4294967295ELNS1_3gpuE0ELNS1_3repE0EEENS1_48merge_mergepath_partition_config_static_selectorELNS0_4arch9wavefront6targetE0EEEvSI_.num_vgpr, 0
	.set _ZN7rocprim17ROCPRIM_400000_NS6detail17trampoline_kernelINS0_14default_configENS1_38merge_sort_block_merge_config_selectorIiNS0_10empty_typeEEEZZNS1_27merge_sort_block_merge_implIS3_N6thrust23THRUST_200600_302600_NS10device_ptrIiEEPS5_jNS1_19radix_merge_compareILb0ELb1EiNS0_19identity_decomposerEEEEE10hipError_tT0_T1_T2_jT3_P12ihipStream_tbPNSt15iterator_traitsISH_E10value_typeEPNSN_ISI_E10value_typeEPSJ_NS1_7vsmem_tEENKUlT_SH_SI_SJ_E_clIPiSB_SC_SC_EESG_SW_SH_SI_SJ_EUlSW_E_NS1_11comp_targetILNS1_3genE0ELNS1_11target_archE4294967295ELNS1_3gpuE0ELNS1_3repE0EEENS1_48merge_mergepath_partition_config_static_selectorELNS0_4arch9wavefront6targetE0EEEvSI_.num_agpr, 0
	.set _ZN7rocprim17ROCPRIM_400000_NS6detail17trampoline_kernelINS0_14default_configENS1_38merge_sort_block_merge_config_selectorIiNS0_10empty_typeEEEZZNS1_27merge_sort_block_merge_implIS3_N6thrust23THRUST_200600_302600_NS10device_ptrIiEEPS5_jNS1_19radix_merge_compareILb0ELb1EiNS0_19identity_decomposerEEEEE10hipError_tT0_T1_T2_jT3_P12ihipStream_tbPNSt15iterator_traitsISH_E10value_typeEPNSN_ISI_E10value_typeEPSJ_NS1_7vsmem_tEENKUlT_SH_SI_SJ_E_clIPiSB_SC_SC_EESG_SW_SH_SI_SJ_EUlSW_E_NS1_11comp_targetILNS1_3genE0ELNS1_11target_archE4294967295ELNS1_3gpuE0ELNS1_3repE0EEENS1_48merge_mergepath_partition_config_static_selectorELNS0_4arch9wavefront6targetE0EEEvSI_.numbered_sgpr, 0
	.set _ZN7rocprim17ROCPRIM_400000_NS6detail17trampoline_kernelINS0_14default_configENS1_38merge_sort_block_merge_config_selectorIiNS0_10empty_typeEEEZZNS1_27merge_sort_block_merge_implIS3_N6thrust23THRUST_200600_302600_NS10device_ptrIiEEPS5_jNS1_19radix_merge_compareILb0ELb1EiNS0_19identity_decomposerEEEEE10hipError_tT0_T1_T2_jT3_P12ihipStream_tbPNSt15iterator_traitsISH_E10value_typeEPNSN_ISI_E10value_typeEPSJ_NS1_7vsmem_tEENKUlT_SH_SI_SJ_E_clIPiSB_SC_SC_EESG_SW_SH_SI_SJ_EUlSW_E_NS1_11comp_targetILNS1_3genE0ELNS1_11target_archE4294967295ELNS1_3gpuE0ELNS1_3repE0EEENS1_48merge_mergepath_partition_config_static_selectorELNS0_4arch9wavefront6targetE0EEEvSI_.num_named_barrier, 0
	.set _ZN7rocprim17ROCPRIM_400000_NS6detail17trampoline_kernelINS0_14default_configENS1_38merge_sort_block_merge_config_selectorIiNS0_10empty_typeEEEZZNS1_27merge_sort_block_merge_implIS3_N6thrust23THRUST_200600_302600_NS10device_ptrIiEEPS5_jNS1_19radix_merge_compareILb0ELb1EiNS0_19identity_decomposerEEEEE10hipError_tT0_T1_T2_jT3_P12ihipStream_tbPNSt15iterator_traitsISH_E10value_typeEPNSN_ISI_E10value_typeEPSJ_NS1_7vsmem_tEENKUlT_SH_SI_SJ_E_clIPiSB_SC_SC_EESG_SW_SH_SI_SJ_EUlSW_E_NS1_11comp_targetILNS1_3genE0ELNS1_11target_archE4294967295ELNS1_3gpuE0ELNS1_3repE0EEENS1_48merge_mergepath_partition_config_static_selectorELNS0_4arch9wavefront6targetE0EEEvSI_.private_seg_size, 0
	.set _ZN7rocprim17ROCPRIM_400000_NS6detail17trampoline_kernelINS0_14default_configENS1_38merge_sort_block_merge_config_selectorIiNS0_10empty_typeEEEZZNS1_27merge_sort_block_merge_implIS3_N6thrust23THRUST_200600_302600_NS10device_ptrIiEEPS5_jNS1_19radix_merge_compareILb0ELb1EiNS0_19identity_decomposerEEEEE10hipError_tT0_T1_T2_jT3_P12ihipStream_tbPNSt15iterator_traitsISH_E10value_typeEPNSN_ISI_E10value_typeEPSJ_NS1_7vsmem_tEENKUlT_SH_SI_SJ_E_clIPiSB_SC_SC_EESG_SW_SH_SI_SJ_EUlSW_E_NS1_11comp_targetILNS1_3genE0ELNS1_11target_archE4294967295ELNS1_3gpuE0ELNS1_3repE0EEENS1_48merge_mergepath_partition_config_static_selectorELNS0_4arch9wavefront6targetE0EEEvSI_.uses_vcc, 0
	.set _ZN7rocprim17ROCPRIM_400000_NS6detail17trampoline_kernelINS0_14default_configENS1_38merge_sort_block_merge_config_selectorIiNS0_10empty_typeEEEZZNS1_27merge_sort_block_merge_implIS3_N6thrust23THRUST_200600_302600_NS10device_ptrIiEEPS5_jNS1_19radix_merge_compareILb0ELb1EiNS0_19identity_decomposerEEEEE10hipError_tT0_T1_T2_jT3_P12ihipStream_tbPNSt15iterator_traitsISH_E10value_typeEPNSN_ISI_E10value_typeEPSJ_NS1_7vsmem_tEENKUlT_SH_SI_SJ_E_clIPiSB_SC_SC_EESG_SW_SH_SI_SJ_EUlSW_E_NS1_11comp_targetILNS1_3genE0ELNS1_11target_archE4294967295ELNS1_3gpuE0ELNS1_3repE0EEENS1_48merge_mergepath_partition_config_static_selectorELNS0_4arch9wavefront6targetE0EEEvSI_.uses_flat_scratch, 0
	.set _ZN7rocprim17ROCPRIM_400000_NS6detail17trampoline_kernelINS0_14default_configENS1_38merge_sort_block_merge_config_selectorIiNS0_10empty_typeEEEZZNS1_27merge_sort_block_merge_implIS3_N6thrust23THRUST_200600_302600_NS10device_ptrIiEEPS5_jNS1_19radix_merge_compareILb0ELb1EiNS0_19identity_decomposerEEEEE10hipError_tT0_T1_T2_jT3_P12ihipStream_tbPNSt15iterator_traitsISH_E10value_typeEPNSN_ISI_E10value_typeEPSJ_NS1_7vsmem_tEENKUlT_SH_SI_SJ_E_clIPiSB_SC_SC_EESG_SW_SH_SI_SJ_EUlSW_E_NS1_11comp_targetILNS1_3genE0ELNS1_11target_archE4294967295ELNS1_3gpuE0ELNS1_3repE0EEENS1_48merge_mergepath_partition_config_static_selectorELNS0_4arch9wavefront6targetE0EEEvSI_.has_dyn_sized_stack, 0
	.set _ZN7rocprim17ROCPRIM_400000_NS6detail17trampoline_kernelINS0_14default_configENS1_38merge_sort_block_merge_config_selectorIiNS0_10empty_typeEEEZZNS1_27merge_sort_block_merge_implIS3_N6thrust23THRUST_200600_302600_NS10device_ptrIiEEPS5_jNS1_19radix_merge_compareILb0ELb1EiNS0_19identity_decomposerEEEEE10hipError_tT0_T1_T2_jT3_P12ihipStream_tbPNSt15iterator_traitsISH_E10value_typeEPNSN_ISI_E10value_typeEPSJ_NS1_7vsmem_tEENKUlT_SH_SI_SJ_E_clIPiSB_SC_SC_EESG_SW_SH_SI_SJ_EUlSW_E_NS1_11comp_targetILNS1_3genE0ELNS1_11target_archE4294967295ELNS1_3gpuE0ELNS1_3repE0EEENS1_48merge_mergepath_partition_config_static_selectorELNS0_4arch9wavefront6targetE0EEEvSI_.has_recursion, 0
	.set _ZN7rocprim17ROCPRIM_400000_NS6detail17trampoline_kernelINS0_14default_configENS1_38merge_sort_block_merge_config_selectorIiNS0_10empty_typeEEEZZNS1_27merge_sort_block_merge_implIS3_N6thrust23THRUST_200600_302600_NS10device_ptrIiEEPS5_jNS1_19radix_merge_compareILb0ELb1EiNS0_19identity_decomposerEEEEE10hipError_tT0_T1_T2_jT3_P12ihipStream_tbPNSt15iterator_traitsISH_E10value_typeEPNSN_ISI_E10value_typeEPSJ_NS1_7vsmem_tEENKUlT_SH_SI_SJ_E_clIPiSB_SC_SC_EESG_SW_SH_SI_SJ_EUlSW_E_NS1_11comp_targetILNS1_3genE0ELNS1_11target_archE4294967295ELNS1_3gpuE0ELNS1_3repE0EEENS1_48merge_mergepath_partition_config_static_selectorELNS0_4arch9wavefront6targetE0EEEvSI_.has_indirect_call, 0
	.section	.AMDGPU.csdata,"",@progbits
; Kernel info:
; codeLenInByte = 0
; TotalNumSgprs: 0
; NumVgprs: 0
; ScratchSize: 0
; MemoryBound: 0
; FloatMode: 240
; IeeeMode: 1
; LDSByteSize: 0 bytes/workgroup (compile time only)
; SGPRBlocks: 0
; VGPRBlocks: 0
; NumSGPRsForWavesPerEU: 1
; NumVGPRsForWavesPerEU: 1
; Occupancy: 16
; WaveLimiterHint : 0
; COMPUTE_PGM_RSRC2:SCRATCH_EN: 0
; COMPUTE_PGM_RSRC2:USER_SGPR: 6
; COMPUTE_PGM_RSRC2:TRAP_HANDLER: 0
; COMPUTE_PGM_RSRC2:TGID_X_EN: 1
; COMPUTE_PGM_RSRC2:TGID_Y_EN: 0
; COMPUTE_PGM_RSRC2:TGID_Z_EN: 0
; COMPUTE_PGM_RSRC2:TIDIG_COMP_CNT: 0
	.section	.text._ZN7rocprim17ROCPRIM_400000_NS6detail17trampoline_kernelINS0_14default_configENS1_38merge_sort_block_merge_config_selectorIiNS0_10empty_typeEEEZZNS1_27merge_sort_block_merge_implIS3_N6thrust23THRUST_200600_302600_NS10device_ptrIiEEPS5_jNS1_19radix_merge_compareILb0ELb1EiNS0_19identity_decomposerEEEEE10hipError_tT0_T1_T2_jT3_P12ihipStream_tbPNSt15iterator_traitsISH_E10value_typeEPNSN_ISI_E10value_typeEPSJ_NS1_7vsmem_tEENKUlT_SH_SI_SJ_E_clIPiSB_SC_SC_EESG_SW_SH_SI_SJ_EUlSW_E_NS1_11comp_targetILNS1_3genE10ELNS1_11target_archE1201ELNS1_3gpuE5ELNS1_3repE0EEENS1_48merge_mergepath_partition_config_static_selectorELNS0_4arch9wavefront6targetE0EEEvSI_,"axG",@progbits,_ZN7rocprim17ROCPRIM_400000_NS6detail17trampoline_kernelINS0_14default_configENS1_38merge_sort_block_merge_config_selectorIiNS0_10empty_typeEEEZZNS1_27merge_sort_block_merge_implIS3_N6thrust23THRUST_200600_302600_NS10device_ptrIiEEPS5_jNS1_19radix_merge_compareILb0ELb1EiNS0_19identity_decomposerEEEEE10hipError_tT0_T1_T2_jT3_P12ihipStream_tbPNSt15iterator_traitsISH_E10value_typeEPNSN_ISI_E10value_typeEPSJ_NS1_7vsmem_tEENKUlT_SH_SI_SJ_E_clIPiSB_SC_SC_EESG_SW_SH_SI_SJ_EUlSW_E_NS1_11comp_targetILNS1_3genE10ELNS1_11target_archE1201ELNS1_3gpuE5ELNS1_3repE0EEENS1_48merge_mergepath_partition_config_static_selectorELNS0_4arch9wavefront6targetE0EEEvSI_,comdat
	.protected	_ZN7rocprim17ROCPRIM_400000_NS6detail17trampoline_kernelINS0_14default_configENS1_38merge_sort_block_merge_config_selectorIiNS0_10empty_typeEEEZZNS1_27merge_sort_block_merge_implIS3_N6thrust23THRUST_200600_302600_NS10device_ptrIiEEPS5_jNS1_19radix_merge_compareILb0ELb1EiNS0_19identity_decomposerEEEEE10hipError_tT0_T1_T2_jT3_P12ihipStream_tbPNSt15iterator_traitsISH_E10value_typeEPNSN_ISI_E10value_typeEPSJ_NS1_7vsmem_tEENKUlT_SH_SI_SJ_E_clIPiSB_SC_SC_EESG_SW_SH_SI_SJ_EUlSW_E_NS1_11comp_targetILNS1_3genE10ELNS1_11target_archE1201ELNS1_3gpuE5ELNS1_3repE0EEENS1_48merge_mergepath_partition_config_static_selectorELNS0_4arch9wavefront6targetE0EEEvSI_ ; -- Begin function _ZN7rocprim17ROCPRIM_400000_NS6detail17trampoline_kernelINS0_14default_configENS1_38merge_sort_block_merge_config_selectorIiNS0_10empty_typeEEEZZNS1_27merge_sort_block_merge_implIS3_N6thrust23THRUST_200600_302600_NS10device_ptrIiEEPS5_jNS1_19radix_merge_compareILb0ELb1EiNS0_19identity_decomposerEEEEE10hipError_tT0_T1_T2_jT3_P12ihipStream_tbPNSt15iterator_traitsISH_E10value_typeEPNSN_ISI_E10value_typeEPSJ_NS1_7vsmem_tEENKUlT_SH_SI_SJ_E_clIPiSB_SC_SC_EESG_SW_SH_SI_SJ_EUlSW_E_NS1_11comp_targetILNS1_3genE10ELNS1_11target_archE1201ELNS1_3gpuE5ELNS1_3repE0EEENS1_48merge_mergepath_partition_config_static_selectorELNS0_4arch9wavefront6targetE0EEEvSI_
	.globl	_ZN7rocprim17ROCPRIM_400000_NS6detail17trampoline_kernelINS0_14default_configENS1_38merge_sort_block_merge_config_selectorIiNS0_10empty_typeEEEZZNS1_27merge_sort_block_merge_implIS3_N6thrust23THRUST_200600_302600_NS10device_ptrIiEEPS5_jNS1_19radix_merge_compareILb0ELb1EiNS0_19identity_decomposerEEEEE10hipError_tT0_T1_T2_jT3_P12ihipStream_tbPNSt15iterator_traitsISH_E10value_typeEPNSN_ISI_E10value_typeEPSJ_NS1_7vsmem_tEENKUlT_SH_SI_SJ_E_clIPiSB_SC_SC_EESG_SW_SH_SI_SJ_EUlSW_E_NS1_11comp_targetILNS1_3genE10ELNS1_11target_archE1201ELNS1_3gpuE5ELNS1_3repE0EEENS1_48merge_mergepath_partition_config_static_selectorELNS0_4arch9wavefront6targetE0EEEvSI_
	.p2align	8
	.type	_ZN7rocprim17ROCPRIM_400000_NS6detail17trampoline_kernelINS0_14default_configENS1_38merge_sort_block_merge_config_selectorIiNS0_10empty_typeEEEZZNS1_27merge_sort_block_merge_implIS3_N6thrust23THRUST_200600_302600_NS10device_ptrIiEEPS5_jNS1_19radix_merge_compareILb0ELb1EiNS0_19identity_decomposerEEEEE10hipError_tT0_T1_T2_jT3_P12ihipStream_tbPNSt15iterator_traitsISH_E10value_typeEPNSN_ISI_E10value_typeEPSJ_NS1_7vsmem_tEENKUlT_SH_SI_SJ_E_clIPiSB_SC_SC_EESG_SW_SH_SI_SJ_EUlSW_E_NS1_11comp_targetILNS1_3genE10ELNS1_11target_archE1201ELNS1_3gpuE5ELNS1_3repE0EEENS1_48merge_mergepath_partition_config_static_selectorELNS0_4arch9wavefront6targetE0EEEvSI_,@function
_ZN7rocprim17ROCPRIM_400000_NS6detail17trampoline_kernelINS0_14default_configENS1_38merge_sort_block_merge_config_selectorIiNS0_10empty_typeEEEZZNS1_27merge_sort_block_merge_implIS3_N6thrust23THRUST_200600_302600_NS10device_ptrIiEEPS5_jNS1_19radix_merge_compareILb0ELb1EiNS0_19identity_decomposerEEEEE10hipError_tT0_T1_T2_jT3_P12ihipStream_tbPNSt15iterator_traitsISH_E10value_typeEPNSN_ISI_E10value_typeEPSJ_NS1_7vsmem_tEENKUlT_SH_SI_SJ_E_clIPiSB_SC_SC_EESG_SW_SH_SI_SJ_EUlSW_E_NS1_11comp_targetILNS1_3genE10ELNS1_11target_archE1201ELNS1_3gpuE5ELNS1_3repE0EEENS1_48merge_mergepath_partition_config_static_selectorELNS0_4arch9wavefront6targetE0EEEvSI_: ; @_ZN7rocprim17ROCPRIM_400000_NS6detail17trampoline_kernelINS0_14default_configENS1_38merge_sort_block_merge_config_selectorIiNS0_10empty_typeEEEZZNS1_27merge_sort_block_merge_implIS3_N6thrust23THRUST_200600_302600_NS10device_ptrIiEEPS5_jNS1_19radix_merge_compareILb0ELb1EiNS0_19identity_decomposerEEEEE10hipError_tT0_T1_T2_jT3_P12ihipStream_tbPNSt15iterator_traitsISH_E10value_typeEPNSN_ISI_E10value_typeEPSJ_NS1_7vsmem_tEENKUlT_SH_SI_SJ_E_clIPiSB_SC_SC_EESG_SW_SH_SI_SJ_EUlSW_E_NS1_11comp_targetILNS1_3genE10ELNS1_11target_archE1201ELNS1_3gpuE5ELNS1_3repE0EEENS1_48merge_mergepath_partition_config_static_selectorELNS0_4arch9wavefront6targetE0EEEvSI_
; %bb.0:
	.section	.rodata,"a",@progbits
	.p2align	6, 0x0
	.amdhsa_kernel _ZN7rocprim17ROCPRIM_400000_NS6detail17trampoline_kernelINS0_14default_configENS1_38merge_sort_block_merge_config_selectorIiNS0_10empty_typeEEEZZNS1_27merge_sort_block_merge_implIS3_N6thrust23THRUST_200600_302600_NS10device_ptrIiEEPS5_jNS1_19radix_merge_compareILb0ELb1EiNS0_19identity_decomposerEEEEE10hipError_tT0_T1_T2_jT3_P12ihipStream_tbPNSt15iterator_traitsISH_E10value_typeEPNSN_ISI_E10value_typeEPSJ_NS1_7vsmem_tEENKUlT_SH_SI_SJ_E_clIPiSB_SC_SC_EESG_SW_SH_SI_SJ_EUlSW_E_NS1_11comp_targetILNS1_3genE10ELNS1_11target_archE1201ELNS1_3gpuE5ELNS1_3repE0EEENS1_48merge_mergepath_partition_config_static_selectorELNS0_4arch9wavefront6targetE0EEEvSI_
		.amdhsa_group_segment_fixed_size 0
		.amdhsa_private_segment_fixed_size 0
		.amdhsa_kernarg_size 40
		.amdhsa_user_sgpr_count 6
		.amdhsa_user_sgpr_private_segment_buffer 1
		.amdhsa_user_sgpr_dispatch_ptr 0
		.amdhsa_user_sgpr_queue_ptr 0
		.amdhsa_user_sgpr_kernarg_segment_ptr 1
		.amdhsa_user_sgpr_dispatch_id 0
		.amdhsa_user_sgpr_flat_scratch_init 0
		.amdhsa_user_sgpr_private_segment_size 0
		.amdhsa_wavefront_size32 1
		.amdhsa_uses_dynamic_stack 0
		.amdhsa_system_sgpr_private_segment_wavefront_offset 0
		.amdhsa_system_sgpr_workgroup_id_x 1
		.amdhsa_system_sgpr_workgroup_id_y 0
		.amdhsa_system_sgpr_workgroup_id_z 0
		.amdhsa_system_sgpr_workgroup_info 0
		.amdhsa_system_vgpr_workitem_id 0
		.amdhsa_next_free_vgpr 1
		.amdhsa_next_free_sgpr 1
		.amdhsa_reserve_vcc 0
		.amdhsa_reserve_flat_scratch 0
		.amdhsa_float_round_mode_32 0
		.amdhsa_float_round_mode_16_64 0
		.amdhsa_float_denorm_mode_32 3
		.amdhsa_float_denorm_mode_16_64 3
		.amdhsa_dx10_clamp 1
		.amdhsa_ieee_mode 1
		.amdhsa_fp16_overflow 0
		.amdhsa_workgroup_processor_mode 1
		.amdhsa_memory_ordered 1
		.amdhsa_forward_progress 1
		.amdhsa_shared_vgpr_count 0
		.amdhsa_exception_fp_ieee_invalid_op 0
		.amdhsa_exception_fp_denorm_src 0
		.amdhsa_exception_fp_ieee_div_zero 0
		.amdhsa_exception_fp_ieee_overflow 0
		.amdhsa_exception_fp_ieee_underflow 0
		.amdhsa_exception_fp_ieee_inexact 0
		.amdhsa_exception_int_div_zero 0
	.end_amdhsa_kernel
	.section	.text._ZN7rocprim17ROCPRIM_400000_NS6detail17trampoline_kernelINS0_14default_configENS1_38merge_sort_block_merge_config_selectorIiNS0_10empty_typeEEEZZNS1_27merge_sort_block_merge_implIS3_N6thrust23THRUST_200600_302600_NS10device_ptrIiEEPS5_jNS1_19radix_merge_compareILb0ELb1EiNS0_19identity_decomposerEEEEE10hipError_tT0_T1_T2_jT3_P12ihipStream_tbPNSt15iterator_traitsISH_E10value_typeEPNSN_ISI_E10value_typeEPSJ_NS1_7vsmem_tEENKUlT_SH_SI_SJ_E_clIPiSB_SC_SC_EESG_SW_SH_SI_SJ_EUlSW_E_NS1_11comp_targetILNS1_3genE10ELNS1_11target_archE1201ELNS1_3gpuE5ELNS1_3repE0EEENS1_48merge_mergepath_partition_config_static_selectorELNS0_4arch9wavefront6targetE0EEEvSI_,"axG",@progbits,_ZN7rocprim17ROCPRIM_400000_NS6detail17trampoline_kernelINS0_14default_configENS1_38merge_sort_block_merge_config_selectorIiNS0_10empty_typeEEEZZNS1_27merge_sort_block_merge_implIS3_N6thrust23THRUST_200600_302600_NS10device_ptrIiEEPS5_jNS1_19radix_merge_compareILb0ELb1EiNS0_19identity_decomposerEEEEE10hipError_tT0_T1_T2_jT3_P12ihipStream_tbPNSt15iterator_traitsISH_E10value_typeEPNSN_ISI_E10value_typeEPSJ_NS1_7vsmem_tEENKUlT_SH_SI_SJ_E_clIPiSB_SC_SC_EESG_SW_SH_SI_SJ_EUlSW_E_NS1_11comp_targetILNS1_3genE10ELNS1_11target_archE1201ELNS1_3gpuE5ELNS1_3repE0EEENS1_48merge_mergepath_partition_config_static_selectorELNS0_4arch9wavefront6targetE0EEEvSI_,comdat
.Lfunc_end1170:
	.size	_ZN7rocprim17ROCPRIM_400000_NS6detail17trampoline_kernelINS0_14default_configENS1_38merge_sort_block_merge_config_selectorIiNS0_10empty_typeEEEZZNS1_27merge_sort_block_merge_implIS3_N6thrust23THRUST_200600_302600_NS10device_ptrIiEEPS5_jNS1_19radix_merge_compareILb0ELb1EiNS0_19identity_decomposerEEEEE10hipError_tT0_T1_T2_jT3_P12ihipStream_tbPNSt15iterator_traitsISH_E10value_typeEPNSN_ISI_E10value_typeEPSJ_NS1_7vsmem_tEENKUlT_SH_SI_SJ_E_clIPiSB_SC_SC_EESG_SW_SH_SI_SJ_EUlSW_E_NS1_11comp_targetILNS1_3genE10ELNS1_11target_archE1201ELNS1_3gpuE5ELNS1_3repE0EEENS1_48merge_mergepath_partition_config_static_selectorELNS0_4arch9wavefront6targetE0EEEvSI_, .Lfunc_end1170-_ZN7rocprim17ROCPRIM_400000_NS6detail17trampoline_kernelINS0_14default_configENS1_38merge_sort_block_merge_config_selectorIiNS0_10empty_typeEEEZZNS1_27merge_sort_block_merge_implIS3_N6thrust23THRUST_200600_302600_NS10device_ptrIiEEPS5_jNS1_19radix_merge_compareILb0ELb1EiNS0_19identity_decomposerEEEEE10hipError_tT0_T1_T2_jT3_P12ihipStream_tbPNSt15iterator_traitsISH_E10value_typeEPNSN_ISI_E10value_typeEPSJ_NS1_7vsmem_tEENKUlT_SH_SI_SJ_E_clIPiSB_SC_SC_EESG_SW_SH_SI_SJ_EUlSW_E_NS1_11comp_targetILNS1_3genE10ELNS1_11target_archE1201ELNS1_3gpuE5ELNS1_3repE0EEENS1_48merge_mergepath_partition_config_static_selectorELNS0_4arch9wavefront6targetE0EEEvSI_
                                        ; -- End function
	.set _ZN7rocprim17ROCPRIM_400000_NS6detail17trampoline_kernelINS0_14default_configENS1_38merge_sort_block_merge_config_selectorIiNS0_10empty_typeEEEZZNS1_27merge_sort_block_merge_implIS3_N6thrust23THRUST_200600_302600_NS10device_ptrIiEEPS5_jNS1_19radix_merge_compareILb0ELb1EiNS0_19identity_decomposerEEEEE10hipError_tT0_T1_T2_jT3_P12ihipStream_tbPNSt15iterator_traitsISH_E10value_typeEPNSN_ISI_E10value_typeEPSJ_NS1_7vsmem_tEENKUlT_SH_SI_SJ_E_clIPiSB_SC_SC_EESG_SW_SH_SI_SJ_EUlSW_E_NS1_11comp_targetILNS1_3genE10ELNS1_11target_archE1201ELNS1_3gpuE5ELNS1_3repE0EEENS1_48merge_mergepath_partition_config_static_selectorELNS0_4arch9wavefront6targetE0EEEvSI_.num_vgpr, 0
	.set _ZN7rocprim17ROCPRIM_400000_NS6detail17trampoline_kernelINS0_14default_configENS1_38merge_sort_block_merge_config_selectorIiNS0_10empty_typeEEEZZNS1_27merge_sort_block_merge_implIS3_N6thrust23THRUST_200600_302600_NS10device_ptrIiEEPS5_jNS1_19radix_merge_compareILb0ELb1EiNS0_19identity_decomposerEEEEE10hipError_tT0_T1_T2_jT3_P12ihipStream_tbPNSt15iterator_traitsISH_E10value_typeEPNSN_ISI_E10value_typeEPSJ_NS1_7vsmem_tEENKUlT_SH_SI_SJ_E_clIPiSB_SC_SC_EESG_SW_SH_SI_SJ_EUlSW_E_NS1_11comp_targetILNS1_3genE10ELNS1_11target_archE1201ELNS1_3gpuE5ELNS1_3repE0EEENS1_48merge_mergepath_partition_config_static_selectorELNS0_4arch9wavefront6targetE0EEEvSI_.num_agpr, 0
	.set _ZN7rocprim17ROCPRIM_400000_NS6detail17trampoline_kernelINS0_14default_configENS1_38merge_sort_block_merge_config_selectorIiNS0_10empty_typeEEEZZNS1_27merge_sort_block_merge_implIS3_N6thrust23THRUST_200600_302600_NS10device_ptrIiEEPS5_jNS1_19radix_merge_compareILb0ELb1EiNS0_19identity_decomposerEEEEE10hipError_tT0_T1_T2_jT3_P12ihipStream_tbPNSt15iterator_traitsISH_E10value_typeEPNSN_ISI_E10value_typeEPSJ_NS1_7vsmem_tEENKUlT_SH_SI_SJ_E_clIPiSB_SC_SC_EESG_SW_SH_SI_SJ_EUlSW_E_NS1_11comp_targetILNS1_3genE10ELNS1_11target_archE1201ELNS1_3gpuE5ELNS1_3repE0EEENS1_48merge_mergepath_partition_config_static_selectorELNS0_4arch9wavefront6targetE0EEEvSI_.numbered_sgpr, 0
	.set _ZN7rocprim17ROCPRIM_400000_NS6detail17trampoline_kernelINS0_14default_configENS1_38merge_sort_block_merge_config_selectorIiNS0_10empty_typeEEEZZNS1_27merge_sort_block_merge_implIS3_N6thrust23THRUST_200600_302600_NS10device_ptrIiEEPS5_jNS1_19radix_merge_compareILb0ELb1EiNS0_19identity_decomposerEEEEE10hipError_tT0_T1_T2_jT3_P12ihipStream_tbPNSt15iterator_traitsISH_E10value_typeEPNSN_ISI_E10value_typeEPSJ_NS1_7vsmem_tEENKUlT_SH_SI_SJ_E_clIPiSB_SC_SC_EESG_SW_SH_SI_SJ_EUlSW_E_NS1_11comp_targetILNS1_3genE10ELNS1_11target_archE1201ELNS1_3gpuE5ELNS1_3repE0EEENS1_48merge_mergepath_partition_config_static_selectorELNS0_4arch9wavefront6targetE0EEEvSI_.num_named_barrier, 0
	.set _ZN7rocprim17ROCPRIM_400000_NS6detail17trampoline_kernelINS0_14default_configENS1_38merge_sort_block_merge_config_selectorIiNS0_10empty_typeEEEZZNS1_27merge_sort_block_merge_implIS3_N6thrust23THRUST_200600_302600_NS10device_ptrIiEEPS5_jNS1_19radix_merge_compareILb0ELb1EiNS0_19identity_decomposerEEEEE10hipError_tT0_T1_T2_jT3_P12ihipStream_tbPNSt15iterator_traitsISH_E10value_typeEPNSN_ISI_E10value_typeEPSJ_NS1_7vsmem_tEENKUlT_SH_SI_SJ_E_clIPiSB_SC_SC_EESG_SW_SH_SI_SJ_EUlSW_E_NS1_11comp_targetILNS1_3genE10ELNS1_11target_archE1201ELNS1_3gpuE5ELNS1_3repE0EEENS1_48merge_mergepath_partition_config_static_selectorELNS0_4arch9wavefront6targetE0EEEvSI_.private_seg_size, 0
	.set _ZN7rocprim17ROCPRIM_400000_NS6detail17trampoline_kernelINS0_14default_configENS1_38merge_sort_block_merge_config_selectorIiNS0_10empty_typeEEEZZNS1_27merge_sort_block_merge_implIS3_N6thrust23THRUST_200600_302600_NS10device_ptrIiEEPS5_jNS1_19radix_merge_compareILb0ELb1EiNS0_19identity_decomposerEEEEE10hipError_tT0_T1_T2_jT3_P12ihipStream_tbPNSt15iterator_traitsISH_E10value_typeEPNSN_ISI_E10value_typeEPSJ_NS1_7vsmem_tEENKUlT_SH_SI_SJ_E_clIPiSB_SC_SC_EESG_SW_SH_SI_SJ_EUlSW_E_NS1_11comp_targetILNS1_3genE10ELNS1_11target_archE1201ELNS1_3gpuE5ELNS1_3repE0EEENS1_48merge_mergepath_partition_config_static_selectorELNS0_4arch9wavefront6targetE0EEEvSI_.uses_vcc, 0
	.set _ZN7rocprim17ROCPRIM_400000_NS6detail17trampoline_kernelINS0_14default_configENS1_38merge_sort_block_merge_config_selectorIiNS0_10empty_typeEEEZZNS1_27merge_sort_block_merge_implIS3_N6thrust23THRUST_200600_302600_NS10device_ptrIiEEPS5_jNS1_19radix_merge_compareILb0ELb1EiNS0_19identity_decomposerEEEEE10hipError_tT0_T1_T2_jT3_P12ihipStream_tbPNSt15iterator_traitsISH_E10value_typeEPNSN_ISI_E10value_typeEPSJ_NS1_7vsmem_tEENKUlT_SH_SI_SJ_E_clIPiSB_SC_SC_EESG_SW_SH_SI_SJ_EUlSW_E_NS1_11comp_targetILNS1_3genE10ELNS1_11target_archE1201ELNS1_3gpuE5ELNS1_3repE0EEENS1_48merge_mergepath_partition_config_static_selectorELNS0_4arch9wavefront6targetE0EEEvSI_.uses_flat_scratch, 0
	.set _ZN7rocprim17ROCPRIM_400000_NS6detail17trampoline_kernelINS0_14default_configENS1_38merge_sort_block_merge_config_selectorIiNS0_10empty_typeEEEZZNS1_27merge_sort_block_merge_implIS3_N6thrust23THRUST_200600_302600_NS10device_ptrIiEEPS5_jNS1_19radix_merge_compareILb0ELb1EiNS0_19identity_decomposerEEEEE10hipError_tT0_T1_T2_jT3_P12ihipStream_tbPNSt15iterator_traitsISH_E10value_typeEPNSN_ISI_E10value_typeEPSJ_NS1_7vsmem_tEENKUlT_SH_SI_SJ_E_clIPiSB_SC_SC_EESG_SW_SH_SI_SJ_EUlSW_E_NS1_11comp_targetILNS1_3genE10ELNS1_11target_archE1201ELNS1_3gpuE5ELNS1_3repE0EEENS1_48merge_mergepath_partition_config_static_selectorELNS0_4arch9wavefront6targetE0EEEvSI_.has_dyn_sized_stack, 0
	.set _ZN7rocprim17ROCPRIM_400000_NS6detail17trampoline_kernelINS0_14default_configENS1_38merge_sort_block_merge_config_selectorIiNS0_10empty_typeEEEZZNS1_27merge_sort_block_merge_implIS3_N6thrust23THRUST_200600_302600_NS10device_ptrIiEEPS5_jNS1_19radix_merge_compareILb0ELb1EiNS0_19identity_decomposerEEEEE10hipError_tT0_T1_T2_jT3_P12ihipStream_tbPNSt15iterator_traitsISH_E10value_typeEPNSN_ISI_E10value_typeEPSJ_NS1_7vsmem_tEENKUlT_SH_SI_SJ_E_clIPiSB_SC_SC_EESG_SW_SH_SI_SJ_EUlSW_E_NS1_11comp_targetILNS1_3genE10ELNS1_11target_archE1201ELNS1_3gpuE5ELNS1_3repE0EEENS1_48merge_mergepath_partition_config_static_selectorELNS0_4arch9wavefront6targetE0EEEvSI_.has_recursion, 0
	.set _ZN7rocprim17ROCPRIM_400000_NS6detail17trampoline_kernelINS0_14default_configENS1_38merge_sort_block_merge_config_selectorIiNS0_10empty_typeEEEZZNS1_27merge_sort_block_merge_implIS3_N6thrust23THRUST_200600_302600_NS10device_ptrIiEEPS5_jNS1_19radix_merge_compareILb0ELb1EiNS0_19identity_decomposerEEEEE10hipError_tT0_T1_T2_jT3_P12ihipStream_tbPNSt15iterator_traitsISH_E10value_typeEPNSN_ISI_E10value_typeEPSJ_NS1_7vsmem_tEENKUlT_SH_SI_SJ_E_clIPiSB_SC_SC_EESG_SW_SH_SI_SJ_EUlSW_E_NS1_11comp_targetILNS1_3genE10ELNS1_11target_archE1201ELNS1_3gpuE5ELNS1_3repE0EEENS1_48merge_mergepath_partition_config_static_selectorELNS0_4arch9wavefront6targetE0EEEvSI_.has_indirect_call, 0
	.section	.AMDGPU.csdata,"",@progbits
; Kernel info:
; codeLenInByte = 0
; TotalNumSgprs: 0
; NumVgprs: 0
; ScratchSize: 0
; MemoryBound: 0
; FloatMode: 240
; IeeeMode: 1
; LDSByteSize: 0 bytes/workgroup (compile time only)
; SGPRBlocks: 0
; VGPRBlocks: 0
; NumSGPRsForWavesPerEU: 1
; NumVGPRsForWavesPerEU: 1
; Occupancy: 16
; WaveLimiterHint : 0
; COMPUTE_PGM_RSRC2:SCRATCH_EN: 0
; COMPUTE_PGM_RSRC2:USER_SGPR: 6
; COMPUTE_PGM_RSRC2:TRAP_HANDLER: 0
; COMPUTE_PGM_RSRC2:TGID_X_EN: 1
; COMPUTE_PGM_RSRC2:TGID_Y_EN: 0
; COMPUTE_PGM_RSRC2:TGID_Z_EN: 0
; COMPUTE_PGM_RSRC2:TIDIG_COMP_CNT: 0
	.section	.text._ZN7rocprim17ROCPRIM_400000_NS6detail17trampoline_kernelINS0_14default_configENS1_38merge_sort_block_merge_config_selectorIiNS0_10empty_typeEEEZZNS1_27merge_sort_block_merge_implIS3_N6thrust23THRUST_200600_302600_NS10device_ptrIiEEPS5_jNS1_19radix_merge_compareILb0ELb1EiNS0_19identity_decomposerEEEEE10hipError_tT0_T1_T2_jT3_P12ihipStream_tbPNSt15iterator_traitsISH_E10value_typeEPNSN_ISI_E10value_typeEPSJ_NS1_7vsmem_tEENKUlT_SH_SI_SJ_E_clIPiSB_SC_SC_EESG_SW_SH_SI_SJ_EUlSW_E_NS1_11comp_targetILNS1_3genE5ELNS1_11target_archE942ELNS1_3gpuE9ELNS1_3repE0EEENS1_48merge_mergepath_partition_config_static_selectorELNS0_4arch9wavefront6targetE0EEEvSI_,"axG",@progbits,_ZN7rocprim17ROCPRIM_400000_NS6detail17trampoline_kernelINS0_14default_configENS1_38merge_sort_block_merge_config_selectorIiNS0_10empty_typeEEEZZNS1_27merge_sort_block_merge_implIS3_N6thrust23THRUST_200600_302600_NS10device_ptrIiEEPS5_jNS1_19radix_merge_compareILb0ELb1EiNS0_19identity_decomposerEEEEE10hipError_tT0_T1_T2_jT3_P12ihipStream_tbPNSt15iterator_traitsISH_E10value_typeEPNSN_ISI_E10value_typeEPSJ_NS1_7vsmem_tEENKUlT_SH_SI_SJ_E_clIPiSB_SC_SC_EESG_SW_SH_SI_SJ_EUlSW_E_NS1_11comp_targetILNS1_3genE5ELNS1_11target_archE942ELNS1_3gpuE9ELNS1_3repE0EEENS1_48merge_mergepath_partition_config_static_selectorELNS0_4arch9wavefront6targetE0EEEvSI_,comdat
	.protected	_ZN7rocprim17ROCPRIM_400000_NS6detail17trampoline_kernelINS0_14default_configENS1_38merge_sort_block_merge_config_selectorIiNS0_10empty_typeEEEZZNS1_27merge_sort_block_merge_implIS3_N6thrust23THRUST_200600_302600_NS10device_ptrIiEEPS5_jNS1_19radix_merge_compareILb0ELb1EiNS0_19identity_decomposerEEEEE10hipError_tT0_T1_T2_jT3_P12ihipStream_tbPNSt15iterator_traitsISH_E10value_typeEPNSN_ISI_E10value_typeEPSJ_NS1_7vsmem_tEENKUlT_SH_SI_SJ_E_clIPiSB_SC_SC_EESG_SW_SH_SI_SJ_EUlSW_E_NS1_11comp_targetILNS1_3genE5ELNS1_11target_archE942ELNS1_3gpuE9ELNS1_3repE0EEENS1_48merge_mergepath_partition_config_static_selectorELNS0_4arch9wavefront6targetE0EEEvSI_ ; -- Begin function _ZN7rocprim17ROCPRIM_400000_NS6detail17trampoline_kernelINS0_14default_configENS1_38merge_sort_block_merge_config_selectorIiNS0_10empty_typeEEEZZNS1_27merge_sort_block_merge_implIS3_N6thrust23THRUST_200600_302600_NS10device_ptrIiEEPS5_jNS1_19radix_merge_compareILb0ELb1EiNS0_19identity_decomposerEEEEE10hipError_tT0_T1_T2_jT3_P12ihipStream_tbPNSt15iterator_traitsISH_E10value_typeEPNSN_ISI_E10value_typeEPSJ_NS1_7vsmem_tEENKUlT_SH_SI_SJ_E_clIPiSB_SC_SC_EESG_SW_SH_SI_SJ_EUlSW_E_NS1_11comp_targetILNS1_3genE5ELNS1_11target_archE942ELNS1_3gpuE9ELNS1_3repE0EEENS1_48merge_mergepath_partition_config_static_selectorELNS0_4arch9wavefront6targetE0EEEvSI_
	.globl	_ZN7rocprim17ROCPRIM_400000_NS6detail17trampoline_kernelINS0_14default_configENS1_38merge_sort_block_merge_config_selectorIiNS0_10empty_typeEEEZZNS1_27merge_sort_block_merge_implIS3_N6thrust23THRUST_200600_302600_NS10device_ptrIiEEPS5_jNS1_19radix_merge_compareILb0ELb1EiNS0_19identity_decomposerEEEEE10hipError_tT0_T1_T2_jT3_P12ihipStream_tbPNSt15iterator_traitsISH_E10value_typeEPNSN_ISI_E10value_typeEPSJ_NS1_7vsmem_tEENKUlT_SH_SI_SJ_E_clIPiSB_SC_SC_EESG_SW_SH_SI_SJ_EUlSW_E_NS1_11comp_targetILNS1_3genE5ELNS1_11target_archE942ELNS1_3gpuE9ELNS1_3repE0EEENS1_48merge_mergepath_partition_config_static_selectorELNS0_4arch9wavefront6targetE0EEEvSI_
	.p2align	8
	.type	_ZN7rocprim17ROCPRIM_400000_NS6detail17trampoline_kernelINS0_14default_configENS1_38merge_sort_block_merge_config_selectorIiNS0_10empty_typeEEEZZNS1_27merge_sort_block_merge_implIS3_N6thrust23THRUST_200600_302600_NS10device_ptrIiEEPS5_jNS1_19radix_merge_compareILb0ELb1EiNS0_19identity_decomposerEEEEE10hipError_tT0_T1_T2_jT3_P12ihipStream_tbPNSt15iterator_traitsISH_E10value_typeEPNSN_ISI_E10value_typeEPSJ_NS1_7vsmem_tEENKUlT_SH_SI_SJ_E_clIPiSB_SC_SC_EESG_SW_SH_SI_SJ_EUlSW_E_NS1_11comp_targetILNS1_3genE5ELNS1_11target_archE942ELNS1_3gpuE9ELNS1_3repE0EEENS1_48merge_mergepath_partition_config_static_selectorELNS0_4arch9wavefront6targetE0EEEvSI_,@function
_ZN7rocprim17ROCPRIM_400000_NS6detail17trampoline_kernelINS0_14default_configENS1_38merge_sort_block_merge_config_selectorIiNS0_10empty_typeEEEZZNS1_27merge_sort_block_merge_implIS3_N6thrust23THRUST_200600_302600_NS10device_ptrIiEEPS5_jNS1_19radix_merge_compareILb0ELb1EiNS0_19identity_decomposerEEEEE10hipError_tT0_T1_T2_jT3_P12ihipStream_tbPNSt15iterator_traitsISH_E10value_typeEPNSN_ISI_E10value_typeEPSJ_NS1_7vsmem_tEENKUlT_SH_SI_SJ_E_clIPiSB_SC_SC_EESG_SW_SH_SI_SJ_EUlSW_E_NS1_11comp_targetILNS1_3genE5ELNS1_11target_archE942ELNS1_3gpuE9ELNS1_3repE0EEENS1_48merge_mergepath_partition_config_static_selectorELNS0_4arch9wavefront6targetE0EEEvSI_: ; @_ZN7rocprim17ROCPRIM_400000_NS6detail17trampoline_kernelINS0_14default_configENS1_38merge_sort_block_merge_config_selectorIiNS0_10empty_typeEEEZZNS1_27merge_sort_block_merge_implIS3_N6thrust23THRUST_200600_302600_NS10device_ptrIiEEPS5_jNS1_19radix_merge_compareILb0ELb1EiNS0_19identity_decomposerEEEEE10hipError_tT0_T1_T2_jT3_P12ihipStream_tbPNSt15iterator_traitsISH_E10value_typeEPNSN_ISI_E10value_typeEPSJ_NS1_7vsmem_tEENKUlT_SH_SI_SJ_E_clIPiSB_SC_SC_EESG_SW_SH_SI_SJ_EUlSW_E_NS1_11comp_targetILNS1_3genE5ELNS1_11target_archE942ELNS1_3gpuE9ELNS1_3repE0EEENS1_48merge_mergepath_partition_config_static_selectorELNS0_4arch9wavefront6targetE0EEEvSI_
; %bb.0:
	.section	.rodata,"a",@progbits
	.p2align	6, 0x0
	.amdhsa_kernel _ZN7rocprim17ROCPRIM_400000_NS6detail17trampoline_kernelINS0_14default_configENS1_38merge_sort_block_merge_config_selectorIiNS0_10empty_typeEEEZZNS1_27merge_sort_block_merge_implIS3_N6thrust23THRUST_200600_302600_NS10device_ptrIiEEPS5_jNS1_19radix_merge_compareILb0ELb1EiNS0_19identity_decomposerEEEEE10hipError_tT0_T1_T2_jT3_P12ihipStream_tbPNSt15iterator_traitsISH_E10value_typeEPNSN_ISI_E10value_typeEPSJ_NS1_7vsmem_tEENKUlT_SH_SI_SJ_E_clIPiSB_SC_SC_EESG_SW_SH_SI_SJ_EUlSW_E_NS1_11comp_targetILNS1_3genE5ELNS1_11target_archE942ELNS1_3gpuE9ELNS1_3repE0EEENS1_48merge_mergepath_partition_config_static_selectorELNS0_4arch9wavefront6targetE0EEEvSI_
		.amdhsa_group_segment_fixed_size 0
		.amdhsa_private_segment_fixed_size 0
		.amdhsa_kernarg_size 40
		.amdhsa_user_sgpr_count 6
		.amdhsa_user_sgpr_private_segment_buffer 1
		.amdhsa_user_sgpr_dispatch_ptr 0
		.amdhsa_user_sgpr_queue_ptr 0
		.amdhsa_user_sgpr_kernarg_segment_ptr 1
		.amdhsa_user_sgpr_dispatch_id 0
		.amdhsa_user_sgpr_flat_scratch_init 0
		.amdhsa_user_sgpr_private_segment_size 0
		.amdhsa_wavefront_size32 1
		.amdhsa_uses_dynamic_stack 0
		.amdhsa_system_sgpr_private_segment_wavefront_offset 0
		.amdhsa_system_sgpr_workgroup_id_x 1
		.amdhsa_system_sgpr_workgroup_id_y 0
		.amdhsa_system_sgpr_workgroup_id_z 0
		.amdhsa_system_sgpr_workgroup_info 0
		.amdhsa_system_vgpr_workitem_id 0
		.amdhsa_next_free_vgpr 1
		.amdhsa_next_free_sgpr 1
		.amdhsa_reserve_vcc 0
		.amdhsa_reserve_flat_scratch 0
		.amdhsa_float_round_mode_32 0
		.amdhsa_float_round_mode_16_64 0
		.amdhsa_float_denorm_mode_32 3
		.amdhsa_float_denorm_mode_16_64 3
		.amdhsa_dx10_clamp 1
		.amdhsa_ieee_mode 1
		.amdhsa_fp16_overflow 0
		.amdhsa_workgroup_processor_mode 1
		.amdhsa_memory_ordered 1
		.amdhsa_forward_progress 1
		.amdhsa_shared_vgpr_count 0
		.amdhsa_exception_fp_ieee_invalid_op 0
		.amdhsa_exception_fp_denorm_src 0
		.amdhsa_exception_fp_ieee_div_zero 0
		.amdhsa_exception_fp_ieee_overflow 0
		.amdhsa_exception_fp_ieee_underflow 0
		.amdhsa_exception_fp_ieee_inexact 0
		.amdhsa_exception_int_div_zero 0
	.end_amdhsa_kernel
	.section	.text._ZN7rocprim17ROCPRIM_400000_NS6detail17trampoline_kernelINS0_14default_configENS1_38merge_sort_block_merge_config_selectorIiNS0_10empty_typeEEEZZNS1_27merge_sort_block_merge_implIS3_N6thrust23THRUST_200600_302600_NS10device_ptrIiEEPS5_jNS1_19radix_merge_compareILb0ELb1EiNS0_19identity_decomposerEEEEE10hipError_tT0_T1_T2_jT3_P12ihipStream_tbPNSt15iterator_traitsISH_E10value_typeEPNSN_ISI_E10value_typeEPSJ_NS1_7vsmem_tEENKUlT_SH_SI_SJ_E_clIPiSB_SC_SC_EESG_SW_SH_SI_SJ_EUlSW_E_NS1_11comp_targetILNS1_3genE5ELNS1_11target_archE942ELNS1_3gpuE9ELNS1_3repE0EEENS1_48merge_mergepath_partition_config_static_selectorELNS0_4arch9wavefront6targetE0EEEvSI_,"axG",@progbits,_ZN7rocprim17ROCPRIM_400000_NS6detail17trampoline_kernelINS0_14default_configENS1_38merge_sort_block_merge_config_selectorIiNS0_10empty_typeEEEZZNS1_27merge_sort_block_merge_implIS3_N6thrust23THRUST_200600_302600_NS10device_ptrIiEEPS5_jNS1_19radix_merge_compareILb0ELb1EiNS0_19identity_decomposerEEEEE10hipError_tT0_T1_T2_jT3_P12ihipStream_tbPNSt15iterator_traitsISH_E10value_typeEPNSN_ISI_E10value_typeEPSJ_NS1_7vsmem_tEENKUlT_SH_SI_SJ_E_clIPiSB_SC_SC_EESG_SW_SH_SI_SJ_EUlSW_E_NS1_11comp_targetILNS1_3genE5ELNS1_11target_archE942ELNS1_3gpuE9ELNS1_3repE0EEENS1_48merge_mergepath_partition_config_static_selectorELNS0_4arch9wavefront6targetE0EEEvSI_,comdat
.Lfunc_end1171:
	.size	_ZN7rocprim17ROCPRIM_400000_NS6detail17trampoline_kernelINS0_14default_configENS1_38merge_sort_block_merge_config_selectorIiNS0_10empty_typeEEEZZNS1_27merge_sort_block_merge_implIS3_N6thrust23THRUST_200600_302600_NS10device_ptrIiEEPS5_jNS1_19radix_merge_compareILb0ELb1EiNS0_19identity_decomposerEEEEE10hipError_tT0_T1_T2_jT3_P12ihipStream_tbPNSt15iterator_traitsISH_E10value_typeEPNSN_ISI_E10value_typeEPSJ_NS1_7vsmem_tEENKUlT_SH_SI_SJ_E_clIPiSB_SC_SC_EESG_SW_SH_SI_SJ_EUlSW_E_NS1_11comp_targetILNS1_3genE5ELNS1_11target_archE942ELNS1_3gpuE9ELNS1_3repE0EEENS1_48merge_mergepath_partition_config_static_selectorELNS0_4arch9wavefront6targetE0EEEvSI_, .Lfunc_end1171-_ZN7rocprim17ROCPRIM_400000_NS6detail17trampoline_kernelINS0_14default_configENS1_38merge_sort_block_merge_config_selectorIiNS0_10empty_typeEEEZZNS1_27merge_sort_block_merge_implIS3_N6thrust23THRUST_200600_302600_NS10device_ptrIiEEPS5_jNS1_19radix_merge_compareILb0ELb1EiNS0_19identity_decomposerEEEEE10hipError_tT0_T1_T2_jT3_P12ihipStream_tbPNSt15iterator_traitsISH_E10value_typeEPNSN_ISI_E10value_typeEPSJ_NS1_7vsmem_tEENKUlT_SH_SI_SJ_E_clIPiSB_SC_SC_EESG_SW_SH_SI_SJ_EUlSW_E_NS1_11comp_targetILNS1_3genE5ELNS1_11target_archE942ELNS1_3gpuE9ELNS1_3repE0EEENS1_48merge_mergepath_partition_config_static_selectorELNS0_4arch9wavefront6targetE0EEEvSI_
                                        ; -- End function
	.set _ZN7rocprim17ROCPRIM_400000_NS6detail17trampoline_kernelINS0_14default_configENS1_38merge_sort_block_merge_config_selectorIiNS0_10empty_typeEEEZZNS1_27merge_sort_block_merge_implIS3_N6thrust23THRUST_200600_302600_NS10device_ptrIiEEPS5_jNS1_19radix_merge_compareILb0ELb1EiNS0_19identity_decomposerEEEEE10hipError_tT0_T1_T2_jT3_P12ihipStream_tbPNSt15iterator_traitsISH_E10value_typeEPNSN_ISI_E10value_typeEPSJ_NS1_7vsmem_tEENKUlT_SH_SI_SJ_E_clIPiSB_SC_SC_EESG_SW_SH_SI_SJ_EUlSW_E_NS1_11comp_targetILNS1_3genE5ELNS1_11target_archE942ELNS1_3gpuE9ELNS1_3repE0EEENS1_48merge_mergepath_partition_config_static_selectorELNS0_4arch9wavefront6targetE0EEEvSI_.num_vgpr, 0
	.set _ZN7rocprim17ROCPRIM_400000_NS6detail17trampoline_kernelINS0_14default_configENS1_38merge_sort_block_merge_config_selectorIiNS0_10empty_typeEEEZZNS1_27merge_sort_block_merge_implIS3_N6thrust23THRUST_200600_302600_NS10device_ptrIiEEPS5_jNS1_19radix_merge_compareILb0ELb1EiNS0_19identity_decomposerEEEEE10hipError_tT0_T1_T2_jT3_P12ihipStream_tbPNSt15iterator_traitsISH_E10value_typeEPNSN_ISI_E10value_typeEPSJ_NS1_7vsmem_tEENKUlT_SH_SI_SJ_E_clIPiSB_SC_SC_EESG_SW_SH_SI_SJ_EUlSW_E_NS1_11comp_targetILNS1_3genE5ELNS1_11target_archE942ELNS1_3gpuE9ELNS1_3repE0EEENS1_48merge_mergepath_partition_config_static_selectorELNS0_4arch9wavefront6targetE0EEEvSI_.num_agpr, 0
	.set _ZN7rocprim17ROCPRIM_400000_NS6detail17trampoline_kernelINS0_14default_configENS1_38merge_sort_block_merge_config_selectorIiNS0_10empty_typeEEEZZNS1_27merge_sort_block_merge_implIS3_N6thrust23THRUST_200600_302600_NS10device_ptrIiEEPS5_jNS1_19radix_merge_compareILb0ELb1EiNS0_19identity_decomposerEEEEE10hipError_tT0_T1_T2_jT3_P12ihipStream_tbPNSt15iterator_traitsISH_E10value_typeEPNSN_ISI_E10value_typeEPSJ_NS1_7vsmem_tEENKUlT_SH_SI_SJ_E_clIPiSB_SC_SC_EESG_SW_SH_SI_SJ_EUlSW_E_NS1_11comp_targetILNS1_3genE5ELNS1_11target_archE942ELNS1_3gpuE9ELNS1_3repE0EEENS1_48merge_mergepath_partition_config_static_selectorELNS0_4arch9wavefront6targetE0EEEvSI_.numbered_sgpr, 0
	.set _ZN7rocprim17ROCPRIM_400000_NS6detail17trampoline_kernelINS0_14default_configENS1_38merge_sort_block_merge_config_selectorIiNS0_10empty_typeEEEZZNS1_27merge_sort_block_merge_implIS3_N6thrust23THRUST_200600_302600_NS10device_ptrIiEEPS5_jNS1_19radix_merge_compareILb0ELb1EiNS0_19identity_decomposerEEEEE10hipError_tT0_T1_T2_jT3_P12ihipStream_tbPNSt15iterator_traitsISH_E10value_typeEPNSN_ISI_E10value_typeEPSJ_NS1_7vsmem_tEENKUlT_SH_SI_SJ_E_clIPiSB_SC_SC_EESG_SW_SH_SI_SJ_EUlSW_E_NS1_11comp_targetILNS1_3genE5ELNS1_11target_archE942ELNS1_3gpuE9ELNS1_3repE0EEENS1_48merge_mergepath_partition_config_static_selectorELNS0_4arch9wavefront6targetE0EEEvSI_.num_named_barrier, 0
	.set _ZN7rocprim17ROCPRIM_400000_NS6detail17trampoline_kernelINS0_14default_configENS1_38merge_sort_block_merge_config_selectorIiNS0_10empty_typeEEEZZNS1_27merge_sort_block_merge_implIS3_N6thrust23THRUST_200600_302600_NS10device_ptrIiEEPS5_jNS1_19radix_merge_compareILb0ELb1EiNS0_19identity_decomposerEEEEE10hipError_tT0_T1_T2_jT3_P12ihipStream_tbPNSt15iterator_traitsISH_E10value_typeEPNSN_ISI_E10value_typeEPSJ_NS1_7vsmem_tEENKUlT_SH_SI_SJ_E_clIPiSB_SC_SC_EESG_SW_SH_SI_SJ_EUlSW_E_NS1_11comp_targetILNS1_3genE5ELNS1_11target_archE942ELNS1_3gpuE9ELNS1_3repE0EEENS1_48merge_mergepath_partition_config_static_selectorELNS0_4arch9wavefront6targetE0EEEvSI_.private_seg_size, 0
	.set _ZN7rocprim17ROCPRIM_400000_NS6detail17trampoline_kernelINS0_14default_configENS1_38merge_sort_block_merge_config_selectorIiNS0_10empty_typeEEEZZNS1_27merge_sort_block_merge_implIS3_N6thrust23THRUST_200600_302600_NS10device_ptrIiEEPS5_jNS1_19radix_merge_compareILb0ELb1EiNS0_19identity_decomposerEEEEE10hipError_tT0_T1_T2_jT3_P12ihipStream_tbPNSt15iterator_traitsISH_E10value_typeEPNSN_ISI_E10value_typeEPSJ_NS1_7vsmem_tEENKUlT_SH_SI_SJ_E_clIPiSB_SC_SC_EESG_SW_SH_SI_SJ_EUlSW_E_NS1_11comp_targetILNS1_3genE5ELNS1_11target_archE942ELNS1_3gpuE9ELNS1_3repE0EEENS1_48merge_mergepath_partition_config_static_selectorELNS0_4arch9wavefront6targetE0EEEvSI_.uses_vcc, 0
	.set _ZN7rocprim17ROCPRIM_400000_NS6detail17trampoline_kernelINS0_14default_configENS1_38merge_sort_block_merge_config_selectorIiNS0_10empty_typeEEEZZNS1_27merge_sort_block_merge_implIS3_N6thrust23THRUST_200600_302600_NS10device_ptrIiEEPS5_jNS1_19radix_merge_compareILb0ELb1EiNS0_19identity_decomposerEEEEE10hipError_tT0_T1_T2_jT3_P12ihipStream_tbPNSt15iterator_traitsISH_E10value_typeEPNSN_ISI_E10value_typeEPSJ_NS1_7vsmem_tEENKUlT_SH_SI_SJ_E_clIPiSB_SC_SC_EESG_SW_SH_SI_SJ_EUlSW_E_NS1_11comp_targetILNS1_3genE5ELNS1_11target_archE942ELNS1_3gpuE9ELNS1_3repE0EEENS1_48merge_mergepath_partition_config_static_selectorELNS0_4arch9wavefront6targetE0EEEvSI_.uses_flat_scratch, 0
	.set _ZN7rocprim17ROCPRIM_400000_NS6detail17trampoline_kernelINS0_14default_configENS1_38merge_sort_block_merge_config_selectorIiNS0_10empty_typeEEEZZNS1_27merge_sort_block_merge_implIS3_N6thrust23THRUST_200600_302600_NS10device_ptrIiEEPS5_jNS1_19radix_merge_compareILb0ELb1EiNS0_19identity_decomposerEEEEE10hipError_tT0_T1_T2_jT3_P12ihipStream_tbPNSt15iterator_traitsISH_E10value_typeEPNSN_ISI_E10value_typeEPSJ_NS1_7vsmem_tEENKUlT_SH_SI_SJ_E_clIPiSB_SC_SC_EESG_SW_SH_SI_SJ_EUlSW_E_NS1_11comp_targetILNS1_3genE5ELNS1_11target_archE942ELNS1_3gpuE9ELNS1_3repE0EEENS1_48merge_mergepath_partition_config_static_selectorELNS0_4arch9wavefront6targetE0EEEvSI_.has_dyn_sized_stack, 0
	.set _ZN7rocprim17ROCPRIM_400000_NS6detail17trampoline_kernelINS0_14default_configENS1_38merge_sort_block_merge_config_selectorIiNS0_10empty_typeEEEZZNS1_27merge_sort_block_merge_implIS3_N6thrust23THRUST_200600_302600_NS10device_ptrIiEEPS5_jNS1_19radix_merge_compareILb0ELb1EiNS0_19identity_decomposerEEEEE10hipError_tT0_T1_T2_jT3_P12ihipStream_tbPNSt15iterator_traitsISH_E10value_typeEPNSN_ISI_E10value_typeEPSJ_NS1_7vsmem_tEENKUlT_SH_SI_SJ_E_clIPiSB_SC_SC_EESG_SW_SH_SI_SJ_EUlSW_E_NS1_11comp_targetILNS1_3genE5ELNS1_11target_archE942ELNS1_3gpuE9ELNS1_3repE0EEENS1_48merge_mergepath_partition_config_static_selectorELNS0_4arch9wavefront6targetE0EEEvSI_.has_recursion, 0
	.set _ZN7rocprim17ROCPRIM_400000_NS6detail17trampoline_kernelINS0_14default_configENS1_38merge_sort_block_merge_config_selectorIiNS0_10empty_typeEEEZZNS1_27merge_sort_block_merge_implIS3_N6thrust23THRUST_200600_302600_NS10device_ptrIiEEPS5_jNS1_19radix_merge_compareILb0ELb1EiNS0_19identity_decomposerEEEEE10hipError_tT0_T1_T2_jT3_P12ihipStream_tbPNSt15iterator_traitsISH_E10value_typeEPNSN_ISI_E10value_typeEPSJ_NS1_7vsmem_tEENKUlT_SH_SI_SJ_E_clIPiSB_SC_SC_EESG_SW_SH_SI_SJ_EUlSW_E_NS1_11comp_targetILNS1_3genE5ELNS1_11target_archE942ELNS1_3gpuE9ELNS1_3repE0EEENS1_48merge_mergepath_partition_config_static_selectorELNS0_4arch9wavefront6targetE0EEEvSI_.has_indirect_call, 0
	.section	.AMDGPU.csdata,"",@progbits
; Kernel info:
; codeLenInByte = 0
; TotalNumSgprs: 0
; NumVgprs: 0
; ScratchSize: 0
; MemoryBound: 0
; FloatMode: 240
; IeeeMode: 1
; LDSByteSize: 0 bytes/workgroup (compile time only)
; SGPRBlocks: 0
; VGPRBlocks: 0
; NumSGPRsForWavesPerEU: 1
; NumVGPRsForWavesPerEU: 1
; Occupancy: 16
; WaveLimiterHint : 0
; COMPUTE_PGM_RSRC2:SCRATCH_EN: 0
; COMPUTE_PGM_RSRC2:USER_SGPR: 6
; COMPUTE_PGM_RSRC2:TRAP_HANDLER: 0
; COMPUTE_PGM_RSRC2:TGID_X_EN: 1
; COMPUTE_PGM_RSRC2:TGID_Y_EN: 0
; COMPUTE_PGM_RSRC2:TGID_Z_EN: 0
; COMPUTE_PGM_RSRC2:TIDIG_COMP_CNT: 0
	.section	.text._ZN7rocprim17ROCPRIM_400000_NS6detail17trampoline_kernelINS0_14default_configENS1_38merge_sort_block_merge_config_selectorIiNS0_10empty_typeEEEZZNS1_27merge_sort_block_merge_implIS3_N6thrust23THRUST_200600_302600_NS10device_ptrIiEEPS5_jNS1_19radix_merge_compareILb0ELb1EiNS0_19identity_decomposerEEEEE10hipError_tT0_T1_T2_jT3_P12ihipStream_tbPNSt15iterator_traitsISH_E10value_typeEPNSN_ISI_E10value_typeEPSJ_NS1_7vsmem_tEENKUlT_SH_SI_SJ_E_clIPiSB_SC_SC_EESG_SW_SH_SI_SJ_EUlSW_E_NS1_11comp_targetILNS1_3genE4ELNS1_11target_archE910ELNS1_3gpuE8ELNS1_3repE0EEENS1_48merge_mergepath_partition_config_static_selectorELNS0_4arch9wavefront6targetE0EEEvSI_,"axG",@progbits,_ZN7rocprim17ROCPRIM_400000_NS6detail17trampoline_kernelINS0_14default_configENS1_38merge_sort_block_merge_config_selectorIiNS0_10empty_typeEEEZZNS1_27merge_sort_block_merge_implIS3_N6thrust23THRUST_200600_302600_NS10device_ptrIiEEPS5_jNS1_19radix_merge_compareILb0ELb1EiNS0_19identity_decomposerEEEEE10hipError_tT0_T1_T2_jT3_P12ihipStream_tbPNSt15iterator_traitsISH_E10value_typeEPNSN_ISI_E10value_typeEPSJ_NS1_7vsmem_tEENKUlT_SH_SI_SJ_E_clIPiSB_SC_SC_EESG_SW_SH_SI_SJ_EUlSW_E_NS1_11comp_targetILNS1_3genE4ELNS1_11target_archE910ELNS1_3gpuE8ELNS1_3repE0EEENS1_48merge_mergepath_partition_config_static_selectorELNS0_4arch9wavefront6targetE0EEEvSI_,comdat
	.protected	_ZN7rocprim17ROCPRIM_400000_NS6detail17trampoline_kernelINS0_14default_configENS1_38merge_sort_block_merge_config_selectorIiNS0_10empty_typeEEEZZNS1_27merge_sort_block_merge_implIS3_N6thrust23THRUST_200600_302600_NS10device_ptrIiEEPS5_jNS1_19radix_merge_compareILb0ELb1EiNS0_19identity_decomposerEEEEE10hipError_tT0_T1_T2_jT3_P12ihipStream_tbPNSt15iterator_traitsISH_E10value_typeEPNSN_ISI_E10value_typeEPSJ_NS1_7vsmem_tEENKUlT_SH_SI_SJ_E_clIPiSB_SC_SC_EESG_SW_SH_SI_SJ_EUlSW_E_NS1_11comp_targetILNS1_3genE4ELNS1_11target_archE910ELNS1_3gpuE8ELNS1_3repE0EEENS1_48merge_mergepath_partition_config_static_selectorELNS0_4arch9wavefront6targetE0EEEvSI_ ; -- Begin function _ZN7rocprim17ROCPRIM_400000_NS6detail17trampoline_kernelINS0_14default_configENS1_38merge_sort_block_merge_config_selectorIiNS0_10empty_typeEEEZZNS1_27merge_sort_block_merge_implIS3_N6thrust23THRUST_200600_302600_NS10device_ptrIiEEPS5_jNS1_19radix_merge_compareILb0ELb1EiNS0_19identity_decomposerEEEEE10hipError_tT0_T1_T2_jT3_P12ihipStream_tbPNSt15iterator_traitsISH_E10value_typeEPNSN_ISI_E10value_typeEPSJ_NS1_7vsmem_tEENKUlT_SH_SI_SJ_E_clIPiSB_SC_SC_EESG_SW_SH_SI_SJ_EUlSW_E_NS1_11comp_targetILNS1_3genE4ELNS1_11target_archE910ELNS1_3gpuE8ELNS1_3repE0EEENS1_48merge_mergepath_partition_config_static_selectorELNS0_4arch9wavefront6targetE0EEEvSI_
	.globl	_ZN7rocprim17ROCPRIM_400000_NS6detail17trampoline_kernelINS0_14default_configENS1_38merge_sort_block_merge_config_selectorIiNS0_10empty_typeEEEZZNS1_27merge_sort_block_merge_implIS3_N6thrust23THRUST_200600_302600_NS10device_ptrIiEEPS5_jNS1_19radix_merge_compareILb0ELb1EiNS0_19identity_decomposerEEEEE10hipError_tT0_T1_T2_jT3_P12ihipStream_tbPNSt15iterator_traitsISH_E10value_typeEPNSN_ISI_E10value_typeEPSJ_NS1_7vsmem_tEENKUlT_SH_SI_SJ_E_clIPiSB_SC_SC_EESG_SW_SH_SI_SJ_EUlSW_E_NS1_11comp_targetILNS1_3genE4ELNS1_11target_archE910ELNS1_3gpuE8ELNS1_3repE0EEENS1_48merge_mergepath_partition_config_static_selectorELNS0_4arch9wavefront6targetE0EEEvSI_
	.p2align	8
	.type	_ZN7rocprim17ROCPRIM_400000_NS6detail17trampoline_kernelINS0_14default_configENS1_38merge_sort_block_merge_config_selectorIiNS0_10empty_typeEEEZZNS1_27merge_sort_block_merge_implIS3_N6thrust23THRUST_200600_302600_NS10device_ptrIiEEPS5_jNS1_19radix_merge_compareILb0ELb1EiNS0_19identity_decomposerEEEEE10hipError_tT0_T1_T2_jT3_P12ihipStream_tbPNSt15iterator_traitsISH_E10value_typeEPNSN_ISI_E10value_typeEPSJ_NS1_7vsmem_tEENKUlT_SH_SI_SJ_E_clIPiSB_SC_SC_EESG_SW_SH_SI_SJ_EUlSW_E_NS1_11comp_targetILNS1_3genE4ELNS1_11target_archE910ELNS1_3gpuE8ELNS1_3repE0EEENS1_48merge_mergepath_partition_config_static_selectorELNS0_4arch9wavefront6targetE0EEEvSI_,@function
_ZN7rocprim17ROCPRIM_400000_NS6detail17trampoline_kernelINS0_14default_configENS1_38merge_sort_block_merge_config_selectorIiNS0_10empty_typeEEEZZNS1_27merge_sort_block_merge_implIS3_N6thrust23THRUST_200600_302600_NS10device_ptrIiEEPS5_jNS1_19radix_merge_compareILb0ELb1EiNS0_19identity_decomposerEEEEE10hipError_tT0_T1_T2_jT3_P12ihipStream_tbPNSt15iterator_traitsISH_E10value_typeEPNSN_ISI_E10value_typeEPSJ_NS1_7vsmem_tEENKUlT_SH_SI_SJ_E_clIPiSB_SC_SC_EESG_SW_SH_SI_SJ_EUlSW_E_NS1_11comp_targetILNS1_3genE4ELNS1_11target_archE910ELNS1_3gpuE8ELNS1_3repE0EEENS1_48merge_mergepath_partition_config_static_selectorELNS0_4arch9wavefront6targetE0EEEvSI_: ; @_ZN7rocprim17ROCPRIM_400000_NS6detail17trampoline_kernelINS0_14default_configENS1_38merge_sort_block_merge_config_selectorIiNS0_10empty_typeEEEZZNS1_27merge_sort_block_merge_implIS3_N6thrust23THRUST_200600_302600_NS10device_ptrIiEEPS5_jNS1_19radix_merge_compareILb0ELb1EiNS0_19identity_decomposerEEEEE10hipError_tT0_T1_T2_jT3_P12ihipStream_tbPNSt15iterator_traitsISH_E10value_typeEPNSN_ISI_E10value_typeEPSJ_NS1_7vsmem_tEENKUlT_SH_SI_SJ_E_clIPiSB_SC_SC_EESG_SW_SH_SI_SJ_EUlSW_E_NS1_11comp_targetILNS1_3genE4ELNS1_11target_archE910ELNS1_3gpuE8ELNS1_3repE0EEENS1_48merge_mergepath_partition_config_static_selectorELNS0_4arch9wavefront6targetE0EEEvSI_
; %bb.0:
	.section	.rodata,"a",@progbits
	.p2align	6, 0x0
	.amdhsa_kernel _ZN7rocprim17ROCPRIM_400000_NS6detail17trampoline_kernelINS0_14default_configENS1_38merge_sort_block_merge_config_selectorIiNS0_10empty_typeEEEZZNS1_27merge_sort_block_merge_implIS3_N6thrust23THRUST_200600_302600_NS10device_ptrIiEEPS5_jNS1_19radix_merge_compareILb0ELb1EiNS0_19identity_decomposerEEEEE10hipError_tT0_T1_T2_jT3_P12ihipStream_tbPNSt15iterator_traitsISH_E10value_typeEPNSN_ISI_E10value_typeEPSJ_NS1_7vsmem_tEENKUlT_SH_SI_SJ_E_clIPiSB_SC_SC_EESG_SW_SH_SI_SJ_EUlSW_E_NS1_11comp_targetILNS1_3genE4ELNS1_11target_archE910ELNS1_3gpuE8ELNS1_3repE0EEENS1_48merge_mergepath_partition_config_static_selectorELNS0_4arch9wavefront6targetE0EEEvSI_
		.amdhsa_group_segment_fixed_size 0
		.amdhsa_private_segment_fixed_size 0
		.amdhsa_kernarg_size 40
		.amdhsa_user_sgpr_count 6
		.amdhsa_user_sgpr_private_segment_buffer 1
		.amdhsa_user_sgpr_dispatch_ptr 0
		.amdhsa_user_sgpr_queue_ptr 0
		.amdhsa_user_sgpr_kernarg_segment_ptr 1
		.amdhsa_user_sgpr_dispatch_id 0
		.amdhsa_user_sgpr_flat_scratch_init 0
		.amdhsa_user_sgpr_private_segment_size 0
		.amdhsa_wavefront_size32 1
		.amdhsa_uses_dynamic_stack 0
		.amdhsa_system_sgpr_private_segment_wavefront_offset 0
		.amdhsa_system_sgpr_workgroup_id_x 1
		.amdhsa_system_sgpr_workgroup_id_y 0
		.amdhsa_system_sgpr_workgroup_id_z 0
		.amdhsa_system_sgpr_workgroup_info 0
		.amdhsa_system_vgpr_workitem_id 0
		.amdhsa_next_free_vgpr 1
		.amdhsa_next_free_sgpr 1
		.amdhsa_reserve_vcc 0
		.amdhsa_reserve_flat_scratch 0
		.amdhsa_float_round_mode_32 0
		.amdhsa_float_round_mode_16_64 0
		.amdhsa_float_denorm_mode_32 3
		.amdhsa_float_denorm_mode_16_64 3
		.amdhsa_dx10_clamp 1
		.amdhsa_ieee_mode 1
		.amdhsa_fp16_overflow 0
		.amdhsa_workgroup_processor_mode 1
		.amdhsa_memory_ordered 1
		.amdhsa_forward_progress 1
		.amdhsa_shared_vgpr_count 0
		.amdhsa_exception_fp_ieee_invalid_op 0
		.amdhsa_exception_fp_denorm_src 0
		.amdhsa_exception_fp_ieee_div_zero 0
		.amdhsa_exception_fp_ieee_overflow 0
		.amdhsa_exception_fp_ieee_underflow 0
		.amdhsa_exception_fp_ieee_inexact 0
		.amdhsa_exception_int_div_zero 0
	.end_amdhsa_kernel
	.section	.text._ZN7rocprim17ROCPRIM_400000_NS6detail17trampoline_kernelINS0_14default_configENS1_38merge_sort_block_merge_config_selectorIiNS0_10empty_typeEEEZZNS1_27merge_sort_block_merge_implIS3_N6thrust23THRUST_200600_302600_NS10device_ptrIiEEPS5_jNS1_19radix_merge_compareILb0ELb1EiNS0_19identity_decomposerEEEEE10hipError_tT0_T1_T2_jT3_P12ihipStream_tbPNSt15iterator_traitsISH_E10value_typeEPNSN_ISI_E10value_typeEPSJ_NS1_7vsmem_tEENKUlT_SH_SI_SJ_E_clIPiSB_SC_SC_EESG_SW_SH_SI_SJ_EUlSW_E_NS1_11comp_targetILNS1_3genE4ELNS1_11target_archE910ELNS1_3gpuE8ELNS1_3repE0EEENS1_48merge_mergepath_partition_config_static_selectorELNS0_4arch9wavefront6targetE0EEEvSI_,"axG",@progbits,_ZN7rocprim17ROCPRIM_400000_NS6detail17trampoline_kernelINS0_14default_configENS1_38merge_sort_block_merge_config_selectorIiNS0_10empty_typeEEEZZNS1_27merge_sort_block_merge_implIS3_N6thrust23THRUST_200600_302600_NS10device_ptrIiEEPS5_jNS1_19radix_merge_compareILb0ELb1EiNS0_19identity_decomposerEEEEE10hipError_tT0_T1_T2_jT3_P12ihipStream_tbPNSt15iterator_traitsISH_E10value_typeEPNSN_ISI_E10value_typeEPSJ_NS1_7vsmem_tEENKUlT_SH_SI_SJ_E_clIPiSB_SC_SC_EESG_SW_SH_SI_SJ_EUlSW_E_NS1_11comp_targetILNS1_3genE4ELNS1_11target_archE910ELNS1_3gpuE8ELNS1_3repE0EEENS1_48merge_mergepath_partition_config_static_selectorELNS0_4arch9wavefront6targetE0EEEvSI_,comdat
.Lfunc_end1172:
	.size	_ZN7rocprim17ROCPRIM_400000_NS6detail17trampoline_kernelINS0_14default_configENS1_38merge_sort_block_merge_config_selectorIiNS0_10empty_typeEEEZZNS1_27merge_sort_block_merge_implIS3_N6thrust23THRUST_200600_302600_NS10device_ptrIiEEPS5_jNS1_19radix_merge_compareILb0ELb1EiNS0_19identity_decomposerEEEEE10hipError_tT0_T1_T2_jT3_P12ihipStream_tbPNSt15iterator_traitsISH_E10value_typeEPNSN_ISI_E10value_typeEPSJ_NS1_7vsmem_tEENKUlT_SH_SI_SJ_E_clIPiSB_SC_SC_EESG_SW_SH_SI_SJ_EUlSW_E_NS1_11comp_targetILNS1_3genE4ELNS1_11target_archE910ELNS1_3gpuE8ELNS1_3repE0EEENS1_48merge_mergepath_partition_config_static_selectorELNS0_4arch9wavefront6targetE0EEEvSI_, .Lfunc_end1172-_ZN7rocprim17ROCPRIM_400000_NS6detail17trampoline_kernelINS0_14default_configENS1_38merge_sort_block_merge_config_selectorIiNS0_10empty_typeEEEZZNS1_27merge_sort_block_merge_implIS3_N6thrust23THRUST_200600_302600_NS10device_ptrIiEEPS5_jNS1_19radix_merge_compareILb0ELb1EiNS0_19identity_decomposerEEEEE10hipError_tT0_T1_T2_jT3_P12ihipStream_tbPNSt15iterator_traitsISH_E10value_typeEPNSN_ISI_E10value_typeEPSJ_NS1_7vsmem_tEENKUlT_SH_SI_SJ_E_clIPiSB_SC_SC_EESG_SW_SH_SI_SJ_EUlSW_E_NS1_11comp_targetILNS1_3genE4ELNS1_11target_archE910ELNS1_3gpuE8ELNS1_3repE0EEENS1_48merge_mergepath_partition_config_static_selectorELNS0_4arch9wavefront6targetE0EEEvSI_
                                        ; -- End function
	.set _ZN7rocprim17ROCPRIM_400000_NS6detail17trampoline_kernelINS0_14default_configENS1_38merge_sort_block_merge_config_selectorIiNS0_10empty_typeEEEZZNS1_27merge_sort_block_merge_implIS3_N6thrust23THRUST_200600_302600_NS10device_ptrIiEEPS5_jNS1_19radix_merge_compareILb0ELb1EiNS0_19identity_decomposerEEEEE10hipError_tT0_T1_T2_jT3_P12ihipStream_tbPNSt15iterator_traitsISH_E10value_typeEPNSN_ISI_E10value_typeEPSJ_NS1_7vsmem_tEENKUlT_SH_SI_SJ_E_clIPiSB_SC_SC_EESG_SW_SH_SI_SJ_EUlSW_E_NS1_11comp_targetILNS1_3genE4ELNS1_11target_archE910ELNS1_3gpuE8ELNS1_3repE0EEENS1_48merge_mergepath_partition_config_static_selectorELNS0_4arch9wavefront6targetE0EEEvSI_.num_vgpr, 0
	.set _ZN7rocprim17ROCPRIM_400000_NS6detail17trampoline_kernelINS0_14default_configENS1_38merge_sort_block_merge_config_selectorIiNS0_10empty_typeEEEZZNS1_27merge_sort_block_merge_implIS3_N6thrust23THRUST_200600_302600_NS10device_ptrIiEEPS5_jNS1_19radix_merge_compareILb0ELb1EiNS0_19identity_decomposerEEEEE10hipError_tT0_T1_T2_jT3_P12ihipStream_tbPNSt15iterator_traitsISH_E10value_typeEPNSN_ISI_E10value_typeEPSJ_NS1_7vsmem_tEENKUlT_SH_SI_SJ_E_clIPiSB_SC_SC_EESG_SW_SH_SI_SJ_EUlSW_E_NS1_11comp_targetILNS1_3genE4ELNS1_11target_archE910ELNS1_3gpuE8ELNS1_3repE0EEENS1_48merge_mergepath_partition_config_static_selectorELNS0_4arch9wavefront6targetE0EEEvSI_.num_agpr, 0
	.set _ZN7rocprim17ROCPRIM_400000_NS6detail17trampoline_kernelINS0_14default_configENS1_38merge_sort_block_merge_config_selectorIiNS0_10empty_typeEEEZZNS1_27merge_sort_block_merge_implIS3_N6thrust23THRUST_200600_302600_NS10device_ptrIiEEPS5_jNS1_19radix_merge_compareILb0ELb1EiNS0_19identity_decomposerEEEEE10hipError_tT0_T1_T2_jT3_P12ihipStream_tbPNSt15iterator_traitsISH_E10value_typeEPNSN_ISI_E10value_typeEPSJ_NS1_7vsmem_tEENKUlT_SH_SI_SJ_E_clIPiSB_SC_SC_EESG_SW_SH_SI_SJ_EUlSW_E_NS1_11comp_targetILNS1_3genE4ELNS1_11target_archE910ELNS1_3gpuE8ELNS1_3repE0EEENS1_48merge_mergepath_partition_config_static_selectorELNS0_4arch9wavefront6targetE0EEEvSI_.numbered_sgpr, 0
	.set _ZN7rocprim17ROCPRIM_400000_NS6detail17trampoline_kernelINS0_14default_configENS1_38merge_sort_block_merge_config_selectorIiNS0_10empty_typeEEEZZNS1_27merge_sort_block_merge_implIS3_N6thrust23THRUST_200600_302600_NS10device_ptrIiEEPS5_jNS1_19radix_merge_compareILb0ELb1EiNS0_19identity_decomposerEEEEE10hipError_tT0_T1_T2_jT3_P12ihipStream_tbPNSt15iterator_traitsISH_E10value_typeEPNSN_ISI_E10value_typeEPSJ_NS1_7vsmem_tEENKUlT_SH_SI_SJ_E_clIPiSB_SC_SC_EESG_SW_SH_SI_SJ_EUlSW_E_NS1_11comp_targetILNS1_3genE4ELNS1_11target_archE910ELNS1_3gpuE8ELNS1_3repE0EEENS1_48merge_mergepath_partition_config_static_selectorELNS0_4arch9wavefront6targetE0EEEvSI_.num_named_barrier, 0
	.set _ZN7rocprim17ROCPRIM_400000_NS6detail17trampoline_kernelINS0_14default_configENS1_38merge_sort_block_merge_config_selectorIiNS0_10empty_typeEEEZZNS1_27merge_sort_block_merge_implIS3_N6thrust23THRUST_200600_302600_NS10device_ptrIiEEPS5_jNS1_19radix_merge_compareILb0ELb1EiNS0_19identity_decomposerEEEEE10hipError_tT0_T1_T2_jT3_P12ihipStream_tbPNSt15iterator_traitsISH_E10value_typeEPNSN_ISI_E10value_typeEPSJ_NS1_7vsmem_tEENKUlT_SH_SI_SJ_E_clIPiSB_SC_SC_EESG_SW_SH_SI_SJ_EUlSW_E_NS1_11comp_targetILNS1_3genE4ELNS1_11target_archE910ELNS1_3gpuE8ELNS1_3repE0EEENS1_48merge_mergepath_partition_config_static_selectorELNS0_4arch9wavefront6targetE0EEEvSI_.private_seg_size, 0
	.set _ZN7rocprim17ROCPRIM_400000_NS6detail17trampoline_kernelINS0_14default_configENS1_38merge_sort_block_merge_config_selectorIiNS0_10empty_typeEEEZZNS1_27merge_sort_block_merge_implIS3_N6thrust23THRUST_200600_302600_NS10device_ptrIiEEPS5_jNS1_19radix_merge_compareILb0ELb1EiNS0_19identity_decomposerEEEEE10hipError_tT0_T1_T2_jT3_P12ihipStream_tbPNSt15iterator_traitsISH_E10value_typeEPNSN_ISI_E10value_typeEPSJ_NS1_7vsmem_tEENKUlT_SH_SI_SJ_E_clIPiSB_SC_SC_EESG_SW_SH_SI_SJ_EUlSW_E_NS1_11comp_targetILNS1_3genE4ELNS1_11target_archE910ELNS1_3gpuE8ELNS1_3repE0EEENS1_48merge_mergepath_partition_config_static_selectorELNS0_4arch9wavefront6targetE0EEEvSI_.uses_vcc, 0
	.set _ZN7rocprim17ROCPRIM_400000_NS6detail17trampoline_kernelINS0_14default_configENS1_38merge_sort_block_merge_config_selectorIiNS0_10empty_typeEEEZZNS1_27merge_sort_block_merge_implIS3_N6thrust23THRUST_200600_302600_NS10device_ptrIiEEPS5_jNS1_19radix_merge_compareILb0ELb1EiNS0_19identity_decomposerEEEEE10hipError_tT0_T1_T2_jT3_P12ihipStream_tbPNSt15iterator_traitsISH_E10value_typeEPNSN_ISI_E10value_typeEPSJ_NS1_7vsmem_tEENKUlT_SH_SI_SJ_E_clIPiSB_SC_SC_EESG_SW_SH_SI_SJ_EUlSW_E_NS1_11comp_targetILNS1_3genE4ELNS1_11target_archE910ELNS1_3gpuE8ELNS1_3repE0EEENS1_48merge_mergepath_partition_config_static_selectorELNS0_4arch9wavefront6targetE0EEEvSI_.uses_flat_scratch, 0
	.set _ZN7rocprim17ROCPRIM_400000_NS6detail17trampoline_kernelINS0_14default_configENS1_38merge_sort_block_merge_config_selectorIiNS0_10empty_typeEEEZZNS1_27merge_sort_block_merge_implIS3_N6thrust23THRUST_200600_302600_NS10device_ptrIiEEPS5_jNS1_19radix_merge_compareILb0ELb1EiNS0_19identity_decomposerEEEEE10hipError_tT0_T1_T2_jT3_P12ihipStream_tbPNSt15iterator_traitsISH_E10value_typeEPNSN_ISI_E10value_typeEPSJ_NS1_7vsmem_tEENKUlT_SH_SI_SJ_E_clIPiSB_SC_SC_EESG_SW_SH_SI_SJ_EUlSW_E_NS1_11comp_targetILNS1_3genE4ELNS1_11target_archE910ELNS1_3gpuE8ELNS1_3repE0EEENS1_48merge_mergepath_partition_config_static_selectorELNS0_4arch9wavefront6targetE0EEEvSI_.has_dyn_sized_stack, 0
	.set _ZN7rocprim17ROCPRIM_400000_NS6detail17trampoline_kernelINS0_14default_configENS1_38merge_sort_block_merge_config_selectorIiNS0_10empty_typeEEEZZNS1_27merge_sort_block_merge_implIS3_N6thrust23THRUST_200600_302600_NS10device_ptrIiEEPS5_jNS1_19radix_merge_compareILb0ELb1EiNS0_19identity_decomposerEEEEE10hipError_tT0_T1_T2_jT3_P12ihipStream_tbPNSt15iterator_traitsISH_E10value_typeEPNSN_ISI_E10value_typeEPSJ_NS1_7vsmem_tEENKUlT_SH_SI_SJ_E_clIPiSB_SC_SC_EESG_SW_SH_SI_SJ_EUlSW_E_NS1_11comp_targetILNS1_3genE4ELNS1_11target_archE910ELNS1_3gpuE8ELNS1_3repE0EEENS1_48merge_mergepath_partition_config_static_selectorELNS0_4arch9wavefront6targetE0EEEvSI_.has_recursion, 0
	.set _ZN7rocprim17ROCPRIM_400000_NS6detail17trampoline_kernelINS0_14default_configENS1_38merge_sort_block_merge_config_selectorIiNS0_10empty_typeEEEZZNS1_27merge_sort_block_merge_implIS3_N6thrust23THRUST_200600_302600_NS10device_ptrIiEEPS5_jNS1_19radix_merge_compareILb0ELb1EiNS0_19identity_decomposerEEEEE10hipError_tT0_T1_T2_jT3_P12ihipStream_tbPNSt15iterator_traitsISH_E10value_typeEPNSN_ISI_E10value_typeEPSJ_NS1_7vsmem_tEENKUlT_SH_SI_SJ_E_clIPiSB_SC_SC_EESG_SW_SH_SI_SJ_EUlSW_E_NS1_11comp_targetILNS1_3genE4ELNS1_11target_archE910ELNS1_3gpuE8ELNS1_3repE0EEENS1_48merge_mergepath_partition_config_static_selectorELNS0_4arch9wavefront6targetE0EEEvSI_.has_indirect_call, 0
	.section	.AMDGPU.csdata,"",@progbits
; Kernel info:
; codeLenInByte = 0
; TotalNumSgprs: 0
; NumVgprs: 0
; ScratchSize: 0
; MemoryBound: 0
; FloatMode: 240
; IeeeMode: 1
; LDSByteSize: 0 bytes/workgroup (compile time only)
; SGPRBlocks: 0
; VGPRBlocks: 0
; NumSGPRsForWavesPerEU: 1
; NumVGPRsForWavesPerEU: 1
; Occupancy: 16
; WaveLimiterHint : 0
; COMPUTE_PGM_RSRC2:SCRATCH_EN: 0
; COMPUTE_PGM_RSRC2:USER_SGPR: 6
; COMPUTE_PGM_RSRC2:TRAP_HANDLER: 0
; COMPUTE_PGM_RSRC2:TGID_X_EN: 1
; COMPUTE_PGM_RSRC2:TGID_Y_EN: 0
; COMPUTE_PGM_RSRC2:TGID_Z_EN: 0
; COMPUTE_PGM_RSRC2:TIDIG_COMP_CNT: 0
	.section	.text._ZN7rocprim17ROCPRIM_400000_NS6detail17trampoline_kernelINS0_14default_configENS1_38merge_sort_block_merge_config_selectorIiNS0_10empty_typeEEEZZNS1_27merge_sort_block_merge_implIS3_N6thrust23THRUST_200600_302600_NS10device_ptrIiEEPS5_jNS1_19radix_merge_compareILb0ELb1EiNS0_19identity_decomposerEEEEE10hipError_tT0_T1_T2_jT3_P12ihipStream_tbPNSt15iterator_traitsISH_E10value_typeEPNSN_ISI_E10value_typeEPSJ_NS1_7vsmem_tEENKUlT_SH_SI_SJ_E_clIPiSB_SC_SC_EESG_SW_SH_SI_SJ_EUlSW_E_NS1_11comp_targetILNS1_3genE3ELNS1_11target_archE908ELNS1_3gpuE7ELNS1_3repE0EEENS1_48merge_mergepath_partition_config_static_selectorELNS0_4arch9wavefront6targetE0EEEvSI_,"axG",@progbits,_ZN7rocprim17ROCPRIM_400000_NS6detail17trampoline_kernelINS0_14default_configENS1_38merge_sort_block_merge_config_selectorIiNS0_10empty_typeEEEZZNS1_27merge_sort_block_merge_implIS3_N6thrust23THRUST_200600_302600_NS10device_ptrIiEEPS5_jNS1_19radix_merge_compareILb0ELb1EiNS0_19identity_decomposerEEEEE10hipError_tT0_T1_T2_jT3_P12ihipStream_tbPNSt15iterator_traitsISH_E10value_typeEPNSN_ISI_E10value_typeEPSJ_NS1_7vsmem_tEENKUlT_SH_SI_SJ_E_clIPiSB_SC_SC_EESG_SW_SH_SI_SJ_EUlSW_E_NS1_11comp_targetILNS1_3genE3ELNS1_11target_archE908ELNS1_3gpuE7ELNS1_3repE0EEENS1_48merge_mergepath_partition_config_static_selectorELNS0_4arch9wavefront6targetE0EEEvSI_,comdat
	.protected	_ZN7rocprim17ROCPRIM_400000_NS6detail17trampoline_kernelINS0_14default_configENS1_38merge_sort_block_merge_config_selectorIiNS0_10empty_typeEEEZZNS1_27merge_sort_block_merge_implIS3_N6thrust23THRUST_200600_302600_NS10device_ptrIiEEPS5_jNS1_19radix_merge_compareILb0ELb1EiNS0_19identity_decomposerEEEEE10hipError_tT0_T1_T2_jT3_P12ihipStream_tbPNSt15iterator_traitsISH_E10value_typeEPNSN_ISI_E10value_typeEPSJ_NS1_7vsmem_tEENKUlT_SH_SI_SJ_E_clIPiSB_SC_SC_EESG_SW_SH_SI_SJ_EUlSW_E_NS1_11comp_targetILNS1_3genE3ELNS1_11target_archE908ELNS1_3gpuE7ELNS1_3repE0EEENS1_48merge_mergepath_partition_config_static_selectorELNS0_4arch9wavefront6targetE0EEEvSI_ ; -- Begin function _ZN7rocprim17ROCPRIM_400000_NS6detail17trampoline_kernelINS0_14default_configENS1_38merge_sort_block_merge_config_selectorIiNS0_10empty_typeEEEZZNS1_27merge_sort_block_merge_implIS3_N6thrust23THRUST_200600_302600_NS10device_ptrIiEEPS5_jNS1_19radix_merge_compareILb0ELb1EiNS0_19identity_decomposerEEEEE10hipError_tT0_T1_T2_jT3_P12ihipStream_tbPNSt15iterator_traitsISH_E10value_typeEPNSN_ISI_E10value_typeEPSJ_NS1_7vsmem_tEENKUlT_SH_SI_SJ_E_clIPiSB_SC_SC_EESG_SW_SH_SI_SJ_EUlSW_E_NS1_11comp_targetILNS1_3genE3ELNS1_11target_archE908ELNS1_3gpuE7ELNS1_3repE0EEENS1_48merge_mergepath_partition_config_static_selectorELNS0_4arch9wavefront6targetE0EEEvSI_
	.globl	_ZN7rocprim17ROCPRIM_400000_NS6detail17trampoline_kernelINS0_14default_configENS1_38merge_sort_block_merge_config_selectorIiNS0_10empty_typeEEEZZNS1_27merge_sort_block_merge_implIS3_N6thrust23THRUST_200600_302600_NS10device_ptrIiEEPS5_jNS1_19radix_merge_compareILb0ELb1EiNS0_19identity_decomposerEEEEE10hipError_tT0_T1_T2_jT3_P12ihipStream_tbPNSt15iterator_traitsISH_E10value_typeEPNSN_ISI_E10value_typeEPSJ_NS1_7vsmem_tEENKUlT_SH_SI_SJ_E_clIPiSB_SC_SC_EESG_SW_SH_SI_SJ_EUlSW_E_NS1_11comp_targetILNS1_3genE3ELNS1_11target_archE908ELNS1_3gpuE7ELNS1_3repE0EEENS1_48merge_mergepath_partition_config_static_selectorELNS0_4arch9wavefront6targetE0EEEvSI_
	.p2align	8
	.type	_ZN7rocprim17ROCPRIM_400000_NS6detail17trampoline_kernelINS0_14default_configENS1_38merge_sort_block_merge_config_selectorIiNS0_10empty_typeEEEZZNS1_27merge_sort_block_merge_implIS3_N6thrust23THRUST_200600_302600_NS10device_ptrIiEEPS5_jNS1_19radix_merge_compareILb0ELb1EiNS0_19identity_decomposerEEEEE10hipError_tT0_T1_T2_jT3_P12ihipStream_tbPNSt15iterator_traitsISH_E10value_typeEPNSN_ISI_E10value_typeEPSJ_NS1_7vsmem_tEENKUlT_SH_SI_SJ_E_clIPiSB_SC_SC_EESG_SW_SH_SI_SJ_EUlSW_E_NS1_11comp_targetILNS1_3genE3ELNS1_11target_archE908ELNS1_3gpuE7ELNS1_3repE0EEENS1_48merge_mergepath_partition_config_static_selectorELNS0_4arch9wavefront6targetE0EEEvSI_,@function
_ZN7rocprim17ROCPRIM_400000_NS6detail17trampoline_kernelINS0_14default_configENS1_38merge_sort_block_merge_config_selectorIiNS0_10empty_typeEEEZZNS1_27merge_sort_block_merge_implIS3_N6thrust23THRUST_200600_302600_NS10device_ptrIiEEPS5_jNS1_19radix_merge_compareILb0ELb1EiNS0_19identity_decomposerEEEEE10hipError_tT0_T1_T2_jT3_P12ihipStream_tbPNSt15iterator_traitsISH_E10value_typeEPNSN_ISI_E10value_typeEPSJ_NS1_7vsmem_tEENKUlT_SH_SI_SJ_E_clIPiSB_SC_SC_EESG_SW_SH_SI_SJ_EUlSW_E_NS1_11comp_targetILNS1_3genE3ELNS1_11target_archE908ELNS1_3gpuE7ELNS1_3repE0EEENS1_48merge_mergepath_partition_config_static_selectorELNS0_4arch9wavefront6targetE0EEEvSI_: ; @_ZN7rocprim17ROCPRIM_400000_NS6detail17trampoline_kernelINS0_14default_configENS1_38merge_sort_block_merge_config_selectorIiNS0_10empty_typeEEEZZNS1_27merge_sort_block_merge_implIS3_N6thrust23THRUST_200600_302600_NS10device_ptrIiEEPS5_jNS1_19radix_merge_compareILb0ELb1EiNS0_19identity_decomposerEEEEE10hipError_tT0_T1_T2_jT3_P12ihipStream_tbPNSt15iterator_traitsISH_E10value_typeEPNSN_ISI_E10value_typeEPSJ_NS1_7vsmem_tEENKUlT_SH_SI_SJ_E_clIPiSB_SC_SC_EESG_SW_SH_SI_SJ_EUlSW_E_NS1_11comp_targetILNS1_3genE3ELNS1_11target_archE908ELNS1_3gpuE7ELNS1_3repE0EEENS1_48merge_mergepath_partition_config_static_selectorELNS0_4arch9wavefront6targetE0EEEvSI_
; %bb.0:
	.section	.rodata,"a",@progbits
	.p2align	6, 0x0
	.amdhsa_kernel _ZN7rocprim17ROCPRIM_400000_NS6detail17trampoline_kernelINS0_14default_configENS1_38merge_sort_block_merge_config_selectorIiNS0_10empty_typeEEEZZNS1_27merge_sort_block_merge_implIS3_N6thrust23THRUST_200600_302600_NS10device_ptrIiEEPS5_jNS1_19radix_merge_compareILb0ELb1EiNS0_19identity_decomposerEEEEE10hipError_tT0_T1_T2_jT3_P12ihipStream_tbPNSt15iterator_traitsISH_E10value_typeEPNSN_ISI_E10value_typeEPSJ_NS1_7vsmem_tEENKUlT_SH_SI_SJ_E_clIPiSB_SC_SC_EESG_SW_SH_SI_SJ_EUlSW_E_NS1_11comp_targetILNS1_3genE3ELNS1_11target_archE908ELNS1_3gpuE7ELNS1_3repE0EEENS1_48merge_mergepath_partition_config_static_selectorELNS0_4arch9wavefront6targetE0EEEvSI_
		.amdhsa_group_segment_fixed_size 0
		.amdhsa_private_segment_fixed_size 0
		.amdhsa_kernarg_size 40
		.amdhsa_user_sgpr_count 6
		.amdhsa_user_sgpr_private_segment_buffer 1
		.amdhsa_user_sgpr_dispatch_ptr 0
		.amdhsa_user_sgpr_queue_ptr 0
		.amdhsa_user_sgpr_kernarg_segment_ptr 1
		.amdhsa_user_sgpr_dispatch_id 0
		.amdhsa_user_sgpr_flat_scratch_init 0
		.amdhsa_user_sgpr_private_segment_size 0
		.amdhsa_wavefront_size32 1
		.amdhsa_uses_dynamic_stack 0
		.amdhsa_system_sgpr_private_segment_wavefront_offset 0
		.amdhsa_system_sgpr_workgroup_id_x 1
		.amdhsa_system_sgpr_workgroup_id_y 0
		.amdhsa_system_sgpr_workgroup_id_z 0
		.amdhsa_system_sgpr_workgroup_info 0
		.amdhsa_system_vgpr_workitem_id 0
		.amdhsa_next_free_vgpr 1
		.amdhsa_next_free_sgpr 1
		.amdhsa_reserve_vcc 0
		.amdhsa_reserve_flat_scratch 0
		.amdhsa_float_round_mode_32 0
		.amdhsa_float_round_mode_16_64 0
		.amdhsa_float_denorm_mode_32 3
		.amdhsa_float_denorm_mode_16_64 3
		.amdhsa_dx10_clamp 1
		.amdhsa_ieee_mode 1
		.amdhsa_fp16_overflow 0
		.amdhsa_workgroup_processor_mode 1
		.amdhsa_memory_ordered 1
		.amdhsa_forward_progress 1
		.amdhsa_shared_vgpr_count 0
		.amdhsa_exception_fp_ieee_invalid_op 0
		.amdhsa_exception_fp_denorm_src 0
		.amdhsa_exception_fp_ieee_div_zero 0
		.amdhsa_exception_fp_ieee_overflow 0
		.amdhsa_exception_fp_ieee_underflow 0
		.amdhsa_exception_fp_ieee_inexact 0
		.amdhsa_exception_int_div_zero 0
	.end_amdhsa_kernel
	.section	.text._ZN7rocprim17ROCPRIM_400000_NS6detail17trampoline_kernelINS0_14default_configENS1_38merge_sort_block_merge_config_selectorIiNS0_10empty_typeEEEZZNS1_27merge_sort_block_merge_implIS3_N6thrust23THRUST_200600_302600_NS10device_ptrIiEEPS5_jNS1_19radix_merge_compareILb0ELb1EiNS0_19identity_decomposerEEEEE10hipError_tT0_T1_T2_jT3_P12ihipStream_tbPNSt15iterator_traitsISH_E10value_typeEPNSN_ISI_E10value_typeEPSJ_NS1_7vsmem_tEENKUlT_SH_SI_SJ_E_clIPiSB_SC_SC_EESG_SW_SH_SI_SJ_EUlSW_E_NS1_11comp_targetILNS1_3genE3ELNS1_11target_archE908ELNS1_3gpuE7ELNS1_3repE0EEENS1_48merge_mergepath_partition_config_static_selectorELNS0_4arch9wavefront6targetE0EEEvSI_,"axG",@progbits,_ZN7rocprim17ROCPRIM_400000_NS6detail17trampoline_kernelINS0_14default_configENS1_38merge_sort_block_merge_config_selectorIiNS0_10empty_typeEEEZZNS1_27merge_sort_block_merge_implIS3_N6thrust23THRUST_200600_302600_NS10device_ptrIiEEPS5_jNS1_19radix_merge_compareILb0ELb1EiNS0_19identity_decomposerEEEEE10hipError_tT0_T1_T2_jT3_P12ihipStream_tbPNSt15iterator_traitsISH_E10value_typeEPNSN_ISI_E10value_typeEPSJ_NS1_7vsmem_tEENKUlT_SH_SI_SJ_E_clIPiSB_SC_SC_EESG_SW_SH_SI_SJ_EUlSW_E_NS1_11comp_targetILNS1_3genE3ELNS1_11target_archE908ELNS1_3gpuE7ELNS1_3repE0EEENS1_48merge_mergepath_partition_config_static_selectorELNS0_4arch9wavefront6targetE0EEEvSI_,comdat
.Lfunc_end1173:
	.size	_ZN7rocprim17ROCPRIM_400000_NS6detail17trampoline_kernelINS0_14default_configENS1_38merge_sort_block_merge_config_selectorIiNS0_10empty_typeEEEZZNS1_27merge_sort_block_merge_implIS3_N6thrust23THRUST_200600_302600_NS10device_ptrIiEEPS5_jNS1_19radix_merge_compareILb0ELb1EiNS0_19identity_decomposerEEEEE10hipError_tT0_T1_T2_jT3_P12ihipStream_tbPNSt15iterator_traitsISH_E10value_typeEPNSN_ISI_E10value_typeEPSJ_NS1_7vsmem_tEENKUlT_SH_SI_SJ_E_clIPiSB_SC_SC_EESG_SW_SH_SI_SJ_EUlSW_E_NS1_11comp_targetILNS1_3genE3ELNS1_11target_archE908ELNS1_3gpuE7ELNS1_3repE0EEENS1_48merge_mergepath_partition_config_static_selectorELNS0_4arch9wavefront6targetE0EEEvSI_, .Lfunc_end1173-_ZN7rocprim17ROCPRIM_400000_NS6detail17trampoline_kernelINS0_14default_configENS1_38merge_sort_block_merge_config_selectorIiNS0_10empty_typeEEEZZNS1_27merge_sort_block_merge_implIS3_N6thrust23THRUST_200600_302600_NS10device_ptrIiEEPS5_jNS1_19radix_merge_compareILb0ELb1EiNS0_19identity_decomposerEEEEE10hipError_tT0_T1_T2_jT3_P12ihipStream_tbPNSt15iterator_traitsISH_E10value_typeEPNSN_ISI_E10value_typeEPSJ_NS1_7vsmem_tEENKUlT_SH_SI_SJ_E_clIPiSB_SC_SC_EESG_SW_SH_SI_SJ_EUlSW_E_NS1_11comp_targetILNS1_3genE3ELNS1_11target_archE908ELNS1_3gpuE7ELNS1_3repE0EEENS1_48merge_mergepath_partition_config_static_selectorELNS0_4arch9wavefront6targetE0EEEvSI_
                                        ; -- End function
	.set _ZN7rocprim17ROCPRIM_400000_NS6detail17trampoline_kernelINS0_14default_configENS1_38merge_sort_block_merge_config_selectorIiNS0_10empty_typeEEEZZNS1_27merge_sort_block_merge_implIS3_N6thrust23THRUST_200600_302600_NS10device_ptrIiEEPS5_jNS1_19radix_merge_compareILb0ELb1EiNS0_19identity_decomposerEEEEE10hipError_tT0_T1_T2_jT3_P12ihipStream_tbPNSt15iterator_traitsISH_E10value_typeEPNSN_ISI_E10value_typeEPSJ_NS1_7vsmem_tEENKUlT_SH_SI_SJ_E_clIPiSB_SC_SC_EESG_SW_SH_SI_SJ_EUlSW_E_NS1_11comp_targetILNS1_3genE3ELNS1_11target_archE908ELNS1_3gpuE7ELNS1_3repE0EEENS1_48merge_mergepath_partition_config_static_selectorELNS0_4arch9wavefront6targetE0EEEvSI_.num_vgpr, 0
	.set _ZN7rocprim17ROCPRIM_400000_NS6detail17trampoline_kernelINS0_14default_configENS1_38merge_sort_block_merge_config_selectorIiNS0_10empty_typeEEEZZNS1_27merge_sort_block_merge_implIS3_N6thrust23THRUST_200600_302600_NS10device_ptrIiEEPS5_jNS1_19radix_merge_compareILb0ELb1EiNS0_19identity_decomposerEEEEE10hipError_tT0_T1_T2_jT3_P12ihipStream_tbPNSt15iterator_traitsISH_E10value_typeEPNSN_ISI_E10value_typeEPSJ_NS1_7vsmem_tEENKUlT_SH_SI_SJ_E_clIPiSB_SC_SC_EESG_SW_SH_SI_SJ_EUlSW_E_NS1_11comp_targetILNS1_3genE3ELNS1_11target_archE908ELNS1_3gpuE7ELNS1_3repE0EEENS1_48merge_mergepath_partition_config_static_selectorELNS0_4arch9wavefront6targetE0EEEvSI_.num_agpr, 0
	.set _ZN7rocprim17ROCPRIM_400000_NS6detail17trampoline_kernelINS0_14default_configENS1_38merge_sort_block_merge_config_selectorIiNS0_10empty_typeEEEZZNS1_27merge_sort_block_merge_implIS3_N6thrust23THRUST_200600_302600_NS10device_ptrIiEEPS5_jNS1_19radix_merge_compareILb0ELb1EiNS0_19identity_decomposerEEEEE10hipError_tT0_T1_T2_jT3_P12ihipStream_tbPNSt15iterator_traitsISH_E10value_typeEPNSN_ISI_E10value_typeEPSJ_NS1_7vsmem_tEENKUlT_SH_SI_SJ_E_clIPiSB_SC_SC_EESG_SW_SH_SI_SJ_EUlSW_E_NS1_11comp_targetILNS1_3genE3ELNS1_11target_archE908ELNS1_3gpuE7ELNS1_3repE0EEENS1_48merge_mergepath_partition_config_static_selectorELNS0_4arch9wavefront6targetE0EEEvSI_.numbered_sgpr, 0
	.set _ZN7rocprim17ROCPRIM_400000_NS6detail17trampoline_kernelINS0_14default_configENS1_38merge_sort_block_merge_config_selectorIiNS0_10empty_typeEEEZZNS1_27merge_sort_block_merge_implIS3_N6thrust23THRUST_200600_302600_NS10device_ptrIiEEPS5_jNS1_19radix_merge_compareILb0ELb1EiNS0_19identity_decomposerEEEEE10hipError_tT0_T1_T2_jT3_P12ihipStream_tbPNSt15iterator_traitsISH_E10value_typeEPNSN_ISI_E10value_typeEPSJ_NS1_7vsmem_tEENKUlT_SH_SI_SJ_E_clIPiSB_SC_SC_EESG_SW_SH_SI_SJ_EUlSW_E_NS1_11comp_targetILNS1_3genE3ELNS1_11target_archE908ELNS1_3gpuE7ELNS1_3repE0EEENS1_48merge_mergepath_partition_config_static_selectorELNS0_4arch9wavefront6targetE0EEEvSI_.num_named_barrier, 0
	.set _ZN7rocprim17ROCPRIM_400000_NS6detail17trampoline_kernelINS0_14default_configENS1_38merge_sort_block_merge_config_selectorIiNS0_10empty_typeEEEZZNS1_27merge_sort_block_merge_implIS3_N6thrust23THRUST_200600_302600_NS10device_ptrIiEEPS5_jNS1_19radix_merge_compareILb0ELb1EiNS0_19identity_decomposerEEEEE10hipError_tT0_T1_T2_jT3_P12ihipStream_tbPNSt15iterator_traitsISH_E10value_typeEPNSN_ISI_E10value_typeEPSJ_NS1_7vsmem_tEENKUlT_SH_SI_SJ_E_clIPiSB_SC_SC_EESG_SW_SH_SI_SJ_EUlSW_E_NS1_11comp_targetILNS1_3genE3ELNS1_11target_archE908ELNS1_3gpuE7ELNS1_3repE0EEENS1_48merge_mergepath_partition_config_static_selectorELNS0_4arch9wavefront6targetE0EEEvSI_.private_seg_size, 0
	.set _ZN7rocprim17ROCPRIM_400000_NS6detail17trampoline_kernelINS0_14default_configENS1_38merge_sort_block_merge_config_selectorIiNS0_10empty_typeEEEZZNS1_27merge_sort_block_merge_implIS3_N6thrust23THRUST_200600_302600_NS10device_ptrIiEEPS5_jNS1_19radix_merge_compareILb0ELb1EiNS0_19identity_decomposerEEEEE10hipError_tT0_T1_T2_jT3_P12ihipStream_tbPNSt15iterator_traitsISH_E10value_typeEPNSN_ISI_E10value_typeEPSJ_NS1_7vsmem_tEENKUlT_SH_SI_SJ_E_clIPiSB_SC_SC_EESG_SW_SH_SI_SJ_EUlSW_E_NS1_11comp_targetILNS1_3genE3ELNS1_11target_archE908ELNS1_3gpuE7ELNS1_3repE0EEENS1_48merge_mergepath_partition_config_static_selectorELNS0_4arch9wavefront6targetE0EEEvSI_.uses_vcc, 0
	.set _ZN7rocprim17ROCPRIM_400000_NS6detail17trampoline_kernelINS0_14default_configENS1_38merge_sort_block_merge_config_selectorIiNS0_10empty_typeEEEZZNS1_27merge_sort_block_merge_implIS3_N6thrust23THRUST_200600_302600_NS10device_ptrIiEEPS5_jNS1_19radix_merge_compareILb0ELb1EiNS0_19identity_decomposerEEEEE10hipError_tT0_T1_T2_jT3_P12ihipStream_tbPNSt15iterator_traitsISH_E10value_typeEPNSN_ISI_E10value_typeEPSJ_NS1_7vsmem_tEENKUlT_SH_SI_SJ_E_clIPiSB_SC_SC_EESG_SW_SH_SI_SJ_EUlSW_E_NS1_11comp_targetILNS1_3genE3ELNS1_11target_archE908ELNS1_3gpuE7ELNS1_3repE0EEENS1_48merge_mergepath_partition_config_static_selectorELNS0_4arch9wavefront6targetE0EEEvSI_.uses_flat_scratch, 0
	.set _ZN7rocprim17ROCPRIM_400000_NS6detail17trampoline_kernelINS0_14default_configENS1_38merge_sort_block_merge_config_selectorIiNS0_10empty_typeEEEZZNS1_27merge_sort_block_merge_implIS3_N6thrust23THRUST_200600_302600_NS10device_ptrIiEEPS5_jNS1_19radix_merge_compareILb0ELb1EiNS0_19identity_decomposerEEEEE10hipError_tT0_T1_T2_jT3_P12ihipStream_tbPNSt15iterator_traitsISH_E10value_typeEPNSN_ISI_E10value_typeEPSJ_NS1_7vsmem_tEENKUlT_SH_SI_SJ_E_clIPiSB_SC_SC_EESG_SW_SH_SI_SJ_EUlSW_E_NS1_11comp_targetILNS1_3genE3ELNS1_11target_archE908ELNS1_3gpuE7ELNS1_3repE0EEENS1_48merge_mergepath_partition_config_static_selectorELNS0_4arch9wavefront6targetE0EEEvSI_.has_dyn_sized_stack, 0
	.set _ZN7rocprim17ROCPRIM_400000_NS6detail17trampoline_kernelINS0_14default_configENS1_38merge_sort_block_merge_config_selectorIiNS0_10empty_typeEEEZZNS1_27merge_sort_block_merge_implIS3_N6thrust23THRUST_200600_302600_NS10device_ptrIiEEPS5_jNS1_19radix_merge_compareILb0ELb1EiNS0_19identity_decomposerEEEEE10hipError_tT0_T1_T2_jT3_P12ihipStream_tbPNSt15iterator_traitsISH_E10value_typeEPNSN_ISI_E10value_typeEPSJ_NS1_7vsmem_tEENKUlT_SH_SI_SJ_E_clIPiSB_SC_SC_EESG_SW_SH_SI_SJ_EUlSW_E_NS1_11comp_targetILNS1_3genE3ELNS1_11target_archE908ELNS1_3gpuE7ELNS1_3repE0EEENS1_48merge_mergepath_partition_config_static_selectorELNS0_4arch9wavefront6targetE0EEEvSI_.has_recursion, 0
	.set _ZN7rocprim17ROCPRIM_400000_NS6detail17trampoline_kernelINS0_14default_configENS1_38merge_sort_block_merge_config_selectorIiNS0_10empty_typeEEEZZNS1_27merge_sort_block_merge_implIS3_N6thrust23THRUST_200600_302600_NS10device_ptrIiEEPS5_jNS1_19radix_merge_compareILb0ELb1EiNS0_19identity_decomposerEEEEE10hipError_tT0_T1_T2_jT3_P12ihipStream_tbPNSt15iterator_traitsISH_E10value_typeEPNSN_ISI_E10value_typeEPSJ_NS1_7vsmem_tEENKUlT_SH_SI_SJ_E_clIPiSB_SC_SC_EESG_SW_SH_SI_SJ_EUlSW_E_NS1_11comp_targetILNS1_3genE3ELNS1_11target_archE908ELNS1_3gpuE7ELNS1_3repE0EEENS1_48merge_mergepath_partition_config_static_selectorELNS0_4arch9wavefront6targetE0EEEvSI_.has_indirect_call, 0
	.section	.AMDGPU.csdata,"",@progbits
; Kernel info:
; codeLenInByte = 0
; TotalNumSgprs: 0
; NumVgprs: 0
; ScratchSize: 0
; MemoryBound: 0
; FloatMode: 240
; IeeeMode: 1
; LDSByteSize: 0 bytes/workgroup (compile time only)
; SGPRBlocks: 0
; VGPRBlocks: 0
; NumSGPRsForWavesPerEU: 1
; NumVGPRsForWavesPerEU: 1
; Occupancy: 16
; WaveLimiterHint : 0
; COMPUTE_PGM_RSRC2:SCRATCH_EN: 0
; COMPUTE_PGM_RSRC2:USER_SGPR: 6
; COMPUTE_PGM_RSRC2:TRAP_HANDLER: 0
; COMPUTE_PGM_RSRC2:TGID_X_EN: 1
; COMPUTE_PGM_RSRC2:TGID_Y_EN: 0
; COMPUTE_PGM_RSRC2:TGID_Z_EN: 0
; COMPUTE_PGM_RSRC2:TIDIG_COMP_CNT: 0
	.section	.text._ZN7rocprim17ROCPRIM_400000_NS6detail17trampoline_kernelINS0_14default_configENS1_38merge_sort_block_merge_config_selectorIiNS0_10empty_typeEEEZZNS1_27merge_sort_block_merge_implIS3_N6thrust23THRUST_200600_302600_NS10device_ptrIiEEPS5_jNS1_19radix_merge_compareILb0ELb1EiNS0_19identity_decomposerEEEEE10hipError_tT0_T1_T2_jT3_P12ihipStream_tbPNSt15iterator_traitsISH_E10value_typeEPNSN_ISI_E10value_typeEPSJ_NS1_7vsmem_tEENKUlT_SH_SI_SJ_E_clIPiSB_SC_SC_EESG_SW_SH_SI_SJ_EUlSW_E_NS1_11comp_targetILNS1_3genE2ELNS1_11target_archE906ELNS1_3gpuE6ELNS1_3repE0EEENS1_48merge_mergepath_partition_config_static_selectorELNS0_4arch9wavefront6targetE0EEEvSI_,"axG",@progbits,_ZN7rocprim17ROCPRIM_400000_NS6detail17trampoline_kernelINS0_14default_configENS1_38merge_sort_block_merge_config_selectorIiNS0_10empty_typeEEEZZNS1_27merge_sort_block_merge_implIS3_N6thrust23THRUST_200600_302600_NS10device_ptrIiEEPS5_jNS1_19radix_merge_compareILb0ELb1EiNS0_19identity_decomposerEEEEE10hipError_tT0_T1_T2_jT3_P12ihipStream_tbPNSt15iterator_traitsISH_E10value_typeEPNSN_ISI_E10value_typeEPSJ_NS1_7vsmem_tEENKUlT_SH_SI_SJ_E_clIPiSB_SC_SC_EESG_SW_SH_SI_SJ_EUlSW_E_NS1_11comp_targetILNS1_3genE2ELNS1_11target_archE906ELNS1_3gpuE6ELNS1_3repE0EEENS1_48merge_mergepath_partition_config_static_selectorELNS0_4arch9wavefront6targetE0EEEvSI_,comdat
	.protected	_ZN7rocprim17ROCPRIM_400000_NS6detail17trampoline_kernelINS0_14default_configENS1_38merge_sort_block_merge_config_selectorIiNS0_10empty_typeEEEZZNS1_27merge_sort_block_merge_implIS3_N6thrust23THRUST_200600_302600_NS10device_ptrIiEEPS5_jNS1_19radix_merge_compareILb0ELb1EiNS0_19identity_decomposerEEEEE10hipError_tT0_T1_T2_jT3_P12ihipStream_tbPNSt15iterator_traitsISH_E10value_typeEPNSN_ISI_E10value_typeEPSJ_NS1_7vsmem_tEENKUlT_SH_SI_SJ_E_clIPiSB_SC_SC_EESG_SW_SH_SI_SJ_EUlSW_E_NS1_11comp_targetILNS1_3genE2ELNS1_11target_archE906ELNS1_3gpuE6ELNS1_3repE0EEENS1_48merge_mergepath_partition_config_static_selectorELNS0_4arch9wavefront6targetE0EEEvSI_ ; -- Begin function _ZN7rocprim17ROCPRIM_400000_NS6detail17trampoline_kernelINS0_14default_configENS1_38merge_sort_block_merge_config_selectorIiNS0_10empty_typeEEEZZNS1_27merge_sort_block_merge_implIS3_N6thrust23THRUST_200600_302600_NS10device_ptrIiEEPS5_jNS1_19radix_merge_compareILb0ELb1EiNS0_19identity_decomposerEEEEE10hipError_tT0_T1_T2_jT3_P12ihipStream_tbPNSt15iterator_traitsISH_E10value_typeEPNSN_ISI_E10value_typeEPSJ_NS1_7vsmem_tEENKUlT_SH_SI_SJ_E_clIPiSB_SC_SC_EESG_SW_SH_SI_SJ_EUlSW_E_NS1_11comp_targetILNS1_3genE2ELNS1_11target_archE906ELNS1_3gpuE6ELNS1_3repE0EEENS1_48merge_mergepath_partition_config_static_selectorELNS0_4arch9wavefront6targetE0EEEvSI_
	.globl	_ZN7rocprim17ROCPRIM_400000_NS6detail17trampoline_kernelINS0_14default_configENS1_38merge_sort_block_merge_config_selectorIiNS0_10empty_typeEEEZZNS1_27merge_sort_block_merge_implIS3_N6thrust23THRUST_200600_302600_NS10device_ptrIiEEPS5_jNS1_19radix_merge_compareILb0ELb1EiNS0_19identity_decomposerEEEEE10hipError_tT0_T1_T2_jT3_P12ihipStream_tbPNSt15iterator_traitsISH_E10value_typeEPNSN_ISI_E10value_typeEPSJ_NS1_7vsmem_tEENKUlT_SH_SI_SJ_E_clIPiSB_SC_SC_EESG_SW_SH_SI_SJ_EUlSW_E_NS1_11comp_targetILNS1_3genE2ELNS1_11target_archE906ELNS1_3gpuE6ELNS1_3repE0EEENS1_48merge_mergepath_partition_config_static_selectorELNS0_4arch9wavefront6targetE0EEEvSI_
	.p2align	8
	.type	_ZN7rocprim17ROCPRIM_400000_NS6detail17trampoline_kernelINS0_14default_configENS1_38merge_sort_block_merge_config_selectorIiNS0_10empty_typeEEEZZNS1_27merge_sort_block_merge_implIS3_N6thrust23THRUST_200600_302600_NS10device_ptrIiEEPS5_jNS1_19radix_merge_compareILb0ELb1EiNS0_19identity_decomposerEEEEE10hipError_tT0_T1_T2_jT3_P12ihipStream_tbPNSt15iterator_traitsISH_E10value_typeEPNSN_ISI_E10value_typeEPSJ_NS1_7vsmem_tEENKUlT_SH_SI_SJ_E_clIPiSB_SC_SC_EESG_SW_SH_SI_SJ_EUlSW_E_NS1_11comp_targetILNS1_3genE2ELNS1_11target_archE906ELNS1_3gpuE6ELNS1_3repE0EEENS1_48merge_mergepath_partition_config_static_selectorELNS0_4arch9wavefront6targetE0EEEvSI_,@function
_ZN7rocprim17ROCPRIM_400000_NS6detail17trampoline_kernelINS0_14default_configENS1_38merge_sort_block_merge_config_selectorIiNS0_10empty_typeEEEZZNS1_27merge_sort_block_merge_implIS3_N6thrust23THRUST_200600_302600_NS10device_ptrIiEEPS5_jNS1_19radix_merge_compareILb0ELb1EiNS0_19identity_decomposerEEEEE10hipError_tT0_T1_T2_jT3_P12ihipStream_tbPNSt15iterator_traitsISH_E10value_typeEPNSN_ISI_E10value_typeEPSJ_NS1_7vsmem_tEENKUlT_SH_SI_SJ_E_clIPiSB_SC_SC_EESG_SW_SH_SI_SJ_EUlSW_E_NS1_11comp_targetILNS1_3genE2ELNS1_11target_archE906ELNS1_3gpuE6ELNS1_3repE0EEENS1_48merge_mergepath_partition_config_static_selectorELNS0_4arch9wavefront6targetE0EEEvSI_: ; @_ZN7rocprim17ROCPRIM_400000_NS6detail17trampoline_kernelINS0_14default_configENS1_38merge_sort_block_merge_config_selectorIiNS0_10empty_typeEEEZZNS1_27merge_sort_block_merge_implIS3_N6thrust23THRUST_200600_302600_NS10device_ptrIiEEPS5_jNS1_19radix_merge_compareILb0ELb1EiNS0_19identity_decomposerEEEEE10hipError_tT0_T1_T2_jT3_P12ihipStream_tbPNSt15iterator_traitsISH_E10value_typeEPNSN_ISI_E10value_typeEPSJ_NS1_7vsmem_tEENKUlT_SH_SI_SJ_E_clIPiSB_SC_SC_EESG_SW_SH_SI_SJ_EUlSW_E_NS1_11comp_targetILNS1_3genE2ELNS1_11target_archE906ELNS1_3gpuE6ELNS1_3repE0EEENS1_48merge_mergepath_partition_config_static_selectorELNS0_4arch9wavefront6targetE0EEEvSI_
; %bb.0:
	.section	.rodata,"a",@progbits
	.p2align	6, 0x0
	.amdhsa_kernel _ZN7rocprim17ROCPRIM_400000_NS6detail17trampoline_kernelINS0_14default_configENS1_38merge_sort_block_merge_config_selectorIiNS0_10empty_typeEEEZZNS1_27merge_sort_block_merge_implIS3_N6thrust23THRUST_200600_302600_NS10device_ptrIiEEPS5_jNS1_19radix_merge_compareILb0ELb1EiNS0_19identity_decomposerEEEEE10hipError_tT0_T1_T2_jT3_P12ihipStream_tbPNSt15iterator_traitsISH_E10value_typeEPNSN_ISI_E10value_typeEPSJ_NS1_7vsmem_tEENKUlT_SH_SI_SJ_E_clIPiSB_SC_SC_EESG_SW_SH_SI_SJ_EUlSW_E_NS1_11comp_targetILNS1_3genE2ELNS1_11target_archE906ELNS1_3gpuE6ELNS1_3repE0EEENS1_48merge_mergepath_partition_config_static_selectorELNS0_4arch9wavefront6targetE0EEEvSI_
		.amdhsa_group_segment_fixed_size 0
		.amdhsa_private_segment_fixed_size 0
		.amdhsa_kernarg_size 40
		.amdhsa_user_sgpr_count 6
		.amdhsa_user_sgpr_private_segment_buffer 1
		.amdhsa_user_sgpr_dispatch_ptr 0
		.amdhsa_user_sgpr_queue_ptr 0
		.amdhsa_user_sgpr_kernarg_segment_ptr 1
		.amdhsa_user_sgpr_dispatch_id 0
		.amdhsa_user_sgpr_flat_scratch_init 0
		.amdhsa_user_sgpr_private_segment_size 0
		.amdhsa_wavefront_size32 1
		.amdhsa_uses_dynamic_stack 0
		.amdhsa_system_sgpr_private_segment_wavefront_offset 0
		.amdhsa_system_sgpr_workgroup_id_x 1
		.amdhsa_system_sgpr_workgroup_id_y 0
		.amdhsa_system_sgpr_workgroup_id_z 0
		.amdhsa_system_sgpr_workgroup_info 0
		.amdhsa_system_vgpr_workitem_id 0
		.amdhsa_next_free_vgpr 1
		.amdhsa_next_free_sgpr 1
		.amdhsa_reserve_vcc 0
		.amdhsa_reserve_flat_scratch 0
		.amdhsa_float_round_mode_32 0
		.amdhsa_float_round_mode_16_64 0
		.amdhsa_float_denorm_mode_32 3
		.amdhsa_float_denorm_mode_16_64 3
		.amdhsa_dx10_clamp 1
		.amdhsa_ieee_mode 1
		.amdhsa_fp16_overflow 0
		.amdhsa_workgroup_processor_mode 1
		.amdhsa_memory_ordered 1
		.amdhsa_forward_progress 1
		.amdhsa_shared_vgpr_count 0
		.amdhsa_exception_fp_ieee_invalid_op 0
		.amdhsa_exception_fp_denorm_src 0
		.amdhsa_exception_fp_ieee_div_zero 0
		.amdhsa_exception_fp_ieee_overflow 0
		.amdhsa_exception_fp_ieee_underflow 0
		.amdhsa_exception_fp_ieee_inexact 0
		.amdhsa_exception_int_div_zero 0
	.end_amdhsa_kernel
	.section	.text._ZN7rocprim17ROCPRIM_400000_NS6detail17trampoline_kernelINS0_14default_configENS1_38merge_sort_block_merge_config_selectorIiNS0_10empty_typeEEEZZNS1_27merge_sort_block_merge_implIS3_N6thrust23THRUST_200600_302600_NS10device_ptrIiEEPS5_jNS1_19radix_merge_compareILb0ELb1EiNS0_19identity_decomposerEEEEE10hipError_tT0_T1_T2_jT3_P12ihipStream_tbPNSt15iterator_traitsISH_E10value_typeEPNSN_ISI_E10value_typeEPSJ_NS1_7vsmem_tEENKUlT_SH_SI_SJ_E_clIPiSB_SC_SC_EESG_SW_SH_SI_SJ_EUlSW_E_NS1_11comp_targetILNS1_3genE2ELNS1_11target_archE906ELNS1_3gpuE6ELNS1_3repE0EEENS1_48merge_mergepath_partition_config_static_selectorELNS0_4arch9wavefront6targetE0EEEvSI_,"axG",@progbits,_ZN7rocprim17ROCPRIM_400000_NS6detail17trampoline_kernelINS0_14default_configENS1_38merge_sort_block_merge_config_selectorIiNS0_10empty_typeEEEZZNS1_27merge_sort_block_merge_implIS3_N6thrust23THRUST_200600_302600_NS10device_ptrIiEEPS5_jNS1_19radix_merge_compareILb0ELb1EiNS0_19identity_decomposerEEEEE10hipError_tT0_T1_T2_jT3_P12ihipStream_tbPNSt15iterator_traitsISH_E10value_typeEPNSN_ISI_E10value_typeEPSJ_NS1_7vsmem_tEENKUlT_SH_SI_SJ_E_clIPiSB_SC_SC_EESG_SW_SH_SI_SJ_EUlSW_E_NS1_11comp_targetILNS1_3genE2ELNS1_11target_archE906ELNS1_3gpuE6ELNS1_3repE0EEENS1_48merge_mergepath_partition_config_static_selectorELNS0_4arch9wavefront6targetE0EEEvSI_,comdat
.Lfunc_end1174:
	.size	_ZN7rocprim17ROCPRIM_400000_NS6detail17trampoline_kernelINS0_14default_configENS1_38merge_sort_block_merge_config_selectorIiNS0_10empty_typeEEEZZNS1_27merge_sort_block_merge_implIS3_N6thrust23THRUST_200600_302600_NS10device_ptrIiEEPS5_jNS1_19radix_merge_compareILb0ELb1EiNS0_19identity_decomposerEEEEE10hipError_tT0_T1_T2_jT3_P12ihipStream_tbPNSt15iterator_traitsISH_E10value_typeEPNSN_ISI_E10value_typeEPSJ_NS1_7vsmem_tEENKUlT_SH_SI_SJ_E_clIPiSB_SC_SC_EESG_SW_SH_SI_SJ_EUlSW_E_NS1_11comp_targetILNS1_3genE2ELNS1_11target_archE906ELNS1_3gpuE6ELNS1_3repE0EEENS1_48merge_mergepath_partition_config_static_selectorELNS0_4arch9wavefront6targetE0EEEvSI_, .Lfunc_end1174-_ZN7rocprim17ROCPRIM_400000_NS6detail17trampoline_kernelINS0_14default_configENS1_38merge_sort_block_merge_config_selectorIiNS0_10empty_typeEEEZZNS1_27merge_sort_block_merge_implIS3_N6thrust23THRUST_200600_302600_NS10device_ptrIiEEPS5_jNS1_19radix_merge_compareILb0ELb1EiNS0_19identity_decomposerEEEEE10hipError_tT0_T1_T2_jT3_P12ihipStream_tbPNSt15iterator_traitsISH_E10value_typeEPNSN_ISI_E10value_typeEPSJ_NS1_7vsmem_tEENKUlT_SH_SI_SJ_E_clIPiSB_SC_SC_EESG_SW_SH_SI_SJ_EUlSW_E_NS1_11comp_targetILNS1_3genE2ELNS1_11target_archE906ELNS1_3gpuE6ELNS1_3repE0EEENS1_48merge_mergepath_partition_config_static_selectorELNS0_4arch9wavefront6targetE0EEEvSI_
                                        ; -- End function
	.set _ZN7rocprim17ROCPRIM_400000_NS6detail17trampoline_kernelINS0_14default_configENS1_38merge_sort_block_merge_config_selectorIiNS0_10empty_typeEEEZZNS1_27merge_sort_block_merge_implIS3_N6thrust23THRUST_200600_302600_NS10device_ptrIiEEPS5_jNS1_19radix_merge_compareILb0ELb1EiNS0_19identity_decomposerEEEEE10hipError_tT0_T1_T2_jT3_P12ihipStream_tbPNSt15iterator_traitsISH_E10value_typeEPNSN_ISI_E10value_typeEPSJ_NS1_7vsmem_tEENKUlT_SH_SI_SJ_E_clIPiSB_SC_SC_EESG_SW_SH_SI_SJ_EUlSW_E_NS1_11comp_targetILNS1_3genE2ELNS1_11target_archE906ELNS1_3gpuE6ELNS1_3repE0EEENS1_48merge_mergepath_partition_config_static_selectorELNS0_4arch9wavefront6targetE0EEEvSI_.num_vgpr, 0
	.set _ZN7rocprim17ROCPRIM_400000_NS6detail17trampoline_kernelINS0_14default_configENS1_38merge_sort_block_merge_config_selectorIiNS0_10empty_typeEEEZZNS1_27merge_sort_block_merge_implIS3_N6thrust23THRUST_200600_302600_NS10device_ptrIiEEPS5_jNS1_19radix_merge_compareILb0ELb1EiNS0_19identity_decomposerEEEEE10hipError_tT0_T1_T2_jT3_P12ihipStream_tbPNSt15iterator_traitsISH_E10value_typeEPNSN_ISI_E10value_typeEPSJ_NS1_7vsmem_tEENKUlT_SH_SI_SJ_E_clIPiSB_SC_SC_EESG_SW_SH_SI_SJ_EUlSW_E_NS1_11comp_targetILNS1_3genE2ELNS1_11target_archE906ELNS1_3gpuE6ELNS1_3repE0EEENS1_48merge_mergepath_partition_config_static_selectorELNS0_4arch9wavefront6targetE0EEEvSI_.num_agpr, 0
	.set _ZN7rocprim17ROCPRIM_400000_NS6detail17trampoline_kernelINS0_14default_configENS1_38merge_sort_block_merge_config_selectorIiNS0_10empty_typeEEEZZNS1_27merge_sort_block_merge_implIS3_N6thrust23THRUST_200600_302600_NS10device_ptrIiEEPS5_jNS1_19radix_merge_compareILb0ELb1EiNS0_19identity_decomposerEEEEE10hipError_tT0_T1_T2_jT3_P12ihipStream_tbPNSt15iterator_traitsISH_E10value_typeEPNSN_ISI_E10value_typeEPSJ_NS1_7vsmem_tEENKUlT_SH_SI_SJ_E_clIPiSB_SC_SC_EESG_SW_SH_SI_SJ_EUlSW_E_NS1_11comp_targetILNS1_3genE2ELNS1_11target_archE906ELNS1_3gpuE6ELNS1_3repE0EEENS1_48merge_mergepath_partition_config_static_selectorELNS0_4arch9wavefront6targetE0EEEvSI_.numbered_sgpr, 0
	.set _ZN7rocprim17ROCPRIM_400000_NS6detail17trampoline_kernelINS0_14default_configENS1_38merge_sort_block_merge_config_selectorIiNS0_10empty_typeEEEZZNS1_27merge_sort_block_merge_implIS3_N6thrust23THRUST_200600_302600_NS10device_ptrIiEEPS5_jNS1_19radix_merge_compareILb0ELb1EiNS0_19identity_decomposerEEEEE10hipError_tT0_T1_T2_jT3_P12ihipStream_tbPNSt15iterator_traitsISH_E10value_typeEPNSN_ISI_E10value_typeEPSJ_NS1_7vsmem_tEENKUlT_SH_SI_SJ_E_clIPiSB_SC_SC_EESG_SW_SH_SI_SJ_EUlSW_E_NS1_11comp_targetILNS1_3genE2ELNS1_11target_archE906ELNS1_3gpuE6ELNS1_3repE0EEENS1_48merge_mergepath_partition_config_static_selectorELNS0_4arch9wavefront6targetE0EEEvSI_.num_named_barrier, 0
	.set _ZN7rocprim17ROCPRIM_400000_NS6detail17trampoline_kernelINS0_14default_configENS1_38merge_sort_block_merge_config_selectorIiNS0_10empty_typeEEEZZNS1_27merge_sort_block_merge_implIS3_N6thrust23THRUST_200600_302600_NS10device_ptrIiEEPS5_jNS1_19radix_merge_compareILb0ELb1EiNS0_19identity_decomposerEEEEE10hipError_tT0_T1_T2_jT3_P12ihipStream_tbPNSt15iterator_traitsISH_E10value_typeEPNSN_ISI_E10value_typeEPSJ_NS1_7vsmem_tEENKUlT_SH_SI_SJ_E_clIPiSB_SC_SC_EESG_SW_SH_SI_SJ_EUlSW_E_NS1_11comp_targetILNS1_3genE2ELNS1_11target_archE906ELNS1_3gpuE6ELNS1_3repE0EEENS1_48merge_mergepath_partition_config_static_selectorELNS0_4arch9wavefront6targetE0EEEvSI_.private_seg_size, 0
	.set _ZN7rocprim17ROCPRIM_400000_NS6detail17trampoline_kernelINS0_14default_configENS1_38merge_sort_block_merge_config_selectorIiNS0_10empty_typeEEEZZNS1_27merge_sort_block_merge_implIS3_N6thrust23THRUST_200600_302600_NS10device_ptrIiEEPS5_jNS1_19radix_merge_compareILb0ELb1EiNS0_19identity_decomposerEEEEE10hipError_tT0_T1_T2_jT3_P12ihipStream_tbPNSt15iterator_traitsISH_E10value_typeEPNSN_ISI_E10value_typeEPSJ_NS1_7vsmem_tEENKUlT_SH_SI_SJ_E_clIPiSB_SC_SC_EESG_SW_SH_SI_SJ_EUlSW_E_NS1_11comp_targetILNS1_3genE2ELNS1_11target_archE906ELNS1_3gpuE6ELNS1_3repE0EEENS1_48merge_mergepath_partition_config_static_selectorELNS0_4arch9wavefront6targetE0EEEvSI_.uses_vcc, 0
	.set _ZN7rocprim17ROCPRIM_400000_NS6detail17trampoline_kernelINS0_14default_configENS1_38merge_sort_block_merge_config_selectorIiNS0_10empty_typeEEEZZNS1_27merge_sort_block_merge_implIS3_N6thrust23THRUST_200600_302600_NS10device_ptrIiEEPS5_jNS1_19radix_merge_compareILb0ELb1EiNS0_19identity_decomposerEEEEE10hipError_tT0_T1_T2_jT3_P12ihipStream_tbPNSt15iterator_traitsISH_E10value_typeEPNSN_ISI_E10value_typeEPSJ_NS1_7vsmem_tEENKUlT_SH_SI_SJ_E_clIPiSB_SC_SC_EESG_SW_SH_SI_SJ_EUlSW_E_NS1_11comp_targetILNS1_3genE2ELNS1_11target_archE906ELNS1_3gpuE6ELNS1_3repE0EEENS1_48merge_mergepath_partition_config_static_selectorELNS0_4arch9wavefront6targetE0EEEvSI_.uses_flat_scratch, 0
	.set _ZN7rocprim17ROCPRIM_400000_NS6detail17trampoline_kernelINS0_14default_configENS1_38merge_sort_block_merge_config_selectorIiNS0_10empty_typeEEEZZNS1_27merge_sort_block_merge_implIS3_N6thrust23THRUST_200600_302600_NS10device_ptrIiEEPS5_jNS1_19radix_merge_compareILb0ELb1EiNS0_19identity_decomposerEEEEE10hipError_tT0_T1_T2_jT3_P12ihipStream_tbPNSt15iterator_traitsISH_E10value_typeEPNSN_ISI_E10value_typeEPSJ_NS1_7vsmem_tEENKUlT_SH_SI_SJ_E_clIPiSB_SC_SC_EESG_SW_SH_SI_SJ_EUlSW_E_NS1_11comp_targetILNS1_3genE2ELNS1_11target_archE906ELNS1_3gpuE6ELNS1_3repE0EEENS1_48merge_mergepath_partition_config_static_selectorELNS0_4arch9wavefront6targetE0EEEvSI_.has_dyn_sized_stack, 0
	.set _ZN7rocprim17ROCPRIM_400000_NS6detail17trampoline_kernelINS0_14default_configENS1_38merge_sort_block_merge_config_selectorIiNS0_10empty_typeEEEZZNS1_27merge_sort_block_merge_implIS3_N6thrust23THRUST_200600_302600_NS10device_ptrIiEEPS5_jNS1_19radix_merge_compareILb0ELb1EiNS0_19identity_decomposerEEEEE10hipError_tT0_T1_T2_jT3_P12ihipStream_tbPNSt15iterator_traitsISH_E10value_typeEPNSN_ISI_E10value_typeEPSJ_NS1_7vsmem_tEENKUlT_SH_SI_SJ_E_clIPiSB_SC_SC_EESG_SW_SH_SI_SJ_EUlSW_E_NS1_11comp_targetILNS1_3genE2ELNS1_11target_archE906ELNS1_3gpuE6ELNS1_3repE0EEENS1_48merge_mergepath_partition_config_static_selectorELNS0_4arch9wavefront6targetE0EEEvSI_.has_recursion, 0
	.set _ZN7rocprim17ROCPRIM_400000_NS6detail17trampoline_kernelINS0_14default_configENS1_38merge_sort_block_merge_config_selectorIiNS0_10empty_typeEEEZZNS1_27merge_sort_block_merge_implIS3_N6thrust23THRUST_200600_302600_NS10device_ptrIiEEPS5_jNS1_19radix_merge_compareILb0ELb1EiNS0_19identity_decomposerEEEEE10hipError_tT0_T1_T2_jT3_P12ihipStream_tbPNSt15iterator_traitsISH_E10value_typeEPNSN_ISI_E10value_typeEPSJ_NS1_7vsmem_tEENKUlT_SH_SI_SJ_E_clIPiSB_SC_SC_EESG_SW_SH_SI_SJ_EUlSW_E_NS1_11comp_targetILNS1_3genE2ELNS1_11target_archE906ELNS1_3gpuE6ELNS1_3repE0EEENS1_48merge_mergepath_partition_config_static_selectorELNS0_4arch9wavefront6targetE0EEEvSI_.has_indirect_call, 0
	.section	.AMDGPU.csdata,"",@progbits
; Kernel info:
; codeLenInByte = 0
; TotalNumSgprs: 0
; NumVgprs: 0
; ScratchSize: 0
; MemoryBound: 0
; FloatMode: 240
; IeeeMode: 1
; LDSByteSize: 0 bytes/workgroup (compile time only)
; SGPRBlocks: 0
; VGPRBlocks: 0
; NumSGPRsForWavesPerEU: 1
; NumVGPRsForWavesPerEU: 1
; Occupancy: 16
; WaveLimiterHint : 0
; COMPUTE_PGM_RSRC2:SCRATCH_EN: 0
; COMPUTE_PGM_RSRC2:USER_SGPR: 6
; COMPUTE_PGM_RSRC2:TRAP_HANDLER: 0
; COMPUTE_PGM_RSRC2:TGID_X_EN: 1
; COMPUTE_PGM_RSRC2:TGID_Y_EN: 0
; COMPUTE_PGM_RSRC2:TGID_Z_EN: 0
; COMPUTE_PGM_RSRC2:TIDIG_COMP_CNT: 0
	.section	.text._ZN7rocprim17ROCPRIM_400000_NS6detail17trampoline_kernelINS0_14default_configENS1_38merge_sort_block_merge_config_selectorIiNS0_10empty_typeEEEZZNS1_27merge_sort_block_merge_implIS3_N6thrust23THRUST_200600_302600_NS10device_ptrIiEEPS5_jNS1_19radix_merge_compareILb0ELb1EiNS0_19identity_decomposerEEEEE10hipError_tT0_T1_T2_jT3_P12ihipStream_tbPNSt15iterator_traitsISH_E10value_typeEPNSN_ISI_E10value_typeEPSJ_NS1_7vsmem_tEENKUlT_SH_SI_SJ_E_clIPiSB_SC_SC_EESG_SW_SH_SI_SJ_EUlSW_E_NS1_11comp_targetILNS1_3genE9ELNS1_11target_archE1100ELNS1_3gpuE3ELNS1_3repE0EEENS1_48merge_mergepath_partition_config_static_selectorELNS0_4arch9wavefront6targetE0EEEvSI_,"axG",@progbits,_ZN7rocprim17ROCPRIM_400000_NS6detail17trampoline_kernelINS0_14default_configENS1_38merge_sort_block_merge_config_selectorIiNS0_10empty_typeEEEZZNS1_27merge_sort_block_merge_implIS3_N6thrust23THRUST_200600_302600_NS10device_ptrIiEEPS5_jNS1_19radix_merge_compareILb0ELb1EiNS0_19identity_decomposerEEEEE10hipError_tT0_T1_T2_jT3_P12ihipStream_tbPNSt15iterator_traitsISH_E10value_typeEPNSN_ISI_E10value_typeEPSJ_NS1_7vsmem_tEENKUlT_SH_SI_SJ_E_clIPiSB_SC_SC_EESG_SW_SH_SI_SJ_EUlSW_E_NS1_11comp_targetILNS1_3genE9ELNS1_11target_archE1100ELNS1_3gpuE3ELNS1_3repE0EEENS1_48merge_mergepath_partition_config_static_selectorELNS0_4arch9wavefront6targetE0EEEvSI_,comdat
	.protected	_ZN7rocprim17ROCPRIM_400000_NS6detail17trampoline_kernelINS0_14default_configENS1_38merge_sort_block_merge_config_selectorIiNS0_10empty_typeEEEZZNS1_27merge_sort_block_merge_implIS3_N6thrust23THRUST_200600_302600_NS10device_ptrIiEEPS5_jNS1_19radix_merge_compareILb0ELb1EiNS0_19identity_decomposerEEEEE10hipError_tT0_T1_T2_jT3_P12ihipStream_tbPNSt15iterator_traitsISH_E10value_typeEPNSN_ISI_E10value_typeEPSJ_NS1_7vsmem_tEENKUlT_SH_SI_SJ_E_clIPiSB_SC_SC_EESG_SW_SH_SI_SJ_EUlSW_E_NS1_11comp_targetILNS1_3genE9ELNS1_11target_archE1100ELNS1_3gpuE3ELNS1_3repE0EEENS1_48merge_mergepath_partition_config_static_selectorELNS0_4arch9wavefront6targetE0EEEvSI_ ; -- Begin function _ZN7rocprim17ROCPRIM_400000_NS6detail17trampoline_kernelINS0_14default_configENS1_38merge_sort_block_merge_config_selectorIiNS0_10empty_typeEEEZZNS1_27merge_sort_block_merge_implIS3_N6thrust23THRUST_200600_302600_NS10device_ptrIiEEPS5_jNS1_19radix_merge_compareILb0ELb1EiNS0_19identity_decomposerEEEEE10hipError_tT0_T1_T2_jT3_P12ihipStream_tbPNSt15iterator_traitsISH_E10value_typeEPNSN_ISI_E10value_typeEPSJ_NS1_7vsmem_tEENKUlT_SH_SI_SJ_E_clIPiSB_SC_SC_EESG_SW_SH_SI_SJ_EUlSW_E_NS1_11comp_targetILNS1_3genE9ELNS1_11target_archE1100ELNS1_3gpuE3ELNS1_3repE0EEENS1_48merge_mergepath_partition_config_static_selectorELNS0_4arch9wavefront6targetE0EEEvSI_
	.globl	_ZN7rocprim17ROCPRIM_400000_NS6detail17trampoline_kernelINS0_14default_configENS1_38merge_sort_block_merge_config_selectorIiNS0_10empty_typeEEEZZNS1_27merge_sort_block_merge_implIS3_N6thrust23THRUST_200600_302600_NS10device_ptrIiEEPS5_jNS1_19radix_merge_compareILb0ELb1EiNS0_19identity_decomposerEEEEE10hipError_tT0_T1_T2_jT3_P12ihipStream_tbPNSt15iterator_traitsISH_E10value_typeEPNSN_ISI_E10value_typeEPSJ_NS1_7vsmem_tEENKUlT_SH_SI_SJ_E_clIPiSB_SC_SC_EESG_SW_SH_SI_SJ_EUlSW_E_NS1_11comp_targetILNS1_3genE9ELNS1_11target_archE1100ELNS1_3gpuE3ELNS1_3repE0EEENS1_48merge_mergepath_partition_config_static_selectorELNS0_4arch9wavefront6targetE0EEEvSI_
	.p2align	8
	.type	_ZN7rocprim17ROCPRIM_400000_NS6detail17trampoline_kernelINS0_14default_configENS1_38merge_sort_block_merge_config_selectorIiNS0_10empty_typeEEEZZNS1_27merge_sort_block_merge_implIS3_N6thrust23THRUST_200600_302600_NS10device_ptrIiEEPS5_jNS1_19radix_merge_compareILb0ELb1EiNS0_19identity_decomposerEEEEE10hipError_tT0_T1_T2_jT3_P12ihipStream_tbPNSt15iterator_traitsISH_E10value_typeEPNSN_ISI_E10value_typeEPSJ_NS1_7vsmem_tEENKUlT_SH_SI_SJ_E_clIPiSB_SC_SC_EESG_SW_SH_SI_SJ_EUlSW_E_NS1_11comp_targetILNS1_3genE9ELNS1_11target_archE1100ELNS1_3gpuE3ELNS1_3repE0EEENS1_48merge_mergepath_partition_config_static_selectorELNS0_4arch9wavefront6targetE0EEEvSI_,@function
_ZN7rocprim17ROCPRIM_400000_NS6detail17trampoline_kernelINS0_14default_configENS1_38merge_sort_block_merge_config_selectorIiNS0_10empty_typeEEEZZNS1_27merge_sort_block_merge_implIS3_N6thrust23THRUST_200600_302600_NS10device_ptrIiEEPS5_jNS1_19radix_merge_compareILb0ELb1EiNS0_19identity_decomposerEEEEE10hipError_tT0_T1_T2_jT3_P12ihipStream_tbPNSt15iterator_traitsISH_E10value_typeEPNSN_ISI_E10value_typeEPSJ_NS1_7vsmem_tEENKUlT_SH_SI_SJ_E_clIPiSB_SC_SC_EESG_SW_SH_SI_SJ_EUlSW_E_NS1_11comp_targetILNS1_3genE9ELNS1_11target_archE1100ELNS1_3gpuE3ELNS1_3repE0EEENS1_48merge_mergepath_partition_config_static_selectorELNS0_4arch9wavefront6targetE0EEEvSI_: ; @_ZN7rocprim17ROCPRIM_400000_NS6detail17trampoline_kernelINS0_14default_configENS1_38merge_sort_block_merge_config_selectorIiNS0_10empty_typeEEEZZNS1_27merge_sort_block_merge_implIS3_N6thrust23THRUST_200600_302600_NS10device_ptrIiEEPS5_jNS1_19radix_merge_compareILb0ELb1EiNS0_19identity_decomposerEEEEE10hipError_tT0_T1_T2_jT3_P12ihipStream_tbPNSt15iterator_traitsISH_E10value_typeEPNSN_ISI_E10value_typeEPSJ_NS1_7vsmem_tEENKUlT_SH_SI_SJ_E_clIPiSB_SC_SC_EESG_SW_SH_SI_SJ_EUlSW_E_NS1_11comp_targetILNS1_3genE9ELNS1_11target_archE1100ELNS1_3gpuE3ELNS1_3repE0EEENS1_48merge_mergepath_partition_config_static_selectorELNS0_4arch9wavefront6targetE0EEEvSI_
; %bb.0:
	.section	.rodata,"a",@progbits
	.p2align	6, 0x0
	.amdhsa_kernel _ZN7rocprim17ROCPRIM_400000_NS6detail17trampoline_kernelINS0_14default_configENS1_38merge_sort_block_merge_config_selectorIiNS0_10empty_typeEEEZZNS1_27merge_sort_block_merge_implIS3_N6thrust23THRUST_200600_302600_NS10device_ptrIiEEPS5_jNS1_19radix_merge_compareILb0ELb1EiNS0_19identity_decomposerEEEEE10hipError_tT0_T1_T2_jT3_P12ihipStream_tbPNSt15iterator_traitsISH_E10value_typeEPNSN_ISI_E10value_typeEPSJ_NS1_7vsmem_tEENKUlT_SH_SI_SJ_E_clIPiSB_SC_SC_EESG_SW_SH_SI_SJ_EUlSW_E_NS1_11comp_targetILNS1_3genE9ELNS1_11target_archE1100ELNS1_3gpuE3ELNS1_3repE0EEENS1_48merge_mergepath_partition_config_static_selectorELNS0_4arch9wavefront6targetE0EEEvSI_
		.amdhsa_group_segment_fixed_size 0
		.amdhsa_private_segment_fixed_size 0
		.amdhsa_kernarg_size 40
		.amdhsa_user_sgpr_count 6
		.amdhsa_user_sgpr_private_segment_buffer 1
		.amdhsa_user_sgpr_dispatch_ptr 0
		.amdhsa_user_sgpr_queue_ptr 0
		.amdhsa_user_sgpr_kernarg_segment_ptr 1
		.amdhsa_user_sgpr_dispatch_id 0
		.amdhsa_user_sgpr_flat_scratch_init 0
		.amdhsa_user_sgpr_private_segment_size 0
		.amdhsa_wavefront_size32 1
		.amdhsa_uses_dynamic_stack 0
		.amdhsa_system_sgpr_private_segment_wavefront_offset 0
		.amdhsa_system_sgpr_workgroup_id_x 1
		.amdhsa_system_sgpr_workgroup_id_y 0
		.amdhsa_system_sgpr_workgroup_id_z 0
		.amdhsa_system_sgpr_workgroup_info 0
		.amdhsa_system_vgpr_workitem_id 0
		.amdhsa_next_free_vgpr 1
		.amdhsa_next_free_sgpr 1
		.amdhsa_reserve_vcc 0
		.amdhsa_reserve_flat_scratch 0
		.amdhsa_float_round_mode_32 0
		.amdhsa_float_round_mode_16_64 0
		.amdhsa_float_denorm_mode_32 3
		.amdhsa_float_denorm_mode_16_64 3
		.amdhsa_dx10_clamp 1
		.amdhsa_ieee_mode 1
		.amdhsa_fp16_overflow 0
		.amdhsa_workgroup_processor_mode 1
		.amdhsa_memory_ordered 1
		.amdhsa_forward_progress 1
		.amdhsa_shared_vgpr_count 0
		.amdhsa_exception_fp_ieee_invalid_op 0
		.amdhsa_exception_fp_denorm_src 0
		.amdhsa_exception_fp_ieee_div_zero 0
		.amdhsa_exception_fp_ieee_overflow 0
		.amdhsa_exception_fp_ieee_underflow 0
		.amdhsa_exception_fp_ieee_inexact 0
		.amdhsa_exception_int_div_zero 0
	.end_amdhsa_kernel
	.section	.text._ZN7rocprim17ROCPRIM_400000_NS6detail17trampoline_kernelINS0_14default_configENS1_38merge_sort_block_merge_config_selectorIiNS0_10empty_typeEEEZZNS1_27merge_sort_block_merge_implIS3_N6thrust23THRUST_200600_302600_NS10device_ptrIiEEPS5_jNS1_19radix_merge_compareILb0ELb1EiNS0_19identity_decomposerEEEEE10hipError_tT0_T1_T2_jT3_P12ihipStream_tbPNSt15iterator_traitsISH_E10value_typeEPNSN_ISI_E10value_typeEPSJ_NS1_7vsmem_tEENKUlT_SH_SI_SJ_E_clIPiSB_SC_SC_EESG_SW_SH_SI_SJ_EUlSW_E_NS1_11comp_targetILNS1_3genE9ELNS1_11target_archE1100ELNS1_3gpuE3ELNS1_3repE0EEENS1_48merge_mergepath_partition_config_static_selectorELNS0_4arch9wavefront6targetE0EEEvSI_,"axG",@progbits,_ZN7rocprim17ROCPRIM_400000_NS6detail17trampoline_kernelINS0_14default_configENS1_38merge_sort_block_merge_config_selectorIiNS0_10empty_typeEEEZZNS1_27merge_sort_block_merge_implIS3_N6thrust23THRUST_200600_302600_NS10device_ptrIiEEPS5_jNS1_19radix_merge_compareILb0ELb1EiNS0_19identity_decomposerEEEEE10hipError_tT0_T1_T2_jT3_P12ihipStream_tbPNSt15iterator_traitsISH_E10value_typeEPNSN_ISI_E10value_typeEPSJ_NS1_7vsmem_tEENKUlT_SH_SI_SJ_E_clIPiSB_SC_SC_EESG_SW_SH_SI_SJ_EUlSW_E_NS1_11comp_targetILNS1_3genE9ELNS1_11target_archE1100ELNS1_3gpuE3ELNS1_3repE0EEENS1_48merge_mergepath_partition_config_static_selectorELNS0_4arch9wavefront6targetE0EEEvSI_,comdat
.Lfunc_end1175:
	.size	_ZN7rocprim17ROCPRIM_400000_NS6detail17trampoline_kernelINS0_14default_configENS1_38merge_sort_block_merge_config_selectorIiNS0_10empty_typeEEEZZNS1_27merge_sort_block_merge_implIS3_N6thrust23THRUST_200600_302600_NS10device_ptrIiEEPS5_jNS1_19radix_merge_compareILb0ELb1EiNS0_19identity_decomposerEEEEE10hipError_tT0_T1_T2_jT3_P12ihipStream_tbPNSt15iterator_traitsISH_E10value_typeEPNSN_ISI_E10value_typeEPSJ_NS1_7vsmem_tEENKUlT_SH_SI_SJ_E_clIPiSB_SC_SC_EESG_SW_SH_SI_SJ_EUlSW_E_NS1_11comp_targetILNS1_3genE9ELNS1_11target_archE1100ELNS1_3gpuE3ELNS1_3repE0EEENS1_48merge_mergepath_partition_config_static_selectorELNS0_4arch9wavefront6targetE0EEEvSI_, .Lfunc_end1175-_ZN7rocprim17ROCPRIM_400000_NS6detail17trampoline_kernelINS0_14default_configENS1_38merge_sort_block_merge_config_selectorIiNS0_10empty_typeEEEZZNS1_27merge_sort_block_merge_implIS3_N6thrust23THRUST_200600_302600_NS10device_ptrIiEEPS5_jNS1_19radix_merge_compareILb0ELb1EiNS0_19identity_decomposerEEEEE10hipError_tT0_T1_T2_jT3_P12ihipStream_tbPNSt15iterator_traitsISH_E10value_typeEPNSN_ISI_E10value_typeEPSJ_NS1_7vsmem_tEENKUlT_SH_SI_SJ_E_clIPiSB_SC_SC_EESG_SW_SH_SI_SJ_EUlSW_E_NS1_11comp_targetILNS1_3genE9ELNS1_11target_archE1100ELNS1_3gpuE3ELNS1_3repE0EEENS1_48merge_mergepath_partition_config_static_selectorELNS0_4arch9wavefront6targetE0EEEvSI_
                                        ; -- End function
	.set _ZN7rocprim17ROCPRIM_400000_NS6detail17trampoline_kernelINS0_14default_configENS1_38merge_sort_block_merge_config_selectorIiNS0_10empty_typeEEEZZNS1_27merge_sort_block_merge_implIS3_N6thrust23THRUST_200600_302600_NS10device_ptrIiEEPS5_jNS1_19radix_merge_compareILb0ELb1EiNS0_19identity_decomposerEEEEE10hipError_tT0_T1_T2_jT3_P12ihipStream_tbPNSt15iterator_traitsISH_E10value_typeEPNSN_ISI_E10value_typeEPSJ_NS1_7vsmem_tEENKUlT_SH_SI_SJ_E_clIPiSB_SC_SC_EESG_SW_SH_SI_SJ_EUlSW_E_NS1_11comp_targetILNS1_3genE9ELNS1_11target_archE1100ELNS1_3gpuE3ELNS1_3repE0EEENS1_48merge_mergepath_partition_config_static_selectorELNS0_4arch9wavefront6targetE0EEEvSI_.num_vgpr, 0
	.set _ZN7rocprim17ROCPRIM_400000_NS6detail17trampoline_kernelINS0_14default_configENS1_38merge_sort_block_merge_config_selectorIiNS0_10empty_typeEEEZZNS1_27merge_sort_block_merge_implIS3_N6thrust23THRUST_200600_302600_NS10device_ptrIiEEPS5_jNS1_19radix_merge_compareILb0ELb1EiNS0_19identity_decomposerEEEEE10hipError_tT0_T1_T2_jT3_P12ihipStream_tbPNSt15iterator_traitsISH_E10value_typeEPNSN_ISI_E10value_typeEPSJ_NS1_7vsmem_tEENKUlT_SH_SI_SJ_E_clIPiSB_SC_SC_EESG_SW_SH_SI_SJ_EUlSW_E_NS1_11comp_targetILNS1_3genE9ELNS1_11target_archE1100ELNS1_3gpuE3ELNS1_3repE0EEENS1_48merge_mergepath_partition_config_static_selectorELNS0_4arch9wavefront6targetE0EEEvSI_.num_agpr, 0
	.set _ZN7rocprim17ROCPRIM_400000_NS6detail17trampoline_kernelINS0_14default_configENS1_38merge_sort_block_merge_config_selectorIiNS0_10empty_typeEEEZZNS1_27merge_sort_block_merge_implIS3_N6thrust23THRUST_200600_302600_NS10device_ptrIiEEPS5_jNS1_19radix_merge_compareILb0ELb1EiNS0_19identity_decomposerEEEEE10hipError_tT0_T1_T2_jT3_P12ihipStream_tbPNSt15iterator_traitsISH_E10value_typeEPNSN_ISI_E10value_typeEPSJ_NS1_7vsmem_tEENKUlT_SH_SI_SJ_E_clIPiSB_SC_SC_EESG_SW_SH_SI_SJ_EUlSW_E_NS1_11comp_targetILNS1_3genE9ELNS1_11target_archE1100ELNS1_3gpuE3ELNS1_3repE0EEENS1_48merge_mergepath_partition_config_static_selectorELNS0_4arch9wavefront6targetE0EEEvSI_.numbered_sgpr, 0
	.set _ZN7rocprim17ROCPRIM_400000_NS6detail17trampoline_kernelINS0_14default_configENS1_38merge_sort_block_merge_config_selectorIiNS0_10empty_typeEEEZZNS1_27merge_sort_block_merge_implIS3_N6thrust23THRUST_200600_302600_NS10device_ptrIiEEPS5_jNS1_19radix_merge_compareILb0ELb1EiNS0_19identity_decomposerEEEEE10hipError_tT0_T1_T2_jT3_P12ihipStream_tbPNSt15iterator_traitsISH_E10value_typeEPNSN_ISI_E10value_typeEPSJ_NS1_7vsmem_tEENKUlT_SH_SI_SJ_E_clIPiSB_SC_SC_EESG_SW_SH_SI_SJ_EUlSW_E_NS1_11comp_targetILNS1_3genE9ELNS1_11target_archE1100ELNS1_3gpuE3ELNS1_3repE0EEENS1_48merge_mergepath_partition_config_static_selectorELNS0_4arch9wavefront6targetE0EEEvSI_.num_named_barrier, 0
	.set _ZN7rocprim17ROCPRIM_400000_NS6detail17trampoline_kernelINS0_14default_configENS1_38merge_sort_block_merge_config_selectorIiNS0_10empty_typeEEEZZNS1_27merge_sort_block_merge_implIS3_N6thrust23THRUST_200600_302600_NS10device_ptrIiEEPS5_jNS1_19radix_merge_compareILb0ELb1EiNS0_19identity_decomposerEEEEE10hipError_tT0_T1_T2_jT3_P12ihipStream_tbPNSt15iterator_traitsISH_E10value_typeEPNSN_ISI_E10value_typeEPSJ_NS1_7vsmem_tEENKUlT_SH_SI_SJ_E_clIPiSB_SC_SC_EESG_SW_SH_SI_SJ_EUlSW_E_NS1_11comp_targetILNS1_3genE9ELNS1_11target_archE1100ELNS1_3gpuE3ELNS1_3repE0EEENS1_48merge_mergepath_partition_config_static_selectorELNS0_4arch9wavefront6targetE0EEEvSI_.private_seg_size, 0
	.set _ZN7rocprim17ROCPRIM_400000_NS6detail17trampoline_kernelINS0_14default_configENS1_38merge_sort_block_merge_config_selectorIiNS0_10empty_typeEEEZZNS1_27merge_sort_block_merge_implIS3_N6thrust23THRUST_200600_302600_NS10device_ptrIiEEPS5_jNS1_19radix_merge_compareILb0ELb1EiNS0_19identity_decomposerEEEEE10hipError_tT0_T1_T2_jT3_P12ihipStream_tbPNSt15iterator_traitsISH_E10value_typeEPNSN_ISI_E10value_typeEPSJ_NS1_7vsmem_tEENKUlT_SH_SI_SJ_E_clIPiSB_SC_SC_EESG_SW_SH_SI_SJ_EUlSW_E_NS1_11comp_targetILNS1_3genE9ELNS1_11target_archE1100ELNS1_3gpuE3ELNS1_3repE0EEENS1_48merge_mergepath_partition_config_static_selectorELNS0_4arch9wavefront6targetE0EEEvSI_.uses_vcc, 0
	.set _ZN7rocprim17ROCPRIM_400000_NS6detail17trampoline_kernelINS0_14default_configENS1_38merge_sort_block_merge_config_selectorIiNS0_10empty_typeEEEZZNS1_27merge_sort_block_merge_implIS3_N6thrust23THRUST_200600_302600_NS10device_ptrIiEEPS5_jNS1_19radix_merge_compareILb0ELb1EiNS0_19identity_decomposerEEEEE10hipError_tT0_T1_T2_jT3_P12ihipStream_tbPNSt15iterator_traitsISH_E10value_typeEPNSN_ISI_E10value_typeEPSJ_NS1_7vsmem_tEENKUlT_SH_SI_SJ_E_clIPiSB_SC_SC_EESG_SW_SH_SI_SJ_EUlSW_E_NS1_11comp_targetILNS1_3genE9ELNS1_11target_archE1100ELNS1_3gpuE3ELNS1_3repE0EEENS1_48merge_mergepath_partition_config_static_selectorELNS0_4arch9wavefront6targetE0EEEvSI_.uses_flat_scratch, 0
	.set _ZN7rocprim17ROCPRIM_400000_NS6detail17trampoline_kernelINS0_14default_configENS1_38merge_sort_block_merge_config_selectorIiNS0_10empty_typeEEEZZNS1_27merge_sort_block_merge_implIS3_N6thrust23THRUST_200600_302600_NS10device_ptrIiEEPS5_jNS1_19radix_merge_compareILb0ELb1EiNS0_19identity_decomposerEEEEE10hipError_tT0_T1_T2_jT3_P12ihipStream_tbPNSt15iterator_traitsISH_E10value_typeEPNSN_ISI_E10value_typeEPSJ_NS1_7vsmem_tEENKUlT_SH_SI_SJ_E_clIPiSB_SC_SC_EESG_SW_SH_SI_SJ_EUlSW_E_NS1_11comp_targetILNS1_3genE9ELNS1_11target_archE1100ELNS1_3gpuE3ELNS1_3repE0EEENS1_48merge_mergepath_partition_config_static_selectorELNS0_4arch9wavefront6targetE0EEEvSI_.has_dyn_sized_stack, 0
	.set _ZN7rocprim17ROCPRIM_400000_NS6detail17trampoline_kernelINS0_14default_configENS1_38merge_sort_block_merge_config_selectorIiNS0_10empty_typeEEEZZNS1_27merge_sort_block_merge_implIS3_N6thrust23THRUST_200600_302600_NS10device_ptrIiEEPS5_jNS1_19radix_merge_compareILb0ELb1EiNS0_19identity_decomposerEEEEE10hipError_tT0_T1_T2_jT3_P12ihipStream_tbPNSt15iterator_traitsISH_E10value_typeEPNSN_ISI_E10value_typeEPSJ_NS1_7vsmem_tEENKUlT_SH_SI_SJ_E_clIPiSB_SC_SC_EESG_SW_SH_SI_SJ_EUlSW_E_NS1_11comp_targetILNS1_3genE9ELNS1_11target_archE1100ELNS1_3gpuE3ELNS1_3repE0EEENS1_48merge_mergepath_partition_config_static_selectorELNS0_4arch9wavefront6targetE0EEEvSI_.has_recursion, 0
	.set _ZN7rocprim17ROCPRIM_400000_NS6detail17trampoline_kernelINS0_14default_configENS1_38merge_sort_block_merge_config_selectorIiNS0_10empty_typeEEEZZNS1_27merge_sort_block_merge_implIS3_N6thrust23THRUST_200600_302600_NS10device_ptrIiEEPS5_jNS1_19radix_merge_compareILb0ELb1EiNS0_19identity_decomposerEEEEE10hipError_tT0_T1_T2_jT3_P12ihipStream_tbPNSt15iterator_traitsISH_E10value_typeEPNSN_ISI_E10value_typeEPSJ_NS1_7vsmem_tEENKUlT_SH_SI_SJ_E_clIPiSB_SC_SC_EESG_SW_SH_SI_SJ_EUlSW_E_NS1_11comp_targetILNS1_3genE9ELNS1_11target_archE1100ELNS1_3gpuE3ELNS1_3repE0EEENS1_48merge_mergepath_partition_config_static_selectorELNS0_4arch9wavefront6targetE0EEEvSI_.has_indirect_call, 0
	.section	.AMDGPU.csdata,"",@progbits
; Kernel info:
; codeLenInByte = 0
; TotalNumSgprs: 0
; NumVgprs: 0
; ScratchSize: 0
; MemoryBound: 0
; FloatMode: 240
; IeeeMode: 1
; LDSByteSize: 0 bytes/workgroup (compile time only)
; SGPRBlocks: 0
; VGPRBlocks: 0
; NumSGPRsForWavesPerEU: 1
; NumVGPRsForWavesPerEU: 1
; Occupancy: 16
; WaveLimiterHint : 0
; COMPUTE_PGM_RSRC2:SCRATCH_EN: 0
; COMPUTE_PGM_RSRC2:USER_SGPR: 6
; COMPUTE_PGM_RSRC2:TRAP_HANDLER: 0
; COMPUTE_PGM_RSRC2:TGID_X_EN: 1
; COMPUTE_PGM_RSRC2:TGID_Y_EN: 0
; COMPUTE_PGM_RSRC2:TGID_Z_EN: 0
; COMPUTE_PGM_RSRC2:TIDIG_COMP_CNT: 0
	.section	.text._ZN7rocprim17ROCPRIM_400000_NS6detail17trampoline_kernelINS0_14default_configENS1_38merge_sort_block_merge_config_selectorIiNS0_10empty_typeEEEZZNS1_27merge_sort_block_merge_implIS3_N6thrust23THRUST_200600_302600_NS10device_ptrIiEEPS5_jNS1_19radix_merge_compareILb0ELb1EiNS0_19identity_decomposerEEEEE10hipError_tT0_T1_T2_jT3_P12ihipStream_tbPNSt15iterator_traitsISH_E10value_typeEPNSN_ISI_E10value_typeEPSJ_NS1_7vsmem_tEENKUlT_SH_SI_SJ_E_clIPiSB_SC_SC_EESG_SW_SH_SI_SJ_EUlSW_E_NS1_11comp_targetILNS1_3genE8ELNS1_11target_archE1030ELNS1_3gpuE2ELNS1_3repE0EEENS1_48merge_mergepath_partition_config_static_selectorELNS0_4arch9wavefront6targetE0EEEvSI_,"axG",@progbits,_ZN7rocprim17ROCPRIM_400000_NS6detail17trampoline_kernelINS0_14default_configENS1_38merge_sort_block_merge_config_selectorIiNS0_10empty_typeEEEZZNS1_27merge_sort_block_merge_implIS3_N6thrust23THRUST_200600_302600_NS10device_ptrIiEEPS5_jNS1_19radix_merge_compareILb0ELb1EiNS0_19identity_decomposerEEEEE10hipError_tT0_T1_T2_jT3_P12ihipStream_tbPNSt15iterator_traitsISH_E10value_typeEPNSN_ISI_E10value_typeEPSJ_NS1_7vsmem_tEENKUlT_SH_SI_SJ_E_clIPiSB_SC_SC_EESG_SW_SH_SI_SJ_EUlSW_E_NS1_11comp_targetILNS1_3genE8ELNS1_11target_archE1030ELNS1_3gpuE2ELNS1_3repE0EEENS1_48merge_mergepath_partition_config_static_selectorELNS0_4arch9wavefront6targetE0EEEvSI_,comdat
	.protected	_ZN7rocprim17ROCPRIM_400000_NS6detail17trampoline_kernelINS0_14default_configENS1_38merge_sort_block_merge_config_selectorIiNS0_10empty_typeEEEZZNS1_27merge_sort_block_merge_implIS3_N6thrust23THRUST_200600_302600_NS10device_ptrIiEEPS5_jNS1_19radix_merge_compareILb0ELb1EiNS0_19identity_decomposerEEEEE10hipError_tT0_T1_T2_jT3_P12ihipStream_tbPNSt15iterator_traitsISH_E10value_typeEPNSN_ISI_E10value_typeEPSJ_NS1_7vsmem_tEENKUlT_SH_SI_SJ_E_clIPiSB_SC_SC_EESG_SW_SH_SI_SJ_EUlSW_E_NS1_11comp_targetILNS1_3genE8ELNS1_11target_archE1030ELNS1_3gpuE2ELNS1_3repE0EEENS1_48merge_mergepath_partition_config_static_selectorELNS0_4arch9wavefront6targetE0EEEvSI_ ; -- Begin function _ZN7rocprim17ROCPRIM_400000_NS6detail17trampoline_kernelINS0_14default_configENS1_38merge_sort_block_merge_config_selectorIiNS0_10empty_typeEEEZZNS1_27merge_sort_block_merge_implIS3_N6thrust23THRUST_200600_302600_NS10device_ptrIiEEPS5_jNS1_19radix_merge_compareILb0ELb1EiNS0_19identity_decomposerEEEEE10hipError_tT0_T1_T2_jT3_P12ihipStream_tbPNSt15iterator_traitsISH_E10value_typeEPNSN_ISI_E10value_typeEPSJ_NS1_7vsmem_tEENKUlT_SH_SI_SJ_E_clIPiSB_SC_SC_EESG_SW_SH_SI_SJ_EUlSW_E_NS1_11comp_targetILNS1_3genE8ELNS1_11target_archE1030ELNS1_3gpuE2ELNS1_3repE0EEENS1_48merge_mergepath_partition_config_static_selectorELNS0_4arch9wavefront6targetE0EEEvSI_
	.globl	_ZN7rocprim17ROCPRIM_400000_NS6detail17trampoline_kernelINS0_14default_configENS1_38merge_sort_block_merge_config_selectorIiNS0_10empty_typeEEEZZNS1_27merge_sort_block_merge_implIS3_N6thrust23THRUST_200600_302600_NS10device_ptrIiEEPS5_jNS1_19radix_merge_compareILb0ELb1EiNS0_19identity_decomposerEEEEE10hipError_tT0_T1_T2_jT3_P12ihipStream_tbPNSt15iterator_traitsISH_E10value_typeEPNSN_ISI_E10value_typeEPSJ_NS1_7vsmem_tEENKUlT_SH_SI_SJ_E_clIPiSB_SC_SC_EESG_SW_SH_SI_SJ_EUlSW_E_NS1_11comp_targetILNS1_3genE8ELNS1_11target_archE1030ELNS1_3gpuE2ELNS1_3repE0EEENS1_48merge_mergepath_partition_config_static_selectorELNS0_4arch9wavefront6targetE0EEEvSI_
	.p2align	8
	.type	_ZN7rocprim17ROCPRIM_400000_NS6detail17trampoline_kernelINS0_14default_configENS1_38merge_sort_block_merge_config_selectorIiNS0_10empty_typeEEEZZNS1_27merge_sort_block_merge_implIS3_N6thrust23THRUST_200600_302600_NS10device_ptrIiEEPS5_jNS1_19radix_merge_compareILb0ELb1EiNS0_19identity_decomposerEEEEE10hipError_tT0_T1_T2_jT3_P12ihipStream_tbPNSt15iterator_traitsISH_E10value_typeEPNSN_ISI_E10value_typeEPSJ_NS1_7vsmem_tEENKUlT_SH_SI_SJ_E_clIPiSB_SC_SC_EESG_SW_SH_SI_SJ_EUlSW_E_NS1_11comp_targetILNS1_3genE8ELNS1_11target_archE1030ELNS1_3gpuE2ELNS1_3repE0EEENS1_48merge_mergepath_partition_config_static_selectorELNS0_4arch9wavefront6targetE0EEEvSI_,@function
_ZN7rocprim17ROCPRIM_400000_NS6detail17trampoline_kernelINS0_14default_configENS1_38merge_sort_block_merge_config_selectorIiNS0_10empty_typeEEEZZNS1_27merge_sort_block_merge_implIS3_N6thrust23THRUST_200600_302600_NS10device_ptrIiEEPS5_jNS1_19radix_merge_compareILb0ELb1EiNS0_19identity_decomposerEEEEE10hipError_tT0_T1_T2_jT3_P12ihipStream_tbPNSt15iterator_traitsISH_E10value_typeEPNSN_ISI_E10value_typeEPSJ_NS1_7vsmem_tEENKUlT_SH_SI_SJ_E_clIPiSB_SC_SC_EESG_SW_SH_SI_SJ_EUlSW_E_NS1_11comp_targetILNS1_3genE8ELNS1_11target_archE1030ELNS1_3gpuE2ELNS1_3repE0EEENS1_48merge_mergepath_partition_config_static_selectorELNS0_4arch9wavefront6targetE0EEEvSI_: ; @_ZN7rocprim17ROCPRIM_400000_NS6detail17trampoline_kernelINS0_14default_configENS1_38merge_sort_block_merge_config_selectorIiNS0_10empty_typeEEEZZNS1_27merge_sort_block_merge_implIS3_N6thrust23THRUST_200600_302600_NS10device_ptrIiEEPS5_jNS1_19radix_merge_compareILb0ELb1EiNS0_19identity_decomposerEEEEE10hipError_tT0_T1_T2_jT3_P12ihipStream_tbPNSt15iterator_traitsISH_E10value_typeEPNSN_ISI_E10value_typeEPSJ_NS1_7vsmem_tEENKUlT_SH_SI_SJ_E_clIPiSB_SC_SC_EESG_SW_SH_SI_SJ_EUlSW_E_NS1_11comp_targetILNS1_3genE8ELNS1_11target_archE1030ELNS1_3gpuE2ELNS1_3repE0EEENS1_48merge_mergepath_partition_config_static_selectorELNS0_4arch9wavefront6targetE0EEEvSI_
; %bb.0:
	s_load_dword s0, s[4:5], 0x0
	v_lshl_or_b32 v0, s6, 7, v0
	s_waitcnt lgkmcnt(0)
	v_cmp_gt_u32_e32 vcc_lo, s0, v0
	s_and_saveexec_b32 s0, vcc_lo
	s_cbranch_execz .LBB1176_6
; %bb.1:
	s_load_dwordx2 s[0:1], s[4:5], 0x4
	s_waitcnt lgkmcnt(0)
	s_lshr_b32 s2, s0, 9
	s_and_b32 s2, s2, 0x7ffffe
	s_sub_i32 s3, 0, s2
	s_add_i32 s2, s2, -1
	v_and_b32_e32 v1, s3, v0
	v_and_b32_e32 v5, s2, v0
	s_mov_b32 s3, 0
	s_mov_b32 s2, exec_lo
	v_lshlrev_b32_e32 v1, 10, v1
	v_add_nc_u32_e32 v2, s0, v1
	v_min_u32_e32 v4, s1, v2
	v_min_u32_e32 v2, s1, v1
	v_add_nc_u32_e32 v3, s0, v4
	v_min_u32_e32 v1, s1, v3
	s_load_dwordx2 s[0:1], s[4:5], 0x20
	v_lshlrev_b32_e32 v3, 10, v5
	v_sub_nc_u32_e32 v5, v1, v2
	v_sub_nc_u32_e32 v6, v1, v4
	v_min_u32_e32 v1, v5, v3
	v_sub_nc_u32_e32 v3, v4, v2
	v_sub_nc_u32_e64 v6, v1, v6 clamp
	v_min_u32_e32 v7, v1, v3
	v_cmpx_lt_u32_e64 v6, v7
	s_cbranch_execz .LBB1176_5
; %bb.2:
	s_load_dwordx2 s[6:7], s[4:5], 0x10
	v_mov_b32_e32 v5, 0
	s_load_dword s4, s[4:5], 0x18
	v_mov_b32_e32 v3, v5
	v_lshlrev_b64 v[10:11], 2, v[4:5]
	v_lshlrev_b64 v[8:9], 2, v[2:3]
	s_waitcnt lgkmcnt(0)
	v_add_co_u32 v3, vcc_lo, s6, v8
	v_add_co_ci_u32_e64 v8, null, s7, v9, vcc_lo
	v_add_co_u32 v9, vcc_lo, s6, v10
	v_add_co_ci_u32_e64 v10, null, s7, v11, vcc_lo
	.p2align	6
.LBB1176_3:                             ; =>This Inner Loop Header: Depth=1
	v_add_nc_u32_e32 v4, v7, v6
	v_mov_b32_e32 v12, v5
	v_lshrrev_b32_e32 v4, 1, v4
	v_xad_u32 v11, v4, -1, v1
	v_lshlrev_b64 v[13:14], 2, v[4:5]
	v_lshlrev_b64 v[11:12], 2, v[11:12]
	v_add_co_u32 v13, vcc_lo, v3, v13
	v_add_co_ci_u32_e64 v14, null, v8, v14, vcc_lo
	v_add_co_u32 v11, vcc_lo, v9, v11
	v_add_co_ci_u32_e64 v12, null, v10, v12, vcc_lo
	s_clause 0x1
	global_load_dword v13, v[13:14], off
	global_load_dword v11, v[11:12], off
	s_waitcnt vmcnt(1)
	v_and_b32_e32 v12, s4, v13
	s_waitcnt vmcnt(0)
	v_and_b32_e32 v11, s4, v11
	v_add_nc_u32_e32 v13, 1, v4
	v_cmp_gt_i32_e32 vcc_lo, v12, v11
	v_cndmask_b32_e32 v7, v7, v4, vcc_lo
	v_cndmask_b32_e32 v6, v13, v6, vcc_lo
	v_cmp_ge_u32_e32 vcc_lo, v6, v7
	s_or_b32 s3, vcc_lo, s3
	s_andn2_b32 exec_lo, exec_lo, s3
	s_cbranch_execnz .LBB1176_3
; %bb.4:
	s_or_b32 exec_lo, exec_lo, s3
.LBB1176_5:
	s_or_b32 exec_lo, exec_lo, s2
	v_mov_b32_e32 v1, 0
	v_add_nc_u32_e32 v2, v6, v2
	v_lshlrev_b64 v[0:1], 2, v[0:1]
	s_waitcnt lgkmcnt(0)
	v_add_co_u32 v0, vcc_lo, s0, v0
	v_add_co_ci_u32_e64 v1, null, s1, v1, vcc_lo
	global_store_dword v[0:1], v2, off
.LBB1176_6:
	s_endpgm
	.section	.rodata,"a",@progbits
	.p2align	6, 0x0
	.amdhsa_kernel _ZN7rocprim17ROCPRIM_400000_NS6detail17trampoline_kernelINS0_14default_configENS1_38merge_sort_block_merge_config_selectorIiNS0_10empty_typeEEEZZNS1_27merge_sort_block_merge_implIS3_N6thrust23THRUST_200600_302600_NS10device_ptrIiEEPS5_jNS1_19radix_merge_compareILb0ELb1EiNS0_19identity_decomposerEEEEE10hipError_tT0_T1_T2_jT3_P12ihipStream_tbPNSt15iterator_traitsISH_E10value_typeEPNSN_ISI_E10value_typeEPSJ_NS1_7vsmem_tEENKUlT_SH_SI_SJ_E_clIPiSB_SC_SC_EESG_SW_SH_SI_SJ_EUlSW_E_NS1_11comp_targetILNS1_3genE8ELNS1_11target_archE1030ELNS1_3gpuE2ELNS1_3repE0EEENS1_48merge_mergepath_partition_config_static_selectorELNS0_4arch9wavefront6targetE0EEEvSI_
		.amdhsa_group_segment_fixed_size 0
		.amdhsa_private_segment_fixed_size 0
		.amdhsa_kernarg_size 40
		.amdhsa_user_sgpr_count 6
		.amdhsa_user_sgpr_private_segment_buffer 1
		.amdhsa_user_sgpr_dispatch_ptr 0
		.amdhsa_user_sgpr_queue_ptr 0
		.amdhsa_user_sgpr_kernarg_segment_ptr 1
		.amdhsa_user_sgpr_dispatch_id 0
		.amdhsa_user_sgpr_flat_scratch_init 0
		.amdhsa_user_sgpr_private_segment_size 0
		.amdhsa_wavefront_size32 1
		.amdhsa_uses_dynamic_stack 0
		.amdhsa_system_sgpr_private_segment_wavefront_offset 0
		.amdhsa_system_sgpr_workgroup_id_x 1
		.amdhsa_system_sgpr_workgroup_id_y 0
		.amdhsa_system_sgpr_workgroup_id_z 0
		.amdhsa_system_sgpr_workgroup_info 0
		.amdhsa_system_vgpr_workitem_id 0
		.amdhsa_next_free_vgpr 15
		.amdhsa_next_free_sgpr 8
		.amdhsa_reserve_vcc 1
		.amdhsa_reserve_flat_scratch 0
		.amdhsa_float_round_mode_32 0
		.amdhsa_float_round_mode_16_64 0
		.amdhsa_float_denorm_mode_32 3
		.amdhsa_float_denorm_mode_16_64 3
		.amdhsa_dx10_clamp 1
		.amdhsa_ieee_mode 1
		.amdhsa_fp16_overflow 0
		.amdhsa_workgroup_processor_mode 1
		.amdhsa_memory_ordered 1
		.amdhsa_forward_progress 1
		.amdhsa_shared_vgpr_count 0
		.amdhsa_exception_fp_ieee_invalid_op 0
		.amdhsa_exception_fp_denorm_src 0
		.amdhsa_exception_fp_ieee_div_zero 0
		.amdhsa_exception_fp_ieee_overflow 0
		.amdhsa_exception_fp_ieee_underflow 0
		.amdhsa_exception_fp_ieee_inexact 0
		.amdhsa_exception_int_div_zero 0
	.end_amdhsa_kernel
	.section	.text._ZN7rocprim17ROCPRIM_400000_NS6detail17trampoline_kernelINS0_14default_configENS1_38merge_sort_block_merge_config_selectorIiNS0_10empty_typeEEEZZNS1_27merge_sort_block_merge_implIS3_N6thrust23THRUST_200600_302600_NS10device_ptrIiEEPS5_jNS1_19radix_merge_compareILb0ELb1EiNS0_19identity_decomposerEEEEE10hipError_tT0_T1_T2_jT3_P12ihipStream_tbPNSt15iterator_traitsISH_E10value_typeEPNSN_ISI_E10value_typeEPSJ_NS1_7vsmem_tEENKUlT_SH_SI_SJ_E_clIPiSB_SC_SC_EESG_SW_SH_SI_SJ_EUlSW_E_NS1_11comp_targetILNS1_3genE8ELNS1_11target_archE1030ELNS1_3gpuE2ELNS1_3repE0EEENS1_48merge_mergepath_partition_config_static_selectorELNS0_4arch9wavefront6targetE0EEEvSI_,"axG",@progbits,_ZN7rocprim17ROCPRIM_400000_NS6detail17trampoline_kernelINS0_14default_configENS1_38merge_sort_block_merge_config_selectorIiNS0_10empty_typeEEEZZNS1_27merge_sort_block_merge_implIS3_N6thrust23THRUST_200600_302600_NS10device_ptrIiEEPS5_jNS1_19radix_merge_compareILb0ELb1EiNS0_19identity_decomposerEEEEE10hipError_tT0_T1_T2_jT3_P12ihipStream_tbPNSt15iterator_traitsISH_E10value_typeEPNSN_ISI_E10value_typeEPSJ_NS1_7vsmem_tEENKUlT_SH_SI_SJ_E_clIPiSB_SC_SC_EESG_SW_SH_SI_SJ_EUlSW_E_NS1_11comp_targetILNS1_3genE8ELNS1_11target_archE1030ELNS1_3gpuE2ELNS1_3repE0EEENS1_48merge_mergepath_partition_config_static_selectorELNS0_4arch9wavefront6targetE0EEEvSI_,comdat
.Lfunc_end1176:
	.size	_ZN7rocprim17ROCPRIM_400000_NS6detail17trampoline_kernelINS0_14default_configENS1_38merge_sort_block_merge_config_selectorIiNS0_10empty_typeEEEZZNS1_27merge_sort_block_merge_implIS3_N6thrust23THRUST_200600_302600_NS10device_ptrIiEEPS5_jNS1_19radix_merge_compareILb0ELb1EiNS0_19identity_decomposerEEEEE10hipError_tT0_T1_T2_jT3_P12ihipStream_tbPNSt15iterator_traitsISH_E10value_typeEPNSN_ISI_E10value_typeEPSJ_NS1_7vsmem_tEENKUlT_SH_SI_SJ_E_clIPiSB_SC_SC_EESG_SW_SH_SI_SJ_EUlSW_E_NS1_11comp_targetILNS1_3genE8ELNS1_11target_archE1030ELNS1_3gpuE2ELNS1_3repE0EEENS1_48merge_mergepath_partition_config_static_selectorELNS0_4arch9wavefront6targetE0EEEvSI_, .Lfunc_end1176-_ZN7rocprim17ROCPRIM_400000_NS6detail17trampoline_kernelINS0_14default_configENS1_38merge_sort_block_merge_config_selectorIiNS0_10empty_typeEEEZZNS1_27merge_sort_block_merge_implIS3_N6thrust23THRUST_200600_302600_NS10device_ptrIiEEPS5_jNS1_19radix_merge_compareILb0ELb1EiNS0_19identity_decomposerEEEEE10hipError_tT0_T1_T2_jT3_P12ihipStream_tbPNSt15iterator_traitsISH_E10value_typeEPNSN_ISI_E10value_typeEPSJ_NS1_7vsmem_tEENKUlT_SH_SI_SJ_E_clIPiSB_SC_SC_EESG_SW_SH_SI_SJ_EUlSW_E_NS1_11comp_targetILNS1_3genE8ELNS1_11target_archE1030ELNS1_3gpuE2ELNS1_3repE0EEENS1_48merge_mergepath_partition_config_static_selectorELNS0_4arch9wavefront6targetE0EEEvSI_
                                        ; -- End function
	.set _ZN7rocprim17ROCPRIM_400000_NS6detail17trampoline_kernelINS0_14default_configENS1_38merge_sort_block_merge_config_selectorIiNS0_10empty_typeEEEZZNS1_27merge_sort_block_merge_implIS3_N6thrust23THRUST_200600_302600_NS10device_ptrIiEEPS5_jNS1_19radix_merge_compareILb0ELb1EiNS0_19identity_decomposerEEEEE10hipError_tT0_T1_T2_jT3_P12ihipStream_tbPNSt15iterator_traitsISH_E10value_typeEPNSN_ISI_E10value_typeEPSJ_NS1_7vsmem_tEENKUlT_SH_SI_SJ_E_clIPiSB_SC_SC_EESG_SW_SH_SI_SJ_EUlSW_E_NS1_11comp_targetILNS1_3genE8ELNS1_11target_archE1030ELNS1_3gpuE2ELNS1_3repE0EEENS1_48merge_mergepath_partition_config_static_selectorELNS0_4arch9wavefront6targetE0EEEvSI_.num_vgpr, 15
	.set _ZN7rocprim17ROCPRIM_400000_NS6detail17trampoline_kernelINS0_14default_configENS1_38merge_sort_block_merge_config_selectorIiNS0_10empty_typeEEEZZNS1_27merge_sort_block_merge_implIS3_N6thrust23THRUST_200600_302600_NS10device_ptrIiEEPS5_jNS1_19radix_merge_compareILb0ELb1EiNS0_19identity_decomposerEEEEE10hipError_tT0_T1_T2_jT3_P12ihipStream_tbPNSt15iterator_traitsISH_E10value_typeEPNSN_ISI_E10value_typeEPSJ_NS1_7vsmem_tEENKUlT_SH_SI_SJ_E_clIPiSB_SC_SC_EESG_SW_SH_SI_SJ_EUlSW_E_NS1_11comp_targetILNS1_3genE8ELNS1_11target_archE1030ELNS1_3gpuE2ELNS1_3repE0EEENS1_48merge_mergepath_partition_config_static_selectorELNS0_4arch9wavefront6targetE0EEEvSI_.num_agpr, 0
	.set _ZN7rocprim17ROCPRIM_400000_NS6detail17trampoline_kernelINS0_14default_configENS1_38merge_sort_block_merge_config_selectorIiNS0_10empty_typeEEEZZNS1_27merge_sort_block_merge_implIS3_N6thrust23THRUST_200600_302600_NS10device_ptrIiEEPS5_jNS1_19radix_merge_compareILb0ELb1EiNS0_19identity_decomposerEEEEE10hipError_tT0_T1_T2_jT3_P12ihipStream_tbPNSt15iterator_traitsISH_E10value_typeEPNSN_ISI_E10value_typeEPSJ_NS1_7vsmem_tEENKUlT_SH_SI_SJ_E_clIPiSB_SC_SC_EESG_SW_SH_SI_SJ_EUlSW_E_NS1_11comp_targetILNS1_3genE8ELNS1_11target_archE1030ELNS1_3gpuE2ELNS1_3repE0EEENS1_48merge_mergepath_partition_config_static_selectorELNS0_4arch9wavefront6targetE0EEEvSI_.numbered_sgpr, 8
	.set _ZN7rocprim17ROCPRIM_400000_NS6detail17trampoline_kernelINS0_14default_configENS1_38merge_sort_block_merge_config_selectorIiNS0_10empty_typeEEEZZNS1_27merge_sort_block_merge_implIS3_N6thrust23THRUST_200600_302600_NS10device_ptrIiEEPS5_jNS1_19radix_merge_compareILb0ELb1EiNS0_19identity_decomposerEEEEE10hipError_tT0_T1_T2_jT3_P12ihipStream_tbPNSt15iterator_traitsISH_E10value_typeEPNSN_ISI_E10value_typeEPSJ_NS1_7vsmem_tEENKUlT_SH_SI_SJ_E_clIPiSB_SC_SC_EESG_SW_SH_SI_SJ_EUlSW_E_NS1_11comp_targetILNS1_3genE8ELNS1_11target_archE1030ELNS1_3gpuE2ELNS1_3repE0EEENS1_48merge_mergepath_partition_config_static_selectorELNS0_4arch9wavefront6targetE0EEEvSI_.num_named_barrier, 0
	.set _ZN7rocprim17ROCPRIM_400000_NS6detail17trampoline_kernelINS0_14default_configENS1_38merge_sort_block_merge_config_selectorIiNS0_10empty_typeEEEZZNS1_27merge_sort_block_merge_implIS3_N6thrust23THRUST_200600_302600_NS10device_ptrIiEEPS5_jNS1_19radix_merge_compareILb0ELb1EiNS0_19identity_decomposerEEEEE10hipError_tT0_T1_T2_jT3_P12ihipStream_tbPNSt15iterator_traitsISH_E10value_typeEPNSN_ISI_E10value_typeEPSJ_NS1_7vsmem_tEENKUlT_SH_SI_SJ_E_clIPiSB_SC_SC_EESG_SW_SH_SI_SJ_EUlSW_E_NS1_11comp_targetILNS1_3genE8ELNS1_11target_archE1030ELNS1_3gpuE2ELNS1_3repE0EEENS1_48merge_mergepath_partition_config_static_selectorELNS0_4arch9wavefront6targetE0EEEvSI_.private_seg_size, 0
	.set _ZN7rocprim17ROCPRIM_400000_NS6detail17trampoline_kernelINS0_14default_configENS1_38merge_sort_block_merge_config_selectorIiNS0_10empty_typeEEEZZNS1_27merge_sort_block_merge_implIS3_N6thrust23THRUST_200600_302600_NS10device_ptrIiEEPS5_jNS1_19radix_merge_compareILb0ELb1EiNS0_19identity_decomposerEEEEE10hipError_tT0_T1_T2_jT3_P12ihipStream_tbPNSt15iterator_traitsISH_E10value_typeEPNSN_ISI_E10value_typeEPSJ_NS1_7vsmem_tEENKUlT_SH_SI_SJ_E_clIPiSB_SC_SC_EESG_SW_SH_SI_SJ_EUlSW_E_NS1_11comp_targetILNS1_3genE8ELNS1_11target_archE1030ELNS1_3gpuE2ELNS1_3repE0EEENS1_48merge_mergepath_partition_config_static_selectorELNS0_4arch9wavefront6targetE0EEEvSI_.uses_vcc, 1
	.set _ZN7rocprim17ROCPRIM_400000_NS6detail17trampoline_kernelINS0_14default_configENS1_38merge_sort_block_merge_config_selectorIiNS0_10empty_typeEEEZZNS1_27merge_sort_block_merge_implIS3_N6thrust23THRUST_200600_302600_NS10device_ptrIiEEPS5_jNS1_19radix_merge_compareILb0ELb1EiNS0_19identity_decomposerEEEEE10hipError_tT0_T1_T2_jT3_P12ihipStream_tbPNSt15iterator_traitsISH_E10value_typeEPNSN_ISI_E10value_typeEPSJ_NS1_7vsmem_tEENKUlT_SH_SI_SJ_E_clIPiSB_SC_SC_EESG_SW_SH_SI_SJ_EUlSW_E_NS1_11comp_targetILNS1_3genE8ELNS1_11target_archE1030ELNS1_3gpuE2ELNS1_3repE0EEENS1_48merge_mergepath_partition_config_static_selectorELNS0_4arch9wavefront6targetE0EEEvSI_.uses_flat_scratch, 0
	.set _ZN7rocprim17ROCPRIM_400000_NS6detail17trampoline_kernelINS0_14default_configENS1_38merge_sort_block_merge_config_selectorIiNS0_10empty_typeEEEZZNS1_27merge_sort_block_merge_implIS3_N6thrust23THRUST_200600_302600_NS10device_ptrIiEEPS5_jNS1_19radix_merge_compareILb0ELb1EiNS0_19identity_decomposerEEEEE10hipError_tT0_T1_T2_jT3_P12ihipStream_tbPNSt15iterator_traitsISH_E10value_typeEPNSN_ISI_E10value_typeEPSJ_NS1_7vsmem_tEENKUlT_SH_SI_SJ_E_clIPiSB_SC_SC_EESG_SW_SH_SI_SJ_EUlSW_E_NS1_11comp_targetILNS1_3genE8ELNS1_11target_archE1030ELNS1_3gpuE2ELNS1_3repE0EEENS1_48merge_mergepath_partition_config_static_selectorELNS0_4arch9wavefront6targetE0EEEvSI_.has_dyn_sized_stack, 0
	.set _ZN7rocprim17ROCPRIM_400000_NS6detail17trampoline_kernelINS0_14default_configENS1_38merge_sort_block_merge_config_selectorIiNS0_10empty_typeEEEZZNS1_27merge_sort_block_merge_implIS3_N6thrust23THRUST_200600_302600_NS10device_ptrIiEEPS5_jNS1_19radix_merge_compareILb0ELb1EiNS0_19identity_decomposerEEEEE10hipError_tT0_T1_T2_jT3_P12ihipStream_tbPNSt15iterator_traitsISH_E10value_typeEPNSN_ISI_E10value_typeEPSJ_NS1_7vsmem_tEENKUlT_SH_SI_SJ_E_clIPiSB_SC_SC_EESG_SW_SH_SI_SJ_EUlSW_E_NS1_11comp_targetILNS1_3genE8ELNS1_11target_archE1030ELNS1_3gpuE2ELNS1_3repE0EEENS1_48merge_mergepath_partition_config_static_selectorELNS0_4arch9wavefront6targetE0EEEvSI_.has_recursion, 0
	.set _ZN7rocprim17ROCPRIM_400000_NS6detail17trampoline_kernelINS0_14default_configENS1_38merge_sort_block_merge_config_selectorIiNS0_10empty_typeEEEZZNS1_27merge_sort_block_merge_implIS3_N6thrust23THRUST_200600_302600_NS10device_ptrIiEEPS5_jNS1_19radix_merge_compareILb0ELb1EiNS0_19identity_decomposerEEEEE10hipError_tT0_T1_T2_jT3_P12ihipStream_tbPNSt15iterator_traitsISH_E10value_typeEPNSN_ISI_E10value_typeEPSJ_NS1_7vsmem_tEENKUlT_SH_SI_SJ_E_clIPiSB_SC_SC_EESG_SW_SH_SI_SJ_EUlSW_E_NS1_11comp_targetILNS1_3genE8ELNS1_11target_archE1030ELNS1_3gpuE2ELNS1_3repE0EEENS1_48merge_mergepath_partition_config_static_selectorELNS0_4arch9wavefront6targetE0EEEvSI_.has_indirect_call, 0
	.section	.AMDGPU.csdata,"",@progbits
; Kernel info:
; codeLenInByte = 448
; TotalNumSgprs: 10
; NumVgprs: 15
; ScratchSize: 0
; MemoryBound: 0
; FloatMode: 240
; IeeeMode: 1
; LDSByteSize: 0 bytes/workgroup (compile time only)
; SGPRBlocks: 0
; VGPRBlocks: 1
; NumSGPRsForWavesPerEU: 10
; NumVGPRsForWavesPerEU: 15
; Occupancy: 16
; WaveLimiterHint : 0
; COMPUTE_PGM_RSRC2:SCRATCH_EN: 0
; COMPUTE_PGM_RSRC2:USER_SGPR: 6
; COMPUTE_PGM_RSRC2:TRAP_HANDLER: 0
; COMPUTE_PGM_RSRC2:TGID_X_EN: 1
; COMPUTE_PGM_RSRC2:TGID_Y_EN: 0
; COMPUTE_PGM_RSRC2:TGID_Z_EN: 0
; COMPUTE_PGM_RSRC2:TIDIG_COMP_CNT: 0
	.section	.text._ZN7rocprim17ROCPRIM_400000_NS6detail17trampoline_kernelINS0_14default_configENS1_38merge_sort_block_merge_config_selectorIiNS0_10empty_typeEEEZZNS1_27merge_sort_block_merge_implIS3_N6thrust23THRUST_200600_302600_NS10device_ptrIiEEPS5_jNS1_19radix_merge_compareILb0ELb1EiNS0_19identity_decomposerEEEEE10hipError_tT0_T1_T2_jT3_P12ihipStream_tbPNSt15iterator_traitsISH_E10value_typeEPNSN_ISI_E10value_typeEPSJ_NS1_7vsmem_tEENKUlT_SH_SI_SJ_E_clIPiSB_SC_SC_EESG_SW_SH_SI_SJ_EUlSW_E0_NS1_11comp_targetILNS1_3genE0ELNS1_11target_archE4294967295ELNS1_3gpuE0ELNS1_3repE0EEENS1_38merge_mergepath_config_static_selectorELNS0_4arch9wavefront6targetE0EEEvSI_,"axG",@progbits,_ZN7rocprim17ROCPRIM_400000_NS6detail17trampoline_kernelINS0_14default_configENS1_38merge_sort_block_merge_config_selectorIiNS0_10empty_typeEEEZZNS1_27merge_sort_block_merge_implIS3_N6thrust23THRUST_200600_302600_NS10device_ptrIiEEPS5_jNS1_19radix_merge_compareILb0ELb1EiNS0_19identity_decomposerEEEEE10hipError_tT0_T1_T2_jT3_P12ihipStream_tbPNSt15iterator_traitsISH_E10value_typeEPNSN_ISI_E10value_typeEPSJ_NS1_7vsmem_tEENKUlT_SH_SI_SJ_E_clIPiSB_SC_SC_EESG_SW_SH_SI_SJ_EUlSW_E0_NS1_11comp_targetILNS1_3genE0ELNS1_11target_archE4294967295ELNS1_3gpuE0ELNS1_3repE0EEENS1_38merge_mergepath_config_static_selectorELNS0_4arch9wavefront6targetE0EEEvSI_,comdat
	.protected	_ZN7rocprim17ROCPRIM_400000_NS6detail17trampoline_kernelINS0_14default_configENS1_38merge_sort_block_merge_config_selectorIiNS0_10empty_typeEEEZZNS1_27merge_sort_block_merge_implIS3_N6thrust23THRUST_200600_302600_NS10device_ptrIiEEPS5_jNS1_19radix_merge_compareILb0ELb1EiNS0_19identity_decomposerEEEEE10hipError_tT0_T1_T2_jT3_P12ihipStream_tbPNSt15iterator_traitsISH_E10value_typeEPNSN_ISI_E10value_typeEPSJ_NS1_7vsmem_tEENKUlT_SH_SI_SJ_E_clIPiSB_SC_SC_EESG_SW_SH_SI_SJ_EUlSW_E0_NS1_11comp_targetILNS1_3genE0ELNS1_11target_archE4294967295ELNS1_3gpuE0ELNS1_3repE0EEENS1_38merge_mergepath_config_static_selectorELNS0_4arch9wavefront6targetE0EEEvSI_ ; -- Begin function _ZN7rocprim17ROCPRIM_400000_NS6detail17trampoline_kernelINS0_14default_configENS1_38merge_sort_block_merge_config_selectorIiNS0_10empty_typeEEEZZNS1_27merge_sort_block_merge_implIS3_N6thrust23THRUST_200600_302600_NS10device_ptrIiEEPS5_jNS1_19radix_merge_compareILb0ELb1EiNS0_19identity_decomposerEEEEE10hipError_tT0_T1_T2_jT3_P12ihipStream_tbPNSt15iterator_traitsISH_E10value_typeEPNSN_ISI_E10value_typeEPSJ_NS1_7vsmem_tEENKUlT_SH_SI_SJ_E_clIPiSB_SC_SC_EESG_SW_SH_SI_SJ_EUlSW_E0_NS1_11comp_targetILNS1_3genE0ELNS1_11target_archE4294967295ELNS1_3gpuE0ELNS1_3repE0EEENS1_38merge_mergepath_config_static_selectorELNS0_4arch9wavefront6targetE0EEEvSI_
	.globl	_ZN7rocprim17ROCPRIM_400000_NS6detail17trampoline_kernelINS0_14default_configENS1_38merge_sort_block_merge_config_selectorIiNS0_10empty_typeEEEZZNS1_27merge_sort_block_merge_implIS3_N6thrust23THRUST_200600_302600_NS10device_ptrIiEEPS5_jNS1_19radix_merge_compareILb0ELb1EiNS0_19identity_decomposerEEEEE10hipError_tT0_T1_T2_jT3_P12ihipStream_tbPNSt15iterator_traitsISH_E10value_typeEPNSN_ISI_E10value_typeEPSJ_NS1_7vsmem_tEENKUlT_SH_SI_SJ_E_clIPiSB_SC_SC_EESG_SW_SH_SI_SJ_EUlSW_E0_NS1_11comp_targetILNS1_3genE0ELNS1_11target_archE4294967295ELNS1_3gpuE0ELNS1_3repE0EEENS1_38merge_mergepath_config_static_selectorELNS0_4arch9wavefront6targetE0EEEvSI_
	.p2align	8
	.type	_ZN7rocprim17ROCPRIM_400000_NS6detail17trampoline_kernelINS0_14default_configENS1_38merge_sort_block_merge_config_selectorIiNS0_10empty_typeEEEZZNS1_27merge_sort_block_merge_implIS3_N6thrust23THRUST_200600_302600_NS10device_ptrIiEEPS5_jNS1_19radix_merge_compareILb0ELb1EiNS0_19identity_decomposerEEEEE10hipError_tT0_T1_T2_jT3_P12ihipStream_tbPNSt15iterator_traitsISH_E10value_typeEPNSN_ISI_E10value_typeEPSJ_NS1_7vsmem_tEENKUlT_SH_SI_SJ_E_clIPiSB_SC_SC_EESG_SW_SH_SI_SJ_EUlSW_E0_NS1_11comp_targetILNS1_3genE0ELNS1_11target_archE4294967295ELNS1_3gpuE0ELNS1_3repE0EEENS1_38merge_mergepath_config_static_selectorELNS0_4arch9wavefront6targetE0EEEvSI_,@function
_ZN7rocprim17ROCPRIM_400000_NS6detail17trampoline_kernelINS0_14default_configENS1_38merge_sort_block_merge_config_selectorIiNS0_10empty_typeEEEZZNS1_27merge_sort_block_merge_implIS3_N6thrust23THRUST_200600_302600_NS10device_ptrIiEEPS5_jNS1_19radix_merge_compareILb0ELb1EiNS0_19identity_decomposerEEEEE10hipError_tT0_T1_T2_jT3_P12ihipStream_tbPNSt15iterator_traitsISH_E10value_typeEPNSN_ISI_E10value_typeEPSJ_NS1_7vsmem_tEENKUlT_SH_SI_SJ_E_clIPiSB_SC_SC_EESG_SW_SH_SI_SJ_EUlSW_E0_NS1_11comp_targetILNS1_3genE0ELNS1_11target_archE4294967295ELNS1_3gpuE0ELNS1_3repE0EEENS1_38merge_mergepath_config_static_selectorELNS0_4arch9wavefront6targetE0EEEvSI_: ; @_ZN7rocprim17ROCPRIM_400000_NS6detail17trampoline_kernelINS0_14default_configENS1_38merge_sort_block_merge_config_selectorIiNS0_10empty_typeEEEZZNS1_27merge_sort_block_merge_implIS3_N6thrust23THRUST_200600_302600_NS10device_ptrIiEEPS5_jNS1_19radix_merge_compareILb0ELb1EiNS0_19identity_decomposerEEEEE10hipError_tT0_T1_T2_jT3_P12ihipStream_tbPNSt15iterator_traitsISH_E10value_typeEPNSN_ISI_E10value_typeEPSJ_NS1_7vsmem_tEENKUlT_SH_SI_SJ_E_clIPiSB_SC_SC_EESG_SW_SH_SI_SJ_EUlSW_E0_NS1_11comp_targetILNS1_3genE0ELNS1_11target_archE4294967295ELNS1_3gpuE0ELNS1_3repE0EEENS1_38merge_mergepath_config_static_selectorELNS0_4arch9wavefront6targetE0EEEvSI_
; %bb.0:
	.section	.rodata,"a",@progbits
	.p2align	6, 0x0
	.amdhsa_kernel _ZN7rocprim17ROCPRIM_400000_NS6detail17trampoline_kernelINS0_14default_configENS1_38merge_sort_block_merge_config_selectorIiNS0_10empty_typeEEEZZNS1_27merge_sort_block_merge_implIS3_N6thrust23THRUST_200600_302600_NS10device_ptrIiEEPS5_jNS1_19radix_merge_compareILb0ELb1EiNS0_19identity_decomposerEEEEE10hipError_tT0_T1_T2_jT3_P12ihipStream_tbPNSt15iterator_traitsISH_E10value_typeEPNSN_ISI_E10value_typeEPSJ_NS1_7vsmem_tEENKUlT_SH_SI_SJ_E_clIPiSB_SC_SC_EESG_SW_SH_SI_SJ_EUlSW_E0_NS1_11comp_targetILNS1_3genE0ELNS1_11target_archE4294967295ELNS1_3gpuE0ELNS1_3repE0EEENS1_38merge_mergepath_config_static_selectorELNS0_4arch9wavefront6targetE0EEEvSI_
		.amdhsa_group_segment_fixed_size 0
		.amdhsa_private_segment_fixed_size 0
		.amdhsa_kernarg_size 64
		.amdhsa_user_sgpr_count 6
		.amdhsa_user_sgpr_private_segment_buffer 1
		.amdhsa_user_sgpr_dispatch_ptr 0
		.amdhsa_user_sgpr_queue_ptr 0
		.amdhsa_user_sgpr_kernarg_segment_ptr 1
		.amdhsa_user_sgpr_dispatch_id 0
		.amdhsa_user_sgpr_flat_scratch_init 0
		.amdhsa_user_sgpr_private_segment_size 0
		.amdhsa_wavefront_size32 1
		.amdhsa_uses_dynamic_stack 0
		.amdhsa_system_sgpr_private_segment_wavefront_offset 0
		.amdhsa_system_sgpr_workgroup_id_x 1
		.amdhsa_system_sgpr_workgroup_id_y 0
		.amdhsa_system_sgpr_workgroup_id_z 0
		.amdhsa_system_sgpr_workgroup_info 0
		.amdhsa_system_vgpr_workitem_id 0
		.amdhsa_next_free_vgpr 1
		.amdhsa_next_free_sgpr 1
		.amdhsa_reserve_vcc 0
		.amdhsa_reserve_flat_scratch 0
		.amdhsa_float_round_mode_32 0
		.amdhsa_float_round_mode_16_64 0
		.amdhsa_float_denorm_mode_32 3
		.amdhsa_float_denorm_mode_16_64 3
		.amdhsa_dx10_clamp 1
		.amdhsa_ieee_mode 1
		.amdhsa_fp16_overflow 0
		.amdhsa_workgroup_processor_mode 1
		.amdhsa_memory_ordered 1
		.amdhsa_forward_progress 1
		.amdhsa_shared_vgpr_count 0
		.amdhsa_exception_fp_ieee_invalid_op 0
		.amdhsa_exception_fp_denorm_src 0
		.amdhsa_exception_fp_ieee_div_zero 0
		.amdhsa_exception_fp_ieee_overflow 0
		.amdhsa_exception_fp_ieee_underflow 0
		.amdhsa_exception_fp_ieee_inexact 0
		.amdhsa_exception_int_div_zero 0
	.end_amdhsa_kernel
	.section	.text._ZN7rocprim17ROCPRIM_400000_NS6detail17trampoline_kernelINS0_14default_configENS1_38merge_sort_block_merge_config_selectorIiNS0_10empty_typeEEEZZNS1_27merge_sort_block_merge_implIS3_N6thrust23THRUST_200600_302600_NS10device_ptrIiEEPS5_jNS1_19radix_merge_compareILb0ELb1EiNS0_19identity_decomposerEEEEE10hipError_tT0_T1_T2_jT3_P12ihipStream_tbPNSt15iterator_traitsISH_E10value_typeEPNSN_ISI_E10value_typeEPSJ_NS1_7vsmem_tEENKUlT_SH_SI_SJ_E_clIPiSB_SC_SC_EESG_SW_SH_SI_SJ_EUlSW_E0_NS1_11comp_targetILNS1_3genE0ELNS1_11target_archE4294967295ELNS1_3gpuE0ELNS1_3repE0EEENS1_38merge_mergepath_config_static_selectorELNS0_4arch9wavefront6targetE0EEEvSI_,"axG",@progbits,_ZN7rocprim17ROCPRIM_400000_NS6detail17trampoline_kernelINS0_14default_configENS1_38merge_sort_block_merge_config_selectorIiNS0_10empty_typeEEEZZNS1_27merge_sort_block_merge_implIS3_N6thrust23THRUST_200600_302600_NS10device_ptrIiEEPS5_jNS1_19radix_merge_compareILb0ELb1EiNS0_19identity_decomposerEEEEE10hipError_tT0_T1_T2_jT3_P12ihipStream_tbPNSt15iterator_traitsISH_E10value_typeEPNSN_ISI_E10value_typeEPSJ_NS1_7vsmem_tEENKUlT_SH_SI_SJ_E_clIPiSB_SC_SC_EESG_SW_SH_SI_SJ_EUlSW_E0_NS1_11comp_targetILNS1_3genE0ELNS1_11target_archE4294967295ELNS1_3gpuE0ELNS1_3repE0EEENS1_38merge_mergepath_config_static_selectorELNS0_4arch9wavefront6targetE0EEEvSI_,comdat
.Lfunc_end1177:
	.size	_ZN7rocprim17ROCPRIM_400000_NS6detail17trampoline_kernelINS0_14default_configENS1_38merge_sort_block_merge_config_selectorIiNS0_10empty_typeEEEZZNS1_27merge_sort_block_merge_implIS3_N6thrust23THRUST_200600_302600_NS10device_ptrIiEEPS5_jNS1_19radix_merge_compareILb0ELb1EiNS0_19identity_decomposerEEEEE10hipError_tT0_T1_T2_jT3_P12ihipStream_tbPNSt15iterator_traitsISH_E10value_typeEPNSN_ISI_E10value_typeEPSJ_NS1_7vsmem_tEENKUlT_SH_SI_SJ_E_clIPiSB_SC_SC_EESG_SW_SH_SI_SJ_EUlSW_E0_NS1_11comp_targetILNS1_3genE0ELNS1_11target_archE4294967295ELNS1_3gpuE0ELNS1_3repE0EEENS1_38merge_mergepath_config_static_selectorELNS0_4arch9wavefront6targetE0EEEvSI_, .Lfunc_end1177-_ZN7rocprim17ROCPRIM_400000_NS6detail17trampoline_kernelINS0_14default_configENS1_38merge_sort_block_merge_config_selectorIiNS0_10empty_typeEEEZZNS1_27merge_sort_block_merge_implIS3_N6thrust23THRUST_200600_302600_NS10device_ptrIiEEPS5_jNS1_19radix_merge_compareILb0ELb1EiNS0_19identity_decomposerEEEEE10hipError_tT0_T1_T2_jT3_P12ihipStream_tbPNSt15iterator_traitsISH_E10value_typeEPNSN_ISI_E10value_typeEPSJ_NS1_7vsmem_tEENKUlT_SH_SI_SJ_E_clIPiSB_SC_SC_EESG_SW_SH_SI_SJ_EUlSW_E0_NS1_11comp_targetILNS1_3genE0ELNS1_11target_archE4294967295ELNS1_3gpuE0ELNS1_3repE0EEENS1_38merge_mergepath_config_static_selectorELNS0_4arch9wavefront6targetE0EEEvSI_
                                        ; -- End function
	.set _ZN7rocprim17ROCPRIM_400000_NS6detail17trampoline_kernelINS0_14default_configENS1_38merge_sort_block_merge_config_selectorIiNS0_10empty_typeEEEZZNS1_27merge_sort_block_merge_implIS3_N6thrust23THRUST_200600_302600_NS10device_ptrIiEEPS5_jNS1_19radix_merge_compareILb0ELb1EiNS0_19identity_decomposerEEEEE10hipError_tT0_T1_T2_jT3_P12ihipStream_tbPNSt15iterator_traitsISH_E10value_typeEPNSN_ISI_E10value_typeEPSJ_NS1_7vsmem_tEENKUlT_SH_SI_SJ_E_clIPiSB_SC_SC_EESG_SW_SH_SI_SJ_EUlSW_E0_NS1_11comp_targetILNS1_3genE0ELNS1_11target_archE4294967295ELNS1_3gpuE0ELNS1_3repE0EEENS1_38merge_mergepath_config_static_selectorELNS0_4arch9wavefront6targetE0EEEvSI_.num_vgpr, 0
	.set _ZN7rocprim17ROCPRIM_400000_NS6detail17trampoline_kernelINS0_14default_configENS1_38merge_sort_block_merge_config_selectorIiNS0_10empty_typeEEEZZNS1_27merge_sort_block_merge_implIS3_N6thrust23THRUST_200600_302600_NS10device_ptrIiEEPS5_jNS1_19radix_merge_compareILb0ELb1EiNS0_19identity_decomposerEEEEE10hipError_tT0_T1_T2_jT3_P12ihipStream_tbPNSt15iterator_traitsISH_E10value_typeEPNSN_ISI_E10value_typeEPSJ_NS1_7vsmem_tEENKUlT_SH_SI_SJ_E_clIPiSB_SC_SC_EESG_SW_SH_SI_SJ_EUlSW_E0_NS1_11comp_targetILNS1_3genE0ELNS1_11target_archE4294967295ELNS1_3gpuE0ELNS1_3repE0EEENS1_38merge_mergepath_config_static_selectorELNS0_4arch9wavefront6targetE0EEEvSI_.num_agpr, 0
	.set _ZN7rocprim17ROCPRIM_400000_NS6detail17trampoline_kernelINS0_14default_configENS1_38merge_sort_block_merge_config_selectorIiNS0_10empty_typeEEEZZNS1_27merge_sort_block_merge_implIS3_N6thrust23THRUST_200600_302600_NS10device_ptrIiEEPS5_jNS1_19radix_merge_compareILb0ELb1EiNS0_19identity_decomposerEEEEE10hipError_tT0_T1_T2_jT3_P12ihipStream_tbPNSt15iterator_traitsISH_E10value_typeEPNSN_ISI_E10value_typeEPSJ_NS1_7vsmem_tEENKUlT_SH_SI_SJ_E_clIPiSB_SC_SC_EESG_SW_SH_SI_SJ_EUlSW_E0_NS1_11comp_targetILNS1_3genE0ELNS1_11target_archE4294967295ELNS1_3gpuE0ELNS1_3repE0EEENS1_38merge_mergepath_config_static_selectorELNS0_4arch9wavefront6targetE0EEEvSI_.numbered_sgpr, 0
	.set _ZN7rocprim17ROCPRIM_400000_NS6detail17trampoline_kernelINS0_14default_configENS1_38merge_sort_block_merge_config_selectorIiNS0_10empty_typeEEEZZNS1_27merge_sort_block_merge_implIS3_N6thrust23THRUST_200600_302600_NS10device_ptrIiEEPS5_jNS1_19radix_merge_compareILb0ELb1EiNS0_19identity_decomposerEEEEE10hipError_tT0_T1_T2_jT3_P12ihipStream_tbPNSt15iterator_traitsISH_E10value_typeEPNSN_ISI_E10value_typeEPSJ_NS1_7vsmem_tEENKUlT_SH_SI_SJ_E_clIPiSB_SC_SC_EESG_SW_SH_SI_SJ_EUlSW_E0_NS1_11comp_targetILNS1_3genE0ELNS1_11target_archE4294967295ELNS1_3gpuE0ELNS1_3repE0EEENS1_38merge_mergepath_config_static_selectorELNS0_4arch9wavefront6targetE0EEEvSI_.num_named_barrier, 0
	.set _ZN7rocprim17ROCPRIM_400000_NS6detail17trampoline_kernelINS0_14default_configENS1_38merge_sort_block_merge_config_selectorIiNS0_10empty_typeEEEZZNS1_27merge_sort_block_merge_implIS3_N6thrust23THRUST_200600_302600_NS10device_ptrIiEEPS5_jNS1_19radix_merge_compareILb0ELb1EiNS0_19identity_decomposerEEEEE10hipError_tT0_T1_T2_jT3_P12ihipStream_tbPNSt15iterator_traitsISH_E10value_typeEPNSN_ISI_E10value_typeEPSJ_NS1_7vsmem_tEENKUlT_SH_SI_SJ_E_clIPiSB_SC_SC_EESG_SW_SH_SI_SJ_EUlSW_E0_NS1_11comp_targetILNS1_3genE0ELNS1_11target_archE4294967295ELNS1_3gpuE0ELNS1_3repE0EEENS1_38merge_mergepath_config_static_selectorELNS0_4arch9wavefront6targetE0EEEvSI_.private_seg_size, 0
	.set _ZN7rocprim17ROCPRIM_400000_NS6detail17trampoline_kernelINS0_14default_configENS1_38merge_sort_block_merge_config_selectorIiNS0_10empty_typeEEEZZNS1_27merge_sort_block_merge_implIS3_N6thrust23THRUST_200600_302600_NS10device_ptrIiEEPS5_jNS1_19radix_merge_compareILb0ELb1EiNS0_19identity_decomposerEEEEE10hipError_tT0_T1_T2_jT3_P12ihipStream_tbPNSt15iterator_traitsISH_E10value_typeEPNSN_ISI_E10value_typeEPSJ_NS1_7vsmem_tEENKUlT_SH_SI_SJ_E_clIPiSB_SC_SC_EESG_SW_SH_SI_SJ_EUlSW_E0_NS1_11comp_targetILNS1_3genE0ELNS1_11target_archE4294967295ELNS1_3gpuE0ELNS1_3repE0EEENS1_38merge_mergepath_config_static_selectorELNS0_4arch9wavefront6targetE0EEEvSI_.uses_vcc, 0
	.set _ZN7rocprim17ROCPRIM_400000_NS6detail17trampoline_kernelINS0_14default_configENS1_38merge_sort_block_merge_config_selectorIiNS0_10empty_typeEEEZZNS1_27merge_sort_block_merge_implIS3_N6thrust23THRUST_200600_302600_NS10device_ptrIiEEPS5_jNS1_19radix_merge_compareILb0ELb1EiNS0_19identity_decomposerEEEEE10hipError_tT0_T1_T2_jT3_P12ihipStream_tbPNSt15iterator_traitsISH_E10value_typeEPNSN_ISI_E10value_typeEPSJ_NS1_7vsmem_tEENKUlT_SH_SI_SJ_E_clIPiSB_SC_SC_EESG_SW_SH_SI_SJ_EUlSW_E0_NS1_11comp_targetILNS1_3genE0ELNS1_11target_archE4294967295ELNS1_3gpuE0ELNS1_3repE0EEENS1_38merge_mergepath_config_static_selectorELNS0_4arch9wavefront6targetE0EEEvSI_.uses_flat_scratch, 0
	.set _ZN7rocprim17ROCPRIM_400000_NS6detail17trampoline_kernelINS0_14default_configENS1_38merge_sort_block_merge_config_selectorIiNS0_10empty_typeEEEZZNS1_27merge_sort_block_merge_implIS3_N6thrust23THRUST_200600_302600_NS10device_ptrIiEEPS5_jNS1_19radix_merge_compareILb0ELb1EiNS0_19identity_decomposerEEEEE10hipError_tT0_T1_T2_jT3_P12ihipStream_tbPNSt15iterator_traitsISH_E10value_typeEPNSN_ISI_E10value_typeEPSJ_NS1_7vsmem_tEENKUlT_SH_SI_SJ_E_clIPiSB_SC_SC_EESG_SW_SH_SI_SJ_EUlSW_E0_NS1_11comp_targetILNS1_3genE0ELNS1_11target_archE4294967295ELNS1_3gpuE0ELNS1_3repE0EEENS1_38merge_mergepath_config_static_selectorELNS0_4arch9wavefront6targetE0EEEvSI_.has_dyn_sized_stack, 0
	.set _ZN7rocprim17ROCPRIM_400000_NS6detail17trampoline_kernelINS0_14default_configENS1_38merge_sort_block_merge_config_selectorIiNS0_10empty_typeEEEZZNS1_27merge_sort_block_merge_implIS3_N6thrust23THRUST_200600_302600_NS10device_ptrIiEEPS5_jNS1_19radix_merge_compareILb0ELb1EiNS0_19identity_decomposerEEEEE10hipError_tT0_T1_T2_jT3_P12ihipStream_tbPNSt15iterator_traitsISH_E10value_typeEPNSN_ISI_E10value_typeEPSJ_NS1_7vsmem_tEENKUlT_SH_SI_SJ_E_clIPiSB_SC_SC_EESG_SW_SH_SI_SJ_EUlSW_E0_NS1_11comp_targetILNS1_3genE0ELNS1_11target_archE4294967295ELNS1_3gpuE0ELNS1_3repE0EEENS1_38merge_mergepath_config_static_selectorELNS0_4arch9wavefront6targetE0EEEvSI_.has_recursion, 0
	.set _ZN7rocprim17ROCPRIM_400000_NS6detail17trampoline_kernelINS0_14default_configENS1_38merge_sort_block_merge_config_selectorIiNS0_10empty_typeEEEZZNS1_27merge_sort_block_merge_implIS3_N6thrust23THRUST_200600_302600_NS10device_ptrIiEEPS5_jNS1_19radix_merge_compareILb0ELb1EiNS0_19identity_decomposerEEEEE10hipError_tT0_T1_T2_jT3_P12ihipStream_tbPNSt15iterator_traitsISH_E10value_typeEPNSN_ISI_E10value_typeEPSJ_NS1_7vsmem_tEENKUlT_SH_SI_SJ_E_clIPiSB_SC_SC_EESG_SW_SH_SI_SJ_EUlSW_E0_NS1_11comp_targetILNS1_3genE0ELNS1_11target_archE4294967295ELNS1_3gpuE0ELNS1_3repE0EEENS1_38merge_mergepath_config_static_selectorELNS0_4arch9wavefront6targetE0EEEvSI_.has_indirect_call, 0
	.section	.AMDGPU.csdata,"",@progbits
; Kernel info:
; codeLenInByte = 0
; TotalNumSgprs: 0
; NumVgprs: 0
; ScratchSize: 0
; MemoryBound: 0
; FloatMode: 240
; IeeeMode: 1
; LDSByteSize: 0 bytes/workgroup (compile time only)
; SGPRBlocks: 0
; VGPRBlocks: 0
; NumSGPRsForWavesPerEU: 1
; NumVGPRsForWavesPerEU: 1
; Occupancy: 16
; WaveLimiterHint : 0
; COMPUTE_PGM_RSRC2:SCRATCH_EN: 0
; COMPUTE_PGM_RSRC2:USER_SGPR: 6
; COMPUTE_PGM_RSRC2:TRAP_HANDLER: 0
; COMPUTE_PGM_RSRC2:TGID_X_EN: 1
; COMPUTE_PGM_RSRC2:TGID_Y_EN: 0
; COMPUTE_PGM_RSRC2:TGID_Z_EN: 0
; COMPUTE_PGM_RSRC2:TIDIG_COMP_CNT: 0
	.section	.text._ZN7rocprim17ROCPRIM_400000_NS6detail17trampoline_kernelINS0_14default_configENS1_38merge_sort_block_merge_config_selectorIiNS0_10empty_typeEEEZZNS1_27merge_sort_block_merge_implIS3_N6thrust23THRUST_200600_302600_NS10device_ptrIiEEPS5_jNS1_19radix_merge_compareILb0ELb1EiNS0_19identity_decomposerEEEEE10hipError_tT0_T1_T2_jT3_P12ihipStream_tbPNSt15iterator_traitsISH_E10value_typeEPNSN_ISI_E10value_typeEPSJ_NS1_7vsmem_tEENKUlT_SH_SI_SJ_E_clIPiSB_SC_SC_EESG_SW_SH_SI_SJ_EUlSW_E0_NS1_11comp_targetILNS1_3genE10ELNS1_11target_archE1201ELNS1_3gpuE5ELNS1_3repE0EEENS1_38merge_mergepath_config_static_selectorELNS0_4arch9wavefront6targetE0EEEvSI_,"axG",@progbits,_ZN7rocprim17ROCPRIM_400000_NS6detail17trampoline_kernelINS0_14default_configENS1_38merge_sort_block_merge_config_selectorIiNS0_10empty_typeEEEZZNS1_27merge_sort_block_merge_implIS3_N6thrust23THRUST_200600_302600_NS10device_ptrIiEEPS5_jNS1_19radix_merge_compareILb0ELb1EiNS0_19identity_decomposerEEEEE10hipError_tT0_T1_T2_jT3_P12ihipStream_tbPNSt15iterator_traitsISH_E10value_typeEPNSN_ISI_E10value_typeEPSJ_NS1_7vsmem_tEENKUlT_SH_SI_SJ_E_clIPiSB_SC_SC_EESG_SW_SH_SI_SJ_EUlSW_E0_NS1_11comp_targetILNS1_3genE10ELNS1_11target_archE1201ELNS1_3gpuE5ELNS1_3repE0EEENS1_38merge_mergepath_config_static_selectorELNS0_4arch9wavefront6targetE0EEEvSI_,comdat
	.protected	_ZN7rocprim17ROCPRIM_400000_NS6detail17trampoline_kernelINS0_14default_configENS1_38merge_sort_block_merge_config_selectorIiNS0_10empty_typeEEEZZNS1_27merge_sort_block_merge_implIS3_N6thrust23THRUST_200600_302600_NS10device_ptrIiEEPS5_jNS1_19radix_merge_compareILb0ELb1EiNS0_19identity_decomposerEEEEE10hipError_tT0_T1_T2_jT3_P12ihipStream_tbPNSt15iterator_traitsISH_E10value_typeEPNSN_ISI_E10value_typeEPSJ_NS1_7vsmem_tEENKUlT_SH_SI_SJ_E_clIPiSB_SC_SC_EESG_SW_SH_SI_SJ_EUlSW_E0_NS1_11comp_targetILNS1_3genE10ELNS1_11target_archE1201ELNS1_3gpuE5ELNS1_3repE0EEENS1_38merge_mergepath_config_static_selectorELNS0_4arch9wavefront6targetE0EEEvSI_ ; -- Begin function _ZN7rocprim17ROCPRIM_400000_NS6detail17trampoline_kernelINS0_14default_configENS1_38merge_sort_block_merge_config_selectorIiNS0_10empty_typeEEEZZNS1_27merge_sort_block_merge_implIS3_N6thrust23THRUST_200600_302600_NS10device_ptrIiEEPS5_jNS1_19radix_merge_compareILb0ELb1EiNS0_19identity_decomposerEEEEE10hipError_tT0_T1_T2_jT3_P12ihipStream_tbPNSt15iterator_traitsISH_E10value_typeEPNSN_ISI_E10value_typeEPSJ_NS1_7vsmem_tEENKUlT_SH_SI_SJ_E_clIPiSB_SC_SC_EESG_SW_SH_SI_SJ_EUlSW_E0_NS1_11comp_targetILNS1_3genE10ELNS1_11target_archE1201ELNS1_3gpuE5ELNS1_3repE0EEENS1_38merge_mergepath_config_static_selectorELNS0_4arch9wavefront6targetE0EEEvSI_
	.globl	_ZN7rocprim17ROCPRIM_400000_NS6detail17trampoline_kernelINS0_14default_configENS1_38merge_sort_block_merge_config_selectorIiNS0_10empty_typeEEEZZNS1_27merge_sort_block_merge_implIS3_N6thrust23THRUST_200600_302600_NS10device_ptrIiEEPS5_jNS1_19radix_merge_compareILb0ELb1EiNS0_19identity_decomposerEEEEE10hipError_tT0_T1_T2_jT3_P12ihipStream_tbPNSt15iterator_traitsISH_E10value_typeEPNSN_ISI_E10value_typeEPSJ_NS1_7vsmem_tEENKUlT_SH_SI_SJ_E_clIPiSB_SC_SC_EESG_SW_SH_SI_SJ_EUlSW_E0_NS1_11comp_targetILNS1_3genE10ELNS1_11target_archE1201ELNS1_3gpuE5ELNS1_3repE0EEENS1_38merge_mergepath_config_static_selectorELNS0_4arch9wavefront6targetE0EEEvSI_
	.p2align	8
	.type	_ZN7rocprim17ROCPRIM_400000_NS6detail17trampoline_kernelINS0_14default_configENS1_38merge_sort_block_merge_config_selectorIiNS0_10empty_typeEEEZZNS1_27merge_sort_block_merge_implIS3_N6thrust23THRUST_200600_302600_NS10device_ptrIiEEPS5_jNS1_19radix_merge_compareILb0ELb1EiNS0_19identity_decomposerEEEEE10hipError_tT0_T1_T2_jT3_P12ihipStream_tbPNSt15iterator_traitsISH_E10value_typeEPNSN_ISI_E10value_typeEPSJ_NS1_7vsmem_tEENKUlT_SH_SI_SJ_E_clIPiSB_SC_SC_EESG_SW_SH_SI_SJ_EUlSW_E0_NS1_11comp_targetILNS1_3genE10ELNS1_11target_archE1201ELNS1_3gpuE5ELNS1_3repE0EEENS1_38merge_mergepath_config_static_selectorELNS0_4arch9wavefront6targetE0EEEvSI_,@function
_ZN7rocprim17ROCPRIM_400000_NS6detail17trampoline_kernelINS0_14default_configENS1_38merge_sort_block_merge_config_selectorIiNS0_10empty_typeEEEZZNS1_27merge_sort_block_merge_implIS3_N6thrust23THRUST_200600_302600_NS10device_ptrIiEEPS5_jNS1_19radix_merge_compareILb0ELb1EiNS0_19identity_decomposerEEEEE10hipError_tT0_T1_T2_jT3_P12ihipStream_tbPNSt15iterator_traitsISH_E10value_typeEPNSN_ISI_E10value_typeEPSJ_NS1_7vsmem_tEENKUlT_SH_SI_SJ_E_clIPiSB_SC_SC_EESG_SW_SH_SI_SJ_EUlSW_E0_NS1_11comp_targetILNS1_3genE10ELNS1_11target_archE1201ELNS1_3gpuE5ELNS1_3repE0EEENS1_38merge_mergepath_config_static_selectorELNS0_4arch9wavefront6targetE0EEEvSI_: ; @_ZN7rocprim17ROCPRIM_400000_NS6detail17trampoline_kernelINS0_14default_configENS1_38merge_sort_block_merge_config_selectorIiNS0_10empty_typeEEEZZNS1_27merge_sort_block_merge_implIS3_N6thrust23THRUST_200600_302600_NS10device_ptrIiEEPS5_jNS1_19radix_merge_compareILb0ELb1EiNS0_19identity_decomposerEEEEE10hipError_tT0_T1_T2_jT3_P12ihipStream_tbPNSt15iterator_traitsISH_E10value_typeEPNSN_ISI_E10value_typeEPSJ_NS1_7vsmem_tEENKUlT_SH_SI_SJ_E_clIPiSB_SC_SC_EESG_SW_SH_SI_SJ_EUlSW_E0_NS1_11comp_targetILNS1_3genE10ELNS1_11target_archE1201ELNS1_3gpuE5ELNS1_3repE0EEENS1_38merge_mergepath_config_static_selectorELNS0_4arch9wavefront6targetE0EEEvSI_
; %bb.0:
	.section	.rodata,"a",@progbits
	.p2align	6, 0x0
	.amdhsa_kernel _ZN7rocprim17ROCPRIM_400000_NS6detail17trampoline_kernelINS0_14default_configENS1_38merge_sort_block_merge_config_selectorIiNS0_10empty_typeEEEZZNS1_27merge_sort_block_merge_implIS3_N6thrust23THRUST_200600_302600_NS10device_ptrIiEEPS5_jNS1_19radix_merge_compareILb0ELb1EiNS0_19identity_decomposerEEEEE10hipError_tT0_T1_T2_jT3_P12ihipStream_tbPNSt15iterator_traitsISH_E10value_typeEPNSN_ISI_E10value_typeEPSJ_NS1_7vsmem_tEENKUlT_SH_SI_SJ_E_clIPiSB_SC_SC_EESG_SW_SH_SI_SJ_EUlSW_E0_NS1_11comp_targetILNS1_3genE10ELNS1_11target_archE1201ELNS1_3gpuE5ELNS1_3repE0EEENS1_38merge_mergepath_config_static_selectorELNS0_4arch9wavefront6targetE0EEEvSI_
		.amdhsa_group_segment_fixed_size 0
		.amdhsa_private_segment_fixed_size 0
		.amdhsa_kernarg_size 64
		.amdhsa_user_sgpr_count 6
		.amdhsa_user_sgpr_private_segment_buffer 1
		.amdhsa_user_sgpr_dispatch_ptr 0
		.amdhsa_user_sgpr_queue_ptr 0
		.amdhsa_user_sgpr_kernarg_segment_ptr 1
		.amdhsa_user_sgpr_dispatch_id 0
		.amdhsa_user_sgpr_flat_scratch_init 0
		.amdhsa_user_sgpr_private_segment_size 0
		.amdhsa_wavefront_size32 1
		.amdhsa_uses_dynamic_stack 0
		.amdhsa_system_sgpr_private_segment_wavefront_offset 0
		.amdhsa_system_sgpr_workgroup_id_x 1
		.amdhsa_system_sgpr_workgroup_id_y 0
		.amdhsa_system_sgpr_workgroup_id_z 0
		.amdhsa_system_sgpr_workgroup_info 0
		.amdhsa_system_vgpr_workitem_id 0
		.amdhsa_next_free_vgpr 1
		.amdhsa_next_free_sgpr 1
		.amdhsa_reserve_vcc 0
		.amdhsa_reserve_flat_scratch 0
		.amdhsa_float_round_mode_32 0
		.amdhsa_float_round_mode_16_64 0
		.amdhsa_float_denorm_mode_32 3
		.amdhsa_float_denorm_mode_16_64 3
		.amdhsa_dx10_clamp 1
		.amdhsa_ieee_mode 1
		.amdhsa_fp16_overflow 0
		.amdhsa_workgroup_processor_mode 1
		.amdhsa_memory_ordered 1
		.amdhsa_forward_progress 1
		.amdhsa_shared_vgpr_count 0
		.amdhsa_exception_fp_ieee_invalid_op 0
		.amdhsa_exception_fp_denorm_src 0
		.amdhsa_exception_fp_ieee_div_zero 0
		.amdhsa_exception_fp_ieee_overflow 0
		.amdhsa_exception_fp_ieee_underflow 0
		.amdhsa_exception_fp_ieee_inexact 0
		.amdhsa_exception_int_div_zero 0
	.end_amdhsa_kernel
	.section	.text._ZN7rocprim17ROCPRIM_400000_NS6detail17trampoline_kernelINS0_14default_configENS1_38merge_sort_block_merge_config_selectorIiNS0_10empty_typeEEEZZNS1_27merge_sort_block_merge_implIS3_N6thrust23THRUST_200600_302600_NS10device_ptrIiEEPS5_jNS1_19radix_merge_compareILb0ELb1EiNS0_19identity_decomposerEEEEE10hipError_tT0_T1_T2_jT3_P12ihipStream_tbPNSt15iterator_traitsISH_E10value_typeEPNSN_ISI_E10value_typeEPSJ_NS1_7vsmem_tEENKUlT_SH_SI_SJ_E_clIPiSB_SC_SC_EESG_SW_SH_SI_SJ_EUlSW_E0_NS1_11comp_targetILNS1_3genE10ELNS1_11target_archE1201ELNS1_3gpuE5ELNS1_3repE0EEENS1_38merge_mergepath_config_static_selectorELNS0_4arch9wavefront6targetE0EEEvSI_,"axG",@progbits,_ZN7rocprim17ROCPRIM_400000_NS6detail17trampoline_kernelINS0_14default_configENS1_38merge_sort_block_merge_config_selectorIiNS0_10empty_typeEEEZZNS1_27merge_sort_block_merge_implIS3_N6thrust23THRUST_200600_302600_NS10device_ptrIiEEPS5_jNS1_19radix_merge_compareILb0ELb1EiNS0_19identity_decomposerEEEEE10hipError_tT0_T1_T2_jT3_P12ihipStream_tbPNSt15iterator_traitsISH_E10value_typeEPNSN_ISI_E10value_typeEPSJ_NS1_7vsmem_tEENKUlT_SH_SI_SJ_E_clIPiSB_SC_SC_EESG_SW_SH_SI_SJ_EUlSW_E0_NS1_11comp_targetILNS1_3genE10ELNS1_11target_archE1201ELNS1_3gpuE5ELNS1_3repE0EEENS1_38merge_mergepath_config_static_selectorELNS0_4arch9wavefront6targetE0EEEvSI_,comdat
.Lfunc_end1178:
	.size	_ZN7rocprim17ROCPRIM_400000_NS6detail17trampoline_kernelINS0_14default_configENS1_38merge_sort_block_merge_config_selectorIiNS0_10empty_typeEEEZZNS1_27merge_sort_block_merge_implIS3_N6thrust23THRUST_200600_302600_NS10device_ptrIiEEPS5_jNS1_19radix_merge_compareILb0ELb1EiNS0_19identity_decomposerEEEEE10hipError_tT0_T1_T2_jT3_P12ihipStream_tbPNSt15iterator_traitsISH_E10value_typeEPNSN_ISI_E10value_typeEPSJ_NS1_7vsmem_tEENKUlT_SH_SI_SJ_E_clIPiSB_SC_SC_EESG_SW_SH_SI_SJ_EUlSW_E0_NS1_11comp_targetILNS1_3genE10ELNS1_11target_archE1201ELNS1_3gpuE5ELNS1_3repE0EEENS1_38merge_mergepath_config_static_selectorELNS0_4arch9wavefront6targetE0EEEvSI_, .Lfunc_end1178-_ZN7rocprim17ROCPRIM_400000_NS6detail17trampoline_kernelINS0_14default_configENS1_38merge_sort_block_merge_config_selectorIiNS0_10empty_typeEEEZZNS1_27merge_sort_block_merge_implIS3_N6thrust23THRUST_200600_302600_NS10device_ptrIiEEPS5_jNS1_19radix_merge_compareILb0ELb1EiNS0_19identity_decomposerEEEEE10hipError_tT0_T1_T2_jT3_P12ihipStream_tbPNSt15iterator_traitsISH_E10value_typeEPNSN_ISI_E10value_typeEPSJ_NS1_7vsmem_tEENKUlT_SH_SI_SJ_E_clIPiSB_SC_SC_EESG_SW_SH_SI_SJ_EUlSW_E0_NS1_11comp_targetILNS1_3genE10ELNS1_11target_archE1201ELNS1_3gpuE5ELNS1_3repE0EEENS1_38merge_mergepath_config_static_selectorELNS0_4arch9wavefront6targetE0EEEvSI_
                                        ; -- End function
	.set _ZN7rocprim17ROCPRIM_400000_NS6detail17trampoline_kernelINS0_14default_configENS1_38merge_sort_block_merge_config_selectorIiNS0_10empty_typeEEEZZNS1_27merge_sort_block_merge_implIS3_N6thrust23THRUST_200600_302600_NS10device_ptrIiEEPS5_jNS1_19radix_merge_compareILb0ELb1EiNS0_19identity_decomposerEEEEE10hipError_tT0_T1_T2_jT3_P12ihipStream_tbPNSt15iterator_traitsISH_E10value_typeEPNSN_ISI_E10value_typeEPSJ_NS1_7vsmem_tEENKUlT_SH_SI_SJ_E_clIPiSB_SC_SC_EESG_SW_SH_SI_SJ_EUlSW_E0_NS1_11comp_targetILNS1_3genE10ELNS1_11target_archE1201ELNS1_3gpuE5ELNS1_3repE0EEENS1_38merge_mergepath_config_static_selectorELNS0_4arch9wavefront6targetE0EEEvSI_.num_vgpr, 0
	.set _ZN7rocprim17ROCPRIM_400000_NS6detail17trampoline_kernelINS0_14default_configENS1_38merge_sort_block_merge_config_selectorIiNS0_10empty_typeEEEZZNS1_27merge_sort_block_merge_implIS3_N6thrust23THRUST_200600_302600_NS10device_ptrIiEEPS5_jNS1_19radix_merge_compareILb0ELb1EiNS0_19identity_decomposerEEEEE10hipError_tT0_T1_T2_jT3_P12ihipStream_tbPNSt15iterator_traitsISH_E10value_typeEPNSN_ISI_E10value_typeEPSJ_NS1_7vsmem_tEENKUlT_SH_SI_SJ_E_clIPiSB_SC_SC_EESG_SW_SH_SI_SJ_EUlSW_E0_NS1_11comp_targetILNS1_3genE10ELNS1_11target_archE1201ELNS1_3gpuE5ELNS1_3repE0EEENS1_38merge_mergepath_config_static_selectorELNS0_4arch9wavefront6targetE0EEEvSI_.num_agpr, 0
	.set _ZN7rocprim17ROCPRIM_400000_NS6detail17trampoline_kernelINS0_14default_configENS1_38merge_sort_block_merge_config_selectorIiNS0_10empty_typeEEEZZNS1_27merge_sort_block_merge_implIS3_N6thrust23THRUST_200600_302600_NS10device_ptrIiEEPS5_jNS1_19radix_merge_compareILb0ELb1EiNS0_19identity_decomposerEEEEE10hipError_tT0_T1_T2_jT3_P12ihipStream_tbPNSt15iterator_traitsISH_E10value_typeEPNSN_ISI_E10value_typeEPSJ_NS1_7vsmem_tEENKUlT_SH_SI_SJ_E_clIPiSB_SC_SC_EESG_SW_SH_SI_SJ_EUlSW_E0_NS1_11comp_targetILNS1_3genE10ELNS1_11target_archE1201ELNS1_3gpuE5ELNS1_3repE0EEENS1_38merge_mergepath_config_static_selectorELNS0_4arch9wavefront6targetE0EEEvSI_.numbered_sgpr, 0
	.set _ZN7rocprim17ROCPRIM_400000_NS6detail17trampoline_kernelINS0_14default_configENS1_38merge_sort_block_merge_config_selectorIiNS0_10empty_typeEEEZZNS1_27merge_sort_block_merge_implIS3_N6thrust23THRUST_200600_302600_NS10device_ptrIiEEPS5_jNS1_19radix_merge_compareILb0ELb1EiNS0_19identity_decomposerEEEEE10hipError_tT0_T1_T2_jT3_P12ihipStream_tbPNSt15iterator_traitsISH_E10value_typeEPNSN_ISI_E10value_typeEPSJ_NS1_7vsmem_tEENKUlT_SH_SI_SJ_E_clIPiSB_SC_SC_EESG_SW_SH_SI_SJ_EUlSW_E0_NS1_11comp_targetILNS1_3genE10ELNS1_11target_archE1201ELNS1_3gpuE5ELNS1_3repE0EEENS1_38merge_mergepath_config_static_selectorELNS0_4arch9wavefront6targetE0EEEvSI_.num_named_barrier, 0
	.set _ZN7rocprim17ROCPRIM_400000_NS6detail17trampoline_kernelINS0_14default_configENS1_38merge_sort_block_merge_config_selectorIiNS0_10empty_typeEEEZZNS1_27merge_sort_block_merge_implIS3_N6thrust23THRUST_200600_302600_NS10device_ptrIiEEPS5_jNS1_19radix_merge_compareILb0ELb1EiNS0_19identity_decomposerEEEEE10hipError_tT0_T1_T2_jT3_P12ihipStream_tbPNSt15iterator_traitsISH_E10value_typeEPNSN_ISI_E10value_typeEPSJ_NS1_7vsmem_tEENKUlT_SH_SI_SJ_E_clIPiSB_SC_SC_EESG_SW_SH_SI_SJ_EUlSW_E0_NS1_11comp_targetILNS1_3genE10ELNS1_11target_archE1201ELNS1_3gpuE5ELNS1_3repE0EEENS1_38merge_mergepath_config_static_selectorELNS0_4arch9wavefront6targetE0EEEvSI_.private_seg_size, 0
	.set _ZN7rocprim17ROCPRIM_400000_NS6detail17trampoline_kernelINS0_14default_configENS1_38merge_sort_block_merge_config_selectorIiNS0_10empty_typeEEEZZNS1_27merge_sort_block_merge_implIS3_N6thrust23THRUST_200600_302600_NS10device_ptrIiEEPS5_jNS1_19radix_merge_compareILb0ELb1EiNS0_19identity_decomposerEEEEE10hipError_tT0_T1_T2_jT3_P12ihipStream_tbPNSt15iterator_traitsISH_E10value_typeEPNSN_ISI_E10value_typeEPSJ_NS1_7vsmem_tEENKUlT_SH_SI_SJ_E_clIPiSB_SC_SC_EESG_SW_SH_SI_SJ_EUlSW_E0_NS1_11comp_targetILNS1_3genE10ELNS1_11target_archE1201ELNS1_3gpuE5ELNS1_3repE0EEENS1_38merge_mergepath_config_static_selectorELNS0_4arch9wavefront6targetE0EEEvSI_.uses_vcc, 0
	.set _ZN7rocprim17ROCPRIM_400000_NS6detail17trampoline_kernelINS0_14default_configENS1_38merge_sort_block_merge_config_selectorIiNS0_10empty_typeEEEZZNS1_27merge_sort_block_merge_implIS3_N6thrust23THRUST_200600_302600_NS10device_ptrIiEEPS5_jNS1_19radix_merge_compareILb0ELb1EiNS0_19identity_decomposerEEEEE10hipError_tT0_T1_T2_jT3_P12ihipStream_tbPNSt15iterator_traitsISH_E10value_typeEPNSN_ISI_E10value_typeEPSJ_NS1_7vsmem_tEENKUlT_SH_SI_SJ_E_clIPiSB_SC_SC_EESG_SW_SH_SI_SJ_EUlSW_E0_NS1_11comp_targetILNS1_3genE10ELNS1_11target_archE1201ELNS1_3gpuE5ELNS1_3repE0EEENS1_38merge_mergepath_config_static_selectorELNS0_4arch9wavefront6targetE0EEEvSI_.uses_flat_scratch, 0
	.set _ZN7rocprim17ROCPRIM_400000_NS6detail17trampoline_kernelINS0_14default_configENS1_38merge_sort_block_merge_config_selectorIiNS0_10empty_typeEEEZZNS1_27merge_sort_block_merge_implIS3_N6thrust23THRUST_200600_302600_NS10device_ptrIiEEPS5_jNS1_19radix_merge_compareILb0ELb1EiNS0_19identity_decomposerEEEEE10hipError_tT0_T1_T2_jT3_P12ihipStream_tbPNSt15iterator_traitsISH_E10value_typeEPNSN_ISI_E10value_typeEPSJ_NS1_7vsmem_tEENKUlT_SH_SI_SJ_E_clIPiSB_SC_SC_EESG_SW_SH_SI_SJ_EUlSW_E0_NS1_11comp_targetILNS1_3genE10ELNS1_11target_archE1201ELNS1_3gpuE5ELNS1_3repE0EEENS1_38merge_mergepath_config_static_selectorELNS0_4arch9wavefront6targetE0EEEvSI_.has_dyn_sized_stack, 0
	.set _ZN7rocprim17ROCPRIM_400000_NS6detail17trampoline_kernelINS0_14default_configENS1_38merge_sort_block_merge_config_selectorIiNS0_10empty_typeEEEZZNS1_27merge_sort_block_merge_implIS3_N6thrust23THRUST_200600_302600_NS10device_ptrIiEEPS5_jNS1_19radix_merge_compareILb0ELb1EiNS0_19identity_decomposerEEEEE10hipError_tT0_T1_T2_jT3_P12ihipStream_tbPNSt15iterator_traitsISH_E10value_typeEPNSN_ISI_E10value_typeEPSJ_NS1_7vsmem_tEENKUlT_SH_SI_SJ_E_clIPiSB_SC_SC_EESG_SW_SH_SI_SJ_EUlSW_E0_NS1_11comp_targetILNS1_3genE10ELNS1_11target_archE1201ELNS1_3gpuE5ELNS1_3repE0EEENS1_38merge_mergepath_config_static_selectorELNS0_4arch9wavefront6targetE0EEEvSI_.has_recursion, 0
	.set _ZN7rocprim17ROCPRIM_400000_NS6detail17trampoline_kernelINS0_14default_configENS1_38merge_sort_block_merge_config_selectorIiNS0_10empty_typeEEEZZNS1_27merge_sort_block_merge_implIS3_N6thrust23THRUST_200600_302600_NS10device_ptrIiEEPS5_jNS1_19radix_merge_compareILb0ELb1EiNS0_19identity_decomposerEEEEE10hipError_tT0_T1_T2_jT3_P12ihipStream_tbPNSt15iterator_traitsISH_E10value_typeEPNSN_ISI_E10value_typeEPSJ_NS1_7vsmem_tEENKUlT_SH_SI_SJ_E_clIPiSB_SC_SC_EESG_SW_SH_SI_SJ_EUlSW_E0_NS1_11comp_targetILNS1_3genE10ELNS1_11target_archE1201ELNS1_3gpuE5ELNS1_3repE0EEENS1_38merge_mergepath_config_static_selectorELNS0_4arch9wavefront6targetE0EEEvSI_.has_indirect_call, 0
	.section	.AMDGPU.csdata,"",@progbits
; Kernel info:
; codeLenInByte = 0
; TotalNumSgprs: 0
; NumVgprs: 0
; ScratchSize: 0
; MemoryBound: 0
; FloatMode: 240
; IeeeMode: 1
; LDSByteSize: 0 bytes/workgroup (compile time only)
; SGPRBlocks: 0
; VGPRBlocks: 0
; NumSGPRsForWavesPerEU: 1
; NumVGPRsForWavesPerEU: 1
; Occupancy: 16
; WaveLimiterHint : 0
; COMPUTE_PGM_RSRC2:SCRATCH_EN: 0
; COMPUTE_PGM_RSRC2:USER_SGPR: 6
; COMPUTE_PGM_RSRC2:TRAP_HANDLER: 0
; COMPUTE_PGM_RSRC2:TGID_X_EN: 1
; COMPUTE_PGM_RSRC2:TGID_Y_EN: 0
; COMPUTE_PGM_RSRC2:TGID_Z_EN: 0
; COMPUTE_PGM_RSRC2:TIDIG_COMP_CNT: 0
	.section	.text._ZN7rocprim17ROCPRIM_400000_NS6detail17trampoline_kernelINS0_14default_configENS1_38merge_sort_block_merge_config_selectorIiNS0_10empty_typeEEEZZNS1_27merge_sort_block_merge_implIS3_N6thrust23THRUST_200600_302600_NS10device_ptrIiEEPS5_jNS1_19radix_merge_compareILb0ELb1EiNS0_19identity_decomposerEEEEE10hipError_tT0_T1_T2_jT3_P12ihipStream_tbPNSt15iterator_traitsISH_E10value_typeEPNSN_ISI_E10value_typeEPSJ_NS1_7vsmem_tEENKUlT_SH_SI_SJ_E_clIPiSB_SC_SC_EESG_SW_SH_SI_SJ_EUlSW_E0_NS1_11comp_targetILNS1_3genE5ELNS1_11target_archE942ELNS1_3gpuE9ELNS1_3repE0EEENS1_38merge_mergepath_config_static_selectorELNS0_4arch9wavefront6targetE0EEEvSI_,"axG",@progbits,_ZN7rocprim17ROCPRIM_400000_NS6detail17trampoline_kernelINS0_14default_configENS1_38merge_sort_block_merge_config_selectorIiNS0_10empty_typeEEEZZNS1_27merge_sort_block_merge_implIS3_N6thrust23THRUST_200600_302600_NS10device_ptrIiEEPS5_jNS1_19radix_merge_compareILb0ELb1EiNS0_19identity_decomposerEEEEE10hipError_tT0_T1_T2_jT3_P12ihipStream_tbPNSt15iterator_traitsISH_E10value_typeEPNSN_ISI_E10value_typeEPSJ_NS1_7vsmem_tEENKUlT_SH_SI_SJ_E_clIPiSB_SC_SC_EESG_SW_SH_SI_SJ_EUlSW_E0_NS1_11comp_targetILNS1_3genE5ELNS1_11target_archE942ELNS1_3gpuE9ELNS1_3repE0EEENS1_38merge_mergepath_config_static_selectorELNS0_4arch9wavefront6targetE0EEEvSI_,comdat
	.protected	_ZN7rocprim17ROCPRIM_400000_NS6detail17trampoline_kernelINS0_14default_configENS1_38merge_sort_block_merge_config_selectorIiNS0_10empty_typeEEEZZNS1_27merge_sort_block_merge_implIS3_N6thrust23THRUST_200600_302600_NS10device_ptrIiEEPS5_jNS1_19radix_merge_compareILb0ELb1EiNS0_19identity_decomposerEEEEE10hipError_tT0_T1_T2_jT3_P12ihipStream_tbPNSt15iterator_traitsISH_E10value_typeEPNSN_ISI_E10value_typeEPSJ_NS1_7vsmem_tEENKUlT_SH_SI_SJ_E_clIPiSB_SC_SC_EESG_SW_SH_SI_SJ_EUlSW_E0_NS1_11comp_targetILNS1_3genE5ELNS1_11target_archE942ELNS1_3gpuE9ELNS1_3repE0EEENS1_38merge_mergepath_config_static_selectorELNS0_4arch9wavefront6targetE0EEEvSI_ ; -- Begin function _ZN7rocprim17ROCPRIM_400000_NS6detail17trampoline_kernelINS0_14default_configENS1_38merge_sort_block_merge_config_selectorIiNS0_10empty_typeEEEZZNS1_27merge_sort_block_merge_implIS3_N6thrust23THRUST_200600_302600_NS10device_ptrIiEEPS5_jNS1_19radix_merge_compareILb0ELb1EiNS0_19identity_decomposerEEEEE10hipError_tT0_T1_T2_jT3_P12ihipStream_tbPNSt15iterator_traitsISH_E10value_typeEPNSN_ISI_E10value_typeEPSJ_NS1_7vsmem_tEENKUlT_SH_SI_SJ_E_clIPiSB_SC_SC_EESG_SW_SH_SI_SJ_EUlSW_E0_NS1_11comp_targetILNS1_3genE5ELNS1_11target_archE942ELNS1_3gpuE9ELNS1_3repE0EEENS1_38merge_mergepath_config_static_selectorELNS0_4arch9wavefront6targetE0EEEvSI_
	.globl	_ZN7rocprim17ROCPRIM_400000_NS6detail17trampoline_kernelINS0_14default_configENS1_38merge_sort_block_merge_config_selectorIiNS0_10empty_typeEEEZZNS1_27merge_sort_block_merge_implIS3_N6thrust23THRUST_200600_302600_NS10device_ptrIiEEPS5_jNS1_19radix_merge_compareILb0ELb1EiNS0_19identity_decomposerEEEEE10hipError_tT0_T1_T2_jT3_P12ihipStream_tbPNSt15iterator_traitsISH_E10value_typeEPNSN_ISI_E10value_typeEPSJ_NS1_7vsmem_tEENKUlT_SH_SI_SJ_E_clIPiSB_SC_SC_EESG_SW_SH_SI_SJ_EUlSW_E0_NS1_11comp_targetILNS1_3genE5ELNS1_11target_archE942ELNS1_3gpuE9ELNS1_3repE0EEENS1_38merge_mergepath_config_static_selectorELNS0_4arch9wavefront6targetE0EEEvSI_
	.p2align	8
	.type	_ZN7rocprim17ROCPRIM_400000_NS6detail17trampoline_kernelINS0_14default_configENS1_38merge_sort_block_merge_config_selectorIiNS0_10empty_typeEEEZZNS1_27merge_sort_block_merge_implIS3_N6thrust23THRUST_200600_302600_NS10device_ptrIiEEPS5_jNS1_19radix_merge_compareILb0ELb1EiNS0_19identity_decomposerEEEEE10hipError_tT0_T1_T2_jT3_P12ihipStream_tbPNSt15iterator_traitsISH_E10value_typeEPNSN_ISI_E10value_typeEPSJ_NS1_7vsmem_tEENKUlT_SH_SI_SJ_E_clIPiSB_SC_SC_EESG_SW_SH_SI_SJ_EUlSW_E0_NS1_11comp_targetILNS1_3genE5ELNS1_11target_archE942ELNS1_3gpuE9ELNS1_3repE0EEENS1_38merge_mergepath_config_static_selectorELNS0_4arch9wavefront6targetE0EEEvSI_,@function
_ZN7rocprim17ROCPRIM_400000_NS6detail17trampoline_kernelINS0_14default_configENS1_38merge_sort_block_merge_config_selectorIiNS0_10empty_typeEEEZZNS1_27merge_sort_block_merge_implIS3_N6thrust23THRUST_200600_302600_NS10device_ptrIiEEPS5_jNS1_19radix_merge_compareILb0ELb1EiNS0_19identity_decomposerEEEEE10hipError_tT0_T1_T2_jT3_P12ihipStream_tbPNSt15iterator_traitsISH_E10value_typeEPNSN_ISI_E10value_typeEPSJ_NS1_7vsmem_tEENKUlT_SH_SI_SJ_E_clIPiSB_SC_SC_EESG_SW_SH_SI_SJ_EUlSW_E0_NS1_11comp_targetILNS1_3genE5ELNS1_11target_archE942ELNS1_3gpuE9ELNS1_3repE0EEENS1_38merge_mergepath_config_static_selectorELNS0_4arch9wavefront6targetE0EEEvSI_: ; @_ZN7rocprim17ROCPRIM_400000_NS6detail17trampoline_kernelINS0_14default_configENS1_38merge_sort_block_merge_config_selectorIiNS0_10empty_typeEEEZZNS1_27merge_sort_block_merge_implIS3_N6thrust23THRUST_200600_302600_NS10device_ptrIiEEPS5_jNS1_19radix_merge_compareILb0ELb1EiNS0_19identity_decomposerEEEEE10hipError_tT0_T1_T2_jT3_P12ihipStream_tbPNSt15iterator_traitsISH_E10value_typeEPNSN_ISI_E10value_typeEPSJ_NS1_7vsmem_tEENKUlT_SH_SI_SJ_E_clIPiSB_SC_SC_EESG_SW_SH_SI_SJ_EUlSW_E0_NS1_11comp_targetILNS1_3genE5ELNS1_11target_archE942ELNS1_3gpuE9ELNS1_3repE0EEENS1_38merge_mergepath_config_static_selectorELNS0_4arch9wavefront6targetE0EEEvSI_
; %bb.0:
	.section	.rodata,"a",@progbits
	.p2align	6, 0x0
	.amdhsa_kernel _ZN7rocprim17ROCPRIM_400000_NS6detail17trampoline_kernelINS0_14default_configENS1_38merge_sort_block_merge_config_selectorIiNS0_10empty_typeEEEZZNS1_27merge_sort_block_merge_implIS3_N6thrust23THRUST_200600_302600_NS10device_ptrIiEEPS5_jNS1_19radix_merge_compareILb0ELb1EiNS0_19identity_decomposerEEEEE10hipError_tT0_T1_T2_jT3_P12ihipStream_tbPNSt15iterator_traitsISH_E10value_typeEPNSN_ISI_E10value_typeEPSJ_NS1_7vsmem_tEENKUlT_SH_SI_SJ_E_clIPiSB_SC_SC_EESG_SW_SH_SI_SJ_EUlSW_E0_NS1_11comp_targetILNS1_3genE5ELNS1_11target_archE942ELNS1_3gpuE9ELNS1_3repE0EEENS1_38merge_mergepath_config_static_selectorELNS0_4arch9wavefront6targetE0EEEvSI_
		.amdhsa_group_segment_fixed_size 0
		.amdhsa_private_segment_fixed_size 0
		.amdhsa_kernarg_size 64
		.amdhsa_user_sgpr_count 6
		.amdhsa_user_sgpr_private_segment_buffer 1
		.amdhsa_user_sgpr_dispatch_ptr 0
		.amdhsa_user_sgpr_queue_ptr 0
		.amdhsa_user_sgpr_kernarg_segment_ptr 1
		.amdhsa_user_sgpr_dispatch_id 0
		.amdhsa_user_sgpr_flat_scratch_init 0
		.amdhsa_user_sgpr_private_segment_size 0
		.amdhsa_wavefront_size32 1
		.amdhsa_uses_dynamic_stack 0
		.amdhsa_system_sgpr_private_segment_wavefront_offset 0
		.amdhsa_system_sgpr_workgroup_id_x 1
		.amdhsa_system_sgpr_workgroup_id_y 0
		.amdhsa_system_sgpr_workgroup_id_z 0
		.amdhsa_system_sgpr_workgroup_info 0
		.amdhsa_system_vgpr_workitem_id 0
		.amdhsa_next_free_vgpr 1
		.amdhsa_next_free_sgpr 1
		.amdhsa_reserve_vcc 0
		.amdhsa_reserve_flat_scratch 0
		.amdhsa_float_round_mode_32 0
		.amdhsa_float_round_mode_16_64 0
		.amdhsa_float_denorm_mode_32 3
		.amdhsa_float_denorm_mode_16_64 3
		.amdhsa_dx10_clamp 1
		.amdhsa_ieee_mode 1
		.amdhsa_fp16_overflow 0
		.amdhsa_workgroup_processor_mode 1
		.amdhsa_memory_ordered 1
		.amdhsa_forward_progress 1
		.amdhsa_shared_vgpr_count 0
		.amdhsa_exception_fp_ieee_invalid_op 0
		.amdhsa_exception_fp_denorm_src 0
		.amdhsa_exception_fp_ieee_div_zero 0
		.amdhsa_exception_fp_ieee_overflow 0
		.amdhsa_exception_fp_ieee_underflow 0
		.amdhsa_exception_fp_ieee_inexact 0
		.amdhsa_exception_int_div_zero 0
	.end_amdhsa_kernel
	.section	.text._ZN7rocprim17ROCPRIM_400000_NS6detail17trampoline_kernelINS0_14default_configENS1_38merge_sort_block_merge_config_selectorIiNS0_10empty_typeEEEZZNS1_27merge_sort_block_merge_implIS3_N6thrust23THRUST_200600_302600_NS10device_ptrIiEEPS5_jNS1_19radix_merge_compareILb0ELb1EiNS0_19identity_decomposerEEEEE10hipError_tT0_T1_T2_jT3_P12ihipStream_tbPNSt15iterator_traitsISH_E10value_typeEPNSN_ISI_E10value_typeEPSJ_NS1_7vsmem_tEENKUlT_SH_SI_SJ_E_clIPiSB_SC_SC_EESG_SW_SH_SI_SJ_EUlSW_E0_NS1_11comp_targetILNS1_3genE5ELNS1_11target_archE942ELNS1_3gpuE9ELNS1_3repE0EEENS1_38merge_mergepath_config_static_selectorELNS0_4arch9wavefront6targetE0EEEvSI_,"axG",@progbits,_ZN7rocprim17ROCPRIM_400000_NS6detail17trampoline_kernelINS0_14default_configENS1_38merge_sort_block_merge_config_selectorIiNS0_10empty_typeEEEZZNS1_27merge_sort_block_merge_implIS3_N6thrust23THRUST_200600_302600_NS10device_ptrIiEEPS5_jNS1_19radix_merge_compareILb0ELb1EiNS0_19identity_decomposerEEEEE10hipError_tT0_T1_T2_jT3_P12ihipStream_tbPNSt15iterator_traitsISH_E10value_typeEPNSN_ISI_E10value_typeEPSJ_NS1_7vsmem_tEENKUlT_SH_SI_SJ_E_clIPiSB_SC_SC_EESG_SW_SH_SI_SJ_EUlSW_E0_NS1_11comp_targetILNS1_3genE5ELNS1_11target_archE942ELNS1_3gpuE9ELNS1_3repE0EEENS1_38merge_mergepath_config_static_selectorELNS0_4arch9wavefront6targetE0EEEvSI_,comdat
.Lfunc_end1179:
	.size	_ZN7rocprim17ROCPRIM_400000_NS6detail17trampoline_kernelINS0_14default_configENS1_38merge_sort_block_merge_config_selectorIiNS0_10empty_typeEEEZZNS1_27merge_sort_block_merge_implIS3_N6thrust23THRUST_200600_302600_NS10device_ptrIiEEPS5_jNS1_19radix_merge_compareILb0ELb1EiNS0_19identity_decomposerEEEEE10hipError_tT0_T1_T2_jT3_P12ihipStream_tbPNSt15iterator_traitsISH_E10value_typeEPNSN_ISI_E10value_typeEPSJ_NS1_7vsmem_tEENKUlT_SH_SI_SJ_E_clIPiSB_SC_SC_EESG_SW_SH_SI_SJ_EUlSW_E0_NS1_11comp_targetILNS1_3genE5ELNS1_11target_archE942ELNS1_3gpuE9ELNS1_3repE0EEENS1_38merge_mergepath_config_static_selectorELNS0_4arch9wavefront6targetE0EEEvSI_, .Lfunc_end1179-_ZN7rocprim17ROCPRIM_400000_NS6detail17trampoline_kernelINS0_14default_configENS1_38merge_sort_block_merge_config_selectorIiNS0_10empty_typeEEEZZNS1_27merge_sort_block_merge_implIS3_N6thrust23THRUST_200600_302600_NS10device_ptrIiEEPS5_jNS1_19radix_merge_compareILb0ELb1EiNS0_19identity_decomposerEEEEE10hipError_tT0_T1_T2_jT3_P12ihipStream_tbPNSt15iterator_traitsISH_E10value_typeEPNSN_ISI_E10value_typeEPSJ_NS1_7vsmem_tEENKUlT_SH_SI_SJ_E_clIPiSB_SC_SC_EESG_SW_SH_SI_SJ_EUlSW_E0_NS1_11comp_targetILNS1_3genE5ELNS1_11target_archE942ELNS1_3gpuE9ELNS1_3repE0EEENS1_38merge_mergepath_config_static_selectorELNS0_4arch9wavefront6targetE0EEEvSI_
                                        ; -- End function
	.set _ZN7rocprim17ROCPRIM_400000_NS6detail17trampoline_kernelINS0_14default_configENS1_38merge_sort_block_merge_config_selectorIiNS0_10empty_typeEEEZZNS1_27merge_sort_block_merge_implIS3_N6thrust23THRUST_200600_302600_NS10device_ptrIiEEPS5_jNS1_19radix_merge_compareILb0ELb1EiNS0_19identity_decomposerEEEEE10hipError_tT0_T1_T2_jT3_P12ihipStream_tbPNSt15iterator_traitsISH_E10value_typeEPNSN_ISI_E10value_typeEPSJ_NS1_7vsmem_tEENKUlT_SH_SI_SJ_E_clIPiSB_SC_SC_EESG_SW_SH_SI_SJ_EUlSW_E0_NS1_11comp_targetILNS1_3genE5ELNS1_11target_archE942ELNS1_3gpuE9ELNS1_3repE0EEENS1_38merge_mergepath_config_static_selectorELNS0_4arch9wavefront6targetE0EEEvSI_.num_vgpr, 0
	.set _ZN7rocprim17ROCPRIM_400000_NS6detail17trampoline_kernelINS0_14default_configENS1_38merge_sort_block_merge_config_selectorIiNS0_10empty_typeEEEZZNS1_27merge_sort_block_merge_implIS3_N6thrust23THRUST_200600_302600_NS10device_ptrIiEEPS5_jNS1_19radix_merge_compareILb0ELb1EiNS0_19identity_decomposerEEEEE10hipError_tT0_T1_T2_jT3_P12ihipStream_tbPNSt15iterator_traitsISH_E10value_typeEPNSN_ISI_E10value_typeEPSJ_NS1_7vsmem_tEENKUlT_SH_SI_SJ_E_clIPiSB_SC_SC_EESG_SW_SH_SI_SJ_EUlSW_E0_NS1_11comp_targetILNS1_3genE5ELNS1_11target_archE942ELNS1_3gpuE9ELNS1_3repE0EEENS1_38merge_mergepath_config_static_selectorELNS0_4arch9wavefront6targetE0EEEvSI_.num_agpr, 0
	.set _ZN7rocprim17ROCPRIM_400000_NS6detail17trampoline_kernelINS0_14default_configENS1_38merge_sort_block_merge_config_selectorIiNS0_10empty_typeEEEZZNS1_27merge_sort_block_merge_implIS3_N6thrust23THRUST_200600_302600_NS10device_ptrIiEEPS5_jNS1_19radix_merge_compareILb0ELb1EiNS0_19identity_decomposerEEEEE10hipError_tT0_T1_T2_jT3_P12ihipStream_tbPNSt15iterator_traitsISH_E10value_typeEPNSN_ISI_E10value_typeEPSJ_NS1_7vsmem_tEENKUlT_SH_SI_SJ_E_clIPiSB_SC_SC_EESG_SW_SH_SI_SJ_EUlSW_E0_NS1_11comp_targetILNS1_3genE5ELNS1_11target_archE942ELNS1_3gpuE9ELNS1_3repE0EEENS1_38merge_mergepath_config_static_selectorELNS0_4arch9wavefront6targetE0EEEvSI_.numbered_sgpr, 0
	.set _ZN7rocprim17ROCPRIM_400000_NS6detail17trampoline_kernelINS0_14default_configENS1_38merge_sort_block_merge_config_selectorIiNS0_10empty_typeEEEZZNS1_27merge_sort_block_merge_implIS3_N6thrust23THRUST_200600_302600_NS10device_ptrIiEEPS5_jNS1_19radix_merge_compareILb0ELb1EiNS0_19identity_decomposerEEEEE10hipError_tT0_T1_T2_jT3_P12ihipStream_tbPNSt15iterator_traitsISH_E10value_typeEPNSN_ISI_E10value_typeEPSJ_NS1_7vsmem_tEENKUlT_SH_SI_SJ_E_clIPiSB_SC_SC_EESG_SW_SH_SI_SJ_EUlSW_E0_NS1_11comp_targetILNS1_3genE5ELNS1_11target_archE942ELNS1_3gpuE9ELNS1_3repE0EEENS1_38merge_mergepath_config_static_selectorELNS0_4arch9wavefront6targetE0EEEvSI_.num_named_barrier, 0
	.set _ZN7rocprim17ROCPRIM_400000_NS6detail17trampoline_kernelINS0_14default_configENS1_38merge_sort_block_merge_config_selectorIiNS0_10empty_typeEEEZZNS1_27merge_sort_block_merge_implIS3_N6thrust23THRUST_200600_302600_NS10device_ptrIiEEPS5_jNS1_19radix_merge_compareILb0ELb1EiNS0_19identity_decomposerEEEEE10hipError_tT0_T1_T2_jT3_P12ihipStream_tbPNSt15iterator_traitsISH_E10value_typeEPNSN_ISI_E10value_typeEPSJ_NS1_7vsmem_tEENKUlT_SH_SI_SJ_E_clIPiSB_SC_SC_EESG_SW_SH_SI_SJ_EUlSW_E0_NS1_11comp_targetILNS1_3genE5ELNS1_11target_archE942ELNS1_3gpuE9ELNS1_3repE0EEENS1_38merge_mergepath_config_static_selectorELNS0_4arch9wavefront6targetE0EEEvSI_.private_seg_size, 0
	.set _ZN7rocprim17ROCPRIM_400000_NS6detail17trampoline_kernelINS0_14default_configENS1_38merge_sort_block_merge_config_selectorIiNS0_10empty_typeEEEZZNS1_27merge_sort_block_merge_implIS3_N6thrust23THRUST_200600_302600_NS10device_ptrIiEEPS5_jNS1_19radix_merge_compareILb0ELb1EiNS0_19identity_decomposerEEEEE10hipError_tT0_T1_T2_jT3_P12ihipStream_tbPNSt15iterator_traitsISH_E10value_typeEPNSN_ISI_E10value_typeEPSJ_NS1_7vsmem_tEENKUlT_SH_SI_SJ_E_clIPiSB_SC_SC_EESG_SW_SH_SI_SJ_EUlSW_E0_NS1_11comp_targetILNS1_3genE5ELNS1_11target_archE942ELNS1_3gpuE9ELNS1_3repE0EEENS1_38merge_mergepath_config_static_selectorELNS0_4arch9wavefront6targetE0EEEvSI_.uses_vcc, 0
	.set _ZN7rocprim17ROCPRIM_400000_NS6detail17trampoline_kernelINS0_14default_configENS1_38merge_sort_block_merge_config_selectorIiNS0_10empty_typeEEEZZNS1_27merge_sort_block_merge_implIS3_N6thrust23THRUST_200600_302600_NS10device_ptrIiEEPS5_jNS1_19radix_merge_compareILb0ELb1EiNS0_19identity_decomposerEEEEE10hipError_tT0_T1_T2_jT3_P12ihipStream_tbPNSt15iterator_traitsISH_E10value_typeEPNSN_ISI_E10value_typeEPSJ_NS1_7vsmem_tEENKUlT_SH_SI_SJ_E_clIPiSB_SC_SC_EESG_SW_SH_SI_SJ_EUlSW_E0_NS1_11comp_targetILNS1_3genE5ELNS1_11target_archE942ELNS1_3gpuE9ELNS1_3repE0EEENS1_38merge_mergepath_config_static_selectorELNS0_4arch9wavefront6targetE0EEEvSI_.uses_flat_scratch, 0
	.set _ZN7rocprim17ROCPRIM_400000_NS6detail17trampoline_kernelINS0_14default_configENS1_38merge_sort_block_merge_config_selectorIiNS0_10empty_typeEEEZZNS1_27merge_sort_block_merge_implIS3_N6thrust23THRUST_200600_302600_NS10device_ptrIiEEPS5_jNS1_19radix_merge_compareILb0ELb1EiNS0_19identity_decomposerEEEEE10hipError_tT0_T1_T2_jT3_P12ihipStream_tbPNSt15iterator_traitsISH_E10value_typeEPNSN_ISI_E10value_typeEPSJ_NS1_7vsmem_tEENKUlT_SH_SI_SJ_E_clIPiSB_SC_SC_EESG_SW_SH_SI_SJ_EUlSW_E0_NS1_11comp_targetILNS1_3genE5ELNS1_11target_archE942ELNS1_3gpuE9ELNS1_3repE0EEENS1_38merge_mergepath_config_static_selectorELNS0_4arch9wavefront6targetE0EEEvSI_.has_dyn_sized_stack, 0
	.set _ZN7rocprim17ROCPRIM_400000_NS6detail17trampoline_kernelINS0_14default_configENS1_38merge_sort_block_merge_config_selectorIiNS0_10empty_typeEEEZZNS1_27merge_sort_block_merge_implIS3_N6thrust23THRUST_200600_302600_NS10device_ptrIiEEPS5_jNS1_19radix_merge_compareILb0ELb1EiNS0_19identity_decomposerEEEEE10hipError_tT0_T1_T2_jT3_P12ihipStream_tbPNSt15iterator_traitsISH_E10value_typeEPNSN_ISI_E10value_typeEPSJ_NS1_7vsmem_tEENKUlT_SH_SI_SJ_E_clIPiSB_SC_SC_EESG_SW_SH_SI_SJ_EUlSW_E0_NS1_11comp_targetILNS1_3genE5ELNS1_11target_archE942ELNS1_3gpuE9ELNS1_3repE0EEENS1_38merge_mergepath_config_static_selectorELNS0_4arch9wavefront6targetE0EEEvSI_.has_recursion, 0
	.set _ZN7rocprim17ROCPRIM_400000_NS6detail17trampoline_kernelINS0_14default_configENS1_38merge_sort_block_merge_config_selectorIiNS0_10empty_typeEEEZZNS1_27merge_sort_block_merge_implIS3_N6thrust23THRUST_200600_302600_NS10device_ptrIiEEPS5_jNS1_19radix_merge_compareILb0ELb1EiNS0_19identity_decomposerEEEEE10hipError_tT0_T1_T2_jT3_P12ihipStream_tbPNSt15iterator_traitsISH_E10value_typeEPNSN_ISI_E10value_typeEPSJ_NS1_7vsmem_tEENKUlT_SH_SI_SJ_E_clIPiSB_SC_SC_EESG_SW_SH_SI_SJ_EUlSW_E0_NS1_11comp_targetILNS1_3genE5ELNS1_11target_archE942ELNS1_3gpuE9ELNS1_3repE0EEENS1_38merge_mergepath_config_static_selectorELNS0_4arch9wavefront6targetE0EEEvSI_.has_indirect_call, 0
	.section	.AMDGPU.csdata,"",@progbits
; Kernel info:
; codeLenInByte = 0
; TotalNumSgprs: 0
; NumVgprs: 0
; ScratchSize: 0
; MemoryBound: 0
; FloatMode: 240
; IeeeMode: 1
; LDSByteSize: 0 bytes/workgroup (compile time only)
; SGPRBlocks: 0
; VGPRBlocks: 0
; NumSGPRsForWavesPerEU: 1
; NumVGPRsForWavesPerEU: 1
; Occupancy: 16
; WaveLimiterHint : 0
; COMPUTE_PGM_RSRC2:SCRATCH_EN: 0
; COMPUTE_PGM_RSRC2:USER_SGPR: 6
; COMPUTE_PGM_RSRC2:TRAP_HANDLER: 0
; COMPUTE_PGM_RSRC2:TGID_X_EN: 1
; COMPUTE_PGM_RSRC2:TGID_Y_EN: 0
; COMPUTE_PGM_RSRC2:TGID_Z_EN: 0
; COMPUTE_PGM_RSRC2:TIDIG_COMP_CNT: 0
	.section	.text._ZN7rocprim17ROCPRIM_400000_NS6detail17trampoline_kernelINS0_14default_configENS1_38merge_sort_block_merge_config_selectorIiNS0_10empty_typeEEEZZNS1_27merge_sort_block_merge_implIS3_N6thrust23THRUST_200600_302600_NS10device_ptrIiEEPS5_jNS1_19radix_merge_compareILb0ELb1EiNS0_19identity_decomposerEEEEE10hipError_tT0_T1_T2_jT3_P12ihipStream_tbPNSt15iterator_traitsISH_E10value_typeEPNSN_ISI_E10value_typeEPSJ_NS1_7vsmem_tEENKUlT_SH_SI_SJ_E_clIPiSB_SC_SC_EESG_SW_SH_SI_SJ_EUlSW_E0_NS1_11comp_targetILNS1_3genE4ELNS1_11target_archE910ELNS1_3gpuE8ELNS1_3repE0EEENS1_38merge_mergepath_config_static_selectorELNS0_4arch9wavefront6targetE0EEEvSI_,"axG",@progbits,_ZN7rocprim17ROCPRIM_400000_NS6detail17trampoline_kernelINS0_14default_configENS1_38merge_sort_block_merge_config_selectorIiNS0_10empty_typeEEEZZNS1_27merge_sort_block_merge_implIS3_N6thrust23THRUST_200600_302600_NS10device_ptrIiEEPS5_jNS1_19radix_merge_compareILb0ELb1EiNS0_19identity_decomposerEEEEE10hipError_tT0_T1_T2_jT3_P12ihipStream_tbPNSt15iterator_traitsISH_E10value_typeEPNSN_ISI_E10value_typeEPSJ_NS1_7vsmem_tEENKUlT_SH_SI_SJ_E_clIPiSB_SC_SC_EESG_SW_SH_SI_SJ_EUlSW_E0_NS1_11comp_targetILNS1_3genE4ELNS1_11target_archE910ELNS1_3gpuE8ELNS1_3repE0EEENS1_38merge_mergepath_config_static_selectorELNS0_4arch9wavefront6targetE0EEEvSI_,comdat
	.protected	_ZN7rocprim17ROCPRIM_400000_NS6detail17trampoline_kernelINS0_14default_configENS1_38merge_sort_block_merge_config_selectorIiNS0_10empty_typeEEEZZNS1_27merge_sort_block_merge_implIS3_N6thrust23THRUST_200600_302600_NS10device_ptrIiEEPS5_jNS1_19radix_merge_compareILb0ELb1EiNS0_19identity_decomposerEEEEE10hipError_tT0_T1_T2_jT3_P12ihipStream_tbPNSt15iterator_traitsISH_E10value_typeEPNSN_ISI_E10value_typeEPSJ_NS1_7vsmem_tEENKUlT_SH_SI_SJ_E_clIPiSB_SC_SC_EESG_SW_SH_SI_SJ_EUlSW_E0_NS1_11comp_targetILNS1_3genE4ELNS1_11target_archE910ELNS1_3gpuE8ELNS1_3repE0EEENS1_38merge_mergepath_config_static_selectorELNS0_4arch9wavefront6targetE0EEEvSI_ ; -- Begin function _ZN7rocprim17ROCPRIM_400000_NS6detail17trampoline_kernelINS0_14default_configENS1_38merge_sort_block_merge_config_selectorIiNS0_10empty_typeEEEZZNS1_27merge_sort_block_merge_implIS3_N6thrust23THRUST_200600_302600_NS10device_ptrIiEEPS5_jNS1_19radix_merge_compareILb0ELb1EiNS0_19identity_decomposerEEEEE10hipError_tT0_T1_T2_jT3_P12ihipStream_tbPNSt15iterator_traitsISH_E10value_typeEPNSN_ISI_E10value_typeEPSJ_NS1_7vsmem_tEENKUlT_SH_SI_SJ_E_clIPiSB_SC_SC_EESG_SW_SH_SI_SJ_EUlSW_E0_NS1_11comp_targetILNS1_3genE4ELNS1_11target_archE910ELNS1_3gpuE8ELNS1_3repE0EEENS1_38merge_mergepath_config_static_selectorELNS0_4arch9wavefront6targetE0EEEvSI_
	.globl	_ZN7rocprim17ROCPRIM_400000_NS6detail17trampoline_kernelINS0_14default_configENS1_38merge_sort_block_merge_config_selectorIiNS0_10empty_typeEEEZZNS1_27merge_sort_block_merge_implIS3_N6thrust23THRUST_200600_302600_NS10device_ptrIiEEPS5_jNS1_19radix_merge_compareILb0ELb1EiNS0_19identity_decomposerEEEEE10hipError_tT0_T1_T2_jT3_P12ihipStream_tbPNSt15iterator_traitsISH_E10value_typeEPNSN_ISI_E10value_typeEPSJ_NS1_7vsmem_tEENKUlT_SH_SI_SJ_E_clIPiSB_SC_SC_EESG_SW_SH_SI_SJ_EUlSW_E0_NS1_11comp_targetILNS1_3genE4ELNS1_11target_archE910ELNS1_3gpuE8ELNS1_3repE0EEENS1_38merge_mergepath_config_static_selectorELNS0_4arch9wavefront6targetE0EEEvSI_
	.p2align	8
	.type	_ZN7rocprim17ROCPRIM_400000_NS6detail17trampoline_kernelINS0_14default_configENS1_38merge_sort_block_merge_config_selectorIiNS0_10empty_typeEEEZZNS1_27merge_sort_block_merge_implIS3_N6thrust23THRUST_200600_302600_NS10device_ptrIiEEPS5_jNS1_19radix_merge_compareILb0ELb1EiNS0_19identity_decomposerEEEEE10hipError_tT0_T1_T2_jT3_P12ihipStream_tbPNSt15iterator_traitsISH_E10value_typeEPNSN_ISI_E10value_typeEPSJ_NS1_7vsmem_tEENKUlT_SH_SI_SJ_E_clIPiSB_SC_SC_EESG_SW_SH_SI_SJ_EUlSW_E0_NS1_11comp_targetILNS1_3genE4ELNS1_11target_archE910ELNS1_3gpuE8ELNS1_3repE0EEENS1_38merge_mergepath_config_static_selectorELNS0_4arch9wavefront6targetE0EEEvSI_,@function
_ZN7rocprim17ROCPRIM_400000_NS6detail17trampoline_kernelINS0_14default_configENS1_38merge_sort_block_merge_config_selectorIiNS0_10empty_typeEEEZZNS1_27merge_sort_block_merge_implIS3_N6thrust23THRUST_200600_302600_NS10device_ptrIiEEPS5_jNS1_19radix_merge_compareILb0ELb1EiNS0_19identity_decomposerEEEEE10hipError_tT0_T1_T2_jT3_P12ihipStream_tbPNSt15iterator_traitsISH_E10value_typeEPNSN_ISI_E10value_typeEPSJ_NS1_7vsmem_tEENKUlT_SH_SI_SJ_E_clIPiSB_SC_SC_EESG_SW_SH_SI_SJ_EUlSW_E0_NS1_11comp_targetILNS1_3genE4ELNS1_11target_archE910ELNS1_3gpuE8ELNS1_3repE0EEENS1_38merge_mergepath_config_static_selectorELNS0_4arch9wavefront6targetE0EEEvSI_: ; @_ZN7rocprim17ROCPRIM_400000_NS6detail17trampoline_kernelINS0_14default_configENS1_38merge_sort_block_merge_config_selectorIiNS0_10empty_typeEEEZZNS1_27merge_sort_block_merge_implIS3_N6thrust23THRUST_200600_302600_NS10device_ptrIiEEPS5_jNS1_19radix_merge_compareILb0ELb1EiNS0_19identity_decomposerEEEEE10hipError_tT0_T1_T2_jT3_P12ihipStream_tbPNSt15iterator_traitsISH_E10value_typeEPNSN_ISI_E10value_typeEPSJ_NS1_7vsmem_tEENKUlT_SH_SI_SJ_E_clIPiSB_SC_SC_EESG_SW_SH_SI_SJ_EUlSW_E0_NS1_11comp_targetILNS1_3genE4ELNS1_11target_archE910ELNS1_3gpuE8ELNS1_3repE0EEENS1_38merge_mergepath_config_static_selectorELNS0_4arch9wavefront6targetE0EEEvSI_
; %bb.0:
	.section	.rodata,"a",@progbits
	.p2align	6, 0x0
	.amdhsa_kernel _ZN7rocprim17ROCPRIM_400000_NS6detail17trampoline_kernelINS0_14default_configENS1_38merge_sort_block_merge_config_selectorIiNS0_10empty_typeEEEZZNS1_27merge_sort_block_merge_implIS3_N6thrust23THRUST_200600_302600_NS10device_ptrIiEEPS5_jNS1_19radix_merge_compareILb0ELb1EiNS0_19identity_decomposerEEEEE10hipError_tT0_T1_T2_jT3_P12ihipStream_tbPNSt15iterator_traitsISH_E10value_typeEPNSN_ISI_E10value_typeEPSJ_NS1_7vsmem_tEENKUlT_SH_SI_SJ_E_clIPiSB_SC_SC_EESG_SW_SH_SI_SJ_EUlSW_E0_NS1_11comp_targetILNS1_3genE4ELNS1_11target_archE910ELNS1_3gpuE8ELNS1_3repE0EEENS1_38merge_mergepath_config_static_selectorELNS0_4arch9wavefront6targetE0EEEvSI_
		.amdhsa_group_segment_fixed_size 0
		.amdhsa_private_segment_fixed_size 0
		.amdhsa_kernarg_size 64
		.amdhsa_user_sgpr_count 6
		.amdhsa_user_sgpr_private_segment_buffer 1
		.amdhsa_user_sgpr_dispatch_ptr 0
		.amdhsa_user_sgpr_queue_ptr 0
		.amdhsa_user_sgpr_kernarg_segment_ptr 1
		.amdhsa_user_sgpr_dispatch_id 0
		.amdhsa_user_sgpr_flat_scratch_init 0
		.amdhsa_user_sgpr_private_segment_size 0
		.amdhsa_wavefront_size32 1
		.amdhsa_uses_dynamic_stack 0
		.amdhsa_system_sgpr_private_segment_wavefront_offset 0
		.amdhsa_system_sgpr_workgroup_id_x 1
		.amdhsa_system_sgpr_workgroup_id_y 0
		.amdhsa_system_sgpr_workgroup_id_z 0
		.amdhsa_system_sgpr_workgroup_info 0
		.amdhsa_system_vgpr_workitem_id 0
		.amdhsa_next_free_vgpr 1
		.amdhsa_next_free_sgpr 1
		.amdhsa_reserve_vcc 0
		.amdhsa_reserve_flat_scratch 0
		.amdhsa_float_round_mode_32 0
		.amdhsa_float_round_mode_16_64 0
		.amdhsa_float_denorm_mode_32 3
		.amdhsa_float_denorm_mode_16_64 3
		.amdhsa_dx10_clamp 1
		.amdhsa_ieee_mode 1
		.amdhsa_fp16_overflow 0
		.amdhsa_workgroup_processor_mode 1
		.amdhsa_memory_ordered 1
		.amdhsa_forward_progress 1
		.amdhsa_shared_vgpr_count 0
		.amdhsa_exception_fp_ieee_invalid_op 0
		.amdhsa_exception_fp_denorm_src 0
		.amdhsa_exception_fp_ieee_div_zero 0
		.amdhsa_exception_fp_ieee_overflow 0
		.amdhsa_exception_fp_ieee_underflow 0
		.amdhsa_exception_fp_ieee_inexact 0
		.amdhsa_exception_int_div_zero 0
	.end_amdhsa_kernel
	.section	.text._ZN7rocprim17ROCPRIM_400000_NS6detail17trampoline_kernelINS0_14default_configENS1_38merge_sort_block_merge_config_selectorIiNS0_10empty_typeEEEZZNS1_27merge_sort_block_merge_implIS3_N6thrust23THRUST_200600_302600_NS10device_ptrIiEEPS5_jNS1_19radix_merge_compareILb0ELb1EiNS0_19identity_decomposerEEEEE10hipError_tT0_T1_T2_jT3_P12ihipStream_tbPNSt15iterator_traitsISH_E10value_typeEPNSN_ISI_E10value_typeEPSJ_NS1_7vsmem_tEENKUlT_SH_SI_SJ_E_clIPiSB_SC_SC_EESG_SW_SH_SI_SJ_EUlSW_E0_NS1_11comp_targetILNS1_3genE4ELNS1_11target_archE910ELNS1_3gpuE8ELNS1_3repE0EEENS1_38merge_mergepath_config_static_selectorELNS0_4arch9wavefront6targetE0EEEvSI_,"axG",@progbits,_ZN7rocprim17ROCPRIM_400000_NS6detail17trampoline_kernelINS0_14default_configENS1_38merge_sort_block_merge_config_selectorIiNS0_10empty_typeEEEZZNS1_27merge_sort_block_merge_implIS3_N6thrust23THRUST_200600_302600_NS10device_ptrIiEEPS5_jNS1_19radix_merge_compareILb0ELb1EiNS0_19identity_decomposerEEEEE10hipError_tT0_T1_T2_jT3_P12ihipStream_tbPNSt15iterator_traitsISH_E10value_typeEPNSN_ISI_E10value_typeEPSJ_NS1_7vsmem_tEENKUlT_SH_SI_SJ_E_clIPiSB_SC_SC_EESG_SW_SH_SI_SJ_EUlSW_E0_NS1_11comp_targetILNS1_3genE4ELNS1_11target_archE910ELNS1_3gpuE8ELNS1_3repE0EEENS1_38merge_mergepath_config_static_selectorELNS0_4arch9wavefront6targetE0EEEvSI_,comdat
.Lfunc_end1180:
	.size	_ZN7rocprim17ROCPRIM_400000_NS6detail17trampoline_kernelINS0_14default_configENS1_38merge_sort_block_merge_config_selectorIiNS0_10empty_typeEEEZZNS1_27merge_sort_block_merge_implIS3_N6thrust23THRUST_200600_302600_NS10device_ptrIiEEPS5_jNS1_19radix_merge_compareILb0ELb1EiNS0_19identity_decomposerEEEEE10hipError_tT0_T1_T2_jT3_P12ihipStream_tbPNSt15iterator_traitsISH_E10value_typeEPNSN_ISI_E10value_typeEPSJ_NS1_7vsmem_tEENKUlT_SH_SI_SJ_E_clIPiSB_SC_SC_EESG_SW_SH_SI_SJ_EUlSW_E0_NS1_11comp_targetILNS1_3genE4ELNS1_11target_archE910ELNS1_3gpuE8ELNS1_3repE0EEENS1_38merge_mergepath_config_static_selectorELNS0_4arch9wavefront6targetE0EEEvSI_, .Lfunc_end1180-_ZN7rocprim17ROCPRIM_400000_NS6detail17trampoline_kernelINS0_14default_configENS1_38merge_sort_block_merge_config_selectorIiNS0_10empty_typeEEEZZNS1_27merge_sort_block_merge_implIS3_N6thrust23THRUST_200600_302600_NS10device_ptrIiEEPS5_jNS1_19radix_merge_compareILb0ELb1EiNS0_19identity_decomposerEEEEE10hipError_tT0_T1_T2_jT3_P12ihipStream_tbPNSt15iterator_traitsISH_E10value_typeEPNSN_ISI_E10value_typeEPSJ_NS1_7vsmem_tEENKUlT_SH_SI_SJ_E_clIPiSB_SC_SC_EESG_SW_SH_SI_SJ_EUlSW_E0_NS1_11comp_targetILNS1_3genE4ELNS1_11target_archE910ELNS1_3gpuE8ELNS1_3repE0EEENS1_38merge_mergepath_config_static_selectorELNS0_4arch9wavefront6targetE0EEEvSI_
                                        ; -- End function
	.set _ZN7rocprim17ROCPRIM_400000_NS6detail17trampoline_kernelINS0_14default_configENS1_38merge_sort_block_merge_config_selectorIiNS0_10empty_typeEEEZZNS1_27merge_sort_block_merge_implIS3_N6thrust23THRUST_200600_302600_NS10device_ptrIiEEPS5_jNS1_19radix_merge_compareILb0ELb1EiNS0_19identity_decomposerEEEEE10hipError_tT0_T1_T2_jT3_P12ihipStream_tbPNSt15iterator_traitsISH_E10value_typeEPNSN_ISI_E10value_typeEPSJ_NS1_7vsmem_tEENKUlT_SH_SI_SJ_E_clIPiSB_SC_SC_EESG_SW_SH_SI_SJ_EUlSW_E0_NS1_11comp_targetILNS1_3genE4ELNS1_11target_archE910ELNS1_3gpuE8ELNS1_3repE0EEENS1_38merge_mergepath_config_static_selectorELNS0_4arch9wavefront6targetE0EEEvSI_.num_vgpr, 0
	.set _ZN7rocprim17ROCPRIM_400000_NS6detail17trampoline_kernelINS0_14default_configENS1_38merge_sort_block_merge_config_selectorIiNS0_10empty_typeEEEZZNS1_27merge_sort_block_merge_implIS3_N6thrust23THRUST_200600_302600_NS10device_ptrIiEEPS5_jNS1_19radix_merge_compareILb0ELb1EiNS0_19identity_decomposerEEEEE10hipError_tT0_T1_T2_jT3_P12ihipStream_tbPNSt15iterator_traitsISH_E10value_typeEPNSN_ISI_E10value_typeEPSJ_NS1_7vsmem_tEENKUlT_SH_SI_SJ_E_clIPiSB_SC_SC_EESG_SW_SH_SI_SJ_EUlSW_E0_NS1_11comp_targetILNS1_3genE4ELNS1_11target_archE910ELNS1_3gpuE8ELNS1_3repE0EEENS1_38merge_mergepath_config_static_selectorELNS0_4arch9wavefront6targetE0EEEvSI_.num_agpr, 0
	.set _ZN7rocprim17ROCPRIM_400000_NS6detail17trampoline_kernelINS0_14default_configENS1_38merge_sort_block_merge_config_selectorIiNS0_10empty_typeEEEZZNS1_27merge_sort_block_merge_implIS3_N6thrust23THRUST_200600_302600_NS10device_ptrIiEEPS5_jNS1_19radix_merge_compareILb0ELb1EiNS0_19identity_decomposerEEEEE10hipError_tT0_T1_T2_jT3_P12ihipStream_tbPNSt15iterator_traitsISH_E10value_typeEPNSN_ISI_E10value_typeEPSJ_NS1_7vsmem_tEENKUlT_SH_SI_SJ_E_clIPiSB_SC_SC_EESG_SW_SH_SI_SJ_EUlSW_E0_NS1_11comp_targetILNS1_3genE4ELNS1_11target_archE910ELNS1_3gpuE8ELNS1_3repE0EEENS1_38merge_mergepath_config_static_selectorELNS0_4arch9wavefront6targetE0EEEvSI_.numbered_sgpr, 0
	.set _ZN7rocprim17ROCPRIM_400000_NS6detail17trampoline_kernelINS0_14default_configENS1_38merge_sort_block_merge_config_selectorIiNS0_10empty_typeEEEZZNS1_27merge_sort_block_merge_implIS3_N6thrust23THRUST_200600_302600_NS10device_ptrIiEEPS5_jNS1_19radix_merge_compareILb0ELb1EiNS0_19identity_decomposerEEEEE10hipError_tT0_T1_T2_jT3_P12ihipStream_tbPNSt15iterator_traitsISH_E10value_typeEPNSN_ISI_E10value_typeEPSJ_NS1_7vsmem_tEENKUlT_SH_SI_SJ_E_clIPiSB_SC_SC_EESG_SW_SH_SI_SJ_EUlSW_E0_NS1_11comp_targetILNS1_3genE4ELNS1_11target_archE910ELNS1_3gpuE8ELNS1_3repE0EEENS1_38merge_mergepath_config_static_selectorELNS0_4arch9wavefront6targetE0EEEvSI_.num_named_barrier, 0
	.set _ZN7rocprim17ROCPRIM_400000_NS6detail17trampoline_kernelINS0_14default_configENS1_38merge_sort_block_merge_config_selectorIiNS0_10empty_typeEEEZZNS1_27merge_sort_block_merge_implIS3_N6thrust23THRUST_200600_302600_NS10device_ptrIiEEPS5_jNS1_19radix_merge_compareILb0ELb1EiNS0_19identity_decomposerEEEEE10hipError_tT0_T1_T2_jT3_P12ihipStream_tbPNSt15iterator_traitsISH_E10value_typeEPNSN_ISI_E10value_typeEPSJ_NS1_7vsmem_tEENKUlT_SH_SI_SJ_E_clIPiSB_SC_SC_EESG_SW_SH_SI_SJ_EUlSW_E0_NS1_11comp_targetILNS1_3genE4ELNS1_11target_archE910ELNS1_3gpuE8ELNS1_3repE0EEENS1_38merge_mergepath_config_static_selectorELNS0_4arch9wavefront6targetE0EEEvSI_.private_seg_size, 0
	.set _ZN7rocprim17ROCPRIM_400000_NS6detail17trampoline_kernelINS0_14default_configENS1_38merge_sort_block_merge_config_selectorIiNS0_10empty_typeEEEZZNS1_27merge_sort_block_merge_implIS3_N6thrust23THRUST_200600_302600_NS10device_ptrIiEEPS5_jNS1_19radix_merge_compareILb0ELb1EiNS0_19identity_decomposerEEEEE10hipError_tT0_T1_T2_jT3_P12ihipStream_tbPNSt15iterator_traitsISH_E10value_typeEPNSN_ISI_E10value_typeEPSJ_NS1_7vsmem_tEENKUlT_SH_SI_SJ_E_clIPiSB_SC_SC_EESG_SW_SH_SI_SJ_EUlSW_E0_NS1_11comp_targetILNS1_3genE4ELNS1_11target_archE910ELNS1_3gpuE8ELNS1_3repE0EEENS1_38merge_mergepath_config_static_selectorELNS0_4arch9wavefront6targetE0EEEvSI_.uses_vcc, 0
	.set _ZN7rocprim17ROCPRIM_400000_NS6detail17trampoline_kernelINS0_14default_configENS1_38merge_sort_block_merge_config_selectorIiNS0_10empty_typeEEEZZNS1_27merge_sort_block_merge_implIS3_N6thrust23THRUST_200600_302600_NS10device_ptrIiEEPS5_jNS1_19radix_merge_compareILb0ELb1EiNS0_19identity_decomposerEEEEE10hipError_tT0_T1_T2_jT3_P12ihipStream_tbPNSt15iterator_traitsISH_E10value_typeEPNSN_ISI_E10value_typeEPSJ_NS1_7vsmem_tEENKUlT_SH_SI_SJ_E_clIPiSB_SC_SC_EESG_SW_SH_SI_SJ_EUlSW_E0_NS1_11comp_targetILNS1_3genE4ELNS1_11target_archE910ELNS1_3gpuE8ELNS1_3repE0EEENS1_38merge_mergepath_config_static_selectorELNS0_4arch9wavefront6targetE0EEEvSI_.uses_flat_scratch, 0
	.set _ZN7rocprim17ROCPRIM_400000_NS6detail17trampoline_kernelINS0_14default_configENS1_38merge_sort_block_merge_config_selectorIiNS0_10empty_typeEEEZZNS1_27merge_sort_block_merge_implIS3_N6thrust23THRUST_200600_302600_NS10device_ptrIiEEPS5_jNS1_19radix_merge_compareILb0ELb1EiNS0_19identity_decomposerEEEEE10hipError_tT0_T1_T2_jT3_P12ihipStream_tbPNSt15iterator_traitsISH_E10value_typeEPNSN_ISI_E10value_typeEPSJ_NS1_7vsmem_tEENKUlT_SH_SI_SJ_E_clIPiSB_SC_SC_EESG_SW_SH_SI_SJ_EUlSW_E0_NS1_11comp_targetILNS1_3genE4ELNS1_11target_archE910ELNS1_3gpuE8ELNS1_3repE0EEENS1_38merge_mergepath_config_static_selectorELNS0_4arch9wavefront6targetE0EEEvSI_.has_dyn_sized_stack, 0
	.set _ZN7rocprim17ROCPRIM_400000_NS6detail17trampoline_kernelINS0_14default_configENS1_38merge_sort_block_merge_config_selectorIiNS0_10empty_typeEEEZZNS1_27merge_sort_block_merge_implIS3_N6thrust23THRUST_200600_302600_NS10device_ptrIiEEPS5_jNS1_19radix_merge_compareILb0ELb1EiNS0_19identity_decomposerEEEEE10hipError_tT0_T1_T2_jT3_P12ihipStream_tbPNSt15iterator_traitsISH_E10value_typeEPNSN_ISI_E10value_typeEPSJ_NS1_7vsmem_tEENKUlT_SH_SI_SJ_E_clIPiSB_SC_SC_EESG_SW_SH_SI_SJ_EUlSW_E0_NS1_11comp_targetILNS1_3genE4ELNS1_11target_archE910ELNS1_3gpuE8ELNS1_3repE0EEENS1_38merge_mergepath_config_static_selectorELNS0_4arch9wavefront6targetE0EEEvSI_.has_recursion, 0
	.set _ZN7rocprim17ROCPRIM_400000_NS6detail17trampoline_kernelINS0_14default_configENS1_38merge_sort_block_merge_config_selectorIiNS0_10empty_typeEEEZZNS1_27merge_sort_block_merge_implIS3_N6thrust23THRUST_200600_302600_NS10device_ptrIiEEPS5_jNS1_19radix_merge_compareILb0ELb1EiNS0_19identity_decomposerEEEEE10hipError_tT0_T1_T2_jT3_P12ihipStream_tbPNSt15iterator_traitsISH_E10value_typeEPNSN_ISI_E10value_typeEPSJ_NS1_7vsmem_tEENKUlT_SH_SI_SJ_E_clIPiSB_SC_SC_EESG_SW_SH_SI_SJ_EUlSW_E0_NS1_11comp_targetILNS1_3genE4ELNS1_11target_archE910ELNS1_3gpuE8ELNS1_3repE0EEENS1_38merge_mergepath_config_static_selectorELNS0_4arch9wavefront6targetE0EEEvSI_.has_indirect_call, 0
	.section	.AMDGPU.csdata,"",@progbits
; Kernel info:
; codeLenInByte = 0
; TotalNumSgprs: 0
; NumVgprs: 0
; ScratchSize: 0
; MemoryBound: 0
; FloatMode: 240
; IeeeMode: 1
; LDSByteSize: 0 bytes/workgroup (compile time only)
; SGPRBlocks: 0
; VGPRBlocks: 0
; NumSGPRsForWavesPerEU: 1
; NumVGPRsForWavesPerEU: 1
; Occupancy: 16
; WaveLimiterHint : 0
; COMPUTE_PGM_RSRC2:SCRATCH_EN: 0
; COMPUTE_PGM_RSRC2:USER_SGPR: 6
; COMPUTE_PGM_RSRC2:TRAP_HANDLER: 0
; COMPUTE_PGM_RSRC2:TGID_X_EN: 1
; COMPUTE_PGM_RSRC2:TGID_Y_EN: 0
; COMPUTE_PGM_RSRC2:TGID_Z_EN: 0
; COMPUTE_PGM_RSRC2:TIDIG_COMP_CNT: 0
	.section	.text._ZN7rocprim17ROCPRIM_400000_NS6detail17trampoline_kernelINS0_14default_configENS1_38merge_sort_block_merge_config_selectorIiNS0_10empty_typeEEEZZNS1_27merge_sort_block_merge_implIS3_N6thrust23THRUST_200600_302600_NS10device_ptrIiEEPS5_jNS1_19radix_merge_compareILb0ELb1EiNS0_19identity_decomposerEEEEE10hipError_tT0_T1_T2_jT3_P12ihipStream_tbPNSt15iterator_traitsISH_E10value_typeEPNSN_ISI_E10value_typeEPSJ_NS1_7vsmem_tEENKUlT_SH_SI_SJ_E_clIPiSB_SC_SC_EESG_SW_SH_SI_SJ_EUlSW_E0_NS1_11comp_targetILNS1_3genE3ELNS1_11target_archE908ELNS1_3gpuE7ELNS1_3repE0EEENS1_38merge_mergepath_config_static_selectorELNS0_4arch9wavefront6targetE0EEEvSI_,"axG",@progbits,_ZN7rocprim17ROCPRIM_400000_NS6detail17trampoline_kernelINS0_14default_configENS1_38merge_sort_block_merge_config_selectorIiNS0_10empty_typeEEEZZNS1_27merge_sort_block_merge_implIS3_N6thrust23THRUST_200600_302600_NS10device_ptrIiEEPS5_jNS1_19radix_merge_compareILb0ELb1EiNS0_19identity_decomposerEEEEE10hipError_tT0_T1_T2_jT3_P12ihipStream_tbPNSt15iterator_traitsISH_E10value_typeEPNSN_ISI_E10value_typeEPSJ_NS1_7vsmem_tEENKUlT_SH_SI_SJ_E_clIPiSB_SC_SC_EESG_SW_SH_SI_SJ_EUlSW_E0_NS1_11comp_targetILNS1_3genE3ELNS1_11target_archE908ELNS1_3gpuE7ELNS1_3repE0EEENS1_38merge_mergepath_config_static_selectorELNS0_4arch9wavefront6targetE0EEEvSI_,comdat
	.protected	_ZN7rocprim17ROCPRIM_400000_NS6detail17trampoline_kernelINS0_14default_configENS1_38merge_sort_block_merge_config_selectorIiNS0_10empty_typeEEEZZNS1_27merge_sort_block_merge_implIS3_N6thrust23THRUST_200600_302600_NS10device_ptrIiEEPS5_jNS1_19radix_merge_compareILb0ELb1EiNS0_19identity_decomposerEEEEE10hipError_tT0_T1_T2_jT3_P12ihipStream_tbPNSt15iterator_traitsISH_E10value_typeEPNSN_ISI_E10value_typeEPSJ_NS1_7vsmem_tEENKUlT_SH_SI_SJ_E_clIPiSB_SC_SC_EESG_SW_SH_SI_SJ_EUlSW_E0_NS1_11comp_targetILNS1_3genE3ELNS1_11target_archE908ELNS1_3gpuE7ELNS1_3repE0EEENS1_38merge_mergepath_config_static_selectorELNS0_4arch9wavefront6targetE0EEEvSI_ ; -- Begin function _ZN7rocprim17ROCPRIM_400000_NS6detail17trampoline_kernelINS0_14default_configENS1_38merge_sort_block_merge_config_selectorIiNS0_10empty_typeEEEZZNS1_27merge_sort_block_merge_implIS3_N6thrust23THRUST_200600_302600_NS10device_ptrIiEEPS5_jNS1_19radix_merge_compareILb0ELb1EiNS0_19identity_decomposerEEEEE10hipError_tT0_T1_T2_jT3_P12ihipStream_tbPNSt15iterator_traitsISH_E10value_typeEPNSN_ISI_E10value_typeEPSJ_NS1_7vsmem_tEENKUlT_SH_SI_SJ_E_clIPiSB_SC_SC_EESG_SW_SH_SI_SJ_EUlSW_E0_NS1_11comp_targetILNS1_3genE3ELNS1_11target_archE908ELNS1_3gpuE7ELNS1_3repE0EEENS1_38merge_mergepath_config_static_selectorELNS0_4arch9wavefront6targetE0EEEvSI_
	.globl	_ZN7rocprim17ROCPRIM_400000_NS6detail17trampoline_kernelINS0_14default_configENS1_38merge_sort_block_merge_config_selectorIiNS0_10empty_typeEEEZZNS1_27merge_sort_block_merge_implIS3_N6thrust23THRUST_200600_302600_NS10device_ptrIiEEPS5_jNS1_19radix_merge_compareILb0ELb1EiNS0_19identity_decomposerEEEEE10hipError_tT0_T1_T2_jT3_P12ihipStream_tbPNSt15iterator_traitsISH_E10value_typeEPNSN_ISI_E10value_typeEPSJ_NS1_7vsmem_tEENKUlT_SH_SI_SJ_E_clIPiSB_SC_SC_EESG_SW_SH_SI_SJ_EUlSW_E0_NS1_11comp_targetILNS1_3genE3ELNS1_11target_archE908ELNS1_3gpuE7ELNS1_3repE0EEENS1_38merge_mergepath_config_static_selectorELNS0_4arch9wavefront6targetE0EEEvSI_
	.p2align	8
	.type	_ZN7rocprim17ROCPRIM_400000_NS6detail17trampoline_kernelINS0_14default_configENS1_38merge_sort_block_merge_config_selectorIiNS0_10empty_typeEEEZZNS1_27merge_sort_block_merge_implIS3_N6thrust23THRUST_200600_302600_NS10device_ptrIiEEPS5_jNS1_19radix_merge_compareILb0ELb1EiNS0_19identity_decomposerEEEEE10hipError_tT0_T1_T2_jT3_P12ihipStream_tbPNSt15iterator_traitsISH_E10value_typeEPNSN_ISI_E10value_typeEPSJ_NS1_7vsmem_tEENKUlT_SH_SI_SJ_E_clIPiSB_SC_SC_EESG_SW_SH_SI_SJ_EUlSW_E0_NS1_11comp_targetILNS1_3genE3ELNS1_11target_archE908ELNS1_3gpuE7ELNS1_3repE0EEENS1_38merge_mergepath_config_static_selectorELNS0_4arch9wavefront6targetE0EEEvSI_,@function
_ZN7rocprim17ROCPRIM_400000_NS6detail17trampoline_kernelINS0_14default_configENS1_38merge_sort_block_merge_config_selectorIiNS0_10empty_typeEEEZZNS1_27merge_sort_block_merge_implIS3_N6thrust23THRUST_200600_302600_NS10device_ptrIiEEPS5_jNS1_19radix_merge_compareILb0ELb1EiNS0_19identity_decomposerEEEEE10hipError_tT0_T1_T2_jT3_P12ihipStream_tbPNSt15iterator_traitsISH_E10value_typeEPNSN_ISI_E10value_typeEPSJ_NS1_7vsmem_tEENKUlT_SH_SI_SJ_E_clIPiSB_SC_SC_EESG_SW_SH_SI_SJ_EUlSW_E0_NS1_11comp_targetILNS1_3genE3ELNS1_11target_archE908ELNS1_3gpuE7ELNS1_3repE0EEENS1_38merge_mergepath_config_static_selectorELNS0_4arch9wavefront6targetE0EEEvSI_: ; @_ZN7rocprim17ROCPRIM_400000_NS6detail17trampoline_kernelINS0_14default_configENS1_38merge_sort_block_merge_config_selectorIiNS0_10empty_typeEEEZZNS1_27merge_sort_block_merge_implIS3_N6thrust23THRUST_200600_302600_NS10device_ptrIiEEPS5_jNS1_19radix_merge_compareILb0ELb1EiNS0_19identity_decomposerEEEEE10hipError_tT0_T1_T2_jT3_P12ihipStream_tbPNSt15iterator_traitsISH_E10value_typeEPNSN_ISI_E10value_typeEPSJ_NS1_7vsmem_tEENKUlT_SH_SI_SJ_E_clIPiSB_SC_SC_EESG_SW_SH_SI_SJ_EUlSW_E0_NS1_11comp_targetILNS1_3genE3ELNS1_11target_archE908ELNS1_3gpuE7ELNS1_3repE0EEENS1_38merge_mergepath_config_static_selectorELNS0_4arch9wavefront6targetE0EEEvSI_
; %bb.0:
	.section	.rodata,"a",@progbits
	.p2align	6, 0x0
	.amdhsa_kernel _ZN7rocprim17ROCPRIM_400000_NS6detail17trampoline_kernelINS0_14default_configENS1_38merge_sort_block_merge_config_selectorIiNS0_10empty_typeEEEZZNS1_27merge_sort_block_merge_implIS3_N6thrust23THRUST_200600_302600_NS10device_ptrIiEEPS5_jNS1_19radix_merge_compareILb0ELb1EiNS0_19identity_decomposerEEEEE10hipError_tT0_T1_T2_jT3_P12ihipStream_tbPNSt15iterator_traitsISH_E10value_typeEPNSN_ISI_E10value_typeEPSJ_NS1_7vsmem_tEENKUlT_SH_SI_SJ_E_clIPiSB_SC_SC_EESG_SW_SH_SI_SJ_EUlSW_E0_NS1_11comp_targetILNS1_3genE3ELNS1_11target_archE908ELNS1_3gpuE7ELNS1_3repE0EEENS1_38merge_mergepath_config_static_selectorELNS0_4arch9wavefront6targetE0EEEvSI_
		.amdhsa_group_segment_fixed_size 0
		.amdhsa_private_segment_fixed_size 0
		.amdhsa_kernarg_size 64
		.amdhsa_user_sgpr_count 6
		.amdhsa_user_sgpr_private_segment_buffer 1
		.amdhsa_user_sgpr_dispatch_ptr 0
		.amdhsa_user_sgpr_queue_ptr 0
		.amdhsa_user_sgpr_kernarg_segment_ptr 1
		.amdhsa_user_sgpr_dispatch_id 0
		.amdhsa_user_sgpr_flat_scratch_init 0
		.amdhsa_user_sgpr_private_segment_size 0
		.amdhsa_wavefront_size32 1
		.amdhsa_uses_dynamic_stack 0
		.amdhsa_system_sgpr_private_segment_wavefront_offset 0
		.amdhsa_system_sgpr_workgroup_id_x 1
		.amdhsa_system_sgpr_workgroup_id_y 0
		.amdhsa_system_sgpr_workgroup_id_z 0
		.amdhsa_system_sgpr_workgroup_info 0
		.amdhsa_system_vgpr_workitem_id 0
		.amdhsa_next_free_vgpr 1
		.amdhsa_next_free_sgpr 1
		.amdhsa_reserve_vcc 0
		.amdhsa_reserve_flat_scratch 0
		.amdhsa_float_round_mode_32 0
		.amdhsa_float_round_mode_16_64 0
		.amdhsa_float_denorm_mode_32 3
		.amdhsa_float_denorm_mode_16_64 3
		.amdhsa_dx10_clamp 1
		.amdhsa_ieee_mode 1
		.amdhsa_fp16_overflow 0
		.amdhsa_workgroup_processor_mode 1
		.amdhsa_memory_ordered 1
		.amdhsa_forward_progress 1
		.amdhsa_shared_vgpr_count 0
		.amdhsa_exception_fp_ieee_invalid_op 0
		.amdhsa_exception_fp_denorm_src 0
		.amdhsa_exception_fp_ieee_div_zero 0
		.amdhsa_exception_fp_ieee_overflow 0
		.amdhsa_exception_fp_ieee_underflow 0
		.amdhsa_exception_fp_ieee_inexact 0
		.amdhsa_exception_int_div_zero 0
	.end_amdhsa_kernel
	.section	.text._ZN7rocprim17ROCPRIM_400000_NS6detail17trampoline_kernelINS0_14default_configENS1_38merge_sort_block_merge_config_selectorIiNS0_10empty_typeEEEZZNS1_27merge_sort_block_merge_implIS3_N6thrust23THRUST_200600_302600_NS10device_ptrIiEEPS5_jNS1_19radix_merge_compareILb0ELb1EiNS0_19identity_decomposerEEEEE10hipError_tT0_T1_T2_jT3_P12ihipStream_tbPNSt15iterator_traitsISH_E10value_typeEPNSN_ISI_E10value_typeEPSJ_NS1_7vsmem_tEENKUlT_SH_SI_SJ_E_clIPiSB_SC_SC_EESG_SW_SH_SI_SJ_EUlSW_E0_NS1_11comp_targetILNS1_3genE3ELNS1_11target_archE908ELNS1_3gpuE7ELNS1_3repE0EEENS1_38merge_mergepath_config_static_selectorELNS0_4arch9wavefront6targetE0EEEvSI_,"axG",@progbits,_ZN7rocprim17ROCPRIM_400000_NS6detail17trampoline_kernelINS0_14default_configENS1_38merge_sort_block_merge_config_selectorIiNS0_10empty_typeEEEZZNS1_27merge_sort_block_merge_implIS3_N6thrust23THRUST_200600_302600_NS10device_ptrIiEEPS5_jNS1_19radix_merge_compareILb0ELb1EiNS0_19identity_decomposerEEEEE10hipError_tT0_T1_T2_jT3_P12ihipStream_tbPNSt15iterator_traitsISH_E10value_typeEPNSN_ISI_E10value_typeEPSJ_NS1_7vsmem_tEENKUlT_SH_SI_SJ_E_clIPiSB_SC_SC_EESG_SW_SH_SI_SJ_EUlSW_E0_NS1_11comp_targetILNS1_3genE3ELNS1_11target_archE908ELNS1_3gpuE7ELNS1_3repE0EEENS1_38merge_mergepath_config_static_selectorELNS0_4arch9wavefront6targetE0EEEvSI_,comdat
.Lfunc_end1181:
	.size	_ZN7rocprim17ROCPRIM_400000_NS6detail17trampoline_kernelINS0_14default_configENS1_38merge_sort_block_merge_config_selectorIiNS0_10empty_typeEEEZZNS1_27merge_sort_block_merge_implIS3_N6thrust23THRUST_200600_302600_NS10device_ptrIiEEPS5_jNS1_19radix_merge_compareILb0ELb1EiNS0_19identity_decomposerEEEEE10hipError_tT0_T1_T2_jT3_P12ihipStream_tbPNSt15iterator_traitsISH_E10value_typeEPNSN_ISI_E10value_typeEPSJ_NS1_7vsmem_tEENKUlT_SH_SI_SJ_E_clIPiSB_SC_SC_EESG_SW_SH_SI_SJ_EUlSW_E0_NS1_11comp_targetILNS1_3genE3ELNS1_11target_archE908ELNS1_3gpuE7ELNS1_3repE0EEENS1_38merge_mergepath_config_static_selectorELNS0_4arch9wavefront6targetE0EEEvSI_, .Lfunc_end1181-_ZN7rocprim17ROCPRIM_400000_NS6detail17trampoline_kernelINS0_14default_configENS1_38merge_sort_block_merge_config_selectorIiNS0_10empty_typeEEEZZNS1_27merge_sort_block_merge_implIS3_N6thrust23THRUST_200600_302600_NS10device_ptrIiEEPS5_jNS1_19radix_merge_compareILb0ELb1EiNS0_19identity_decomposerEEEEE10hipError_tT0_T1_T2_jT3_P12ihipStream_tbPNSt15iterator_traitsISH_E10value_typeEPNSN_ISI_E10value_typeEPSJ_NS1_7vsmem_tEENKUlT_SH_SI_SJ_E_clIPiSB_SC_SC_EESG_SW_SH_SI_SJ_EUlSW_E0_NS1_11comp_targetILNS1_3genE3ELNS1_11target_archE908ELNS1_3gpuE7ELNS1_3repE0EEENS1_38merge_mergepath_config_static_selectorELNS0_4arch9wavefront6targetE0EEEvSI_
                                        ; -- End function
	.set _ZN7rocprim17ROCPRIM_400000_NS6detail17trampoline_kernelINS0_14default_configENS1_38merge_sort_block_merge_config_selectorIiNS0_10empty_typeEEEZZNS1_27merge_sort_block_merge_implIS3_N6thrust23THRUST_200600_302600_NS10device_ptrIiEEPS5_jNS1_19radix_merge_compareILb0ELb1EiNS0_19identity_decomposerEEEEE10hipError_tT0_T1_T2_jT3_P12ihipStream_tbPNSt15iterator_traitsISH_E10value_typeEPNSN_ISI_E10value_typeEPSJ_NS1_7vsmem_tEENKUlT_SH_SI_SJ_E_clIPiSB_SC_SC_EESG_SW_SH_SI_SJ_EUlSW_E0_NS1_11comp_targetILNS1_3genE3ELNS1_11target_archE908ELNS1_3gpuE7ELNS1_3repE0EEENS1_38merge_mergepath_config_static_selectorELNS0_4arch9wavefront6targetE0EEEvSI_.num_vgpr, 0
	.set _ZN7rocprim17ROCPRIM_400000_NS6detail17trampoline_kernelINS0_14default_configENS1_38merge_sort_block_merge_config_selectorIiNS0_10empty_typeEEEZZNS1_27merge_sort_block_merge_implIS3_N6thrust23THRUST_200600_302600_NS10device_ptrIiEEPS5_jNS1_19radix_merge_compareILb0ELb1EiNS0_19identity_decomposerEEEEE10hipError_tT0_T1_T2_jT3_P12ihipStream_tbPNSt15iterator_traitsISH_E10value_typeEPNSN_ISI_E10value_typeEPSJ_NS1_7vsmem_tEENKUlT_SH_SI_SJ_E_clIPiSB_SC_SC_EESG_SW_SH_SI_SJ_EUlSW_E0_NS1_11comp_targetILNS1_3genE3ELNS1_11target_archE908ELNS1_3gpuE7ELNS1_3repE0EEENS1_38merge_mergepath_config_static_selectorELNS0_4arch9wavefront6targetE0EEEvSI_.num_agpr, 0
	.set _ZN7rocprim17ROCPRIM_400000_NS6detail17trampoline_kernelINS0_14default_configENS1_38merge_sort_block_merge_config_selectorIiNS0_10empty_typeEEEZZNS1_27merge_sort_block_merge_implIS3_N6thrust23THRUST_200600_302600_NS10device_ptrIiEEPS5_jNS1_19radix_merge_compareILb0ELb1EiNS0_19identity_decomposerEEEEE10hipError_tT0_T1_T2_jT3_P12ihipStream_tbPNSt15iterator_traitsISH_E10value_typeEPNSN_ISI_E10value_typeEPSJ_NS1_7vsmem_tEENKUlT_SH_SI_SJ_E_clIPiSB_SC_SC_EESG_SW_SH_SI_SJ_EUlSW_E0_NS1_11comp_targetILNS1_3genE3ELNS1_11target_archE908ELNS1_3gpuE7ELNS1_3repE0EEENS1_38merge_mergepath_config_static_selectorELNS0_4arch9wavefront6targetE0EEEvSI_.numbered_sgpr, 0
	.set _ZN7rocprim17ROCPRIM_400000_NS6detail17trampoline_kernelINS0_14default_configENS1_38merge_sort_block_merge_config_selectorIiNS0_10empty_typeEEEZZNS1_27merge_sort_block_merge_implIS3_N6thrust23THRUST_200600_302600_NS10device_ptrIiEEPS5_jNS1_19radix_merge_compareILb0ELb1EiNS0_19identity_decomposerEEEEE10hipError_tT0_T1_T2_jT3_P12ihipStream_tbPNSt15iterator_traitsISH_E10value_typeEPNSN_ISI_E10value_typeEPSJ_NS1_7vsmem_tEENKUlT_SH_SI_SJ_E_clIPiSB_SC_SC_EESG_SW_SH_SI_SJ_EUlSW_E0_NS1_11comp_targetILNS1_3genE3ELNS1_11target_archE908ELNS1_3gpuE7ELNS1_3repE0EEENS1_38merge_mergepath_config_static_selectorELNS0_4arch9wavefront6targetE0EEEvSI_.num_named_barrier, 0
	.set _ZN7rocprim17ROCPRIM_400000_NS6detail17trampoline_kernelINS0_14default_configENS1_38merge_sort_block_merge_config_selectorIiNS0_10empty_typeEEEZZNS1_27merge_sort_block_merge_implIS3_N6thrust23THRUST_200600_302600_NS10device_ptrIiEEPS5_jNS1_19radix_merge_compareILb0ELb1EiNS0_19identity_decomposerEEEEE10hipError_tT0_T1_T2_jT3_P12ihipStream_tbPNSt15iterator_traitsISH_E10value_typeEPNSN_ISI_E10value_typeEPSJ_NS1_7vsmem_tEENKUlT_SH_SI_SJ_E_clIPiSB_SC_SC_EESG_SW_SH_SI_SJ_EUlSW_E0_NS1_11comp_targetILNS1_3genE3ELNS1_11target_archE908ELNS1_3gpuE7ELNS1_3repE0EEENS1_38merge_mergepath_config_static_selectorELNS0_4arch9wavefront6targetE0EEEvSI_.private_seg_size, 0
	.set _ZN7rocprim17ROCPRIM_400000_NS6detail17trampoline_kernelINS0_14default_configENS1_38merge_sort_block_merge_config_selectorIiNS0_10empty_typeEEEZZNS1_27merge_sort_block_merge_implIS3_N6thrust23THRUST_200600_302600_NS10device_ptrIiEEPS5_jNS1_19radix_merge_compareILb0ELb1EiNS0_19identity_decomposerEEEEE10hipError_tT0_T1_T2_jT3_P12ihipStream_tbPNSt15iterator_traitsISH_E10value_typeEPNSN_ISI_E10value_typeEPSJ_NS1_7vsmem_tEENKUlT_SH_SI_SJ_E_clIPiSB_SC_SC_EESG_SW_SH_SI_SJ_EUlSW_E0_NS1_11comp_targetILNS1_3genE3ELNS1_11target_archE908ELNS1_3gpuE7ELNS1_3repE0EEENS1_38merge_mergepath_config_static_selectorELNS0_4arch9wavefront6targetE0EEEvSI_.uses_vcc, 0
	.set _ZN7rocprim17ROCPRIM_400000_NS6detail17trampoline_kernelINS0_14default_configENS1_38merge_sort_block_merge_config_selectorIiNS0_10empty_typeEEEZZNS1_27merge_sort_block_merge_implIS3_N6thrust23THRUST_200600_302600_NS10device_ptrIiEEPS5_jNS1_19radix_merge_compareILb0ELb1EiNS0_19identity_decomposerEEEEE10hipError_tT0_T1_T2_jT3_P12ihipStream_tbPNSt15iterator_traitsISH_E10value_typeEPNSN_ISI_E10value_typeEPSJ_NS1_7vsmem_tEENKUlT_SH_SI_SJ_E_clIPiSB_SC_SC_EESG_SW_SH_SI_SJ_EUlSW_E0_NS1_11comp_targetILNS1_3genE3ELNS1_11target_archE908ELNS1_3gpuE7ELNS1_3repE0EEENS1_38merge_mergepath_config_static_selectorELNS0_4arch9wavefront6targetE0EEEvSI_.uses_flat_scratch, 0
	.set _ZN7rocprim17ROCPRIM_400000_NS6detail17trampoline_kernelINS0_14default_configENS1_38merge_sort_block_merge_config_selectorIiNS0_10empty_typeEEEZZNS1_27merge_sort_block_merge_implIS3_N6thrust23THRUST_200600_302600_NS10device_ptrIiEEPS5_jNS1_19radix_merge_compareILb0ELb1EiNS0_19identity_decomposerEEEEE10hipError_tT0_T1_T2_jT3_P12ihipStream_tbPNSt15iterator_traitsISH_E10value_typeEPNSN_ISI_E10value_typeEPSJ_NS1_7vsmem_tEENKUlT_SH_SI_SJ_E_clIPiSB_SC_SC_EESG_SW_SH_SI_SJ_EUlSW_E0_NS1_11comp_targetILNS1_3genE3ELNS1_11target_archE908ELNS1_3gpuE7ELNS1_3repE0EEENS1_38merge_mergepath_config_static_selectorELNS0_4arch9wavefront6targetE0EEEvSI_.has_dyn_sized_stack, 0
	.set _ZN7rocprim17ROCPRIM_400000_NS6detail17trampoline_kernelINS0_14default_configENS1_38merge_sort_block_merge_config_selectorIiNS0_10empty_typeEEEZZNS1_27merge_sort_block_merge_implIS3_N6thrust23THRUST_200600_302600_NS10device_ptrIiEEPS5_jNS1_19radix_merge_compareILb0ELb1EiNS0_19identity_decomposerEEEEE10hipError_tT0_T1_T2_jT3_P12ihipStream_tbPNSt15iterator_traitsISH_E10value_typeEPNSN_ISI_E10value_typeEPSJ_NS1_7vsmem_tEENKUlT_SH_SI_SJ_E_clIPiSB_SC_SC_EESG_SW_SH_SI_SJ_EUlSW_E0_NS1_11comp_targetILNS1_3genE3ELNS1_11target_archE908ELNS1_3gpuE7ELNS1_3repE0EEENS1_38merge_mergepath_config_static_selectorELNS0_4arch9wavefront6targetE0EEEvSI_.has_recursion, 0
	.set _ZN7rocprim17ROCPRIM_400000_NS6detail17trampoline_kernelINS0_14default_configENS1_38merge_sort_block_merge_config_selectorIiNS0_10empty_typeEEEZZNS1_27merge_sort_block_merge_implIS3_N6thrust23THRUST_200600_302600_NS10device_ptrIiEEPS5_jNS1_19radix_merge_compareILb0ELb1EiNS0_19identity_decomposerEEEEE10hipError_tT0_T1_T2_jT3_P12ihipStream_tbPNSt15iterator_traitsISH_E10value_typeEPNSN_ISI_E10value_typeEPSJ_NS1_7vsmem_tEENKUlT_SH_SI_SJ_E_clIPiSB_SC_SC_EESG_SW_SH_SI_SJ_EUlSW_E0_NS1_11comp_targetILNS1_3genE3ELNS1_11target_archE908ELNS1_3gpuE7ELNS1_3repE0EEENS1_38merge_mergepath_config_static_selectorELNS0_4arch9wavefront6targetE0EEEvSI_.has_indirect_call, 0
	.section	.AMDGPU.csdata,"",@progbits
; Kernel info:
; codeLenInByte = 0
; TotalNumSgprs: 0
; NumVgprs: 0
; ScratchSize: 0
; MemoryBound: 0
; FloatMode: 240
; IeeeMode: 1
; LDSByteSize: 0 bytes/workgroup (compile time only)
; SGPRBlocks: 0
; VGPRBlocks: 0
; NumSGPRsForWavesPerEU: 1
; NumVGPRsForWavesPerEU: 1
; Occupancy: 16
; WaveLimiterHint : 0
; COMPUTE_PGM_RSRC2:SCRATCH_EN: 0
; COMPUTE_PGM_RSRC2:USER_SGPR: 6
; COMPUTE_PGM_RSRC2:TRAP_HANDLER: 0
; COMPUTE_PGM_RSRC2:TGID_X_EN: 1
; COMPUTE_PGM_RSRC2:TGID_Y_EN: 0
; COMPUTE_PGM_RSRC2:TGID_Z_EN: 0
; COMPUTE_PGM_RSRC2:TIDIG_COMP_CNT: 0
	.section	.text._ZN7rocprim17ROCPRIM_400000_NS6detail17trampoline_kernelINS0_14default_configENS1_38merge_sort_block_merge_config_selectorIiNS0_10empty_typeEEEZZNS1_27merge_sort_block_merge_implIS3_N6thrust23THRUST_200600_302600_NS10device_ptrIiEEPS5_jNS1_19radix_merge_compareILb0ELb1EiNS0_19identity_decomposerEEEEE10hipError_tT0_T1_T2_jT3_P12ihipStream_tbPNSt15iterator_traitsISH_E10value_typeEPNSN_ISI_E10value_typeEPSJ_NS1_7vsmem_tEENKUlT_SH_SI_SJ_E_clIPiSB_SC_SC_EESG_SW_SH_SI_SJ_EUlSW_E0_NS1_11comp_targetILNS1_3genE2ELNS1_11target_archE906ELNS1_3gpuE6ELNS1_3repE0EEENS1_38merge_mergepath_config_static_selectorELNS0_4arch9wavefront6targetE0EEEvSI_,"axG",@progbits,_ZN7rocprim17ROCPRIM_400000_NS6detail17trampoline_kernelINS0_14default_configENS1_38merge_sort_block_merge_config_selectorIiNS0_10empty_typeEEEZZNS1_27merge_sort_block_merge_implIS3_N6thrust23THRUST_200600_302600_NS10device_ptrIiEEPS5_jNS1_19radix_merge_compareILb0ELb1EiNS0_19identity_decomposerEEEEE10hipError_tT0_T1_T2_jT3_P12ihipStream_tbPNSt15iterator_traitsISH_E10value_typeEPNSN_ISI_E10value_typeEPSJ_NS1_7vsmem_tEENKUlT_SH_SI_SJ_E_clIPiSB_SC_SC_EESG_SW_SH_SI_SJ_EUlSW_E0_NS1_11comp_targetILNS1_3genE2ELNS1_11target_archE906ELNS1_3gpuE6ELNS1_3repE0EEENS1_38merge_mergepath_config_static_selectorELNS0_4arch9wavefront6targetE0EEEvSI_,comdat
	.protected	_ZN7rocprim17ROCPRIM_400000_NS6detail17trampoline_kernelINS0_14default_configENS1_38merge_sort_block_merge_config_selectorIiNS0_10empty_typeEEEZZNS1_27merge_sort_block_merge_implIS3_N6thrust23THRUST_200600_302600_NS10device_ptrIiEEPS5_jNS1_19radix_merge_compareILb0ELb1EiNS0_19identity_decomposerEEEEE10hipError_tT0_T1_T2_jT3_P12ihipStream_tbPNSt15iterator_traitsISH_E10value_typeEPNSN_ISI_E10value_typeEPSJ_NS1_7vsmem_tEENKUlT_SH_SI_SJ_E_clIPiSB_SC_SC_EESG_SW_SH_SI_SJ_EUlSW_E0_NS1_11comp_targetILNS1_3genE2ELNS1_11target_archE906ELNS1_3gpuE6ELNS1_3repE0EEENS1_38merge_mergepath_config_static_selectorELNS0_4arch9wavefront6targetE0EEEvSI_ ; -- Begin function _ZN7rocprim17ROCPRIM_400000_NS6detail17trampoline_kernelINS0_14default_configENS1_38merge_sort_block_merge_config_selectorIiNS0_10empty_typeEEEZZNS1_27merge_sort_block_merge_implIS3_N6thrust23THRUST_200600_302600_NS10device_ptrIiEEPS5_jNS1_19radix_merge_compareILb0ELb1EiNS0_19identity_decomposerEEEEE10hipError_tT0_T1_T2_jT3_P12ihipStream_tbPNSt15iterator_traitsISH_E10value_typeEPNSN_ISI_E10value_typeEPSJ_NS1_7vsmem_tEENKUlT_SH_SI_SJ_E_clIPiSB_SC_SC_EESG_SW_SH_SI_SJ_EUlSW_E0_NS1_11comp_targetILNS1_3genE2ELNS1_11target_archE906ELNS1_3gpuE6ELNS1_3repE0EEENS1_38merge_mergepath_config_static_selectorELNS0_4arch9wavefront6targetE0EEEvSI_
	.globl	_ZN7rocprim17ROCPRIM_400000_NS6detail17trampoline_kernelINS0_14default_configENS1_38merge_sort_block_merge_config_selectorIiNS0_10empty_typeEEEZZNS1_27merge_sort_block_merge_implIS3_N6thrust23THRUST_200600_302600_NS10device_ptrIiEEPS5_jNS1_19radix_merge_compareILb0ELb1EiNS0_19identity_decomposerEEEEE10hipError_tT0_T1_T2_jT3_P12ihipStream_tbPNSt15iterator_traitsISH_E10value_typeEPNSN_ISI_E10value_typeEPSJ_NS1_7vsmem_tEENKUlT_SH_SI_SJ_E_clIPiSB_SC_SC_EESG_SW_SH_SI_SJ_EUlSW_E0_NS1_11comp_targetILNS1_3genE2ELNS1_11target_archE906ELNS1_3gpuE6ELNS1_3repE0EEENS1_38merge_mergepath_config_static_selectorELNS0_4arch9wavefront6targetE0EEEvSI_
	.p2align	8
	.type	_ZN7rocprim17ROCPRIM_400000_NS6detail17trampoline_kernelINS0_14default_configENS1_38merge_sort_block_merge_config_selectorIiNS0_10empty_typeEEEZZNS1_27merge_sort_block_merge_implIS3_N6thrust23THRUST_200600_302600_NS10device_ptrIiEEPS5_jNS1_19radix_merge_compareILb0ELb1EiNS0_19identity_decomposerEEEEE10hipError_tT0_T1_T2_jT3_P12ihipStream_tbPNSt15iterator_traitsISH_E10value_typeEPNSN_ISI_E10value_typeEPSJ_NS1_7vsmem_tEENKUlT_SH_SI_SJ_E_clIPiSB_SC_SC_EESG_SW_SH_SI_SJ_EUlSW_E0_NS1_11comp_targetILNS1_3genE2ELNS1_11target_archE906ELNS1_3gpuE6ELNS1_3repE0EEENS1_38merge_mergepath_config_static_selectorELNS0_4arch9wavefront6targetE0EEEvSI_,@function
_ZN7rocprim17ROCPRIM_400000_NS6detail17trampoline_kernelINS0_14default_configENS1_38merge_sort_block_merge_config_selectorIiNS0_10empty_typeEEEZZNS1_27merge_sort_block_merge_implIS3_N6thrust23THRUST_200600_302600_NS10device_ptrIiEEPS5_jNS1_19radix_merge_compareILb0ELb1EiNS0_19identity_decomposerEEEEE10hipError_tT0_T1_T2_jT3_P12ihipStream_tbPNSt15iterator_traitsISH_E10value_typeEPNSN_ISI_E10value_typeEPSJ_NS1_7vsmem_tEENKUlT_SH_SI_SJ_E_clIPiSB_SC_SC_EESG_SW_SH_SI_SJ_EUlSW_E0_NS1_11comp_targetILNS1_3genE2ELNS1_11target_archE906ELNS1_3gpuE6ELNS1_3repE0EEENS1_38merge_mergepath_config_static_selectorELNS0_4arch9wavefront6targetE0EEEvSI_: ; @_ZN7rocprim17ROCPRIM_400000_NS6detail17trampoline_kernelINS0_14default_configENS1_38merge_sort_block_merge_config_selectorIiNS0_10empty_typeEEEZZNS1_27merge_sort_block_merge_implIS3_N6thrust23THRUST_200600_302600_NS10device_ptrIiEEPS5_jNS1_19radix_merge_compareILb0ELb1EiNS0_19identity_decomposerEEEEE10hipError_tT0_T1_T2_jT3_P12ihipStream_tbPNSt15iterator_traitsISH_E10value_typeEPNSN_ISI_E10value_typeEPSJ_NS1_7vsmem_tEENKUlT_SH_SI_SJ_E_clIPiSB_SC_SC_EESG_SW_SH_SI_SJ_EUlSW_E0_NS1_11comp_targetILNS1_3genE2ELNS1_11target_archE906ELNS1_3gpuE6ELNS1_3repE0EEENS1_38merge_mergepath_config_static_selectorELNS0_4arch9wavefront6targetE0EEEvSI_
; %bb.0:
	.section	.rodata,"a",@progbits
	.p2align	6, 0x0
	.amdhsa_kernel _ZN7rocprim17ROCPRIM_400000_NS6detail17trampoline_kernelINS0_14default_configENS1_38merge_sort_block_merge_config_selectorIiNS0_10empty_typeEEEZZNS1_27merge_sort_block_merge_implIS3_N6thrust23THRUST_200600_302600_NS10device_ptrIiEEPS5_jNS1_19radix_merge_compareILb0ELb1EiNS0_19identity_decomposerEEEEE10hipError_tT0_T1_T2_jT3_P12ihipStream_tbPNSt15iterator_traitsISH_E10value_typeEPNSN_ISI_E10value_typeEPSJ_NS1_7vsmem_tEENKUlT_SH_SI_SJ_E_clIPiSB_SC_SC_EESG_SW_SH_SI_SJ_EUlSW_E0_NS1_11comp_targetILNS1_3genE2ELNS1_11target_archE906ELNS1_3gpuE6ELNS1_3repE0EEENS1_38merge_mergepath_config_static_selectorELNS0_4arch9wavefront6targetE0EEEvSI_
		.amdhsa_group_segment_fixed_size 0
		.amdhsa_private_segment_fixed_size 0
		.amdhsa_kernarg_size 64
		.amdhsa_user_sgpr_count 6
		.amdhsa_user_sgpr_private_segment_buffer 1
		.amdhsa_user_sgpr_dispatch_ptr 0
		.amdhsa_user_sgpr_queue_ptr 0
		.amdhsa_user_sgpr_kernarg_segment_ptr 1
		.amdhsa_user_sgpr_dispatch_id 0
		.amdhsa_user_sgpr_flat_scratch_init 0
		.amdhsa_user_sgpr_private_segment_size 0
		.amdhsa_wavefront_size32 1
		.amdhsa_uses_dynamic_stack 0
		.amdhsa_system_sgpr_private_segment_wavefront_offset 0
		.amdhsa_system_sgpr_workgroup_id_x 1
		.amdhsa_system_sgpr_workgroup_id_y 0
		.amdhsa_system_sgpr_workgroup_id_z 0
		.amdhsa_system_sgpr_workgroup_info 0
		.amdhsa_system_vgpr_workitem_id 0
		.amdhsa_next_free_vgpr 1
		.amdhsa_next_free_sgpr 1
		.amdhsa_reserve_vcc 0
		.amdhsa_reserve_flat_scratch 0
		.amdhsa_float_round_mode_32 0
		.amdhsa_float_round_mode_16_64 0
		.amdhsa_float_denorm_mode_32 3
		.amdhsa_float_denorm_mode_16_64 3
		.amdhsa_dx10_clamp 1
		.amdhsa_ieee_mode 1
		.amdhsa_fp16_overflow 0
		.amdhsa_workgroup_processor_mode 1
		.amdhsa_memory_ordered 1
		.amdhsa_forward_progress 1
		.amdhsa_shared_vgpr_count 0
		.amdhsa_exception_fp_ieee_invalid_op 0
		.amdhsa_exception_fp_denorm_src 0
		.amdhsa_exception_fp_ieee_div_zero 0
		.amdhsa_exception_fp_ieee_overflow 0
		.amdhsa_exception_fp_ieee_underflow 0
		.amdhsa_exception_fp_ieee_inexact 0
		.amdhsa_exception_int_div_zero 0
	.end_amdhsa_kernel
	.section	.text._ZN7rocprim17ROCPRIM_400000_NS6detail17trampoline_kernelINS0_14default_configENS1_38merge_sort_block_merge_config_selectorIiNS0_10empty_typeEEEZZNS1_27merge_sort_block_merge_implIS3_N6thrust23THRUST_200600_302600_NS10device_ptrIiEEPS5_jNS1_19radix_merge_compareILb0ELb1EiNS0_19identity_decomposerEEEEE10hipError_tT0_T1_T2_jT3_P12ihipStream_tbPNSt15iterator_traitsISH_E10value_typeEPNSN_ISI_E10value_typeEPSJ_NS1_7vsmem_tEENKUlT_SH_SI_SJ_E_clIPiSB_SC_SC_EESG_SW_SH_SI_SJ_EUlSW_E0_NS1_11comp_targetILNS1_3genE2ELNS1_11target_archE906ELNS1_3gpuE6ELNS1_3repE0EEENS1_38merge_mergepath_config_static_selectorELNS0_4arch9wavefront6targetE0EEEvSI_,"axG",@progbits,_ZN7rocprim17ROCPRIM_400000_NS6detail17trampoline_kernelINS0_14default_configENS1_38merge_sort_block_merge_config_selectorIiNS0_10empty_typeEEEZZNS1_27merge_sort_block_merge_implIS3_N6thrust23THRUST_200600_302600_NS10device_ptrIiEEPS5_jNS1_19radix_merge_compareILb0ELb1EiNS0_19identity_decomposerEEEEE10hipError_tT0_T1_T2_jT3_P12ihipStream_tbPNSt15iterator_traitsISH_E10value_typeEPNSN_ISI_E10value_typeEPSJ_NS1_7vsmem_tEENKUlT_SH_SI_SJ_E_clIPiSB_SC_SC_EESG_SW_SH_SI_SJ_EUlSW_E0_NS1_11comp_targetILNS1_3genE2ELNS1_11target_archE906ELNS1_3gpuE6ELNS1_3repE0EEENS1_38merge_mergepath_config_static_selectorELNS0_4arch9wavefront6targetE0EEEvSI_,comdat
.Lfunc_end1182:
	.size	_ZN7rocprim17ROCPRIM_400000_NS6detail17trampoline_kernelINS0_14default_configENS1_38merge_sort_block_merge_config_selectorIiNS0_10empty_typeEEEZZNS1_27merge_sort_block_merge_implIS3_N6thrust23THRUST_200600_302600_NS10device_ptrIiEEPS5_jNS1_19radix_merge_compareILb0ELb1EiNS0_19identity_decomposerEEEEE10hipError_tT0_T1_T2_jT3_P12ihipStream_tbPNSt15iterator_traitsISH_E10value_typeEPNSN_ISI_E10value_typeEPSJ_NS1_7vsmem_tEENKUlT_SH_SI_SJ_E_clIPiSB_SC_SC_EESG_SW_SH_SI_SJ_EUlSW_E0_NS1_11comp_targetILNS1_3genE2ELNS1_11target_archE906ELNS1_3gpuE6ELNS1_3repE0EEENS1_38merge_mergepath_config_static_selectorELNS0_4arch9wavefront6targetE0EEEvSI_, .Lfunc_end1182-_ZN7rocprim17ROCPRIM_400000_NS6detail17trampoline_kernelINS0_14default_configENS1_38merge_sort_block_merge_config_selectorIiNS0_10empty_typeEEEZZNS1_27merge_sort_block_merge_implIS3_N6thrust23THRUST_200600_302600_NS10device_ptrIiEEPS5_jNS1_19radix_merge_compareILb0ELb1EiNS0_19identity_decomposerEEEEE10hipError_tT0_T1_T2_jT3_P12ihipStream_tbPNSt15iterator_traitsISH_E10value_typeEPNSN_ISI_E10value_typeEPSJ_NS1_7vsmem_tEENKUlT_SH_SI_SJ_E_clIPiSB_SC_SC_EESG_SW_SH_SI_SJ_EUlSW_E0_NS1_11comp_targetILNS1_3genE2ELNS1_11target_archE906ELNS1_3gpuE6ELNS1_3repE0EEENS1_38merge_mergepath_config_static_selectorELNS0_4arch9wavefront6targetE0EEEvSI_
                                        ; -- End function
	.set _ZN7rocprim17ROCPRIM_400000_NS6detail17trampoline_kernelINS0_14default_configENS1_38merge_sort_block_merge_config_selectorIiNS0_10empty_typeEEEZZNS1_27merge_sort_block_merge_implIS3_N6thrust23THRUST_200600_302600_NS10device_ptrIiEEPS5_jNS1_19radix_merge_compareILb0ELb1EiNS0_19identity_decomposerEEEEE10hipError_tT0_T1_T2_jT3_P12ihipStream_tbPNSt15iterator_traitsISH_E10value_typeEPNSN_ISI_E10value_typeEPSJ_NS1_7vsmem_tEENKUlT_SH_SI_SJ_E_clIPiSB_SC_SC_EESG_SW_SH_SI_SJ_EUlSW_E0_NS1_11comp_targetILNS1_3genE2ELNS1_11target_archE906ELNS1_3gpuE6ELNS1_3repE0EEENS1_38merge_mergepath_config_static_selectorELNS0_4arch9wavefront6targetE0EEEvSI_.num_vgpr, 0
	.set _ZN7rocprim17ROCPRIM_400000_NS6detail17trampoline_kernelINS0_14default_configENS1_38merge_sort_block_merge_config_selectorIiNS0_10empty_typeEEEZZNS1_27merge_sort_block_merge_implIS3_N6thrust23THRUST_200600_302600_NS10device_ptrIiEEPS5_jNS1_19radix_merge_compareILb0ELb1EiNS0_19identity_decomposerEEEEE10hipError_tT0_T1_T2_jT3_P12ihipStream_tbPNSt15iterator_traitsISH_E10value_typeEPNSN_ISI_E10value_typeEPSJ_NS1_7vsmem_tEENKUlT_SH_SI_SJ_E_clIPiSB_SC_SC_EESG_SW_SH_SI_SJ_EUlSW_E0_NS1_11comp_targetILNS1_3genE2ELNS1_11target_archE906ELNS1_3gpuE6ELNS1_3repE0EEENS1_38merge_mergepath_config_static_selectorELNS0_4arch9wavefront6targetE0EEEvSI_.num_agpr, 0
	.set _ZN7rocprim17ROCPRIM_400000_NS6detail17trampoline_kernelINS0_14default_configENS1_38merge_sort_block_merge_config_selectorIiNS0_10empty_typeEEEZZNS1_27merge_sort_block_merge_implIS3_N6thrust23THRUST_200600_302600_NS10device_ptrIiEEPS5_jNS1_19radix_merge_compareILb0ELb1EiNS0_19identity_decomposerEEEEE10hipError_tT0_T1_T2_jT3_P12ihipStream_tbPNSt15iterator_traitsISH_E10value_typeEPNSN_ISI_E10value_typeEPSJ_NS1_7vsmem_tEENKUlT_SH_SI_SJ_E_clIPiSB_SC_SC_EESG_SW_SH_SI_SJ_EUlSW_E0_NS1_11comp_targetILNS1_3genE2ELNS1_11target_archE906ELNS1_3gpuE6ELNS1_3repE0EEENS1_38merge_mergepath_config_static_selectorELNS0_4arch9wavefront6targetE0EEEvSI_.numbered_sgpr, 0
	.set _ZN7rocprim17ROCPRIM_400000_NS6detail17trampoline_kernelINS0_14default_configENS1_38merge_sort_block_merge_config_selectorIiNS0_10empty_typeEEEZZNS1_27merge_sort_block_merge_implIS3_N6thrust23THRUST_200600_302600_NS10device_ptrIiEEPS5_jNS1_19radix_merge_compareILb0ELb1EiNS0_19identity_decomposerEEEEE10hipError_tT0_T1_T2_jT3_P12ihipStream_tbPNSt15iterator_traitsISH_E10value_typeEPNSN_ISI_E10value_typeEPSJ_NS1_7vsmem_tEENKUlT_SH_SI_SJ_E_clIPiSB_SC_SC_EESG_SW_SH_SI_SJ_EUlSW_E0_NS1_11comp_targetILNS1_3genE2ELNS1_11target_archE906ELNS1_3gpuE6ELNS1_3repE0EEENS1_38merge_mergepath_config_static_selectorELNS0_4arch9wavefront6targetE0EEEvSI_.num_named_barrier, 0
	.set _ZN7rocprim17ROCPRIM_400000_NS6detail17trampoline_kernelINS0_14default_configENS1_38merge_sort_block_merge_config_selectorIiNS0_10empty_typeEEEZZNS1_27merge_sort_block_merge_implIS3_N6thrust23THRUST_200600_302600_NS10device_ptrIiEEPS5_jNS1_19radix_merge_compareILb0ELb1EiNS0_19identity_decomposerEEEEE10hipError_tT0_T1_T2_jT3_P12ihipStream_tbPNSt15iterator_traitsISH_E10value_typeEPNSN_ISI_E10value_typeEPSJ_NS1_7vsmem_tEENKUlT_SH_SI_SJ_E_clIPiSB_SC_SC_EESG_SW_SH_SI_SJ_EUlSW_E0_NS1_11comp_targetILNS1_3genE2ELNS1_11target_archE906ELNS1_3gpuE6ELNS1_3repE0EEENS1_38merge_mergepath_config_static_selectorELNS0_4arch9wavefront6targetE0EEEvSI_.private_seg_size, 0
	.set _ZN7rocprim17ROCPRIM_400000_NS6detail17trampoline_kernelINS0_14default_configENS1_38merge_sort_block_merge_config_selectorIiNS0_10empty_typeEEEZZNS1_27merge_sort_block_merge_implIS3_N6thrust23THRUST_200600_302600_NS10device_ptrIiEEPS5_jNS1_19radix_merge_compareILb0ELb1EiNS0_19identity_decomposerEEEEE10hipError_tT0_T1_T2_jT3_P12ihipStream_tbPNSt15iterator_traitsISH_E10value_typeEPNSN_ISI_E10value_typeEPSJ_NS1_7vsmem_tEENKUlT_SH_SI_SJ_E_clIPiSB_SC_SC_EESG_SW_SH_SI_SJ_EUlSW_E0_NS1_11comp_targetILNS1_3genE2ELNS1_11target_archE906ELNS1_3gpuE6ELNS1_3repE0EEENS1_38merge_mergepath_config_static_selectorELNS0_4arch9wavefront6targetE0EEEvSI_.uses_vcc, 0
	.set _ZN7rocprim17ROCPRIM_400000_NS6detail17trampoline_kernelINS0_14default_configENS1_38merge_sort_block_merge_config_selectorIiNS0_10empty_typeEEEZZNS1_27merge_sort_block_merge_implIS3_N6thrust23THRUST_200600_302600_NS10device_ptrIiEEPS5_jNS1_19radix_merge_compareILb0ELb1EiNS0_19identity_decomposerEEEEE10hipError_tT0_T1_T2_jT3_P12ihipStream_tbPNSt15iterator_traitsISH_E10value_typeEPNSN_ISI_E10value_typeEPSJ_NS1_7vsmem_tEENKUlT_SH_SI_SJ_E_clIPiSB_SC_SC_EESG_SW_SH_SI_SJ_EUlSW_E0_NS1_11comp_targetILNS1_3genE2ELNS1_11target_archE906ELNS1_3gpuE6ELNS1_3repE0EEENS1_38merge_mergepath_config_static_selectorELNS0_4arch9wavefront6targetE0EEEvSI_.uses_flat_scratch, 0
	.set _ZN7rocprim17ROCPRIM_400000_NS6detail17trampoline_kernelINS0_14default_configENS1_38merge_sort_block_merge_config_selectorIiNS0_10empty_typeEEEZZNS1_27merge_sort_block_merge_implIS3_N6thrust23THRUST_200600_302600_NS10device_ptrIiEEPS5_jNS1_19radix_merge_compareILb0ELb1EiNS0_19identity_decomposerEEEEE10hipError_tT0_T1_T2_jT3_P12ihipStream_tbPNSt15iterator_traitsISH_E10value_typeEPNSN_ISI_E10value_typeEPSJ_NS1_7vsmem_tEENKUlT_SH_SI_SJ_E_clIPiSB_SC_SC_EESG_SW_SH_SI_SJ_EUlSW_E0_NS1_11comp_targetILNS1_3genE2ELNS1_11target_archE906ELNS1_3gpuE6ELNS1_3repE0EEENS1_38merge_mergepath_config_static_selectorELNS0_4arch9wavefront6targetE0EEEvSI_.has_dyn_sized_stack, 0
	.set _ZN7rocprim17ROCPRIM_400000_NS6detail17trampoline_kernelINS0_14default_configENS1_38merge_sort_block_merge_config_selectorIiNS0_10empty_typeEEEZZNS1_27merge_sort_block_merge_implIS3_N6thrust23THRUST_200600_302600_NS10device_ptrIiEEPS5_jNS1_19radix_merge_compareILb0ELb1EiNS0_19identity_decomposerEEEEE10hipError_tT0_T1_T2_jT3_P12ihipStream_tbPNSt15iterator_traitsISH_E10value_typeEPNSN_ISI_E10value_typeEPSJ_NS1_7vsmem_tEENKUlT_SH_SI_SJ_E_clIPiSB_SC_SC_EESG_SW_SH_SI_SJ_EUlSW_E0_NS1_11comp_targetILNS1_3genE2ELNS1_11target_archE906ELNS1_3gpuE6ELNS1_3repE0EEENS1_38merge_mergepath_config_static_selectorELNS0_4arch9wavefront6targetE0EEEvSI_.has_recursion, 0
	.set _ZN7rocprim17ROCPRIM_400000_NS6detail17trampoline_kernelINS0_14default_configENS1_38merge_sort_block_merge_config_selectorIiNS0_10empty_typeEEEZZNS1_27merge_sort_block_merge_implIS3_N6thrust23THRUST_200600_302600_NS10device_ptrIiEEPS5_jNS1_19radix_merge_compareILb0ELb1EiNS0_19identity_decomposerEEEEE10hipError_tT0_T1_T2_jT3_P12ihipStream_tbPNSt15iterator_traitsISH_E10value_typeEPNSN_ISI_E10value_typeEPSJ_NS1_7vsmem_tEENKUlT_SH_SI_SJ_E_clIPiSB_SC_SC_EESG_SW_SH_SI_SJ_EUlSW_E0_NS1_11comp_targetILNS1_3genE2ELNS1_11target_archE906ELNS1_3gpuE6ELNS1_3repE0EEENS1_38merge_mergepath_config_static_selectorELNS0_4arch9wavefront6targetE0EEEvSI_.has_indirect_call, 0
	.section	.AMDGPU.csdata,"",@progbits
; Kernel info:
; codeLenInByte = 0
; TotalNumSgprs: 0
; NumVgprs: 0
; ScratchSize: 0
; MemoryBound: 0
; FloatMode: 240
; IeeeMode: 1
; LDSByteSize: 0 bytes/workgroup (compile time only)
; SGPRBlocks: 0
; VGPRBlocks: 0
; NumSGPRsForWavesPerEU: 1
; NumVGPRsForWavesPerEU: 1
; Occupancy: 16
; WaveLimiterHint : 0
; COMPUTE_PGM_RSRC2:SCRATCH_EN: 0
; COMPUTE_PGM_RSRC2:USER_SGPR: 6
; COMPUTE_PGM_RSRC2:TRAP_HANDLER: 0
; COMPUTE_PGM_RSRC2:TGID_X_EN: 1
; COMPUTE_PGM_RSRC2:TGID_Y_EN: 0
; COMPUTE_PGM_RSRC2:TGID_Z_EN: 0
; COMPUTE_PGM_RSRC2:TIDIG_COMP_CNT: 0
	.section	.text._ZN7rocprim17ROCPRIM_400000_NS6detail17trampoline_kernelINS0_14default_configENS1_38merge_sort_block_merge_config_selectorIiNS0_10empty_typeEEEZZNS1_27merge_sort_block_merge_implIS3_N6thrust23THRUST_200600_302600_NS10device_ptrIiEEPS5_jNS1_19radix_merge_compareILb0ELb1EiNS0_19identity_decomposerEEEEE10hipError_tT0_T1_T2_jT3_P12ihipStream_tbPNSt15iterator_traitsISH_E10value_typeEPNSN_ISI_E10value_typeEPSJ_NS1_7vsmem_tEENKUlT_SH_SI_SJ_E_clIPiSB_SC_SC_EESG_SW_SH_SI_SJ_EUlSW_E0_NS1_11comp_targetILNS1_3genE9ELNS1_11target_archE1100ELNS1_3gpuE3ELNS1_3repE0EEENS1_38merge_mergepath_config_static_selectorELNS0_4arch9wavefront6targetE0EEEvSI_,"axG",@progbits,_ZN7rocprim17ROCPRIM_400000_NS6detail17trampoline_kernelINS0_14default_configENS1_38merge_sort_block_merge_config_selectorIiNS0_10empty_typeEEEZZNS1_27merge_sort_block_merge_implIS3_N6thrust23THRUST_200600_302600_NS10device_ptrIiEEPS5_jNS1_19radix_merge_compareILb0ELb1EiNS0_19identity_decomposerEEEEE10hipError_tT0_T1_T2_jT3_P12ihipStream_tbPNSt15iterator_traitsISH_E10value_typeEPNSN_ISI_E10value_typeEPSJ_NS1_7vsmem_tEENKUlT_SH_SI_SJ_E_clIPiSB_SC_SC_EESG_SW_SH_SI_SJ_EUlSW_E0_NS1_11comp_targetILNS1_3genE9ELNS1_11target_archE1100ELNS1_3gpuE3ELNS1_3repE0EEENS1_38merge_mergepath_config_static_selectorELNS0_4arch9wavefront6targetE0EEEvSI_,comdat
	.protected	_ZN7rocprim17ROCPRIM_400000_NS6detail17trampoline_kernelINS0_14default_configENS1_38merge_sort_block_merge_config_selectorIiNS0_10empty_typeEEEZZNS1_27merge_sort_block_merge_implIS3_N6thrust23THRUST_200600_302600_NS10device_ptrIiEEPS5_jNS1_19radix_merge_compareILb0ELb1EiNS0_19identity_decomposerEEEEE10hipError_tT0_T1_T2_jT3_P12ihipStream_tbPNSt15iterator_traitsISH_E10value_typeEPNSN_ISI_E10value_typeEPSJ_NS1_7vsmem_tEENKUlT_SH_SI_SJ_E_clIPiSB_SC_SC_EESG_SW_SH_SI_SJ_EUlSW_E0_NS1_11comp_targetILNS1_3genE9ELNS1_11target_archE1100ELNS1_3gpuE3ELNS1_3repE0EEENS1_38merge_mergepath_config_static_selectorELNS0_4arch9wavefront6targetE0EEEvSI_ ; -- Begin function _ZN7rocprim17ROCPRIM_400000_NS6detail17trampoline_kernelINS0_14default_configENS1_38merge_sort_block_merge_config_selectorIiNS0_10empty_typeEEEZZNS1_27merge_sort_block_merge_implIS3_N6thrust23THRUST_200600_302600_NS10device_ptrIiEEPS5_jNS1_19radix_merge_compareILb0ELb1EiNS0_19identity_decomposerEEEEE10hipError_tT0_T1_T2_jT3_P12ihipStream_tbPNSt15iterator_traitsISH_E10value_typeEPNSN_ISI_E10value_typeEPSJ_NS1_7vsmem_tEENKUlT_SH_SI_SJ_E_clIPiSB_SC_SC_EESG_SW_SH_SI_SJ_EUlSW_E0_NS1_11comp_targetILNS1_3genE9ELNS1_11target_archE1100ELNS1_3gpuE3ELNS1_3repE0EEENS1_38merge_mergepath_config_static_selectorELNS0_4arch9wavefront6targetE0EEEvSI_
	.globl	_ZN7rocprim17ROCPRIM_400000_NS6detail17trampoline_kernelINS0_14default_configENS1_38merge_sort_block_merge_config_selectorIiNS0_10empty_typeEEEZZNS1_27merge_sort_block_merge_implIS3_N6thrust23THRUST_200600_302600_NS10device_ptrIiEEPS5_jNS1_19radix_merge_compareILb0ELb1EiNS0_19identity_decomposerEEEEE10hipError_tT0_T1_T2_jT3_P12ihipStream_tbPNSt15iterator_traitsISH_E10value_typeEPNSN_ISI_E10value_typeEPSJ_NS1_7vsmem_tEENKUlT_SH_SI_SJ_E_clIPiSB_SC_SC_EESG_SW_SH_SI_SJ_EUlSW_E0_NS1_11comp_targetILNS1_3genE9ELNS1_11target_archE1100ELNS1_3gpuE3ELNS1_3repE0EEENS1_38merge_mergepath_config_static_selectorELNS0_4arch9wavefront6targetE0EEEvSI_
	.p2align	8
	.type	_ZN7rocprim17ROCPRIM_400000_NS6detail17trampoline_kernelINS0_14default_configENS1_38merge_sort_block_merge_config_selectorIiNS0_10empty_typeEEEZZNS1_27merge_sort_block_merge_implIS3_N6thrust23THRUST_200600_302600_NS10device_ptrIiEEPS5_jNS1_19radix_merge_compareILb0ELb1EiNS0_19identity_decomposerEEEEE10hipError_tT0_T1_T2_jT3_P12ihipStream_tbPNSt15iterator_traitsISH_E10value_typeEPNSN_ISI_E10value_typeEPSJ_NS1_7vsmem_tEENKUlT_SH_SI_SJ_E_clIPiSB_SC_SC_EESG_SW_SH_SI_SJ_EUlSW_E0_NS1_11comp_targetILNS1_3genE9ELNS1_11target_archE1100ELNS1_3gpuE3ELNS1_3repE0EEENS1_38merge_mergepath_config_static_selectorELNS0_4arch9wavefront6targetE0EEEvSI_,@function
_ZN7rocprim17ROCPRIM_400000_NS6detail17trampoline_kernelINS0_14default_configENS1_38merge_sort_block_merge_config_selectorIiNS0_10empty_typeEEEZZNS1_27merge_sort_block_merge_implIS3_N6thrust23THRUST_200600_302600_NS10device_ptrIiEEPS5_jNS1_19radix_merge_compareILb0ELb1EiNS0_19identity_decomposerEEEEE10hipError_tT0_T1_T2_jT3_P12ihipStream_tbPNSt15iterator_traitsISH_E10value_typeEPNSN_ISI_E10value_typeEPSJ_NS1_7vsmem_tEENKUlT_SH_SI_SJ_E_clIPiSB_SC_SC_EESG_SW_SH_SI_SJ_EUlSW_E0_NS1_11comp_targetILNS1_3genE9ELNS1_11target_archE1100ELNS1_3gpuE3ELNS1_3repE0EEENS1_38merge_mergepath_config_static_selectorELNS0_4arch9wavefront6targetE0EEEvSI_: ; @_ZN7rocprim17ROCPRIM_400000_NS6detail17trampoline_kernelINS0_14default_configENS1_38merge_sort_block_merge_config_selectorIiNS0_10empty_typeEEEZZNS1_27merge_sort_block_merge_implIS3_N6thrust23THRUST_200600_302600_NS10device_ptrIiEEPS5_jNS1_19radix_merge_compareILb0ELb1EiNS0_19identity_decomposerEEEEE10hipError_tT0_T1_T2_jT3_P12ihipStream_tbPNSt15iterator_traitsISH_E10value_typeEPNSN_ISI_E10value_typeEPSJ_NS1_7vsmem_tEENKUlT_SH_SI_SJ_E_clIPiSB_SC_SC_EESG_SW_SH_SI_SJ_EUlSW_E0_NS1_11comp_targetILNS1_3genE9ELNS1_11target_archE1100ELNS1_3gpuE3ELNS1_3repE0EEENS1_38merge_mergepath_config_static_selectorELNS0_4arch9wavefront6targetE0EEEvSI_
; %bb.0:
	.section	.rodata,"a",@progbits
	.p2align	6, 0x0
	.amdhsa_kernel _ZN7rocprim17ROCPRIM_400000_NS6detail17trampoline_kernelINS0_14default_configENS1_38merge_sort_block_merge_config_selectorIiNS0_10empty_typeEEEZZNS1_27merge_sort_block_merge_implIS3_N6thrust23THRUST_200600_302600_NS10device_ptrIiEEPS5_jNS1_19radix_merge_compareILb0ELb1EiNS0_19identity_decomposerEEEEE10hipError_tT0_T1_T2_jT3_P12ihipStream_tbPNSt15iterator_traitsISH_E10value_typeEPNSN_ISI_E10value_typeEPSJ_NS1_7vsmem_tEENKUlT_SH_SI_SJ_E_clIPiSB_SC_SC_EESG_SW_SH_SI_SJ_EUlSW_E0_NS1_11comp_targetILNS1_3genE9ELNS1_11target_archE1100ELNS1_3gpuE3ELNS1_3repE0EEENS1_38merge_mergepath_config_static_selectorELNS0_4arch9wavefront6targetE0EEEvSI_
		.amdhsa_group_segment_fixed_size 0
		.amdhsa_private_segment_fixed_size 0
		.amdhsa_kernarg_size 64
		.amdhsa_user_sgpr_count 6
		.amdhsa_user_sgpr_private_segment_buffer 1
		.amdhsa_user_sgpr_dispatch_ptr 0
		.amdhsa_user_sgpr_queue_ptr 0
		.amdhsa_user_sgpr_kernarg_segment_ptr 1
		.amdhsa_user_sgpr_dispatch_id 0
		.amdhsa_user_sgpr_flat_scratch_init 0
		.amdhsa_user_sgpr_private_segment_size 0
		.amdhsa_wavefront_size32 1
		.amdhsa_uses_dynamic_stack 0
		.amdhsa_system_sgpr_private_segment_wavefront_offset 0
		.amdhsa_system_sgpr_workgroup_id_x 1
		.amdhsa_system_sgpr_workgroup_id_y 0
		.amdhsa_system_sgpr_workgroup_id_z 0
		.amdhsa_system_sgpr_workgroup_info 0
		.amdhsa_system_vgpr_workitem_id 0
		.amdhsa_next_free_vgpr 1
		.amdhsa_next_free_sgpr 1
		.amdhsa_reserve_vcc 0
		.amdhsa_reserve_flat_scratch 0
		.amdhsa_float_round_mode_32 0
		.amdhsa_float_round_mode_16_64 0
		.amdhsa_float_denorm_mode_32 3
		.amdhsa_float_denorm_mode_16_64 3
		.amdhsa_dx10_clamp 1
		.amdhsa_ieee_mode 1
		.amdhsa_fp16_overflow 0
		.amdhsa_workgroup_processor_mode 1
		.amdhsa_memory_ordered 1
		.amdhsa_forward_progress 1
		.amdhsa_shared_vgpr_count 0
		.amdhsa_exception_fp_ieee_invalid_op 0
		.amdhsa_exception_fp_denorm_src 0
		.amdhsa_exception_fp_ieee_div_zero 0
		.amdhsa_exception_fp_ieee_overflow 0
		.amdhsa_exception_fp_ieee_underflow 0
		.amdhsa_exception_fp_ieee_inexact 0
		.amdhsa_exception_int_div_zero 0
	.end_amdhsa_kernel
	.section	.text._ZN7rocprim17ROCPRIM_400000_NS6detail17trampoline_kernelINS0_14default_configENS1_38merge_sort_block_merge_config_selectorIiNS0_10empty_typeEEEZZNS1_27merge_sort_block_merge_implIS3_N6thrust23THRUST_200600_302600_NS10device_ptrIiEEPS5_jNS1_19radix_merge_compareILb0ELb1EiNS0_19identity_decomposerEEEEE10hipError_tT0_T1_T2_jT3_P12ihipStream_tbPNSt15iterator_traitsISH_E10value_typeEPNSN_ISI_E10value_typeEPSJ_NS1_7vsmem_tEENKUlT_SH_SI_SJ_E_clIPiSB_SC_SC_EESG_SW_SH_SI_SJ_EUlSW_E0_NS1_11comp_targetILNS1_3genE9ELNS1_11target_archE1100ELNS1_3gpuE3ELNS1_3repE0EEENS1_38merge_mergepath_config_static_selectorELNS0_4arch9wavefront6targetE0EEEvSI_,"axG",@progbits,_ZN7rocprim17ROCPRIM_400000_NS6detail17trampoline_kernelINS0_14default_configENS1_38merge_sort_block_merge_config_selectorIiNS0_10empty_typeEEEZZNS1_27merge_sort_block_merge_implIS3_N6thrust23THRUST_200600_302600_NS10device_ptrIiEEPS5_jNS1_19radix_merge_compareILb0ELb1EiNS0_19identity_decomposerEEEEE10hipError_tT0_T1_T2_jT3_P12ihipStream_tbPNSt15iterator_traitsISH_E10value_typeEPNSN_ISI_E10value_typeEPSJ_NS1_7vsmem_tEENKUlT_SH_SI_SJ_E_clIPiSB_SC_SC_EESG_SW_SH_SI_SJ_EUlSW_E0_NS1_11comp_targetILNS1_3genE9ELNS1_11target_archE1100ELNS1_3gpuE3ELNS1_3repE0EEENS1_38merge_mergepath_config_static_selectorELNS0_4arch9wavefront6targetE0EEEvSI_,comdat
.Lfunc_end1183:
	.size	_ZN7rocprim17ROCPRIM_400000_NS6detail17trampoline_kernelINS0_14default_configENS1_38merge_sort_block_merge_config_selectorIiNS0_10empty_typeEEEZZNS1_27merge_sort_block_merge_implIS3_N6thrust23THRUST_200600_302600_NS10device_ptrIiEEPS5_jNS1_19radix_merge_compareILb0ELb1EiNS0_19identity_decomposerEEEEE10hipError_tT0_T1_T2_jT3_P12ihipStream_tbPNSt15iterator_traitsISH_E10value_typeEPNSN_ISI_E10value_typeEPSJ_NS1_7vsmem_tEENKUlT_SH_SI_SJ_E_clIPiSB_SC_SC_EESG_SW_SH_SI_SJ_EUlSW_E0_NS1_11comp_targetILNS1_3genE9ELNS1_11target_archE1100ELNS1_3gpuE3ELNS1_3repE0EEENS1_38merge_mergepath_config_static_selectorELNS0_4arch9wavefront6targetE0EEEvSI_, .Lfunc_end1183-_ZN7rocprim17ROCPRIM_400000_NS6detail17trampoline_kernelINS0_14default_configENS1_38merge_sort_block_merge_config_selectorIiNS0_10empty_typeEEEZZNS1_27merge_sort_block_merge_implIS3_N6thrust23THRUST_200600_302600_NS10device_ptrIiEEPS5_jNS1_19radix_merge_compareILb0ELb1EiNS0_19identity_decomposerEEEEE10hipError_tT0_T1_T2_jT3_P12ihipStream_tbPNSt15iterator_traitsISH_E10value_typeEPNSN_ISI_E10value_typeEPSJ_NS1_7vsmem_tEENKUlT_SH_SI_SJ_E_clIPiSB_SC_SC_EESG_SW_SH_SI_SJ_EUlSW_E0_NS1_11comp_targetILNS1_3genE9ELNS1_11target_archE1100ELNS1_3gpuE3ELNS1_3repE0EEENS1_38merge_mergepath_config_static_selectorELNS0_4arch9wavefront6targetE0EEEvSI_
                                        ; -- End function
	.set _ZN7rocprim17ROCPRIM_400000_NS6detail17trampoline_kernelINS0_14default_configENS1_38merge_sort_block_merge_config_selectorIiNS0_10empty_typeEEEZZNS1_27merge_sort_block_merge_implIS3_N6thrust23THRUST_200600_302600_NS10device_ptrIiEEPS5_jNS1_19radix_merge_compareILb0ELb1EiNS0_19identity_decomposerEEEEE10hipError_tT0_T1_T2_jT3_P12ihipStream_tbPNSt15iterator_traitsISH_E10value_typeEPNSN_ISI_E10value_typeEPSJ_NS1_7vsmem_tEENKUlT_SH_SI_SJ_E_clIPiSB_SC_SC_EESG_SW_SH_SI_SJ_EUlSW_E0_NS1_11comp_targetILNS1_3genE9ELNS1_11target_archE1100ELNS1_3gpuE3ELNS1_3repE0EEENS1_38merge_mergepath_config_static_selectorELNS0_4arch9wavefront6targetE0EEEvSI_.num_vgpr, 0
	.set _ZN7rocprim17ROCPRIM_400000_NS6detail17trampoline_kernelINS0_14default_configENS1_38merge_sort_block_merge_config_selectorIiNS0_10empty_typeEEEZZNS1_27merge_sort_block_merge_implIS3_N6thrust23THRUST_200600_302600_NS10device_ptrIiEEPS5_jNS1_19radix_merge_compareILb0ELb1EiNS0_19identity_decomposerEEEEE10hipError_tT0_T1_T2_jT3_P12ihipStream_tbPNSt15iterator_traitsISH_E10value_typeEPNSN_ISI_E10value_typeEPSJ_NS1_7vsmem_tEENKUlT_SH_SI_SJ_E_clIPiSB_SC_SC_EESG_SW_SH_SI_SJ_EUlSW_E0_NS1_11comp_targetILNS1_3genE9ELNS1_11target_archE1100ELNS1_3gpuE3ELNS1_3repE0EEENS1_38merge_mergepath_config_static_selectorELNS0_4arch9wavefront6targetE0EEEvSI_.num_agpr, 0
	.set _ZN7rocprim17ROCPRIM_400000_NS6detail17trampoline_kernelINS0_14default_configENS1_38merge_sort_block_merge_config_selectorIiNS0_10empty_typeEEEZZNS1_27merge_sort_block_merge_implIS3_N6thrust23THRUST_200600_302600_NS10device_ptrIiEEPS5_jNS1_19radix_merge_compareILb0ELb1EiNS0_19identity_decomposerEEEEE10hipError_tT0_T1_T2_jT3_P12ihipStream_tbPNSt15iterator_traitsISH_E10value_typeEPNSN_ISI_E10value_typeEPSJ_NS1_7vsmem_tEENKUlT_SH_SI_SJ_E_clIPiSB_SC_SC_EESG_SW_SH_SI_SJ_EUlSW_E0_NS1_11comp_targetILNS1_3genE9ELNS1_11target_archE1100ELNS1_3gpuE3ELNS1_3repE0EEENS1_38merge_mergepath_config_static_selectorELNS0_4arch9wavefront6targetE0EEEvSI_.numbered_sgpr, 0
	.set _ZN7rocprim17ROCPRIM_400000_NS6detail17trampoline_kernelINS0_14default_configENS1_38merge_sort_block_merge_config_selectorIiNS0_10empty_typeEEEZZNS1_27merge_sort_block_merge_implIS3_N6thrust23THRUST_200600_302600_NS10device_ptrIiEEPS5_jNS1_19radix_merge_compareILb0ELb1EiNS0_19identity_decomposerEEEEE10hipError_tT0_T1_T2_jT3_P12ihipStream_tbPNSt15iterator_traitsISH_E10value_typeEPNSN_ISI_E10value_typeEPSJ_NS1_7vsmem_tEENKUlT_SH_SI_SJ_E_clIPiSB_SC_SC_EESG_SW_SH_SI_SJ_EUlSW_E0_NS1_11comp_targetILNS1_3genE9ELNS1_11target_archE1100ELNS1_3gpuE3ELNS1_3repE0EEENS1_38merge_mergepath_config_static_selectorELNS0_4arch9wavefront6targetE0EEEvSI_.num_named_barrier, 0
	.set _ZN7rocprim17ROCPRIM_400000_NS6detail17trampoline_kernelINS0_14default_configENS1_38merge_sort_block_merge_config_selectorIiNS0_10empty_typeEEEZZNS1_27merge_sort_block_merge_implIS3_N6thrust23THRUST_200600_302600_NS10device_ptrIiEEPS5_jNS1_19radix_merge_compareILb0ELb1EiNS0_19identity_decomposerEEEEE10hipError_tT0_T1_T2_jT3_P12ihipStream_tbPNSt15iterator_traitsISH_E10value_typeEPNSN_ISI_E10value_typeEPSJ_NS1_7vsmem_tEENKUlT_SH_SI_SJ_E_clIPiSB_SC_SC_EESG_SW_SH_SI_SJ_EUlSW_E0_NS1_11comp_targetILNS1_3genE9ELNS1_11target_archE1100ELNS1_3gpuE3ELNS1_3repE0EEENS1_38merge_mergepath_config_static_selectorELNS0_4arch9wavefront6targetE0EEEvSI_.private_seg_size, 0
	.set _ZN7rocprim17ROCPRIM_400000_NS6detail17trampoline_kernelINS0_14default_configENS1_38merge_sort_block_merge_config_selectorIiNS0_10empty_typeEEEZZNS1_27merge_sort_block_merge_implIS3_N6thrust23THRUST_200600_302600_NS10device_ptrIiEEPS5_jNS1_19radix_merge_compareILb0ELb1EiNS0_19identity_decomposerEEEEE10hipError_tT0_T1_T2_jT3_P12ihipStream_tbPNSt15iterator_traitsISH_E10value_typeEPNSN_ISI_E10value_typeEPSJ_NS1_7vsmem_tEENKUlT_SH_SI_SJ_E_clIPiSB_SC_SC_EESG_SW_SH_SI_SJ_EUlSW_E0_NS1_11comp_targetILNS1_3genE9ELNS1_11target_archE1100ELNS1_3gpuE3ELNS1_3repE0EEENS1_38merge_mergepath_config_static_selectorELNS0_4arch9wavefront6targetE0EEEvSI_.uses_vcc, 0
	.set _ZN7rocprim17ROCPRIM_400000_NS6detail17trampoline_kernelINS0_14default_configENS1_38merge_sort_block_merge_config_selectorIiNS0_10empty_typeEEEZZNS1_27merge_sort_block_merge_implIS3_N6thrust23THRUST_200600_302600_NS10device_ptrIiEEPS5_jNS1_19radix_merge_compareILb0ELb1EiNS0_19identity_decomposerEEEEE10hipError_tT0_T1_T2_jT3_P12ihipStream_tbPNSt15iterator_traitsISH_E10value_typeEPNSN_ISI_E10value_typeEPSJ_NS1_7vsmem_tEENKUlT_SH_SI_SJ_E_clIPiSB_SC_SC_EESG_SW_SH_SI_SJ_EUlSW_E0_NS1_11comp_targetILNS1_3genE9ELNS1_11target_archE1100ELNS1_3gpuE3ELNS1_3repE0EEENS1_38merge_mergepath_config_static_selectorELNS0_4arch9wavefront6targetE0EEEvSI_.uses_flat_scratch, 0
	.set _ZN7rocprim17ROCPRIM_400000_NS6detail17trampoline_kernelINS0_14default_configENS1_38merge_sort_block_merge_config_selectorIiNS0_10empty_typeEEEZZNS1_27merge_sort_block_merge_implIS3_N6thrust23THRUST_200600_302600_NS10device_ptrIiEEPS5_jNS1_19radix_merge_compareILb0ELb1EiNS0_19identity_decomposerEEEEE10hipError_tT0_T1_T2_jT3_P12ihipStream_tbPNSt15iterator_traitsISH_E10value_typeEPNSN_ISI_E10value_typeEPSJ_NS1_7vsmem_tEENKUlT_SH_SI_SJ_E_clIPiSB_SC_SC_EESG_SW_SH_SI_SJ_EUlSW_E0_NS1_11comp_targetILNS1_3genE9ELNS1_11target_archE1100ELNS1_3gpuE3ELNS1_3repE0EEENS1_38merge_mergepath_config_static_selectorELNS0_4arch9wavefront6targetE0EEEvSI_.has_dyn_sized_stack, 0
	.set _ZN7rocprim17ROCPRIM_400000_NS6detail17trampoline_kernelINS0_14default_configENS1_38merge_sort_block_merge_config_selectorIiNS0_10empty_typeEEEZZNS1_27merge_sort_block_merge_implIS3_N6thrust23THRUST_200600_302600_NS10device_ptrIiEEPS5_jNS1_19radix_merge_compareILb0ELb1EiNS0_19identity_decomposerEEEEE10hipError_tT0_T1_T2_jT3_P12ihipStream_tbPNSt15iterator_traitsISH_E10value_typeEPNSN_ISI_E10value_typeEPSJ_NS1_7vsmem_tEENKUlT_SH_SI_SJ_E_clIPiSB_SC_SC_EESG_SW_SH_SI_SJ_EUlSW_E0_NS1_11comp_targetILNS1_3genE9ELNS1_11target_archE1100ELNS1_3gpuE3ELNS1_3repE0EEENS1_38merge_mergepath_config_static_selectorELNS0_4arch9wavefront6targetE0EEEvSI_.has_recursion, 0
	.set _ZN7rocprim17ROCPRIM_400000_NS6detail17trampoline_kernelINS0_14default_configENS1_38merge_sort_block_merge_config_selectorIiNS0_10empty_typeEEEZZNS1_27merge_sort_block_merge_implIS3_N6thrust23THRUST_200600_302600_NS10device_ptrIiEEPS5_jNS1_19radix_merge_compareILb0ELb1EiNS0_19identity_decomposerEEEEE10hipError_tT0_T1_T2_jT3_P12ihipStream_tbPNSt15iterator_traitsISH_E10value_typeEPNSN_ISI_E10value_typeEPSJ_NS1_7vsmem_tEENKUlT_SH_SI_SJ_E_clIPiSB_SC_SC_EESG_SW_SH_SI_SJ_EUlSW_E0_NS1_11comp_targetILNS1_3genE9ELNS1_11target_archE1100ELNS1_3gpuE3ELNS1_3repE0EEENS1_38merge_mergepath_config_static_selectorELNS0_4arch9wavefront6targetE0EEEvSI_.has_indirect_call, 0
	.section	.AMDGPU.csdata,"",@progbits
; Kernel info:
; codeLenInByte = 0
; TotalNumSgprs: 0
; NumVgprs: 0
; ScratchSize: 0
; MemoryBound: 0
; FloatMode: 240
; IeeeMode: 1
; LDSByteSize: 0 bytes/workgroup (compile time only)
; SGPRBlocks: 0
; VGPRBlocks: 0
; NumSGPRsForWavesPerEU: 1
; NumVGPRsForWavesPerEU: 1
; Occupancy: 16
; WaveLimiterHint : 0
; COMPUTE_PGM_RSRC2:SCRATCH_EN: 0
; COMPUTE_PGM_RSRC2:USER_SGPR: 6
; COMPUTE_PGM_RSRC2:TRAP_HANDLER: 0
; COMPUTE_PGM_RSRC2:TGID_X_EN: 1
; COMPUTE_PGM_RSRC2:TGID_Y_EN: 0
; COMPUTE_PGM_RSRC2:TGID_Z_EN: 0
; COMPUTE_PGM_RSRC2:TIDIG_COMP_CNT: 0
	.section	.text._ZN7rocprim17ROCPRIM_400000_NS6detail17trampoline_kernelINS0_14default_configENS1_38merge_sort_block_merge_config_selectorIiNS0_10empty_typeEEEZZNS1_27merge_sort_block_merge_implIS3_N6thrust23THRUST_200600_302600_NS10device_ptrIiEEPS5_jNS1_19radix_merge_compareILb0ELb1EiNS0_19identity_decomposerEEEEE10hipError_tT0_T1_T2_jT3_P12ihipStream_tbPNSt15iterator_traitsISH_E10value_typeEPNSN_ISI_E10value_typeEPSJ_NS1_7vsmem_tEENKUlT_SH_SI_SJ_E_clIPiSB_SC_SC_EESG_SW_SH_SI_SJ_EUlSW_E0_NS1_11comp_targetILNS1_3genE8ELNS1_11target_archE1030ELNS1_3gpuE2ELNS1_3repE0EEENS1_38merge_mergepath_config_static_selectorELNS0_4arch9wavefront6targetE0EEEvSI_,"axG",@progbits,_ZN7rocprim17ROCPRIM_400000_NS6detail17trampoline_kernelINS0_14default_configENS1_38merge_sort_block_merge_config_selectorIiNS0_10empty_typeEEEZZNS1_27merge_sort_block_merge_implIS3_N6thrust23THRUST_200600_302600_NS10device_ptrIiEEPS5_jNS1_19radix_merge_compareILb0ELb1EiNS0_19identity_decomposerEEEEE10hipError_tT0_T1_T2_jT3_P12ihipStream_tbPNSt15iterator_traitsISH_E10value_typeEPNSN_ISI_E10value_typeEPSJ_NS1_7vsmem_tEENKUlT_SH_SI_SJ_E_clIPiSB_SC_SC_EESG_SW_SH_SI_SJ_EUlSW_E0_NS1_11comp_targetILNS1_3genE8ELNS1_11target_archE1030ELNS1_3gpuE2ELNS1_3repE0EEENS1_38merge_mergepath_config_static_selectorELNS0_4arch9wavefront6targetE0EEEvSI_,comdat
	.protected	_ZN7rocprim17ROCPRIM_400000_NS6detail17trampoline_kernelINS0_14default_configENS1_38merge_sort_block_merge_config_selectorIiNS0_10empty_typeEEEZZNS1_27merge_sort_block_merge_implIS3_N6thrust23THRUST_200600_302600_NS10device_ptrIiEEPS5_jNS1_19radix_merge_compareILb0ELb1EiNS0_19identity_decomposerEEEEE10hipError_tT0_T1_T2_jT3_P12ihipStream_tbPNSt15iterator_traitsISH_E10value_typeEPNSN_ISI_E10value_typeEPSJ_NS1_7vsmem_tEENKUlT_SH_SI_SJ_E_clIPiSB_SC_SC_EESG_SW_SH_SI_SJ_EUlSW_E0_NS1_11comp_targetILNS1_3genE8ELNS1_11target_archE1030ELNS1_3gpuE2ELNS1_3repE0EEENS1_38merge_mergepath_config_static_selectorELNS0_4arch9wavefront6targetE0EEEvSI_ ; -- Begin function _ZN7rocprim17ROCPRIM_400000_NS6detail17trampoline_kernelINS0_14default_configENS1_38merge_sort_block_merge_config_selectorIiNS0_10empty_typeEEEZZNS1_27merge_sort_block_merge_implIS3_N6thrust23THRUST_200600_302600_NS10device_ptrIiEEPS5_jNS1_19radix_merge_compareILb0ELb1EiNS0_19identity_decomposerEEEEE10hipError_tT0_T1_T2_jT3_P12ihipStream_tbPNSt15iterator_traitsISH_E10value_typeEPNSN_ISI_E10value_typeEPSJ_NS1_7vsmem_tEENKUlT_SH_SI_SJ_E_clIPiSB_SC_SC_EESG_SW_SH_SI_SJ_EUlSW_E0_NS1_11comp_targetILNS1_3genE8ELNS1_11target_archE1030ELNS1_3gpuE2ELNS1_3repE0EEENS1_38merge_mergepath_config_static_selectorELNS0_4arch9wavefront6targetE0EEEvSI_
	.globl	_ZN7rocprim17ROCPRIM_400000_NS6detail17trampoline_kernelINS0_14default_configENS1_38merge_sort_block_merge_config_selectorIiNS0_10empty_typeEEEZZNS1_27merge_sort_block_merge_implIS3_N6thrust23THRUST_200600_302600_NS10device_ptrIiEEPS5_jNS1_19radix_merge_compareILb0ELb1EiNS0_19identity_decomposerEEEEE10hipError_tT0_T1_T2_jT3_P12ihipStream_tbPNSt15iterator_traitsISH_E10value_typeEPNSN_ISI_E10value_typeEPSJ_NS1_7vsmem_tEENKUlT_SH_SI_SJ_E_clIPiSB_SC_SC_EESG_SW_SH_SI_SJ_EUlSW_E0_NS1_11comp_targetILNS1_3genE8ELNS1_11target_archE1030ELNS1_3gpuE2ELNS1_3repE0EEENS1_38merge_mergepath_config_static_selectorELNS0_4arch9wavefront6targetE0EEEvSI_
	.p2align	8
	.type	_ZN7rocprim17ROCPRIM_400000_NS6detail17trampoline_kernelINS0_14default_configENS1_38merge_sort_block_merge_config_selectorIiNS0_10empty_typeEEEZZNS1_27merge_sort_block_merge_implIS3_N6thrust23THRUST_200600_302600_NS10device_ptrIiEEPS5_jNS1_19radix_merge_compareILb0ELb1EiNS0_19identity_decomposerEEEEE10hipError_tT0_T1_T2_jT3_P12ihipStream_tbPNSt15iterator_traitsISH_E10value_typeEPNSN_ISI_E10value_typeEPSJ_NS1_7vsmem_tEENKUlT_SH_SI_SJ_E_clIPiSB_SC_SC_EESG_SW_SH_SI_SJ_EUlSW_E0_NS1_11comp_targetILNS1_3genE8ELNS1_11target_archE1030ELNS1_3gpuE2ELNS1_3repE0EEENS1_38merge_mergepath_config_static_selectorELNS0_4arch9wavefront6targetE0EEEvSI_,@function
_ZN7rocprim17ROCPRIM_400000_NS6detail17trampoline_kernelINS0_14default_configENS1_38merge_sort_block_merge_config_selectorIiNS0_10empty_typeEEEZZNS1_27merge_sort_block_merge_implIS3_N6thrust23THRUST_200600_302600_NS10device_ptrIiEEPS5_jNS1_19radix_merge_compareILb0ELb1EiNS0_19identity_decomposerEEEEE10hipError_tT0_T1_T2_jT3_P12ihipStream_tbPNSt15iterator_traitsISH_E10value_typeEPNSN_ISI_E10value_typeEPSJ_NS1_7vsmem_tEENKUlT_SH_SI_SJ_E_clIPiSB_SC_SC_EESG_SW_SH_SI_SJ_EUlSW_E0_NS1_11comp_targetILNS1_3genE8ELNS1_11target_archE1030ELNS1_3gpuE2ELNS1_3repE0EEENS1_38merge_mergepath_config_static_selectorELNS0_4arch9wavefront6targetE0EEEvSI_: ; @_ZN7rocprim17ROCPRIM_400000_NS6detail17trampoline_kernelINS0_14default_configENS1_38merge_sort_block_merge_config_selectorIiNS0_10empty_typeEEEZZNS1_27merge_sort_block_merge_implIS3_N6thrust23THRUST_200600_302600_NS10device_ptrIiEEPS5_jNS1_19radix_merge_compareILb0ELb1EiNS0_19identity_decomposerEEEEE10hipError_tT0_T1_T2_jT3_P12ihipStream_tbPNSt15iterator_traitsISH_E10value_typeEPNSN_ISI_E10value_typeEPSJ_NS1_7vsmem_tEENKUlT_SH_SI_SJ_E_clIPiSB_SC_SC_EESG_SW_SH_SI_SJ_EUlSW_E0_NS1_11comp_targetILNS1_3genE8ELNS1_11target_archE1030ELNS1_3gpuE2ELNS1_3repE0EEENS1_38merge_mergepath_config_static_selectorELNS0_4arch9wavefront6targetE0EEEvSI_
; %bb.0:
	s_clause 0x1
	s_load_dwordx2 s[14:15], s[4:5], 0x40
	s_load_dwordx2 s[2:3], s[4:5], 0x30
	s_add_u32 s12, s4, 64
	s_addc_u32 s13, s5, 0
	s_waitcnt lgkmcnt(0)
	s_mul_i32 s0, s15, s8
	s_add_i32 s0, s0, s7
	s_mul_i32 s0, s0, s14
	s_add_i32 s0, s0, s6
	s_cmp_ge_u32 s0, s2
	s_cbranch_scc1 .LBB1184_27
; %bb.1:
	s_clause 0x2
	s_load_dwordx2 s[8:9], s[4:5], 0x28
	s_load_dwordx2 s[10:11], s[4:5], 0x38
	s_load_dwordx2 s[18:19], s[4:5], 0x8
	s_mov_b32 s1, 0
	v_mov_b32_e32 v4, 0
	s_mov_b32 s21, s1
	v_lshlrev_b32_e32 v5, 2, v0
                                        ; implicit-def: $vgpr6
	global_load_dword v1, v4, s[12:13] offset:14
	s_waitcnt lgkmcnt(0)
	s_lshr_b32 s22, s8, 10
	s_cmp_lg_u32 s0, s22
	s_cselect_b32 s7, -1, 0
	s_lshl_b64 s[16:17], s[0:1], 2
	s_add_u32 s10, s10, s16
	s_addc_u32 s11, s11, s17
	s_lshr_b32 s2, s9, 9
	s_load_dwordx2 s[16:17], s[10:11], 0x0
	s_and_b32 s2, s2, 0x7ffffe
	s_lshl_b32 s10, s0, 10
	s_sub_i32 s2, 0, s2
	s_and_b32 s11, s0, s2
	s_or_b32 s2, s0, s2
	s_lshl_b32 s15, s11, 11
	s_lshl_b32 s11, s11, 10
	s_add_i32 s15, s15, s9
	s_sub_i32 s20, s10, s11
	s_sub_i32 s11, s15, s11
	s_add_i32 s15, s15, s20
	s_min_u32 s23, s8, s11
	s_add_i32 s11, s11, s9
	s_waitcnt lgkmcnt(0)
	s_sub_i32 s9, s15, s16
	s_sub_i32 s15, s15, s17
	s_min_u32 s20, s8, s9
	s_addk_i32 s15, 0x400
	s_cmp_eq_u32 s2, -1
	s_cselect_b32 s2, s11, s15
	s_cselect_b32 s9, s23, s17
	s_mov_b32 s17, s1
	s_min_u32 s1, s2, s8
	s_sub_i32 s2, s9, s16
	s_lshl_b64 s[16:17], s[16:17], 2
	s_sub_i32 s9, s1, s20
	s_add_u32 s16, s18, s16
	s_addc_u32 s17, s19, s17
	s_lshl_b64 s[20:21], s[20:21], 2
	s_add_u32 s11, s18, s20
	s_addc_u32 s15, s19, s21
	s_cmp_lt_u32 s6, s14
	s_cselect_b32 s1, 12, 18
	s_add_u32 s12, s12, s1
	s_addc_u32 s13, s13, 0
	s_cmp_eq_u32 s0, s22
	global_load_ushort v2, v4, s[12:13]
	s_mov_b32 s0, -1
	s_waitcnt vmcnt(1)
	v_lshrrev_b32_e32 v3, 16, v1
	v_and_b32_e32 v1, 0xffff, v1
	v_mul_lo_u32 v1, v1, v3
                                        ; implicit-def: $vgpr3
	s_waitcnt vmcnt(0)
	v_mul_lo_u32 v1, v1, v2
                                        ; implicit-def: $vgpr2
	v_add_nc_u32_e32 v1, v1, v0
	s_cbranch_scc1 .LBB1184_3
; %bb.2:
	v_mov_b32_e32 v2, v4
	v_sub_co_u32 v3, vcc_lo, v0, s2
	v_add_co_u32 v10, s0, s16, v5
	v_lshlrev_b64 v[6:7], 2, v[1:2]
	v_add_co_ci_u32_e64 v11, null, s17, 0, s0
	v_lshlrev_b64 v[8:9], 2, v[3:4]
	v_add_co_u32 v6, s0, s16, v6
	v_add_co_ci_u32_e64 v7, null, s17, v7, s0
	v_sub_co_u32 v3, s0, v1, s2
	v_lshlrev_b64 v[2:3], 2, v[3:4]
	v_add_co_u32 v4, s1, s11, v8
	v_add_co_ci_u32_e64 v8, null, s15, v9, s1
	v_add_co_u32 v9, s1, s11, v2
	v_add_co_ci_u32_e64 v12, null, s15, v3, s1
	v_cndmask_b32_e32 v3, v8, v11, vcc_lo
	v_cndmask_b32_e32 v2, v4, v10, vcc_lo
	v_cndmask_b32_e64 v6, v9, v6, s0
	v_cndmask_b32_e64 v7, v12, v7, s0
	s_add_i32 s0, s9, s2
	global_load_dword v3, v[2:3], off
	global_load_dword v2, v[6:7], off
	v_mov_b32_e32 v6, s0
	s_mov_b32 s0, 0
.LBB1184_3:
	s_load_dwordx2 s[4:5], s[4:5], 0x10
	s_andn2_b32 vcc_lo, exec_lo, s0
	s_cbranch_vccnz .LBB1184_9
; %bb.4:
	s_waitcnt vmcnt(0)
	v_mov_b32_e32 v2, 0
	v_mov_b32_e32 v3, 0
	s_add_i32 s1, s9, s2
	s_mov_b32 s6, exec_lo
	v_cmpx_gt_u32_e64 s1, v0
	s_cbranch_execz .LBB1184_6
; %bb.5:
	v_sub_co_u32 v3, vcc_lo, v0, s2
	v_mov_b32_e32 v4, 0
	v_add_co_u32 v6, s0, s16, v5
	v_add_co_ci_u32_e64 v7, null, s17, 0, s0
	v_lshlrev_b64 v[3:4], 2, v[3:4]
	v_add_co_u32 v3, s0, s11, v3
	v_add_co_ci_u32_e64 v4, null, s15, v4, s0
	v_cndmask_b32_e32 v3, v3, v6, vcc_lo
	v_cndmask_b32_e32 v4, v4, v7, vcc_lo
	global_load_dword v3, v[3:4], off
.LBB1184_6:
	s_or_b32 exec_lo, exec_lo, s6
	s_mov_b32 s6, exec_lo
	v_cmpx_gt_u32_e64 s1, v1
	s_cbranch_execz .LBB1184_8
; %bb.7:
	v_mov_b32_e32 v2, 0
	v_lshlrev_b64 v[6:7], 2, v[1:2]
	v_add_co_u32 v4, vcc_lo, s16, v6
	v_add_co_ci_u32_e64 v6, null, s17, v7, vcc_lo
	v_sub_co_u32 v1, vcc_lo, v1, s2
	v_lshlrev_b64 v[1:2], 2, v[1:2]
	v_add_co_u32 v1, s0, s11, v1
	v_add_co_ci_u32_e64 v2, null, s15, v2, s0
	v_cndmask_b32_e32 v1, v1, v4, vcc_lo
	v_cndmask_b32_e32 v2, v2, v6, vcc_lo
	global_load_dword v2, v[1:2], off
.LBB1184_8:
	s_or_b32 exec_lo, exec_lo, s6
	v_mov_b32_e32 v6, s1
.LBB1184_9:
	v_lshlrev_b32_e32 v1, 1, v0
	s_mov_b32 s0, exec_lo
	s_waitcnt vmcnt(0)
	ds_write2st64_b32 v5, v3, v2 offset1:8
	s_waitcnt lgkmcnt(0)
	s_barrier
	v_min_u32_e32 v7, v6, v1
	buffer_gl0_inv
	v_sub_nc_u32_e64 v4, v7, s9 clamp
	v_min_u32_e32 v8, s2, v7
	v_cmpx_lt_u32_e64 v4, v8
	s_cbranch_execz .LBB1184_13
; %bb.10:
	v_lshlrev_b32_e32 v9, 2, v7
	s_mov_b32 s1, 0
	v_lshl_add_u32 v9, s2, 2, v9
	.p2align	6
.LBB1184_11:                            ; =>This Inner Loop Header: Depth=1
	v_add_nc_u32_e32 v10, v8, v4
	v_lshrrev_b32_e32 v10, 1, v10
	v_not_b32_e32 v11, v10
	v_lshlrev_b32_e32 v12, 2, v10
	v_add_nc_u32_e32 v13, 1, v10
	v_lshl_add_u32 v11, v11, 2, v9
	ds_read_b32 v12, v12
	ds_read_b32 v11, v11
	s_waitcnt lgkmcnt(1)
	v_and_b32_e32 v12, s3, v12
	s_waitcnt lgkmcnt(0)
	v_and_b32_e32 v11, s3, v11
	v_cmp_gt_i32_e32 vcc_lo, v12, v11
	v_cndmask_b32_e32 v8, v8, v10, vcc_lo
	v_cndmask_b32_e32 v4, v13, v4, vcc_lo
	v_cmp_ge_u32_e32 vcc_lo, v4, v8
	s_or_b32 s1, vcc_lo, s1
	s_andn2_b32 exec_lo, exec_lo, s1
	s_cbranch_execnz .LBB1184_11
; %bb.12:
	s_or_b32 exec_lo, exec_lo, s1
.LBB1184_13:
	s_or_b32 exec_lo, exec_lo, s0
	v_sub_nc_u32_e32 v7, v7, v4
	v_cmp_ge_u32_e32 vcc_lo, s2, v4
	v_add_nc_u32_e32 v7, s2, v7
	v_cmp_le_u32_e64 s0, v7, v6
	s_or_b32 s0, vcc_lo, s0
	s_and_saveexec_b32 s6, s0
	s_cbranch_execz .LBB1184_19
; %bb.14:
	v_cmp_gt_u32_e32 vcc_lo, s2, v4
                                        ; implicit-def: $vgpr2
	s_and_saveexec_b32 s0, vcc_lo
; %bb.15:
	v_lshlrev_b32_e32 v2, 2, v4
	ds_read_b32 v2, v2
; %bb.16:
	s_or_b32 exec_lo, exec_lo, s0
	v_cmp_ge_u32_e64 s0, v7, v6
	s_mov_b32 s9, exec_lo
                                        ; implicit-def: $vgpr3
	v_cmpx_lt_u32_e64 v7, v6
; %bb.17:
	v_lshlrev_b32_e32 v3, 2, v7
	ds_read_b32 v3, v3
; %bb.18:
	s_or_b32 exec_lo, exec_lo, s9
	s_waitcnt lgkmcnt(0)
	v_and_b32_e32 v8, s3, v3
	v_and_b32_e32 v9, s3, v2
	v_cmp_le_i32_e64 s1, v9, v8
	s_and_b32 s1, vcc_lo, s1
	s_or_b32 vcc_lo, s0, s1
	v_cndmask_b32_e32 v8, v7, v4, vcc_lo
	v_cndmask_b32_e64 v9, v6, s2, vcc_lo
	v_add_nc_u32_e32 v8, 1, v8
	v_add_nc_u32_e32 v9, -1, v9
	v_cndmask_b32_e32 v4, v4, v8, vcc_lo
	v_min_u32_e32 v9, v8, v9
	v_cndmask_b32_e32 v7, v8, v7, vcc_lo
	v_cmp_gt_u32_e64 s0, s2, v4
	v_lshlrev_b32_e32 v9, 2, v9
	v_cmp_ge_u32_e64 s2, v7, v6
	ds_read_b32 v9, v9
	s_waitcnt lgkmcnt(0)
	v_cndmask_b32_e32 v10, v9, v3, vcc_lo
	v_cndmask_b32_e32 v9, v2, v9, vcc_lo
	;; [unrolled: 1-line block ×3, first 2 shown]
	v_and_b32_e32 v11, s3, v10
	v_and_b32_e32 v12, s3, v9
	v_cmp_le_i32_e64 s1, v12, v11
	s_and_b32 s0, s0, s1
	s_or_b32 vcc_lo, s2, s0
	v_cndmask_b32_e32 v2, v10, v9, vcc_lo
.LBB1184_19:
	s_or_b32 exec_lo, exec_lo, s6
	v_lshrrev_b32_e32 v6, 2, v0
	v_or_b32_e32 v4, 0x200, v0
	v_lshrrev_b32_e32 v7, 3, v0
	s_mov_b32 s11, 0
	v_and_b32_e32 v6, 0x7c, v6
	v_lshrrev_b32_e32 v8, 3, v4
	s_lshl_b64 s[0:1], s[10:11], 2
	s_barrier
	s_add_u32 s0, s4, s0
	v_lshl_add_u32 v1, v1, 2, v6
	v_and_b32_e32 v6, 60, v7
	v_and_b32_e32 v7, 0x7c, v8
	buffer_gl0_inv
	s_barrier
	buffer_gl0_inv
	s_addc_u32 s1, s5, s1
	ds_write2_b32 v1, v3, v2 offset1:1
	v_add_co_u32 v1, s0, s0, v5
	v_add_nc_u32_e32 v6, v6, v5
	v_add_nc_u32_e32 v7, v7, v5
	v_add_co_ci_u32_e64 v2, null, s1, 0, s0
	s_and_b32 vcc_lo, exec_lo, s7
	s_waitcnt lgkmcnt(0)
	s_cbranch_vccz .LBB1184_21
; %bb.20:
	s_barrier
	buffer_gl0_inv
	ds_read_b32 v5, v6
	ds_read_b32 v3, v7 offset:2048
	s_mov_b32 s11, -1
	s_waitcnt lgkmcnt(1)
	global_store_dword v[1:2], v5, off
	s_cbranch_execz .LBB1184_22
	s_branch .LBB1184_25
.LBB1184_21:
                                        ; implicit-def: $vgpr3
.LBB1184_22:
	s_barrier
	s_waitcnt lgkmcnt(0)
	s_waitcnt_vscnt null, 0x0
	buffer_gl0_inv
	ds_read_b32 v3, v7 offset:2048
	s_sub_i32 s0, s8, s10
	s_mov_b32 s1, exec_lo
	v_cmpx_gt_u32_e64 s0, v0
	s_cbranch_execz .LBB1184_24
; %bb.23:
	ds_read_b32 v0, v6
	s_waitcnt lgkmcnt(0)
	global_store_dword v[1:2], v0, off
.LBB1184_24:
	s_or_b32 exec_lo, exec_lo, s1
	v_cmp_gt_u32_e64 s11, s0, v4
.LBB1184_25:
	s_and_saveexec_b32 s0, s11
	s_cbranch_execz .LBB1184_27
; %bb.26:
	v_add_co_u32 v0, vcc_lo, 0x800, v1
	v_add_co_ci_u32_e64 v1, null, 0, v2, vcc_lo
	s_waitcnt lgkmcnt(0)
	global_store_dword v[0:1], v3, off
.LBB1184_27:
	s_endpgm
	.section	.rodata,"a",@progbits
	.p2align	6, 0x0
	.amdhsa_kernel _ZN7rocprim17ROCPRIM_400000_NS6detail17trampoline_kernelINS0_14default_configENS1_38merge_sort_block_merge_config_selectorIiNS0_10empty_typeEEEZZNS1_27merge_sort_block_merge_implIS3_N6thrust23THRUST_200600_302600_NS10device_ptrIiEEPS5_jNS1_19radix_merge_compareILb0ELb1EiNS0_19identity_decomposerEEEEE10hipError_tT0_T1_T2_jT3_P12ihipStream_tbPNSt15iterator_traitsISH_E10value_typeEPNSN_ISI_E10value_typeEPSJ_NS1_7vsmem_tEENKUlT_SH_SI_SJ_E_clIPiSB_SC_SC_EESG_SW_SH_SI_SJ_EUlSW_E0_NS1_11comp_targetILNS1_3genE8ELNS1_11target_archE1030ELNS1_3gpuE2ELNS1_3repE0EEENS1_38merge_mergepath_config_static_selectorELNS0_4arch9wavefront6targetE0EEEvSI_
		.amdhsa_group_segment_fixed_size 4224
		.amdhsa_private_segment_fixed_size 0
		.amdhsa_kernarg_size 320
		.amdhsa_user_sgpr_count 6
		.amdhsa_user_sgpr_private_segment_buffer 1
		.amdhsa_user_sgpr_dispatch_ptr 0
		.amdhsa_user_sgpr_queue_ptr 0
		.amdhsa_user_sgpr_kernarg_segment_ptr 1
		.amdhsa_user_sgpr_dispatch_id 0
		.amdhsa_user_sgpr_flat_scratch_init 0
		.amdhsa_user_sgpr_private_segment_size 0
		.amdhsa_wavefront_size32 1
		.amdhsa_uses_dynamic_stack 0
		.amdhsa_system_sgpr_private_segment_wavefront_offset 0
		.amdhsa_system_sgpr_workgroup_id_x 1
		.amdhsa_system_sgpr_workgroup_id_y 1
		.amdhsa_system_sgpr_workgroup_id_z 1
		.amdhsa_system_sgpr_workgroup_info 0
		.amdhsa_system_vgpr_workitem_id 0
		.amdhsa_next_free_vgpr 14
		.amdhsa_next_free_sgpr 24
		.amdhsa_reserve_vcc 1
		.amdhsa_reserve_flat_scratch 0
		.amdhsa_float_round_mode_32 0
		.amdhsa_float_round_mode_16_64 0
		.amdhsa_float_denorm_mode_32 3
		.amdhsa_float_denorm_mode_16_64 3
		.amdhsa_dx10_clamp 1
		.amdhsa_ieee_mode 1
		.amdhsa_fp16_overflow 0
		.amdhsa_workgroup_processor_mode 1
		.amdhsa_memory_ordered 1
		.amdhsa_forward_progress 1
		.amdhsa_shared_vgpr_count 0
		.amdhsa_exception_fp_ieee_invalid_op 0
		.amdhsa_exception_fp_denorm_src 0
		.amdhsa_exception_fp_ieee_div_zero 0
		.amdhsa_exception_fp_ieee_overflow 0
		.amdhsa_exception_fp_ieee_underflow 0
		.amdhsa_exception_fp_ieee_inexact 0
		.amdhsa_exception_int_div_zero 0
	.end_amdhsa_kernel
	.section	.text._ZN7rocprim17ROCPRIM_400000_NS6detail17trampoline_kernelINS0_14default_configENS1_38merge_sort_block_merge_config_selectorIiNS0_10empty_typeEEEZZNS1_27merge_sort_block_merge_implIS3_N6thrust23THRUST_200600_302600_NS10device_ptrIiEEPS5_jNS1_19radix_merge_compareILb0ELb1EiNS0_19identity_decomposerEEEEE10hipError_tT0_T1_T2_jT3_P12ihipStream_tbPNSt15iterator_traitsISH_E10value_typeEPNSN_ISI_E10value_typeEPSJ_NS1_7vsmem_tEENKUlT_SH_SI_SJ_E_clIPiSB_SC_SC_EESG_SW_SH_SI_SJ_EUlSW_E0_NS1_11comp_targetILNS1_3genE8ELNS1_11target_archE1030ELNS1_3gpuE2ELNS1_3repE0EEENS1_38merge_mergepath_config_static_selectorELNS0_4arch9wavefront6targetE0EEEvSI_,"axG",@progbits,_ZN7rocprim17ROCPRIM_400000_NS6detail17trampoline_kernelINS0_14default_configENS1_38merge_sort_block_merge_config_selectorIiNS0_10empty_typeEEEZZNS1_27merge_sort_block_merge_implIS3_N6thrust23THRUST_200600_302600_NS10device_ptrIiEEPS5_jNS1_19radix_merge_compareILb0ELb1EiNS0_19identity_decomposerEEEEE10hipError_tT0_T1_T2_jT3_P12ihipStream_tbPNSt15iterator_traitsISH_E10value_typeEPNSN_ISI_E10value_typeEPSJ_NS1_7vsmem_tEENKUlT_SH_SI_SJ_E_clIPiSB_SC_SC_EESG_SW_SH_SI_SJ_EUlSW_E0_NS1_11comp_targetILNS1_3genE8ELNS1_11target_archE1030ELNS1_3gpuE2ELNS1_3repE0EEENS1_38merge_mergepath_config_static_selectorELNS0_4arch9wavefront6targetE0EEEvSI_,comdat
.Lfunc_end1184:
	.size	_ZN7rocprim17ROCPRIM_400000_NS6detail17trampoline_kernelINS0_14default_configENS1_38merge_sort_block_merge_config_selectorIiNS0_10empty_typeEEEZZNS1_27merge_sort_block_merge_implIS3_N6thrust23THRUST_200600_302600_NS10device_ptrIiEEPS5_jNS1_19radix_merge_compareILb0ELb1EiNS0_19identity_decomposerEEEEE10hipError_tT0_T1_T2_jT3_P12ihipStream_tbPNSt15iterator_traitsISH_E10value_typeEPNSN_ISI_E10value_typeEPSJ_NS1_7vsmem_tEENKUlT_SH_SI_SJ_E_clIPiSB_SC_SC_EESG_SW_SH_SI_SJ_EUlSW_E0_NS1_11comp_targetILNS1_3genE8ELNS1_11target_archE1030ELNS1_3gpuE2ELNS1_3repE0EEENS1_38merge_mergepath_config_static_selectorELNS0_4arch9wavefront6targetE0EEEvSI_, .Lfunc_end1184-_ZN7rocprim17ROCPRIM_400000_NS6detail17trampoline_kernelINS0_14default_configENS1_38merge_sort_block_merge_config_selectorIiNS0_10empty_typeEEEZZNS1_27merge_sort_block_merge_implIS3_N6thrust23THRUST_200600_302600_NS10device_ptrIiEEPS5_jNS1_19radix_merge_compareILb0ELb1EiNS0_19identity_decomposerEEEEE10hipError_tT0_T1_T2_jT3_P12ihipStream_tbPNSt15iterator_traitsISH_E10value_typeEPNSN_ISI_E10value_typeEPSJ_NS1_7vsmem_tEENKUlT_SH_SI_SJ_E_clIPiSB_SC_SC_EESG_SW_SH_SI_SJ_EUlSW_E0_NS1_11comp_targetILNS1_3genE8ELNS1_11target_archE1030ELNS1_3gpuE2ELNS1_3repE0EEENS1_38merge_mergepath_config_static_selectorELNS0_4arch9wavefront6targetE0EEEvSI_
                                        ; -- End function
	.set _ZN7rocprim17ROCPRIM_400000_NS6detail17trampoline_kernelINS0_14default_configENS1_38merge_sort_block_merge_config_selectorIiNS0_10empty_typeEEEZZNS1_27merge_sort_block_merge_implIS3_N6thrust23THRUST_200600_302600_NS10device_ptrIiEEPS5_jNS1_19radix_merge_compareILb0ELb1EiNS0_19identity_decomposerEEEEE10hipError_tT0_T1_T2_jT3_P12ihipStream_tbPNSt15iterator_traitsISH_E10value_typeEPNSN_ISI_E10value_typeEPSJ_NS1_7vsmem_tEENKUlT_SH_SI_SJ_E_clIPiSB_SC_SC_EESG_SW_SH_SI_SJ_EUlSW_E0_NS1_11comp_targetILNS1_3genE8ELNS1_11target_archE1030ELNS1_3gpuE2ELNS1_3repE0EEENS1_38merge_mergepath_config_static_selectorELNS0_4arch9wavefront6targetE0EEEvSI_.num_vgpr, 14
	.set _ZN7rocprim17ROCPRIM_400000_NS6detail17trampoline_kernelINS0_14default_configENS1_38merge_sort_block_merge_config_selectorIiNS0_10empty_typeEEEZZNS1_27merge_sort_block_merge_implIS3_N6thrust23THRUST_200600_302600_NS10device_ptrIiEEPS5_jNS1_19radix_merge_compareILb0ELb1EiNS0_19identity_decomposerEEEEE10hipError_tT0_T1_T2_jT3_P12ihipStream_tbPNSt15iterator_traitsISH_E10value_typeEPNSN_ISI_E10value_typeEPSJ_NS1_7vsmem_tEENKUlT_SH_SI_SJ_E_clIPiSB_SC_SC_EESG_SW_SH_SI_SJ_EUlSW_E0_NS1_11comp_targetILNS1_3genE8ELNS1_11target_archE1030ELNS1_3gpuE2ELNS1_3repE0EEENS1_38merge_mergepath_config_static_selectorELNS0_4arch9wavefront6targetE0EEEvSI_.num_agpr, 0
	.set _ZN7rocprim17ROCPRIM_400000_NS6detail17trampoline_kernelINS0_14default_configENS1_38merge_sort_block_merge_config_selectorIiNS0_10empty_typeEEEZZNS1_27merge_sort_block_merge_implIS3_N6thrust23THRUST_200600_302600_NS10device_ptrIiEEPS5_jNS1_19radix_merge_compareILb0ELb1EiNS0_19identity_decomposerEEEEE10hipError_tT0_T1_T2_jT3_P12ihipStream_tbPNSt15iterator_traitsISH_E10value_typeEPNSN_ISI_E10value_typeEPSJ_NS1_7vsmem_tEENKUlT_SH_SI_SJ_E_clIPiSB_SC_SC_EESG_SW_SH_SI_SJ_EUlSW_E0_NS1_11comp_targetILNS1_3genE8ELNS1_11target_archE1030ELNS1_3gpuE2ELNS1_3repE0EEENS1_38merge_mergepath_config_static_selectorELNS0_4arch9wavefront6targetE0EEEvSI_.numbered_sgpr, 24
	.set _ZN7rocprim17ROCPRIM_400000_NS6detail17trampoline_kernelINS0_14default_configENS1_38merge_sort_block_merge_config_selectorIiNS0_10empty_typeEEEZZNS1_27merge_sort_block_merge_implIS3_N6thrust23THRUST_200600_302600_NS10device_ptrIiEEPS5_jNS1_19radix_merge_compareILb0ELb1EiNS0_19identity_decomposerEEEEE10hipError_tT0_T1_T2_jT3_P12ihipStream_tbPNSt15iterator_traitsISH_E10value_typeEPNSN_ISI_E10value_typeEPSJ_NS1_7vsmem_tEENKUlT_SH_SI_SJ_E_clIPiSB_SC_SC_EESG_SW_SH_SI_SJ_EUlSW_E0_NS1_11comp_targetILNS1_3genE8ELNS1_11target_archE1030ELNS1_3gpuE2ELNS1_3repE0EEENS1_38merge_mergepath_config_static_selectorELNS0_4arch9wavefront6targetE0EEEvSI_.num_named_barrier, 0
	.set _ZN7rocprim17ROCPRIM_400000_NS6detail17trampoline_kernelINS0_14default_configENS1_38merge_sort_block_merge_config_selectorIiNS0_10empty_typeEEEZZNS1_27merge_sort_block_merge_implIS3_N6thrust23THRUST_200600_302600_NS10device_ptrIiEEPS5_jNS1_19radix_merge_compareILb0ELb1EiNS0_19identity_decomposerEEEEE10hipError_tT0_T1_T2_jT3_P12ihipStream_tbPNSt15iterator_traitsISH_E10value_typeEPNSN_ISI_E10value_typeEPSJ_NS1_7vsmem_tEENKUlT_SH_SI_SJ_E_clIPiSB_SC_SC_EESG_SW_SH_SI_SJ_EUlSW_E0_NS1_11comp_targetILNS1_3genE8ELNS1_11target_archE1030ELNS1_3gpuE2ELNS1_3repE0EEENS1_38merge_mergepath_config_static_selectorELNS0_4arch9wavefront6targetE0EEEvSI_.private_seg_size, 0
	.set _ZN7rocprim17ROCPRIM_400000_NS6detail17trampoline_kernelINS0_14default_configENS1_38merge_sort_block_merge_config_selectorIiNS0_10empty_typeEEEZZNS1_27merge_sort_block_merge_implIS3_N6thrust23THRUST_200600_302600_NS10device_ptrIiEEPS5_jNS1_19radix_merge_compareILb0ELb1EiNS0_19identity_decomposerEEEEE10hipError_tT0_T1_T2_jT3_P12ihipStream_tbPNSt15iterator_traitsISH_E10value_typeEPNSN_ISI_E10value_typeEPSJ_NS1_7vsmem_tEENKUlT_SH_SI_SJ_E_clIPiSB_SC_SC_EESG_SW_SH_SI_SJ_EUlSW_E0_NS1_11comp_targetILNS1_3genE8ELNS1_11target_archE1030ELNS1_3gpuE2ELNS1_3repE0EEENS1_38merge_mergepath_config_static_selectorELNS0_4arch9wavefront6targetE0EEEvSI_.uses_vcc, 1
	.set _ZN7rocprim17ROCPRIM_400000_NS6detail17trampoline_kernelINS0_14default_configENS1_38merge_sort_block_merge_config_selectorIiNS0_10empty_typeEEEZZNS1_27merge_sort_block_merge_implIS3_N6thrust23THRUST_200600_302600_NS10device_ptrIiEEPS5_jNS1_19radix_merge_compareILb0ELb1EiNS0_19identity_decomposerEEEEE10hipError_tT0_T1_T2_jT3_P12ihipStream_tbPNSt15iterator_traitsISH_E10value_typeEPNSN_ISI_E10value_typeEPSJ_NS1_7vsmem_tEENKUlT_SH_SI_SJ_E_clIPiSB_SC_SC_EESG_SW_SH_SI_SJ_EUlSW_E0_NS1_11comp_targetILNS1_3genE8ELNS1_11target_archE1030ELNS1_3gpuE2ELNS1_3repE0EEENS1_38merge_mergepath_config_static_selectorELNS0_4arch9wavefront6targetE0EEEvSI_.uses_flat_scratch, 0
	.set _ZN7rocprim17ROCPRIM_400000_NS6detail17trampoline_kernelINS0_14default_configENS1_38merge_sort_block_merge_config_selectorIiNS0_10empty_typeEEEZZNS1_27merge_sort_block_merge_implIS3_N6thrust23THRUST_200600_302600_NS10device_ptrIiEEPS5_jNS1_19radix_merge_compareILb0ELb1EiNS0_19identity_decomposerEEEEE10hipError_tT0_T1_T2_jT3_P12ihipStream_tbPNSt15iterator_traitsISH_E10value_typeEPNSN_ISI_E10value_typeEPSJ_NS1_7vsmem_tEENKUlT_SH_SI_SJ_E_clIPiSB_SC_SC_EESG_SW_SH_SI_SJ_EUlSW_E0_NS1_11comp_targetILNS1_3genE8ELNS1_11target_archE1030ELNS1_3gpuE2ELNS1_3repE0EEENS1_38merge_mergepath_config_static_selectorELNS0_4arch9wavefront6targetE0EEEvSI_.has_dyn_sized_stack, 0
	.set _ZN7rocprim17ROCPRIM_400000_NS6detail17trampoline_kernelINS0_14default_configENS1_38merge_sort_block_merge_config_selectorIiNS0_10empty_typeEEEZZNS1_27merge_sort_block_merge_implIS3_N6thrust23THRUST_200600_302600_NS10device_ptrIiEEPS5_jNS1_19radix_merge_compareILb0ELb1EiNS0_19identity_decomposerEEEEE10hipError_tT0_T1_T2_jT3_P12ihipStream_tbPNSt15iterator_traitsISH_E10value_typeEPNSN_ISI_E10value_typeEPSJ_NS1_7vsmem_tEENKUlT_SH_SI_SJ_E_clIPiSB_SC_SC_EESG_SW_SH_SI_SJ_EUlSW_E0_NS1_11comp_targetILNS1_3genE8ELNS1_11target_archE1030ELNS1_3gpuE2ELNS1_3repE0EEENS1_38merge_mergepath_config_static_selectorELNS0_4arch9wavefront6targetE0EEEvSI_.has_recursion, 0
	.set _ZN7rocprim17ROCPRIM_400000_NS6detail17trampoline_kernelINS0_14default_configENS1_38merge_sort_block_merge_config_selectorIiNS0_10empty_typeEEEZZNS1_27merge_sort_block_merge_implIS3_N6thrust23THRUST_200600_302600_NS10device_ptrIiEEPS5_jNS1_19radix_merge_compareILb0ELb1EiNS0_19identity_decomposerEEEEE10hipError_tT0_T1_T2_jT3_P12ihipStream_tbPNSt15iterator_traitsISH_E10value_typeEPNSN_ISI_E10value_typeEPSJ_NS1_7vsmem_tEENKUlT_SH_SI_SJ_E_clIPiSB_SC_SC_EESG_SW_SH_SI_SJ_EUlSW_E0_NS1_11comp_targetILNS1_3genE8ELNS1_11target_archE1030ELNS1_3gpuE2ELNS1_3repE0EEENS1_38merge_mergepath_config_static_selectorELNS0_4arch9wavefront6targetE0EEEvSI_.has_indirect_call, 0
	.section	.AMDGPU.csdata,"",@progbits
; Kernel info:
; codeLenInByte = 1464
; TotalNumSgprs: 26
; NumVgprs: 14
; ScratchSize: 0
; MemoryBound: 0
; FloatMode: 240
; IeeeMode: 1
; LDSByteSize: 4224 bytes/workgroup (compile time only)
; SGPRBlocks: 0
; VGPRBlocks: 1
; NumSGPRsForWavesPerEU: 26
; NumVGPRsForWavesPerEU: 14
; Occupancy: 16
; WaveLimiterHint : 1
; COMPUTE_PGM_RSRC2:SCRATCH_EN: 0
; COMPUTE_PGM_RSRC2:USER_SGPR: 6
; COMPUTE_PGM_RSRC2:TRAP_HANDLER: 0
; COMPUTE_PGM_RSRC2:TGID_X_EN: 1
; COMPUTE_PGM_RSRC2:TGID_Y_EN: 1
; COMPUTE_PGM_RSRC2:TGID_Z_EN: 1
; COMPUTE_PGM_RSRC2:TIDIG_COMP_CNT: 0
	.section	.text._ZN7rocprim17ROCPRIM_400000_NS6detail17trampoline_kernelINS0_14default_configENS1_38merge_sort_block_merge_config_selectorIiNS0_10empty_typeEEEZZNS1_27merge_sort_block_merge_implIS3_N6thrust23THRUST_200600_302600_NS10device_ptrIiEEPS5_jNS1_19radix_merge_compareILb0ELb1EiNS0_19identity_decomposerEEEEE10hipError_tT0_T1_T2_jT3_P12ihipStream_tbPNSt15iterator_traitsISH_E10value_typeEPNSN_ISI_E10value_typeEPSJ_NS1_7vsmem_tEENKUlT_SH_SI_SJ_E_clIPiSB_SC_SC_EESG_SW_SH_SI_SJ_EUlSW_E1_NS1_11comp_targetILNS1_3genE0ELNS1_11target_archE4294967295ELNS1_3gpuE0ELNS1_3repE0EEENS1_36merge_oddeven_config_static_selectorELNS0_4arch9wavefront6targetE0EEEvSI_,"axG",@progbits,_ZN7rocprim17ROCPRIM_400000_NS6detail17trampoline_kernelINS0_14default_configENS1_38merge_sort_block_merge_config_selectorIiNS0_10empty_typeEEEZZNS1_27merge_sort_block_merge_implIS3_N6thrust23THRUST_200600_302600_NS10device_ptrIiEEPS5_jNS1_19radix_merge_compareILb0ELb1EiNS0_19identity_decomposerEEEEE10hipError_tT0_T1_T2_jT3_P12ihipStream_tbPNSt15iterator_traitsISH_E10value_typeEPNSN_ISI_E10value_typeEPSJ_NS1_7vsmem_tEENKUlT_SH_SI_SJ_E_clIPiSB_SC_SC_EESG_SW_SH_SI_SJ_EUlSW_E1_NS1_11comp_targetILNS1_3genE0ELNS1_11target_archE4294967295ELNS1_3gpuE0ELNS1_3repE0EEENS1_36merge_oddeven_config_static_selectorELNS0_4arch9wavefront6targetE0EEEvSI_,comdat
	.protected	_ZN7rocprim17ROCPRIM_400000_NS6detail17trampoline_kernelINS0_14default_configENS1_38merge_sort_block_merge_config_selectorIiNS0_10empty_typeEEEZZNS1_27merge_sort_block_merge_implIS3_N6thrust23THRUST_200600_302600_NS10device_ptrIiEEPS5_jNS1_19radix_merge_compareILb0ELb1EiNS0_19identity_decomposerEEEEE10hipError_tT0_T1_T2_jT3_P12ihipStream_tbPNSt15iterator_traitsISH_E10value_typeEPNSN_ISI_E10value_typeEPSJ_NS1_7vsmem_tEENKUlT_SH_SI_SJ_E_clIPiSB_SC_SC_EESG_SW_SH_SI_SJ_EUlSW_E1_NS1_11comp_targetILNS1_3genE0ELNS1_11target_archE4294967295ELNS1_3gpuE0ELNS1_3repE0EEENS1_36merge_oddeven_config_static_selectorELNS0_4arch9wavefront6targetE0EEEvSI_ ; -- Begin function _ZN7rocprim17ROCPRIM_400000_NS6detail17trampoline_kernelINS0_14default_configENS1_38merge_sort_block_merge_config_selectorIiNS0_10empty_typeEEEZZNS1_27merge_sort_block_merge_implIS3_N6thrust23THRUST_200600_302600_NS10device_ptrIiEEPS5_jNS1_19radix_merge_compareILb0ELb1EiNS0_19identity_decomposerEEEEE10hipError_tT0_T1_T2_jT3_P12ihipStream_tbPNSt15iterator_traitsISH_E10value_typeEPNSN_ISI_E10value_typeEPSJ_NS1_7vsmem_tEENKUlT_SH_SI_SJ_E_clIPiSB_SC_SC_EESG_SW_SH_SI_SJ_EUlSW_E1_NS1_11comp_targetILNS1_3genE0ELNS1_11target_archE4294967295ELNS1_3gpuE0ELNS1_3repE0EEENS1_36merge_oddeven_config_static_selectorELNS0_4arch9wavefront6targetE0EEEvSI_
	.globl	_ZN7rocprim17ROCPRIM_400000_NS6detail17trampoline_kernelINS0_14default_configENS1_38merge_sort_block_merge_config_selectorIiNS0_10empty_typeEEEZZNS1_27merge_sort_block_merge_implIS3_N6thrust23THRUST_200600_302600_NS10device_ptrIiEEPS5_jNS1_19radix_merge_compareILb0ELb1EiNS0_19identity_decomposerEEEEE10hipError_tT0_T1_T2_jT3_P12ihipStream_tbPNSt15iterator_traitsISH_E10value_typeEPNSN_ISI_E10value_typeEPSJ_NS1_7vsmem_tEENKUlT_SH_SI_SJ_E_clIPiSB_SC_SC_EESG_SW_SH_SI_SJ_EUlSW_E1_NS1_11comp_targetILNS1_3genE0ELNS1_11target_archE4294967295ELNS1_3gpuE0ELNS1_3repE0EEENS1_36merge_oddeven_config_static_selectorELNS0_4arch9wavefront6targetE0EEEvSI_
	.p2align	8
	.type	_ZN7rocprim17ROCPRIM_400000_NS6detail17trampoline_kernelINS0_14default_configENS1_38merge_sort_block_merge_config_selectorIiNS0_10empty_typeEEEZZNS1_27merge_sort_block_merge_implIS3_N6thrust23THRUST_200600_302600_NS10device_ptrIiEEPS5_jNS1_19radix_merge_compareILb0ELb1EiNS0_19identity_decomposerEEEEE10hipError_tT0_T1_T2_jT3_P12ihipStream_tbPNSt15iterator_traitsISH_E10value_typeEPNSN_ISI_E10value_typeEPSJ_NS1_7vsmem_tEENKUlT_SH_SI_SJ_E_clIPiSB_SC_SC_EESG_SW_SH_SI_SJ_EUlSW_E1_NS1_11comp_targetILNS1_3genE0ELNS1_11target_archE4294967295ELNS1_3gpuE0ELNS1_3repE0EEENS1_36merge_oddeven_config_static_selectorELNS0_4arch9wavefront6targetE0EEEvSI_,@function
_ZN7rocprim17ROCPRIM_400000_NS6detail17trampoline_kernelINS0_14default_configENS1_38merge_sort_block_merge_config_selectorIiNS0_10empty_typeEEEZZNS1_27merge_sort_block_merge_implIS3_N6thrust23THRUST_200600_302600_NS10device_ptrIiEEPS5_jNS1_19radix_merge_compareILb0ELb1EiNS0_19identity_decomposerEEEEE10hipError_tT0_T1_T2_jT3_P12ihipStream_tbPNSt15iterator_traitsISH_E10value_typeEPNSN_ISI_E10value_typeEPSJ_NS1_7vsmem_tEENKUlT_SH_SI_SJ_E_clIPiSB_SC_SC_EESG_SW_SH_SI_SJ_EUlSW_E1_NS1_11comp_targetILNS1_3genE0ELNS1_11target_archE4294967295ELNS1_3gpuE0ELNS1_3repE0EEENS1_36merge_oddeven_config_static_selectorELNS0_4arch9wavefront6targetE0EEEvSI_: ; @_ZN7rocprim17ROCPRIM_400000_NS6detail17trampoline_kernelINS0_14default_configENS1_38merge_sort_block_merge_config_selectorIiNS0_10empty_typeEEEZZNS1_27merge_sort_block_merge_implIS3_N6thrust23THRUST_200600_302600_NS10device_ptrIiEEPS5_jNS1_19radix_merge_compareILb0ELb1EiNS0_19identity_decomposerEEEEE10hipError_tT0_T1_T2_jT3_P12ihipStream_tbPNSt15iterator_traitsISH_E10value_typeEPNSN_ISI_E10value_typeEPSJ_NS1_7vsmem_tEENKUlT_SH_SI_SJ_E_clIPiSB_SC_SC_EESG_SW_SH_SI_SJ_EUlSW_E1_NS1_11comp_targetILNS1_3genE0ELNS1_11target_archE4294967295ELNS1_3gpuE0ELNS1_3repE0EEENS1_36merge_oddeven_config_static_selectorELNS0_4arch9wavefront6targetE0EEEvSI_
; %bb.0:
	.section	.rodata,"a",@progbits
	.p2align	6, 0x0
	.amdhsa_kernel _ZN7rocprim17ROCPRIM_400000_NS6detail17trampoline_kernelINS0_14default_configENS1_38merge_sort_block_merge_config_selectorIiNS0_10empty_typeEEEZZNS1_27merge_sort_block_merge_implIS3_N6thrust23THRUST_200600_302600_NS10device_ptrIiEEPS5_jNS1_19radix_merge_compareILb0ELb1EiNS0_19identity_decomposerEEEEE10hipError_tT0_T1_T2_jT3_P12ihipStream_tbPNSt15iterator_traitsISH_E10value_typeEPNSN_ISI_E10value_typeEPSJ_NS1_7vsmem_tEENKUlT_SH_SI_SJ_E_clIPiSB_SC_SC_EESG_SW_SH_SI_SJ_EUlSW_E1_NS1_11comp_targetILNS1_3genE0ELNS1_11target_archE4294967295ELNS1_3gpuE0ELNS1_3repE0EEENS1_36merge_oddeven_config_static_selectorELNS0_4arch9wavefront6targetE0EEEvSI_
		.amdhsa_group_segment_fixed_size 0
		.amdhsa_private_segment_fixed_size 0
		.amdhsa_kernarg_size 48
		.amdhsa_user_sgpr_count 6
		.amdhsa_user_sgpr_private_segment_buffer 1
		.amdhsa_user_sgpr_dispatch_ptr 0
		.amdhsa_user_sgpr_queue_ptr 0
		.amdhsa_user_sgpr_kernarg_segment_ptr 1
		.amdhsa_user_sgpr_dispatch_id 0
		.amdhsa_user_sgpr_flat_scratch_init 0
		.amdhsa_user_sgpr_private_segment_size 0
		.amdhsa_wavefront_size32 1
		.amdhsa_uses_dynamic_stack 0
		.amdhsa_system_sgpr_private_segment_wavefront_offset 0
		.amdhsa_system_sgpr_workgroup_id_x 1
		.amdhsa_system_sgpr_workgroup_id_y 0
		.amdhsa_system_sgpr_workgroup_id_z 0
		.amdhsa_system_sgpr_workgroup_info 0
		.amdhsa_system_vgpr_workitem_id 0
		.amdhsa_next_free_vgpr 1
		.amdhsa_next_free_sgpr 1
		.amdhsa_reserve_vcc 0
		.amdhsa_reserve_flat_scratch 0
		.amdhsa_float_round_mode_32 0
		.amdhsa_float_round_mode_16_64 0
		.amdhsa_float_denorm_mode_32 3
		.amdhsa_float_denorm_mode_16_64 3
		.amdhsa_dx10_clamp 1
		.amdhsa_ieee_mode 1
		.amdhsa_fp16_overflow 0
		.amdhsa_workgroup_processor_mode 1
		.amdhsa_memory_ordered 1
		.amdhsa_forward_progress 1
		.amdhsa_shared_vgpr_count 0
		.amdhsa_exception_fp_ieee_invalid_op 0
		.amdhsa_exception_fp_denorm_src 0
		.amdhsa_exception_fp_ieee_div_zero 0
		.amdhsa_exception_fp_ieee_overflow 0
		.amdhsa_exception_fp_ieee_underflow 0
		.amdhsa_exception_fp_ieee_inexact 0
		.amdhsa_exception_int_div_zero 0
	.end_amdhsa_kernel
	.section	.text._ZN7rocprim17ROCPRIM_400000_NS6detail17trampoline_kernelINS0_14default_configENS1_38merge_sort_block_merge_config_selectorIiNS0_10empty_typeEEEZZNS1_27merge_sort_block_merge_implIS3_N6thrust23THRUST_200600_302600_NS10device_ptrIiEEPS5_jNS1_19radix_merge_compareILb0ELb1EiNS0_19identity_decomposerEEEEE10hipError_tT0_T1_T2_jT3_P12ihipStream_tbPNSt15iterator_traitsISH_E10value_typeEPNSN_ISI_E10value_typeEPSJ_NS1_7vsmem_tEENKUlT_SH_SI_SJ_E_clIPiSB_SC_SC_EESG_SW_SH_SI_SJ_EUlSW_E1_NS1_11comp_targetILNS1_3genE0ELNS1_11target_archE4294967295ELNS1_3gpuE0ELNS1_3repE0EEENS1_36merge_oddeven_config_static_selectorELNS0_4arch9wavefront6targetE0EEEvSI_,"axG",@progbits,_ZN7rocprim17ROCPRIM_400000_NS6detail17trampoline_kernelINS0_14default_configENS1_38merge_sort_block_merge_config_selectorIiNS0_10empty_typeEEEZZNS1_27merge_sort_block_merge_implIS3_N6thrust23THRUST_200600_302600_NS10device_ptrIiEEPS5_jNS1_19radix_merge_compareILb0ELb1EiNS0_19identity_decomposerEEEEE10hipError_tT0_T1_T2_jT3_P12ihipStream_tbPNSt15iterator_traitsISH_E10value_typeEPNSN_ISI_E10value_typeEPSJ_NS1_7vsmem_tEENKUlT_SH_SI_SJ_E_clIPiSB_SC_SC_EESG_SW_SH_SI_SJ_EUlSW_E1_NS1_11comp_targetILNS1_3genE0ELNS1_11target_archE4294967295ELNS1_3gpuE0ELNS1_3repE0EEENS1_36merge_oddeven_config_static_selectorELNS0_4arch9wavefront6targetE0EEEvSI_,comdat
.Lfunc_end1185:
	.size	_ZN7rocprim17ROCPRIM_400000_NS6detail17trampoline_kernelINS0_14default_configENS1_38merge_sort_block_merge_config_selectorIiNS0_10empty_typeEEEZZNS1_27merge_sort_block_merge_implIS3_N6thrust23THRUST_200600_302600_NS10device_ptrIiEEPS5_jNS1_19radix_merge_compareILb0ELb1EiNS0_19identity_decomposerEEEEE10hipError_tT0_T1_T2_jT3_P12ihipStream_tbPNSt15iterator_traitsISH_E10value_typeEPNSN_ISI_E10value_typeEPSJ_NS1_7vsmem_tEENKUlT_SH_SI_SJ_E_clIPiSB_SC_SC_EESG_SW_SH_SI_SJ_EUlSW_E1_NS1_11comp_targetILNS1_3genE0ELNS1_11target_archE4294967295ELNS1_3gpuE0ELNS1_3repE0EEENS1_36merge_oddeven_config_static_selectorELNS0_4arch9wavefront6targetE0EEEvSI_, .Lfunc_end1185-_ZN7rocprim17ROCPRIM_400000_NS6detail17trampoline_kernelINS0_14default_configENS1_38merge_sort_block_merge_config_selectorIiNS0_10empty_typeEEEZZNS1_27merge_sort_block_merge_implIS3_N6thrust23THRUST_200600_302600_NS10device_ptrIiEEPS5_jNS1_19radix_merge_compareILb0ELb1EiNS0_19identity_decomposerEEEEE10hipError_tT0_T1_T2_jT3_P12ihipStream_tbPNSt15iterator_traitsISH_E10value_typeEPNSN_ISI_E10value_typeEPSJ_NS1_7vsmem_tEENKUlT_SH_SI_SJ_E_clIPiSB_SC_SC_EESG_SW_SH_SI_SJ_EUlSW_E1_NS1_11comp_targetILNS1_3genE0ELNS1_11target_archE4294967295ELNS1_3gpuE0ELNS1_3repE0EEENS1_36merge_oddeven_config_static_selectorELNS0_4arch9wavefront6targetE0EEEvSI_
                                        ; -- End function
	.set _ZN7rocprim17ROCPRIM_400000_NS6detail17trampoline_kernelINS0_14default_configENS1_38merge_sort_block_merge_config_selectorIiNS0_10empty_typeEEEZZNS1_27merge_sort_block_merge_implIS3_N6thrust23THRUST_200600_302600_NS10device_ptrIiEEPS5_jNS1_19radix_merge_compareILb0ELb1EiNS0_19identity_decomposerEEEEE10hipError_tT0_T1_T2_jT3_P12ihipStream_tbPNSt15iterator_traitsISH_E10value_typeEPNSN_ISI_E10value_typeEPSJ_NS1_7vsmem_tEENKUlT_SH_SI_SJ_E_clIPiSB_SC_SC_EESG_SW_SH_SI_SJ_EUlSW_E1_NS1_11comp_targetILNS1_3genE0ELNS1_11target_archE4294967295ELNS1_3gpuE0ELNS1_3repE0EEENS1_36merge_oddeven_config_static_selectorELNS0_4arch9wavefront6targetE0EEEvSI_.num_vgpr, 0
	.set _ZN7rocprim17ROCPRIM_400000_NS6detail17trampoline_kernelINS0_14default_configENS1_38merge_sort_block_merge_config_selectorIiNS0_10empty_typeEEEZZNS1_27merge_sort_block_merge_implIS3_N6thrust23THRUST_200600_302600_NS10device_ptrIiEEPS5_jNS1_19radix_merge_compareILb0ELb1EiNS0_19identity_decomposerEEEEE10hipError_tT0_T1_T2_jT3_P12ihipStream_tbPNSt15iterator_traitsISH_E10value_typeEPNSN_ISI_E10value_typeEPSJ_NS1_7vsmem_tEENKUlT_SH_SI_SJ_E_clIPiSB_SC_SC_EESG_SW_SH_SI_SJ_EUlSW_E1_NS1_11comp_targetILNS1_3genE0ELNS1_11target_archE4294967295ELNS1_3gpuE0ELNS1_3repE0EEENS1_36merge_oddeven_config_static_selectorELNS0_4arch9wavefront6targetE0EEEvSI_.num_agpr, 0
	.set _ZN7rocprim17ROCPRIM_400000_NS6detail17trampoline_kernelINS0_14default_configENS1_38merge_sort_block_merge_config_selectorIiNS0_10empty_typeEEEZZNS1_27merge_sort_block_merge_implIS3_N6thrust23THRUST_200600_302600_NS10device_ptrIiEEPS5_jNS1_19radix_merge_compareILb0ELb1EiNS0_19identity_decomposerEEEEE10hipError_tT0_T1_T2_jT3_P12ihipStream_tbPNSt15iterator_traitsISH_E10value_typeEPNSN_ISI_E10value_typeEPSJ_NS1_7vsmem_tEENKUlT_SH_SI_SJ_E_clIPiSB_SC_SC_EESG_SW_SH_SI_SJ_EUlSW_E1_NS1_11comp_targetILNS1_3genE0ELNS1_11target_archE4294967295ELNS1_3gpuE0ELNS1_3repE0EEENS1_36merge_oddeven_config_static_selectorELNS0_4arch9wavefront6targetE0EEEvSI_.numbered_sgpr, 0
	.set _ZN7rocprim17ROCPRIM_400000_NS6detail17trampoline_kernelINS0_14default_configENS1_38merge_sort_block_merge_config_selectorIiNS0_10empty_typeEEEZZNS1_27merge_sort_block_merge_implIS3_N6thrust23THRUST_200600_302600_NS10device_ptrIiEEPS5_jNS1_19radix_merge_compareILb0ELb1EiNS0_19identity_decomposerEEEEE10hipError_tT0_T1_T2_jT3_P12ihipStream_tbPNSt15iterator_traitsISH_E10value_typeEPNSN_ISI_E10value_typeEPSJ_NS1_7vsmem_tEENKUlT_SH_SI_SJ_E_clIPiSB_SC_SC_EESG_SW_SH_SI_SJ_EUlSW_E1_NS1_11comp_targetILNS1_3genE0ELNS1_11target_archE4294967295ELNS1_3gpuE0ELNS1_3repE0EEENS1_36merge_oddeven_config_static_selectorELNS0_4arch9wavefront6targetE0EEEvSI_.num_named_barrier, 0
	.set _ZN7rocprim17ROCPRIM_400000_NS6detail17trampoline_kernelINS0_14default_configENS1_38merge_sort_block_merge_config_selectorIiNS0_10empty_typeEEEZZNS1_27merge_sort_block_merge_implIS3_N6thrust23THRUST_200600_302600_NS10device_ptrIiEEPS5_jNS1_19radix_merge_compareILb0ELb1EiNS0_19identity_decomposerEEEEE10hipError_tT0_T1_T2_jT3_P12ihipStream_tbPNSt15iterator_traitsISH_E10value_typeEPNSN_ISI_E10value_typeEPSJ_NS1_7vsmem_tEENKUlT_SH_SI_SJ_E_clIPiSB_SC_SC_EESG_SW_SH_SI_SJ_EUlSW_E1_NS1_11comp_targetILNS1_3genE0ELNS1_11target_archE4294967295ELNS1_3gpuE0ELNS1_3repE0EEENS1_36merge_oddeven_config_static_selectorELNS0_4arch9wavefront6targetE0EEEvSI_.private_seg_size, 0
	.set _ZN7rocprim17ROCPRIM_400000_NS6detail17trampoline_kernelINS0_14default_configENS1_38merge_sort_block_merge_config_selectorIiNS0_10empty_typeEEEZZNS1_27merge_sort_block_merge_implIS3_N6thrust23THRUST_200600_302600_NS10device_ptrIiEEPS5_jNS1_19radix_merge_compareILb0ELb1EiNS0_19identity_decomposerEEEEE10hipError_tT0_T1_T2_jT3_P12ihipStream_tbPNSt15iterator_traitsISH_E10value_typeEPNSN_ISI_E10value_typeEPSJ_NS1_7vsmem_tEENKUlT_SH_SI_SJ_E_clIPiSB_SC_SC_EESG_SW_SH_SI_SJ_EUlSW_E1_NS1_11comp_targetILNS1_3genE0ELNS1_11target_archE4294967295ELNS1_3gpuE0ELNS1_3repE0EEENS1_36merge_oddeven_config_static_selectorELNS0_4arch9wavefront6targetE0EEEvSI_.uses_vcc, 0
	.set _ZN7rocprim17ROCPRIM_400000_NS6detail17trampoline_kernelINS0_14default_configENS1_38merge_sort_block_merge_config_selectorIiNS0_10empty_typeEEEZZNS1_27merge_sort_block_merge_implIS3_N6thrust23THRUST_200600_302600_NS10device_ptrIiEEPS5_jNS1_19radix_merge_compareILb0ELb1EiNS0_19identity_decomposerEEEEE10hipError_tT0_T1_T2_jT3_P12ihipStream_tbPNSt15iterator_traitsISH_E10value_typeEPNSN_ISI_E10value_typeEPSJ_NS1_7vsmem_tEENKUlT_SH_SI_SJ_E_clIPiSB_SC_SC_EESG_SW_SH_SI_SJ_EUlSW_E1_NS1_11comp_targetILNS1_3genE0ELNS1_11target_archE4294967295ELNS1_3gpuE0ELNS1_3repE0EEENS1_36merge_oddeven_config_static_selectorELNS0_4arch9wavefront6targetE0EEEvSI_.uses_flat_scratch, 0
	.set _ZN7rocprim17ROCPRIM_400000_NS6detail17trampoline_kernelINS0_14default_configENS1_38merge_sort_block_merge_config_selectorIiNS0_10empty_typeEEEZZNS1_27merge_sort_block_merge_implIS3_N6thrust23THRUST_200600_302600_NS10device_ptrIiEEPS5_jNS1_19radix_merge_compareILb0ELb1EiNS0_19identity_decomposerEEEEE10hipError_tT0_T1_T2_jT3_P12ihipStream_tbPNSt15iterator_traitsISH_E10value_typeEPNSN_ISI_E10value_typeEPSJ_NS1_7vsmem_tEENKUlT_SH_SI_SJ_E_clIPiSB_SC_SC_EESG_SW_SH_SI_SJ_EUlSW_E1_NS1_11comp_targetILNS1_3genE0ELNS1_11target_archE4294967295ELNS1_3gpuE0ELNS1_3repE0EEENS1_36merge_oddeven_config_static_selectorELNS0_4arch9wavefront6targetE0EEEvSI_.has_dyn_sized_stack, 0
	.set _ZN7rocprim17ROCPRIM_400000_NS6detail17trampoline_kernelINS0_14default_configENS1_38merge_sort_block_merge_config_selectorIiNS0_10empty_typeEEEZZNS1_27merge_sort_block_merge_implIS3_N6thrust23THRUST_200600_302600_NS10device_ptrIiEEPS5_jNS1_19radix_merge_compareILb0ELb1EiNS0_19identity_decomposerEEEEE10hipError_tT0_T1_T2_jT3_P12ihipStream_tbPNSt15iterator_traitsISH_E10value_typeEPNSN_ISI_E10value_typeEPSJ_NS1_7vsmem_tEENKUlT_SH_SI_SJ_E_clIPiSB_SC_SC_EESG_SW_SH_SI_SJ_EUlSW_E1_NS1_11comp_targetILNS1_3genE0ELNS1_11target_archE4294967295ELNS1_3gpuE0ELNS1_3repE0EEENS1_36merge_oddeven_config_static_selectorELNS0_4arch9wavefront6targetE0EEEvSI_.has_recursion, 0
	.set _ZN7rocprim17ROCPRIM_400000_NS6detail17trampoline_kernelINS0_14default_configENS1_38merge_sort_block_merge_config_selectorIiNS0_10empty_typeEEEZZNS1_27merge_sort_block_merge_implIS3_N6thrust23THRUST_200600_302600_NS10device_ptrIiEEPS5_jNS1_19radix_merge_compareILb0ELb1EiNS0_19identity_decomposerEEEEE10hipError_tT0_T1_T2_jT3_P12ihipStream_tbPNSt15iterator_traitsISH_E10value_typeEPNSN_ISI_E10value_typeEPSJ_NS1_7vsmem_tEENKUlT_SH_SI_SJ_E_clIPiSB_SC_SC_EESG_SW_SH_SI_SJ_EUlSW_E1_NS1_11comp_targetILNS1_3genE0ELNS1_11target_archE4294967295ELNS1_3gpuE0ELNS1_3repE0EEENS1_36merge_oddeven_config_static_selectorELNS0_4arch9wavefront6targetE0EEEvSI_.has_indirect_call, 0
	.section	.AMDGPU.csdata,"",@progbits
; Kernel info:
; codeLenInByte = 0
; TotalNumSgprs: 0
; NumVgprs: 0
; ScratchSize: 0
; MemoryBound: 0
; FloatMode: 240
; IeeeMode: 1
; LDSByteSize: 0 bytes/workgroup (compile time only)
; SGPRBlocks: 0
; VGPRBlocks: 0
; NumSGPRsForWavesPerEU: 1
; NumVGPRsForWavesPerEU: 1
; Occupancy: 16
; WaveLimiterHint : 0
; COMPUTE_PGM_RSRC2:SCRATCH_EN: 0
; COMPUTE_PGM_RSRC2:USER_SGPR: 6
; COMPUTE_PGM_RSRC2:TRAP_HANDLER: 0
; COMPUTE_PGM_RSRC2:TGID_X_EN: 1
; COMPUTE_PGM_RSRC2:TGID_Y_EN: 0
; COMPUTE_PGM_RSRC2:TGID_Z_EN: 0
; COMPUTE_PGM_RSRC2:TIDIG_COMP_CNT: 0
	.section	.text._ZN7rocprim17ROCPRIM_400000_NS6detail17trampoline_kernelINS0_14default_configENS1_38merge_sort_block_merge_config_selectorIiNS0_10empty_typeEEEZZNS1_27merge_sort_block_merge_implIS3_N6thrust23THRUST_200600_302600_NS10device_ptrIiEEPS5_jNS1_19radix_merge_compareILb0ELb1EiNS0_19identity_decomposerEEEEE10hipError_tT0_T1_T2_jT3_P12ihipStream_tbPNSt15iterator_traitsISH_E10value_typeEPNSN_ISI_E10value_typeEPSJ_NS1_7vsmem_tEENKUlT_SH_SI_SJ_E_clIPiSB_SC_SC_EESG_SW_SH_SI_SJ_EUlSW_E1_NS1_11comp_targetILNS1_3genE10ELNS1_11target_archE1201ELNS1_3gpuE5ELNS1_3repE0EEENS1_36merge_oddeven_config_static_selectorELNS0_4arch9wavefront6targetE0EEEvSI_,"axG",@progbits,_ZN7rocprim17ROCPRIM_400000_NS6detail17trampoline_kernelINS0_14default_configENS1_38merge_sort_block_merge_config_selectorIiNS0_10empty_typeEEEZZNS1_27merge_sort_block_merge_implIS3_N6thrust23THRUST_200600_302600_NS10device_ptrIiEEPS5_jNS1_19radix_merge_compareILb0ELb1EiNS0_19identity_decomposerEEEEE10hipError_tT0_T1_T2_jT3_P12ihipStream_tbPNSt15iterator_traitsISH_E10value_typeEPNSN_ISI_E10value_typeEPSJ_NS1_7vsmem_tEENKUlT_SH_SI_SJ_E_clIPiSB_SC_SC_EESG_SW_SH_SI_SJ_EUlSW_E1_NS1_11comp_targetILNS1_3genE10ELNS1_11target_archE1201ELNS1_3gpuE5ELNS1_3repE0EEENS1_36merge_oddeven_config_static_selectorELNS0_4arch9wavefront6targetE0EEEvSI_,comdat
	.protected	_ZN7rocprim17ROCPRIM_400000_NS6detail17trampoline_kernelINS0_14default_configENS1_38merge_sort_block_merge_config_selectorIiNS0_10empty_typeEEEZZNS1_27merge_sort_block_merge_implIS3_N6thrust23THRUST_200600_302600_NS10device_ptrIiEEPS5_jNS1_19radix_merge_compareILb0ELb1EiNS0_19identity_decomposerEEEEE10hipError_tT0_T1_T2_jT3_P12ihipStream_tbPNSt15iterator_traitsISH_E10value_typeEPNSN_ISI_E10value_typeEPSJ_NS1_7vsmem_tEENKUlT_SH_SI_SJ_E_clIPiSB_SC_SC_EESG_SW_SH_SI_SJ_EUlSW_E1_NS1_11comp_targetILNS1_3genE10ELNS1_11target_archE1201ELNS1_3gpuE5ELNS1_3repE0EEENS1_36merge_oddeven_config_static_selectorELNS0_4arch9wavefront6targetE0EEEvSI_ ; -- Begin function _ZN7rocprim17ROCPRIM_400000_NS6detail17trampoline_kernelINS0_14default_configENS1_38merge_sort_block_merge_config_selectorIiNS0_10empty_typeEEEZZNS1_27merge_sort_block_merge_implIS3_N6thrust23THRUST_200600_302600_NS10device_ptrIiEEPS5_jNS1_19radix_merge_compareILb0ELb1EiNS0_19identity_decomposerEEEEE10hipError_tT0_T1_T2_jT3_P12ihipStream_tbPNSt15iterator_traitsISH_E10value_typeEPNSN_ISI_E10value_typeEPSJ_NS1_7vsmem_tEENKUlT_SH_SI_SJ_E_clIPiSB_SC_SC_EESG_SW_SH_SI_SJ_EUlSW_E1_NS1_11comp_targetILNS1_3genE10ELNS1_11target_archE1201ELNS1_3gpuE5ELNS1_3repE0EEENS1_36merge_oddeven_config_static_selectorELNS0_4arch9wavefront6targetE0EEEvSI_
	.globl	_ZN7rocprim17ROCPRIM_400000_NS6detail17trampoline_kernelINS0_14default_configENS1_38merge_sort_block_merge_config_selectorIiNS0_10empty_typeEEEZZNS1_27merge_sort_block_merge_implIS3_N6thrust23THRUST_200600_302600_NS10device_ptrIiEEPS5_jNS1_19radix_merge_compareILb0ELb1EiNS0_19identity_decomposerEEEEE10hipError_tT0_T1_T2_jT3_P12ihipStream_tbPNSt15iterator_traitsISH_E10value_typeEPNSN_ISI_E10value_typeEPSJ_NS1_7vsmem_tEENKUlT_SH_SI_SJ_E_clIPiSB_SC_SC_EESG_SW_SH_SI_SJ_EUlSW_E1_NS1_11comp_targetILNS1_3genE10ELNS1_11target_archE1201ELNS1_3gpuE5ELNS1_3repE0EEENS1_36merge_oddeven_config_static_selectorELNS0_4arch9wavefront6targetE0EEEvSI_
	.p2align	8
	.type	_ZN7rocprim17ROCPRIM_400000_NS6detail17trampoline_kernelINS0_14default_configENS1_38merge_sort_block_merge_config_selectorIiNS0_10empty_typeEEEZZNS1_27merge_sort_block_merge_implIS3_N6thrust23THRUST_200600_302600_NS10device_ptrIiEEPS5_jNS1_19radix_merge_compareILb0ELb1EiNS0_19identity_decomposerEEEEE10hipError_tT0_T1_T2_jT3_P12ihipStream_tbPNSt15iterator_traitsISH_E10value_typeEPNSN_ISI_E10value_typeEPSJ_NS1_7vsmem_tEENKUlT_SH_SI_SJ_E_clIPiSB_SC_SC_EESG_SW_SH_SI_SJ_EUlSW_E1_NS1_11comp_targetILNS1_3genE10ELNS1_11target_archE1201ELNS1_3gpuE5ELNS1_3repE0EEENS1_36merge_oddeven_config_static_selectorELNS0_4arch9wavefront6targetE0EEEvSI_,@function
_ZN7rocprim17ROCPRIM_400000_NS6detail17trampoline_kernelINS0_14default_configENS1_38merge_sort_block_merge_config_selectorIiNS0_10empty_typeEEEZZNS1_27merge_sort_block_merge_implIS3_N6thrust23THRUST_200600_302600_NS10device_ptrIiEEPS5_jNS1_19radix_merge_compareILb0ELb1EiNS0_19identity_decomposerEEEEE10hipError_tT0_T1_T2_jT3_P12ihipStream_tbPNSt15iterator_traitsISH_E10value_typeEPNSN_ISI_E10value_typeEPSJ_NS1_7vsmem_tEENKUlT_SH_SI_SJ_E_clIPiSB_SC_SC_EESG_SW_SH_SI_SJ_EUlSW_E1_NS1_11comp_targetILNS1_3genE10ELNS1_11target_archE1201ELNS1_3gpuE5ELNS1_3repE0EEENS1_36merge_oddeven_config_static_selectorELNS0_4arch9wavefront6targetE0EEEvSI_: ; @_ZN7rocprim17ROCPRIM_400000_NS6detail17trampoline_kernelINS0_14default_configENS1_38merge_sort_block_merge_config_selectorIiNS0_10empty_typeEEEZZNS1_27merge_sort_block_merge_implIS3_N6thrust23THRUST_200600_302600_NS10device_ptrIiEEPS5_jNS1_19radix_merge_compareILb0ELb1EiNS0_19identity_decomposerEEEEE10hipError_tT0_T1_T2_jT3_P12ihipStream_tbPNSt15iterator_traitsISH_E10value_typeEPNSN_ISI_E10value_typeEPSJ_NS1_7vsmem_tEENKUlT_SH_SI_SJ_E_clIPiSB_SC_SC_EESG_SW_SH_SI_SJ_EUlSW_E1_NS1_11comp_targetILNS1_3genE10ELNS1_11target_archE1201ELNS1_3gpuE5ELNS1_3repE0EEENS1_36merge_oddeven_config_static_selectorELNS0_4arch9wavefront6targetE0EEEvSI_
; %bb.0:
	.section	.rodata,"a",@progbits
	.p2align	6, 0x0
	.amdhsa_kernel _ZN7rocprim17ROCPRIM_400000_NS6detail17trampoline_kernelINS0_14default_configENS1_38merge_sort_block_merge_config_selectorIiNS0_10empty_typeEEEZZNS1_27merge_sort_block_merge_implIS3_N6thrust23THRUST_200600_302600_NS10device_ptrIiEEPS5_jNS1_19radix_merge_compareILb0ELb1EiNS0_19identity_decomposerEEEEE10hipError_tT0_T1_T2_jT3_P12ihipStream_tbPNSt15iterator_traitsISH_E10value_typeEPNSN_ISI_E10value_typeEPSJ_NS1_7vsmem_tEENKUlT_SH_SI_SJ_E_clIPiSB_SC_SC_EESG_SW_SH_SI_SJ_EUlSW_E1_NS1_11comp_targetILNS1_3genE10ELNS1_11target_archE1201ELNS1_3gpuE5ELNS1_3repE0EEENS1_36merge_oddeven_config_static_selectorELNS0_4arch9wavefront6targetE0EEEvSI_
		.amdhsa_group_segment_fixed_size 0
		.amdhsa_private_segment_fixed_size 0
		.amdhsa_kernarg_size 48
		.amdhsa_user_sgpr_count 6
		.amdhsa_user_sgpr_private_segment_buffer 1
		.amdhsa_user_sgpr_dispatch_ptr 0
		.amdhsa_user_sgpr_queue_ptr 0
		.amdhsa_user_sgpr_kernarg_segment_ptr 1
		.amdhsa_user_sgpr_dispatch_id 0
		.amdhsa_user_sgpr_flat_scratch_init 0
		.amdhsa_user_sgpr_private_segment_size 0
		.amdhsa_wavefront_size32 1
		.amdhsa_uses_dynamic_stack 0
		.amdhsa_system_sgpr_private_segment_wavefront_offset 0
		.amdhsa_system_sgpr_workgroup_id_x 1
		.amdhsa_system_sgpr_workgroup_id_y 0
		.amdhsa_system_sgpr_workgroup_id_z 0
		.amdhsa_system_sgpr_workgroup_info 0
		.amdhsa_system_vgpr_workitem_id 0
		.amdhsa_next_free_vgpr 1
		.amdhsa_next_free_sgpr 1
		.amdhsa_reserve_vcc 0
		.amdhsa_reserve_flat_scratch 0
		.amdhsa_float_round_mode_32 0
		.amdhsa_float_round_mode_16_64 0
		.amdhsa_float_denorm_mode_32 3
		.amdhsa_float_denorm_mode_16_64 3
		.amdhsa_dx10_clamp 1
		.amdhsa_ieee_mode 1
		.amdhsa_fp16_overflow 0
		.amdhsa_workgroup_processor_mode 1
		.amdhsa_memory_ordered 1
		.amdhsa_forward_progress 1
		.amdhsa_shared_vgpr_count 0
		.amdhsa_exception_fp_ieee_invalid_op 0
		.amdhsa_exception_fp_denorm_src 0
		.amdhsa_exception_fp_ieee_div_zero 0
		.amdhsa_exception_fp_ieee_overflow 0
		.amdhsa_exception_fp_ieee_underflow 0
		.amdhsa_exception_fp_ieee_inexact 0
		.amdhsa_exception_int_div_zero 0
	.end_amdhsa_kernel
	.section	.text._ZN7rocprim17ROCPRIM_400000_NS6detail17trampoline_kernelINS0_14default_configENS1_38merge_sort_block_merge_config_selectorIiNS0_10empty_typeEEEZZNS1_27merge_sort_block_merge_implIS3_N6thrust23THRUST_200600_302600_NS10device_ptrIiEEPS5_jNS1_19radix_merge_compareILb0ELb1EiNS0_19identity_decomposerEEEEE10hipError_tT0_T1_T2_jT3_P12ihipStream_tbPNSt15iterator_traitsISH_E10value_typeEPNSN_ISI_E10value_typeEPSJ_NS1_7vsmem_tEENKUlT_SH_SI_SJ_E_clIPiSB_SC_SC_EESG_SW_SH_SI_SJ_EUlSW_E1_NS1_11comp_targetILNS1_3genE10ELNS1_11target_archE1201ELNS1_3gpuE5ELNS1_3repE0EEENS1_36merge_oddeven_config_static_selectorELNS0_4arch9wavefront6targetE0EEEvSI_,"axG",@progbits,_ZN7rocprim17ROCPRIM_400000_NS6detail17trampoline_kernelINS0_14default_configENS1_38merge_sort_block_merge_config_selectorIiNS0_10empty_typeEEEZZNS1_27merge_sort_block_merge_implIS3_N6thrust23THRUST_200600_302600_NS10device_ptrIiEEPS5_jNS1_19radix_merge_compareILb0ELb1EiNS0_19identity_decomposerEEEEE10hipError_tT0_T1_T2_jT3_P12ihipStream_tbPNSt15iterator_traitsISH_E10value_typeEPNSN_ISI_E10value_typeEPSJ_NS1_7vsmem_tEENKUlT_SH_SI_SJ_E_clIPiSB_SC_SC_EESG_SW_SH_SI_SJ_EUlSW_E1_NS1_11comp_targetILNS1_3genE10ELNS1_11target_archE1201ELNS1_3gpuE5ELNS1_3repE0EEENS1_36merge_oddeven_config_static_selectorELNS0_4arch9wavefront6targetE0EEEvSI_,comdat
.Lfunc_end1186:
	.size	_ZN7rocprim17ROCPRIM_400000_NS6detail17trampoline_kernelINS0_14default_configENS1_38merge_sort_block_merge_config_selectorIiNS0_10empty_typeEEEZZNS1_27merge_sort_block_merge_implIS3_N6thrust23THRUST_200600_302600_NS10device_ptrIiEEPS5_jNS1_19radix_merge_compareILb0ELb1EiNS0_19identity_decomposerEEEEE10hipError_tT0_T1_T2_jT3_P12ihipStream_tbPNSt15iterator_traitsISH_E10value_typeEPNSN_ISI_E10value_typeEPSJ_NS1_7vsmem_tEENKUlT_SH_SI_SJ_E_clIPiSB_SC_SC_EESG_SW_SH_SI_SJ_EUlSW_E1_NS1_11comp_targetILNS1_3genE10ELNS1_11target_archE1201ELNS1_3gpuE5ELNS1_3repE0EEENS1_36merge_oddeven_config_static_selectorELNS0_4arch9wavefront6targetE0EEEvSI_, .Lfunc_end1186-_ZN7rocprim17ROCPRIM_400000_NS6detail17trampoline_kernelINS0_14default_configENS1_38merge_sort_block_merge_config_selectorIiNS0_10empty_typeEEEZZNS1_27merge_sort_block_merge_implIS3_N6thrust23THRUST_200600_302600_NS10device_ptrIiEEPS5_jNS1_19radix_merge_compareILb0ELb1EiNS0_19identity_decomposerEEEEE10hipError_tT0_T1_T2_jT3_P12ihipStream_tbPNSt15iterator_traitsISH_E10value_typeEPNSN_ISI_E10value_typeEPSJ_NS1_7vsmem_tEENKUlT_SH_SI_SJ_E_clIPiSB_SC_SC_EESG_SW_SH_SI_SJ_EUlSW_E1_NS1_11comp_targetILNS1_3genE10ELNS1_11target_archE1201ELNS1_3gpuE5ELNS1_3repE0EEENS1_36merge_oddeven_config_static_selectorELNS0_4arch9wavefront6targetE0EEEvSI_
                                        ; -- End function
	.set _ZN7rocprim17ROCPRIM_400000_NS6detail17trampoline_kernelINS0_14default_configENS1_38merge_sort_block_merge_config_selectorIiNS0_10empty_typeEEEZZNS1_27merge_sort_block_merge_implIS3_N6thrust23THRUST_200600_302600_NS10device_ptrIiEEPS5_jNS1_19radix_merge_compareILb0ELb1EiNS0_19identity_decomposerEEEEE10hipError_tT0_T1_T2_jT3_P12ihipStream_tbPNSt15iterator_traitsISH_E10value_typeEPNSN_ISI_E10value_typeEPSJ_NS1_7vsmem_tEENKUlT_SH_SI_SJ_E_clIPiSB_SC_SC_EESG_SW_SH_SI_SJ_EUlSW_E1_NS1_11comp_targetILNS1_3genE10ELNS1_11target_archE1201ELNS1_3gpuE5ELNS1_3repE0EEENS1_36merge_oddeven_config_static_selectorELNS0_4arch9wavefront6targetE0EEEvSI_.num_vgpr, 0
	.set _ZN7rocprim17ROCPRIM_400000_NS6detail17trampoline_kernelINS0_14default_configENS1_38merge_sort_block_merge_config_selectorIiNS0_10empty_typeEEEZZNS1_27merge_sort_block_merge_implIS3_N6thrust23THRUST_200600_302600_NS10device_ptrIiEEPS5_jNS1_19radix_merge_compareILb0ELb1EiNS0_19identity_decomposerEEEEE10hipError_tT0_T1_T2_jT3_P12ihipStream_tbPNSt15iterator_traitsISH_E10value_typeEPNSN_ISI_E10value_typeEPSJ_NS1_7vsmem_tEENKUlT_SH_SI_SJ_E_clIPiSB_SC_SC_EESG_SW_SH_SI_SJ_EUlSW_E1_NS1_11comp_targetILNS1_3genE10ELNS1_11target_archE1201ELNS1_3gpuE5ELNS1_3repE0EEENS1_36merge_oddeven_config_static_selectorELNS0_4arch9wavefront6targetE0EEEvSI_.num_agpr, 0
	.set _ZN7rocprim17ROCPRIM_400000_NS6detail17trampoline_kernelINS0_14default_configENS1_38merge_sort_block_merge_config_selectorIiNS0_10empty_typeEEEZZNS1_27merge_sort_block_merge_implIS3_N6thrust23THRUST_200600_302600_NS10device_ptrIiEEPS5_jNS1_19radix_merge_compareILb0ELb1EiNS0_19identity_decomposerEEEEE10hipError_tT0_T1_T2_jT3_P12ihipStream_tbPNSt15iterator_traitsISH_E10value_typeEPNSN_ISI_E10value_typeEPSJ_NS1_7vsmem_tEENKUlT_SH_SI_SJ_E_clIPiSB_SC_SC_EESG_SW_SH_SI_SJ_EUlSW_E1_NS1_11comp_targetILNS1_3genE10ELNS1_11target_archE1201ELNS1_3gpuE5ELNS1_3repE0EEENS1_36merge_oddeven_config_static_selectorELNS0_4arch9wavefront6targetE0EEEvSI_.numbered_sgpr, 0
	.set _ZN7rocprim17ROCPRIM_400000_NS6detail17trampoline_kernelINS0_14default_configENS1_38merge_sort_block_merge_config_selectorIiNS0_10empty_typeEEEZZNS1_27merge_sort_block_merge_implIS3_N6thrust23THRUST_200600_302600_NS10device_ptrIiEEPS5_jNS1_19radix_merge_compareILb0ELb1EiNS0_19identity_decomposerEEEEE10hipError_tT0_T1_T2_jT3_P12ihipStream_tbPNSt15iterator_traitsISH_E10value_typeEPNSN_ISI_E10value_typeEPSJ_NS1_7vsmem_tEENKUlT_SH_SI_SJ_E_clIPiSB_SC_SC_EESG_SW_SH_SI_SJ_EUlSW_E1_NS1_11comp_targetILNS1_3genE10ELNS1_11target_archE1201ELNS1_3gpuE5ELNS1_3repE0EEENS1_36merge_oddeven_config_static_selectorELNS0_4arch9wavefront6targetE0EEEvSI_.num_named_barrier, 0
	.set _ZN7rocprim17ROCPRIM_400000_NS6detail17trampoline_kernelINS0_14default_configENS1_38merge_sort_block_merge_config_selectorIiNS0_10empty_typeEEEZZNS1_27merge_sort_block_merge_implIS3_N6thrust23THRUST_200600_302600_NS10device_ptrIiEEPS5_jNS1_19radix_merge_compareILb0ELb1EiNS0_19identity_decomposerEEEEE10hipError_tT0_T1_T2_jT3_P12ihipStream_tbPNSt15iterator_traitsISH_E10value_typeEPNSN_ISI_E10value_typeEPSJ_NS1_7vsmem_tEENKUlT_SH_SI_SJ_E_clIPiSB_SC_SC_EESG_SW_SH_SI_SJ_EUlSW_E1_NS1_11comp_targetILNS1_3genE10ELNS1_11target_archE1201ELNS1_3gpuE5ELNS1_3repE0EEENS1_36merge_oddeven_config_static_selectorELNS0_4arch9wavefront6targetE0EEEvSI_.private_seg_size, 0
	.set _ZN7rocprim17ROCPRIM_400000_NS6detail17trampoline_kernelINS0_14default_configENS1_38merge_sort_block_merge_config_selectorIiNS0_10empty_typeEEEZZNS1_27merge_sort_block_merge_implIS3_N6thrust23THRUST_200600_302600_NS10device_ptrIiEEPS5_jNS1_19radix_merge_compareILb0ELb1EiNS0_19identity_decomposerEEEEE10hipError_tT0_T1_T2_jT3_P12ihipStream_tbPNSt15iterator_traitsISH_E10value_typeEPNSN_ISI_E10value_typeEPSJ_NS1_7vsmem_tEENKUlT_SH_SI_SJ_E_clIPiSB_SC_SC_EESG_SW_SH_SI_SJ_EUlSW_E1_NS1_11comp_targetILNS1_3genE10ELNS1_11target_archE1201ELNS1_3gpuE5ELNS1_3repE0EEENS1_36merge_oddeven_config_static_selectorELNS0_4arch9wavefront6targetE0EEEvSI_.uses_vcc, 0
	.set _ZN7rocprim17ROCPRIM_400000_NS6detail17trampoline_kernelINS0_14default_configENS1_38merge_sort_block_merge_config_selectorIiNS0_10empty_typeEEEZZNS1_27merge_sort_block_merge_implIS3_N6thrust23THRUST_200600_302600_NS10device_ptrIiEEPS5_jNS1_19radix_merge_compareILb0ELb1EiNS0_19identity_decomposerEEEEE10hipError_tT0_T1_T2_jT3_P12ihipStream_tbPNSt15iterator_traitsISH_E10value_typeEPNSN_ISI_E10value_typeEPSJ_NS1_7vsmem_tEENKUlT_SH_SI_SJ_E_clIPiSB_SC_SC_EESG_SW_SH_SI_SJ_EUlSW_E1_NS1_11comp_targetILNS1_3genE10ELNS1_11target_archE1201ELNS1_3gpuE5ELNS1_3repE0EEENS1_36merge_oddeven_config_static_selectorELNS0_4arch9wavefront6targetE0EEEvSI_.uses_flat_scratch, 0
	.set _ZN7rocprim17ROCPRIM_400000_NS6detail17trampoline_kernelINS0_14default_configENS1_38merge_sort_block_merge_config_selectorIiNS0_10empty_typeEEEZZNS1_27merge_sort_block_merge_implIS3_N6thrust23THRUST_200600_302600_NS10device_ptrIiEEPS5_jNS1_19radix_merge_compareILb0ELb1EiNS0_19identity_decomposerEEEEE10hipError_tT0_T1_T2_jT3_P12ihipStream_tbPNSt15iterator_traitsISH_E10value_typeEPNSN_ISI_E10value_typeEPSJ_NS1_7vsmem_tEENKUlT_SH_SI_SJ_E_clIPiSB_SC_SC_EESG_SW_SH_SI_SJ_EUlSW_E1_NS1_11comp_targetILNS1_3genE10ELNS1_11target_archE1201ELNS1_3gpuE5ELNS1_3repE0EEENS1_36merge_oddeven_config_static_selectorELNS0_4arch9wavefront6targetE0EEEvSI_.has_dyn_sized_stack, 0
	.set _ZN7rocprim17ROCPRIM_400000_NS6detail17trampoline_kernelINS0_14default_configENS1_38merge_sort_block_merge_config_selectorIiNS0_10empty_typeEEEZZNS1_27merge_sort_block_merge_implIS3_N6thrust23THRUST_200600_302600_NS10device_ptrIiEEPS5_jNS1_19radix_merge_compareILb0ELb1EiNS0_19identity_decomposerEEEEE10hipError_tT0_T1_T2_jT3_P12ihipStream_tbPNSt15iterator_traitsISH_E10value_typeEPNSN_ISI_E10value_typeEPSJ_NS1_7vsmem_tEENKUlT_SH_SI_SJ_E_clIPiSB_SC_SC_EESG_SW_SH_SI_SJ_EUlSW_E1_NS1_11comp_targetILNS1_3genE10ELNS1_11target_archE1201ELNS1_3gpuE5ELNS1_3repE0EEENS1_36merge_oddeven_config_static_selectorELNS0_4arch9wavefront6targetE0EEEvSI_.has_recursion, 0
	.set _ZN7rocprim17ROCPRIM_400000_NS6detail17trampoline_kernelINS0_14default_configENS1_38merge_sort_block_merge_config_selectorIiNS0_10empty_typeEEEZZNS1_27merge_sort_block_merge_implIS3_N6thrust23THRUST_200600_302600_NS10device_ptrIiEEPS5_jNS1_19radix_merge_compareILb0ELb1EiNS0_19identity_decomposerEEEEE10hipError_tT0_T1_T2_jT3_P12ihipStream_tbPNSt15iterator_traitsISH_E10value_typeEPNSN_ISI_E10value_typeEPSJ_NS1_7vsmem_tEENKUlT_SH_SI_SJ_E_clIPiSB_SC_SC_EESG_SW_SH_SI_SJ_EUlSW_E1_NS1_11comp_targetILNS1_3genE10ELNS1_11target_archE1201ELNS1_3gpuE5ELNS1_3repE0EEENS1_36merge_oddeven_config_static_selectorELNS0_4arch9wavefront6targetE0EEEvSI_.has_indirect_call, 0
	.section	.AMDGPU.csdata,"",@progbits
; Kernel info:
; codeLenInByte = 0
; TotalNumSgprs: 0
; NumVgprs: 0
; ScratchSize: 0
; MemoryBound: 0
; FloatMode: 240
; IeeeMode: 1
; LDSByteSize: 0 bytes/workgroup (compile time only)
; SGPRBlocks: 0
; VGPRBlocks: 0
; NumSGPRsForWavesPerEU: 1
; NumVGPRsForWavesPerEU: 1
; Occupancy: 16
; WaveLimiterHint : 0
; COMPUTE_PGM_RSRC2:SCRATCH_EN: 0
; COMPUTE_PGM_RSRC2:USER_SGPR: 6
; COMPUTE_PGM_RSRC2:TRAP_HANDLER: 0
; COMPUTE_PGM_RSRC2:TGID_X_EN: 1
; COMPUTE_PGM_RSRC2:TGID_Y_EN: 0
; COMPUTE_PGM_RSRC2:TGID_Z_EN: 0
; COMPUTE_PGM_RSRC2:TIDIG_COMP_CNT: 0
	.section	.text._ZN7rocprim17ROCPRIM_400000_NS6detail17trampoline_kernelINS0_14default_configENS1_38merge_sort_block_merge_config_selectorIiNS0_10empty_typeEEEZZNS1_27merge_sort_block_merge_implIS3_N6thrust23THRUST_200600_302600_NS10device_ptrIiEEPS5_jNS1_19radix_merge_compareILb0ELb1EiNS0_19identity_decomposerEEEEE10hipError_tT0_T1_T2_jT3_P12ihipStream_tbPNSt15iterator_traitsISH_E10value_typeEPNSN_ISI_E10value_typeEPSJ_NS1_7vsmem_tEENKUlT_SH_SI_SJ_E_clIPiSB_SC_SC_EESG_SW_SH_SI_SJ_EUlSW_E1_NS1_11comp_targetILNS1_3genE5ELNS1_11target_archE942ELNS1_3gpuE9ELNS1_3repE0EEENS1_36merge_oddeven_config_static_selectorELNS0_4arch9wavefront6targetE0EEEvSI_,"axG",@progbits,_ZN7rocprim17ROCPRIM_400000_NS6detail17trampoline_kernelINS0_14default_configENS1_38merge_sort_block_merge_config_selectorIiNS0_10empty_typeEEEZZNS1_27merge_sort_block_merge_implIS3_N6thrust23THRUST_200600_302600_NS10device_ptrIiEEPS5_jNS1_19radix_merge_compareILb0ELb1EiNS0_19identity_decomposerEEEEE10hipError_tT0_T1_T2_jT3_P12ihipStream_tbPNSt15iterator_traitsISH_E10value_typeEPNSN_ISI_E10value_typeEPSJ_NS1_7vsmem_tEENKUlT_SH_SI_SJ_E_clIPiSB_SC_SC_EESG_SW_SH_SI_SJ_EUlSW_E1_NS1_11comp_targetILNS1_3genE5ELNS1_11target_archE942ELNS1_3gpuE9ELNS1_3repE0EEENS1_36merge_oddeven_config_static_selectorELNS0_4arch9wavefront6targetE0EEEvSI_,comdat
	.protected	_ZN7rocprim17ROCPRIM_400000_NS6detail17trampoline_kernelINS0_14default_configENS1_38merge_sort_block_merge_config_selectorIiNS0_10empty_typeEEEZZNS1_27merge_sort_block_merge_implIS3_N6thrust23THRUST_200600_302600_NS10device_ptrIiEEPS5_jNS1_19radix_merge_compareILb0ELb1EiNS0_19identity_decomposerEEEEE10hipError_tT0_T1_T2_jT3_P12ihipStream_tbPNSt15iterator_traitsISH_E10value_typeEPNSN_ISI_E10value_typeEPSJ_NS1_7vsmem_tEENKUlT_SH_SI_SJ_E_clIPiSB_SC_SC_EESG_SW_SH_SI_SJ_EUlSW_E1_NS1_11comp_targetILNS1_3genE5ELNS1_11target_archE942ELNS1_3gpuE9ELNS1_3repE0EEENS1_36merge_oddeven_config_static_selectorELNS0_4arch9wavefront6targetE0EEEvSI_ ; -- Begin function _ZN7rocprim17ROCPRIM_400000_NS6detail17trampoline_kernelINS0_14default_configENS1_38merge_sort_block_merge_config_selectorIiNS0_10empty_typeEEEZZNS1_27merge_sort_block_merge_implIS3_N6thrust23THRUST_200600_302600_NS10device_ptrIiEEPS5_jNS1_19radix_merge_compareILb0ELb1EiNS0_19identity_decomposerEEEEE10hipError_tT0_T1_T2_jT3_P12ihipStream_tbPNSt15iterator_traitsISH_E10value_typeEPNSN_ISI_E10value_typeEPSJ_NS1_7vsmem_tEENKUlT_SH_SI_SJ_E_clIPiSB_SC_SC_EESG_SW_SH_SI_SJ_EUlSW_E1_NS1_11comp_targetILNS1_3genE5ELNS1_11target_archE942ELNS1_3gpuE9ELNS1_3repE0EEENS1_36merge_oddeven_config_static_selectorELNS0_4arch9wavefront6targetE0EEEvSI_
	.globl	_ZN7rocprim17ROCPRIM_400000_NS6detail17trampoline_kernelINS0_14default_configENS1_38merge_sort_block_merge_config_selectorIiNS0_10empty_typeEEEZZNS1_27merge_sort_block_merge_implIS3_N6thrust23THRUST_200600_302600_NS10device_ptrIiEEPS5_jNS1_19radix_merge_compareILb0ELb1EiNS0_19identity_decomposerEEEEE10hipError_tT0_T1_T2_jT3_P12ihipStream_tbPNSt15iterator_traitsISH_E10value_typeEPNSN_ISI_E10value_typeEPSJ_NS1_7vsmem_tEENKUlT_SH_SI_SJ_E_clIPiSB_SC_SC_EESG_SW_SH_SI_SJ_EUlSW_E1_NS1_11comp_targetILNS1_3genE5ELNS1_11target_archE942ELNS1_3gpuE9ELNS1_3repE0EEENS1_36merge_oddeven_config_static_selectorELNS0_4arch9wavefront6targetE0EEEvSI_
	.p2align	8
	.type	_ZN7rocprim17ROCPRIM_400000_NS6detail17trampoline_kernelINS0_14default_configENS1_38merge_sort_block_merge_config_selectorIiNS0_10empty_typeEEEZZNS1_27merge_sort_block_merge_implIS3_N6thrust23THRUST_200600_302600_NS10device_ptrIiEEPS5_jNS1_19radix_merge_compareILb0ELb1EiNS0_19identity_decomposerEEEEE10hipError_tT0_T1_T2_jT3_P12ihipStream_tbPNSt15iterator_traitsISH_E10value_typeEPNSN_ISI_E10value_typeEPSJ_NS1_7vsmem_tEENKUlT_SH_SI_SJ_E_clIPiSB_SC_SC_EESG_SW_SH_SI_SJ_EUlSW_E1_NS1_11comp_targetILNS1_3genE5ELNS1_11target_archE942ELNS1_3gpuE9ELNS1_3repE0EEENS1_36merge_oddeven_config_static_selectorELNS0_4arch9wavefront6targetE0EEEvSI_,@function
_ZN7rocprim17ROCPRIM_400000_NS6detail17trampoline_kernelINS0_14default_configENS1_38merge_sort_block_merge_config_selectorIiNS0_10empty_typeEEEZZNS1_27merge_sort_block_merge_implIS3_N6thrust23THRUST_200600_302600_NS10device_ptrIiEEPS5_jNS1_19radix_merge_compareILb0ELb1EiNS0_19identity_decomposerEEEEE10hipError_tT0_T1_T2_jT3_P12ihipStream_tbPNSt15iterator_traitsISH_E10value_typeEPNSN_ISI_E10value_typeEPSJ_NS1_7vsmem_tEENKUlT_SH_SI_SJ_E_clIPiSB_SC_SC_EESG_SW_SH_SI_SJ_EUlSW_E1_NS1_11comp_targetILNS1_3genE5ELNS1_11target_archE942ELNS1_3gpuE9ELNS1_3repE0EEENS1_36merge_oddeven_config_static_selectorELNS0_4arch9wavefront6targetE0EEEvSI_: ; @_ZN7rocprim17ROCPRIM_400000_NS6detail17trampoline_kernelINS0_14default_configENS1_38merge_sort_block_merge_config_selectorIiNS0_10empty_typeEEEZZNS1_27merge_sort_block_merge_implIS3_N6thrust23THRUST_200600_302600_NS10device_ptrIiEEPS5_jNS1_19radix_merge_compareILb0ELb1EiNS0_19identity_decomposerEEEEE10hipError_tT0_T1_T2_jT3_P12ihipStream_tbPNSt15iterator_traitsISH_E10value_typeEPNSN_ISI_E10value_typeEPSJ_NS1_7vsmem_tEENKUlT_SH_SI_SJ_E_clIPiSB_SC_SC_EESG_SW_SH_SI_SJ_EUlSW_E1_NS1_11comp_targetILNS1_3genE5ELNS1_11target_archE942ELNS1_3gpuE9ELNS1_3repE0EEENS1_36merge_oddeven_config_static_selectorELNS0_4arch9wavefront6targetE0EEEvSI_
; %bb.0:
	.section	.rodata,"a",@progbits
	.p2align	6, 0x0
	.amdhsa_kernel _ZN7rocprim17ROCPRIM_400000_NS6detail17trampoline_kernelINS0_14default_configENS1_38merge_sort_block_merge_config_selectorIiNS0_10empty_typeEEEZZNS1_27merge_sort_block_merge_implIS3_N6thrust23THRUST_200600_302600_NS10device_ptrIiEEPS5_jNS1_19radix_merge_compareILb0ELb1EiNS0_19identity_decomposerEEEEE10hipError_tT0_T1_T2_jT3_P12ihipStream_tbPNSt15iterator_traitsISH_E10value_typeEPNSN_ISI_E10value_typeEPSJ_NS1_7vsmem_tEENKUlT_SH_SI_SJ_E_clIPiSB_SC_SC_EESG_SW_SH_SI_SJ_EUlSW_E1_NS1_11comp_targetILNS1_3genE5ELNS1_11target_archE942ELNS1_3gpuE9ELNS1_3repE0EEENS1_36merge_oddeven_config_static_selectorELNS0_4arch9wavefront6targetE0EEEvSI_
		.amdhsa_group_segment_fixed_size 0
		.amdhsa_private_segment_fixed_size 0
		.amdhsa_kernarg_size 48
		.amdhsa_user_sgpr_count 6
		.amdhsa_user_sgpr_private_segment_buffer 1
		.amdhsa_user_sgpr_dispatch_ptr 0
		.amdhsa_user_sgpr_queue_ptr 0
		.amdhsa_user_sgpr_kernarg_segment_ptr 1
		.amdhsa_user_sgpr_dispatch_id 0
		.amdhsa_user_sgpr_flat_scratch_init 0
		.amdhsa_user_sgpr_private_segment_size 0
		.amdhsa_wavefront_size32 1
		.amdhsa_uses_dynamic_stack 0
		.amdhsa_system_sgpr_private_segment_wavefront_offset 0
		.amdhsa_system_sgpr_workgroup_id_x 1
		.amdhsa_system_sgpr_workgroup_id_y 0
		.amdhsa_system_sgpr_workgroup_id_z 0
		.amdhsa_system_sgpr_workgroup_info 0
		.amdhsa_system_vgpr_workitem_id 0
		.amdhsa_next_free_vgpr 1
		.amdhsa_next_free_sgpr 1
		.amdhsa_reserve_vcc 0
		.amdhsa_reserve_flat_scratch 0
		.amdhsa_float_round_mode_32 0
		.amdhsa_float_round_mode_16_64 0
		.amdhsa_float_denorm_mode_32 3
		.amdhsa_float_denorm_mode_16_64 3
		.amdhsa_dx10_clamp 1
		.amdhsa_ieee_mode 1
		.amdhsa_fp16_overflow 0
		.amdhsa_workgroup_processor_mode 1
		.amdhsa_memory_ordered 1
		.amdhsa_forward_progress 1
		.amdhsa_shared_vgpr_count 0
		.amdhsa_exception_fp_ieee_invalid_op 0
		.amdhsa_exception_fp_denorm_src 0
		.amdhsa_exception_fp_ieee_div_zero 0
		.amdhsa_exception_fp_ieee_overflow 0
		.amdhsa_exception_fp_ieee_underflow 0
		.amdhsa_exception_fp_ieee_inexact 0
		.amdhsa_exception_int_div_zero 0
	.end_amdhsa_kernel
	.section	.text._ZN7rocprim17ROCPRIM_400000_NS6detail17trampoline_kernelINS0_14default_configENS1_38merge_sort_block_merge_config_selectorIiNS0_10empty_typeEEEZZNS1_27merge_sort_block_merge_implIS3_N6thrust23THRUST_200600_302600_NS10device_ptrIiEEPS5_jNS1_19radix_merge_compareILb0ELb1EiNS0_19identity_decomposerEEEEE10hipError_tT0_T1_T2_jT3_P12ihipStream_tbPNSt15iterator_traitsISH_E10value_typeEPNSN_ISI_E10value_typeEPSJ_NS1_7vsmem_tEENKUlT_SH_SI_SJ_E_clIPiSB_SC_SC_EESG_SW_SH_SI_SJ_EUlSW_E1_NS1_11comp_targetILNS1_3genE5ELNS1_11target_archE942ELNS1_3gpuE9ELNS1_3repE0EEENS1_36merge_oddeven_config_static_selectorELNS0_4arch9wavefront6targetE0EEEvSI_,"axG",@progbits,_ZN7rocprim17ROCPRIM_400000_NS6detail17trampoline_kernelINS0_14default_configENS1_38merge_sort_block_merge_config_selectorIiNS0_10empty_typeEEEZZNS1_27merge_sort_block_merge_implIS3_N6thrust23THRUST_200600_302600_NS10device_ptrIiEEPS5_jNS1_19radix_merge_compareILb0ELb1EiNS0_19identity_decomposerEEEEE10hipError_tT0_T1_T2_jT3_P12ihipStream_tbPNSt15iterator_traitsISH_E10value_typeEPNSN_ISI_E10value_typeEPSJ_NS1_7vsmem_tEENKUlT_SH_SI_SJ_E_clIPiSB_SC_SC_EESG_SW_SH_SI_SJ_EUlSW_E1_NS1_11comp_targetILNS1_3genE5ELNS1_11target_archE942ELNS1_3gpuE9ELNS1_3repE0EEENS1_36merge_oddeven_config_static_selectorELNS0_4arch9wavefront6targetE0EEEvSI_,comdat
.Lfunc_end1187:
	.size	_ZN7rocprim17ROCPRIM_400000_NS6detail17trampoline_kernelINS0_14default_configENS1_38merge_sort_block_merge_config_selectorIiNS0_10empty_typeEEEZZNS1_27merge_sort_block_merge_implIS3_N6thrust23THRUST_200600_302600_NS10device_ptrIiEEPS5_jNS1_19radix_merge_compareILb0ELb1EiNS0_19identity_decomposerEEEEE10hipError_tT0_T1_T2_jT3_P12ihipStream_tbPNSt15iterator_traitsISH_E10value_typeEPNSN_ISI_E10value_typeEPSJ_NS1_7vsmem_tEENKUlT_SH_SI_SJ_E_clIPiSB_SC_SC_EESG_SW_SH_SI_SJ_EUlSW_E1_NS1_11comp_targetILNS1_3genE5ELNS1_11target_archE942ELNS1_3gpuE9ELNS1_3repE0EEENS1_36merge_oddeven_config_static_selectorELNS0_4arch9wavefront6targetE0EEEvSI_, .Lfunc_end1187-_ZN7rocprim17ROCPRIM_400000_NS6detail17trampoline_kernelINS0_14default_configENS1_38merge_sort_block_merge_config_selectorIiNS0_10empty_typeEEEZZNS1_27merge_sort_block_merge_implIS3_N6thrust23THRUST_200600_302600_NS10device_ptrIiEEPS5_jNS1_19radix_merge_compareILb0ELb1EiNS0_19identity_decomposerEEEEE10hipError_tT0_T1_T2_jT3_P12ihipStream_tbPNSt15iterator_traitsISH_E10value_typeEPNSN_ISI_E10value_typeEPSJ_NS1_7vsmem_tEENKUlT_SH_SI_SJ_E_clIPiSB_SC_SC_EESG_SW_SH_SI_SJ_EUlSW_E1_NS1_11comp_targetILNS1_3genE5ELNS1_11target_archE942ELNS1_3gpuE9ELNS1_3repE0EEENS1_36merge_oddeven_config_static_selectorELNS0_4arch9wavefront6targetE0EEEvSI_
                                        ; -- End function
	.set _ZN7rocprim17ROCPRIM_400000_NS6detail17trampoline_kernelINS0_14default_configENS1_38merge_sort_block_merge_config_selectorIiNS0_10empty_typeEEEZZNS1_27merge_sort_block_merge_implIS3_N6thrust23THRUST_200600_302600_NS10device_ptrIiEEPS5_jNS1_19radix_merge_compareILb0ELb1EiNS0_19identity_decomposerEEEEE10hipError_tT0_T1_T2_jT3_P12ihipStream_tbPNSt15iterator_traitsISH_E10value_typeEPNSN_ISI_E10value_typeEPSJ_NS1_7vsmem_tEENKUlT_SH_SI_SJ_E_clIPiSB_SC_SC_EESG_SW_SH_SI_SJ_EUlSW_E1_NS1_11comp_targetILNS1_3genE5ELNS1_11target_archE942ELNS1_3gpuE9ELNS1_3repE0EEENS1_36merge_oddeven_config_static_selectorELNS0_4arch9wavefront6targetE0EEEvSI_.num_vgpr, 0
	.set _ZN7rocprim17ROCPRIM_400000_NS6detail17trampoline_kernelINS0_14default_configENS1_38merge_sort_block_merge_config_selectorIiNS0_10empty_typeEEEZZNS1_27merge_sort_block_merge_implIS3_N6thrust23THRUST_200600_302600_NS10device_ptrIiEEPS5_jNS1_19radix_merge_compareILb0ELb1EiNS0_19identity_decomposerEEEEE10hipError_tT0_T1_T2_jT3_P12ihipStream_tbPNSt15iterator_traitsISH_E10value_typeEPNSN_ISI_E10value_typeEPSJ_NS1_7vsmem_tEENKUlT_SH_SI_SJ_E_clIPiSB_SC_SC_EESG_SW_SH_SI_SJ_EUlSW_E1_NS1_11comp_targetILNS1_3genE5ELNS1_11target_archE942ELNS1_3gpuE9ELNS1_3repE0EEENS1_36merge_oddeven_config_static_selectorELNS0_4arch9wavefront6targetE0EEEvSI_.num_agpr, 0
	.set _ZN7rocprim17ROCPRIM_400000_NS6detail17trampoline_kernelINS0_14default_configENS1_38merge_sort_block_merge_config_selectorIiNS0_10empty_typeEEEZZNS1_27merge_sort_block_merge_implIS3_N6thrust23THRUST_200600_302600_NS10device_ptrIiEEPS5_jNS1_19radix_merge_compareILb0ELb1EiNS0_19identity_decomposerEEEEE10hipError_tT0_T1_T2_jT3_P12ihipStream_tbPNSt15iterator_traitsISH_E10value_typeEPNSN_ISI_E10value_typeEPSJ_NS1_7vsmem_tEENKUlT_SH_SI_SJ_E_clIPiSB_SC_SC_EESG_SW_SH_SI_SJ_EUlSW_E1_NS1_11comp_targetILNS1_3genE5ELNS1_11target_archE942ELNS1_3gpuE9ELNS1_3repE0EEENS1_36merge_oddeven_config_static_selectorELNS0_4arch9wavefront6targetE0EEEvSI_.numbered_sgpr, 0
	.set _ZN7rocprim17ROCPRIM_400000_NS6detail17trampoline_kernelINS0_14default_configENS1_38merge_sort_block_merge_config_selectorIiNS0_10empty_typeEEEZZNS1_27merge_sort_block_merge_implIS3_N6thrust23THRUST_200600_302600_NS10device_ptrIiEEPS5_jNS1_19radix_merge_compareILb0ELb1EiNS0_19identity_decomposerEEEEE10hipError_tT0_T1_T2_jT3_P12ihipStream_tbPNSt15iterator_traitsISH_E10value_typeEPNSN_ISI_E10value_typeEPSJ_NS1_7vsmem_tEENKUlT_SH_SI_SJ_E_clIPiSB_SC_SC_EESG_SW_SH_SI_SJ_EUlSW_E1_NS1_11comp_targetILNS1_3genE5ELNS1_11target_archE942ELNS1_3gpuE9ELNS1_3repE0EEENS1_36merge_oddeven_config_static_selectorELNS0_4arch9wavefront6targetE0EEEvSI_.num_named_barrier, 0
	.set _ZN7rocprim17ROCPRIM_400000_NS6detail17trampoline_kernelINS0_14default_configENS1_38merge_sort_block_merge_config_selectorIiNS0_10empty_typeEEEZZNS1_27merge_sort_block_merge_implIS3_N6thrust23THRUST_200600_302600_NS10device_ptrIiEEPS5_jNS1_19radix_merge_compareILb0ELb1EiNS0_19identity_decomposerEEEEE10hipError_tT0_T1_T2_jT3_P12ihipStream_tbPNSt15iterator_traitsISH_E10value_typeEPNSN_ISI_E10value_typeEPSJ_NS1_7vsmem_tEENKUlT_SH_SI_SJ_E_clIPiSB_SC_SC_EESG_SW_SH_SI_SJ_EUlSW_E1_NS1_11comp_targetILNS1_3genE5ELNS1_11target_archE942ELNS1_3gpuE9ELNS1_3repE0EEENS1_36merge_oddeven_config_static_selectorELNS0_4arch9wavefront6targetE0EEEvSI_.private_seg_size, 0
	.set _ZN7rocprim17ROCPRIM_400000_NS6detail17trampoline_kernelINS0_14default_configENS1_38merge_sort_block_merge_config_selectorIiNS0_10empty_typeEEEZZNS1_27merge_sort_block_merge_implIS3_N6thrust23THRUST_200600_302600_NS10device_ptrIiEEPS5_jNS1_19radix_merge_compareILb0ELb1EiNS0_19identity_decomposerEEEEE10hipError_tT0_T1_T2_jT3_P12ihipStream_tbPNSt15iterator_traitsISH_E10value_typeEPNSN_ISI_E10value_typeEPSJ_NS1_7vsmem_tEENKUlT_SH_SI_SJ_E_clIPiSB_SC_SC_EESG_SW_SH_SI_SJ_EUlSW_E1_NS1_11comp_targetILNS1_3genE5ELNS1_11target_archE942ELNS1_3gpuE9ELNS1_3repE0EEENS1_36merge_oddeven_config_static_selectorELNS0_4arch9wavefront6targetE0EEEvSI_.uses_vcc, 0
	.set _ZN7rocprim17ROCPRIM_400000_NS6detail17trampoline_kernelINS0_14default_configENS1_38merge_sort_block_merge_config_selectorIiNS0_10empty_typeEEEZZNS1_27merge_sort_block_merge_implIS3_N6thrust23THRUST_200600_302600_NS10device_ptrIiEEPS5_jNS1_19radix_merge_compareILb0ELb1EiNS0_19identity_decomposerEEEEE10hipError_tT0_T1_T2_jT3_P12ihipStream_tbPNSt15iterator_traitsISH_E10value_typeEPNSN_ISI_E10value_typeEPSJ_NS1_7vsmem_tEENKUlT_SH_SI_SJ_E_clIPiSB_SC_SC_EESG_SW_SH_SI_SJ_EUlSW_E1_NS1_11comp_targetILNS1_3genE5ELNS1_11target_archE942ELNS1_3gpuE9ELNS1_3repE0EEENS1_36merge_oddeven_config_static_selectorELNS0_4arch9wavefront6targetE0EEEvSI_.uses_flat_scratch, 0
	.set _ZN7rocprim17ROCPRIM_400000_NS6detail17trampoline_kernelINS0_14default_configENS1_38merge_sort_block_merge_config_selectorIiNS0_10empty_typeEEEZZNS1_27merge_sort_block_merge_implIS3_N6thrust23THRUST_200600_302600_NS10device_ptrIiEEPS5_jNS1_19radix_merge_compareILb0ELb1EiNS0_19identity_decomposerEEEEE10hipError_tT0_T1_T2_jT3_P12ihipStream_tbPNSt15iterator_traitsISH_E10value_typeEPNSN_ISI_E10value_typeEPSJ_NS1_7vsmem_tEENKUlT_SH_SI_SJ_E_clIPiSB_SC_SC_EESG_SW_SH_SI_SJ_EUlSW_E1_NS1_11comp_targetILNS1_3genE5ELNS1_11target_archE942ELNS1_3gpuE9ELNS1_3repE0EEENS1_36merge_oddeven_config_static_selectorELNS0_4arch9wavefront6targetE0EEEvSI_.has_dyn_sized_stack, 0
	.set _ZN7rocprim17ROCPRIM_400000_NS6detail17trampoline_kernelINS0_14default_configENS1_38merge_sort_block_merge_config_selectorIiNS0_10empty_typeEEEZZNS1_27merge_sort_block_merge_implIS3_N6thrust23THRUST_200600_302600_NS10device_ptrIiEEPS5_jNS1_19radix_merge_compareILb0ELb1EiNS0_19identity_decomposerEEEEE10hipError_tT0_T1_T2_jT3_P12ihipStream_tbPNSt15iterator_traitsISH_E10value_typeEPNSN_ISI_E10value_typeEPSJ_NS1_7vsmem_tEENKUlT_SH_SI_SJ_E_clIPiSB_SC_SC_EESG_SW_SH_SI_SJ_EUlSW_E1_NS1_11comp_targetILNS1_3genE5ELNS1_11target_archE942ELNS1_3gpuE9ELNS1_3repE0EEENS1_36merge_oddeven_config_static_selectorELNS0_4arch9wavefront6targetE0EEEvSI_.has_recursion, 0
	.set _ZN7rocprim17ROCPRIM_400000_NS6detail17trampoline_kernelINS0_14default_configENS1_38merge_sort_block_merge_config_selectorIiNS0_10empty_typeEEEZZNS1_27merge_sort_block_merge_implIS3_N6thrust23THRUST_200600_302600_NS10device_ptrIiEEPS5_jNS1_19radix_merge_compareILb0ELb1EiNS0_19identity_decomposerEEEEE10hipError_tT0_T1_T2_jT3_P12ihipStream_tbPNSt15iterator_traitsISH_E10value_typeEPNSN_ISI_E10value_typeEPSJ_NS1_7vsmem_tEENKUlT_SH_SI_SJ_E_clIPiSB_SC_SC_EESG_SW_SH_SI_SJ_EUlSW_E1_NS1_11comp_targetILNS1_3genE5ELNS1_11target_archE942ELNS1_3gpuE9ELNS1_3repE0EEENS1_36merge_oddeven_config_static_selectorELNS0_4arch9wavefront6targetE0EEEvSI_.has_indirect_call, 0
	.section	.AMDGPU.csdata,"",@progbits
; Kernel info:
; codeLenInByte = 0
; TotalNumSgprs: 0
; NumVgprs: 0
; ScratchSize: 0
; MemoryBound: 0
; FloatMode: 240
; IeeeMode: 1
; LDSByteSize: 0 bytes/workgroup (compile time only)
; SGPRBlocks: 0
; VGPRBlocks: 0
; NumSGPRsForWavesPerEU: 1
; NumVGPRsForWavesPerEU: 1
; Occupancy: 16
; WaveLimiterHint : 0
; COMPUTE_PGM_RSRC2:SCRATCH_EN: 0
; COMPUTE_PGM_RSRC2:USER_SGPR: 6
; COMPUTE_PGM_RSRC2:TRAP_HANDLER: 0
; COMPUTE_PGM_RSRC2:TGID_X_EN: 1
; COMPUTE_PGM_RSRC2:TGID_Y_EN: 0
; COMPUTE_PGM_RSRC2:TGID_Z_EN: 0
; COMPUTE_PGM_RSRC2:TIDIG_COMP_CNT: 0
	.section	.text._ZN7rocprim17ROCPRIM_400000_NS6detail17trampoline_kernelINS0_14default_configENS1_38merge_sort_block_merge_config_selectorIiNS0_10empty_typeEEEZZNS1_27merge_sort_block_merge_implIS3_N6thrust23THRUST_200600_302600_NS10device_ptrIiEEPS5_jNS1_19radix_merge_compareILb0ELb1EiNS0_19identity_decomposerEEEEE10hipError_tT0_T1_T2_jT3_P12ihipStream_tbPNSt15iterator_traitsISH_E10value_typeEPNSN_ISI_E10value_typeEPSJ_NS1_7vsmem_tEENKUlT_SH_SI_SJ_E_clIPiSB_SC_SC_EESG_SW_SH_SI_SJ_EUlSW_E1_NS1_11comp_targetILNS1_3genE4ELNS1_11target_archE910ELNS1_3gpuE8ELNS1_3repE0EEENS1_36merge_oddeven_config_static_selectorELNS0_4arch9wavefront6targetE0EEEvSI_,"axG",@progbits,_ZN7rocprim17ROCPRIM_400000_NS6detail17trampoline_kernelINS0_14default_configENS1_38merge_sort_block_merge_config_selectorIiNS0_10empty_typeEEEZZNS1_27merge_sort_block_merge_implIS3_N6thrust23THRUST_200600_302600_NS10device_ptrIiEEPS5_jNS1_19radix_merge_compareILb0ELb1EiNS0_19identity_decomposerEEEEE10hipError_tT0_T1_T2_jT3_P12ihipStream_tbPNSt15iterator_traitsISH_E10value_typeEPNSN_ISI_E10value_typeEPSJ_NS1_7vsmem_tEENKUlT_SH_SI_SJ_E_clIPiSB_SC_SC_EESG_SW_SH_SI_SJ_EUlSW_E1_NS1_11comp_targetILNS1_3genE4ELNS1_11target_archE910ELNS1_3gpuE8ELNS1_3repE0EEENS1_36merge_oddeven_config_static_selectorELNS0_4arch9wavefront6targetE0EEEvSI_,comdat
	.protected	_ZN7rocprim17ROCPRIM_400000_NS6detail17trampoline_kernelINS0_14default_configENS1_38merge_sort_block_merge_config_selectorIiNS0_10empty_typeEEEZZNS1_27merge_sort_block_merge_implIS3_N6thrust23THRUST_200600_302600_NS10device_ptrIiEEPS5_jNS1_19radix_merge_compareILb0ELb1EiNS0_19identity_decomposerEEEEE10hipError_tT0_T1_T2_jT3_P12ihipStream_tbPNSt15iterator_traitsISH_E10value_typeEPNSN_ISI_E10value_typeEPSJ_NS1_7vsmem_tEENKUlT_SH_SI_SJ_E_clIPiSB_SC_SC_EESG_SW_SH_SI_SJ_EUlSW_E1_NS1_11comp_targetILNS1_3genE4ELNS1_11target_archE910ELNS1_3gpuE8ELNS1_3repE0EEENS1_36merge_oddeven_config_static_selectorELNS0_4arch9wavefront6targetE0EEEvSI_ ; -- Begin function _ZN7rocprim17ROCPRIM_400000_NS6detail17trampoline_kernelINS0_14default_configENS1_38merge_sort_block_merge_config_selectorIiNS0_10empty_typeEEEZZNS1_27merge_sort_block_merge_implIS3_N6thrust23THRUST_200600_302600_NS10device_ptrIiEEPS5_jNS1_19radix_merge_compareILb0ELb1EiNS0_19identity_decomposerEEEEE10hipError_tT0_T1_T2_jT3_P12ihipStream_tbPNSt15iterator_traitsISH_E10value_typeEPNSN_ISI_E10value_typeEPSJ_NS1_7vsmem_tEENKUlT_SH_SI_SJ_E_clIPiSB_SC_SC_EESG_SW_SH_SI_SJ_EUlSW_E1_NS1_11comp_targetILNS1_3genE4ELNS1_11target_archE910ELNS1_3gpuE8ELNS1_3repE0EEENS1_36merge_oddeven_config_static_selectorELNS0_4arch9wavefront6targetE0EEEvSI_
	.globl	_ZN7rocprim17ROCPRIM_400000_NS6detail17trampoline_kernelINS0_14default_configENS1_38merge_sort_block_merge_config_selectorIiNS0_10empty_typeEEEZZNS1_27merge_sort_block_merge_implIS3_N6thrust23THRUST_200600_302600_NS10device_ptrIiEEPS5_jNS1_19radix_merge_compareILb0ELb1EiNS0_19identity_decomposerEEEEE10hipError_tT0_T1_T2_jT3_P12ihipStream_tbPNSt15iterator_traitsISH_E10value_typeEPNSN_ISI_E10value_typeEPSJ_NS1_7vsmem_tEENKUlT_SH_SI_SJ_E_clIPiSB_SC_SC_EESG_SW_SH_SI_SJ_EUlSW_E1_NS1_11comp_targetILNS1_3genE4ELNS1_11target_archE910ELNS1_3gpuE8ELNS1_3repE0EEENS1_36merge_oddeven_config_static_selectorELNS0_4arch9wavefront6targetE0EEEvSI_
	.p2align	8
	.type	_ZN7rocprim17ROCPRIM_400000_NS6detail17trampoline_kernelINS0_14default_configENS1_38merge_sort_block_merge_config_selectorIiNS0_10empty_typeEEEZZNS1_27merge_sort_block_merge_implIS3_N6thrust23THRUST_200600_302600_NS10device_ptrIiEEPS5_jNS1_19radix_merge_compareILb0ELb1EiNS0_19identity_decomposerEEEEE10hipError_tT0_T1_T2_jT3_P12ihipStream_tbPNSt15iterator_traitsISH_E10value_typeEPNSN_ISI_E10value_typeEPSJ_NS1_7vsmem_tEENKUlT_SH_SI_SJ_E_clIPiSB_SC_SC_EESG_SW_SH_SI_SJ_EUlSW_E1_NS1_11comp_targetILNS1_3genE4ELNS1_11target_archE910ELNS1_3gpuE8ELNS1_3repE0EEENS1_36merge_oddeven_config_static_selectorELNS0_4arch9wavefront6targetE0EEEvSI_,@function
_ZN7rocprim17ROCPRIM_400000_NS6detail17trampoline_kernelINS0_14default_configENS1_38merge_sort_block_merge_config_selectorIiNS0_10empty_typeEEEZZNS1_27merge_sort_block_merge_implIS3_N6thrust23THRUST_200600_302600_NS10device_ptrIiEEPS5_jNS1_19radix_merge_compareILb0ELb1EiNS0_19identity_decomposerEEEEE10hipError_tT0_T1_T2_jT3_P12ihipStream_tbPNSt15iterator_traitsISH_E10value_typeEPNSN_ISI_E10value_typeEPSJ_NS1_7vsmem_tEENKUlT_SH_SI_SJ_E_clIPiSB_SC_SC_EESG_SW_SH_SI_SJ_EUlSW_E1_NS1_11comp_targetILNS1_3genE4ELNS1_11target_archE910ELNS1_3gpuE8ELNS1_3repE0EEENS1_36merge_oddeven_config_static_selectorELNS0_4arch9wavefront6targetE0EEEvSI_: ; @_ZN7rocprim17ROCPRIM_400000_NS6detail17trampoline_kernelINS0_14default_configENS1_38merge_sort_block_merge_config_selectorIiNS0_10empty_typeEEEZZNS1_27merge_sort_block_merge_implIS3_N6thrust23THRUST_200600_302600_NS10device_ptrIiEEPS5_jNS1_19radix_merge_compareILb0ELb1EiNS0_19identity_decomposerEEEEE10hipError_tT0_T1_T2_jT3_P12ihipStream_tbPNSt15iterator_traitsISH_E10value_typeEPNSN_ISI_E10value_typeEPSJ_NS1_7vsmem_tEENKUlT_SH_SI_SJ_E_clIPiSB_SC_SC_EESG_SW_SH_SI_SJ_EUlSW_E1_NS1_11comp_targetILNS1_3genE4ELNS1_11target_archE910ELNS1_3gpuE8ELNS1_3repE0EEENS1_36merge_oddeven_config_static_selectorELNS0_4arch9wavefront6targetE0EEEvSI_
; %bb.0:
	.section	.rodata,"a",@progbits
	.p2align	6, 0x0
	.amdhsa_kernel _ZN7rocprim17ROCPRIM_400000_NS6detail17trampoline_kernelINS0_14default_configENS1_38merge_sort_block_merge_config_selectorIiNS0_10empty_typeEEEZZNS1_27merge_sort_block_merge_implIS3_N6thrust23THRUST_200600_302600_NS10device_ptrIiEEPS5_jNS1_19radix_merge_compareILb0ELb1EiNS0_19identity_decomposerEEEEE10hipError_tT0_T1_T2_jT3_P12ihipStream_tbPNSt15iterator_traitsISH_E10value_typeEPNSN_ISI_E10value_typeEPSJ_NS1_7vsmem_tEENKUlT_SH_SI_SJ_E_clIPiSB_SC_SC_EESG_SW_SH_SI_SJ_EUlSW_E1_NS1_11comp_targetILNS1_3genE4ELNS1_11target_archE910ELNS1_3gpuE8ELNS1_3repE0EEENS1_36merge_oddeven_config_static_selectorELNS0_4arch9wavefront6targetE0EEEvSI_
		.amdhsa_group_segment_fixed_size 0
		.amdhsa_private_segment_fixed_size 0
		.amdhsa_kernarg_size 48
		.amdhsa_user_sgpr_count 6
		.amdhsa_user_sgpr_private_segment_buffer 1
		.amdhsa_user_sgpr_dispatch_ptr 0
		.amdhsa_user_sgpr_queue_ptr 0
		.amdhsa_user_sgpr_kernarg_segment_ptr 1
		.amdhsa_user_sgpr_dispatch_id 0
		.amdhsa_user_sgpr_flat_scratch_init 0
		.amdhsa_user_sgpr_private_segment_size 0
		.amdhsa_wavefront_size32 1
		.amdhsa_uses_dynamic_stack 0
		.amdhsa_system_sgpr_private_segment_wavefront_offset 0
		.amdhsa_system_sgpr_workgroup_id_x 1
		.amdhsa_system_sgpr_workgroup_id_y 0
		.amdhsa_system_sgpr_workgroup_id_z 0
		.amdhsa_system_sgpr_workgroup_info 0
		.amdhsa_system_vgpr_workitem_id 0
		.amdhsa_next_free_vgpr 1
		.amdhsa_next_free_sgpr 1
		.amdhsa_reserve_vcc 0
		.amdhsa_reserve_flat_scratch 0
		.amdhsa_float_round_mode_32 0
		.amdhsa_float_round_mode_16_64 0
		.amdhsa_float_denorm_mode_32 3
		.amdhsa_float_denorm_mode_16_64 3
		.amdhsa_dx10_clamp 1
		.amdhsa_ieee_mode 1
		.amdhsa_fp16_overflow 0
		.amdhsa_workgroup_processor_mode 1
		.amdhsa_memory_ordered 1
		.amdhsa_forward_progress 1
		.amdhsa_shared_vgpr_count 0
		.amdhsa_exception_fp_ieee_invalid_op 0
		.amdhsa_exception_fp_denorm_src 0
		.amdhsa_exception_fp_ieee_div_zero 0
		.amdhsa_exception_fp_ieee_overflow 0
		.amdhsa_exception_fp_ieee_underflow 0
		.amdhsa_exception_fp_ieee_inexact 0
		.amdhsa_exception_int_div_zero 0
	.end_amdhsa_kernel
	.section	.text._ZN7rocprim17ROCPRIM_400000_NS6detail17trampoline_kernelINS0_14default_configENS1_38merge_sort_block_merge_config_selectorIiNS0_10empty_typeEEEZZNS1_27merge_sort_block_merge_implIS3_N6thrust23THRUST_200600_302600_NS10device_ptrIiEEPS5_jNS1_19radix_merge_compareILb0ELb1EiNS0_19identity_decomposerEEEEE10hipError_tT0_T1_T2_jT3_P12ihipStream_tbPNSt15iterator_traitsISH_E10value_typeEPNSN_ISI_E10value_typeEPSJ_NS1_7vsmem_tEENKUlT_SH_SI_SJ_E_clIPiSB_SC_SC_EESG_SW_SH_SI_SJ_EUlSW_E1_NS1_11comp_targetILNS1_3genE4ELNS1_11target_archE910ELNS1_3gpuE8ELNS1_3repE0EEENS1_36merge_oddeven_config_static_selectorELNS0_4arch9wavefront6targetE0EEEvSI_,"axG",@progbits,_ZN7rocprim17ROCPRIM_400000_NS6detail17trampoline_kernelINS0_14default_configENS1_38merge_sort_block_merge_config_selectorIiNS0_10empty_typeEEEZZNS1_27merge_sort_block_merge_implIS3_N6thrust23THRUST_200600_302600_NS10device_ptrIiEEPS5_jNS1_19radix_merge_compareILb0ELb1EiNS0_19identity_decomposerEEEEE10hipError_tT0_T1_T2_jT3_P12ihipStream_tbPNSt15iterator_traitsISH_E10value_typeEPNSN_ISI_E10value_typeEPSJ_NS1_7vsmem_tEENKUlT_SH_SI_SJ_E_clIPiSB_SC_SC_EESG_SW_SH_SI_SJ_EUlSW_E1_NS1_11comp_targetILNS1_3genE4ELNS1_11target_archE910ELNS1_3gpuE8ELNS1_3repE0EEENS1_36merge_oddeven_config_static_selectorELNS0_4arch9wavefront6targetE0EEEvSI_,comdat
.Lfunc_end1188:
	.size	_ZN7rocprim17ROCPRIM_400000_NS6detail17trampoline_kernelINS0_14default_configENS1_38merge_sort_block_merge_config_selectorIiNS0_10empty_typeEEEZZNS1_27merge_sort_block_merge_implIS3_N6thrust23THRUST_200600_302600_NS10device_ptrIiEEPS5_jNS1_19radix_merge_compareILb0ELb1EiNS0_19identity_decomposerEEEEE10hipError_tT0_T1_T2_jT3_P12ihipStream_tbPNSt15iterator_traitsISH_E10value_typeEPNSN_ISI_E10value_typeEPSJ_NS1_7vsmem_tEENKUlT_SH_SI_SJ_E_clIPiSB_SC_SC_EESG_SW_SH_SI_SJ_EUlSW_E1_NS1_11comp_targetILNS1_3genE4ELNS1_11target_archE910ELNS1_3gpuE8ELNS1_3repE0EEENS1_36merge_oddeven_config_static_selectorELNS0_4arch9wavefront6targetE0EEEvSI_, .Lfunc_end1188-_ZN7rocprim17ROCPRIM_400000_NS6detail17trampoline_kernelINS0_14default_configENS1_38merge_sort_block_merge_config_selectorIiNS0_10empty_typeEEEZZNS1_27merge_sort_block_merge_implIS3_N6thrust23THRUST_200600_302600_NS10device_ptrIiEEPS5_jNS1_19radix_merge_compareILb0ELb1EiNS0_19identity_decomposerEEEEE10hipError_tT0_T1_T2_jT3_P12ihipStream_tbPNSt15iterator_traitsISH_E10value_typeEPNSN_ISI_E10value_typeEPSJ_NS1_7vsmem_tEENKUlT_SH_SI_SJ_E_clIPiSB_SC_SC_EESG_SW_SH_SI_SJ_EUlSW_E1_NS1_11comp_targetILNS1_3genE4ELNS1_11target_archE910ELNS1_3gpuE8ELNS1_3repE0EEENS1_36merge_oddeven_config_static_selectorELNS0_4arch9wavefront6targetE0EEEvSI_
                                        ; -- End function
	.set _ZN7rocprim17ROCPRIM_400000_NS6detail17trampoline_kernelINS0_14default_configENS1_38merge_sort_block_merge_config_selectorIiNS0_10empty_typeEEEZZNS1_27merge_sort_block_merge_implIS3_N6thrust23THRUST_200600_302600_NS10device_ptrIiEEPS5_jNS1_19radix_merge_compareILb0ELb1EiNS0_19identity_decomposerEEEEE10hipError_tT0_T1_T2_jT3_P12ihipStream_tbPNSt15iterator_traitsISH_E10value_typeEPNSN_ISI_E10value_typeEPSJ_NS1_7vsmem_tEENKUlT_SH_SI_SJ_E_clIPiSB_SC_SC_EESG_SW_SH_SI_SJ_EUlSW_E1_NS1_11comp_targetILNS1_3genE4ELNS1_11target_archE910ELNS1_3gpuE8ELNS1_3repE0EEENS1_36merge_oddeven_config_static_selectorELNS0_4arch9wavefront6targetE0EEEvSI_.num_vgpr, 0
	.set _ZN7rocprim17ROCPRIM_400000_NS6detail17trampoline_kernelINS0_14default_configENS1_38merge_sort_block_merge_config_selectorIiNS0_10empty_typeEEEZZNS1_27merge_sort_block_merge_implIS3_N6thrust23THRUST_200600_302600_NS10device_ptrIiEEPS5_jNS1_19radix_merge_compareILb0ELb1EiNS0_19identity_decomposerEEEEE10hipError_tT0_T1_T2_jT3_P12ihipStream_tbPNSt15iterator_traitsISH_E10value_typeEPNSN_ISI_E10value_typeEPSJ_NS1_7vsmem_tEENKUlT_SH_SI_SJ_E_clIPiSB_SC_SC_EESG_SW_SH_SI_SJ_EUlSW_E1_NS1_11comp_targetILNS1_3genE4ELNS1_11target_archE910ELNS1_3gpuE8ELNS1_3repE0EEENS1_36merge_oddeven_config_static_selectorELNS0_4arch9wavefront6targetE0EEEvSI_.num_agpr, 0
	.set _ZN7rocprim17ROCPRIM_400000_NS6detail17trampoline_kernelINS0_14default_configENS1_38merge_sort_block_merge_config_selectorIiNS0_10empty_typeEEEZZNS1_27merge_sort_block_merge_implIS3_N6thrust23THRUST_200600_302600_NS10device_ptrIiEEPS5_jNS1_19radix_merge_compareILb0ELb1EiNS0_19identity_decomposerEEEEE10hipError_tT0_T1_T2_jT3_P12ihipStream_tbPNSt15iterator_traitsISH_E10value_typeEPNSN_ISI_E10value_typeEPSJ_NS1_7vsmem_tEENKUlT_SH_SI_SJ_E_clIPiSB_SC_SC_EESG_SW_SH_SI_SJ_EUlSW_E1_NS1_11comp_targetILNS1_3genE4ELNS1_11target_archE910ELNS1_3gpuE8ELNS1_3repE0EEENS1_36merge_oddeven_config_static_selectorELNS0_4arch9wavefront6targetE0EEEvSI_.numbered_sgpr, 0
	.set _ZN7rocprim17ROCPRIM_400000_NS6detail17trampoline_kernelINS0_14default_configENS1_38merge_sort_block_merge_config_selectorIiNS0_10empty_typeEEEZZNS1_27merge_sort_block_merge_implIS3_N6thrust23THRUST_200600_302600_NS10device_ptrIiEEPS5_jNS1_19radix_merge_compareILb0ELb1EiNS0_19identity_decomposerEEEEE10hipError_tT0_T1_T2_jT3_P12ihipStream_tbPNSt15iterator_traitsISH_E10value_typeEPNSN_ISI_E10value_typeEPSJ_NS1_7vsmem_tEENKUlT_SH_SI_SJ_E_clIPiSB_SC_SC_EESG_SW_SH_SI_SJ_EUlSW_E1_NS1_11comp_targetILNS1_3genE4ELNS1_11target_archE910ELNS1_3gpuE8ELNS1_3repE0EEENS1_36merge_oddeven_config_static_selectorELNS0_4arch9wavefront6targetE0EEEvSI_.num_named_barrier, 0
	.set _ZN7rocprim17ROCPRIM_400000_NS6detail17trampoline_kernelINS0_14default_configENS1_38merge_sort_block_merge_config_selectorIiNS0_10empty_typeEEEZZNS1_27merge_sort_block_merge_implIS3_N6thrust23THRUST_200600_302600_NS10device_ptrIiEEPS5_jNS1_19radix_merge_compareILb0ELb1EiNS0_19identity_decomposerEEEEE10hipError_tT0_T1_T2_jT3_P12ihipStream_tbPNSt15iterator_traitsISH_E10value_typeEPNSN_ISI_E10value_typeEPSJ_NS1_7vsmem_tEENKUlT_SH_SI_SJ_E_clIPiSB_SC_SC_EESG_SW_SH_SI_SJ_EUlSW_E1_NS1_11comp_targetILNS1_3genE4ELNS1_11target_archE910ELNS1_3gpuE8ELNS1_3repE0EEENS1_36merge_oddeven_config_static_selectorELNS0_4arch9wavefront6targetE0EEEvSI_.private_seg_size, 0
	.set _ZN7rocprim17ROCPRIM_400000_NS6detail17trampoline_kernelINS0_14default_configENS1_38merge_sort_block_merge_config_selectorIiNS0_10empty_typeEEEZZNS1_27merge_sort_block_merge_implIS3_N6thrust23THRUST_200600_302600_NS10device_ptrIiEEPS5_jNS1_19radix_merge_compareILb0ELb1EiNS0_19identity_decomposerEEEEE10hipError_tT0_T1_T2_jT3_P12ihipStream_tbPNSt15iterator_traitsISH_E10value_typeEPNSN_ISI_E10value_typeEPSJ_NS1_7vsmem_tEENKUlT_SH_SI_SJ_E_clIPiSB_SC_SC_EESG_SW_SH_SI_SJ_EUlSW_E1_NS1_11comp_targetILNS1_3genE4ELNS1_11target_archE910ELNS1_3gpuE8ELNS1_3repE0EEENS1_36merge_oddeven_config_static_selectorELNS0_4arch9wavefront6targetE0EEEvSI_.uses_vcc, 0
	.set _ZN7rocprim17ROCPRIM_400000_NS6detail17trampoline_kernelINS0_14default_configENS1_38merge_sort_block_merge_config_selectorIiNS0_10empty_typeEEEZZNS1_27merge_sort_block_merge_implIS3_N6thrust23THRUST_200600_302600_NS10device_ptrIiEEPS5_jNS1_19radix_merge_compareILb0ELb1EiNS0_19identity_decomposerEEEEE10hipError_tT0_T1_T2_jT3_P12ihipStream_tbPNSt15iterator_traitsISH_E10value_typeEPNSN_ISI_E10value_typeEPSJ_NS1_7vsmem_tEENKUlT_SH_SI_SJ_E_clIPiSB_SC_SC_EESG_SW_SH_SI_SJ_EUlSW_E1_NS1_11comp_targetILNS1_3genE4ELNS1_11target_archE910ELNS1_3gpuE8ELNS1_3repE0EEENS1_36merge_oddeven_config_static_selectorELNS0_4arch9wavefront6targetE0EEEvSI_.uses_flat_scratch, 0
	.set _ZN7rocprim17ROCPRIM_400000_NS6detail17trampoline_kernelINS0_14default_configENS1_38merge_sort_block_merge_config_selectorIiNS0_10empty_typeEEEZZNS1_27merge_sort_block_merge_implIS3_N6thrust23THRUST_200600_302600_NS10device_ptrIiEEPS5_jNS1_19radix_merge_compareILb0ELb1EiNS0_19identity_decomposerEEEEE10hipError_tT0_T1_T2_jT3_P12ihipStream_tbPNSt15iterator_traitsISH_E10value_typeEPNSN_ISI_E10value_typeEPSJ_NS1_7vsmem_tEENKUlT_SH_SI_SJ_E_clIPiSB_SC_SC_EESG_SW_SH_SI_SJ_EUlSW_E1_NS1_11comp_targetILNS1_3genE4ELNS1_11target_archE910ELNS1_3gpuE8ELNS1_3repE0EEENS1_36merge_oddeven_config_static_selectorELNS0_4arch9wavefront6targetE0EEEvSI_.has_dyn_sized_stack, 0
	.set _ZN7rocprim17ROCPRIM_400000_NS6detail17trampoline_kernelINS0_14default_configENS1_38merge_sort_block_merge_config_selectorIiNS0_10empty_typeEEEZZNS1_27merge_sort_block_merge_implIS3_N6thrust23THRUST_200600_302600_NS10device_ptrIiEEPS5_jNS1_19radix_merge_compareILb0ELb1EiNS0_19identity_decomposerEEEEE10hipError_tT0_T1_T2_jT3_P12ihipStream_tbPNSt15iterator_traitsISH_E10value_typeEPNSN_ISI_E10value_typeEPSJ_NS1_7vsmem_tEENKUlT_SH_SI_SJ_E_clIPiSB_SC_SC_EESG_SW_SH_SI_SJ_EUlSW_E1_NS1_11comp_targetILNS1_3genE4ELNS1_11target_archE910ELNS1_3gpuE8ELNS1_3repE0EEENS1_36merge_oddeven_config_static_selectorELNS0_4arch9wavefront6targetE0EEEvSI_.has_recursion, 0
	.set _ZN7rocprim17ROCPRIM_400000_NS6detail17trampoline_kernelINS0_14default_configENS1_38merge_sort_block_merge_config_selectorIiNS0_10empty_typeEEEZZNS1_27merge_sort_block_merge_implIS3_N6thrust23THRUST_200600_302600_NS10device_ptrIiEEPS5_jNS1_19radix_merge_compareILb0ELb1EiNS0_19identity_decomposerEEEEE10hipError_tT0_T1_T2_jT3_P12ihipStream_tbPNSt15iterator_traitsISH_E10value_typeEPNSN_ISI_E10value_typeEPSJ_NS1_7vsmem_tEENKUlT_SH_SI_SJ_E_clIPiSB_SC_SC_EESG_SW_SH_SI_SJ_EUlSW_E1_NS1_11comp_targetILNS1_3genE4ELNS1_11target_archE910ELNS1_3gpuE8ELNS1_3repE0EEENS1_36merge_oddeven_config_static_selectorELNS0_4arch9wavefront6targetE0EEEvSI_.has_indirect_call, 0
	.section	.AMDGPU.csdata,"",@progbits
; Kernel info:
; codeLenInByte = 0
; TotalNumSgprs: 0
; NumVgprs: 0
; ScratchSize: 0
; MemoryBound: 0
; FloatMode: 240
; IeeeMode: 1
; LDSByteSize: 0 bytes/workgroup (compile time only)
; SGPRBlocks: 0
; VGPRBlocks: 0
; NumSGPRsForWavesPerEU: 1
; NumVGPRsForWavesPerEU: 1
; Occupancy: 16
; WaveLimiterHint : 0
; COMPUTE_PGM_RSRC2:SCRATCH_EN: 0
; COMPUTE_PGM_RSRC2:USER_SGPR: 6
; COMPUTE_PGM_RSRC2:TRAP_HANDLER: 0
; COMPUTE_PGM_RSRC2:TGID_X_EN: 1
; COMPUTE_PGM_RSRC2:TGID_Y_EN: 0
; COMPUTE_PGM_RSRC2:TGID_Z_EN: 0
; COMPUTE_PGM_RSRC2:TIDIG_COMP_CNT: 0
	.section	.text._ZN7rocprim17ROCPRIM_400000_NS6detail17trampoline_kernelINS0_14default_configENS1_38merge_sort_block_merge_config_selectorIiNS0_10empty_typeEEEZZNS1_27merge_sort_block_merge_implIS3_N6thrust23THRUST_200600_302600_NS10device_ptrIiEEPS5_jNS1_19radix_merge_compareILb0ELb1EiNS0_19identity_decomposerEEEEE10hipError_tT0_T1_T2_jT3_P12ihipStream_tbPNSt15iterator_traitsISH_E10value_typeEPNSN_ISI_E10value_typeEPSJ_NS1_7vsmem_tEENKUlT_SH_SI_SJ_E_clIPiSB_SC_SC_EESG_SW_SH_SI_SJ_EUlSW_E1_NS1_11comp_targetILNS1_3genE3ELNS1_11target_archE908ELNS1_3gpuE7ELNS1_3repE0EEENS1_36merge_oddeven_config_static_selectorELNS0_4arch9wavefront6targetE0EEEvSI_,"axG",@progbits,_ZN7rocprim17ROCPRIM_400000_NS6detail17trampoline_kernelINS0_14default_configENS1_38merge_sort_block_merge_config_selectorIiNS0_10empty_typeEEEZZNS1_27merge_sort_block_merge_implIS3_N6thrust23THRUST_200600_302600_NS10device_ptrIiEEPS5_jNS1_19radix_merge_compareILb0ELb1EiNS0_19identity_decomposerEEEEE10hipError_tT0_T1_T2_jT3_P12ihipStream_tbPNSt15iterator_traitsISH_E10value_typeEPNSN_ISI_E10value_typeEPSJ_NS1_7vsmem_tEENKUlT_SH_SI_SJ_E_clIPiSB_SC_SC_EESG_SW_SH_SI_SJ_EUlSW_E1_NS1_11comp_targetILNS1_3genE3ELNS1_11target_archE908ELNS1_3gpuE7ELNS1_3repE0EEENS1_36merge_oddeven_config_static_selectorELNS0_4arch9wavefront6targetE0EEEvSI_,comdat
	.protected	_ZN7rocprim17ROCPRIM_400000_NS6detail17trampoline_kernelINS0_14default_configENS1_38merge_sort_block_merge_config_selectorIiNS0_10empty_typeEEEZZNS1_27merge_sort_block_merge_implIS3_N6thrust23THRUST_200600_302600_NS10device_ptrIiEEPS5_jNS1_19radix_merge_compareILb0ELb1EiNS0_19identity_decomposerEEEEE10hipError_tT0_T1_T2_jT3_P12ihipStream_tbPNSt15iterator_traitsISH_E10value_typeEPNSN_ISI_E10value_typeEPSJ_NS1_7vsmem_tEENKUlT_SH_SI_SJ_E_clIPiSB_SC_SC_EESG_SW_SH_SI_SJ_EUlSW_E1_NS1_11comp_targetILNS1_3genE3ELNS1_11target_archE908ELNS1_3gpuE7ELNS1_3repE0EEENS1_36merge_oddeven_config_static_selectorELNS0_4arch9wavefront6targetE0EEEvSI_ ; -- Begin function _ZN7rocprim17ROCPRIM_400000_NS6detail17trampoline_kernelINS0_14default_configENS1_38merge_sort_block_merge_config_selectorIiNS0_10empty_typeEEEZZNS1_27merge_sort_block_merge_implIS3_N6thrust23THRUST_200600_302600_NS10device_ptrIiEEPS5_jNS1_19radix_merge_compareILb0ELb1EiNS0_19identity_decomposerEEEEE10hipError_tT0_T1_T2_jT3_P12ihipStream_tbPNSt15iterator_traitsISH_E10value_typeEPNSN_ISI_E10value_typeEPSJ_NS1_7vsmem_tEENKUlT_SH_SI_SJ_E_clIPiSB_SC_SC_EESG_SW_SH_SI_SJ_EUlSW_E1_NS1_11comp_targetILNS1_3genE3ELNS1_11target_archE908ELNS1_3gpuE7ELNS1_3repE0EEENS1_36merge_oddeven_config_static_selectorELNS0_4arch9wavefront6targetE0EEEvSI_
	.globl	_ZN7rocprim17ROCPRIM_400000_NS6detail17trampoline_kernelINS0_14default_configENS1_38merge_sort_block_merge_config_selectorIiNS0_10empty_typeEEEZZNS1_27merge_sort_block_merge_implIS3_N6thrust23THRUST_200600_302600_NS10device_ptrIiEEPS5_jNS1_19radix_merge_compareILb0ELb1EiNS0_19identity_decomposerEEEEE10hipError_tT0_T1_T2_jT3_P12ihipStream_tbPNSt15iterator_traitsISH_E10value_typeEPNSN_ISI_E10value_typeEPSJ_NS1_7vsmem_tEENKUlT_SH_SI_SJ_E_clIPiSB_SC_SC_EESG_SW_SH_SI_SJ_EUlSW_E1_NS1_11comp_targetILNS1_3genE3ELNS1_11target_archE908ELNS1_3gpuE7ELNS1_3repE0EEENS1_36merge_oddeven_config_static_selectorELNS0_4arch9wavefront6targetE0EEEvSI_
	.p2align	8
	.type	_ZN7rocprim17ROCPRIM_400000_NS6detail17trampoline_kernelINS0_14default_configENS1_38merge_sort_block_merge_config_selectorIiNS0_10empty_typeEEEZZNS1_27merge_sort_block_merge_implIS3_N6thrust23THRUST_200600_302600_NS10device_ptrIiEEPS5_jNS1_19radix_merge_compareILb0ELb1EiNS0_19identity_decomposerEEEEE10hipError_tT0_T1_T2_jT3_P12ihipStream_tbPNSt15iterator_traitsISH_E10value_typeEPNSN_ISI_E10value_typeEPSJ_NS1_7vsmem_tEENKUlT_SH_SI_SJ_E_clIPiSB_SC_SC_EESG_SW_SH_SI_SJ_EUlSW_E1_NS1_11comp_targetILNS1_3genE3ELNS1_11target_archE908ELNS1_3gpuE7ELNS1_3repE0EEENS1_36merge_oddeven_config_static_selectorELNS0_4arch9wavefront6targetE0EEEvSI_,@function
_ZN7rocprim17ROCPRIM_400000_NS6detail17trampoline_kernelINS0_14default_configENS1_38merge_sort_block_merge_config_selectorIiNS0_10empty_typeEEEZZNS1_27merge_sort_block_merge_implIS3_N6thrust23THRUST_200600_302600_NS10device_ptrIiEEPS5_jNS1_19radix_merge_compareILb0ELb1EiNS0_19identity_decomposerEEEEE10hipError_tT0_T1_T2_jT3_P12ihipStream_tbPNSt15iterator_traitsISH_E10value_typeEPNSN_ISI_E10value_typeEPSJ_NS1_7vsmem_tEENKUlT_SH_SI_SJ_E_clIPiSB_SC_SC_EESG_SW_SH_SI_SJ_EUlSW_E1_NS1_11comp_targetILNS1_3genE3ELNS1_11target_archE908ELNS1_3gpuE7ELNS1_3repE0EEENS1_36merge_oddeven_config_static_selectorELNS0_4arch9wavefront6targetE0EEEvSI_: ; @_ZN7rocprim17ROCPRIM_400000_NS6detail17trampoline_kernelINS0_14default_configENS1_38merge_sort_block_merge_config_selectorIiNS0_10empty_typeEEEZZNS1_27merge_sort_block_merge_implIS3_N6thrust23THRUST_200600_302600_NS10device_ptrIiEEPS5_jNS1_19radix_merge_compareILb0ELb1EiNS0_19identity_decomposerEEEEE10hipError_tT0_T1_T2_jT3_P12ihipStream_tbPNSt15iterator_traitsISH_E10value_typeEPNSN_ISI_E10value_typeEPSJ_NS1_7vsmem_tEENKUlT_SH_SI_SJ_E_clIPiSB_SC_SC_EESG_SW_SH_SI_SJ_EUlSW_E1_NS1_11comp_targetILNS1_3genE3ELNS1_11target_archE908ELNS1_3gpuE7ELNS1_3repE0EEENS1_36merge_oddeven_config_static_selectorELNS0_4arch9wavefront6targetE0EEEvSI_
; %bb.0:
	.section	.rodata,"a",@progbits
	.p2align	6, 0x0
	.amdhsa_kernel _ZN7rocprim17ROCPRIM_400000_NS6detail17trampoline_kernelINS0_14default_configENS1_38merge_sort_block_merge_config_selectorIiNS0_10empty_typeEEEZZNS1_27merge_sort_block_merge_implIS3_N6thrust23THRUST_200600_302600_NS10device_ptrIiEEPS5_jNS1_19radix_merge_compareILb0ELb1EiNS0_19identity_decomposerEEEEE10hipError_tT0_T1_T2_jT3_P12ihipStream_tbPNSt15iterator_traitsISH_E10value_typeEPNSN_ISI_E10value_typeEPSJ_NS1_7vsmem_tEENKUlT_SH_SI_SJ_E_clIPiSB_SC_SC_EESG_SW_SH_SI_SJ_EUlSW_E1_NS1_11comp_targetILNS1_3genE3ELNS1_11target_archE908ELNS1_3gpuE7ELNS1_3repE0EEENS1_36merge_oddeven_config_static_selectorELNS0_4arch9wavefront6targetE0EEEvSI_
		.amdhsa_group_segment_fixed_size 0
		.amdhsa_private_segment_fixed_size 0
		.amdhsa_kernarg_size 48
		.amdhsa_user_sgpr_count 6
		.amdhsa_user_sgpr_private_segment_buffer 1
		.amdhsa_user_sgpr_dispatch_ptr 0
		.amdhsa_user_sgpr_queue_ptr 0
		.amdhsa_user_sgpr_kernarg_segment_ptr 1
		.amdhsa_user_sgpr_dispatch_id 0
		.amdhsa_user_sgpr_flat_scratch_init 0
		.amdhsa_user_sgpr_private_segment_size 0
		.amdhsa_wavefront_size32 1
		.amdhsa_uses_dynamic_stack 0
		.amdhsa_system_sgpr_private_segment_wavefront_offset 0
		.amdhsa_system_sgpr_workgroup_id_x 1
		.amdhsa_system_sgpr_workgroup_id_y 0
		.amdhsa_system_sgpr_workgroup_id_z 0
		.amdhsa_system_sgpr_workgroup_info 0
		.amdhsa_system_vgpr_workitem_id 0
		.amdhsa_next_free_vgpr 1
		.amdhsa_next_free_sgpr 1
		.amdhsa_reserve_vcc 0
		.amdhsa_reserve_flat_scratch 0
		.amdhsa_float_round_mode_32 0
		.amdhsa_float_round_mode_16_64 0
		.amdhsa_float_denorm_mode_32 3
		.amdhsa_float_denorm_mode_16_64 3
		.amdhsa_dx10_clamp 1
		.amdhsa_ieee_mode 1
		.amdhsa_fp16_overflow 0
		.amdhsa_workgroup_processor_mode 1
		.amdhsa_memory_ordered 1
		.amdhsa_forward_progress 1
		.amdhsa_shared_vgpr_count 0
		.amdhsa_exception_fp_ieee_invalid_op 0
		.amdhsa_exception_fp_denorm_src 0
		.amdhsa_exception_fp_ieee_div_zero 0
		.amdhsa_exception_fp_ieee_overflow 0
		.amdhsa_exception_fp_ieee_underflow 0
		.amdhsa_exception_fp_ieee_inexact 0
		.amdhsa_exception_int_div_zero 0
	.end_amdhsa_kernel
	.section	.text._ZN7rocprim17ROCPRIM_400000_NS6detail17trampoline_kernelINS0_14default_configENS1_38merge_sort_block_merge_config_selectorIiNS0_10empty_typeEEEZZNS1_27merge_sort_block_merge_implIS3_N6thrust23THRUST_200600_302600_NS10device_ptrIiEEPS5_jNS1_19radix_merge_compareILb0ELb1EiNS0_19identity_decomposerEEEEE10hipError_tT0_T1_T2_jT3_P12ihipStream_tbPNSt15iterator_traitsISH_E10value_typeEPNSN_ISI_E10value_typeEPSJ_NS1_7vsmem_tEENKUlT_SH_SI_SJ_E_clIPiSB_SC_SC_EESG_SW_SH_SI_SJ_EUlSW_E1_NS1_11comp_targetILNS1_3genE3ELNS1_11target_archE908ELNS1_3gpuE7ELNS1_3repE0EEENS1_36merge_oddeven_config_static_selectorELNS0_4arch9wavefront6targetE0EEEvSI_,"axG",@progbits,_ZN7rocprim17ROCPRIM_400000_NS6detail17trampoline_kernelINS0_14default_configENS1_38merge_sort_block_merge_config_selectorIiNS0_10empty_typeEEEZZNS1_27merge_sort_block_merge_implIS3_N6thrust23THRUST_200600_302600_NS10device_ptrIiEEPS5_jNS1_19radix_merge_compareILb0ELb1EiNS0_19identity_decomposerEEEEE10hipError_tT0_T1_T2_jT3_P12ihipStream_tbPNSt15iterator_traitsISH_E10value_typeEPNSN_ISI_E10value_typeEPSJ_NS1_7vsmem_tEENKUlT_SH_SI_SJ_E_clIPiSB_SC_SC_EESG_SW_SH_SI_SJ_EUlSW_E1_NS1_11comp_targetILNS1_3genE3ELNS1_11target_archE908ELNS1_3gpuE7ELNS1_3repE0EEENS1_36merge_oddeven_config_static_selectorELNS0_4arch9wavefront6targetE0EEEvSI_,comdat
.Lfunc_end1189:
	.size	_ZN7rocprim17ROCPRIM_400000_NS6detail17trampoline_kernelINS0_14default_configENS1_38merge_sort_block_merge_config_selectorIiNS0_10empty_typeEEEZZNS1_27merge_sort_block_merge_implIS3_N6thrust23THRUST_200600_302600_NS10device_ptrIiEEPS5_jNS1_19radix_merge_compareILb0ELb1EiNS0_19identity_decomposerEEEEE10hipError_tT0_T1_T2_jT3_P12ihipStream_tbPNSt15iterator_traitsISH_E10value_typeEPNSN_ISI_E10value_typeEPSJ_NS1_7vsmem_tEENKUlT_SH_SI_SJ_E_clIPiSB_SC_SC_EESG_SW_SH_SI_SJ_EUlSW_E1_NS1_11comp_targetILNS1_3genE3ELNS1_11target_archE908ELNS1_3gpuE7ELNS1_3repE0EEENS1_36merge_oddeven_config_static_selectorELNS0_4arch9wavefront6targetE0EEEvSI_, .Lfunc_end1189-_ZN7rocprim17ROCPRIM_400000_NS6detail17trampoline_kernelINS0_14default_configENS1_38merge_sort_block_merge_config_selectorIiNS0_10empty_typeEEEZZNS1_27merge_sort_block_merge_implIS3_N6thrust23THRUST_200600_302600_NS10device_ptrIiEEPS5_jNS1_19radix_merge_compareILb0ELb1EiNS0_19identity_decomposerEEEEE10hipError_tT0_T1_T2_jT3_P12ihipStream_tbPNSt15iterator_traitsISH_E10value_typeEPNSN_ISI_E10value_typeEPSJ_NS1_7vsmem_tEENKUlT_SH_SI_SJ_E_clIPiSB_SC_SC_EESG_SW_SH_SI_SJ_EUlSW_E1_NS1_11comp_targetILNS1_3genE3ELNS1_11target_archE908ELNS1_3gpuE7ELNS1_3repE0EEENS1_36merge_oddeven_config_static_selectorELNS0_4arch9wavefront6targetE0EEEvSI_
                                        ; -- End function
	.set _ZN7rocprim17ROCPRIM_400000_NS6detail17trampoline_kernelINS0_14default_configENS1_38merge_sort_block_merge_config_selectorIiNS0_10empty_typeEEEZZNS1_27merge_sort_block_merge_implIS3_N6thrust23THRUST_200600_302600_NS10device_ptrIiEEPS5_jNS1_19radix_merge_compareILb0ELb1EiNS0_19identity_decomposerEEEEE10hipError_tT0_T1_T2_jT3_P12ihipStream_tbPNSt15iterator_traitsISH_E10value_typeEPNSN_ISI_E10value_typeEPSJ_NS1_7vsmem_tEENKUlT_SH_SI_SJ_E_clIPiSB_SC_SC_EESG_SW_SH_SI_SJ_EUlSW_E1_NS1_11comp_targetILNS1_3genE3ELNS1_11target_archE908ELNS1_3gpuE7ELNS1_3repE0EEENS1_36merge_oddeven_config_static_selectorELNS0_4arch9wavefront6targetE0EEEvSI_.num_vgpr, 0
	.set _ZN7rocprim17ROCPRIM_400000_NS6detail17trampoline_kernelINS0_14default_configENS1_38merge_sort_block_merge_config_selectorIiNS0_10empty_typeEEEZZNS1_27merge_sort_block_merge_implIS3_N6thrust23THRUST_200600_302600_NS10device_ptrIiEEPS5_jNS1_19radix_merge_compareILb0ELb1EiNS0_19identity_decomposerEEEEE10hipError_tT0_T1_T2_jT3_P12ihipStream_tbPNSt15iterator_traitsISH_E10value_typeEPNSN_ISI_E10value_typeEPSJ_NS1_7vsmem_tEENKUlT_SH_SI_SJ_E_clIPiSB_SC_SC_EESG_SW_SH_SI_SJ_EUlSW_E1_NS1_11comp_targetILNS1_3genE3ELNS1_11target_archE908ELNS1_3gpuE7ELNS1_3repE0EEENS1_36merge_oddeven_config_static_selectorELNS0_4arch9wavefront6targetE0EEEvSI_.num_agpr, 0
	.set _ZN7rocprim17ROCPRIM_400000_NS6detail17trampoline_kernelINS0_14default_configENS1_38merge_sort_block_merge_config_selectorIiNS0_10empty_typeEEEZZNS1_27merge_sort_block_merge_implIS3_N6thrust23THRUST_200600_302600_NS10device_ptrIiEEPS5_jNS1_19radix_merge_compareILb0ELb1EiNS0_19identity_decomposerEEEEE10hipError_tT0_T1_T2_jT3_P12ihipStream_tbPNSt15iterator_traitsISH_E10value_typeEPNSN_ISI_E10value_typeEPSJ_NS1_7vsmem_tEENKUlT_SH_SI_SJ_E_clIPiSB_SC_SC_EESG_SW_SH_SI_SJ_EUlSW_E1_NS1_11comp_targetILNS1_3genE3ELNS1_11target_archE908ELNS1_3gpuE7ELNS1_3repE0EEENS1_36merge_oddeven_config_static_selectorELNS0_4arch9wavefront6targetE0EEEvSI_.numbered_sgpr, 0
	.set _ZN7rocprim17ROCPRIM_400000_NS6detail17trampoline_kernelINS0_14default_configENS1_38merge_sort_block_merge_config_selectorIiNS0_10empty_typeEEEZZNS1_27merge_sort_block_merge_implIS3_N6thrust23THRUST_200600_302600_NS10device_ptrIiEEPS5_jNS1_19radix_merge_compareILb0ELb1EiNS0_19identity_decomposerEEEEE10hipError_tT0_T1_T2_jT3_P12ihipStream_tbPNSt15iterator_traitsISH_E10value_typeEPNSN_ISI_E10value_typeEPSJ_NS1_7vsmem_tEENKUlT_SH_SI_SJ_E_clIPiSB_SC_SC_EESG_SW_SH_SI_SJ_EUlSW_E1_NS1_11comp_targetILNS1_3genE3ELNS1_11target_archE908ELNS1_3gpuE7ELNS1_3repE0EEENS1_36merge_oddeven_config_static_selectorELNS0_4arch9wavefront6targetE0EEEvSI_.num_named_barrier, 0
	.set _ZN7rocprim17ROCPRIM_400000_NS6detail17trampoline_kernelINS0_14default_configENS1_38merge_sort_block_merge_config_selectorIiNS0_10empty_typeEEEZZNS1_27merge_sort_block_merge_implIS3_N6thrust23THRUST_200600_302600_NS10device_ptrIiEEPS5_jNS1_19radix_merge_compareILb0ELb1EiNS0_19identity_decomposerEEEEE10hipError_tT0_T1_T2_jT3_P12ihipStream_tbPNSt15iterator_traitsISH_E10value_typeEPNSN_ISI_E10value_typeEPSJ_NS1_7vsmem_tEENKUlT_SH_SI_SJ_E_clIPiSB_SC_SC_EESG_SW_SH_SI_SJ_EUlSW_E1_NS1_11comp_targetILNS1_3genE3ELNS1_11target_archE908ELNS1_3gpuE7ELNS1_3repE0EEENS1_36merge_oddeven_config_static_selectorELNS0_4arch9wavefront6targetE0EEEvSI_.private_seg_size, 0
	.set _ZN7rocprim17ROCPRIM_400000_NS6detail17trampoline_kernelINS0_14default_configENS1_38merge_sort_block_merge_config_selectorIiNS0_10empty_typeEEEZZNS1_27merge_sort_block_merge_implIS3_N6thrust23THRUST_200600_302600_NS10device_ptrIiEEPS5_jNS1_19radix_merge_compareILb0ELb1EiNS0_19identity_decomposerEEEEE10hipError_tT0_T1_T2_jT3_P12ihipStream_tbPNSt15iterator_traitsISH_E10value_typeEPNSN_ISI_E10value_typeEPSJ_NS1_7vsmem_tEENKUlT_SH_SI_SJ_E_clIPiSB_SC_SC_EESG_SW_SH_SI_SJ_EUlSW_E1_NS1_11comp_targetILNS1_3genE3ELNS1_11target_archE908ELNS1_3gpuE7ELNS1_3repE0EEENS1_36merge_oddeven_config_static_selectorELNS0_4arch9wavefront6targetE0EEEvSI_.uses_vcc, 0
	.set _ZN7rocprim17ROCPRIM_400000_NS6detail17trampoline_kernelINS0_14default_configENS1_38merge_sort_block_merge_config_selectorIiNS0_10empty_typeEEEZZNS1_27merge_sort_block_merge_implIS3_N6thrust23THRUST_200600_302600_NS10device_ptrIiEEPS5_jNS1_19radix_merge_compareILb0ELb1EiNS0_19identity_decomposerEEEEE10hipError_tT0_T1_T2_jT3_P12ihipStream_tbPNSt15iterator_traitsISH_E10value_typeEPNSN_ISI_E10value_typeEPSJ_NS1_7vsmem_tEENKUlT_SH_SI_SJ_E_clIPiSB_SC_SC_EESG_SW_SH_SI_SJ_EUlSW_E1_NS1_11comp_targetILNS1_3genE3ELNS1_11target_archE908ELNS1_3gpuE7ELNS1_3repE0EEENS1_36merge_oddeven_config_static_selectorELNS0_4arch9wavefront6targetE0EEEvSI_.uses_flat_scratch, 0
	.set _ZN7rocprim17ROCPRIM_400000_NS6detail17trampoline_kernelINS0_14default_configENS1_38merge_sort_block_merge_config_selectorIiNS0_10empty_typeEEEZZNS1_27merge_sort_block_merge_implIS3_N6thrust23THRUST_200600_302600_NS10device_ptrIiEEPS5_jNS1_19radix_merge_compareILb0ELb1EiNS0_19identity_decomposerEEEEE10hipError_tT0_T1_T2_jT3_P12ihipStream_tbPNSt15iterator_traitsISH_E10value_typeEPNSN_ISI_E10value_typeEPSJ_NS1_7vsmem_tEENKUlT_SH_SI_SJ_E_clIPiSB_SC_SC_EESG_SW_SH_SI_SJ_EUlSW_E1_NS1_11comp_targetILNS1_3genE3ELNS1_11target_archE908ELNS1_3gpuE7ELNS1_3repE0EEENS1_36merge_oddeven_config_static_selectorELNS0_4arch9wavefront6targetE0EEEvSI_.has_dyn_sized_stack, 0
	.set _ZN7rocprim17ROCPRIM_400000_NS6detail17trampoline_kernelINS0_14default_configENS1_38merge_sort_block_merge_config_selectorIiNS0_10empty_typeEEEZZNS1_27merge_sort_block_merge_implIS3_N6thrust23THRUST_200600_302600_NS10device_ptrIiEEPS5_jNS1_19radix_merge_compareILb0ELb1EiNS0_19identity_decomposerEEEEE10hipError_tT0_T1_T2_jT3_P12ihipStream_tbPNSt15iterator_traitsISH_E10value_typeEPNSN_ISI_E10value_typeEPSJ_NS1_7vsmem_tEENKUlT_SH_SI_SJ_E_clIPiSB_SC_SC_EESG_SW_SH_SI_SJ_EUlSW_E1_NS1_11comp_targetILNS1_3genE3ELNS1_11target_archE908ELNS1_3gpuE7ELNS1_3repE0EEENS1_36merge_oddeven_config_static_selectorELNS0_4arch9wavefront6targetE0EEEvSI_.has_recursion, 0
	.set _ZN7rocprim17ROCPRIM_400000_NS6detail17trampoline_kernelINS0_14default_configENS1_38merge_sort_block_merge_config_selectorIiNS0_10empty_typeEEEZZNS1_27merge_sort_block_merge_implIS3_N6thrust23THRUST_200600_302600_NS10device_ptrIiEEPS5_jNS1_19radix_merge_compareILb0ELb1EiNS0_19identity_decomposerEEEEE10hipError_tT0_T1_T2_jT3_P12ihipStream_tbPNSt15iterator_traitsISH_E10value_typeEPNSN_ISI_E10value_typeEPSJ_NS1_7vsmem_tEENKUlT_SH_SI_SJ_E_clIPiSB_SC_SC_EESG_SW_SH_SI_SJ_EUlSW_E1_NS1_11comp_targetILNS1_3genE3ELNS1_11target_archE908ELNS1_3gpuE7ELNS1_3repE0EEENS1_36merge_oddeven_config_static_selectorELNS0_4arch9wavefront6targetE0EEEvSI_.has_indirect_call, 0
	.section	.AMDGPU.csdata,"",@progbits
; Kernel info:
; codeLenInByte = 0
; TotalNumSgprs: 0
; NumVgprs: 0
; ScratchSize: 0
; MemoryBound: 0
; FloatMode: 240
; IeeeMode: 1
; LDSByteSize: 0 bytes/workgroup (compile time only)
; SGPRBlocks: 0
; VGPRBlocks: 0
; NumSGPRsForWavesPerEU: 1
; NumVGPRsForWavesPerEU: 1
; Occupancy: 16
; WaveLimiterHint : 0
; COMPUTE_PGM_RSRC2:SCRATCH_EN: 0
; COMPUTE_PGM_RSRC2:USER_SGPR: 6
; COMPUTE_PGM_RSRC2:TRAP_HANDLER: 0
; COMPUTE_PGM_RSRC2:TGID_X_EN: 1
; COMPUTE_PGM_RSRC2:TGID_Y_EN: 0
; COMPUTE_PGM_RSRC2:TGID_Z_EN: 0
; COMPUTE_PGM_RSRC2:TIDIG_COMP_CNT: 0
	.section	.text._ZN7rocprim17ROCPRIM_400000_NS6detail17trampoline_kernelINS0_14default_configENS1_38merge_sort_block_merge_config_selectorIiNS0_10empty_typeEEEZZNS1_27merge_sort_block_merge_implIS3_N6thrust23THRUST_200600_302600_NS10device_ptrIiEEPS5_jNS1_19radix_merge_compareILb0ELb1EiNS0_19identity_decomposerEEEEE10hipError_tT0_T1_T2_jT3_P12ihipStream_tbPNSt15iterator_traitsISH_E10value_typeEPNSN_ISI_E10value_typeEPSJ_NS1_7vsmem_tEENKUlT_SH_SI_SJ_E_clIPiSB_SC_SC_EESG_SW_SH_SI_SJ_EUlSW_E1_NS1_11comp_targetILNS1_3genE2ELNS1_11target_archE906ELNS1_3gpuE6ELNS1_3repE0EEENS1_36merge_oddeven_config_static_selectorELNS0_4arch9wavefront6targetE0EEEvSI_,"axG",@progbits,_ZN7rocprim17ROCPRIM_400000_NS6detail17trampoline_kernelINS0_14default_configENS1_38merge_sort_block_merge_config_selectorIiNS0_10empty_typeEEEZZNS1_27merge_sort_block_merge_implIS3_N6thrust23THRUST_200600_302600_NS10device_ptrIiEEPS5_jNS1_19radix_merge_compareILb0ELb1EiNS0_19identity_decomposerEEEEE10hipError_tT0_T1_T2_jT3_P12ihipStream_tbPNSt15iterator_traitsISH_E10value_typeEPNSN_ISI_E10value_typeEPSJ_NS1_7vsmem_tEENKUlT_SH_SI_SJ_E_clIPiSB_SC_SC_EESG_SW_SH_SI_SJ_EUlSW_E1_NS1_11comp_targetILNS1_3genE2ELNS1_11target_archE906ELNS1_3gpuE6ELNS1_3repE0EEENS1_36merge_oddeven_config_static_selectorELNS0_4arch9wavefront6targetE0EEEvSI_,comdat
	.protected	_ZN7rocprim17ROCPRIM_400000_NS6detail17trampoline_kernelINS0_14default_configENS1_38merge_sort_block_merge_config_selectorIiNS0_10empty_typeEEEZZNS1_27merge_sort_block_merge_implIS3_N6thrust23THRUST_200600_302600_NS10device_ptrIiEEPS5_jNS1_19radix_merge_compareILb0ELb1EiNS0_19identity_decomposerEEEEE10hipError_tT0_T1_T2_jT3_P12ihipStream_tbPNSt15iterator_traitsISH_E10value_typeEPNSN_ISI_E10value_typeEPSJ_NS1_7vsmem_tEENKUlT_SH_SI_SJ_E_clIPiSB_SC_SC_EESG_SW_SH_SI_SJ_EUlSW_E1_NS1_11comp_targetILNS1_3genE2ELNS1_11target_archE906ELNS1_3gpuE6ELNS1_3repE0EEENS1_36merge_oddeven_config_static_selectorELNS0_4arch9wavefront6targetE0EEEvSI_ ; -- Begin function _ZN7rocprim17ROCPRIM_400000_NS6detail17trampoline_kernelINS0_14default_configENS1_38merge_sort_block_merge_config_selectorIiNS0_10empty_typeEEEZZNS1_27merge_sort_block_merge_implIS3_N6thrust23THRUST_200600_302600_NS10device_ptrIiEEPS5_jNS1_19radix_merge_compareILb0ELb1EiNS0_19identity_decomposerEEEEE10hipError_tT0_T1_T2_jT3_P12ihipStream_tbPNSt15iterator_traitsISH_E10value_typeEPNSN_ISI_E10value_typeEPSJ_NS1_7vsmem_tEENKUlT_SH_SI_SJ_E_clIPiSB_SC_SC_EESG_SW_SH_SI_SJ_EUlSW_E1_NS1_11comp_targetILNS1_3genE2ELNS1_11target_archE906ELNS1_3gpuE6ELNS1_3repE0EEENS1_36merge_oddeven_config_static_selectorELNS0_4arch9wavefront6targetE0EEEvSI_
	.globl	_ZN7rocprim17ROCPRIM_400000_NS6detail17trampoline_kernelINS0_14default_configENS1_38merge_sort_block_merge_config_selectorIiNS0_10empty_typeEEEZZNS1_27merge_sort_block_merge_implIS3_N6thrust23THRUST_200600_302600_NS10device_ptrIiEEPS5_jNS1_19radix_merge_compareILb0ELb1EiNS0_19identity_decomposerEEEEE10hipError_tT0_T1_T2_jT3_P12ihipStream_tbPNSt15iterator_traitsISH_E10value_typeEPNSN_ISI_E10value_typeEPSJ_NS1_7vsmem_tEENKUlT_SH_SI_SJ_E_clIPiSB_SC_SC_EESG_SW_SH_SI_SJ_EUlSW_E1_NS1_11comp_targetILNS1_3genE2ELNS1_11target_archE906ELNS1_3gpuE6ELNS1_3repE0EEENS1_36merge_oddeven_config_static_selectorELNS0_4arch9wavefront6targetE0EEEvSI_
	.p2align	8
	.type	_ZN7rocprim17ROCPRIM_400000_NS6detail17trampoline_kernelINS0_14default_configENS1_38merge_sort_block_merge_config_selectorIiNS0_10empty_typeEEEZZNS1_27merge_sort_block_merge_implIS3_N6thrust23THRUST_200600_302600_NS10device_ptrIiEEPS5_jNS1_19radix_merge_compareILb0ELb1EiNS0_19identity_decomposerEEEEE10hipError_tT0_T1_T2_jT3_P12ihipStream_tbPNSt15iterator_traitsISH_E10value_typeEPNSN_ISI_E10value_typeEPSJ_NS1_7vsmem_tEENKUlT_SH_SI_SJ_E_clIPiSB_SC_SC_EESG_SW_SH_SI_SJ_EUlSW_E1_NS1_11comp_targetILNS1_3genE2ELNS1_11target_archE906ELNS1_3gpuE6ELNS1_3repE0EEENS1_36merge_oddeven_config_static_selectorELNS0_4arch9wavefront6targetE0EEEvSI_,@function
_ZN7rocprim17ROCPRIM_400000_NS6detail17trampoline_kernelINS0_14default_configENS1_38merge_sort_block_merge_config_selectorIiNS0_10empty_typeEEEZZNS1_27merge_sort_block_merge_implIS3_N6thrust23THRUST_200600_302600_NS10device_ptrIiEEPS5_jNS1_19radix_merge_compareILb0ELb1EiNS0_19identity_decomposerEEEEE10hipError_tT0_T1_T2_jT3_P12ihipStream_tbPNSt15iterator_traitsISH_E10value_typeEPNSN_ISI_E10value_typeEPSJ_NS1_7vsmem_tEENKUlT_SH_SI_SJ_E_clIPiSB_SC_SC_EESG_SW_SH_SI_SJ_EUlSW_E1_NS1_11comp_targetILNS1_3genE2ELNS1_11target_archE906ELNS1_3gpuE6ELNS1_3repE0EEENS1_36merge_oddeven_config_static_selectorELNS0_4arch9wavefront6targetE0EEEvSI_: ; @_ZN7rocprim17ROCPRIM_400000_NS6detail17trampoline_kernelINS0_14default_configENS1_38merge_sort_block_merge_config_selectorIiNS0_10empty_typeEEEZZNS1_27merge_sort_block_merge_implIS3_N6thrust23THRUST_200600_302600_NS10device_ptrIiEEPS5_jNS1_19radix_merge_compareILb0ELb1EiNS0_19identity_decomposerEEEEE10hipError_tT0_T1_T2_jT3_P12ihipStream_tbPNSt15iterator_traitsISH_E10value_typeEPNSN_ISI_E10value_typeEPSJ_NS1_7vsmem_tEENKUlT_SH_SI_SJ_E_clIPiSB_SC_SC_EESG_SW_SH_SI_SJ_EUlSW_E1_NS1_11comp_targetILNS1_3genE2ELNS1_11target_archE906ELNS1_3gpuE6ELNS1_3repE0EEENS1_36merge_oddeven_config_static_selectorELNS0_4arch9wavefront6targetE0EEEvSI_
; %bb.0:
	.section	.rodata,"a",@progbits
	.p2align	6, 0x0
	.amdhsa_kernel _ZN7rocprim17ROCPRIM_400000_NS6detail17trampoline_kernelINS0_14default_configENS1_38merge_sort_block_merge_config_selectorIiNS0_10empty_typeEEEZZNS1_27merge_sort_block_merge_implIS3_N6thrust23THRUST_200600_302600_NS10device_ptrIiEEPS5_jNS1_19radix_merge_compareILb0ELb1EiNS0_19identity_decomposerEEEEE10hipError_tT0_T1_T2_jT3_P12ihipStream_tbPNSt15iterator_traitsISH_E10value_typeEPNSN_ISI_E10value_typeEPSJ_NS1_7vsmem_tEENKUlT_SH_SI_SJ_E_clIPiSB_SC_SC_EESG_SW_SH_SI_SJ_EUlSW_E1_NS1_11comp_targetILNS1_3genE2ELNS1_11target_archE906ELNS1_3gpuE6ELNS1_3repE0EEENS1_36merge_oddeven_config_static_selectorELNS0_4arch9wavefront6targetE0EEEvSI_
		.amdhsa_group_segment_fixed_size 0
		.amdhsa_private_segment_fixed_size 0
		.amdhsa_kernarg_size 48
		.amdhsa_user_sgpr_count 6
		.amdhsa_user_sgpr_private_segment_buffer 1
		.amdhsa_user_sgpr_dispatch_ptr 0
		.amdhsa_user_sgpr_queue_ptr 0
		.amdhsa_user_sgpr_kernarg_segment_ptr 1
		.amdhsa_user_sgpr_dispatch_id 0
		.amdhsa_user_sgpr_flat_scratch_init 0
		.amdhsa_user_sgpr_private_segment_size 0
		.amdhsa_wavefront_size32 1
		.amdhsa_uses_dynamic_stack 0
		.amdhsa_system_sgpr_private_segment_wavefront_offset 0
		.amdhsa_system_sgpr_workgroup_id_x 1
		.amdhsa_system_sgpr_workgroup_id_y 0
		.amdhsa_system_sgpr_workgroup_id_z 0
		.amdhsa_system_sgpr_workgroup_info 0
		.amdhsa_system_vgpr_workitem_id 0
		.amdhsa_next_free_vgpr 1
		.amdhsa_next_free_sgpr 1
		.amdhsa_reserve_vcc 0
		.amdhsa_reserve_flat_scratch 0
		.amdhsa_float_round_mode_32 0
		.amdhsa_float_round_mode_16_64 0
		.amdhsa_float_denorm_mode_32 3
		.amdhsa_float_denorm_mode_16_64 3
		.amdhsa_dx10_clamp 1
		.amdhsa_ieee_mode 1
		.amdhsa_fp16_overflow 0
		.amdhsa_workgroup_processor_mode 1
		.amdhsa_memory_ordered 1
		.amdhsa_forward_progress 1
		.amdhsa_shared_vgpr_count 0
		.amdhsa_exception_fp_ieee_invalid_op 0
		.amdhsa_exception_fp_denorm_src 0
		.amdhsa_exception_fp_ieee_div_zero 0
		.amdhsa_exception_fp_ieee_overflow 0
		.amdhsa_exception_fp_ieee_underflow 0
		.amdhsa_exception_fp_ieee_inexact 0
		.amdhsa_exception_int_div_zero 0
	.end_amdhsa_kernel
	.section	.text._ZN7rocprim17ROCPRIM_400000_NS6detail17trampoline_kernelINS0_14default_configENS1_38merge_sort_block_merge_config_selectorIiNS0_10empty_typeEEEZZNS1_27merge_sort_block_merge_implIS3_N6thrust23THRUST_200600_302600_NS10device_ptrIiEEPS5_jNS1_19radix_merge_compareILb0ELb1EiNS0_19identity_decomposerEEEEE10hipError_tT0_T1_T2_jT3_P12ihipStream_tbPNSt15iterator_traitsISH_E10value_typeEPNSN_ISI_E10value_typeEPSJ_NS1_7vsmem_tEENKUlT_SH_SI_SJ_E_clIPiSB_SC_SC_EESG_SW_SH_SI_SJ_EUlSW_E1_NS1_11comp_targetILNS1_3genE2ELNS1_11target_archE906ELNS1_3gpuE6ELNS1_3repE0EEENS1_36merge_oddeven_config_static_selectorELNS0_4arch9wavefront6targetE0EEEvSI_,"axG",@progbits,_ZN7rocprim17ROCPRIM_400000_NS6detail17trampoline_kernelINS0_14default_configENS1_38merge_sort_block_merge_config_selectorIiNS0_10empty_typeEEEZZNS1_27merge_sort_block_merge_implIS3_N6thrust23THRUST_200600_302600_NS10device_ptrIiEEPS5_jNS1_19radix_merge_compareILb0ELb1EiNS0_19identity_decomposerEEEEE10hipError_tT0_T1_T2_jT3_P12ihipStream_tbPNSt15iterator_traitsISH_E10value_typeEPNSN_ISI_E10value_typeEPSJ_NS1_7vsmem_tEENKUlT_SH_SI_SJ_E_clIPiSB_SC_SC_EESG_SW_SH_SI_SJ_EUlSW_E1_NS1_11comp_targetILNS1_3genE2ELNS1_11target_archE906ELNS1_3gpuE6ELNS1_3repE0EEENS1_36merge_oddeven_config_static_selectorELNS0_4arch9wavefront6targetE0EEEvSI_,comdat
.Lfunc_end1190:
	.size	_ZN7rocprim17ROCPRIM_400000_NS6detail17trampoline_kernelINS0_14default_configENS1_38merge_sort_block_merge_config_selectorIiNS0_10empty_typeEEEZZNS1_27merge_sort_block_merge_implIS3_N6thrust23THRUST_200600_302600_NS10device_ptrIiEEPS5_jNS1_19radix_merge_compareILb0ELb1EiNS0_19identity_decomposerEEEEE10hipError_tT0_T1_T2_jT3_P12ihipStream_tbPNSt15iterator_traitsISH_E10value_typeEPNSN_ISI_E10value_typeEPSJ_NS1_7vsmem_tEENKUlT_SH_SI_SJ_E_clIPiSB_SC_SC_EESG_SW_SH_SI_SJ_EUlSW_E1_NS1_11comp_targetILNS1_3genE2ELNS1_11target_archE906ELNS1_3gpuE6ELNS1_3repE0EEENS1_36merge_oddeven_config_static_selectorELNS0_4arch9wavefront6targetE0EEEvSI_, .Lfunc_end1190-_ZN7rocprim17ROCPRIM_400000_NS6detail17trampoline_kernelINS0_14default_configENS1_38merge_sort_block_merge_config_selectorIiNS0_10empty_typeEEEZZNS1_27merge_sort_block_merge_implIS3_N6thrust23THRUST_200600_302600_NS10device_ptrIiEEPS5_jNS1_19radix_merge_compareILb0ELb1EiNS0_19identity_decomposerEEEEE10hipError_tT0_T1_T2_jT3_P12ihipStream_tbPNSt15iterator_traitsISH_E10value_typeEPNSN_ISI_E10value_typeEPSJ_NS1_7vsmem_tEENKUlT_SH_SI_SJ_E_clIPiSB_SC_SC_EESG_SW_SH_SI_SJ_EUlSW_E1_NS1_11comp_targetILNS1_3genE2ELNS1_11target_archE906ELNS1_3gpuE6ELNS1_3repE0EEENS1_36merge_oddeven_config_static_selectorELNS0_4arch9wavefront6targetE0EEEvSI_
                                        ; -- End function
	.set _ZN7rocprim17ROCPRIM_400000_NS6detail17trampoline_kernelINS0_14default_configENS1_38merge_sort_block_merge_config_selectorIiNS0_10empty_typeEEEZZNS1_27merge_sort_block_merge_implIS3_N6thrust23THRUST_200600_302600_NS10device_ptrIiEEPS5_jNS1_19radix_merge_compareILb0ELb1EiNS0_19identity_decomposerEEEEE10hipError_tT0_T1_T2_jT3_P12ihipStream_tbPNSt15iterator_traitsISH_E10value_typeEPNSN_ISI_E10value_typeEPSJ_NS1_7vsmem_tEENKUlT_SH_SI_SJ_E_clIPiSB_SC_SC_EESG_SW_SH_SI_SJ_EUlSW_E1_NS1_11comp_targetILNS1_3genE2ELNS1_11target_archE906ELNS1_3gpuE6ELNS1_3repE0EEENS1_36merge_oddeven_config_static_selectorELNS0_4arch9wavefront6targetE0EEEvSI_.num_vgpr, 0
	.set _ZN7rocprim17ROCPRIM_400000_NS6detail17trampoline_kernelINS0_14default_configENS1_38merge_sort_block_merge_config_selectorIiNS0_10empty_typeEEEZZNS1_27merge_sort_block_merge_implIS3_N6thrust23THRUST_200600_302600_NS10device_ptrIiEEPS5_jNS1_19radix_merge_compareILb0ELb1EiNS0_19identity_decomposerEEEEE10hipError_tT0_T1_T2_jT3_P12ihipStream_tbPNSt15iterator_traitsISH_E10value_typeEPNSN_ISI_E10value_typeEPSJ_NS1_7vsmem_tEENKUlT_SH_SI_SJ_E_clIPiSB_SC_SC_EESG_SW_SH_SI_SJ_EUlSW_E1_NS1_11comp_targetILNS1_3genE2ELNS1_11target_archE906ELNS1_3gpuE6ELNS1_3repE0EEENS1_36merge_oddeven_config_static_selectorELNS0_4arch9wavefront6targetE0EEEvSI_.num_agpr, 0
	.set _ZN7rocprim17ROCPRIM_400000_NS6detail17trampoline_kernelINS0_14default_configENS1_38merge_sort_block_merge_config_selectorIiNS0_10empty_typeEEEZZNS1_27merge_sort_block_merge_implIS3_N6thrust23THRUST_200600_302600_NS10device_ptrIiEEPS5_jNS1_19radix_merge_compareILb0ELb1EiNS0_19identity_decomposerEEEEE10hipError_tT0_T1_T2_jT3_P12ihipStream_tbPNSt15iterator_traitsISH_E10value_typeEPNSN_ISI_E10value_typeEPSJ_NS1_7vsmem_tEENKUlT_SH_SI_SJ_E_clIPiSB_SC_SC_EESG_SW_SH_SI_SJ_EUlSW_E1_NS1_11comp_targetILNS1_3genE2ELNS1_11target_archE906ELNS1_3gpuE6ELNS1_3repE0EEENS1_36merge_oddeven_config_static_selectorELNS0_4arch9wavefront6targetE0EEEvSI_.numbered_sgpr, 0
	.set _ZN7rocprim17ROCPRIM_400000_NS6detail17trampoline_kernelINS0_14default_configENS1_38merge_sort_block_merge_config_selectorIiNS0_10empty_typeEEEZZNS1_27merge_sort_block_merge_implIS3_N6thrust23THRUST_200600_302600_NS10device_ptrIiEEPS5_jNS1_19radix_merge_compareILb0ELb1EiNS0_19identity_decomposerEEEEE10hipError_tT0_T1_T2_jT3_P12ihipStream_tbPNSt15iterator_traitsISH_E10value_typeEPNSN_ISI_E10value_typeEPSJ_NS1_7vsmem_tEENKUlT_SH_SI_SJ_E_clIPiSB_SC_SC_EESG_SW_SH_SI_SJ_EUlSW_E1_NS1_11comp_targetILNS1_3genE2ELNS1_11target_archE906ELNS1_3gpuE6ELNS1_3repE0EEENS1_36merge_oddeven_config_static_selectorELNS0_4arch9wavefront6targetE0EEEvSI_.num_named_barrier, 0
	.set _ZN7rocprim17ROCPRIM_400000_NS6detail17trampoline_kernelINS0_14default_configENS1_38merge_sort_block_merge_config_selectorIiNS0_10empty_typeEEEZZNS1_27merge_sort_block_merge_implIS3_N6thrust23THRUST_200600_302600_NS10device_ptrIiEEPS5_jNS1_19radix_merge_compareILb0ELb1EiNS0_19identity_decomposerEEEEE10hipError_tT0_T1_T2_jT3_P12ihipStream_tbPNSt15iterator_traitsISH_E10value_typeEPNSN_ISI_E10value_typeEPSJ_NS1_7vsmem_tEENKUlT_SH_SI_SJ_E_clIPiSB_SC_SC_EESG_SW_SH_SI_SJ_EUlSW_E1_NS1_11comp_targetILNS1_3genE2ELNS1_11target_archE906ELNS1_3gpuE6ELNS1_3repE0EEENS1_36merge_oddeven_config_static_selectorELNS0_4arch9wavefront6targetE0EEEvSI_.private_seg_size, 0
	.set _ZN7rocprim17ROCPRIM_400000_NS6detail17trampoline_kernelINS0_14default_configENS1_38merge_sort_block_merge_config_selectorIiNS0_10empty_typeEEEZZNS1_27merge_sort_block_merge_implIS3_N6thrust23THRUST_200600_302600_NS10device_ptrIiEEPS5_jNS1_19radix_merge_compareILb0ELb1EiNS0_19identity_decomposerEEEEE10hipError_tT0_T1_T2_jT3_P12ihipStream_tbPNSt15iterator_traitsISH_E10value_typeEPNSN_ISI_E10value_typeEPSJ_NS1_7vsmem_tEENKUlT_SH_SI_SJ_E_clIPiSB_SC_SC_EESG_SW_SH_SI_SJ_EUlSW_E1_NS1_11comp_targetILNS1_3genE2ELNS1_11target_archE906ELNS1_3gpuE6ELNS1_3repE0EEENS1_36merge_oddeven_config_static_selectorELNS0_4arch9wavefront6targetE0EEEvSI_.uses_vcc, 0
	.set _ZN7rocprim17ROCPRIM_400000_NS6detail17trampoline_kernelINS0_14default_configENS1_38merge_sort_block_merge_config_selectorIiNS0_10empty_typeEEEZZNS1_27merge_sort_block_merge_implIS3_N6thrust23THRUST_200600_302600_NS10device_ptrIiEEPS5_jNS1_19radix_merge_compareILb0ELb1EiNS0_19identity_decomposerEEEEE10hipError_tT0_T1_T2_jT3_P12ihipStream_tbPNSt15iterator_traitsISH_E10value_typeEPNSN_ISI_E10value_typeEPSJ_NS1_7vsmem_tEENKUlT_SH_SI_SJ_E_clIPiSB_SC_SC_EESG_SW_SH_SI_SJ_EUlSW_E1_NS1_11comp_targetILNS1_3genE2ELNS1_11target_archE906ELNS1_3gpuE6ELNS1_3repE0EEENS1_36merge_oddeven_config_static_selectorELNS0_4arch9wavefront6targetE0EEEvSI_.uses_flat_scratch, 0
	.set _ZN7rocprim17ROCPRIM_400000_NS6detail17trampoline_kernelINS0_14default_configENS1_38merge_sort_block_merge_config_selectorIiNS0_10empty_typeEEEZZNS1_27merge_sort_block_merge_implIS3_N6thrust23THRUST_200600_302600_NS10device_ptrIiEEPS5_jNS1_19radix_merge_compareILb0ELb1EiNS0_19identity_decomposerEEEEE10hipError_tT0_T1_T2_jT3_P12ihipStream_tbPNSt15iterator_traitsISH_E10value_typeEPNSN_ISI_E10value_typeEPSJ_NS1_7vsmem_tEENKUlT_SH_SI_SJ_E_clIPiSB_SC_SC_EESG_SW_SH_SI_SJ_EUlSW_E1_NS1_11comp_targetILNS1_3genE2ELNS1_11target_archE906ELNS1_3gpuE6ELNS1_3repE0EEENS1_36merge_oddeven_config_static_selectorELNS0_4arch9wavefront6targetE0EEEvSI_.has_dyn_sized_stack, 0
	.set _ZN7rocprim17ROCPRIM_400000_NS6detail17trampoline_kernelINS0_14default_configENS1_38merge_sort_block_merge_config_selectorIiNS0_10empty_typeEEEZZNS1_27merge_sort_block_merge_implIS3_N6thrust23THRUST_200600_302600_NS10device_ptrIiEEPS5_jNS1_19radix_merge_compareILb0ELb1EiNS0_19identity_decomposerEEEEE10hipError_tT0_T1_T2_jT3_P12ihipStream_tbPNSt15iterator_traitsISH_E10value_typeEPNSN_ISI_E10value_typeEPSJ_NS1_7vsmem_tEENKUlT_SH_SI_SJ_E_clIPiSB_SC_SC_EESG_SW_SH_SI_SJ_EUlSW_E1_NS1_11comp_targetILNS1_3genE2ELNS1_11target_archE906ELNS1_3gpuE6ELNS1_3repE0EEENS1_36merge_oddeven_config_static_selectorELNS0_4arch9wavefront6targetE0EEEvSI_.has_recursion, 0
	.set _ZN7rocprim17ROCPRIM_400000_NS6detail17trampoline_kernelINS0_14default_configENS1_38merge_sort_block_merge_config_selectorIiNS0_10empty_typeEEEZZNS1_27merge_sort_block_merge_implIS3_N6thrust23THRUST_200600_302600_NS10device_ptrIiEEPS5_jNS1_19radix_merge_compareILb0ELb1EiNS0_19identity_decomposerEEEEE10hipError_tT0_T1_T2_jT3_P12ihipStream_tbPNSt15iterator_traitsISH_E10value_typeEPNSN_ISI_E10value_typeEPSJ_NS1_7vsmem_tEENKUlT_SH_SI_SJ_E_clIPiSB_SC_SC_EESG_SW_SH_SI_SJ_EUlSW_E1_NS1_11comp_targetILNS1_3genE2ELNS1_11target_archE906ELNS1_3gpuE6ELNS1_3repE0EEENS1_36merge_oddeven_config_static_selectorELNS0_4arch9wavefront6targetE0EEEvSI_.has_indirect_call, 0
	.section	.AMDGPU.csdata,"",@progbits
; Kernel info:
; codeLenInByte = 0
; TotalNumSgprs: 0
; NumVgprs: 0
; ScratchSize: 0
; MemoryBound: 0
; FloatMode: 240
; IeeeMode: 1
; LDSByteSize: 0 bytes/workgroup (compile time only)
; SGPRBlocks: 0
; VGPRBlocks: 0
; NumSGPRsForWavesPerEU: 1
; NumVGPRsForWavesPerEU: 1
; Occupancy: 16
; WaveLimiterHint : 0
; COMPUTE_PGM_RSRC2:SCRATCH_EN: 0
; COMPUTE_PGM_RSRC2:USER_SGPR: 6
; COMPUTE_PGM_RSRC2:TRAP_HANDLER: 0
; COMPUTE_PGM_RSRC2:TGID_X_EN: 1
; COMPUTE_PGM_RSRC2:TGID_Y_EN: 0
; COMPUTE_PGM_RSRC2:TGID_Z_EN: 0
; COMPUTE_PGM_RSRC2:TIDIG_COMP_CNT: 0
	.section	.text._ZN7rocprim17ROCPRIM_400000_NS6detail17trampoline_kernelINS0_14default_configENS1_38merge_sort_block_merge_config_selectorIiNS0_10empty_typeEEEZZNS1_27merge_sort_block_merge_implIS3_N6thrust23THRUST_200600_302600_NS10device_ptrIiEEPS5_jNS1_19radix_merge_compareILb0ELb1EiNS0_19identity_decomposerEEEEE10hipError_tT0_T1_T2_jT3_P12ihipStream_tbPNSt15iterator_traitsISH_E10value_typeEPNSN_ISI_E10value_typeEPSJ_NS1_7vsmem_tEENKUlT_SH_SI_SJ_E_clIPiSB_SC_SC_EESG_SW_SH_SI_SJ_EUlSW_E1_NS1_11comp_targetILNS1_3genE9ELNS1_11target_archE1100ELNS1_3gpuE3ELNS1_3repE0EEENS1_36merge_oddeven_config_static_selectorELNS0_4arch9wavefront6targetE0EEEvSI_,"axG",@progbits,_ZN7rocprim17ROCPRIM_400000_NS6detail17trampoline_kernelINS0_14default_configENS1_38merge_sort_block_merge_config_selectorIiNS0_10empty_typeEEEZZNS1_27merge_sort_block_merge_implIS3_N6thrust23THRUST_200600_302600_NS10device_ptrIiEEPS5_jNS1_19radix_merge_compareILb0ELb1EiNS0_19identity_decomposerEEEEE10hipError_tT0_T1_T2_jT3_P12ihipStream_tbPNSt15iterator_traitsISH_E10value_typeEPNSN_ISI_E10value_typeEPSJ_NS1_7vsmem_tEENKUlT_SH_SI_SJ_E_clIPiSB_SC_SC_EESG_SW_SH_SI_SJ_EUlSW_E1_NS1_11comp_targetILNS1_3genE9ELNS1_11target_archE1100ELNS1_3gpuE3ELNS1_3repE0EEENS1_36merge_oddeven_config_static_selectorELNS0_4arch9wavefront6targetE0EEEvSI_,comdat
	.protected	_ZN7rocprim17ROCPRIM_400000_NS6detail17trampoline_kernelINS0_14default_configENS1_38merge_sort_block_merge_config_selectorIiNS0_10empty_typeEEEZZNS1_27merge_sort_block_merge_implIS3_N6thrust23THRUST_200600_302600_NS10device_ptrIiEEPS5_jNS1_19radix_merge_compareILb0ELb1EiNS0_19identity_decomposerEEEEE10hipError_tT0_T1_T2_jT3_P12ihipStream_tbPNSt15iterator_traitsISH_E10value_typeEPNSN_ISI_E10value_typeEPSJ_NS1_7vsmem_tEENKUlT_SH_SI_SJ_E_clIPiSB_SC_SC_EESG_SW_SH_SI_SJ_EUlSW_E1_NS1_11comp_targetILNS1_3genE9ELNS1_11target_archE1100ELNS1_3gpuE3ELNS1_3repE0EEENS1_36merge_oddeven_config_static_selectorELNS0_4arch9wavefront6targetE0EEEvSI_ ; -- Begin function _ZN7rocprim17ROCPRIM_400000_NS6detail17trampoline_kernelINS0_14default_configENS1_38merge_sort_block_merge_config_selectorIiNS0_10empty_typeEEEZZNS1_27merge_sort_block_merge_implIS3_N6thrust23THRUST_200600_302600_NS10device_ptrIiEEPS5_jNS1_19radix_merge_compareILb0ELb1EiNS0_19identity_decomposerEEEEE10hipError_tT0_T1_T2_jT3_P12ihipStream_tbPNSt15iterator_traitsISH_E10value_typeEPNSN_ISI_E10value_typeEPSJ_NS1_7vsmem_tEENKUlT_SH_SI_SJ_E_clIPiSB_SC_SC_EESG_SW_SH_SI_SJ_EUlSW_E1_NS1_11comp_targetILNS1_3genE9ELNS1_11target_archE1100ELNS1_3gpuE3ELNS1_3repE0EEENS1_36merge_oddeven_config_static_selectorELNS0_4arch9wavefront6targetE0EEEvSI_
	.globl	_ZN7rocprim17ROCPRIM_400000_NS6detail17trampoline_kernelINS0_14default_configENS1_38merge_sort_block_merge_config_selectorIiNS0_10empty_typeEEEZZNS1_27merge_sort_block_merge_implIS3_N6thrust23THRUST_200600_302600_NS10device_ptrIiEEPS5_jNS1_19radix_merge_compareILb0ELb1EiNS0_19identity_decomposerEEEEE10hipError_tT0_T1_T2_jT3_P12ihipStream_tbPNSt15iterator_traitsISH_E10value_typeEPNSN_ISI_E10value_typeEPSJ_NS1_7vsmem_tEENKUlT_SH_SI_SJ_E_clIPiSB_SC_SC_EESG_SW_SH_SI_SJ_EUlSW_E1_NS1_11comp_targetILNS1_3genE9ELNS1_11target_archE1100ELNS1_3gpuE3ELNS1_3repE0EEENS1_36merge_oddeven_config_static_selectorELNS0_4arch9wavefront6targetE0EEEvSI_
	.p2align	8
	.type	_ZN7rocprim17ROCPRIM_400000_NS6detail17trampoline_kernelINS0_14default_configENS1_38merge_sort_block_merge_config_selectorIiNS0_10empty_typeEEEZZNS1_27merge_sort_block_merge_implIS3_N6thrust23THRUST_200600_302600_NS10device_ptrIiEEPS5_jNS1_19radix_merge_compareILb0ELb1EiNS0_19identity_decomposerEEEEE10hipError_tT0_T1_T2_jT3_P12ihipStream_tbPNSt15iterator_traitsISH_E10value_typeEPNSN_ISI_E10value_typeEPSJ_NS1_7vsmem_tEENKUlT_SH_SI_SJ_E_clIPiSB_SC_SC_EESG_SW_SH_SI_SJ_EUlSW_E1_NS1_11comp_targetILNS1_3genE9ELNS1_11target_archE1100ELNS1_3gpuE3ELNS1_3repE0EEENS1_36merge_oddeven_config_static_selectorELNS0_4arch9wavefront6targetE0EEEvSI_,@function
_ZN7rocprim17ROCPRIM_400000_NS6detail17trampoline_kernelINS0_14default_configENS1_38merge_sort_block_merge_config_selectorIiNS0_10empty_typeEEEZZNS1_27merge_sort_block_merge_implIS3_N6thrust23THRUST_200600_302600_NS10device_ptrIiEEPS5_jNS1_19radix_merge_compareILb0ELb1EiNS0_19identity_decomposerEEEEE10hipError_tT0_T1_T2_jT3_P12ihipStream_tbPNSt15iterator_traitsISH_E10value_typeEPNSN_ISI_E10value_typeEPSJ_NS1_7vsmem_tEENKUlT_SH_SI_SJ_E_clIPiSB_SC_SC_EESG_SW_SH_SI_SJ_EUlSW_E1_NS1_11comp_targetILNS1_3genE9ELNS1_11target_archE1100ELNS1_3gpuE3ELNS1_3repE0EEENS1_36merge_oddeven_config_static_selectorELNS0_4arch9wavefront6targetE0EEEvSI_: ; @_ZN7rocprim17ROCPRIM_400000_NS6detail17trampoline_kernelINS0_14default_configENS1_38merge_sort_block_merge_config_selectorIiNS0_10empty_typeEEEZZNS1_27merge_sort_block_merge_implIS3_N6thrust23THRUST_200600_302600_NS10device_ptrIiEEPS5_jNS1_19radix_merge_compareILb0ELb1EiNS0_19identity_decomposerEEEEE10hipError_tT0_T1_T2_jT3_P12ihipStream_tbPNSt15iterator_traitsISH_E10value_typeEPNSN_ISI_E10value_typeEPSJ_NS1_7vsmem_tEENKUlT_SH_SI_SJ_E_clIPiSB_SC_SC_EESG_SW_SH_SI_SJ_EUlSW_E1_NS1_11comp_targetILNS1_3genE9ELNS1_11target_archE1100ELNS1_3gpuE3ELNS1_3repE0EEENS1_36merge_oddeven_config_static_selectorELNS0_4arch9wavefront6targetE0EEEvSI_
; %bb.0:
	.section	.rodata,"a",@progbits
	.p2align	6, 0x0
	.amdhsa_kernel _ZN7rocprim17ROCPRIM_400000_NS6detail17trampoline_kernelINS0_14default_configENS1_38merge_sort_block_merge_config_selectorIiNS0_10empty_typeEEEZZNS1_27merge_sort_block_merge_implIS3_N6thrust23THRUST_200600_302600_NS10device_ptrIiEEPS5_jNS1_19radix_merge_compareILb0ELb1EiNS0_19identity_decomposerEEEEE10hipError_tT0_T1_T2_jT3_P12ihipStream_tbPNSt15iterator_traitsISH_E10value_typeEPNSN_ISI_E10value_typeEPSJ_NS1_7vsmem_tEENKUlT_SH_SI_SJ_E_clIPiSB_SC_SC_EESG_SW_SH_SI_SJ_EUlSW_E1_NS1_11comp_targetILNS1_3genE9ELNS1_11target_archE1100ELNS1_3gpuE3ELNS1_3repE0EEENS1_36merge_oddeven_config_static_selectorELNS0_4arch9wavefront6targetE0EEEvSI_
		.amdhsa_group_segment_fixed_size 0
		.amdhsa_private_segment_fixed_size 0
		.amdhsa_kernarg_size 48
		.amdhsa_user_sgpr_count 6
		.amdhsa_user_sgpr_private_segment_buffer 1
		.amdhsa_user_sgpr_dispatch_ptr 0
		.amdhsa_user_sgpr_queue_ptr 0
		.amdhsa_user_sgpr_kernarg_segment_ptr 1
		.amdhsa_user_sgpr_dispatch_id 0
		.amdhsa_user_sgpr_flat_scratch_init 0
		.amdhsa_user_sgpr_private_segment_size 0
		.amdhsa_wavefront_size32 1
		.amdhsa_uses_dynamic_stack 0
		.amdhsa_system_sgpr_private_segment_wavefront_offset 0
		.amdhsa_system_sgpr_workgroup_id_x 1
		.amdhsa_system_sgpr_workgroup_id_y 0
		.amdhsa_system_sgpr_workgroup_id_z 0
		.amdhsa_system_sgpr_workgroup_info 0
		.amdhsa_system_vgpr_workitem_id 0
		.amdhsa_next_free_vgpr 1
		.amdhsa_next_free_sgpr 1
		.amdhsa_reserve_vcc 0
		.amdhsa_reserve_flat_scratch 0
		.amdhsa_float_round_mode_32 0
		.amdhsa_float_round_mode_16_64 0
		.amdhsa_float_denorm_mode_32 3
		.amdhsa_float_denorm_mode_16_64 3
		.amdhsa_dx10_clamp 1
		.amdhsa_ieee_mode 1
		.amdhsa_fp16_overflow 0
		.amdhsa_workgroup_processor_mode 1
		.amdhsa_memory_ordered 1
		.amdhsa_forward_progress 1
		.amdhsa_shared_vgpr_count 0
		.amdhsa_exception_fp_ieee_invalid_op 0
		.amdhsa_exception_fp_denorm_src 0
		.amdhsa_exception_fp_ieee_div_zero 0
		.amdhsa_exception_fp_ieee_overflow 0
		.amdhsa_exception_fp_ieee_underflow 0
		.amdhsa_exception_fp_ieee_inexact 0
		.amdhsa_exception_int_div_zero 0
	.end_amdhsa_kernel
	.section	.text._ZN7rocprim17ROCPRIM_400000_NS6detail17trampoline_kernelINS0_14default_configENS1_38merge_sort_block_merge_config_selectorIiNS0_10empty_typeEEEZZNS1_27merge_sort_block_merge_implIS3_N6thrust23THRUST_200600_302600_NS10device_ptrIiEEPS5_jNS1_19radix_merge_compareILb0ELb1EiNS0_19identity_decomposerEEEEE10hipError_tT0_T1_T2_jT3_P12ihipStream_tbPNSt15iterator_traitsISH_E10value_typeEPNSN_ISI_E10value_typeEPSJ_NS1_7vsmem_tEENKUlT_SH_SI_SJ_E_clIPiSB_SC_SC_EESG_SW_SH_SI_SJ_EUlSW_E1_NS1_11comp_targetILNS1_3genE9ELNS1_11target_archE1100ELNS1_3gpuE3ELNS1_3repE0EEENS1_36merge_oddeven_config_static_selectorELNS0_4arch9wavefront6targetE0EEEvSI_,"axG",@progbits,_ZN7rocprim17ROCPRIM_400000_NS6detail17trampoline_kernelINS0_14default_configENS1_38merge_sort_block_merge_config_selectorIiNS0_10empty_typeEEEZZNS1_27merge_sort_block_merge_implIS3_N6thrust23THRUST_200600_302600_NS10device_ptrIiEEPS5_jNS1_19radix_merge_compareILb0ELb1EiNS0_19identity_decomposerEEEEE10hipError_tT0_T1_T2_jT3_P12ihipStream_tbPNSt15iterator_traitsISH_E10value_typeEPNSN_ISI_E10value_typeEPSJ_NS1_7vsmem_tEENKUlT_SH_SI_SJ_E_clIPiSB_SC_SC_EESG_SW_SH_SI_SJ_EUlSW_E1_NS1_11comp_targetILNS1_3genE9ELNS1_11target_archE1100ELNS1_3gpuE3ELNS1_3repE0EEENS1_36merge_oddeven_config_static_selectorELNS0_4arch9wavefront6targetE0EEEvSI_,comdat
.Lfunc_end1191:
	.size	_ZN7rocprim17ROCPRIM_400000_NS6detail17trampoline_kernelINS0_14default_configENS1_38merge_sort_block_merge_config_selectorIiNS0_10empty_typeEEEZZNS1_27merge_sort_block_merge_implIS3_N6thrust23THRUST_200600_302600_NS10device_ptrIiEEPS5_jNS1_19radix_merge_compareILb0ELb1EiNS0_19identity_decomposerEEEEE10hipError_tT0_T1_T2_jT3_P12ihipStream_tbPNSt15iterator_traitsISH_E10value_typeEPNSN_ISI_E10value_typeEPSJ_NS1_7vsmem_tEENKUlT_SH_SI_SJ_E_clIPiSB_SC_SC_EESG_SW_SH_SI_SJ_EUlSW_E1_NS1_11comp_targetILNS1_3genE9ELNS1_11target_archE1100ELNS1_3gpuE3ELNS1_3repE0EEENS1_36merge_oddeven_config_static_selectorELNS0_4arch9wavefront6targetE0EEEvSI_, .Lfunc_end1191-_ZN7rocprim17ROCPRIM_400000_NS6detail17trampoline_kernelINS0_14default_configENS1_38merge_sort_block_merge_config_selectorIiNS0_10empty_typeEEEZZNS1_27merge_sort_block_merge_implIS3_N6thrust23THRUST_200600_302600_NS10device_ptrIiEEPS5_jNS1_19radix_merge_compareILb0ELb1EiNS0_19identity_decomposerEEEEE10hipError_tT0_T1_T2_jT3_P12ihipStream_tbPNSt15iterator_traitsISH_E10value_typeEPNSN_ISI_E10value_typeEPSJ_NS1_7vsmem_tEENKUlT_SH_SI_SJ_E_clIPiSB_SC_SC_EESG_SW_SH_SI_SJ_EUlSW_E1_NS1_11comp_targetILNS1_3genE9ELNS1_11target_archE1100ELNS1_3gpuE3ELNS1_3repE0EEENS1_36merge_oddeven_config_static_selectorELNS0_4arch9wavefront6targetE0EEEvSI_
                                        ; -- End function
	.set _ZN7rocprim17ROCPRIM_400000_NS6detail17trampoline_kernelINS0_14default_configENS1_38merge_sort_block_merge_config_selectorIiNS0_10empty_typeEEEZZNS1_27merge_sort_block_merge_implIS3_N6thrust23THRUST_200600_302600_NS10device_ptrIiEEPS5_jNS1_19radix_merge_compareILb0ELb1EiNS0_19identity_decomposerEEEEE10hipError_tT0_T1_T2_jT3_P12ihipStream_tbPNSt15iterator_traitsISH_E10value_typeEPNSN_ISI_E10value_typeEPSJ_NS1_7vsmem_tEENKUlT_SH_SI_SJ_E_clIPiSB_SC_SC_EESG_SW_SH_SI_SJ_EUlSW_E1_NS1_11comp_targetILNS1_3genE9ELNS1_11target_archE1100ELNS1_3gpuE3ELNS1_3repE0EEENS1_36merge_oddeven_config_static_selectorELNS0_4arch9wavefront6targetE0EEEvSI_.num_vgpr, 0
	.set _ZN7rocprim17ROCPRIM_400000_NS6detail17trampoline_kernelINS0_14default_configENS1_38merge_sort_block_merge_config_selectorIiNS0_10empty_typeEEEZZNS1_27merge_sort_block_merge_implIS3_N6thrust23THRUST_200600_302600_NS10device_ptrIiEEPS5_jNS1_19radix_merge_compareILb0ELb1EiNS0_19identity_decomposerEEEEE10hipError_tT0_T1_T2_jT3_P12ihipStream_tbPNSt15iterator_traitsISH_E10value_typeEPNSN_ISI_E10value_typeEPSJ_NS1_7vsmem_tEENKUlT_SH_SI_SJ_E_clIPiSB_SC_SC_EESG_SW_SH_SI_SJ_EUlSW_E1_NS1_11comp_targetILNS1_3genE9ELNS1_11target_archE1100ELNS1_3gpuE3ELNS1_3repE0EEENS1_36merge_oddeven_config_static_selectorELNS0_4arch9wavefront6targetE0EEEvSI_.num_agpr, 0
	.set _ZN7rocprim17ROCPRIM_400000_NS6detail17trampoline_kernelINS0_14default_configENS1_38merge_sort_block_merge_config_selectorIiNS0_10empty_typeEEEZZNS1_27merge_sort_block_merge_implIS3_N6thrust23THRUST_200600_302600_NS10device_ptrIiEEPS5_jNS1_19radix_merge_compareILb0ELb1EiNS0_19identity_decomposerEEEEE10hipError_tT0_T1_T2_jT3_P12ihipStream_tbPNSt15iterator_traitsISH_E10value_typeEPNSN_ISI_E10value_typeEPSJ_NS1_7vsmem_tEENKUlT_SH_SI_SJ_E_clIPiSB_SC_SC_EESG_SW_SH_SI_SJ_EUlSW_E1_NS1_11comp_targetILNS1_3genE9ELNS1_11target_archE1100ELNS1_3gpuE3ELNS1_3repE0EEENS1_36merge_oddeven_config_static_selectorELNS0_4arch9wavefront6targetE0EEEvSI_.numbered_sgpr, 0
	.set _ZN7rocprim17ROCPRIM_400000_NS6detail17trampoline_kernelINS0_14default_configENS1_38merge_sort_block_merge_config_selectorIiNS0_10empty_typeEEEZZNS1_27merge_sort_block_merge_implIS3_N6thrust23THRUST_200600_302600_NS10device_ptrIiEEPS5_jNS1_19radix_merge_compareILb0ELb1EiNS0_19identity_decomposerEEEEE10hipError_tT0_T1_T2_jT3_P12ihipStream_tbPNSt15iterator_traitsISH_E10value_typeEPNSN_ISI_E10value_typeEPSJ_NS1_7vsmem_tEENKUlT_SH_SI_SJ_E_clIPiSB_SC_SC_EESG_SW_SH_SI_SJ_EUlSW_E1_NS1_11comp_targetILNS1_3genE9ELNS1_11target_archE1100ELNS1_3gpuE3ELNS1_3repE0EEENS1_36merge_oddeven_config_static_selectorELNS0_4arch9wavefront6targetE0EEEvSI_.num_named_barrier, 0
	.set _ZN7rocprim17ROCPRIM_400000_NS6detail17trampoline_kernelINS0_14default_configENS1_38merge_sort_block_merge_config_selectorIiNS0_10empty_typeEEEZZNS1_27merge_sort_block_merge_implIS3_N6thrust23THRUST_200600_302600_NS10device_ptrIiEEPS5_jNS1_19radix_merge_compareILb0ELb1EiNS0_19identity_decomposerEEEEE10hipError_tT0_T1_T2_jT3_P12ihipStream_tbPNSt15iterator_traitsISH_E10value_typeEPNSN_ISI_E10value_typeEPSJ_NS1_7vsmem_tEENKUlT_SH_SI_SJ_E_clIPiSB_SC_SC_EESG_SW_SH_SI_SJ_EUlSW_E1_NS1_11comp_targetILNS1_3genE9ELNS1_11target_archE1100ELNS1_3gpuE3ELNS1_3repE0EEENS1_36merge_oddeven_config_static_selectorELNS0_4arch9wavefront6targetE0EEEvSI_.private_seg_size, 0
	.set _ZN7rocprim17ROCPRIM_400000_NS6detail17trampoline_kernelINS0_14default_configENS1_38merge_sort_block_merge_config_selectorIiNS0_10empty_typeEEEZZNS1_27merge_sort_block_merge_implIS3_N6thrust23THRUST_200600_302600_NS10device_ptrIiEEPS5_jNS1_19radix_merge_compareILb0ELb1EiNS0_19identity_decomposerEEEEE10hipError_tT0_T1_T2_jT3_P12ihipStream_tbPNSt15iterator_traitsISH_E10value_typeEPNSN_ISI_E10value_typeEPSJ_NS1_7vsmem_tEENKUlT_SH_SI_SJ_E_clIPiSB_SC_SC_EESG_SW_SH_SI_SJ_EUlSW_E1_NS1_11comp_targetILNS1_3genE9ELNS1_11target_archE1100ELNS1_3gpuE3ELNS1_3repE0EEENS1_36merge_oddeven_config_static_selectorELNS0_4arch9wavefront6targetE0EEEvSI_.uses_vcc, 0
	.set _ZN7rocprim17ROCPRIM_400000_NS6detail17trampoline_kernelINS0_14default_configENS1_38merge_sort_block_merge_config_selectorIiNS0_10empty_typeEEEZZNS1_27merge_sort_block_merge_implIS3_N6thrust23THRUST_200600_302600_NS10device_ptrIiEEPS5_jNS1_19radix_merge_compareILb0ELb1EiNS0_19identity_decomposerEEEEE10hipError_tT0_T1_T2_jT3_P12ihipStream_tbPNSt15iterator_traitsISH_E10value_typeEPNSN_ISI_E10value_typeEPSJ_NS1_7vsmem_tEENKUlT_SH_SI_SJ_E_clIPiSB_SC_SC_EESG_SW_SH_SI_SJ_EUlSW_E1_NS1_11comp_targetILNS1_3genE9ELNS1_11target_archE1100ELNS1_3gpuE3ELNS1_3repE0EEENS1_36merge_oddeven_config_static_selectorELNS0_4arch9wavefront6targetE0EEEvSI_.uses_flat_scratch, 0
	.set _ZN7rocprim17ROCPRIM_400000_NS6detail17trampoline_kernelINS0_14default_configENS1_38merge_sort_block_merge_config_selectorIiNS0_10empty_typeEEEZZNS1_27merge_sort_block_merge_implIS3_N6thrust23THRUST_200600_302600_NS10device_ptrIiEEPS5_jNS1_19radix_merge_compareILb0ELb1EiNS0_19identity_decomposerEEEEE10hipError_tT0_T1_T2_jT3_P12ihipStream_tbPNSt15iterator_traitsISH_E10value_typeEPNSN_ISI_E10value_typeEPSJ_NS1_7vsmem_tEENKUlT_SH_SI_SJ_E_clIPiSB_SC_SC_EESG_SW_SH_SI_SJ_EUlSW_E1_NS1_11comp_targetILNS1_3genE9ELNS1_11target_archE1100ELNS1_3gpuE3ELNS1_3repE0EEENS1_36merge_oddeven_config_static_selectorELNS0_4arch9wavefront6targetE0EEEvSI_.has_dyn_sized_stack, 0
	.set _ZN7rocprim17ROCPRIM_400000_NS6detail17trampoline_kernelINS0_14default_configENS1_38merge_sort_block_merge_config_selectorIiNS0_10empty_typeEEEZZNS1_27merge_sort_block_merge_implIS3_N6thrust23THRUST_200600_302600_NS10device_ptrIiEEPS5_jNS1_19radix_merge_compareILb0ELb1EiNS0_19identity_decomposerEEEEE10hipError_tT0_T1_T2_jT3_P12ihipStream_tbPNSt15iterator_traitsISH_E10value_typeEPNSN_ISI_E10value_typeEPSJ_NS1_7vsmem_tEENKUlT_SH_SI_SJ_E_clIPiSB_SC_SC_EESG_SW_SH_SI_SJ_EUlSW_E1_NS1_11comp_targetILNS1_3genE9ELNS1_11target_archE1100ELNS1_3gpuE3ELNS1_3repE0EEENS1_36merge_oddeven_config_static_selectorELNS0_4arch9wavefront6targetE0EEEvSI_.has_recursion, 0
	.set _ZN7rocprim17ROCPRIM_400000_NS6detail17trampoline_kernelINS0_14default_configENS1_38merge_sort_block_merge_config_selectorIiNS0_10empty_typeEEEZZNS1_27merge_sort_block_merge_implIS3_N6thrust23THRUST_200600_302600_NS10device_ptrIiEEPS5_jNS1_19radix_merge_compareILb0ELb1EiNS0_19identity_decomposerEEEEE10hipError_tT0_T1_T2_jT3_P12ihipStream_tbPNSt15iterator_traitsISH_E10value_typeEPNSN_ISI_E10value_typeEPSJ_NS1_7vsmem_tEENKUlT_SH_SI_SJ_E_clIPiSB_SC_SC_EESG_SW_SH_SI_SJ_EUlSW_E1_NS1_11comp_targetILNS1_3genE9ELNS1_11target_archE1100ELNS1_3gpuE3ELNS1_3repE0EEENS1_36merge_oddeven_config_static_selectorELNS0_4arch9wavefront6targetE0EEEvSI_.has_indirect_call, 0
	.section	.AMDGPU.csdata,"",@progbits
; Kernel info:
; codeLenInByte = 0
; TotalNumSgprs: 0
; NumVgprs: 0
; ScratchSize: 0
; MemoryBound: 0
; FloatMode: 240
; IeeeMode: 1
; LDSByteSize: 0 bytes/workgroup (compile time only)
; SGPRBlocks: 0
; VGPRBlocks: 0
; NumSGPRsForWavesPerEU: 1
; NumVGPRsForWavesPerEU: 1
; Occupancy: 16
; WaveLimiterHint : 0
; COMPUTE_PGM_RSRC2:SCRATCH_EN: 0
; COMPUTE_PGM_RSRC2:USER_SGPR: 6
; COMPUTE_PGM_RSRC2:TRAP_HANDLER: 0
; COMPUTE_PGM_RSRC2:TGID_X_EN: 1
; COMPUTE_PGM_RSRC2:TGID_Y_EN: 0
; COMPUTE_PGM_RSRC2:TGID_Z_EN: 0
; COMPUTE_PGM_RSRC2:TIDIG_COMP_CNT: 0
	.section	.text._ZN7rocprim17ROCPRIM_400000_NS6detail17trampoline_kernelINS0_14default_configENS1_38merge_sort_block_merge_config_selectorIiNS0_10empty_typeEEEZZNS1_27merge_sort_block_merge_implIS3_N6thrust23THRUST_200600_302600_NS10device_ptrIiEEPS5_jNS1_19radix_merge_compareILb0ELb1EiNS0_19identity_decomposerEEEEE10hipError_tT0_T1_T2_jT3_P12ihipStream_tbPNSt15iterator_traitsISH_E10value_typeEPNSN_ISI_E10value_typeEPSJ_NS1_7vsmem_tEENKUlT_SH_SI_SJ_E_clIPiSB_SC_SC_EESG_SW_SH_SI_SJ_EUlSW_E1_NS1_11comp_targetILNS1_3genE8ELNS1_11target_archE1030ELNS1_3gpuE2ELNS1_3repE0EEENS1_36merge_oddeven_config_static_selectorELNS0_4arch9wavefront6targetE0EEEvSI_,"axG",@progbits,_ZN7rocprim17ROCPRIM_400000_NS6detail17trampoline_kernelINS0_14default_configENS1_38merge_sort_block_merge_config_selectorIiNS0_10empty_typeEEEZZNS1_27merge_sort_block_merge_implIS3_N6thrust23THRUST_200600_302600_NS10device_ptrIiEEPS5_jNS1_19radix_merge_compareILb0ELb1EiNS0_19identity_decomposerEEEEE10hipError_tT0_T1_T2_jT3_P12ihipStream_tbPNSt15iterator_traitsISH_E10value_typeEPNSN_ISI_E10value_typeEPSJ_NS1_7vsmem_tEENKUlT_SH_SI_SJ_E_clIPiSB_SC_SC_EESG_SW_SH_SI_SJ_EUlSW_E1_NS1_11comp_targetILNS1_3genE8ELNS1_11target_archE1030ELNS1_3gpuE2ELNS1_3repE0EEENS1_36merge_oddeven_config_static_selectorELNS0_4arch9wavefront6targetE0EEEvSI_,comdat
	.protected	_ZN7rocprim17ROCPRIM_400000_NS6detail17trampoline_kernelINS0_14default_configENS1_38merge_sort_block_merge_config_selectorIiNS0_10empty_typeEEEZZNS1_27merge_sort_block_merge_implIS3_N6thrust23THRUST_200600_302600_NS10device_ptrIiEEPS5_jNS1_19radix_merge_compareILb0ELb1EiNS0_19identity_decomposerEEEEE10hipError_tT0_T1_T2_jT3_P12ihipStream_tbPNSt15iterator_traitsISH_E10value_typeEPNSN_ISI_E10value_typeEPSJ_NS1_7vsmem_tEENKUlT_SH_SI_SJ_E_clIPiSB_SC_SC_EESG_SW_SH_SI_SJ_EUlSW_E1_NS1_11comp_targetILNS1_3genE8ELNS1_11target_archE1030ELNS1_3gpuE2ELNS1_3repE0EEENS1_36merge_oddeven_config_static_selectorELNS0_4arch9wavefront6targetE0EEEvSI_ ; -- Begin function _ZN7rocprim17ROCPRIM_400000_NS6detail17trampoline_kernelINS0_14default_configENS1_38merge_sort_block_merge_config_selectorIiNS0_10empty_typeEEEZZNS1_27merge_sort_block_merge_implIS3_N6thrust23THRUST_200600_302600_NS10device_ptrIiEEPS5_jNS1_19radix_merge_compareILb0ELb1EiNS0_19identity_decomposerEEEEE10hipError_tT0_T1_T2_jT3_P12ihipStream_tbPNSt15iterator_traitsISH_E10value_typeEPNSN_ISI_E10value_typeEPSJ_NS1_7vsmem_tEENKUlT_SH_SI_SJ_E_clIPiSB_SC_SC_EESG_SW_SH_SI_SJ_EUlSW_E1_NS1_11comp_targetILNS1_3genE8ELNS1_11target_archE1030ELNS1_3gpuE2ELNS1_3repE0EEENS1_36merge_oddeven_config_static_selectorELNS0_4arch9wavefront6targetE0EEEvSI_
	.globl	_ZN7rocprim17ROCPRIM_400000_NS6detail17trampoline_kernelINS0_14default_configENS1_38merge_sort_block_merge_config_selectorIiNS0_10empty_typeEEEZZNS1_27merge_sort_block_merge_implIS3_N6thrust23THRUST_200600_302600_NS10device_ptrIiEEPS5_jNS1_19radix_merge_compareILb0ELb1EiNS0_19identity_decomposerEEEEE10hipError_tT0_T1_T2_jT3_P12ihipStream_tbPNSt15iterator_traitsISH_E10value_typeEPNSN_ISI_E10value_typeEPSJ_NS1_7vsmem_tEENKUlT_SH_SI_SJ_E_clIPiSB_SC_SC_EESG_SW_SH_SI_SJ_EUlSW_E1_NS1_11comp_targetILNS1_3genE8ELNS1_11target_archE1030ELNS1_3gpuE2ELNS1_3repE0EEENS1_36merge_oddeven_config_static_selectorELNS0_4arch9wavefront6targetE0EEEvSI_
	.p2align	8
	.type	_ZN7rocprim17ROCPRIM_400000_NS6detail17trampoline_kernelINS0_14default_configENS1_38merge_sort_block_merge_config_selectorIiNS0_10empty_typeEEEZZNS1_27merge_sort_block_merge_implIS3_N6thrust23THRUST_200600_302600_NS10device_ptrIiEEPS5_jNS1_19radix_merge_compareILb0ELb1EiNS0_19identity_decomposerEEEEE10hipError_tT0_T1_T2_jT3_P12ihipStream_tbPNSt15iterator_traitsISH_E10value_typeEPNSN_ISI_E10value_typeEPSJ_NS1_7vsmem_tEENKUlT_SH_SI_SJ_E_clIPiSB_SC_SC_EESG_SW_SH_SI_SJ_EUlSW_E1_NS1_11comp_targetILNS1_3genE8ELNS1_11target_archE1030ELNS1_3gpuE2ELNS1_3repE0EEENS1_36merge_oddeven_config_static_selectorELNS0_4arch9wavefront6targetE0EEEvSI_,@function
_ZN7rocprim17ROCPRIM_400000_NS6detail17trampoline_kernelINS0_14default_configENS1_38merge_sort_block_merge_config_selectorIiNS0_10empty_typeEEEZZNS1_27merge_sort_block_merge_implIS3_N6thrust23THRUST_200600_302600_NS10device_ptrIiEEPS5_jNS1_19radix_merge_compareILb0ELb1EiNS0_19identity_decomposerEEEEE10hipError_tT0_T1_T2_jT3_P12ihipStream_tbPNSt15iterator_traitsISH_E10value_typeEPNSN_ISI_E10value_typeEPSJ_NS1_7vsmem_tEENKUlT_SH_SI_SJ_E_clIPiSB_SC_SC_EESG_SW_SH_SI_SJ_EUlSW_E1_NS1_11comp_targetILNS1_3genE8ELNS1_11target_archE1030ELNS1_3gpuE2ELNS1_3repE0EEENS1_36merge_oddeven_config_static_selectorELNS0_4arch9wavefront6targetE0EEEvSI_: ; @_ZN7rocprim17ROCPRIM_400000_NS6detail17trampoline_kernelINS0_14default_configENS1_38merge_sort_block_merge_config_selectorIiNS0_10empty_typeEEEZZNS1_27merge_sort_block_merge_implIS3_N6thrust23THRUST_200600_302600_NS10device_ptrIiEEPS5_jNS1_19radix_merge_compareILb0ELb1EiNS0_19identity_decomposerEEEEE10hipError_tT0_T1_T2_jT3_P12ihipStream_tbPNSt15iterator_traitsISH_E10value_typeEPNSN_ISI_E10value_typeEPSJ_NS1_7vsmem_tEENKUlT_SH_SI_SJ_E_clIPiSB_SC_SC_EESG_SW_SH_SI_SJ_EUlSW_E1_NS1_11comp_targetILNS1_3genE8ELNS1_11target_archE1030ELNS1_3gpuE2ELNS1_3repE0EEENS1_36merge_oddeven_config_static_selectorELNS0_4arch9wavefront6targetE0EEEvSI_
; %bb.0:
	s_load_dword s7, s[4:5], 0x20
	s_waitcnt lgkmcnt(0)
	s_lshr_b32 s0, s7, 8
	s_cmp_lg_u32 s6, s0
	s_cselect_b32 s14, -1, 0
	s_cmp_eq_u32 s6, s0
	s_cselect_b32 s12, -1, 0
	s_lshl_b32 s2, s6, 8
	s_sub_i32 s0, s7, s2
	v_cmp_gt_u32_e64 s1, s0, v0
	s_or_b32 s0, s14, s1
	s_and_saveexec_b32 s3, s0
	s_cbranch_execz .LBB1192_20
; %bb.1:
	s_clause 0x1
	s_load_dwordx4 s[8:11], s[4:5], 0x0
	s_load_dword s13, s[4:5], 0x24
	s_mov_b32 s3, 0
	v_lshlrev_b32_e32 v1, 2, v0
	s_lshl_b64 s[16:17], s[2:3], 2
	v_add_nc_u32_e32 v0, s2, v0
	s_waitcnt lgkmcnt(0)
	s_add_u32 s16, s8, s16
	s_addc_u32 s17, s9, s17
	s_lshr_b32 s0, s13, 8
	global_load_dword v2, v1, s[16:17]
	s_sub_i32 s15, 0, s0
	s_and_b32 s6, s6, s15
	s_and_b32 s0, s6, s0
	s_lshl_b32 s15, s6, 8
	s_sub_i32 s6, 0, s13
	s_cmp_eq_u32 s0, 0
	s_cselect_b32 s0, -1, 0
	s_and_b32 s16, s0, exec_lo
	s_cselect_b32 s6, s13, s6
	s_add_i32 s6, s6, s15
	s_cmp_gt_u32 s7, s6
	s_cbranch_scc1 .LBB1192_3
; %bb.2:
	v_cmp_gt_u32_e32 vcc_lo, s7, v0
	s_or_b32 s3, vcc_lo, s14
	s_and_b32 s3, s3, exec_lo
	s_cbranch_execz .LBB1192_4
	s_branch .LBB1192_18
.LBB1192_3:
.LBB1192_4:
	s_load_dword s2, s[4:5], 0x28
	s_min_u32 s4, s6, s7
	s_and_b32 vcc_lo, exec_lo, s12
	s_add_i32 s5, s15, s4
	s_add_i32 s13, s4, s13
	v_subrev_nc_u32_e32 v0, s5, v0
	s_min_u32 s5, s15, s4
	v_add_nc_u32_e32 v3, s5, v0
	s_min_u32 s5, s13, s7
	s_waitcnt vmcnt(0) lgkmcnt(0)
	v_and_b32_e32 v4, s2, v2
	s_cbranch_vccz .LBB1192_12
; %bb.5:
                                        ; implicit-def: $vgpr0
	s_and_saveexec_b32 s7, s1
	s_cbranch_execz .LBB1192_11
; %bb.6:
	v_mov_b32_e32 v5, s4
	s_cmp_ge_u32 s6, s5
	s_cbranch_scc1 .LBB1192_10
; %bb.7:
	v_mov_b32_e32 v6, s5
	v_mov_b32_e32 v5, s4
	;; [unrolled: 1-line block ×3, first 2 shown]
	s_mov_b32 s1, 0
	.p2align	6
.LBB1192_8:                             ; =>This Inner Loop Header: Depth=1
	v_add_nc_u32_e32 v0, v5, v6
	v_lshrrev_b32_e32 v0, 1, v0
	v_lshlrev_b64 v[7:8], 2, v[0:1]
	v_add_co_u32 v7, vcc_lo, s8, v7
	v_add_co_ci_u32_e64 v8, null, s9, v8, vcc_lo
	global_load_dword v7, v[7:8], off
	s_waitcnt vmcnt(0)
	v_and_b32_e32 v7, s2, v7
	v_cmp_gt_i32_e32 vcc_lo, v4, v7
	v_cndmask_b32_e64 v8, 0, 1, vcc_lo
	v_cmp_le_i32_e32 vcc_lo, v7, v4
	v_cndmask_b32_e64 v7, 0, 1, vcc_lo
	v_cndmask_b32_e64 v7, v7, v8, s0
	v_add_nc_u32_e32 v8, 1, v0
	v_and_b32_e32 v7, 1, v7
	v_cmp_eq_u32_e32 vcc_lo, 1, v7
	v_cndmask_b32_e32 v6, v0, v6, vcc_lo
	v_cndmask_b32_e32 v5, v5, v8, vcc_lo
	v_cmp_ge_u32_e32 vcc_lo, v5, v6
	s_or_b32 s1, vcc_lo, s1
	s_andn2_b32 exec_lo, exec_lo, s1
	s_cbranch_execnz .LBB1192_8
; %bb.9:
	s_or_b32 exec_lo, exec_lo, s1
.LBB1192_10:
	v_add_nc_u32_e32 v0, v5, v3
	s_or_b32 s3, s3, exec_lo
.LBB1192_11:
	s_or_b32 exec_lo, exec_lo, s7
	s_branch .LBB1192_18
.LBB1192_12:
                                        ; implicit-def: $vgpr0
	s_cbranch_execz .LBB1192_18
; %bb.13:
	v_mov_b32_e32 v5, s4
	s_cmp_ge_u32 s6, s5
	s_cbranch_scc1 .LBB1192_17
; %bb.14:
	v_mov_b32_e32 v6, s5
	v_mov_b32_e32 v5, s4
	v_mov_b32_e32 v1, 0
	s_mov_b32 s1, 0
	.p2align	6
.LBB1192_15:                            ; =>This Inner Loop Header: Depth=1
	v_add_nc_u32_e32 v0, v5, v6
	v_lshrrev_b32_e32 v0, 1, v0
	v_lshlrev_b64 v[7:8], 2, v[0:1]
	v_add_co_u32 v7, vcc_lo, s8, v7
	v_add_co_ci_u32_e64 v8, null, s9, v8, vcc_lo
	global_load_dword v7, v[7:8], off
	s_waitcnt vmcnt(0)
	v_and_b32_e32 v7, s2, v7
	v_cmp_gt_i32_e32 vcc_lo, v4, v7
	v_cndmask_b32_e64 v8, 0, 1, vcc_lo
	v_cmp_le_i32_e32 vcc_lo, v7, v4
	v_cndmask_b32_e64 v7, 0, 1, vcc_lo
	v_cndmask_b32_e64 v7, v7, v8, s0
	v_add_nc_u32_e32 v8, 1, v0
	v_and_b32_e32 v7, 1, v7
	v_cmp_eq_u32_e32 vcc_lo, 1, v7
	v_cndmask_b32_e32 v6, v0, v6, vcc_lo
	v_cndmask_b32_e32 v5, v5, v8, vcc_lo
	v_cmp_ge_u32_e32 vcc_lo, v5, v6
	s_or_b32 s1, vcc_lo, s1
	s_andn2_b32 exec_lo, exec_lo, s1
	s_cbranch_execnz .LBB1192_15
; %bb.16:
	s_or_b32 exec_lo, exec_lo, s1
.LBB1192_17:
	v_add_nc_u32_e32 v0, v5, v3
	s_mov_b32 s3, -1
.LBB1192_18:
	s_and_b32 exec_lo, exec_lo, s3
	s_cbranch_execz .LBB1192_20
; %bb.19:
	v_mov_b32_e32 v1, 0
	v_lshlrev_b64 v[0:1], 2, v[0:1]
	v_add_co_u32 v0, vcc_lo, s10, v0
	v_add_co_ci_u32_e64 v1, null, s11, v1, vcc_lo
	s_waitcnt vmcnt(0)
	global_store_dword v[0:1], v2, off
.LBB1192_20:
	s_endpgm
	.section	.rodata,"a",@progbits
	.p2align	6, 0x0
	.amdhsa_kernel _ZN7rocprim17ROCPRIM_400000_NS6detail17trampoline_kernelINS0_14default_configENS1_38merge_sort_block_merge_config_selectorIiNS0_10empty_typeEEEZZNS1_27merge_sort_block_merge_implIS3_N6thrust23THRUST_200600_302600_NS10device_ptrIiEEPS5_jNS1_19radix_merge_compareILb0ELb1EiNS0_19identity_decomposerEEEEE10hipError_tT0_T1_T2_jT3_P12ihipStream_tbPNSt15iterator_traitsISH_E10value_typeEPNSN_ISI_E10value_typeEPSJ_NS1_7vsmem_tEENKUlT_SH_SI_SJ_E_clIPiSB_SC_SC_EESG_SW_SH_SI_SJ_EUlSW_E1_NS1_11comp_targetILNS1_3genE8ELNS1_11target_archE1030ELNS1_3gpuE2ELNS1_3repE0EEENS1_36merge_oddeven_config_static_selectorELNS0_4arch9wavefront6targetE0EEEvSI_
		.amdhsa_group_segment_fixed_size 0
		.amdhsa_private_segment_fixed_size 0
		.amdhsa_kernarg_size 48
		.amdhsa_user_sgpr_count 6
		.amdhsa_user_sgpr_private_segment_buffer 1
		.amdhsa_user_sgpr_dispatch_ptr 0
		.amdhsa_user_sgpr_queue_ptr 0
		.amdhsa_user_sgpr_kernarg_segment_ptr 1
		.amdhsa_user_sgpr_dispatch_id 0
		.amdhsa_user_sgpr_flat_scratch_init 0
		.amdhsa_user_sgpr_private_segment_size 0
		.amdhsa_wavefront_size32 1
		.amdhsa_uses_dynamic_stack 0
		.amdhsa_system_sgpr_private_segment_wavefront_offset 0
		.amdhsa_system_sgpr_workgroup_id_x 1
		.amdhsa_system_sgpr_workgroup_id_y 0
		.amdhsa_system_sgpr_workgroup_id_z 0
		.amdhsa_system_sgpr_workgroup_info 0
		.amdhsa_system_vgpr_workitem_id 0
		.amdhsa_next_free_vgpr 9
		.amdhsa_next_free_sgpr 18
		.amdhsa_reserve_vcc 1
		.amdhsa_reserve_flat_scratch 0
		.amdhsa_float_round_mode_32 0
		.amdhsa_float_round_mode_16_64 0
		.amdhsa_float_denorm_mode_32 3
		.amdhsa_float_denorm_mode_16_64 3
		.amdhsa_dx10_clamp 1
		.amdhsa_ieee_mode 1
		.amdhsa_fp16_overflow 0
		.amdhsa_workgroup_processor_mode 1
		.amdhsa_memory_ordered 1
		.amdhsa_forward_progress 1
		.amdhsa_shared_vgpr_count 0
		.amdhsa_exception_fp_ieee_invalid_op 0
		.amdhsa_exception_fp_denorm_src 0
		.amdhsa_exception_fp_ieee_div_zero 0
		.amdhsa_exception_fp_ieee_overflow 0
		.amdhsa_exception_fp_ieee_underflow 0
		.amdhsa_exception_fp_ieee_inexact 0
		.amdhsa_exception_int_div_zero 0
	.end_amdhsa_kernel
	.section	.text._ZN7rocprim17ROCPRIM_400000_NS6detail17trampoline_kernelINS0_14default_configENS1_38merge_sort_block_merge_config_selectorIiNS0_10empty_typeEEEZZNS1_27merge_sort_block_merge_implIS3_N6thrust23THRUST_200600_302600_NS10device_ptrIiEEPS5_jNS1_19radix_merge_compareILb0ELb1EiNS0_19identity_decomposerEEEEE10hipError_tT0_T1_T2_jT3_P12ihipStream_tbPNSt15iterator_traitsISH_E10value_typeEPNSN_ISI_E10value_typeEPSJ_NS1_7vsmem_tEENKUlT_SH_SI_SJ_E_clIPiSB_SC_SC_EESG_SW_SH_SI_SJ_EUlSW_E1_NS1_11comp_targetILNS1_3genE8ELNS1_11target_archE1030ELNS1_3gpuE2ELNS1_3repE0EEENS1_36merge_oddeven_config_static_selectorELNS0_4arch9wavefront6targetE0EEEvSI_,"axG",@progbits,_ZN7rocprim17ROCPRIM_400000_NS6detail17trampoline_kernelINS0_14default_configENS1_38merge_sort_block_merge_config_selectorIiNS0_10empty_typeEEEZZNS1_27merge_sort_block_merge_implIS3_N6thrust23THRUST_200600_302600_NS10device_ptrIiEEPS5_jNS1_19radix_merge_compareILb0ELb1EiNS0_19identity_decomposerEEEEE10hipError_tT0_T1_T2_jT3_P12ihipStream_tbPNSt15iterator_traitsISH_E10value_typeEPNSN_ISI_E10value_typeEPSJ_NS1_7vsmem_tEENKUlT_SH_SI_SJ_E_clIPiSB_SC_SC_EESG_SW_SH_SI_SJ_EUlSW_E1_NS1_11comp_targetILNS1_3genE8ELNS1_11target_archE1030ELNS1_3gpuE2ELNS1_3repE0EEENS1_36merge_oddeven_config_static_selectorELNS0_4arch9wavefront6targetE0EEEvSI_,comdat
.Lfunc_end1192:
	.size	_ZN7rocprim17ROCPRIM_400000_NS6detail17trampoline_kernelINS0_14default_configENS1_38merge_sort_block_merge_config_selectorIiNS0_10empty_typeEEEZZNS1_27merge_sort_block_merge_implIS3_N6thrust23THRUST_200600_302600_NS10device_ptrIiEEPS5_jNS1_19radix_merge_compareILb0ELb1EiNS0_19identity_decomposerEEEEE10hipError_tT0_T1_T2_jT3_P12ihipStream_tbPNSt15iterator_traitsISH_E10value_typeEPNSN_ISI_E10value_typeEPSJ_NS1_7vsmem_tEENKUlT_SH_SI_SJ_E_clIPiSB_SC_SC_EESG_SW_SH_SI_SJ_EUlSW_E1_NS1_11comp_targetILNS1_3genE8ELNS1_11target_archE1030ELNS1_3gpuE2ELNS1_3repE0EEENS1_36merge_oddeven_config_static_selectorELNS0_4arch9wavefront6targetE0EEEvSI_, .Lfunc_end1192-_ZN7rocprim17ROCPRIM_400000_NS6detail17trampoline_kernelINS0_14default_configENS1_38merge_sort_block_merge_config_selectorIiNS0_10empty_typeEEEZZNS1_27merge_sort_block_merge_implIS3_N6thrust23THRUST_200600_302600_NS10device_ptrIiEEPS5_jNS1_19radix_merge_compareILb0ELb1EiNS0_19identity_decomposerEEEEE10hipError_tT0_T1_T2_jT3_P12ihipStream_tbPNSt15iterator_traitsISH_E10value_typeEPNSN_ISI_E10value_typeEPSJ_NS1_7vsmem_tEENKUlT_SH_SI_SJ_E_clIPiSB_SC_SC_EESG_SW_SH_SI_SJ_EUlSW_E1_NS1_11comp_targetILNS1_3genE8ELNS1_11target_archE1030ELNS1_3gpuE2ELNS1_3repE0EEENS1_36merge_oddeven_config_static_selectorELNS0_4arch9wavefront6targetE0EEEvSI_
                                        ; -- End function
	.set _ZN7rocprim17ROCPRIM_400000_NS6detail17trampoline_kernelINS0_14default_configENS1_38merge_sort_block_merge_config_selectorIiNS0_10empty_typeEEEZZNS1_27merge_sort_block_merge_implIS3_N6thrust23THRUST_200600_302600_NS10device_ptrIiEEPS5_jNS1_19radix_merge_compareILb0ELb1EiNS0_19identity_decomposerEEEEE10hipError_tT0_T1_T2_jT3_P12ihipStream_tbPNSt15iterator_traitsISH_E10value_typeEPNSN_ISI_E10value_typeEPSJ_NS1_7vsmem_tEENKUlT_SH_SI_SJ_E_clIPiSB_SC_SC_EESG_SW_SH_SI_SJ_EUlSW_E1_NS1_11comp_targetILNS1_3genE8ELNS1_11target_archE1030ELNS1_3gpuE2ELNS1_3repE0EEENS1_36merge_oddeven_config_static_selectorELNS0_4arch9wavefront6targetE0EEEvSI_.num_vgpr, 9
	.set _ZN7rocprim17ROCPRIM_400000_NS6detail17trampoline_kernelINS0_14default_configENS1_38merge_sort_block_merge_config_selectorIiNS0_10empty_typeEEEZZNS1_27merge_sort_block_merge_implIS3_N6thrust23THRUST_200600_302600_NS10device_ptrIiEEPS5_jNS1_19radix_merge_compareILb0ELb1EiNS0_19identity_decomposerEEEEE10hipError_tT0_T1_T2_jT3_P12ihipStream_tbPNSt15iterator_traitsISH_E10value_typeEPNSN_ISI_E10value_typeEPSJ_NS1_7vsmem_tEENKUlT_SH_SI_SJ_E_clIPiSB_SC_SC_EESG_SW_SH_SI_SJ_EUlSW_E1_NS1_11comp_targetILNS1_3genE8ELNS1_11target_archE1030ELNS1_3gpuE2ELNS1_3repE0EEENS1_36merge_oddeven_config_static_selectorELNS0_4arch9wavefront6targetE0EEEvSI_.num_agpr, 0
	.set _ZN7rocprim17ROCPRIM_400000_NS6detail17trampoline_kernelINS0_14default_configENS1_38merge_sort_block_merge_config_selectorIiNS0_10empty_typeEEEZZNS1_27merge_sort_block_merge_implIS3_N6thrust23THRUST_200600_302600_NS10device_ptrIiEEPS5_jNS1_19radix_merge_compareILb0ELb1EiNS0_19identity_decomposerEEEEE10hipError_tT0_T1_T2_jT3_P12ihipStream_tbPNSt15iterator_traitsISH_E10value_typeEPNSN_ISI_E10value_typeEPSJ_NS1_7vsmem_tEENKUlT_SH_SI_SJ_E_clIPiSB_SC_SC_EESG_SW_SH_SI_SJ_EUlSW_E1_NS1_11comp_targetILNS1_3genE8ELNS1_11target_archE1030ELNS1_3gpuE2ELNS1_3repE0EEENS1_36merge_oddeven_config_static_selectorELNS0_4arch9wavefront6targetE0EEEvSI_.numbered_sgpr, 18
	.set _ZN7rocprim17ROCPRIM_400000_NS6detail17trampoline_kernelINS0_14default_configENS1_38merge_sort_block_merge_config_selectorIiNS0_10empty_typeEEEZZNS1_27merge_sort_block_merge_implIS3_N6thrust23THRUST_200600_302600_NS10device_ptrIiEEPS5_jNS1_19radix_merge_compareILb0ELb1EiNS0_19identity_decomposerEEEEE10hipError_tT0_T1_T2_jT3_P12ihipStream_tbPNSt15iterator_traitsISH_E10value_typeEPNSN_ISI_E10value_typeEPSJ_NS1_7vsmem_tEENKUlT_SH_SI_SJ_E_clIPiSB_SC_SC_EESG_SW_SH_SI_SJ_EUlSW_E1_NS1_11comp_targetILNS1_3genE8ELNS1_11target_archE1030ELNS1_3gpuE2ELNS1_3repE0EEENS1_36merge_oddeven_config_static_selectorELNS0_4arch9wavefront6targetE0EEEvSI_.num_named_barrier, 0
	.set _ZN7rocprim17ROCPRIM_400000_NS6detail17trampoline_kernelINS0_14default_configENS1_38merge_sort_block_merge_config_selectorIiNS0_10empty_typeEEEZZNS1_27merge_sort_block_merge_implIS3_N6thrust23THRUST_200600_302600_NS10device_ptrIiEEPS5_jNS1_19radix_merge_compareILb0ELb1EiNS0_19identity_decomposerEEEEE10hipError_tT0_T1_T2_jT3_P12ihipStream_tbPNSt15iterator_traitsISH_E10value_typeEPNSN_ISI_E10value_typeEPSJ_NS1_7vsmem_tEENKUlT_SH_SI_SJ_E_clIPiSB_SC_SC_EESG_SW_SH_SI_SJ_EUlSW_E1_NS1_11comp_targetILNS1_3genE8ELNS1_11target_archE1030ELNS1_3gpuE2ELNS1_3repE0EEENS1_36merge_oddeven_config_static_selectorELNS0_4arch9wavefront6targetE0EEEvSI_.private_seg_size, 0
	.set _ZN7rocprim17ROCPRIM_400000_NS6detail17trampoline_kernelINS0_14default_configENS1_38merge_sort_block_merge_config_selectorIiNS0_10empty_typeEEEZZNS1_27merge_sort_block_merge_implIS3_N6thrust23THRUST_200600_302600_NS10device_ptrIiEEPS5_jNS1_19radix_merge_compareILb0ELb1EiNS0_19identity_decomposerEEEEE10hipError_tT0_T1_T2_jT3_P12ihipStream_tbPNSt15iterator_traitsISH_E10value_typeEPNSN_ISI_E10value_typeEPSJ_NS1_7vsmem_tEENKUlT_SH_SI_SJ_E_clIPiSB_SC_SC_EESG_SW_SH_SI_SJ_EUlSW_E1_NS1_11comp_targetILNS1_3genE8ELNS1_11target_archE1030ELNS1_3gpuE2ELNS1_3repE0EEENS1_36merge_oddeven_config_static_selectorELNS0_4arch9wavefront6targetE0EEEvSI_.uses_vcc, 1
	.set _ZN7rocprim17ROCPRIM_400000_NS6detail17trampoline_kernelINS0_14default_configENS1_38merge_sort_block_merge_config_selectorIiNS0_10empty_typeEEEZZNS1_27merge_sort_block_merge_implIS3_N6thrust23THRUST_200600_302600_NS10device_ptrIiEEPS5_jNS1_19radix_merge_compareILb0ELb1EiNS0_19identity_decomposerEEEEE10hipError_tT0_T1_T2_jT3_P12ihipStream_tbPNSt15iterator_traitsISH_E10value_typeEPNSN_ISI_E10value_typeEPSJ_NS1_7vsmem_tEENKUlT_SH_SI_SJ_E_clIPiSB_SC_SC_EESG_SW_SH_SI_SJ_EUlSW_E1_NS1_11comp_targetILNS1_3genE8ELNS1_11target_archE1030ELNS1_3gpuE2ELNS1_3repE0EEENS1_36merge_oddeven_config_static_selectorELNS0_4arch9wavefront6targetE0EEEvSI_.uses_flat_scratch, 0
	.set _ZN7rocprim17ROCPRIM_400000_NS6detail17trampoline_kernelINS0_14default_configENS1_38merge_sort_block_merge_config_selectorIiNS0_10empty_typeEEEZZNS1_27merge_sort_block_merge_implIS3_N6thrust23THRUST_200600_302600_NS10device_ptrIiEEPS5_jNS1_19radix_merge_compareILb0ELb1EiNS0_19identity_decomposerEEEEE10hipError_tT0_T1_T2_jT3_P12ihipStream_tbPNSt15iterator_traitsISH_E10value_typeEPNSN_ISI_E10value_typeEPSJ_NS1_7vsmem_tEENKUlT_SH_SI_SJ_E_clIPiSB_SC_SC_EESG_SW_SH_SI_SJ_EUlSW_E1_NS1_11comp_targetILNS1_3genE8ELNS1_11target_archE1030ELNS1_3gpuE2ELNS1_3repE0EEENS1_36merge_oddeven_config_static_selectorELNS0_4arch9wavefront6targetE0EEEvSI_.has_dyn_sized_stack, 0
	.set _ZN7rocprim17ROCPRIM_400000_NS6detail17trampoline_kernelINS0_14default_configENS1_38merge_sort_block_merge_config_selectorIiNS0_10empty_typeEEEZZNS1_27merge_sort_block_merge_implIS3_N6thrust23THRUST_200600_302600_NS10device_ptrIiEEPS5_jNS1_19radix_merge_compareILb0ELb1EiNS0_19identity_decomposerEEEEE10hipError_tT0_T1_T2_jT3_P12ihipStream_tbPNSt15iterator_traitsISH_E10value_typeEPNSN_ISI_E10value_typeEPSJ_NS1_7vsmem_tEENKUlT_SH_SI_SJ_E_clIPiSB_SC_SC_EESG_SW_SH_SI_SJ_EUlSW_E1_NS1_11comp_targetILNS1_3genE8ELNS1_11target_archE1030ELNS1_3gpuE2ELNS1_3repE0EEENS1_36merge_oddeven_config_static_selectorELNS0_4arch9wavefront6targetE0EEEvSI_.has_recursion, 0
	.set _ZN7rocprim17ROCPRIM_400000_NS6detail17trampoline_kernelINS0_14default_configENS1_38merge_sort_block_merge_config_selectorIiNS0_10empty_typeEEEZZNS1_27merge_sort_block_merge_implIS3_N6thrust23THRUST_200600_302600_NS10device_ptrIiEEPS5_jNS1_19radix_merge_compareILb0ELb1EiNS0_19identity_decomposerEEEEE10hipError_tT0_T1_T2_jT3_P12ihipStream_tbPNSt15iterator_traitsISH_E10value_typeEPNSN_ISI_E10value_typeEPSJ_NS1_7vsmem_tEENKUlT_SH_SI_SJ_E_clIPiSB_SC_SC_EESG_SW_SH_SI_SJ_EUlSW_E1_NS1_11comp_targetILNS1_3genE8ELNS1_11target_archE1030ELNS1_3gpuE2ELNS1_3repE0EEENS1_36merge_oddeven_config_static_selectorELNS0_4arch9wavefront6targetE0EEEvSI_.has_indirect_call, 0
	.section	.AMDGPU.csdata,"",@progbits
; Kernel info:
; codeLenInByte = 692
; TotalNumSgprs: 20
; NumVgprs: 9
; ScratchSize: 0
; MemoryBound: 0
; FloatMode: 240
; IeeeMode: 1
; LDSByteSize: 0 bytes/workgroup (compile time only)
; SGPRBlocks: 0
; VGPRBlocks: 1
; NumSGPRsForWavesPerEU: 20
; NumVGPRsForWavesPerEU: 9
; Occupancy: 16
; WaveLimiterHint : 0
; COMPUTE_PGM_RSRC2:SCRATCH_EN: 0
; COMPUTE_PGM_RSRC2:USER_SGPR: 6
; COMPUTE_PGM_RSRC2:TRAP_HANDLER: 0
; COMPUTE_PGM_RSRC2:TGID_X_EN: 1
; COMPUTE_PGM_RSRC2:TGID_Y_EN: 0
; COMPUTE_PGM_RSRC2:TGID_Z_EN: 0
; COMPUTE_PGM_RSRC2:TIDIG_COMP_CNT: 0
	.section	.text._ZN7rocprim17ROCPRIM_400000_NS6detail17trampoline_kernelINS0_14default_configENS1_38merge_sort_block_merge_config_selectorIiNS0_10empty_typeEEEZZNS1_27merge_sort_block_merge_implIS3_N6thrust23THRUST_200600_302600_NS10device_ptrIiEEPS5_jNS1_19radix_merge_compareILb0ELb1EiNS0_19identity_decomposerEEEEE10hipError_tT0_T1_T2_jT3_P12ihipStream_tbPNSt15iterator_traitsISH_E10value_typeEPNSN_ISI_E10value_typeEPSJ_NS1_7vsmem_tEENKUlT_SH_SI_SJ_E_clISB_PiSC_SC_EESG_SW_SH_SI_SJ_EUlSW_E_NS1_11comp_targetILNS1_3genE0ELNS1_11target_archE4294967295ELNS1_3gpuE0ELNS1_3repE0EEENS1_48merge_mergepath_partition_config_static_selectorELNS0_4arch9wavefront6targetE0EEEvSI_,"axG",@progbits,_ZN7rocprim17ROCPRIM_400000_NS6detail17trampoline_kernelINS0_14default_configENS1_38merge_sort_block_merge_config_selectorIiNS0_10empty_typeEEEZZNS1_27merge_sort_block_merge_implIS3_N6thrust23THRUST_200600_302600_NS10device_ptrIiEEPS5_jNS1_19radix_merge_compareILb0ELb1EiNS0_19identity_decomposerEEEEE10hipError_tT0_T1_T2_jT3_P12ihipStream_tbPNSt15iterator_traitsISH_E10value_typeEPNSN_ISI_E10value_typeEPSJ_NS1_7vsmem_tEENKUlT_SH_SI_SJ_E_clISB_PiSC_SC_EESG_SW_SH_SI_SJ_EUlSW_E_NS1_11comp_targetILNS1_3genE0ELNS1_11target_archE4294967295ELNS1_3gpuE0ELNS1_3repE0EEENS1_48merge_mergepath_partition_config_static_selectorELNS0_4arch9wavefront6targetE0EEEvSI_,comdat
	.protected	_ZN7rocprim17ROCPRIM_400000_NS6detail17trampoline_kernelINS0_14default_configENS1_38merge_sort_block_merge_config_selectorIiNS0_10empty_typeEEEZZNS1_27merge_sort_block_merge_implIS3_N6thrust23THRUST_200600_302600_NS10device_ptrIiEEPS5_jNS1_19radix_merge_compareILb0ELb1EiNS0_19identity_decomposerEEEEE10hipError_tT0_T1_T2_jT3_P12ihipStream_tbPNSt15iterator_traitsISH_E10value_typeEPNSN_ISI_E10value_typeEPSJ_NS1_7vsmem_tEENKUlT_SH_SI_SJ_E_clISB_PiSC_SC_EESG_SW_SH_SI_SJ_EUlSW_E_NS1_11comp_targetILNS1_3genE0ELNS1_11target_archE4294967295ELNS1_3gpuE0ELNS1_3repE0EEENS1_48merge_mergepath_partition_config_static_selectorELNS0_4arch9wavefront6targetE0EEEvSI_ ; -- Begin function _ZN7rocprim17ROCPRIM_400000_NS6detail17trampoline_kernelINS0_14default_configENS1_38merge_sort_block_merge_config_selectorIiNS0_10empty_typeEEEZZNS1_27merge_sort_block_merge_implIS3_N6thrust23THRUST_200600_302600_NS10device_ptrIiEEPS5_jNS1_19radix_merge_compareILb0ELb1EiNS0_19identity_decomposerEEEEE10hipError_tT0_T1_T2_jT3_P12ihipStream_tbPNSt15iterator_traitsISH_E10value_typeEPNSN_ISI_E10value_typeEPSJ_NS1_7vsmem_tEENKUlT_SH_SI_SJ_E_clISB_PiSC_SC_EESG_SW_SH_SI_SJ_EUlSW_E_NS1_11comp_targetILNS1_3genE0ELNS1_11target_archE4294967295ELNS1_3gpuE0ELNS1_3repE0EEENS1_48merge_mergepath_partition_config_static_selectorELNS0_4arch9wavefront6targetE0EEEvSI_
	.globl	_ZN7rocprim17ROCPRIM_400000_NS6detail17trampoline_kernelINS0_14default_configENS1_38merge_sort_block_merge_config_selectorIiNS0_10empty_typeEEEZZNS1_27merge_sort_block_merge_implIS3_N6thrust23THRUST_200600_302600_NS10device_ptrIiEEPS5_jNS1_19radix_merge_compareILb0ELb1EiNS0_19identity_decomposerEEEEE10hipError_tT0_T1_T2_jT3_P12ihipStream_tbPNSt15iterator_traitsISH_E10value_typeEPNSN_ISI_E10value_typeEPSJ_NS1_7vsmem_tEENKUlT_SH_SI_SJ_E_clISB_PiSC_SC_EESG_SW_SH_SI_SJ_EUlSW_E_NS1_11comp_targetILNS1_3genE0ELNS1_11target_archE4294967295ELNS1_3gpuE0ELNS1_3repE0EEENS1_48merge_mergepath_partition_config_static_selectorELNS0_4arch9wavefront6targetE0EEEvSI_
	.p2align	8
	.type	_ZN7rocprim17ROCPRIM_400000_NS6detail17trampoline_kernelINS0_14default_configENS1_38merge_sort_block_merge_config_selectorIiNS0_10empty_typeEEEZZNS1_27merge_sort_block_merge_implIS3_N6thrust23THRUST_200600_302600_NS10device_ptrIiEEPS5_jNS1_19radix_merge_compareILb0ELb1EiNS0_19identity_decomposerEEEEE10hipError_tT0_T1_T2_jT3_P12ihipStream_tbPNSt15iterator_traitsISH_E10value_typeEPNSN_ISI_E10value_typeEPSJ_NS1_7vsmem_tEENKUlT_SH_SI_SJ_E_clISB_PiSC_SC_EESG_SW_SH_SI_SJ_EUlSW_E_NS1_11comp_targetILNS1_3genE0ELNS1_11target_archE4294967295ELNS1_3gpuE0ELNS1_3repE0EEENS1_48merge_mergepath_partition_config_static_selectorELNS0_4arch9wavefront6targetE0EEEvSI_,@function
_ZN7rocprim17ROCPRIM_400000_NS6detail17trampoline_kernelINS0_14default_configENS1_38merge_sort_block_merge_config_selectorIiNS0_10empty_typeEEEZZNS1_27merge_sort_block_merge_implIS3_N6thrust23THRUST_200600_302600_NS10device_ptrIiEEPS5_jNS1_19radix_merge_compareILb0ELb1EiNS0_19identity_decomposerEEEEE10hipError_tT0_T1_T2_jT3_P12ihipStream_tbPNSt15iterator_traitsISH_E10value_typeEPNSN_ISI_E10value_typeEPSJ_NS1_7vsmem_tEENKUlT_SH_SI_SJ_E_clISB_PiSC_SC_EESG_SW_SH_SI_SJ_EUlSW_E_NS1_11comp_targetILNS1_3genE0ELNS1_11target_archE4294967295ELNS1_3gpuE0ELNS1_3repE0EEENS1_48merge_mergepath_partition_config_static_selectorELNS0_4arch9wavefront6targetE0EEEvSI_: ; @_ZN7rocprim17ROCPRIM_400000_NS6detail17trampoline_kernelINS0_14default_configENS1_38merge_sort_block_merge_config_selectorIiNS0_10empty_typeEEEZZNS1_27merge_sort_block_merge_implIS3_N6thrust23THRUST_200600_302600_NS10device_ptrIiEEPS5_jNS1_19radix_merge_compareILb0ELb1EiNS0_19identity_decomposerEEEEE10hipError_tT0_T1_T2_jT3_P12ihipStream_tbPNSt15iterator_traitsISH_E10value_typeEPNSN_ISI_E10value_typeEPSJ_NS1_7vsmem_tEENKUlT_SH_SI_SJ_E_clISB_PiSC_SC_EESG_SW_SH_SI_SJ_EUlSW_E_NS1_11comp_targetILNS1_3genE0ELNS1_11target_archE4294967295ELNS1_3gpuE0ELNS1_3repE0EEENS1_48merge_mergepath_partition_config_static_selectorELNS0_4arch9wavefront6targetE0EEEvSI_
; %bb.0:
	.section	.rodata,"a",@progbits
	.p2align	6, 0x0
	.amdhsa_kernel _ZN7rocprim17ROCPRIM_400000_NS6detail17trampoline_kernelINS0_14default_configENS1_38merge_sort_block_merge_config_selectorIiNS0_10empty_typeEEEZZNS1_27merge_sort_block_merge_implIS3_N6thrust23THRUST_200600_302600_NS10device_ptrIiEEPS5_jNS1_19radix_merge_compareILb0ELb1EiNS0_19identity_decomposerEEEEE10hipError_tT0_T1_T2_jT3_P12ihipStream_tbPNSt15iterator_traitsISH_E10value_typeEPNSN_ISI_E10value_typeEPSJ_NS1_7vsmem_tEENKUlT_SH_SI_SJ_E_clISB_PiSC_SC_EESG_SW_SH_SI_SJ_EUlSW_E_NS1_11comp_targetILNS1_3genE0ELNS1_11target_archE4294967295ELNS1_3gpuE0ELNS1_3repE0EEENS1_48merge_mergepath_partition_config_static_selectorELNS0_4arch9wavefront6targetE0EEEvSI_
		.amdhsa_group_segment_fixed_size 0
		.amdhsa_private_segment_fixed_size 0
		.amdhsa_kernarg_size 40
		.amdhsa_user_sgpr_count 6
		.amdhsa_user_sgpr_private_segment_buffer 1
		.amdhsa_user_sgpr_dispatch_ptr 0
		.amdhsa_user_sgpr_queue_ptr 0
		.amdhsa_user_sgpr_kernarg_segment_ptr 1
		.amdhsa_user_sgpr_dispatch_id 0
		.amdhsa_user_sgpr_flat_scratch_init 0
		.amdhsa_user_sgpr_private_segment_size 0
		.amdhsa_wavefront_size32 1
		.amdhsa_uses_dynamic_stack 0
		.amdhsa_system_sgpr_private_segment_wavefront_offset 0
		.amdhsa_system_sgpr_workgroup_id_x 1
		.amdhsa_system_sgpr_workgroup_id_y 0
		.amdhsa_system_sgpr_workgroup_id_z 0
		.amdhsa_system_sgpr_workgroup_info 0
		.amdhsa_system_vgpr_workitem_id 0
		.amdhsa_next_free_vgpr 1
		.amdhsa_next_free_sgpr 1
		.amdhsa_reserve_vcc 0
		.amdhsa_reserve_flat_scratch 0
		.amdhsa_float_round_mode_32 0
		.amdhsa_float_round_mode_16_64 0
		.amdhsa_float_denorm_mode_32 3
		.amdhsa_float_denorm_mode_16_64 3
		.amdhsa_dx10_clamp 1
		.amdhsa_ieee_mode 1
		.amdhsa_fp16_overflow 0
		.amdhsa_workgroup_processor_mode 1
		.amdhsa_memory_ordered 1
		.amdhsa_forward_progress 1
		.amdhsa_shared_vgpr_count 0
		.amdhsa_exception_fp_ieee_invalid_op 0
		.amdhsa_exception_fp_denorm_src 0
		.amdhsa_exception_fp_ieee_div_zero 0
		.amdhsa_exception_fp_ieee_overflow 0
		.amdhsa_exception_fp_ieee_underflow 0
		.amdhsa_exception_fp_ieee_inexact 0
		.amdhsa_exception_int_div_zero 0
	.end_amdhsa_kernel
	.section	.text._ZN7rocprim17ROCPRIM_400000_NS6detail17trampoline_kernelINS0_14default_configENS1_38merge_sort_block_merge_config_selectorIiNS0_10empty_typeEEEZZNS1_27merge_sort_block_merge_implIS3_N6thrust23THRUST_200600_302600_NS10device_ptrIiEEPS5_jNS1_19radix_merge_compareILb0ELb1EiNS0_19identity_decomposerEEEEE10hipError_tT0_T1_T2_jT3_P12ihipStream_tbPNSt15iterator_traitsISH_E10value_typeEPNSN_ISI_E10value_typeEPSJ_NS1_7vsmem_tEENKUlT_SH_SI_SJ_E_clISB_PiSC_SC_EESG_SW_SH_SI_SJ_EUlSW_E_NS1_11comp_targetILNS1_3genE0ELNS1_11target_archE4294967295ELNS1_3gpuE0ELNS1_3repE0EEENS1_48merge_mergepath_partition_config_static_selectorELNS0_4arch9wavefront6targetE0EEEvSI_,"axG",@progbits,_ZN7rocprim17ROCPRIM_400000_NS6detail17trampoline_kernelINS0_14default_configENS1_38merge_sort_block_merge_config_selectorIiNS0_10empty_typeEEEZZNS1_27merge_sort_block_merge_implIS3_N6thrust23THRUST_200600_302600_NS10device_ptrIiEEPS5_jNS1_19radix_merge_compareILb0ELb1EiNS0_19identity_decomposerEEEEE10hipError_tT0_T1_T2_jT3_P12ihipStream_tbPNSt15iterator_traitsISH_E10value_typeEPNSN_ISI_E10value_typeEPSJ_NS1_7vsmem_tEENKUlT_SH_SI_SJ_E_clISB_PiSC_SC_EESG_SW_SH_SI_SJ_EUlSW_E_NS1_11comp_targetILNS1_3genE0ELNS1_11target_archE4294967295ELNS1_3gpuE0ELNS1_3repE0EEENS1_48merge_mergepath_partition_config_static_selectorELNS0_4arch9wavefront6targetE0EEEvSI_,comdat
.Lfunc_end1193:
	.size	_ZN7rocprim17ROCPRIM_400000_NS6detail17trampoline_kernelINS0_14default_configENS1_38merge_sort_block_merge_config_selectorIiNS0_10empty_typeEEEZZNS1_27merge_sort_block_merge_implIS3_N6thrust23THRUST_200600_302600_NS10device_ptrIiEEPS5_jNS1_19radix_merge_compareILb0ELb1EiNS0_19identity_decomposerEEEEE10hipError_tT0_T1_T2_jT3_P12ihipStream_tbPNSt15iterator_traitsISH_E10value_typeEPNSN_ISI_E10value_typeEPSJ_NS1_7vsmem_tEENKUlT_SH_SI_SJ_E_clISB_PiSC_SC_EESG_SW_SH_SI_SJ_EUlSW_E_NS1_11comp_targetILNS1_3genE0ELNS1_11target_archE4294967295ELNS1_3gpuE0ELNS1_3repE0EEENS1_48merge_mergepath_partition_config_static_selectorELNS0_4arch9wavefront6targetE0EEEvSI_, .Lfunc_end1193-_ZN7rocprim17ROCPRIM_400000_NS6detail17trampoline_kernelINS0_14default_configENS1_38merge_sort_block_merge_config_selectorIiNS0_10empty_typeEEEZZNS1_27merge_sort_block_merge_implIS3_N6thrust23THRUST_200600_302600_NS10device_ptrIiEEPS5_jNS1_19radix_merge_compareILb0ELb1EiNS0_19identity_decomposerEEEEE10hipError_tT0_T1_T2_jT3_P12ihipStream_tbPNSt15iterator_traitsISH_E10value_typeEPNSN_ISI_E10value_typeEPSJ_NS1_7vsmem_tEENKUlT_SH_SI_SJ_E_clISB_PiSC_SC_EESG_SW_SH_SI_SJ_EUlSW_E_NS1_11comp_targetILNS1_3genE0ELNS1_11target_archE4294967295ELNS1_3gpuE0ELNS1_3repE0EEENS1_48merge_mergepath_partition_config_static_selectorELNS0_4arch9wavefront6targetE0EEEvSI_
                                        ; -- End function
	.set _ZN7rocprim17ROCPRIM_400000_NS6detail17trampoline_kernelINS0_14default_configENS1_38merge_sort_block_merge_config_selectorIiNS0_10empty_typeEEEZZNS1_27merge_sort_block_merge_implIS3_N6thrust23THRUST_200600_302600_NS10device_ptrIiEEPS5_jNS1_19radix_merge_compareILb0ELb1EiNS0_19identity_decomposerEEEEE10hipError_tT0_T1_T2_jT3_P12ihipStream_tbPNSt15iterator_traitsISH_E10value_typeEPNSN_ISI_E10value_typeEPSJ_NS1_7vsmem_tEENKUlT_SH_SI_SJ_E_clISB_PiSC_SC_EESG_SW_SH_SI_SJ_EUlSW_E_NS1_11comp_targetILNS1_3genE0ELNS1_11target_archE4294967295ELNS1_3gpuE0ELNS1_3repE0EEENS1_48merge_mergepath_partition_config_static_selectorELNS0_4arch9wavefront6targetE0EEEvSI_.num_vgpr, 0
	.set _ZN7rocprim17ROCPRIM_400000_NS6detail17trampoline_kernelINS0_14default_configENS1_38merge_sort_block_merge_config_selectorIiNS0_10empty_typeEEEZZNS1_27merge_sort_block_merge_implIS3_N6thrust23THRUST_200600_302600_NS10device_ptrIiEEPS5_jNS1_19radix_merge_compareILb0ELb1EiNS0_19identity_decomposerEEEEE10hipError_tT0_T1_T2_jT3_P12ihipStream_tbPNSt15iterator_traitsISH_E10value_typeEPNSN_ISI_E10value_typeEPSJ_NS1_7vsmem_tEENKUlT_SH_SI_SJ_E_clISB_PiSC_SC_EESG_SW_SH_SI_SJ_EUlSW_E_NS1_11comp_targetILNS1_3genE0ELNS1_11target_archE4294967295ELNS1_3gpuE0ELNS1_3repE0EEENS1_48merge_mergepath_partition_config_static_selectorELNS0_4arch9wavefront6targetE0EEEvSI_.num_agpr, 0
	.set _ZN7rocprim17ROCPRIM_400000_NS6detail17trampoline_kernelINS0_14default_configENS1_38merge_sort_block_merge_config_selectorIiNS0_10empty_typeEEEZZNS1_27merge_sort_block_merge_implIS3_N6thrust23THRUST_200600_302600_NS10device_ptrIiEEPS5_jNS1_19radix_merge_compareILb0ELb1EiNS0_19identity_decomposerEEEEE10hipError_tT0_T1_T2_jT3_P12ihipStream_tbPNSt15iterator_traitsISH_E10value_typeEPNSN_ISI_E10value_typeEPSJ_NS1_7vsmem_tEENKUlT_SH_SI_SJ_E_clISB_PiSC_SC_EESG_SW_SH_SI_SJ_EUlSW_E_NS1_11comp_targetILNS1_3genE0ELNS1_11target_archE4294967295ELNS1_3gpuE0ELNS1_3repE0EEENS1_48merge_mergepath_partition_config_static_selectorELNS0_4arch9wavefront6targetE0EEEvSI_.numbered_sgpr, 0
	.set _ZN7rocprim17ROCPRIM_400000_NS6detail17trampoline_kernelINS0_14default_configENS1_38merge_sort_block_merge_config_selectorIiNS0_10empty_typeEEEZZNS1_27merge_sort_block_merge_implIS3_N6thrust23THRUST_200600_302600_NS10device_ptrIiEEPS5_jNS1_19radix_merge_compareILb0ELb1EiNS0_19identity_decomposerEEEEE10hipError_tT0_T1_T2_jT3_P12ihipStream_tbPNSt15iterator_traitsISH_E10value_typeEPNSN_ISI_E10value_typeEPSJ_NS1_7vsmem_tEENKUlT_SH_SI_SJ_E_clISB_PiSC_SC_EESG_SW_SH_SI_SJ_EUlSW_E_NS1_11comp_targetILNS1_3genE0ELNS1_11target_archE4294967295ELNS1_3gpuE0ELNS1_3repE0EEENS1_48merge_mergepath_partition_config_static_selectorELNS0_4arch9wavefront6targetE0EEEvSI_.num_named_barrier, 0
	.set _ZN7rocprim17ROCPRIM_400000_NS6detail17trampoline_kernelINS0_14default_configENS1_38merge_sort_block_merge_config_selectorIiNS0_10empty_typeEEEZZNS1_27merge_sort_block_merge_implIS3_N6thrust23THRUST_200600_302600_NS10device_ptrIiEEPS5_jNS1_19radix_merge_compareILb0ELb1EiNS0_19identity_decomposerEEEEE10hipError_tT0_T1_T2_jT3_P12ihipStream_tbPNSt15iterator_traitsISH_E10value_typeEPNSN_ISI_E10value_typeEPSJ_NS1_7vsmem_tEENKUlT_SH_SI_SJ_E_clISB_PiSC_SC_EESG_SW_SH_SI_SJ_EUlSW_E_NS1_11comp_targetILNS1_3genE0ELNS1_11target_archE4294967295ELNS1_3gpuE0ELNS1_3repE0EEENS1_48merge_mergepath_partition_config_static_selectorELNS0_4arch9wavefront6targetE0EEEvSI_.private_seg_size, 0
	.set _ZN7rocprim17ROCPRIM_400000_NS6detail17trampoline_kernelINS0_14default_configENS1_38merge_sort_block_merge_config_selectorIiNS0_10empty_typeEEEZZNS1_27merge_sort_block_merge_implIS3_N6thrust23THRUST_200600_302600_NS10device_ptrIiEEPS5_jNS1_19radix_merge_compareILb0ELb1EiNS0_19identity_decomposerEEEEE10hipError_tT0_T1_T2_jT3_P12ihipStream_tbPNSt15iterator_traitsISH_E10value_typeEPNSN_ISI_E10value_typeEPSJ_NS1_7vsmem_tEENKUlT_SH_SI_SJ_E_clISB_PiSC_SC_EESG_SW_SH_SI_SJ_EUlSW_E_NS1_11comp_targetILNS1_3genE0ELNS1_11target_archE4294967295ELNS1_3gpuE0ELNS1_3repE0EEENS1_48merge_mergepath_partition_config_static_selectorELNS0_4arch9wavefront6targetE0EEEvSI_.uses_vcc, 0
	.set _ZN7rocprim17ROCPRIM_400000_NS6detail17trampoline_kernelINS0_14default_configENS1_38merge_sort_block_merge_config_selectorIiNS0_10empty_typeEEEZZNS1_27merge_sort_block_merge_implIS3_N6thrust23THRUST_200600_302600_NS10device_ptrIiEEPS5_jNS1_19radix_merge_compareILb0ELb1EiNS0_19identity_decomposerEEEEE10hipError_tT0_T1_T2_jT3_P12ihipStream_tbPNSt15iterator_traitsISH_E10value_typeEPNSN_ISI_E10value_typeEPSJ_NS1_7vsmem_tEENKUlT_SH_SI_SJ_E_clISB_PiSC_SC_EESG_SW_SH_SI_SJ_EUlSW_E_NS1_11comp_targetILNS1_3genE0ELNS1_11target_archE4294967295ELNS1_3gpuE0ELNS1_3repE0EEENS1_48merge_mergepath_partition_config_static_selectorELNS0_4arch9wavefront6targetE0EEEvSI_.uses_flat_scratch, 0
	.set _ZN7rocprim17ROCPRIM_400000_NS6detail17trampoline_kernelINS0_14default_configENS1_38merge_sort_block_merge_config_selectorIiNS0_10empty_typeEEEZZNS1_27merge_sort_block_merge_implIS3_N6thrust23THRUST_200600_302600_NS10device_ptrIiEEPS5_jNS1_19radix_merge_compareILb0ELb1EiNS0_19identity_decomposerEEEEE10hipError_tT0_T1_T2_jT3_P12ihipStream_tbPNSt15iterator_traitsISH_E10value_typeEPNSN_ISI_E10value_typeEPSJ_NS1_7vsmem_tEENKUlT_SH_SI_SJ_E_clISB_PiSC_SC_EESG_SW_SH_SI_SJ_EUlSW_E_NS1_11comp_targetILNS1_3genE0ELNS1_11target_archE4294967295ELNS1_3gpuE0ELNS1_3repE0EEENS1_48merge_mergepath_partition_config_static_selectorELNS0_4arch9wavefront6targetE0EEEvSI_.has_dyn_sized_stack, 0
	.set _ZN7rocprim17ROCPRIM_400000_NS6detail17trampoline_kernelINS0_14default_configENS1_38merge_sort_block_merge_config_selectorIiNS0_10empty_typeEEEZZNS1_27merge_sort_block_merge_implIS3_N6thrust23THRUST_200600_302600_NS10device_ptrIiEEPS5_jNS1_19radix_merge_compareILb0ELb1EiNS0_19identity_decomposerEEEEE10hipError_tT0_T1_T2_jT3_P12ihipStream_tbPNSt15iterator_traitsISH_E10value_typeEPNSN_ISI_E10value_typeEPSJ_NS1_7vsmem_tEENKUlT_SH_SI_SJ_E_clISB_PiSC_SC_EESG_SW_SH_SI_SJ_EUlSW_E_NS1_11comp_targetILNS1_3genE0ELNS1_11target_archE4294967295ELNS1_3gpuE0ELNS1_3repE0EEENS1_48merge_mergepath_partition_config_static_selectorELNS0_4arch9wavefront6targetE0EEEvSI_.has_recursion, 0
	.set _ZN7rocprim17ROCPRIM_400000_NS6detail17trampoline_kernelINS0_14default_configENS1_38merge_sort_block_merge_config_selectorIiNS0_10empty_typeEEEZZNS1_27merge_sort_block_merge_implIS3_N6thrust23THRUST_200600_302600_NS10device_ptrIiEEPS5_jNS1_19radix_merge_compareILb0ELb1EiNS0_19identity_decomposerEEEEE10hipError_tT0_T1_T2_jT3_P12ihipStream_tbPNSt15iterator_traitsISH_E10value_typeEPNSN_ISI_E10value_typeEPSJ_NS1_7vsmem_tEENKUlT_SH_SI_SJ_E_clISB_PiSC_SC_EESG_SW_SH_SI_SJ_EUlSW_E_NS1_11comp_targetILNS1_3genE0ELNS1_11target_archE4294967295ELNS1_3gpuE0ELNS1_3repE0EEENS1_48merge_mergepath_partition_config_static_selectorELNS0_4arch9wavefront6targetE0EEEvSI_.has_indirect_call, 0
	.section	.AMDGPU.csdata,"",@progbits
; Kernel info:
; codeLenInByte = 0
; TotalNumSgprs: 0
; NumVgprs: 0
; ScratchSize: 0
; MemoryBound: 0
; FloatMode: 240
; IeeeMode: 1
; LDSByteSize: 0 bytes/workgroup (compile time only)
; SGPRBlocks: 0
; VGPRBlocks: 0
; NumSGPRsForWavesPerEU: 1
; NumVGPRsForWavesPerEU: 1
; Occupancy: 16
; WaveLimiterHint : 0
; COMPUTE_PGM_RSRC2:SCRATCH_EN: 0
; COMPUTE_PGM_RSRC2:USER_SGPR: 6
; COMPUTE_PGM_RSRC2:TRAP_HANDLER: 0
; COMPUTE_PGM_RSRC2:TGID_X_EN: 1
; COMPUTE_PGM_RSRC2:TGID_Y_EN: 0
; COMPUTE_PGM_RSRC2:TGID_Z_EN: 0
; COMPUTE_PGM_RSRC2:TIDIG_COMP_CNT: 0
	.section	.text._ZN7rocprim17ROCPRIM_400000_NS6detail17trampoline_kernelINS0_14default_configENS1_38merge_sort_block_merge_config_selectorIiNS0_10empty_typeEEEZZNS1_27merge_sort_block_merge_implIS3_N6thrust23THRUST_200600_302600_NS10device_ptrIiEEPS5_jNS1_19radix_merge_compareILb0ELb1EiNS0_19identity_decomposerEEEEE10hipError_tT0_T1_T2_jT3_P12ihipStream_tbPNSt15iterator_traitsISH_E10value_typeEPNSN_ISI_E10value_typeEPSJ_NS1_7vsmem_tEENKUlT_SH_SI_SJ_E_clISB_PiSC_SC_EESG_SW_SH_SI_SJ_EUlSW_E_NS1_11comp_targetILNS1_3genE10ELNS1_11target_archE1201ELNS1_3gpuE5ELNS1_3repE0EEENS1_48merge_mergepath_partition_config_static_selectorELNS0_4arch9wavefront6targetE0EEEvSI_,"axG",@progbits,_ZN7rocprim17ROCPRIM_400000_NS6detail17trampoline_kernelINS0_14default_configENS1_38merge_sort_block_merge_config_selectorIiNS0_10empty_typeEEEZZNS1_27merge_sort_block_merge_implIS3_N6thrust23THRUST_200600_302600_NS10device_ptrIiEEPS5_jNS1_19radix_merge_compareILb0ELb1EiNS0_19identity_decomposerEEEEE10hipError_tT0_T1_T2_jT3_P12ihipStream_tbPNSt15iterator_traitsISH_E10value_typeEPNSN_ISI_E10value_typeEPSJ_NS1_7vsmem_tEENKUlT_SH_SI_SJ_E_clISB_PiSC_SC_EESG_SW_SH_SI_SJ_EUlSW_E_NS1_11comp_targetILNS1_3genE10ELNS1_11target_archE1201ELNS1_3gpuE5ELNS1_3repE0EEENS1_48merge_mergepath_partition_config_static_selectorELNS0_4arch9wavefront6targetE0EEEvSI_,comdat
	.protected	_ZN7rocprim17ROCPRIM_400000_NS6detail17trampoline_kernelINS0_14default_configENS1_38merge_sort_block_merge_config_selectorIiNS0_10empty_typeEEEZZNS1_27merge_sort_block_merge_implIS3_N6thrust23THRUST_200600_302600_NS10device_ptrIiEEPS5_jNS1_19radix_merge_compareILb0ELb1EiNS0_19identity_decomposerEEEEE10hipError_tT0_T1_T2_jT3_P12ihipStream_tbPNSt15iterator_traitsISH_E10value_typeEPNSN_ISI_E10value_typeEPSJ_NS1_7vsmem_tEENKUlT_SH_SI_SJ_E_clISB_PiSC_SC_EESG_SW_SH_SI_SJ_EUlSW_E_NS1_11comp_targetILNS1_3genE10ELNS1_11target_archE1201ELNS1_3gpuE5ELNS1_3repE0EEENS1_48merge_mergepath_partition_config_static_selectorELNS0_4arch9wavefront6targetE0EEEvSI_ ; -- Begin function _ZN7rocprim17ROCPRIM_400000_NS6detail17trampoline_kernelINS0_14default_configENS1_38merge_sort_block_merge_config_selectorIiNS0_10empty_typeEEEZZNS1_27merge_sort_block_merge_implIS3_N6thrust23THRUST_200600_302600_NS10device_ptrIiEEPS5_jNS1_19radix_merge_compareILb0ELb1EiNS0_19identity_decomposerEEEEE10hipError_tT0_T1_T2_jT3_P12ihipStream_tbPNSt15iterator_traitsISH_E10value_typeEPNSN_ISI_E10value_typeEPSJ_NS1_7vsmem_tEENKUlT_SH_SI_SJ_E_clISB_PiSC_SC_EESG_SW_SH_SI_SJ_EUlSW_E_NS1_11comp_targetILNS1_3genE10ELNS1_11target_archE1201ELNS1_3gpuE5ELNS1_3repE0EEENS1_48merge_mergepath_partition_config_static_selectorELNS0_4arch9wavefront6targetE0EEEvSI_
	.globl	_ZN7rocprim17ROCPRIM_400000_NS6detail17trampoline_kernelINS0_14default_configENS1_38merge_sort_block_merge_config_selectorIiNS0_10empty_typeEEEZZNS1_27merge_sort_block_merge_implIS3_N6thrust23THRUST_200600_302600_NS10device_ptrIiEEPS5_jNS1_19radix_merge_compareILb0ELb1EiNS0_19identity_decomposerEEEEE10hipError_tT0_T1_T2_jT3_P12ihipStream_tbPNSt15iterator_traitsISH_E10value_typeEPNSN_ISI_E10value_typeEPSJ_NS1_7vsmem_tEENKUlT_SH_SI_SJ_E_clISB_PiSC_SC_EESG_SW_SH_SI_SJ_EUlSW_E_NS1_11comp_targetILNS1_3genE10ELNS1_11target_archE1201ELNS1_3gpuE5ELNS1_3repE0EEENS1_48merge_mergepath_partition_config_static_selectorELNS0_4arch9wavefront6targetE0EEEvSI_
	.p2align	8
	.type	_ZN7rocprim17ROCPRIM_400000_NS6detail17trampoline_kernelINS0_14default_configENS1_38merge_sort_block_merge_config_selectorIiNS0_10empty_typeEEEZZNS1_27merge_sort_block_merge_implIS3_N6thrust23THRUST_200600_302600_NS10device_ptrIiEEPS5_jNS1_19radix_merge_compareILb0ELb1EiNS0_19identity_decomposerEEEEE10hipError_tT0_T1_T2_jT3_P12ihipStream_tbPNSt15iterator_traitsISH_E10value_typeEPNSN_ISI_E10value_typeEPSJ_NS1_7vsmem_tEENKUlT_SH_SI_SJ_E_clISB_PiSC_SC_EESG_SW_SH_SI_SJ_EUlSW_E_NS1_11comp_targetILNS1_3genE10ELNS1_11target_archE1201ELNS1_3gpuE5ELNS1_3repE0EEENS1_48merge_mergepath_partition_config_static_selectorELNS0_4arch9wavefront6targetE0EEEvSI_,@function
_ZN7rocprim17ROCPRIM_400000_NS6detail17trampoline_kernelINS0_14default_configENS1_38merge_sort_block_merge_config_selectorIiNS0_10empty_typeEEEZZNS1_27merge_sort_block_merge_implIS3_N6thrust23THRUST_200600_302600_NS10device_ptrIiEEPS5_jNS1_19radix_merge_compareILb0ELb1EiNS0_19identity_decomposerEEEEE10hipError_tT0_T1_T2_jT3_P12ihipStream_tbPNSt15iterator_traitsISH_E10value_typeEPNSN_ISI_E10value_typeEPSJ_NS1_7vsmem_tEENKUlT_SH_SI_SJ_E_clISB_PiSC_SC_EESG_SW_SH_SI_SJ_EUlSW_E_NS1_11comp_targetILNS1_3genE10ELNS1_11target_archE1201ELNS1_3gpuE5ELNS1_3repE0EEENS1_48merge_mergepath_partition_config_static_selectorELNS0_4arch9wavefront6targetE0EEEvSI_: ; @_ZN7rocprim17ROCPRIM_400000_NS6detail17trampoline_kernelINS0_14default_configENS1_38merge_sort_block_merge_config_selectorIiNS0_10empty_typeEEEZZNS1_27merge_sort_block_merge_implIS3_N6thrust23THRUST_200600_302600_NS10device_ptrIiEEPS5_jNS1_19radix_merge_compareILb0ELb1EiNS0_19identity_decomposerEEEEE10hipError_tT0_T1_T2_jT3_P12ihipStream_tbPNSt15iterator_traitsISH_E10value_typeEPNSN_ISI_E10value_typeEPSJ_NS1_7vsmem_tEENKUlT_SH_SI_SJ_E_clISB_PiSC_SC_EESG_SW_SH_SI_SJ_EUlSW_E_NS1_11comp_targetILNS1_3genE10ELNS1_11target_archE1201ELNS1_3gpuE5ELNS1_3repE0EEENS1_48merge_mergepath_partition_config_static_selectorELNS0_4arch9wavefront6targetE0EEEvSI_
; %bb.0:
	.section	.rodata,"a",@progbits
	.p2align	6, 0x0
	.amdhsa_kernel _ZN7rocprim17ROCPRIM_400000_NS6detail17trampoline_kernelINS0_14default_configENS1_38merge_sort_block_merge_config_selectorIiNS0_10empty_typeEEEZZNS1_27merge_sort_block_merge_implIS3_N6thrust23THRUST_200600_302600_NS10device_ptrIiEEPS5_jNS1_19radix_merge_compareILb0ELb1EiNS0_19identity_decomposerEEEEE10hipError_tT0_T1_T2_jT3_P12ihipStream_tbPNSt15iterator_traitsISH_E10value_typeEPNSN_ISI_E10value_typeEPSJ_NS1_7vsmem_tEENKUlT_SH_SI_SJ_E_clISB_PiSC_SC_EESG_SW_SH_SI_SJ_EUlSW_E_NS1_11comp_targetILNS1_3genE10ELNS1_11target_archE1201ELNS1_3gpuE5ELNS1_3repE0EEENS1_48merge_mergepath_partition_config_static_selectorELNS0_4arch9wavefront6targetE0EEEvSI_
		.amdhsa_group_segment_fixed_size 0
		.amdhsa_private_segment_fixed_size 0
		.amdhsa_kernarg_size 40
		.amdhsa_user_sgpr_count 6
		.amdhsa_user_sgpr_private_segment_buffer 1
		.amdhsa_user_sgpr_dispatch_ptr 0
		.amdhsa_user_sgpr_queue_ptr 0
		.amdhsa_user_sgpr_kernarg_segment_ptr 1
		.amdhsa_user_sgpr_dispatch_id 0
		.amdhsa_user_sgpr_flat_scratch_init 0
		.amdhsa_user_sgpr_private_segment_size 0
		.amdhsa_wavefront_size32 1
		.amdhsa_uses_dynamic_stack 0
		.amdhsa_system_sgpr_private_segment_wavefront_offset 0
		.amdhsa_system_sgpr_workgroup_id_x 1
		.amdhsa_system_sgpr_workgroup_id_y 0
		.amdhsa_system_sgpr_workgroup_id_z 0
		.amdhsa_system_sgpr_workgroup_info 0
		.amdhsa_system_vgpr_workitem_id 0
		.amdhsa_next_free_vgpr 1
		.amdhsa_next_free_sgpr 1
		.amdhsa_reserve_vcc 0
		.amdhsa_reserve_flat_scratch 0
		.amdhsa_float_round_mode_32 0
		.amdhsa_float_round_mode_16_64 0
		.amdhsa_float_denorm_mode_32 3
		.amdhsa_float_denorm_mode_16_64 3
		.amdhsa_dx10_clamp 1
		.amdhsa_ieee_mode 1
		.amdhsa_fp16_overflow 0
		.amdhsa_workgroup_processor_mode 1
		.amdhsa_memory_ordered 1
		.amdhsa_forward_progress 1
		.amdhsa_shared_vgpr_count 0
		.amdhsa_exception_fp_ieee_invalid_op 0
		.amdhsa_exception_fp_denorm_src 0
		.amdhsa_exception_fp_ieee_div_zero 0
		.amdhsa_exception_fp_ieee_overflow 0
		.amdhsa_exception_fp_ieee_underflow 0
		.amdhsa_exception_fp_ieee_inexact 0
		.amdhsa_exception_int_div_zero 0
	.end_amdhsa_kernel
	.section	.text._ZN7rocprim17ROCPRIM_400000_NS6detail17trampoline_kernelINS0_14default_configENS1_38merge_sort_block_merge_config_selectorIiNS0_10empty_typeEEEZZNS1_27merge_sort_block_merge_implIS3_N6thrust23THRUST_200600_302600_NS10device_ptrIiEEPS5_jNS1_19radix_merge_compareILb0ELb1EiNS0_19identity_decomposerEEEEE10hipError_tT0_T1_T2_jT3_P12ihipStream_tbPNSt15iterator_traitsISH_E10value_typeEPNSN_ISI_E10value_typeEPSJ_NS1_7vsmem_tEENKUlT_SH_SI_SJ_E_clISB_PiSC_SC_EESG_SW_SH_SI_SJ_EUlSW_E_NS1_11comp_targetILNS1_3genE10ELNS1_11target_archE1201ELNS1_3gpuE5ELNS1_3repE0EEENS1_48merge_mergepath_partition_config_static_selectorELNS0_4arch9wavefront6targetE0EEEvSI_,"axG",@progbits,_ZN7rocprim17ROCPRIM_400000_NS6detail17trampoline_kernelINS0_14default_configENS1_38merge_sort_block_merge_config_selectorIiNS0_10empty_typeEEEZZNS1_27merge_sort_block_merge_implIS3_N6thrust23THRUST_200600_302600_NS10device_ptrIiEEPS5_jNS1_19radix_merge_compareILb0ELb1EiNS0_19identity_decomposerEEEEE10hipError_tT0_T1_T2_jT3_P12ihipStream_tbPNSt15iterator_traitsISH_E10value_typeEPNSN_ISI_E10value_typeEPSJ_NS1_7vsmem_tEENKUlT_SH_SI_SJ_E_clISB_PiSC_SC_EESG_SW_SH_SI_SJ_EUlSW_E_NS1_11comp_targetILNS1_3genE10ELNS1_11target_archE1201ELNS1_3gpuE5ELNS1_3repE0EEENS1_48merge_mergepath_partition_config_static_selectorELNS0_4arch9wavefront6targetE0EEEvSI_,comdat
.Lfunc_end1194:
	.size	_ZN7rocprim17ROCPRIM_400000_NS6detail17trampoline_kernelINS0_14default_configENS1_38merge_sort_block_merge_config_selectorIiNS0_10empty_typeEEEZZNS1_27merge_sort_block_merge_implIS3_N6thrust23THRUST_200600_302600_NS10device_ptrIiEEPS5_jNS1_19radix_merge_compareILb0ELb1EiNS0_19identity_decomposerEEEEE10hipError_tT0_T1_T2_jT3_P12ihipStream_tbPNSt15iterator_traitsISH_E10value_typeEPNSN_ISI_E10value_typeEPSJ_NS1_7vsmem_tEENKUlT_SH_SI_SJ_E_clISB_PiSC_SC_EESG_SW_SH_SI_SJ_EUlSW_E_NS1_11comp_targetILNS1_3genE10ELNS1_11target_archE1201ELNS1_3gpuE5ELNS1_3repE0EEENS1_48merge_mergepath_partition_config_static_selectorELNS0_4arch9wavefront6targetE0EEEvSI_, .Lfunc_end1194-_ZN7rocprim17ROCPRIM_400000_NS6detail17trampoline_kernelINS0_14default_configENS1_38merge_sort_block_merge_config_selectorIiNS0_10empty_typeEEEZZNS1_27merge_sort_block_merge_implIS3_N6thrust23THRUST_200600_302600_NS10device_ptrIiEEPS5_jNS1_19radix_merge_compareILb0ELb1EiNS0_19identity_decomposerEEEEE10hipError_tT0_T1_T2_jT3_P12ihipStream_tbPNSt15iterator_traitsISH_E10value_typeEPNSN_ISI_E10value_typeEPSJ_NS1_7vsmem_tEENKUlT_SH_SI_SJ_E_clISB_PiSC_SC_EESG_SW_SH_SI_SJ_EUlSW_E_NS1_11comp_targetILNS1_3genE10ELNS1_11target_archE1201ELNS1_3gpuE5ELNS1_3repE0EEENS1_48merge_mergepath_partition_config_static_selectorELNS0_4arch9wavefront6targetE0EEEvSI_
                                        ; -- End function
	.set _ZN7rocprim17ROCPRIM_400000_NS6detail17trampoline_kernelINS0_14default_configENS1_38merge_sort_block_merge_config_selectorIiNS0_10empty_typeEEEZZNS1_27merge_sort_block_merge_implIS3_N6thrust23THRUST_200600_302600_NS10device_ptrIiEEPS5_jNS1_19radix_merge_compareILb0ELb1EiNS0_19identity_decomposerEEEEE10hipError_tT0_T1_T2_jT3_P12ihipStream_tbPNSt15iterator_traitsISH_E10value_typeEPNSN_ISI_E10value_typeEPSJ_NS1_7vsmem_tEENKUlT_SH_SI_SJ_E_clISB_PiSC_SC_EESG_SW_SH_SI_SJ_EUlSW_E_NS1_11comp_targetILNS1_3genE10ELNS1_11target_archE1201ELNS1_3gpuE5ELNS1_3repE0EEENS1_48merge_mergepath_partition_config_static_selectorELNS0_4arch9wavefront6targetE0EEEvSI_.num_vgpr, 0
	.set _ZN7rocprim17ROCPRIM_400000_NS6detail17trampoline_kernelINS0_14default_configENS1_38merge_sort_block_merge_config_selectorIiNS0_10empty_typeEEEZZNS1_27merge_sort_block_merge_implIS3_N6thrust23THRUST_200600_302600_NS10device_ptrIiEEPS5_jNS1_19radix_merge_compareILb0ELb1EiNS0_19identity_decomposerEEEEE10hipError_tT0_T1_T2_jT3_P12ihipStream_tbPNSt15iterator_traitsISH_E10value_typeEPNSN_ISI_E10value_typeEPSJ_NS1_7vsmem_tEENKUlT_SH_SI_SJ_E_clISB_PiSC_SC_EESG_SW_SH_SI_SJ_EUlSW_E_NS1_11comp_targetILNS1_3genE10ELNS1_11target_archE1201ELNS1_3gpuE5ELNS1_3repE0EEENS1_48merge_mergepath_partition_config_static_selectorELNS0_4arch9wavefront6targetE0EEEvSI_.num_agpr, 0
	.set _ZN7rocprim17ROCPRIM_400000_NS6detail17trampoline_kernelINS0_14default_configENS1_38merge_sort_block_merge_config_selectorIiNS0_10empty_typeEEEZZNS1_27merge_sort_block_merge_implIS3_N6thrust23THRUST_200600_302600_NS10device_ptrIiEEPS5_jNS1_19radix_merge_compareILb0ELb1EiNS0_19identity_decomposerEEEEE10hipError_tT0_T1_T2_jT3_P12ihipStream_tbPNSt15iterator_traitsISH_E10value_typeEPNSN_ISI_E10value_typeEPSJ_NS1_7vsmem_tEENKUlT_SH_SI_SJ_E_clISB_PiSC_SC_EESG_SW_SH_SI_SJ_EUlSW_E_NS1_11comp_targetILNS1_3genE10ELNS1_11target_archE1201ELNS1_3gpuE5ELNS1_3repE0EEENS1_48merge_mergepath_partition_config_static_selectorELNS0_4arch9wavefront6targetE0EEEvSI_.numbered_sgpr, 0
	.set _ZN7rocprim17ROCPRIM_400000_NS6detail17trampoline_kernelINS0_14default_configENS1_38merge_sort_block_merge_config_selectorIiNS0_10empty_typeEEEZZNS1_27merge_sort_block_merge_implIS3_N6thrust23THRUST_200600_302600_NS10device_ptrIiEEPS5_jNS1_19radix_merge_compareILb0ELb1EiNS0_19identity_decomposerEEEEE10hipError_tT0_T1_T2_jT3_P12ihipStream_tbPNSt15iterator_traitsISH_E10value_typeEPNSN_ISI_E10value_typeEPSJ_NS1_7vsmem_tEENKUlT_SH_SI_SJ_E_clISB_PiSC_SC_EESG_SW_SH_SI_SJ_EUlSW_E_NS1_11comp_targetILNS1_3genE10ELNS1_11target_archE1201ELNS1_3gpuE5ELNS1_3repE0EEENS1_48merge_mergepath_partition_config_static_selectorELNS0_4arch9wavefront6targetE0EEEvSI_.num_named_barrier, 0
	.set _ZN7rocprim17ROCPRIM_400000_NS6detail17trampoline_kernelINS0_14default_configENS1_38merge_sort_block_merge_config_selectorIiNS0_10empty_typeEEEZZNS1_27merge_sort_block_merge_implIS3_N6thrust23THRUST_200600_302600_NS10device_ptrIiEEPS5_jNS1_19radix_merge_compareILb0ELb1EiNS0_19identity_decomposerEEEEE10hipError_tT0_T1_T2_jT3_P12ihipStream_tbPNSt15iterator_traitsISH_E10value_typeEPNSN_ISI_E10value_typeEPSJ_NS1_7vsmem_tEENKUlT_SH_SI_SJ_E_clISB_PiSC_SC_EESG_SW_SH_SI_SJ_EUlSW_E_NS1_11comp_targetILNS1_3genE10ELNS1_11target_archE1201ELNS1_3gpuE5ELNS1_3repE0EEENS1_48merge_mergepath_partition_config_static_selectorELNS0_4arch9wavefront6targetE0EEEvSI_.private_seg_size, 0
	.set _ZN7rocprim17ROCPRIM_400000_NS6detail17trampoline_kernelINS0_14default_configENS1_38merge_sort_block_merge_config_selectorIiNS0_10empty_typeEEEZZNS1_27merge_sort_block_merge_implIS3_N6thrust23THRUST_200600_302600_NS10device_ptrIiEEPS5_jNS1_19radix_merge_compareILb0ELb1EiNS0_19identity_decomposerEEEEE10hipError_tT0_T1_T2_jT3_P12ihipStream_tbPNSt15iterator_traitsISH_E10value_typeEPNSN_ISI_E10value_typeEPSJ_NS1_7vsmem_tEENKUlT_SH_SI_SJ_E_clISB_PiSC_SC_EESG_SW_SH_SI_SJ_EUlSW_E_NS1_11comp_targetILNS1_3genE10ELNS1_11target_archE1201ELNS1_3gpuE5ELNS1_3repE0EEENS1_48merge_mergepath_partition_config_static_selectorELNS0_4arch9wavefront6targetE0EEEvSI_.uses_vcc, 0
	.set _ZN7rocprim17ROCPRIM_400000_NS6detail17trampoline_kernelINS0_14default_configENS1_38merge_sort_block_merge_config_selectorIiNS0_10empty_typeEEEZZNS1_27merge_sort_block_merge_implIS3_N6thrust23THRUST_200600_302600_NS10device_ptrIiEEPS5_jNS1_19radix_merge_compareILb0ELb1EiNS0_19identity_decomposerEEEEE10hipError_tT0_T1_T2_jT3_P12ihipStream_tbPNSt15iterator_traitsISH_E10value_typeEPNSN_ISI_E10value_typeEPSJ_NS1_7vsmem_tEENKUlT_SH_SI_SJ_E_clISB_PiSC_SC_EESG_SW_SH_SI_SJ_EUlSW_E_NS1_11comp_targetILNS1_3genE10ELNS1_11target_archE1201ELNS1_3gpuE5ELNS1_3repE0EEENS1_48merge_mergepath_partition_config_static_selectorELNS0_4arch9wavefront6targetE0EEEvSI_.uses_flat_scratch, 0
	.set _ZN7rocprim17ROCPRIM_400000_NS6detail17trampoline_kernelINS0_14default_configENS1_38merge_sort_block_merge_config_selectorIiNS0_10empty_typeEEEZZNS1_27merge_sort_block_merge_implIS3_N6thrust23THRUST_200600_302600_NS10device_ptrIiEEPS5_jNS1_19radix_merge_compareILb0ELb1EiNS0_19identity_decomposerEEEEE10hipError_tT0_T1_T2_jT3_P12ihipStream_tbPNSt15iterator_traitsISH_E10value_typeEPNSN_ISI_E10value_typeEPSJ_NS1_7vsmem_tEENKUlT_SH_SI_SJ_E_clISB_PiSC_SC_EESG_SW_SH_SI_SJ_EUlSW_E_NS1_11comp_targetILNS1_3genE10ELNS1_11target_archE1201ELNS1_3gpuE5ELNS1_3repE0EEENS1_48merge_mergepath_partition_config_static_selectorELNS0_4arch9wavefront6targetE0EEEvSI_.has_dyn_sized_stack, 0
	.set _ZN7rocprim17ROCPRIM_400000_NS6detail17trampoline_kernelINS0_14default_configENS1_38merge_sort_block_merge_config_selectorIiNS0_10empty_typeEEEZZNS1_27merge_sort_block_merge_implIS3_N6thrust23THRUST_200600_302600_NS10device_ptrIiEEPS5_jNS1_19radix_merge_compareILb0ELb1EiNS0_19identity_decomposerEEEEE10hipError_tT0_T1_T2_jT3_P12ihipStream_tbPNSt15iterator_traitsISH_E10value_typeEPNSN_ISI_E10value_typeEPSJ_NS1_7vsmem_tEENKUlT_SH_SI_SJ_E_clISB_PiSC_SC_EESG_SW_SH_SI_SJ_EUlSW_E_NS1_11comp_targetILNS1_3genE10ELNS1_11target_archE1201ELNS1_3gpuE5ELNS1_3repE0EEENS1_48merge_mergepath_partition_config_static_selectorELNS0_4arch9wavefront6targetE0EEEvSI_.has_recursion, 0
	.set _ZN7rocprim17ROCPRIM_400000_NS6detail17trampoline_kernelINS0_14default_configENS1_38merge_sort_block_merge_config_selectorIiNS0_10empty_typeEEEZZNS1_27merge_sort_block_merge_implIS3_N6thrust23THRUST_200600_302600_NS10device_ptrIiEEPS5_jNS1_19radix_merge_compareILb0ELb1EiNS0_19identity_decomposerEEEEE10hipError_tT0_T1_T2_jT3_P12ihipStream_tbPNSt15iterator_traitsISH_E10value_typeEPNSN_ISI_E10value_typeEPSJ_NS1_7vsmem_tEENKUlT_SH_SI_SJ_E_clISB_PiSC_SC_EESG_SW_SH_SI_SJ_EUlSW_E_NS1_11comp_targetILNS1_3genE10ELNS1_11target_archE1201ELNS1_3gpuE5ELNS1_3repE0EEENS1_48merge_mergepath_partition_config_static_selectorELNS0_4arch9wavefront6targetE0EEEvSI_.has_indirect_call, 0
	.section	.AMDGPU.csdata,"",@progbits
; Kernel info:
; codeLenInByte = 0
; TotalNumSgprs: 0
; NumVgprs: 0
; ScratchSize: 0
; MemoryBound: 0
; FloatMode: 240
; IeeeMode: 1
; LDSByteSize: 0 bytes/workgroup (compile time only)
; SGPRBlocks: 0
; VGPRBlocks: 0
; NumSGPRsForWavesPerEU: 1
; NumVGPRsForWavesPerEU: 1
; Occupancy: 16
; WaveLimiterHint : 0
; COMPUTE_PGM_RSRC2:SCRATCH_EN: 0
; COMPUTE_PGM_RSRC2:USER_SGPR: 6
; COMPUTE_PGM_RSRC2:TRAP_HANDLER: 0
; COMPUTE_PGM_RSRC2:TGID_X_EN: 1
; COMPUTE_PGM_RSRC2:TGID_Y_EN: 0
; COMPUTE_PGM_RSRC2:TGID_Z_EN: 0
; COMPUTE_PGM_RSRC2:TIDIG_COMP_CNT: 0
	.section	.text._ZN7rocprim17ROCPRIM_400000_NS6detail17trampoline_kernelINS0_14default_configENS1_38merge_sort_block_merge_config_selectorIiNS0_10empty_typeEEEZZNS1_27merge_sort_block_merge_implIS3_N6thrust23THRUST_200600_302600_NS10device_ptrIiEEPS5_jNS1_19radix_merge_compareILb0ELb1EiNS0_19identity_decomposerEEEEE10hipError_tT0_T1_T2_jT3_P12ihipStream_tbPNSt15iterator_traitsISH_E10value_typeEPNSN_ISI_E10value_typeEPSJ_NS1_7vsmem_tEENKUlT_SH_SI_SJ_E_clISB_PiSC_SC_EESG_SW_SH_SI_SJ_EUlSW_E_NS1_11comp_targetILNS1_3genE5ELNS1_11target_archE942ELNS1_3gpuE9ELNS1_3repE0EEENS1_48merge_mergepath_partition_config_static_selectorELNS0_4arch9wavefront6targetE0EEEvSI_,"axG",@progbits,_ZN7rocprim17ROCPRIM_400000_NS6detail17trampoline_kernelINS0_14default_configENS1_38merge_sort_block_merge_config_selectorIiNS0_10empty_typeEEEZZNS1_27merge_sort_block_merge_implIS3_N6thrust23THRUST_200600_302600_NS10device_ptrIiEEPS5_jNS1_19radix_merge_compareILb0ELb1EiNS0_19identity_decomposerEEEEE10hipError_tT0_T1_T2_jT3_P12ihipStream_tbPNSt15iterator_traitsISH_E10value_typeEPNSN_ISI_E10value_typeEPSJ_NS1_7vsmem_tEENKUlT_SH_SI_SJ_E_clISB_PiSC_SC_EESG_SW_SH_SI_SJ_EUlSW_E_NS1_11comp_targetILNS1_3genE5ELNS1_11target_archE942ELNS1_3gpuE9ELNS1_3repE0EEENS1_48merge_mergepath_partition_config_static_selectorELNS0_4arch9wavefront6targetE0EEEvSI_,comdat
	.protected	_ZN7rocprim17ROCPRIM_400000_NS6detail17trampoline_kernelINS0_14default_configENS1_38merge_sort_block_merge_config_selectorIiNS0_10empty_typeEEEZZNS1_27merge_sort_block_merge_implIS3_N6thrust23THRUST_200600_302600_NS10device_ptrIiEEPS5_jNS1_19radix_merge_compareILb0ELb1EiNS0_19identity_decomposerEEEEE10hipError_tT0_T1_T2_jT3_P12ihipStream_tbPNSt15iterator_traitsISH_E10value_typeEPNSN_ISI_E10value_typeEPSJ_NS1_7vsmem_tEENKUlT_SH_SI_SJ_E_clISB_PiSC_SC_EESG_SW_SH_SI_SJ_EUlSW_E_NS1_11comp_targetILNS1_3genE5ELNS1_11target_archE942ELNS1_3gpuE9ELNS1_3repE0EEENS1_48merge_mergepath_partition_config_static_selectorELNS0_4arch9wavefront6targetE0EEEvSI_ ; -- Begin function _ZN7rocprim17ROCPRIM_400000_NS6detail17trampoline_kernelINS0_14default_configENS1_38merge_sort_block_merge_config_selectorIiNS0_10empty_typeEEEZZNS1_27merge_sort_block_merge_implIS3_N6thrust23THRUST_200600_302600_NS10device_ptrIiEEPS5_jNS1_19radix_merge_compareILb0ELb1EiNS0_19identity_decomposerEEEEE10hipError_tT0_T1_T2_jT3_P12ihipStream_tbPNSt15iterator_traitsISH_E10value_typeEPNSN_ISI_E10value_typeEPSJ_NS1_7vsmem_tEENKUlT_SH_SI_SJ_E_clISB_PiSC_SC_EESG_SW_SH_SI_SJ_EUlSW_E_NS1_11comp_targetILNS1_3genE5ELNS1_11target_archE942ELNS1_3gpuE9ELNS1_3repE0EEENS1_48merge_mergepath_partition_config_static_selectorELNS0_4arch9wavefront6targetE0EEEvSI_
	.globl	_ZN7rocprim17ROCPRIM_400000_NS6detail17trampoline_kernelINS0_14default_configENS1_38merge_sort_block_merge_config_selectorIiNS0_10empty_typeEEEZZNS1_27merge_sort_block_merge_implIS3_N6thrust23THRUST_200600_302600_NS10device_ptrIiEEPS5_jNS1_19radix_merge_compareILb0ELb1EiNS0_19identity_decomposerEEEEE10hipError_tT0_T1_T2_jT3_P12ihipStream_tbPNSt15iterator_traitsISH_E10value_typeEPNSN_ISI_E10value_typeEPSJ_NS1_7vsmem_tEENKUlT_SH_SI_SJ_E_clISB_PiSC_SC_EESG_SW_SH_SI_SJ_EUlSW_E_NS1_11comp_targetILNS1_3genE5ELNS1_11target_archE942ELNS1_3gpuE9ELNS1_3repE0EEENS1_48merge_mergepath_partition_config_static_selectorELNS0_4arch9wavefront6targetE0EEEvSI_
	.p2align	8
	.type	_ZN7rocprim17ROCPRIM_400000_NS6detail17trampoline_kernelINS0_14default_configENS1_38merge_sort_block_merge_config_selectorIiNS0_10empty_typeEEEZZNS1_27merge_sort_block_merge_implIS3_N6thrust23THRUST_200600_302600_NS10device_ptrIiEEPS5_jNS1_19radix_merge_compareILb0ELb1EiNS0_19identity_decomposerEEEEE10hipError_tT0_T1_T2_jT3_P12ihipStream_tbPNSt15iterator_traitsISH_E10value_typeEPNSN_ISI_E10value_typeEPSJ_NS1_7vsmem_tEENKUlT_SH_SI_SJ_E_clISB_PiSC_SC_EESG_SW_SH_SI_SJ_EUlSW_E_NS1_11comp_targetILNS1_3genE5ELNS1_11target_archE942ELNS1_3gpuE9ELNS1_3repE0EEENS1_48merge_mergepath_partition_config_static_selectorELNS0_4arch9wavefront6targetE0EEEvSI_,@function
_ZN7rocprim17ROCPRIM_400000_NS6detail17trampoline_kernelINS0_14default_configENS1_38merge_sort_block_merge_config_selectorIiNS0_10empty_typeEEEZZNS1_27merge_sort_block_merge_implIS3_N6thrust23THRUST_200600_302600_NS10device_ptrIiEEPS5_jNS1_19radix_merge_compareILb0ELb1EiNS0_19identity_decomposerEEEEE10hipError_tT0_T1_T2_jT3_P12ihipStream_tbPNSt15iterator_traitsISH_E10value_typeEPNSN_ISI_E10value_typeEPSJ_NS1_7vsmem_tEENKUlT_SH_SI_SJ_E_clISB_PiSC_SC_EESG_SW_SH_SI_SJ_EUlSW_E_NS1_11comp_targetILNS1_3genE5ELNS1_11target_archE942ELNS1_3gpuE9ELNS1_3repE0EEENS1_48merge_mergepath_partition_config_static_selectorELNS0_4arch9wavefront6targetE0EEEvSI_: ; @_ZN7rocprim17ROCPRIM_400000_NS6detail17trampoline_kernelINS0_14default_configENS1_38merge_sort_block_merge_config_selectorIiNS0_10empty_typeEEEZZNS1_27merge_sort_block_merge_implIS3_N6thrust23THRUST_200600_302600_NS10device_ptrIiEEPS5_jNS1_19radix_merge_compareILb0ELb1EiNS0_19identity_decomposerEEEEE10hipError_tT0_T1_T2_jT3_P12ihipStream_tbPNSt15iterator_traitsISH_E10value_typeEPNSN_ISI_E10value_typeEPSJ_NS1_7vsmem_tEENKUlT_SH_SI_SJ_E_clISB_PiSC_SC_EESG_SW_SH_SI_SJ_EUlSW_E_NS1_11comp_targetILNS1_3genE5ELNS1_11target_archE942ELNS1_3gpuE9ELNS1_3repE0EEENS1_48merge_mergepath_partition_config_static_selectorELNS0_4arch9wavefront6targetE0EEEvSI_
; %bb.0:
	.section	.rodata,"a",@progbits
	.p2align	6, 0x0
	.amdhsa_kernel _ZN7rocprim17ROCPRIM_400000_NS6detail17trampoline_kernelINS0_14default_configENS1_38merge_sort_block_merge_config_selectorIiNS0_10empty_typeEEEZZNS1_27merge_sort_block_merge_implIS3_N6thrust23THRUST_200600_302600_NS10device_ptrIiEEPS5_jNS1_19radix_merge_compareILb0ELb1EiNS0_19identity_decomposerEEEEE10hipError_tT0_T1_T2_jT3_P12ihipStream_tbPNSt15iterator_traitsISH_E10value_typeEPNSN_ISI_E10value_typeEPSJ_NS1_7vsmem_tEENKUlT_SH_SI_SJ_E_clISB_PiSC_SC_EESG_SW_SH_SI_SJ_EUlSW_E_NS1_11comp_targetILNS1_3genE5ELNS1_11target_archE942ELNS1_3gpuE9ELNS1_3repE0EEENS1_48merge_mergepath_partition_config_static_selectorELNS0_4arch9wavefront6targetE0EEEvSI_
		.amdhsa_group_segment_fixed_size 0
		.amdhsa_private_segment_fixed_size 0
		.amdhsa_kernarg_size 40
		.amdhsa_user_sgpr_count 6
		.amdhsa_user_sgpr_private_segment_buffer 1
		.amdhsa_user_sgpr_dispatch_ptr 0
		.amdhsa_user_sgpr_queue_ptr 0
		.amdhsa_user_sgpr_kernarg_segment_ptr 1
		.amdhsa_user_sgpr_dispatch_id 0
		.amdhsa_user_sgpr_flat_scratch_init 0
		.amdhsa_user_sgpr_private_segment_size 0
		.amdhsa_wavefront_size32 1
		.amdhsa_uses_dynamic_stack 0
		.amdhsa_system_sgpr_private_segment_wavefront_offset 0
		.amdhsa_system_sgpr_workgroup_id_x 1
		.amdhsa_system_sgpr_workgroup_id_y 0
		.amdhsa_system_sgpr_workgroup_id_z 0
		.amdhsa_system_sgpr_workgroup_info 0
		.amdhsa_system_vgpr_workitem_id 0
		.amdhsa_next_free_vgpr 1
		.amdhsa_next_free_sgpr 1
		.amdhsa_reserve_vcc 0
		.amdhsa_reserve_flat_scratch 0
		.amdhsa_float_round_mode_32 0
		.amdhsa_float_round_mode_16_64 0
		.amdhsa_float_denorm_mode_32 3
		.amdhsa_float_denorm_mode_16_64 3
		.amdhsa_dx10_clamp 1
		.amdhsa_ieee_mode 1
		.amdhsa_fp16_overflow 0
		.amdhsa_workgroup_processor_mode 1
		.amdhsa_memory_ordered 1
		.amdhsa_forward_progress 1
		.amdhsa_shared_vgpr_count 0
		.amdhsa_exception_fp_ieee_invalid_op 0
		.amdhsa_exception_fp_denorm_src 0
		.amdhsa_exception_fp_ieee_div_zero 0
		.amdhsa_exception_fp_ieee_overflow 0
		.amdhsa_exception_fp_ieee_underflow 0
		.amdhsa_exception_fp_ieee_inexact 0
		.amdhsa_exception_int_div_zero 0
	.end_amdhsa_kernel
	.section	.text._ZN7rocprim17ROCPRIM_400000_NS6detail17trampoline_kernelINS0_14default_configENS1_38merge_sort_block_merge_config_selectorIiNS0_10empty_typeEEEZZNS1_27merge_sort_block_merge_implIS3_N6thrust23THRUST_200600_302600_NS10device_ptrIiEEPS5_jNS1_19radix_merge_compareILb0ELb1EiNS0_19identity_decomposerEEEEE10hipError_tT0_T1_T2_jT3_P12ihipStream_tbPNSt15iterator_traitsISH_E10value_typeEPNSN_ISI_E10value_typeEPSJ_NS1_7vsmem_tEENKUlT_SH_SI_SJ_E_clISB_PiSC_SC_EESG_SW_SH_SI_SJ_EUlSW_E_NS1_11comp_targetILNS1_3genE5ELNS1_11target_archE942ELNS1_3gpuE9ELNS1_3repE0EEENS1_48merge_mergepath_partition_config_static_selectorELNS0_4arch9wavefront6targetE0EEEvSI_,"axG",@progbits,_ZN7rocprim17ROCPRIM_400000_NS6detail17trampoline_kernelINS0_14default_configENS1_38merge_sort_block_merge_config_selectorIiNS0_10empty_typeEEEZZNS1_27merge_sort_block_merge_implIS3_N6thrust23THRUST_200600_302600_NS10device_ptrIiEEPS5_jNS1_19radix_merge_compareILb0ELb1EiNS0_19identity_decomposerEEEEE10hipError_tT0_T1_T2_jT3_P12ihipStream_tbPNSt15iterator_traitsISH_E10value_typeEPNSN_ISI_E10value_typeEPSJ_NS1_7vsmem_tEENKUlT_SH_SI_SJ_E_clISB_PiSC_SC_EESG_SW_SH_SI_SJ_EUlSW_E_NS1_11comp_targetILNS1_3genE5ELNS1_11target_archE942ELNS1_3gpuE9ELNS1_3repE0EEENS1_48merge_mergepath_partition_config_static_selectorELNS0_4arch9wavefront6targetE0EEEvSI_,comdat
.Lfunc_end1195:
	.size	_ZN7rocprim17ROCPRIM_400000_NS6detail17trampoline_kernelINS0_14default_configENS1_38merge_sort_block_merge_config_selectorIiNS0_10empty_typeEEEZZNS1_27merge_sort_block_merge_implIS3_N6thrust23THRUST_200600_302600_NS10device_ptrIiEEPS5_jNS1_19radix_merge_compareILb0ELb1EiNS0_19identity_decomposerEEEEE10hipError_tT0_T1_T2_jT3_P12ihipStream_tbPNSt15iterator_traitsISH_E10value_typeEPNSN_ISI_E10value_typeEPSJ_NS1_7vsmem_tEENKUlT_SH_SI_SJ_E_clISB_PiSC_SC_EESG_SW_SH_SI_SJ_EUlSW_E_NS1_11comp_targetILNS1_3genE5ELNS1_11target_archE942ELNS1_3gpuE9ELNS1_3repE0EEENS1_48merge_mergepath_partition_config_static_selectorELNS0_4arch9wavefront6targetE0EEEvSI_, .Lfunc_end1195-_ZN7rocprim17ROCPRIM_400000_NS6detail17trampoline_kernelINS0_14default_configENS1_38merge_sort_block_merge_config_selectorIiNS0_10empty_typeEEEZZNS1_27merge_sort_block_merge_implIS3_N6thrust23THRUST_200600_302600_NS10device_ptrIiEEPS5_jNS1_19radix_merge_compareILb0ELb1EiNS0_19identity_decomposerEEEEE10hipError_tT0_T1_T2_jT3_P12ihipStream_tbPNSt15iterator_traitsISH_E10value_typeEPNSN_ISI_E10value_typeEPSJ_NS1_7vsmem_tEENKUlT_SH_SI_SJ_E_clISB_PiSC_SC_EESG_SW_SH_SI_SJ_EUlSW_E_NS1_11comp_targetILNS1_3genE5ELNS1_11target_archE942ELNS1_3gpuE9ELNS1_3repE0EEENS1_48merge_mergepath_partition_config_static_selectorELNS0_4arch9wavefront6targetE0EEEvSI_
                                        ; -- End function
	.set _ZN7rocprim17ROCPRIM_400000_NS6detail17trampoline_kernelINS0_14default_configENS1_38merge_sort_block_merge_config_selectorIiNS0_10empty_typeEEEZZNS1_27merge_sort_block_merge_implIS3_N6thrust23THRUST_200600_302600_NS10device_ptrIiEEPS5_jNS1_19radix_merge_compareILb0ELb1EiNS0_19identity_decomposerEEEEE10hipError_tT0_T1_T2_jT3_P12ihipStream_tbPNSt15iterator_traitsISH_E10value_typeEPNSN_ISI_E10value_typeEPSJ_NS1_7vsmem_tEENKUlT_SH_SI_SJ_E_clISB_PiSC_SC_EESG_SW_SH_SI_SJ_EUlSW_E_NS1_11comp_targetILNS1_3genE5ELNS1_11target_archE942ELNS1_3gpuE9ELNS1_3repE0EEENS1_48merge_mergepath_partition_config_static_selectorELNS0_4arch9wavefront6targetE0EEEvSI_.num_vgpr, 0
	.set _ZN7rocprim17ROCPRIM_400000_NS6detail17trampoline_kernelINS0_14default_configENS1_38merge_sort_block_merge_config_selectorIiNS0_10empty_typeEEEZZNS1_27merge_sort_block_merge_implIS3_N6thrust23THRUST_200600_302600_NS10device_ptrIiEEPS5_jNS1_19radix_merge_compareILb0ELb1EiNS0_19identity_decomposerEEEEE10hipError_tT0_T1_T2_jT3_P12ihipStream_tbPNSt15iterator_traitsISH_E10value_typeEPNSN_ISI_E10value_typeEPSJ_NS1_7vsmem_tEENKUlT_SH_SI_SJ_E_clISB_PiSC_SC_EESG_SW_SH_SI_SJ_EUlSW_E_NS1_11comp_targetILNS1_3genE5ELNS1_11target_archE942ELNS1_3gpuE9ELNS1_3repE0EEENS1_48merge_mergepath_partition_config_static_selectorELNS0_4arch9wavefront6targetE0EEEvSI_.num_agpr, 0
	.set _ZN7rocprim17ROCPRIM_400000_NS6detail17trampoline_kernelINS0_14default_configENS1_38merge_sort_block_merge_config_selectorIiNS0_10empty_typeEEEZZNS1_27merge_sort_block_merge_implIS3_N6thrust23THRUST_200600_302600_NS10device_ptrIiEEPS5_jNS1_19radix_merge_compareILb0ELb1EiNS0_19identity_decomposerEEEEE10hipError_tT0_T1_T2_jT3_P12ihipStream_tbPNSt15iterator_traitsISH_E10value_typeEPNSN_ISI_E10value_typeEPSJ_NS1_7vsmem_tEENKUlT_SH_SI_SJ_E_clISB_PiSC_SC_EESG_SW_SH_SI_SJ_EUlSW_E_NS1_11comp_targetILNS1_3genE5ELNS1_11target_archE942ELNS1_3gpuE9ELNS1_3repE0EEENS1_48merge_mergepath_partition_config_static_selectorELNS0_4arch9wavefront6targetE0EEEvSI_.numbered_sgpr, 0
	.set _ZN7rocprim17ROCPRIM_400000_NS6detail17trampoline_kernelINS0_14default_configENS1_38merge_sort_block_merge_config_selectorIiNS0_10empty_typeEEEZZNS1_27merge_sort_block_merge_implIS3_N6thrust23THRUST_200600_302600_NS10device_ptrIiEEPS5_jNS1_19radix_merge_compareILb0ELb1EiNS0_19identity_decomposerEEEEE10hipError_tT0_T1_T2_jT3_P12ihipStream_tbPNSt15iterator_traitsISH_E10value_typeEPNSN_ISI_E10value_typeEPSJ_NS1_7vsmem_tEENKUlT_SH_SI_SJ_E_clISB_PiSC_SC_EESG_SW_SH_SI_SJ_EUlSW_E_NS1_11comp_targetILNS1_3genE5ELNS1_11target_archE942ELNS1_3gpuE9ELNS1_3repE0EEENS1_48merge_mergepath_partition_config_static_selectorELNS0_4arch9wavefront6targetE0EEEvSI_.num_named_barrier, 0
	.set _ZN7rocprim17ROCPRIM_400000_NS6detail17trampoline_kernelINS0_14default_configENS1_38merge_sort_block_merge_config_selectorIiNS0_10empty_typeEEEZZNS1_27merge_sort_block_merge_implIS3_N6thrust23THRUST_200600_302600_NS10device_ptrIiEEPS5_jNS1_19radix_merge_compareILb0ELb1EiNS0_19identity_decomposerEEEEE10hipError_tT0_T1_T2_jT3_P12ihipStream_tbPNSt15iterator_traitsISH_E10value_typeEPNSN_ISI_E10value_typeEPSJ_NS1_7vsmem_tEENKUlT_SH_SI_SJ_E_clISB_PiSC_SC_EESG_SW_SH_SI_SJ_EUlSW_E_NS1_11comp_targetILNS1_3genE5ELNS1_11target_archE942ELNS1_3gpuE9ELNS1_3repE0EEENS1_48merge_mergepath_partition_config_static_selectorELNS0_4arch9wavefront6targetE0EEEvSI_.private_seg_size, 0
	.set _ZN7rocprim17ROCPRIM_400000_NS6detail17trampoline_kernelINS0_14default_configENS1_38merge_sort_block_merge_config_selectorIiNS0_10empty_typeEEEZZNS1_27merge_sort_block_merge_implIS3_N6thrust23THRUST_200600_302600_NS10device_ptrIiEEPS5_jNS1_19radix_merge_compareILb0ELb1EiNS0_19identity_decomposerEEEEE10hipError_tT0_T1_T2_jT3_P12ihipStream_tbPNSt15iterator_traitsISH_E10value_typeEPNSN_ISI_E10value_typeEPSJ_NS1_7vsmem_tEENKUlT_SH_SI_SJ_E_clISB_PiSC_SC_EESG_SW_SH_SI_SJ_EUlSW_E_NS1_11comp_targetILNS1_3genE5ELNS1_11target_archE942ELNS1_3gpuE9ELNS1_3repE0EEENS1_48merge_mergepath_partition_config_static_selectorELNS0_4arch9wavefront6targetE0EEEvSI_.uses_vcc, 0
	.set _ZN7rocprim17ROCPRIM_400000_NS6detail17trampoline_kernelINS0_14default_configENS1_38merge_sort_block_merge_config_selectorIiNS0_10empty_typeEEEZZNS1_27merge_sort_block_merge_implIS3_N6thrust23THRUST_200600_302600_NS10device_ptrIiEEPS5_jNS1_19radix_merge_compareILb0ELb1EiNS0_19identity_decomposerEEEEE10hipError_tT0_T1_T2_jT3_P12ihipStream_tbPNSt15iterator_traitsISH_E10value_typeEPNSN_ISI_E10value_typeEPSJ_NS1_7vsmem_tEENKUlT_SH_SI_SJ_E_clISB_PiSC_SC_EESG_SW_SH_SI_SJ_EUlSW_E_NS1_11comp_targetILNS1_3genE5ELNS1_11target_archE942ELNS1_3gpuE9ELNS1_3repE0EEENS1_48merge_mergepath_partition_config_static_selectorELNS0_4arch9wavefront6targetE0EEEvSI_.uses_flat_scratch, 0
	.set _ZN7rocprim17ROCPRIM_400000_NS6detail17trampoline_kernelINS0_14default_configENS1_38merge_sort_block_merge_config_selectorIiNS0_10empty_typeEEEZZNS1_27merge_sort_block_merge_implIS3_N6thrust23THRUST_200600_302600_NS10device_ptrIiEEPS5_jNS1_19radix_merge_compareILb0ELb1EiNS0_19identity_decomposerEEEEE10hipError_tT0_T1_T2_jT3_P12ihipStream_tbPNSt15iterator_traitsISH_E10value_typeEPNSN_ISI_E10value_typeEPSJ_NS1_7vsmem_tEENKUlT_SH_SI_SJ_E_clISB_PiSC_SC_EESG_SW_SH_SI_SJ_EUlSW_E_NS1_11comp_targetILNS1_3genE5ELNS1_11target_archE942ELNS1_3gpuE9ELNS1_3repE0EEENS1_48merge_mergepath_partition_config_static_selectorELNS0_4arch9wavefront6targetE0EEEvSI_.has_dyn_sized_stack, 0
	.set _ZN7rocprim17ROCPRIM_400000_NS6detail17trampoline_kernelINS0_14default_configENS1_38merge_sort_block_merge_config_selectorIiNS0_10empty_typeEEEZZNS1_27merge_sort_block_merge_implIS3_N6thrust23THRUST_200600_302600_NS10device_ptrIiEEPS5_jNS1_19radix_merge_compareILb0ELb1EiNS0_19identity_decomposerEEEEE10hipError_tT0_T1_T2_jT3_P12ihipStream_tbPNSt15iterator_traitsISH_E10value_typeEPNSN_ISI_E10value_typeEPSJ_NS1_7vsmem_tEENKUlT_SH_SI_SJ_E_clISB_PiSC_SC_EESG_SW_SH_SI_SJ_EUlSW_E_NS1_11comp_targetILNS1_3genE5ELNS1_11target_archE942ELNS1_3gpuE9ELNS1_3repE0EEENS1_48merge_mergepath_partition_config_static_selectorELNS0_4arch9wavefront6targetE0EEEvSI_.has_recursion, 0
	.set _ZN7rocprim17ROCPRIM_400000_NS6detail17trampoline_kernelINS0_14default_configENS1_38merge_sort_block_merge_config_selectorIiNS0_10empty_typeEEEZZNS1_27merge_sort_block_merge_implIS3_N6thrust23THRUST_200600_302600_NS10device_ptrIiEEPS5_jNS1_19radix_merge_compareILb0ELb1EiNS0_19identity_decomposerEEEEE10hipError_tT0_T1_T2_jT3_P12ihipStream_tbPNSt15iterator_traitsISH_E10value_typeEPNSN_ISI_E10value_typeEPSJ_NS1_7vsmem_tEENKUlT_SH_SI_SJ_E_clISB_PiSC_SC_EESG_SW_SH_SI_SJ_EUlSW_E_NS1_11comp_targetILNS1_3genE5ELNS1_11target_archE942ELNS1_3gpuE9ELNS1_3repE0EEENS1_48merge_mergepath_partition_config_static_selectorELNS0_4arch9wavefront6targetE0EEEvSI_.has_indirect_call, 0
	.section	.AMDGPU.csdata,"",@progbits
; Kernel info:
; codeLenInByte = 0
; TotalNumSgprs: 0
; NumVgprs: 0
; ScratchSize: 0
; MemoryBound: 0
; FloatMode: 240
; IeeeMode: 1
; LDSByteSize: 0 bytes/workgroup (compile time only)
; SGPRBlocks: 0
; VGPRBlocks: 0
; NumSGPRsForWavesPerEU: 1
; NumVGPRsForWavesPerEU: 1
; Occupancy: 16
; WaveLimiterHint : 0
; COMPUTE_PGM_RSRC2:SCRATCH_EN: 0
; COMPUTE_PGM_RSRC2:USER_SGPR: 6
; COMPUTE_PGM_RSRC2:TRAP_HANDLER: 0
; COMPUTE_PGM_RSRC2:TGID_X_EN: 1
; COMPUTE_PGM_RSRC2:TGID_Y_EN: 0
; COMPUTE_PGM_RSRC2:TGID_Z_EN: 0
; COMPUTE_PGM_RSRC2:TIDIG_COMP_CNT: 0
	.section	.text._ZN7rocprim17ROCPRIM_400000_NS6detail17trampoline_kernelINS0_14default_configENS1_38merge_sort_block_merge_config_selectorIiNS0_10empty_typeEEEZZNS1_27merge_sort_block_merge_implIS3_N6thrust23THRUST_200600_302600_NS10device_ptrIiEEPS5_jNS1_19radix_merge_compareILb0ELb1EiNS0_19identity_decomposerEEEEE10hipError_tT0_T1_T2_jT3_P12ihipStream_tbPNSt15iterator_traitsISH_E10value_typeEPNSN_ISI_E10value_typeEPSJ_NS1_7vsmem_tEENKUlT_SH_SI_SJ_E_clISB_PiSC_SC_EESG_SW_SH_SI_SJ_EUlSW_E_NS1_11comp_targetILNS1_3genE4ELNS1_11target_archE910ELNS1_3gpuE8ELNS1_3repE0EEENS1_48merge_mergepath_partition_config_static_selectorELNS0_4arch9wavefront6targetE0EEEvSI_,"axG",@progbits,_ZN7rocprim17ROCPRIM_400000_NS6detail17trampoline_kernelINS0_14default_configENS1_38merge_sort_block_merge_config_selectorIiNS0_10empty_typeEEEZZNS1_27merge_sort_block_merge_implIS3_N6thrust23THRUST_200600_302600_NS10device_ptrIiEEPS5_jNS1_19radix_merge_compareILb0ELb1EiNS0_19identity_decomposerEEEEE10hipError_tT0_T1_T2_jT3_P12ihipStream_tbPNSt15iterator_traitsISH_E10value_typeEPNSN_ISI_E10value_typeEPSJ_NS1_7vsmem_tEENKUlT_SH_SI_SJ_E_clISB_PiSC_SC_EESG_SW_SH_SI_SJ_EUlSW_E_NS1_11comp_targetILNS1_3genE4ELNS1_11target_archE910ELNS1_3gpuE8ELNS1_3repE0EEENS1_48merge_mergepath_partition_config_static_selectorELNS0_4arch9wavefront6targetE0EEEvSI_,comdat
	.protected	_ZN7rocprim17ROCPRIM_400000_NS6detail17trampoline_kernelINS0_14default_configENS1_38merge_sort_block_merge_config_selectorIiNS0_10empty_typeEEEZZNS1_27merge_sort_block_merge_implIS3_N6thrust23THRUST_200600_302600_NS10device_ptrIiEEPS5_jNS1_19radix_merge_compareILb0ELb1EiNS0_19identity_decomposerEEEEE10hipError_tT0_T1_T2_jT3_P12ihipStream_tbPNSt15iterator_traitsISH_E10value_typeEPNSN_ISI_E10value_typeEPSJ_NS1_7vsmem_tEENKUlT_SH_SI_SJ_E_clISB_PiSC_SC_EESG_SW_SH_SI_SJ_EUlSW_E_NS1_11comp_targetILNS1_3genE4ELNS1_11target_archE910ELNS1_3gpuE8ELNS1_3repE0EEENS1_48merge_mergepath_partition_config_static_selectorELNS0_4arch9wavefront6targetE0EEEvSI_ ; -- Begin function _ZN7rocprim17ROCPRIM_400000_NS6detail17trampoline_kernelINS0_14default_configENS1_38merge_sort_block_merge_config_selectorIiNS0_10empty_typeEEEZZNS1_27merge_sort_block_merge_implIS3_N6thrust23THRUST_200600_302600_NS10device_ptrIiEEPS5_jNS1_19radix_merge_compareILb0ELb1EiNS0_19identity_decomposerEEEEE10hipError_tT0_T1_T2_jT3_P12ihipStream_tbPNSt15iterator_traitsISH_E10value_typeEPNSN_ISI_E10value_typeEPSJ_NS1_7vsmem_tEENKUlT_SH_SI_SJ_E_clISB_PiSC_SC_EESG_SW_SH_SI_SJ_EUlSW_E_NS1_11comp_targetILNS1_3genE4ELNS1_11target_archE910ELNS1_3gpuE8ELNS1_3repE0EEENS1_48merge_mergepath_partition_config_static_selectorELNS0_4arch9wavefront6targetE0EEEvSI_
	.globl	_ZN7rocprim17ROCPRIM_400000_NS6detail17trampoline_kernelINS0_14default_configENS1_38merge_sort_block_merge_config_selectorIiNS0_10empty_typeEEEZZNS1_27merge_sort_block_merge_implIS3_N6thrust23THRUST_200600_302600_NS10device_ptrIiEEPS5_jNS1_19radix_merge_compareILb0ELb1EiNS0_19identity_decomposerEEEEE10hipError_tT0_T1_T2_jT3_P12ihipStream_tbPNSt15iterator_traitsISH_E10value_typeEPNSN_ISI_E10value_typeEPSJ_NS1_7vsmem_tEENKUlT_SH_SI_SJ_E_clISB_PiSC_SC_EESG_SW_SH_SI_SJ_EUlSW_E_NS1_11comp_targetILNS1_3genE4ELNS1_11target_archE910ELNS1_3gpuE8ELNS1_3repE0EEENS1_48merge_mergepath_partition_config_static_selectorELNS0_4arch9wavefront6targetE0EEEvSI_
	.p2align	8
	.type	_ZN7rocprim17ROCPRIM_400000_NS6detail17trampoline_kernelINS0_14default_configENS1_38merge_sort_block_merge_config_selectorIiNS0_10empty_typeEEEZZNS1_27merge_sort_block_merge_implIS3_N6thrust23THRUST_200600_302600_NS10device_ptrIiEEPS5_jNS1_19radix_merge_compareILb0ELb1EiNS0_19identity_decomposerEEEEE10hipError_tT0_T1_T2_jT3_P12ihipStream_tbPNSt15iterator_traitsISH_E10value_typeEPNSN_ISI_E10value_typeEPSJ_NS1_7vsmem_tEENKUlT_SH_SI_SJ_E_clISB_PiSC_SC_EESG_SW_SH_SI_SJ_EUlSW_E_NS1_11comp_targetILNS1_3genE4ELNS1_11target_archE910ELNS1_3gpuE8ELNS1_3repE0EEENS1_48merge_mergepath_partition_config_static_selectorELNS0_4arch9wavefront6targetE0EEEvSI_,@function
_ZN7rocprim17ROCPRIM_400000_NS6detail17trampoline_kernelINS0_14default_configENS1_38merge_sort_block_merge_config_selectorIiNS0_10empty_typeEEEZZNS1_27merge_sort_block_merge_implIS3_N6thrust23THRUST_200600_302600_NS10device_ptrIiEEPS5_jNS1_19radix_merge_compareILb0ELb1EiNS0_19identity_decomposerEEEEE10hipError_tT0_T1_T2_jT3_P12ihipStream_tbPNSt15iterator_traitsISH_E10value_typeEPNSN_ISI_E10value_typeEPSJ_NS1_7vsmem_tEENKUlT_SH_SI_SJ_E_clISB_PiSC_SC_EESG_SW_SH_SI_SJ_EUlSW_E_NS1_11comp_targetILNS1_3genE4ELNS1_11target_archE910ELNS1_3gpuE8ELNS1_3repE0EEENS1_48merge_mergepath_partition_config_static_selectorELNS0_4arch9wavefront6targetE0EEEvSI_: ; @_ZN7rocprim17ROCPRIM_400000_NS6detail17trampoline_kernelINS0_14default_configENS1_38merge_sort_block_merge_config_selectorIiNS0_10empty_typeEEEZZNS1_27merge_sort_block_merge_implIS3_N6thrust23THRUST_200600_302600_NS10device_ptrIiEEPS5_jNS1_19radix_merge_compareILb0ELb1EiNS0_19identity_decomposerEEEEE10hipError_tT0_T1_T2_jT3_P12ihipStream_tbPNSt15iterator_traitsISH_E10value_typeEPNSN_ISI_E10value_typeEPSJ_NS1_7vsmem_tEENKUlT_SH_SI_SJ_E_clISB_PiSC_SC_EESG_SW_SH_SI_SJ_EUlSW_E_NS1_11comp_targetILNS1_3genE4ELNS1_11target_archE910ELNS1_3gpuE8ELNS1_3repE0EEENS1_48merge_mergepath_partition_config_static_selectorELNS0_4arch9wavefront6targetE0EEEvSI_
; %bb.0:
	.section	.rodata,"a",@progbits
	.p2align	6, 0x0
	.amdhsa_kernel _ZN7rocprim17ROCPRIM_400000_NS6detail17trampoline_kernelINS0_14default_configENS1_38merge_sort_block_merge_config_selectorIiNS0_10empty_typeEEEZZNS1_27merge_sort_block_merge_implIS3_N6thrust23THRUST_200600_302600_NS10device_ptrIiEEPS5_jNS1_19radix_merge_compareILb0ELb1EiNS0_19identity_decomposerEEEEE10hipError_tT0_T1_T2_jT3_P12ihipStream_tbPNSt15iterator_traitsISH_E10value_typeEPNSN_ISI_E10value_typeEPSJ_NS1_7vsmem_tEENKUlT_SH_SI_SJ_E_clISB_PiSC_SC_EESG_SW_SH_SI_SJ_EUlSW_E_NS1_11comp_targetILNS1_3genE4ELNS1_11target_archE910ELNS1_3gpuE8ELNS1_3repE0EEENS1_48merge_mergepath_partition_config_static_selectorELNS0_4arch9wavefront6targetE0EEEvSI_
		.amdhsa_group_segment_fixed_size 0
		.amdhsa_private_segment_fixed_size 0
		.amdhsa_kernarg_size 40
		.amdhsa_user_sgpr_count 6
		.amdhsa_user_sgpr_private_segment_buffer 1
		.amdhsa_user_sgpr_dispatch_ptr 0
		.amdhsa_user_sgpr_queue_ptr 0
		.amdhsa_user_sgpr_kernarg_segment_ptr 1
		.amdhsa_user_sgpr_dispatch_id 0
		.amdhsa_user_sgpr_flat_scratch_init 0
		.amdhsa_user_sgpr_private_segment_size 0
		.amdhsa_wavefront_size32 1
		.amdhsa_uses_dynamic_stack 0
		.amdhsa_system_sgpr_private_segment_wavefront_offset 0
		.amdhsa_system_sgpr_workgroup_id_x 1
		.amdhsa_system_sgpr_workgroup_id_y 0
		.amdhsa_system_sgpr_workgroup_id_z 0
		.amdhsa_system_sgpr_workgroup_info 0
		.amdhsa_system_vgpr_workitem_id 0
		.amdhsa_next_free_vgpr 1
		.amdhsa_next_free_sgpr 1
		.amdhsa_reserve_vcc 0
		.amdhsa_reserve_flat_scratch 0
		.amdhsa_float_round_mode_32 0
		.amdhsa_float_round_mode_16_64 0
		.amdhsa_float_denorm_mode_32 3
		.amdhsa_float_denorm_mode_16_64 3
		.amdhsa_dx10_clamp 1
		.amdhsa_ieee_mode 1
		.amdhsa_fp16_overflow 0
		.amdhsa_workgroup_processor_mode 1
		.amdhsa_memory_ordered 1
		.amdhsa_forward_progress 1
		.amdhsa_shared_vgpr_count 0
		.amdhsa_exception_fp_ieee_invalid_op 0
		.amdhsa_exception_fp_denorm_src 0
		.amdhsa_exception_fp_ieee_div_zero 0
		.amdhsa_exception_fp_ieee_overflow 0
		.amdhsa_exception_fp_ieee_underflow 0
		.amdhsa_exception_fp_ieee_inexact 0
		.amdhsa_exception_int_div_zero 0
	.end_amdhsa_kernel
	.section	.text._ZN7rocprim17ROCPRIM_400000_NS6detail17trampoline_kernelINS0_14default_configENS1_38merge_sort_block_merge_config_selectorIiNS0_10empty_typeEEEZZNS1_27merge_sort_block_merge_implIS3_N6thrust23THRUST_200600_302600_NS10device_ptrIiEEPS5_jNS1_19radix_merge_compareILb0ELb1EiNS0_19identity_decomposerEEEEE10hipError_tT0_T1_T2_jT3_P12ihipStream_tbPNSt15iterator_traitsISH_E10value_typeEPNSN_ISI_E10value_typeEPSJ_NS1_7vsmem_tEENKUlT_SH_SI_SJ_E_clISB_PiSC_SC_EESG_SW_SH_SI_SJ_EUlSW_E_NS1_11comp_targetILNS1_3genE4ELNS1_11target_archE910ELNS1_3gpuE8ELNS1_3repE0EEENS1_48merge_mergepath_partition_config_static_selectorELNS0_4arch9wavefront6targetE0EEEvSI_,"axG",@progbits,_ZN7rocprim17ROCPRIM_400000_NS6detail17trampoline_kernelINS0_14default_configENS1_38merge_sort_block_merge_config_selectorIiNS0_10empty_typeEEEZZNS1_27merge_sort_block_merge_implIS3_N6thrust23THRUST_200600_302600_NS10device_ptrIiEEPS5_jNS1_19radix_merge_compareILb0ELb1EiNS0_19identity_decomposerEEEEE10hipError_tT0_T1_T2_jT3_P12ihipStream_tbPNSt15iterator_traitsISH_E10value_typeEPNSN_ISI_E10value_typeEPSJ_NS1_7vsmem_tEENKUlT_SH_SI_SJ_E_clISB_PiSC_SC_EESG_SW_SH_SI_SJ_EUlSW_E_NS1_11comp_targetILNS1_3genE4ELNS1_11target_archE910ELNS1_3gpuE8ELNS1_3repE0EEENS1_48merge_mergepath_partition_config_static_selectorELNS0_4arch9wavefront6targetE0EEEvSI_,comdat
.Lfunc_end1196:
	.size	_ZN7rocprim17ROCPRIM_400000_NS6detail17trampoline_kernelINS0_14default_configENS1_38merge_sort_block_merge_config_selectorIiNS0_10empty_typeEEEZZNS1_27merge_sort_block_merge_implIS3_N6thrust23THRUST_200600_302600_NS10device_ptrIiEEPS5_jNS1_19radix_merge_compareILb0ELb1EiNS0_19identity_decomposerEEEEE10hipError_tT0_T1_T2_jT3_P12ihipStream_tbPNSt15iterator_traitsISH_E10value_typeEPNSN_ISI_E10value_typeEPSJ_NS1_7vsmem_tEENKUlT_SH_SI_SJ_E_clISB_PiSC_SC_EESG_SW_SH_SI_SJ_EUlSW_E_NS1_11comp_targetILNS1_3genE4ELNS1_11target_archE910ELNS1_3gpuE8ELNS1_3repE0EEENS1_48merge_mergepath_partition_config_static_selectorELNS0_4arch9wavefront6targetE0EEEvSI_, .Lfunc_end1196-_ZN7rocprim17ROCPRIM_400000_NS6detail17trampoline_kernelINS0_14default_configENS1_38merge_sort_block_merge_config_selectorIiNS0_10empty_typeEEEZZNS1_27merge_sort_block_merge_implIS3_N6thrust23THRUST_200600_302600_NS10device_ptrIiEEPS5_jNS1_19radix_merge_compareILb0ELb1EiNS0_19identity_decomposerEEEEE10hipError_tT0_T1_T2_jT3_P12ihipStream_tbPNSt15iterator_traitsISH_E10value_typeEPNSN_ISI_E10value_typeEPSJ_NS1_7vsmem_tEENKUlT_SH_SI_SJ_E_clISB_PiSC_SC_EESG_SW_SH_SI_SJ_EUlSW_E_NS1_11comp_targetILNS1_3genE4ELNS1_11target_archE910ELNS1_3gpuE8ELNS1_3repE0EEENS1_48merge_mergepath_partition_config_static_selectorELNS0_4arch9wavefront6targetE0EEEvSI_
                                        ; -- End function
	.set _ZN7rocprim17ROCPRIM_400000_NS6detail17trampoline_kernelINS0_14default_configENS1_38merge_sort_block_merge_config_selectorIiNS0_10empty_typeEEEZZNS1_27merge_sort_block_merge_implIS3_N6thrust23THRUST_200600_302600_NS10device_ptrIiEEPS5_jNS1_19radix_merge_compareILb0ELb1EiNS0_19identity_decomposerEEEEE10hipError_tT0_T1_T2_jT3_P12ihipStream_tbPNSt15iterator_traitsISH_E10value_typeEPNSN_ISI_E10value_typeEPSJ_NS1_7vsmem_tEENKUlT_SH_SI_SJ_E_clISB_PiSC_SC_EESG_SW_SH_SI_SJ_EUlSW_E_NS1_11comp_targetILNS1_3genE4ELNS1_11target_archE910ELNS1_3gpuE8ELNS1_3repE0EEENS1_48merge_mergepath_partition_config_static_selectorELNS0_4arch9wavefront6targetE0EEEvSI_.num_vgpr, 0
	.set _ZN7rocprim17ROCPRIM_400000_NS6detail17trampoline_kernelINS0_14default_configENS1_38merge_sort_block_merge_config_selectorIiNS0_10empty_typeEEEZZNS1_27merge_sort_block_merge_implIS3_N6thrust23THRUST_200600_302600_NS10device_ptrIiEEPS5_jNS1_19radix_merge_compareILb0ELb1EiNS0_19identity_decomposerEEEEE10hipError_tT0_T1_T2_jT3_P12ihipStream_tbPNSt15iterator_traitsISH_E10value_typeEPNSN_ISI_E10value_typeEPSJ_NS1_7vsmem_tEENKUlT_SH_SI_SJ_E_clISB_PiSC_SC_EESG_SW_SH_SI_SJ_EUlSW_E_NS1_11comp_targetILNS1_3genE4ELNS1_11target_archE910ELNS1_3gpuE8ELNS1_3repE0EEENS1_48merge_mergepath_partition_config_static_selectorELNS0_4arch9wavefront6targetE0EEEvSI_.num_agpr, 0
	.set _ZN7rocprim17ROCPRIM_400000_NS6detail17trampoline_kernelINS0_14default_configENS1_38merge_sort_block_merge_config_selectorIiNS0_10empty_typeEEEZZNS1_27merge_sort_block_merge_implIS3_N6thrust23THRUST_200600_302600_NS10device_ptrIiEEPS5_jNS1_19radix_merge_compareILb0ELb1EiNS0_19identity_decomposerEEEEE10hipError_tT0_T1_T2_jT3_P12ihipStream_tbPNSt15iterator_traitsISH_E10value_typeEPNSN_ISI_E10value_typeEPSJ_NS1_7vsmem_tEENKUlT_SH_SI_SJ_E_clISB_PiSC_SC_EESG_SW_SH_SI_SJ_EUlSW_E_NS1_11comp_targetILNS1_3genE4ELNS1_11target_archE910ELNS1_3gpuE8ELNS1_3repE0EEENS1_48merge_mergepath_partition_config_static_selectorELNS0_4arch9wavefront6targetE0EEEvSI_.numbered_sgpr, 0
	.set _ZN7rocprim17ROCPRIM_400000_NS6detail17trampoline_kernelINS0_14default_configENS1_38merge_sort_block_merge_config_selectorIiNS0_10empty_typeEEEZZNS1_27merge_sort_block_merge_implIS3_N6thrust23THRUST_200600_302600_NS10device_ptrIiEEPS5_jNS1_19radix_merge_compareILb0ELb1EiNS0_19identity_decomposerEEEEE10hipError_tT0_T1_T2_jT3_P12ihipStream_tbPNSt15iterator_traitsISH_E10value_typeEPNSN_ISI_E10value_typeEPSJ_NS1_7vsmem_tEENKUlT_SH_SI_SJ_E_clISB_PiSC_SC_EESG_SW_SH_SI_SJ_EUlSW_E_NS1_11comp_targetILNS1_3genE4ELNS1_11target_archE910ELNS1_3gpuE8ELNS1_3repE0EEENS1_48merge_mergepath_partition_config_static_selectorELNS0_4arch9wavefront6targetE0EEEvSI_.num_named_barrier, 0
	.set _ZN7rocprim17ROCPRIM_400000_NS6detail17trampoline_kernelINS0_14default_configENS1_38merge_sort_block_merge_config_selectorIiNS0_10empty_typeEEEZZNS1_27merge_sort_block_merge_implIS3_N6thrust23THRUST_200600_302600_NS10device_ptrIiEEPS5_jNS1_19radix_merge_compareILb0ELb1EiNS0_19identity_decomposerEEEEE10hipError_tT0_T1_T2_jT3_P12ihipStream_tbPNSt15iterator_traitsISH_E10value_typeEPNSN_ISI_E10value_typeEPSJ_NS1_7vsmem_tEENKUlT_SH_SI_SJ_E_clISB_PiSC_SC_EESG_SW_SH_SI_SJ_EUlSW_E_NS1_11comp_targetILNS1_3genE4ELNS1_11target_archE910ELNS1_3gpuE8ELNS1_3repE0EEENS1_48merge_mergepath_partition_config_static_selectorELNS0_4arch9wavefront6targetE0EEEvSI_.private_seg_size, 0
	.set _ZN7rocprim17ROCPRIM_400000_NS6detail17trampoline_kernelINS0_14default_configENS1_38merge_sort_block_merge_config_selectorIiNS0_10empty_typeEEEZZNS1_27merge_sort_block_merge_implIS3_N6thrust23THRUST_200600_302600_NS10device_ptrIiEEPS5_jNS1_19radix_merge_compareILb0ELb1EiNS0_19identity_decomposerEEEEE10hipError_tT0_T1_T2_jT3_P12ihipStream_tbPNSt15iterator_traitsISH_E10value_typeEPNSN_ISI_E10value_typeEPSJ_NS1_7vsmem_tEENKUlT_SH_SI_SJ_E_clISB_PiSC_SC_EESG_SW_SH_SI_SJ_EUlSW_E_NS1_11comp_targetILNS1_3genE4ELNS1_11target_archE910ELNS1_3gpuE8ELNS1_3repE0EEENS1_48merge_mergepath_partition_config_static_selectorELNS0_4arch9wavefront6targetE0EEEvSI_.uses_vcc, 0
	.set _ZN7rocprim17ROCPRIM_400000_NS6detail17trampoline_kernelINS0_14default_configENS1_38merge_sort_block_merge_config_selectorIiNS0_10empty_typeEEEZZNS1_27merge_sort_block_merge_implIS3_N6thrust23THRUST_200600_302600_NS10device_ptrIiEEPS5_jNS1_19radix_merge_compareILb0ELb1EiNS0_19identity_decomposerEEEEE10hipError_tT0_T1_T2_jT3_P12ihipStream_tbPNSt15iterator_traitsISH_E10value_typeEPNSN_ISI_E10value_typeEPSJ_NS1_7vsmem_tEENKUlT_SH_SI_SJ_E_clISB_PiSC_SC_EESG_SW_SH_SI_SJ_EUlSW_E_NS1_11comp_targetILNS1_3genE4ELNS1_11target_archE910ELNS1_3gpuE8ELNS1_3repE0EEENS1_48merge_mergepath_partition_config_static_selectorELNS0_4arch9wavefront6targetE0EEEvSI_.uses_flat_scratch, 0
	.set _ZN7rocprim17ROCPRIM_400000_NS6detail17trampoline_kernelINS0_14default_configENS1_38merge_sort_block_merge_config_selectorIiNS0_10empty_typeEEEZZNS1_27merge_sort_block_merge_implIS3_N6thrust23THRUST_200600_302600_NS10device_ptrIiEEPS5_jNS1_19radix_merge_compareILb0ELb1EiNS0_19identity_decomposerEEEEE10hipError_tT0_T1_T2_jT3_P12ihipStream_tbPNSt15iterator_traitsISH_E10value_typeEPNSN_ISI_E10value_typeEPSJ_NS1_7vsmem_tEENKUlT_SH_SI_SJ_E_clISB_PiSC_SC_EESG_SW_SH_SI_SJ_EUlSW_E_NS1_11comp_targetILNS1_3genE4ELNS1_11target_archE910ELNS1_3gpuE8ELNS1_3repE0EEENS1_48merge_mergepath_partition_config_static_selectorELNS0_4arch9wavefront6targetE0EEEvSI_.has_dyn_sized_stack, 0
	.set _ZN7rocprim17ROCPRIM_400000_NS6detail17trampoline_kernelINS0_14default_configENS1_38merge_sort_block_merge_config_selectorIiNS0_10empty_typeEEEZZNS1_27merge_sort_block_merge_implIS3_N6thrust23THRUST_200600_302600_NS10device_ptrIiEEPS5_jNS1_19radix_merge_compareILb0ELb1EiNS0_19identity_decomposerEEEEE10hipError_tT0_T1_T2_jT3_P12ihipStream_tbPNSt15iterator_traitsISH_E10value_typeEPNSN_ISI_E10value_typeEPSJ_NS1_7vsmem_tEENKUlT_SH_SI_SJ_E_clISB_PiSC_SC_EESG_SW_SH_SI_SJ_EUlSW_E_NS1_11comp_targetILNS1_3genE4ELNS1_11target_archE910ELNS1_3gpuE8ELNS1_3repE0EEENS1_48merge_mergepath_partition_config_static_selectorELNS0_4arch9wavefront6targetE0EEEvSI_.has_recursion, 0
	.set _ZN7rocprim17ROCPRIM_400000_NS6detail17trampoline_kernelINS0_14default_configENS1_38merge_sort_block_merge_config_selectorIiNS0_10empty_typeEEEZZNS1_27merge_sort_block_merge_implIS3_N6thrust23THRUST_200600_302600_NS10device_ptrIiEEPS5_jNS1_19radix_merge_compareILb0ELb1EiNS0_19identity_decomposerEEEEE10hipError_tT0_T1_T2_jT3_P12ihipStream_tbPNSt15iterator_traitsISH_E10value_typeEPNSN_ISI_E10value_typeEPSJ_NS1_7vsmem_tEENKUlT_SH_SI_SJ_E_clISB_PiSC_SC_EESG_SW_SH_SI_SJ_EUlSW_E_NS1_11comp_targetILNS1_3genE4ELNS1_11target_archE910ELNS1_3gpuE8ELNS1_3repE0EEENS1_48merge_mergepath_partition_config_static_selectorELNS0_4arch9wavefront6targetE0EEEvSI_.has_indirect_call, 0
	.section	.AMDGPU.csdata,"",@progbits
; Kernel info:
; codeLenInByte = 0
; TotalNumSgprs: 0
; NumVgprs: 0
; ScratchSize: 0
; MemoryBound: 0
; FloatMode: 240
; IeeeMode: 1
; LDSByteSize: 0 bytes/workgroup (compile time only)
; SGPRBlocks: 0
; VGPRBlocks: 0
; NumSGPRsForWavesPerEU: 1
; NumVGPRsForWavesPerEU: 1
; Occupancy: 16
; WaveLimiterHint : 0
; COMPUTE_PGM_RSRC2:SCRATCH_EN: 0
; COMPUTE_PGM_RSRC2:USER_SGPR: 6
; COMPUTE_PGM_RSRC2:TRAP_HANDLER: 0
; COMPUTE_PGM_RSRC2:TGID_X_EN: 1
; COMPUTE_PGM_RSRC2:TGID_Y_EN: 0
; COMPUTE_PGM_RSRC2:TGID_Z_EN: 0
; COMPUTE_PGM_RSRC2:TIDIG_COMP_CNT: 0
	.section	.text._ZN7rocprim17ROCPRIM_400000_NS6detail17trampoline_kernelINS0_14default_configENS1_38merge_sort_block_merge_config_selectorIiNS0_10empty_typeEEEZZNS1_27merge_sort_block_merge_implIS3_N6thrust23THRUST_200600_302600_NS10device_ptrIiEEPS5_jNS1_19radix_merge_compareILb0ELb1EiNS0_19identity_decomposerEEEEE10hipError_tT0_T1_T2_jT3_P12ihipStream_tbPNSt15iterator_traitsISH_E10value_typeEPNSN_ISI_E10value_typeEPSJ_NS1_7vsmem_tEENKUlT_SH_SI_SJ_E_clISB_PiSC_SC_EESG_SW_SH_SI_SJ_EUlSW_E_NS1_11comp_targetILNS1_3genE3ELNS1_11target_archE908ELNS1_3gpuE7ELNS1_3repE0EEENS1_48merge_mergepath_partition_config_static_selectorELNS0_4arch9wavefront6targetE0EEEvSI_,"axG",@progbits,_ZN7rocprim17ROCPRIM_400000_NS6detail17trampoline_kernelINS0_14default_configENS1_38merge_sort_block_merge_config_selectorIiNS0_10empty_typeEEEZZNS1_27merge_sort_block_merge_implIS3_N6thrust23THRUST_200600_302600_NS10device_ptrIiEEPS5_jNS1_19radix_merge_compareILb0ELb1EiNS0_19identity_decomposerEEEEE10hipError_tT0_T1_T2_jT3_P12ihipStream_tbPNSt15iterator_traitsISH_E10value_typeEPNSN_ISI_E10value_typeEPSJ_NS1_7vsmem_tEENKUlT_SH_SI_SJ_E_clISB_PiSC_SC_EESG_SW_SH_SI_SJ_EUlSW_E_NS1_11comp_targetILNS1_3genE3ELNS1_11target_archE908ELNS1_3gpuE7ELNS1_3repE0EEENS1_48merge_mergepath_partition_config_static_selectorELNS0_4arch9wavefront6targetE0EEEvSI_,comdat
	.protected	_ZN7rocprim17ROCPRIM_400000_NS6detail17trampoline_kernelINS0_14default_configENS1_38merge_sort_block_merge_config_selectorIiNS0_10empty_typeEEEZZNS1_27merge_sort_block_merge_implIS3_N6thrust23THRUST_200600_302600_NS10device_ptrIiEEPS5_jNS1_19radix_merge_compareILb0ELb1EiNS0_19identity_decomposerEEEEE10hipError_tT0_T1_T2_jT3_P12ihipStream_tbPNSt15iterator_traitsISH_E10value_typeEPNSN_ISI_E10value_typeEPSJ_NS1_7vsmem_tEENKUlT_SH_SI_SJ_E_clISB_PiSC_SC_EESG_SW_SH_SI_SJ_EUlSW_E_NS1_11comp_targetILNS1_3genE3ELNS1_11target_archE908ELNS1_3gpuE7ELNS1_3repE0EEENS1_48merge_mergepath_partition_config_static_selectorELNS0_4arch9wavefront6targetE0EEEvSI_ ; -- Begin function _ZN7rocprim17ROCPRIM_400000_NS6detail17trampoline_kernelINS0_14default_configENS1_38merge_sort_block_merge_config_selectorIiNS0_10empty_typeEEEZZNS1_27merge_sort_block_merge_implIS3_N6thrust23THRUST_200600_302600_NS10device_ptrIiEEPS5_jNS1_19radix_merge_compareILb0ELb1EiNS0_19identity_decomposerEEEEE10hipError_tT0_T1_T2_jT3_P12ihipStream_tbPNSt15iterator_traitsISH_E10value_typeEPNSN_ISI_E10value_typeEPSJ_NS1_7vsmem_tEENKUlT_SH_SI_SJ_E_clISB_PiSC_SC_EESG_SW_SH_SI_SJ_EUlSW_E_NS1_11comp_targetILNS1_3genE3ELNS1_11target_archE908ELNS1_3gpuE7ELNS1_3repE0EEENS1_48merge_mergepath_partition_config_static_selectorELNS0_4arch9wavefront6targetE0EEEvSI_
	.globl	_ZN7rocprim17ROCPRIM_400000_NS6detail17trampoline_kernelINS0_14default_configENS1_38merge_sort_block_merge_config_selectorIiNS0_10empty_typeEEEZZNS1_27merge_sort_block_merge_implIS3_N6thrust23THRUST_200600_302600_NS10device_ptrIiEEPS5_jNS1_19radix_merge_compareILb0ELb1EiNS0_19identity_decomposerEEEEE10hipError_tT0_T1_T2_jT3_P12ihipStream_tbPNSt15iterator_traitsISH_E10value_typeEPNSN_ISI_E10value_typeEPSJ_NS1_7vsmem_tEENKUlT_SH_SI_SJ_E_clISB_PiSC_SC_EESG_SW_SH_SI_SJ_EUlSW_E_NS1_11comp_targetILNS1_3genE3ELNS1_11target_archE908ELNS1_3gpuE7ELNS1_3repE0EEENS1_48merge_mergepath_partition_config_static_selectorELNS0_4arch9wavefront6targetE0EEEvSI_
	.p2align	8
	.type	_ZN7rocprim17ROCPRIM_400000_NS6detail17trampoline_kernelINS0_14default_configENS1_38merge_sort_block_merge_config_selectorIiNS0_10empty_typeEEEZZNS1_27merge_sort_block_merge_implIS3_N6thrust23THRUST_200600_302600_NS10device_ptrIiEEPS5_jNS1_19radix_merge_compareILb0ELb1EiNS0_19identity_decomposerEEEEE10hipError_tT0_T1_T2_jT3_P12ihipStream_tbPNSt15iterator_traitsISH_E10value_typeEPNSN_ISI_E10value_typeEPSJ_NS1_7vsmem_tEENKUlT_SH_SI_SJ_E_clISB_PiSC_SC_EESG_SW_SH_SI_SJ_EUlSW_E_NS1_11comp_targetILNS1_3genE3ELNS1_11target_archE908ELNS1_3gpuE7ELNS1_3repE0EEENS1_48merge_mergepath_partition_config_static_selectorELNS0_4arch9wavefront6targetE0EEEvSI_,@function
_ZN7rocprim17ROCPRIM_400000_NS6detail17trampoline_kernelINS0_14default_configENS1_38merge_sort_block_merge_config_selectorIiNS0_10empty_typeEEEZZNS1_27merge_sort_block_merge_implIS3_N6thrust23THRUST_200600_302600_NS10device_ptrIiEEPS5_jNS1_19radix_merge_compareILb0ELb1EiNS0_19identity_decomposerEEEEE10hipError_tT0_T1_T2_jT3_P12ihipStream_tbPNSt15iterator_traitsISH_E10value_typeEPNSN_ISI_E10value_typeEPSJ_NS1_7vsmem_tEENKUlT_SH_SI_SJ_E_clISB_PiSC_SC_EESG_SW_SH_SI_SJ_EUlSW_E_NS1_11comp_targetILNS1_3genE3ELNS1_11target_archE908ELNS1_3gpuE7ELNS1_3repE0EEENS1_48merge_mergepath_partition_config_static_selectorELNS0_4arch9wavefront6targetE0EEEvSI_: ; @_ZN7rocprim17ROCPRIM_400000_NS6detail17trampoline_kernelINS0_14default_configENS1_38merge_sort_block_merge_config_selectorIiNS0_10empty_typeEEEZZNS1_27merge_sort_block_merge_implIS3_N6thrust23THRUST_200600_302600_NS10device_ptrIiEEPS5_jNS1_19radix_merge_compareILb0ELb1EiNS0_19identity_decomposerEEEEE10hipError_tT0_T1_T2_jT3_P12ihipStream_tbPNSt15iterator_traitsISH_E10value_typeEPNSN_ISI_E10value_typeEPSJ_NS1_7vsmem_tEENKUlT_SH_SI_SJ_E_clISB_PiSC_SC_EESG_SW_SH_SI_SJ_EUlSW_E_NS1_11comp_targetILNS1_3genE3ELNS1_11target_archE908ELNS1_3gpuE7ELNS1_3repE0EEENS1_48merge_mergepath_partition_config_static_selectorELNS0_4arch9wavefront6targetE0EEEvSI_
; %bb.0:
	.section	.rodata,"a",@progbits
	.p2align	6, 0x0
	.amdhsa_kernel _ZN7rocprim17ROCPRIM_400000_NS6detail17trampoline_kernelINS0_14default_configENS1_38merge_sort_block_merge_config_selectorIiNS0_10empty_typeEEEZZNS1_27merge_sort_block_merge_implIS3_N6thrust23THRUST_200600_302600_NS10device_ptrIiEEPS5_jNS1_19radix_merge_compareILb0ELb1EiNS0_19identity_decomposerEEEEE10hipError_tT0_T1_T2_jT3_P12ihipStream_tbPNSt15iterator_traitsISH_E10value_typeEPNSN_ISI_E10value_typeEPSJ_NS1_7vsmem_tEENKUlT_SH_SI_SJ_E_clISB_PiSC_SC_EESG_SW_SH_SI_SJ_EUlSW_E_NS1_11comp_targetILNS1_3genE3ELNS1_11target_archE908ELNS1_3gpuE7ELNS1_3repE0EEENS1_48merge_mergepath_partition_config_static_selectorELNS0_4arch9wavefront6targetE0EEEvSI_
		.amdhsa_group_segment_fixed_size 0
		.amdhsa_private_segment_fixed_size 0
		.amdhsa_kernarg_size 40
		.amdhsa_user_sgpr_count 6
		.amdhsa_user_sgpr_private_segment_buffer 1
		.amdhsa_user_sgpr_dispatch_ptr 0
		.amdhsa_user_sgpr_queue_ptr 0
		.amdhsa_user_sgpr_kernarg_segment_ptr 1
		.amdhsa_user_sgpr_dispatch_id 0
		.amdhsa_user_sgpr_flat_scratch_init 0
		.amdhsa_user_sgpr_private_segment_size 0
		.amdhsa_wavefront_size32 1
		.amdhsa_uses_dynamic_stack 0
		.amdhsa_system_sgpr_private_segment_wavefront_offset 0
		.amdhsa_system_sgpr_workgroup_id_x 1
		.amdhsa_system_sgpr_workgroup_id_y 0
		.amdhsa_system_sgpr_workgroup_id_z 0
		.amdhsa_system_sgpr_workgroup_info 0
		.amdhsa_system_vgpr_workitem_id 0
		.amdhsa_next_free_vgpr 1
		.amdhsa_next_free_sgpr 1
		.amdhsa_reserve_vcc 0
		.amdhsa_reserve_flat_scratch 0
		.amdhsa_float_round_mode_32 0
		.amdhsa_float_round_mode_16_64 0
		.amdhsa_float_denorm_mode_32 3
		.amdhsa_float_denorm_mode_16_64 3
		.amdhsa_dx10_clamp 1
		.amdhsa_ieee_mode 1
		.amdhsa_fp16_overflow 0
		.amdhsa_workgroup_processor_mode 1
		.amdhsa_memory_ordered 1
		.amdhsa_forward_progress 1
		.amdhsa_shared_vgpr_count 0
		.amdhsa_exception_fp_ieee_invalid_op 0
		.amdhsa_exception_fp_denorm_src 0
		.amdhsa_exception_fp_ieee_div_zero 0
		.amdhsa_exception_fp_ieee_overflow 0
		.amdhsa_exception_fp_ieee_underflow 0
		.amdhsa_exception_fp_ieee_inexact 0
		.amdhsa_exception_int_div_zero 0
	.end_amdhsa_kernel
	.section	.text._ZN7rocprim17ROCPRIM_400000_NS6detail17trampoline_kernelINS0_14default_configENS1_38merge_sort_block_merge_config_selectorIiNS0_10empty_typeEEEZZNS1_27merge_sort_block_merge_implIS3_N6thrust23THRUST_200600_302600_NS10device_ptrIiEEPS5_jNS1_19radix_merge_compareILb0ELb1EiNS0_19identity_decomposerEEEEE10hipError_tT0_T1_T2_jT3_P12ihipStream_tbPNSt15iterator_traitsISH_E10value_typeEPNSN_ISI_E10value_typeEPSJ_NS1_7vsmem_tEENKUlT_SH_SI_SJ_E_clISB_PiSC_SC_EESG_SW_SH_SI_SJ_EUlSW_E_NS1_11comp_targetILNS1_3genE3ELNS1_11target_archE908ELNS1_3gpuE7ELNS1_3repE0EEENS1_48merge_mergepath_partition_config_static_selectorELNS0_4arch9wavefront6targetE0EEEvSI_,"axG",@progbits,_ZN7rocprim17ROCPRIM_400000_NS6detail17trampoline_kernelINS0_14default_configENS1_38merge_sort_block_merge_config_selectorIiNS0_10empty_typeEEEZZNS1_27merge_sort_block_merge_implIS3_N6thrust23THRUST_200600_302600_NS10device_ptrIiEEPS5_jNS1_19radix_merge_compareILb0ELb1EiNS0_19identity_decomposerEEEEE10hipError_tT0_T1_T2_jT3_P12ihipStream_tbPNSt15iterator_traitsISH_E10value_typeEPNSN_ISI_E10value_typeEPSJ_NS1_7vsmem_tEENKUlT_SH_SI_SJ_E_clISB_PiSC_SC_EESG_SW_SH_SI_SJ_EUlSW_E_NS1_11comp_targetILNS1_3genE3ELNS1_11target_archE908ELNS1_3gpuE7ELNS1_3repE0EEENS1_48merge_mergepath_partition_config_static_selectorELNS0_4arch9wavefront6targetE0EEEvSI_,comdat
.Lfunc_end1197:
	.size	_ZN7rocprim17ROCPRIM_400000_NS6detail17trampoline_kernelINS0_14default_configENS1_38merge_sort_block_merge_config_selectorIiNS0_10empty_typeEEEZZNS1_27merge_sort_block_merge_implIS3_N6thrust23THRUST_200600_302600_NS10device_ptrIiEEPS5_jNS1_19radix_merge_compareILb0ELb1EiNS0_19identity_decomposerEEEEE10hipError_tT0_T1_T2_jT3_P12ihipStream_tbPNSt15iterator_traitsISH_E10value_typeEPNSN_ISI_E10value_typeEPSJ_NS1_7vsmem_tEENKUlT_SH_SI_SJ_E_clISB_PiSC_SC_EESG_SW_SH_SI_SJ_EUlSW_E_NS1_11comp_targetILNS1_3genE3ELNS1_11target_archE908ELNS1_3gpuE7ELNS1_3repE0EEENS1_48merge_mergepath_partition_config_static_selectorELNS0_4arch9wavefront6targetE0EEEvSI_, .Lfunc_end1197-_ZN7rocprim17ROCPRIM_400000_NS6detail17trampoline_kernelINS0_14default_configENS1_38merge_sort_block_merge_config_selectorIiNS0_10empty_typeEEEZZNS1_27merge_sort_block_merge_implIS3_N6thrust23THRUST_200600_302600_NS10device_ptrIiEEPS5_jNS1_19radix_merge_compareILb0ELb1EiNS0_19identity_decomposerEEEEE10hipError_tT0_T1_T2_jT3_P12ihipStream_tbPNSt15iterator_traitsISH_E10value_typeEPNSN_ISI_E10value_typeEPSJ_NS1_7vsmem_tEENKUlT_SH_SI_SJ_E_clISB_PiSC_SC_EESG_SW_SH_SI_SJ_EUlSW_E_NS1_11comp_targetILNS1_3genE3ELNS1_11target_archE908ELNS1_3gpuE7ELNS1_3repE0EEENS1_48merge_mergepath_partition_config_static_selectorELNS0_4arch9wavefront6targetE0EEEvSI_
                                        ; -- End function
	.set _ZN7rocprim17ROCPRIM_400000_NS6detail17trampoline_kernelINS0_14default_configENS1_38merge_sort_block_merge_config_selectorIiNS0_10empty_typeEEEZZNS1_27merge_sort_block_merge_implIS3_N6thrust23THRUST_200600_302600_NS10device_ptrIiEEPS5_jNS1_19radix_merge_compareILb0ELb1EiNS0_19identity_decomposerEEEEE10hipError_tT0_T1_T2_jT3_P12ihipStream_tbPNSt15iterator_traitsISH_E10value_typeEPNSN_ISI_E10value_typeEPSJ_NS1_7vsmem_tEENKUlT_SH_SI_SJ_E_clISB_PiSC_SC_EESG_SW_SH_SI_SJ_EUlSW_E_NS1_11comp_targetILNS1_3genE3ELNS1_11target_archE908ELNS1_3gpuE7ELNS1_3repE0EEENS1_48merge_mergepath_partition_config_static_selectorELNS0_4arch9wavefront6targetE0EEEvSI_.num_vgpr, 0
	.set _ZN7rocprim17ROCPRIM_400000_NS6detail17trampoline_kernelINS0_14default_configENS1_38merge_sort_block_merge_config_selectorIiNS0_10empty_typeEEEZZNS1_27merge_sort_block_merge_implIS3_N6thrust23THRUST_200600_302600_NS10device_ptrIiEEPS5_jNS1_19radix_merge_compareILb0ELb1EiNS0_19identity_decomposerEEEEE10hipError_tT0_T1_T2_jT3_P12ihipStream_tbPNSt15iterator_traitsISH_E10value_typeEPNSN_ISI_E10value_typeEPSJ_NS1_7vsmem_tEENKUlT_SH_SI_SJ_E_clISB_PiSC_SC_EESG_SW_SH_SI_SJ_EUlSW_E_NS1_11comp_targetILNS1_3genE3ELNS1_11target_archE908ELNS1_3gpuE7ELNS1_3repE0EEENS1_48merge_mergepath_partition_config_static_selectorELNS0_4arch9wavefront6targetE0EEEvSI_.num_agpr, 0
	.set _ZN7rocprim17ROCPRIM_400000_NS6detail17trampoline_kernelINS0_14default_configENS1_38merge_sort_block_merge_config_selectorIiNS0_10empty_typeEEEZZNS1_27merge_sort_block_merge_implIS3_N6thrust23THRUST_200600_302600_NS10device_ptrIiEEPS5_jNS1_19radix_merge_compareILb0ELb1EiNS0_19identity_decomposerEEEEE10hipError_tT0_T1_T2_jT3_P12ihipStream_tbPNSt15iterator_traitsISH_E10value_typeEPNSN_ISI_E10value_typeEPSJ_NS1_7vsmem_tEENKUlT_SH_SI_SJ_E_clISB_PiSC_SC_EESG_SW_SH_SI_SJ_EUlSW_E_NS1_11comp_targetILNS1_3genE3ELNS1_11target_archE908ELNS1_3gpuE7ELNS1_3repE0EEENS1_48merge_mergepath_partition_config_static_selectorELNS0_4arch9wavefront6targetE0EEEvSI_.numbered_sgpr, 0
	.set _ZN7rocprim17ROCPRIM_400000_NS6detail17trampoline_kernelINS0_14default_configENS1_38merge_sort_block_merge_config_selectorIiNS0_10empty_typeEEEZZNS1_27merge_sort_block_merge_implIS3_N6thrust23THRUST_200600_302600_NS10device_ptrIiEEPS5_jNS1_19radix_merge_compareILb0ELb1EiNS0_19identity_decomposerEEEEE10hipError_tT0_T1_T2_jT3_P12ihipStream_tbPNSt15iterator_traitsISH_E10value_typeEPNSN_ISI_E10value_typeEPSJ_NS1_7vsmem_tEENKUlT_SH_SI_SJ_E_clISB_PiSC_SC_EESG_SW_SH_SI_SJ_EUlSW_E_NS1_11comp_targetILNS1_3genE3ELNS1_11target_archE908ELNS1_3gpuE7ELNS1_3repE0EEENS1_48merge_mergepath_partition_config_static_selectorELNS0_4arch9wavefront6targetE0EEEvSI_.num_named_barrier, 0
	.set _ZN7rocprim17ROCPRIM_400000_NS6detail17trampoline_kernelINS0_14default_configENS1_38merge_sort_block_merge_config_selectorIiNS0_10empty_typeEEEZZNS1_27merge_sort_block_merge_implIS3_N6thrust23THRUST_200600_302600_NS10device_ptrIiEEPS5_jNS1_19radix_merge_compareILb0ELb1EiNS0_19identity_decomposerEEEEE10hipError_tT0_T1_T2_jT3_P12ihipStream_tbPNSt15iterator_traitsISH_E10value_typeEPNSN_ISI_E10value_typeEPSJ_NS1_7vsmem_tEENKUlT_SH_SI_SJ_E_clISB_PiSC_SC_EESG_SW_SH_SI_SJ_EUlSW_E_NS1_11comp_targetILNS1_3genE3ELNS1_11target_archE908ELNS1_3gpuE7ELNS1_3repE0EEENS1_48merge_mergepath_partition_config_static_selectorELNS0_4arch9wavefront6targetE0EEEvSI_.private_seg_size, 0
	.set _ZN7rocprim17ROCPRIM_400000_NS6detail17trampoline_kernelINS0_14default_configENS1_38merge_sort_block_merge_config_selectorIiNS0_10empty_typeEEEZZNS1_27merge_sort_block_merge_implIS3_N6thrust23THRUST_200600_302600_NS10device_ptrIiEEPS5_jNS1_19radix_merge_compareILb0ELb1EiNS0_19identity_decomposerEEEEE10hipError_tT0_T1_T2_jT3_P12ihipStream_tbPNSt15iterator_traitsISH_E10value_typeEPNSN_ISI_E10value_typeEPSJ_NS1_7vsmem_tEENKUlT_SH_SI_SJ_E_clISB_PiSC_SC_EESG_SW_SH_SI_SJ_EUlSW_E_NS1_11comp_targetILNS1_3genE3ELNS1_11target_archE908ELNS1_3gpuE7ELNS1_3repE0EEENS1_48merge_mergepath_partition_config_static_selectorELNS0_4arch9wavefront6targetE0EEEvSI_.uses_vcc, 0
	.set _ZN7rocprim17ROCPRIM_400000_NS6detail17trampoline_kernelINS0_14default_configENS1_38merge_sort_block_merge_config_selectorIiNS0_10empty_typeEEEZZNS1_27merge_sort_block_merge_implIS3_N6thrust23THRUST_200600_302600_NS10device_ptrIiEEPS5_jNS1_19radix_merge_compareILb0ELb1EiNS0_19identity_decomposerEEEEE10hipError_tT0_T1_T2_jT3_P12ihipStream_tbPNSt15iterator_traitsISH_E10value_typeEPNSN_ISI_E10value_typeEPSJ_NS1_7vsmem_tEENKUlT_SH_SI_SJ_E_clISB_PiSC_SC_EESG_SW_SH_SI_SJ_EUlSW_E_NS1_11comp_targetILNS1_3genE3ELNS1_11target_archE908ELNS1_3gpuE7ELNS1_3repE0EEENS1_48merge_mergepath_partition_config_static_selectorELNS0_4arch9wavefront6targetE0EEEvSI_.uses_flat_scratch, 0
	.set _ZN7rocprim17ROCPRIM_400000_NS6detail17trampoline_kernelINS0_14default_configENS1_38merge_sort_block_merge_config_selectorIiNS0_10empty_typeEEEZZNS1_27merge_sort_block_merge_implIS3_N6thrust23THRUST_200600_302600_NS10device_ptrIiEEPS5_jNS1_19radix_merge_compareILb0ELb1EiNS0_19identity_decomposerEEEEE10hipError_tT0_T1_T2_jT3_P12ihipStream_tbPNSt15iterator_traitsISH_E10value_typeEPNSN_ISI_E10value_typeEPSJ_NS1_7vsmem_tEENKUlT_SH_SI_SJ_E_clISB_PiSC_SC_EESG_SW_SH_SI_SJ_EUlSW_E_NS1_11comp_targetILNS1_3genE3ELNS1_11target_archE908ELNS1_3gpuE7ELNS1_3repE0EEENS1_48merge_mergepath_partition_config_static_selectorELNS0_4arch9wavefront6targetE0EEEvSI_.has_dyn_sized_stack, 0
	.set _ZN7rocprim17ROCPRIM_400000_NS6detail17trampoline_kernelINS0_14default_configENS1_38merge_sort_block_merge_config_selectorIiNS0_10empty_typeEEEZZNS1_27merge_sort_block_merge_implIS3_N6thrust23THRUST_200600_302600_NS10device_ptrIiEEPS5_jNS1_19radix_merge_compareILb0ELb1EiNS0_19identity_decomposerEEEEE10hipError_tT0_T1_T2_jT3_P12ihipStream_tbPNSt15iterator_traitsISH_E10value_typeEPNSN_ISI_E10value_typeEPSJ_NS1_7vsmem_tEENKUlT_SH_SI_SJ_E_clISB_PiSC_SC_EESG_SW_SH_SI_SJ_EUlSW_E_NS1_11comp_targetILNS1_3genE3ELNS1_11target_archE908ELNS1_3gpuE7ELNS1_3repE0EEENS1_48merge_mergepath_partition_config_static_selectorELNS0_4arch9wavefront6targetE0EEEvSI_.has_recursion, 0
	.set _ZN7rocprim17ROCPRIM_400000_NS6detail17trampoline_kernelINS0_14default_configENS1_38merge_sort_block_merge_config_selectorIiNS0_10empty_typeEEEZZNS1_27merge_sort_block_merge_implIS3_N6thrust23THRUST_200600_302600_NS10device_ptrIiEEPS5_jNS1_19radix_merge_compareILb0ELb1EiNS0_19identity_decomposerEEEEE10hipError_tT0_T1_T2_jT3_P12ihipStream_tbPNSt15iterator_traitsISH_E10value_typeEPNSN_ISI_E10value_typeEPSJ_NS1_7vsmem_tEENKUlT_SH_SI_SJ_E_clISB_PiSC_SC_EESG_SW_SH_SI_SJ_EUlSW_E_NS1_11comp_targetILNS1_3genE3ELNS1_11target_archE908ELNS1_3gpuE7ELNS1_3repE0EEENS1_48merge_mergepath_partition_config_static_selectorELNS0_4arch9wavefront6targetE0EEEvSI_.has_indirect_call, 0
	.section	.AMDGPU.csdata,"",@progbits
; Kernel info:
; codeLenInByte = 0
; TotalNumSgprs: 0
; NumVgprs: 0
; ScratchSize: 0
; MemoryBound: 0
; FloatMode: 240
; IeeeMode: 1
; LDSByteSize: 0 bytes/workgroup (compile time only)
; SGPRBlocks: 0
; VGPRBlocks: 0
; NumSGPRsForWavesPerEU: 1
; NumVGPRsForWavesPerEU: 1
; Occupancy: 16
; WaveLimiterHint : 0
; COMPUTE_PGM_RSRC2:SCRATCH_EN: 0
; COMPUTE_PGM_RSRC2:USER_SGPR: 6
; COMPUTE_PGM_RSRC2:TRAP_HANDLER: 0
; COMPUTE_PGM_RSRC2:TGID_X_EN: 1
; COMPUTE_PGM_RSRC2:TGID_Y_EN: 0
; COMPUTE_PGM_RSRC2:TGID_Z_EN: 0
; COMPUTE_PGM_RSRC2:TIDIG_COMP_CNT: 0
	.section	.text._ZN7rocprim17ROCPRIM_400000_NS6detail17trampoline_kernelINS0_14default_configENS1_38merge_sort_block_merge_config_selectorIiNS0_10empty_typeEEEZZNS1_27merge_sort_block_merge_implIS3_N6thrust23THRUST_200600_302600_NS10device_ptrIiEEPS5_jNS1_19radix_merge_compareILb0ELb1EiNS0_19identity_decomposerEEEEE10hipError_tT0_T1_T2_jT3_P12ihipStream_tbPNSt15iterator_traitsISH_E10value_typeEPNSN_ISI_E10value_typeEPSJ_NS1_7vsmem_tEENKUlT_SH_SI_SJ_E_clISB_PiSC_SC_EESG_SW_SH_SI_SJ_EUlSW_E_NS1_11comp_targetILNS1_3genE2ELNS1_11target_archE906ELNS1_3gpuE6ELNS1_3repE0EEENS1_48merge_mergepath_partition_config_static_selectorELNS0_4arch9wavefront6targetE0EEEvSI_,"axG",@progbits,_ZN7rocprim17ROCPRIM_400000_NS6detail17trampoline_kernelINS0_14default_configENS1_38merge_sort_block_merge_config_selectorIiNS0_10empty_typeEEEZZNS1_27merge_sort_block_merge_implIS3_N6thrust23THRUST_200600_302600_NS10device_ptrIiEEPS5_jNS1_19radix_merge_compareILb0ELb1EiNS0_19identity_decomposerEEEEE10hipError_tT0_T1_T2_jT3_P12ihipStream_tbPNSt15iterator_traitsISH_E10value_typeEPNSN_ISI_E10value_typeEPSJ_NS1_7vsmem_tEENKUlT_SH_SI_SJ_E_clISB_PiSC_SC_EESG_SW_SH_SI_SJ_EUlSW_E_NS1_11comp_targetILNS1_3genE2ELNS1_11target_archE906ELNS1_3gpuE6ELNS1_3repE0EEENS1_48merge_mergepath_partition_config_static_selectorELNS0_4arch9wavefront6targetE0EEEvSI_,comdat
	.protected	_ZN7rocprim17ROCPRIM_400000_NS6detail17trampoline_kernelINS0_14default_configENS1_38merge_sort_block_merge_config_selectorIiNS0_10empty_typeEEEZZNS1_27merge_sort_block_merge_implIS3_N6thrust23THRUST_200600_302600_NS10device_ptrIiEEPS5_jNS1_19radix_merge_compareILb0ELb1EiNS0_19identity_decomposerEEEEE10hipError_tT0_T1_T2_jT3_P12ihipStream_tbPNSt15iterator_traitsISH_E10value_typeEPNSN_ISI_E10value_typeEPSJ_NS1_7vsmem_tEENKUlT_SH_SI_SJ_E_clISB_PiSC_SC_EESG_SW_SH_SI_SJ_EUlSW_E_NS1_11comp_targetILNS1_3genE2ELNS1_11target_archE906ELNS1_3gpuE6ELNS1_3repE0EEENS1_48merge_mergepath_partition_config_static_selectorELNS0_4arch9wavefront6targetE0EEEvSI_ ; -- Begin function _ZN7rocprim17ROCPRIM_400000_NS6detail17trampoline_kernelINS0_14default_configENS1_38merge_sort_block_merge_config_selectorIiNS0_10empty_typeEEEZZNS1_27merge_sort_block_merge_implIS3_N6thrust23THRUST_200600_302600_NS10device_ptrIiEEPS5_jNS1_19radix_merge_compareILb0ELb1EiNS0_19identity_decomposerEEEEE10hipError_tT0_T1_T2_jT3_P12ihipStream_tbPNSt15iterator_traitsISH_E10value_typeEPNSN_ISI_E10value_typeEPSJ_NS1_7vsmem_tEENKUlT_SH_SI_SJ_E_clISB_PiSC_SC_EESG_SW_SH_SI_SJ_EUlSW_E_NS1_11comp_targetILNS1_3genE2ELNS1_11target_archE906ELNS1_3gpuE6ELNS1_3repE0EEENS1_48merge_mergepath_partition_config_static_selectorELNS0_4arch9wavefront6targetE0EEEvSI_
	.globl	_ZN7rocprim17ROCPRIM_400000_NS6detail17trampoline_kernelINS0_14default_configENS1_38merge_sort_block_merge_config_selectorIiNS0_10empty_typeEEEZZNS1_27merge_sort_block_merge_implIS3_N6thrust23THRUST_200600_302600_NS10device_ptrIiEEPS5_jNS1_19radix_merge_compareILb0ELb1EiNS0_19identity_decomposerEEEEE10hipError_tT0_T1_T2_jT3_P12ihipStream_tbPNSt15iterator_traitsISH_E10value_typeEPNSN_ISI_E10value_typeEPSJ_NS1_7vsmem_tEENKUlT_SH_SI_SJ_E_clISB_PiSC_SC_EESG_SW_SH_SI_SJ_EUlSW_E_NS1_11comp_targetILNS1_3genE2ELNS1_11target_archE906ELNS1_3gpuE6ELNS1_3repE0EEENS1_48merge_mergepath_partition_config_static_selectorELNS0_4arch9wavefront6targetE0EEEvSI_
	.p2align	8
	.type	_ZN7rocprim17ROCPRIM_400000_NS6detail17trampoline_kernelINS0_14default_configENS1_38merge_sort_block_merge_config_selectorIiNS0_10empty_typeEEEZZNS1_27merge_sort_block_merge_implIS3_N6thrust23THRUST_200600_302600_NS10device_ptrIiEEPS5_jNS1_19radix_merge_compareILb0ELb1EiNS0_19identity_decomposerEEEEE10hipError_tT0_T1_T2_jT3_P12ihipStream_tbPNSt15iterator_traitsISH_E10value_typeEPNSN_ISI_E10value_typeEPSJ_NS1_7vsmem_tEENKUlT_SH_SI_SJ_E_clISB_PiSC_SC_EESG_SW_SH_SI_SJ_EUlSW_E_NS1_11comp_targetILNS1_3genE2ELNS1_11target_archE906ELNS1_3gpuE6ELNS1_3repE0EEENS1_48merge_mergepath_partition_config_static_selectorELNS0_4arch9wavefront6targetE0EEEvSI_,@function
_ZN7rocprim17ROCPRIM_400000_NS6detail17trampoline_kernelINS0_14default_configENS1_38merge_sort_block_merge_config_selectorIiNS0_10empty_typeEEEZZNS1_27merge_sort_block_merge_implIS3_N6thrust23THRUST_200600_302600_NS10device_ptrIiEEPS5_jNS1_19radix_merge_compareILb0ELb1EiNS0_19identity_decomposerEEEEE10hipError_tT0_T1_T2_jT3_P12ihipStream_tbPNSt15iterator_traitsISH_E10value_typeEPNSN_ISI_E10value_typeEPSJ_NS1_7vsmem_tEENKUlT_SH_SI_SJ_E_clISB_PiSC_SC_EESG_SW_SH_SI_SJ_EUlSW_E_NS1_11comp_targetILNS1_3genE2ELNS1_11target_archE906ELNS1_3gpuE6ELNS1_3repE0EEENS1_48merge_mergepath_partition_config_static_selectorELNS0_4arch9wavefront6targetE0EEEvSI_: ; @_ZN7rocprim17ROCPRIM_400000_NS6detail17trampoline_kernelINS0_14default_configENS1_38merge_sort_block_merge_config_selectorIiNS0_10empty_typeEEEZZNS1_27merge_sort_block_merge_implIS3_N6thrust23THRUST_200600_302600_NS10device_ptrIiEEPS5_jNS1_19radix_merge_compareILb0ELb1EiNS0_19identity_decomposerEEEEE10hipError_tT0_T1_T2_jT3_P12ihipStream_tbPNSt15iterator_traitsISH_E10value_typeEPNSN_ISI_E10value_typeEPSJ_NS1_7vsmem_tEENKUlT_SH_SI_SJ_E_clISB_PiSC_SC_EESG_SW_SH_SI_SJ_EUlSW_E_NS1_11comp_targetILNS1_3genE2ELNS1_11target_archE906ELNS1_3gpuE6ELNS1_3repE0EEENS1_48merge_mergepath_partition_config_static_selectorELNS0_4arch9wavefront6targetE0EEEvSI_
; %bb.0:
	.section	.rodata,"a",@progbits
	.p2align	6, 0x0
	.amdhsa_kernel _ZN7rocprim17ROCPRIM_400000_NS6detail17trampoline_kernelINS0_14default_configENS1_38merge_sort_block_merge_config_selectorIiNS0_10empty_typeEEEZZNS1_27merge_sort_block_merge_implIS3_N6thrust23THRUST_200600_302600_NS10device_ptrIiEEPS5_jNS1_19radix_merge_compareILb0ELb1EiNS0_19identity_decomposerEEEEE10hipError_tT0_T1_T2_jT3_P12ihipStream_tbPNSt15iterator_traitsISH_E10value_typeEPNSN_ISI_E10value_typeEPSJ_NS1_7vsmem_tEENKUlT_SH_SI_SJ_E_clISB_PiSC_SC_EESG_SW_SH_SI_SJ_EUlSW_E_NS1_11comp_targetILNS1_3genE2ELNS1_11target_archE906ELNS1_3gpuE6ELNS1_3repE0EEENS1_48merge_mergepath_partition_config_static_selectorELNS0_4arch9wavefront6targetE0EEEvSI_
		.amdhsa_group_segment_fixed_size 0
		.amdhsa_private_segment_fixed_size 0
		.amdhsa_kernarg_size 40
		.amdhsa_user_sgpr_count 6
		.amdhsa_user_sgpr_private_segment_buffer 1
		.amdhsa_user_sgpr_dispatch_ptr 0
		.amdhsa_user_sgpr_queue_ptr 0
		.amdhsa_user_sgpr_kernarg_segment_ptr 1
		.amdhsa_user_sgpr_dispatch_id 0
		.amdhsa_user_sgpr_flat_scratch_init 0
		.amdhsa_user_sgpr_private_segment_size 0
		.amdhsa_wavefront_size32 1
		.amdhsa_uses_dynamic_stack 0
		.amdhsa_system_sgpr_private_segment_wavefront_offset 0
		.amdhsa_system_sgpr_workgroup_id_x 1
		.amdhsa_system_sgpr_workgroup_id_y 0
		.amdhsa_system_sgpr_workgroup_id_z 0
		.amdhsa_system_sgpr_workgroup_info 0
		.amdhsa_system_vgpr_workitem_id 0
		.amdhsa_next_free_vgpr 1
		.amdhsa_next_free_sgpr 1
		.amdhsa_reserve_vcc 0
		.amdhsa_reserve_flat_scratch 0
		.amdhsa_float_round_mode_32 0
		.amdhsa_float_round_mode_16_64 0
		.amdhsa_float_denorm_mode_32 3
		.amdhsa_float_denorm_mode_16_64 3
		.amdhsa_dx10_clamp 1
		.amdhsa_ieee_mode 1
		.amdhsa_fp16_overflow 0
		.amdhsa_workgroup_processor_mode 1
		.amdhsa_memory_ordered 1
		.amdhsa_forward_progress 1
		.amdhsa_shared_vgpr_count 0
		.amdhsa_exception_fp_ieee_invalid_op 0
		.amdhsa_exception_fp_denorm_src 0
		.amdhsa_exception_fp_ieee_div_zero 0
		.amdhsa_exception_fp_ieee_overflow 0
		.amdhsa_exception_fp_ieee_underflow 0
		.amdhsa_exception_fp_ieee_inexact 0
		.amdhsa_exception_int_div_zero 0
	.end_amdhsa_kernel
	.section	.text._ZN7rocprim17ROCPRIM_400000_NS6detail17trampoline_kernelINS0_14default_configENS1_38merge_sort_block_merge_config_selectorIiNS0_10empty_typeEEEZZNS1_27merge_sort_block_merge_implIS3_N6thrust23THRUST_200600_302600_NS10device_ptrIiEEPS5_jNS1_19radix_merge_compareILb0ELb1EiNS0_19identity_decomposerEEEEE10hipError_tT0_T1_T2_jT3_P12ihipStream_tbPNSt15iterator_traitsISH_E10value_typeEPNSN_ISI_E10value_typeEPSJ_NS1_7vsmem_tEENKUlT_SH_SI_SJ_E_clISB_PiSC_SC_EESG_SW_SH_SI_SJ_EUlSW_E_NS1_11comp_targetILNS1_3genE2ELNS1_11target_archE906ELNS1_3gpuE6ELNS1_3repE0EEENS1_48merge_mergepath_partition_config_static_selectorELNS0_4arch9wavefront6targetE0EEEvSI_,"axG",@progbits,_ZN7rocprim17ROCPRIM_400000_NS6detail17trampoline_kernelINS0_14default_configENS1_38merge_sort_block_merge_config_selectorIiNS0_10empty_typeEEEZZNS1_27merge_sort_block_merge_implIS3_N6thrust23THRUST_200600_302600_NS10device_ptrIiEEPS5_jNS1_19radix_merge_compareILb0ELb1EiNS0_19identity_decomposerEEEEE10hipError_tT0_T1_T2_jT3_P12ihipStream_tbPNSt15iterator_traitsISH_E10value_typeEPNSN_ISI_E10value_typeEPSJ_NS1_7vsmem_tEENKUlT_SH_SI_SJ_E_clISB_PiSC_SC_EESG_SW_SH_SI_SJ_EUlSW_E_NS1_11comp_targetILNS1_3genE2ELNS1_11target_archE906ELNS1_3gpuE6ELNS1_3repE0EEENS1_48merge_mergepath_partition_config_static_selectorELNS0_4arch9wavefront6targetE0EEEvSI_,comdat
.Lfunc_end1198:
	.size	_ZN7rocprim17ROCPRIM_400000_NS6detail17trampoline_kernelINS0_14default_configENS1_38merge_sort_block_merge_config_selectorIiNS0_10empty_typeEEEZZNS1_27merge_sort_block_merge_implIS3_N6thrust23THRUST_200600_302600_NS10device_ptrIiEEPS5_jNS1_19radix_merge_compareILb0ELb1EiNS0_19identity_decomposerEEEEE10hipError_tT0_T1_T2_jT3_P12ihipStream_tbPNSt15iterator_traitsISH_E10value_typeEPNSN_ISI_E10value_typeEPSJ_NS1_7vsmem_tEENKUlT_SH_SI_SJ_E_clISB_PiSC_SC_EESG_SW_SH_SI_SJ_EUlSW_E_NS1_11comp_targetILNS1_3genE2ELNS1_11target_archE906ELNS1_3gpuE6ELNS1_3repE0EEENS1_48merge_mergepath_partition_config_static_selectorELNS0_4arch9wavefront6targetE0EEEvSI_, .Lfunc_end1198-_ZN7rocprim17ROCPRIM_400000_NS6detail17trampoline_kernelINS0_14default_configENS1_38merge_sort_block_merge_config_selectorIiNS0_10empty_typeEEEZZNS1_27merge_sort_block_merge_implIS3_N6thrust23THRUST_200600_302600_NS10device_ptrIiEEPS5_jNS1_19radix_merge_compareILb0ELb1EiNS0_19identity_decomposerEEEEE10hipError_tT0_T1_T2_jT3_P12ihipStream_tbPNSt15iterator_traitsISH_E10value_typeEPNSN_ISI_E10value_typeEPSJ_NS1_7vsmem_tEENKUlT_SH_SI_SJ_E_clISB_PiSC_SC_EESG_SW_SH_SI_SJ_EUlSW_E_NS1_11comp_targetILNS1_3genE2ELNS1_11target_archE906ELNS1_3gpuE6ELNS1_3repE0EEENS1_48merge_mergepath_partition_config_static_selectorELNS0_4arch9wavefront6targetE0EEEvSI_
                                        ; -- End function
	.set _ZN7rocprim17ROCPRIM_400000_NS6detail17trampoline_kernelINS0_14default_configENS1_38merge_sort_block_merge_config_selectorIiNS0_10empty_typeEEEZZNS1_27merge_sort_block_merge_implIS3_N6thrust23THRUST_200600_302600_NS10device_ptrIiEEPS5_jNS1_19radix_merge_compareILb0ELb1EiNS0_19identity_decomposerEEEEE10hipError_tT0_T1_T2_jT3_P12ihipStream_tbPNSt15iterator_traitsISH_E10value_typeEPNSN_ISI_E10value_typeEPSJ_NS1_7vsmem_tEENKUlT_SH_SI_SJ_E_clISB_PiSC_SC_EESG_SW_SH_SI_SJ_EUlSW_E_NS1_11comp_targetILNS1_3genE2ELNS1_11target_archE906ELNS1_3gpuE6ELNS1_3repE0EEENS1_48merge_mergepath_partition_config_static_selectorELNS0_4arch9wavefront6targetE0EEEvSI_.num_vgpr, 0
	.set _ZN7rocprim17ROCPRIM_400000_NS6detail17trampoline_kernelINS0_14default_configENS1_38merge_sort_block_merge_config_selectorIiNS0_10empty_typeEEEZZNS1_27merge_sort_block_merge_implIS3_N6thrust23THRUST_200600_302600_NS10device_ptrIiEEPS5_jNS1_19radix_merge_compareILb0ELb1EiNS0_19identity_decomposerEEEEE10hipError_tT0_T1_T2_jT3_P12ihipStream_tbPNSt15iterator_traitsISH_E10value_typeEPNSN_ISI_E10value_typeEPSJ_NS1_7vsmem_tEENKUlT_SH_SI_SJ_E_clISB_PiSC_SC_EESG_SW_SH_SI_SJ_EUlSW_E_NS1_11comp_targetILNS1_3genE2ELNS1_11target_archE906ELNS1_3gpuE6ELNS1_3repE0EEENS1_48merge_mergepath_partition_config_static_selectorELNS0_4arch9wavefront6targetE0EEEvSI_.num_agpr, 0
	.set _ZN7rocprim17ROCPRIM_400000_NS6detail17trampoline_kernelINS0_14default_configENS1_38merge_sort_block_merge_config_selectorIiNS0_10empty_typeEEEZZNS1_27merge_sort_block_merge_implIS3_N6thrust23THRUST_200600_302600_NS10device_ptrIiEEPS5_jNS1_19radix_merge_compareILb0ELb1EiNS0_19identity_decomposerEEEEE10hipError_tT0_T1_T2_jT3_P12ihipStream_tbPNSt15iterator_traitsISH_E10value_typeEPNSN_ISI_E10value_typeEPSJ_NS1_7vsmem_tEENKUlT_SH_SI_SJ_E_clISB_PiSC_SC_EESG_SW_SH_SI_SJ_EUlSW_E_NS1_11comp_targetILNS1_3genE2ELNS1_11target_archE906ELNS1_3gpuE6ELNS1_3repE0EEENS1_48merge_mergepath_partition_config_static_selectorELNS0_4arch9wavefront6targetE0EEEvSI_.numbered_sgpr, 0
	.set _ZN7rocprim17ROCPRIM_400000_NS6detail17trampoline_kernelINS0_14default_configENS1_38merge_sort_block_merge_config_selectorIiNS0_10empty_typeEEEZZNS1_27merge_sort_block_merge_implIS3_N6thrust23THRUST_200600_302600_NS10device_ptrIiEEPS5_jNS1_19radix_merge_compareILb0ELb1EiNS0_19identity_decomposerEEEEE10hipError_tT0_T1_T2_jT3_P12ihipStream_tbPNSt15iterator_traitsISH_E10value_typeEPNSN_ISI_E10value_typeEPSJ_NS1_7vsmem_tEENKUlT_SH_SI_SJ_E_clISB_PiSC_SC_EESG_SW_SH_SI_SJ_EUlSW_E_NS1_11comp_targetILNS1_3genE2ELNS1_11target_archE906ELNS1_3gpuE6ELNS1_3repE0EEENS1_48merge_mergepath_partition_config_static_selectorELNS0_4arch9wavefront6targetE0EEEvSI_.num_named_barrier, 0
	.set _ZN7rocprim17ROCPRIM_400000_NS6detail17trampoline_kernelINS0_14default_configENS1_38merge_sort_block_merge_config_selectorIiNS0_10empty_typeEEEZZNS1_27merge_sort_block_merge_implIS3_N6thrust23THRUST_200600_302600_NS10device_ptrIiEEPS5_jNS1_19radix_merge_compareILb0ELb1EiNS0_19identity_decomposerEEEEE10hipError_tT0_T1_T2_jT3_P12ihipStream_tbPNSt15iterator_traitsISH_E10value_typeEPNSN_ISI_E10value_typeEPSJ_NS1_7vsmem_tEENKUlT_SH_SI_SJ_E_clISB_PiSC_SC_EESG_SW_SH_SI_SJ_EUlSW_E_NS1_11comp_targetILNS1_3genE2ELNS1_11target_archE906ELNS1_3gpuE6ELNS1_3repE0EEENS1_48merge_mergepath_partition_config_static_selectorELNS0_4arch9wavefront6targetE0EEEvSI_.private_seg_size, 0
	.set _ZN7rocprim17ROCPRIM_400000_NS6detail17trampoline_kernelINS0_14default_configENS1_38merge_sort_block_merge_config_selectorIiNS0_10empty_typeEEEZZNS1_27merge_sort_block_merge_implIS3_N6thrust23THRUST_200600_302600_NS10device_ptrIiEEPS5_jNS1_19radix_merge_compareILb0ELb1EiNS0_19identity_decomposerEEEEE10hipError_tT0_T1_T2_jT3_P12ihipStream_tbPNSt15iterator_traitsISH_E10value_typeEPNSN_ISI_E10value_typeEPSJ_NS1_7vsmem_tEENKUlT_SH_SI_SJ_E_clISB_PiSC_SC_EESG_SW_SH_SI_SJ_EUlSW_E_NS1_11comp_targetILNS1_3genE2ELNS1_11target_archE906ELNS1_3gpuE6ELNS1_3repE0EEENS1_48merge_mergepath_partition_config_static_selectorELNS0_4arch9wavefront6targetE0EEEvSI_.uses_vcc, 0
	.set _ZN7rocprim17ROCPRIM_400000_NS6detail17trampoline_kernelINS0_14default_configENS1_38merge_sort_block_merge_config_selectorIiNS0_10empty_typeEEEZZNS1_27merge_sort_block_merge_implIS3_N6thrust23THRUST_200600_302600_NS10device_ptrIiEEPS5_jNS1_19radix_merge_compareILb0ELb1EiNS0_19identity_decomposerEEEEE10hipError_tT0_T1_T2_jT3_P12ihipStream_tbPNSt15iterator_traitsISH_E10value_typeEPNSN_ISI_E10value_typeEPSJ_NS1_7vsmem_tEENKUlT_SH_SI_SJ_E_clISB_PiSC_SC_EESG_SW_SH_SI_SJ_EUlSW_E_NS1_11comp_targetILNS1_3genE2ELNS1_11target_archE906ELNS1_3gpuE6ELNS1_3repE0EEENS1_48merge_mergepath_partition_config_static_selectorELNS0_4arch9wavefront6targetE0EEEvSI_.uses_flat_scratch, 0
	.set _ZN7rocprim17ROCPRIM_400000_NS6detail17trampoline_kernelINS0_14default_configENS1_38merge_sort_block_merge_config_selectorIiNS0_10empty_typeEEEZZNS1_27merge_sort_block_merge_implIS3_N6thrust23THRUST_200600_302600_NS10device_ptrIiEEPS5_jNS1_19radix_merge_compareILb0ELb1EiNS0_19identity_decomposerEEEEE10hipError_tT0_T1_T2_jT3_P12ihipStream_tbPNSt15iterator_traitsISH_E10value_typeEPNSN_ISI_E10value_typeEPSJ_NS1_7vsmem_tEENKUlT_SH_SI_SJ_E_clISB_PiSC_SC_EESG_SW_SH_SI_SJ_EUlSW_E_NS1_11comp_targetILNS1_3genE2ELNS1_11target_archE906ELNS1_3gpuE6ELNS1_3repE0EEENS1_48merge_mergepath_partition_config_static_selectorELNS0_4arch9wavefront6targetE0EEEvSI_.has_dyn_sized_stack, 0
	.set _ZN7rocprim17ROCPRIM_400000_NS6detail17trampoline_kernelINS0_14default_configENS1_38merge_sort_block_merge_config_selectorIiNS0_10empty_typeEEEZZNS1_27merge_sort_block_merge_implIS3_N6thrust23THRUST_200600_302600_NS10device_ptrIiEEPS5_jNS1_19radix_merge_compareILb0ELb1EiNS0_19identity_decomposerEEEEE10hipError_tT0_T1_T2_jT3_P12ihipStream_tbPNSt15iterator_traitsISH_E10value_typeEPNSN_ISI_E10value_typeEPSJ_NS1_7vsmem_tEENKUlT_SH_SI_SJ_E_clISB_PiSC_SC_EESG_SW_SH_SI_SJ_EUlSW_E_NS1_11comp_targetILNS1_3genE2ELNS1_11target_archE906ELNS1_3gpuE6ELNS1_3repE0EEENS1_48merge_mergepath_partition_config_static_selectorELNS0_4arch9wavefront6targetE0EEEvSI_.has_recursion, 0
	.set _ZN7rocprim17ROCPRIM_400000_NS6detail17trampoline_kernelINS0_14default_configENS1_38merge_sort_block_merge_config_selectorIiNS0_10empty_typeEEEZZNS1_27merge_sort_block_merge_implIS3_N6thrust23THRUST_200600_302600_NS10device_ptrIiEEPS5_jNS1_19radix_merge_compareILb0ELb1EiNS0_19identity_decomposerEEEEE10hipError_tT0_T1_T2_jT3_P12ihipStream_tbPNSt15iterator_traitsISH_E10value_typeEPNSN_ISI_E10value_typeEPSJ_NS1_7vsmem_tEENKUlT_SH_SI_SJ_E_clISB_PiSC_SC_EESG_SW_SH_SI_SJ_EUlSW_E_NS1_11comp_targetILNS1_3genE2ELNS1_11target_archE906ELNS1_3gpuE6ELNS1_3repE0EEENS1_48merge_mergepath_partition_config_static_selectorELNS0_4arch9wavefront6targetE0EEEvSI_.has_indirect_call, 0
	.section	.AMDGPU.csdata,"",@progbits
; Kernel info:
; codeLenInByte = 0
; TotalNumSgprs: 0
; NumVgprs: 0
; ScratchSize: 0
; MemoryBound: 0
; FloatMode: 240
; IeeeMode: 1
; LDSByteSize: 0 bytes/workgroup (compile time only)
; SGPRBlocks: 0
; VGPRBlocks: 0
; NumSGPRsForWavesPerEU: 1
; NumVGPRsForWavesPerEU: 1
; Occupancy: 16
; WaveLimiterHint : 0
; COMPUTE_PGM_RSRC2:SCRATCH_EN: 0
; COMPUTE_PGM_RSRC2:USER_SGPR: 6
; COMPUTE_PGM_RSRC2:TRAP_HANDLER: 0
; COMPUTE_PGM_RSRC2:TGID_X_EN: 1
; COMPUTE_PGM_RSRC2:TGID_Y_EN: 0
; COMPUTE_PGM_RSRC2:TGID_Z_EN: 0
; COMPUTE_PGM_RSRC2:TIDIG_COMP_CNT: 0
	.section	.text._ZN7rocprim17ROCPRIM_400000_NS6detail17trampoline_kernelINS0_14default_configENS1_38merge_sort_block_merge_config_selectorIiNS0_10empty_typeEEEZZNS1_27merge_sort_block_merge_implIS3_N6thrust23THRUST_200600_302600_NS10device_ptrIiEEPS5_jNS1_19radix_merge_compareILb0ELb1EiNS0_19identity_decomposerEEEEE10hipError_tT0_T1_T2_jT3_P12ihipStream_tbPNSt15iterator_traitsISH_E10value_typeEPNSN_ISI_E10value_typeEPSJ_NS1_7vsmem_tEENKUlT_SH_SI_SJ_E_clISB_PiSC_SC_EESG_SW_SH_SI_SJ_EUlSW_E_NS1_11comp_targetILNS1_3genE9ELNS1_11target_archE1100ELNS1_3gpuE3ELNS1_3repE0EEENS1_48merge_mergepath_partition_config_static_selectorELNS0_4arch9wavefront6targetE0EEEvSI_,"axG",@progbits,_ZN7rocprim17ROCPRIM_400000_NS6detail17trampoline_kernelINS0_14default_configENS1_38merge_sort_block_merge_config_selectorIiNS0_10empty_typeEEEZZNS1_27merge_sort_block_merge_implIS3_N6thrust23THRUST_200600_302600_NS10device_ptrIiEEPS5_jNS1_19radix_merge_compareILb0ELb1EiNS0_19identity_decomposerEEEEE10hipError_tT0_T1_T2_jT3_P12ihipStream_tbPNSt15iterator_traitsISH_E10value_typeEPNSN_ISI_E10value_typeEPSJ_NS1_7vsmem_tEENKUlT_SH_SI_SJ_E_clISB_PiSC_SC_EESG_SW_SH_SI_SJ_EUlSW_E_NS1_11comp_targetILNS1_3genE9ELNS1_11target_archE1100ELNS1_3gpuE3ELNS1_3repE0EEENS1_48merge_mergepath_partition_config_static_selectorELNS0_4arch9wavefront6targetE0EEEvSI_,comdat
	.protected	_ZN7rocprim17ROCPRIM_400000_NS6detail17trampoline_kernelINS0_14default_configENS1_38merge_sort_block_merge_config_selectorIiNS0_10empty_typeEEEZZNS1_27merge_sort_block_merge_implIS3_N6thrust23THRUST_200600_302600_NS10device_ptrIiEEPS5_jNS1_19radix_merge_compareILb0ELb1EiNS0_19identity_decomposerEEEEE10hipError_tT0_T1_T2_jT3_P12ihipStream_tbPNSt15iterator_traitsISH_E10value_typeEPNSN_ISI_E10value_typeEPSJ_NS1_7vsmem_tEENKUlT_SH_SI_SJ_E_clISB_PiSC_SC_EESG_SW_SH_SI_SJ_EUlSW_E_NS1_11comp_targetILNS1_3genE9ELNS1_11target_archE1100ELNS1_3gpuE3ELNS1_3repE0EEENS1_48merge_mergepath_partition_config_static_selectorELNS0_4arch9wavefront6targetE0EEEvSI_ ; -- Begin function _ZN7rocprim17ROCPRIM_400000_NS6detail17trampoline_kernelINS0_14default_configENS1_38merge_sort_block_merge_config_selectorIiNS0_10empty_typeEEEZZNS1_27merge_sort_block_merge_implIS3_N6thrust23THRUST_200600_302600_NS10device_ptrIiEEPS5_jNS1_19radix_merge_compareILb0ELb1EiNS0_19identity_decomposerEEEEE10hipError_tT0_T1_T2_jT3_P12ihipStream_tbPNSt15iterator_traitsISH_E10value_typeEPNSN_ISI_E10value_typeEPSJ_NS1_7vsmem_tEENKUlT_SH_SI_SJ_E_clISB_PiSC_SC_EESG_SW_SH_SI_SJ_EUlSW_E_NS1_11comp_targetILNS1_3genE9ELNS1_11target_archE1100ELNS1_3gpuE3ELNS1_3repE0EEENS1_48merge_mergepath_partition_config_static_selectorELNS0_4arch9wavefront6targetE0EEEvSI_
	.globl	_ZN7rocprim17ROCPRIM_400000_NS6detail17trampoline_kernelINS0_14default_configENS1_38merge_sort_block_merge_config_selectorIiNS0_10empty_typeEEEZZNS1_27merge_sort_block_merge_implIS3_N6thrust23THRUST_200600_302600_NS10device_ptrIiEEPS5_jNS1_19radix_merge_compareILb0ELb1EiNS0_19identity_decomposerEEEEE10hipError_tT0_T1_T2_jT3_P12ihipStream_tbPNSt15iterator_traitsISH_E10value_typeEPNSN_ISI_E10value_typeEPSJ_NS1_7vsmem_tEENKUlT_SH_SI_SJ_E_clISB_PiSC_SC_EESG_SW_SH_SI_SJ_EUlSW_E_NS1_11comp_targetILNS1_3genE9ELNS1_11target_archE1100ELNS1_3gpuE3ELNS1_3repE0EEENS1_48merge_mergepath_partition_config_static_selectorELNS0_4arch9wavefront6targetE0EEEvSI_
	.p2align	8
	.type	_ZN7rocprim17ROCPRIM_400000_NS6detail17trampoline_kernelINS0_14default_configENS1_38merge_sort_block_merge_config_selectorIiNS0_10empty_typeEEEZZNS1_27merge_sort_block_merge_implIS3_N6thrust23THRUST_200600_302600_NS10device_ptrIiEEPS5_jNS1_19radix_merge_compareILb0ELb1EiNS0_19identity_decomposerEEEEE10hipError_tT0_T1_T2_jT3_P12ihipStream_tbPNSt15iterator_traitsISH_E10value_typeEPNSN_ISI_E10value_typeEPSJ_NS1_7vsmem_tEENKUlT_SH_SI_SJ_E_clISB_PiSC_SC_EESG_SW_SH_SI_SJ_EUlSW_E_NS1_11comp_targetILNS1_3genE9ELNS1_11target_archE1100ELNS1_3gpuE3ELNS1_3repE0EEENS1_48merge_mergepath_partition_config_static_selectorELNS0_4arch9wavefront6targetE0EEEvSI_,@function
_ZN7rocprim17ROCPRIM_400000_NS6detail17trampoline_kernelINS0_14default_configENS1_38merge_sort_block_merge_config_selectorIiNS0_10empty_typeEEEZZNS1_27merge_sort_block_merge_implIS3_N6thrust23THRUST_200600_302600_NS10device_ptrIiEEPS5_jNS1_19radix_merge_compareILb0ELb1EiNS0_19identity_decomposerEEEEE10hipError_tT0_T1_T2_jT3_P12ihipStream_tbPNSt15iterator_traitsISH_E10value_typeEPNSN_ISI_E10value_typeEPSJ_NS1_7vsmem_tEENKUlT_SH_SI_SJ_E_clISB_PiSC_SC_EESG_SW_SH_SI_SJ_EUlSW_E_NS1_11comp_targetILNS1_3genE9ELNS1_11target_archE1100ELNS1_3gpuE3ELNS1_3repE0EEENS1_48merge_mergepath_partition_config_static_selectorELNS0_4arch9wavefront6targetE0EEEvSI_: ; @_ZN7rocprim17ROCPRIM_400000_NS6detail17trampoline_kernelINS0_14default_configENS1_38merge_sort_block_merge_config_selectorIiNS0_10empty_typeEEEZZNS1_27merge_sort_block_merge_implIS3_N6thrust23THRUST_200600_302600_NS10device_ptrIiEEPS5_jNS1_19radix_merge_compareILb0ELb1EiNS0_19identity_decomposerEEEEE10hipError_tT0_T1_T2_jT3_P12ihipStream_tbPNSt15iterator_traitsISH_E10value_typeEPNSN_ISI_E10value_typeEPSJ_NS1_7vsmem_tEENKUlT_SH_SI_SJ_E_clISB_PiSC_SC_EESG_SW_SH_SI_SJ_EUlSW_E_NS1_11comp_targetILNS1_3genE9ELNS1_11target_archE1100ELNS1_3gpuE3ELNS1_3repE0EEENS1_48merge_mergepath_partition_config_static_selectorELNS0_4arch9wavefront6targetE0EEEvSI_
; %bb.0:
	.section	.rodata,"a",@progbits
	.p2align	6, 0x0
	.amdhsa_kernel _ZN7rocprim17ROCPRIM_400000_NS6detail17trampoline_kernelINS0_14default_configENS1_38merge_sort_block_merge_config_selectorIiNS0_10empty_typeEEEZZNS1_27merge_sort_block_merge_implIS3_N6thrust23THRUST_200600_302600_NS10device_ptrIiEEPS5_jNS1_19radix_merge_compareILb0ELb1EiNS0_19identity_decomposerEEEEE10hipError_tT0_T1_T2_jT3_P12ihipStream_tbPNSt15iterator_traitsISH_E10value_typeEPNSN_ISI_E10value_typeEPSJ_NS1_7vsmem_tEENKUlT_SH_SI_SJ_E_clISB_PiSC_SC_EESG_SW_SH_SI_SJ_EUlSW_E_NS1_11comp_targetILNS1_3genE9ELNS1_11target_archE1100ELNS1_3gpuE3ELNS1_3repE0EEENS1_48merge_mergepath_partition_config_static_selectorELNS0_4arch9wavefront6targetE0EEEvSI_
		.amdhsa_group_segment_fixed_size 0
		.amdhsa_private_segment_fixed_size 0
		.amdhsa_kernarg_size 40
		.amdhsa_user_sgpr_count 6
		.amdhsa_user_sgpr_private_segment_buffer 1
		.amdhsa_user_sgpr_dispatch_ptr 0
		.amdhsa_user_sgpr_queue_ptr 0
		.amdhsa_user_sgpr_kernarg_segment_ptr 1
		.amdhsa_user_sgpr_dispatch_id 0
		.amdhsa_user_sgpr_flat_scratch_init 0
		.amdhsa_user_sgpr_private_segment_size 0
		.amdhsa_wavefront_size32 1
		.amdhsa_uses_dynamic_stack 0
		.amdhsa_system_sgpr_private_segment_wavefront_offset 0
		.amdhsa_system_sgpr_workgroup_id_x 1
		.amdhsa_system_sgpr_workgroup_id_y 0
		.amdhsa_system_sgpr_workgroup_id_z 0
		.amdhsa_system_sgpr_workgroup_info 0
		.amdhsa_system_vgpr_workitem_id 0
		.amdhsa_next_free_vgpr 1
		.amdhsa_next_free_sgpr 1
		.amdhsa_reserve_vcc 0
		.amdhsa_reserve_flat_scratch 0
		.amdhsa_float_round_mode_32 0
		.amdhsa_float_round_mode_16_64 0
		.amdhsa_float_denorm_mode_32 3
		.amdhsa_float_denorm_mode_16_64 3
		.amdhsa_dx10_clamp 1
		.amdhsa_ieee_mode 1
		.amdhsa_fp16_overflow 0
		.amdhsa_workgroup_processor_mode 1
		.amdhsa_memory_ordered 1
		.amdhsa_forward_progress 1
		.amdhsa_shared_vgpr_count 0
		.amdhsa_exception_fp_ieee_invalid_op 0
		.amdhsa_exception_fp_denorm_src 0
		.amdhsa_exception_fp_ieee_div_zero 0
		.amdhsa_exception_fp_ieee_overflow 0
		.amdhsa_exception_fp_ieee_underflow 0
		.amdhsa_exception_fp_ieee_inexact 0
		.amdhsa_exception_int_div_zero 0
	.end_amdhsa_kernel
	.section	.text._ZN7rocprim17ROCPRIM_400000_NS6detail17trampoline_kernelINS0_14default_configENS1_38merge_sort_block_merge_config_selectorIiNS0_10empty_typeEEEZZNS1_27merge_sort_block_merge_implIS3_N6thrust23THRUST_200600_302600_NS10device_ptrIiEEPS5_jNS1_19radix_merge_compareILb0ELb1EiNS0_19identity_decomposerEEEEE10hipError_tT0_T1_T2_jT3_P12ihipStream_tbPNSt15iterator_traitsISH_E10value_typeEPNSN_ISI_E10value_typeEPSJ_NS1_7vsmem_tEENKUlT_SH_SI_SJ_E_clISB_PiSC_SC_EESG_SW_SH_SI_SJ_EUlSW_E_NS1_11comp_targetILNS1_3genE9ELNS1_11target_archE1100ELNS1_3gpuE3ELNS1_3repE0EEENS1_48merge_mergepath_partition_config_static_selectorELNS0_4arch9wavefront6targetE0EEEvSI_,"axG",@progbits,_ZN7rocprim17ROCPRIM_400000_NS6detail17trampoline_kernelINS0_14default_configENS1_38merge_sort_block_merge_config_selectorIiNS0_10empty_typeEEEZZNS1_27merge_sort_block_merge_implIS3_N6thrust23THRUST_200600_302600_NS10device_ptrIiEEPS5_jNS1_19radix_merge_compareILb0ELb1EiNS0_19identity_decomposerEEEEE10hipError_tT0_T1_T2_jT3_P12ihipStream_tbPNSt15iterator_traitsISH_E10value_typeEPNSN_ISI_E10value_typeEPSJ_NS1_7vsmem_tEENKUlT_SH_SI_SJ_E_clISB_PiSC_SC_EESG_SW_SH_SI_SJ_EUlSW_E_NS1_11comp_targetILNS1_3genE9ELNS1_11target_archE1100ELNS1_3gpuE3ELNS1_3repE0EEENS1_48merge_mergepath_partition_config_static_selectorELNS0_4arch9wavefront6targetE0EEEvSI_,comdat
.Lfunc_end1199:
	.size	_ZN7rocprim17ROCPRIM_400000_NS6detail17trampoline_kernelINS0_14default_configENS1_38merge_sort_block_merge_config_selectorIiNS0_10empty_typeEEEZZNS1_27merge_sort_block_merge_implIS3_N6thrust23THRUST_200600_302600_NS10device_ptrIiEEPS5_jNS1_19radix_merge_compareILb0ELb1EiNS0_19identity_decomposerEEEEE10hipError_tT0_T1_T2_jT3_P12ihipStream_tbPNSt15iterator_traitsISH_E10value_typeEPNSN_ISI_E10value_typeEPSJ_NS1_7vsmem_tEENKUlT_SH_SI_SJ_E_clISB_PiSC_SC_EESG_SW_SH_SI_SJ_EUlSW_E_NS1_11comp_targetILNS1_3genE9ELNS1_11target_archE1100ELNS1_3gpuE3ELNS1_3repE0EEENS1_48merge_mergepath_partition_config_static_selectorELNS0_4arch9wavefront6targetE0EEEvSI_, .Lfunc_end1199-_ZN7rocprim17ROCPRIM_400000_NS6detail17trampoline_kernelINS0_14default_configENS1_38merge_sort_block_merge_config_selectorIiNS0_10empty_typeEEEZZNS1_27merge_sort_block_merge_implIS3_N6thrust23THRUST_200600_302600_NS10device_ptrIiEEPS5_jNS1_19radix_merge_compareILb0ELb1EiNS0_19identity_decomposerEEEEE10hipError_tT0_T1_T2_jT3_P12ihipStream_tbPNSt15iterator_traitsISH_E10value_typeEPNSN_ISI_E10value_typeEPSJ_NS1_7vsmem_tEENKUlT_SH_SI_SJ_E_clISB_PiSC_SC_EESG_SW_SH_SI_SJ_EUlSW_E_NS1_11comp_targetILNS1_3genE9ELNS1_11target_archE1100ELNS1_3gpuE3ELNS1_3repE0EEENS1_48merge_mergepath_partition_config_static_selectorELNS0_4arch9wavefront6targetE0EEEvSI_
                                        ; -- End function
	.set _ZN7rocprim17ROCPRIM_400000_NS6detail17trampoline_kernelINS0_14default_configENS1_38merge_sort_block_merge_config_selectorIiNS0_10empty_typeEEEZZNS1_27merge_sort_block_merge_implIS3_N6thrust23THRUST_200600_302600_NS10device_ptrIiEEPS5_jNS1_19radix_merge_compareILb0ELb1EiNS0_19identity_decomposerEEEEE10hipError_tT0_T1_T2_jT3_P12ihipStream_tbPNSt15iterator_traitsISH_E10value_typeEPNSN_ISI_E10value_typeEPSJ_NS1_7vsmem_tEENKUlT_SH_SI_SJ_E_clISB_PiSC_SC_EESG_SW_SH_SI_SJ_EUlSW_E_NS1_11comp_targetILNS1_3genE9ELNS1_11target_archE1100ELNS1_3gpuE3ELNS1_3repE0EEENS1_48merge_mergepath_partition_config_static_selectorELNS0_4arch9wavefront6targetE0EEEvSI_.num_vgpr, 0
	.set _ZN7rocprim17ROCPRIM_400000_NS6detail17trampoline_kernelINS0_14default_configENS1_38merge_sort_block_merge_config_selectorIiNS0_10empty_typeEEEZZNS1_27merge_sort_block_merge_implIS3_N6thrust23THRUST_200600_302600_NS10device_ptrIiEEPS5_jNS1_19radix_merge_compareILb0ELb1EiNS0_19identity_decomposerEEEEE10hipError_tT0_T1_T2_jT3_P12ihipStream_tbPNSt15iterator_traitsISH_E10value_typeEPNSN_ISI_E10value_typeEPSJ_NS1_7vsmem_tEENKUlT_SH_SI_SJ_E_clISB_PiSC_SC_EESG_SW_SH_SI_SJ_EUlSW_E_NS1_11comp_targetILNS1_3genE9ELNS1_11target_archE1100ELNS1_3gpuE3ELNS1_3repE0EEENS1_48merge_mergepath_partition_config_static_selectorELNS0_4arch9wavefront6targetE0EEEvSI_.num_agpr, 0
	.set _ZN7rocprim17ROCPRIM_400000_NS6detail17trampoline_kernelINS0_14default_configENS1_38merge_sort_block_merge_config_selectorIiNS0_10empty_typeEEEZZNS1_27merge_sort_block_merge_implIS3_N6thrust23THRUST_200600_302600_NS10device_ptrIiEEPS5_jNS1_19radix_merge_compareILb0ELb1EiNS0_19identity_decomposerEEEEE10hipError_tT0_T1_T2_jT3_P12ihipStream_tbPNSt15iterator_traitsISH_E10value_typeEPNSN_ISI_E10value_typeEPSJ_NS1_7vsmem_tEENKUlT_SH_SI_SJ_E_clISB_PiSC_SC_EESG_SW_SH_SI_SJ_EUlSW_E_NS1_11comp_targetILNS1_3genE9ELNS1_11target_archE1100ELNS1_3gpuE3ELNS1_3repE0EEENS1_48merge_mergepath_partition_config_static_selectorELNS0_4arch9wavefront6targetE0EEEvSI_.numbered_sgpr, 0
	.set _ZN7rocprim17ROCPRIM_400000_NS6detail17trampoline_kernelINS0_14default_configENS1_38merge_sort_block_merge_config_selectorIiNS0_10empty_typeEEEZZNS1_27merge_sort_block_merge_implIS3_N6thrust23THRUST_200600_302600_NS10device_ptrIiEEPS5_jNS1_19radix_merge_compareILb0ELb1EiNS0_19identity_decomposerEEEEE10hipError_tT0_T1_T2_jT3_P12ihipStream_tbPNSt15iterator_traitsISH_E10value_typeEPNSN_ISI_E10value_typeEPSJ_NS1_7vsmem_tEENKUlT_SH_SI_SJ_E_clISB_PiSC_SC_EESG_SW_SH_SI_SJ_EUlSW_E_NS1_11comp_targetILNS1_3genE9ELNS1_11target_archE1100ELNS1_3gpuE3ELNS1_3repE0EEENS1_48merge_mergepath_partition_config_static_selectorELNS0_4arch9wavefront6targetE0EEEvSI_.num_named_barrier, 0
	.set _ZN7rocprim17ROCPRIM_400000_NS6detail17trampoline_kernelINS0_14default_configENS1_38merge_sort_block_merge_config_selectorIiNS0_10empty_typeEEEZZNS1_27merge_sort_block_merge_implIS3_N6thrust23THRUST_200600_302600_NS10device_ptrIiEEPS5_jNS1_19radix_merge_compareILb0ELb1EiNS0_19identity_decomposerEEEEE10hipError_tT0_T1_T2_jT3_P12ihipStream_tbPNSt15iterator_traitsISH_E10value_typeEPNSN_ISI_E10value_typeEPSJ_NS1_7vsmem_tEENKUlT_SH_SI_SJ_E_clISB_PiSC_SC_EESG_SW_SH_SI_SJ_EUlSW_E_NS1_11comp_targetILNS1_3genE9ELNS1_11target_archE1100ELNS1_3gpuE3ELNS1_3repE0EEENS1_48merge_mergepath_partition_config_static_selectorELNS0_4arch9wavefront6targetE0EEEvSI_.private_seg_size, 0
	.set _ZN7rocprim17ROCPRIM_400000_NS6detail17trampoline_kernelINS0_14default_configENS1_38merge_sort_block_merge_config_selectorIiNS0_10empty_typeEEEZZNS1_27merge_sort_block_merge_implIS3_N6thrust23THRUST_200600_302600_NS10device_ptrIiEEPS5_jNS1_19radix_merge_compareILb0ELb1EiNS0_19identity_decomposerEEEEE10hipError_tT0_T1_T2_jT3_P12ihipStream_tbPNSt15iterator_traitsISH_E10value_typeEPNSN_ISI_E10value_typeEPSJ_NS1_7vsmem_tEENKUlT_SH_SI_SJ_E_clISB_PiSC_SC_EESG_SW_SH_SI_SJ_EUlSW_E_NS1_11comp_targetILNS1_3genE9ELNS1_11target_archE1100ELNS1_3gpuE3ELNS1_3repE0EEENS1_48merge_mergepath_partition_config_static_selectorELNS0_4arch9wavefront6targetE0EEEvSI_.uses_vcc, 0
	.set _ZN7rocprim17ROCPRIM_400000_NS6detail17trampoline_kernelINS0_14default_configENS1_38merge_sort_block_merge_config_selectorIiNS0_10empty_typeEEEZZNS1_27merge_sort_block_merge_implIS3_N6thrust23THRUST_200600_302600_NS10device_ptrIiEEPS5_jNS1_19radix_merge_compareILb0ELb1EiNS0_19identity_decomposerEEEEE10hipError_tT0_T1_T2_jT3_P12ihipStream_tbPNSt15iterator_traitsISH_E10value_typeEPNSN_ISI_E10value_typeEPSJ_NS1_7vsmem_tEENKUlT_SH_SI_SJ_E_clISB_PiSC_SC_EESG_SW_SH_SI_SJ_EUlSW_E_NS1_11comp_targetILNS1_3genE9ELNS1_11target_archE1100ELNS1_3gpuE3ELNS1_3repE0EEENS1_48merge_mergepath_partition_config_static_selectorELNS0_4arch9wavefront6targetE0EEEvSI_.uses_flat_scratch, 0
	.set _ZN7rocprim17ROCPRIM_400000_NS6detail17trampoline_kernelINS0_14default_configENS1_38merge_sort_block_merge_config_selectorIiNS0_10empty_typeEEEZZNS1_27merge_sort_block_merge_implIS3_N6thrust23THRUST_200600_302600_NS10device_ptrIiEEPS5_jNS1_19radix_merge_compareILb0ELb1EiNS0_19identity_decomposerEEEEE10hipError_tT0_T1_T2_jT3_P12ihipStream_tbPNSt15iterator_traitsISH_E10value_typeEPNSN_ISI_E10value_typeEPSJ_NS1_7vsmem_tEENKUlT_SH_SI_SJ_E_clISB_PiSC_SC_EESG_SW_SH_SI_SJ_EUlSW_E_NS1_11comp_targetILNS1_3genE9ELNS1_11target_archE1100ELNS1_3gpuE3ELNS1_3repE0EEENS1_48merge_mergepath_partition_config_static_selectorELNS0_4arch9wavefront6targetE0EEEvSI_.has_dyn_sized_stack, 0
	.set _ZN7rocprim17ROCPRIM_400000_NS6detail17trampoline_kernelINS0_14default_configENS1_38merge_sort_block_merge_config_selectorIiNS0_10empty_typeEEEZZNS1_27merge_sort_block_merge_implIS3_N6thrust23THRUST_200600_302600_NS10device_ptrIiEEPS5_jNS1_19radix_merge_compareILb0ELb1EiNS0_19identity_decomposerEEEEE10hipError_tT0_T1_T2_jT3_P12ihipStream_tbPNSt15iterator_traitsISH_E10value_typeEPNSN_ISI_E10value_typeEPSJ_NS1_7vsmem_tEENKUlT_SH_SI_SJ_E_clISB_PiSC_SC_EESG_SW_SH_SI_SJ_EUlSW_E_NS1_11comp_targetILNS1_3genE9ELNS1_11target_archE1100ELNS1_3gpuE3ELNS1_3repE0EEENS1_48merge_mergepath_partition_config_static_selectorELNS0_4arch9wavefront6targetE0EEEvSI_.has_recursion, 0
	.set _ZN7rocprim17ROCPRIM_400000_NS6detail17trampoline_kernelINS0_14default_configENS1_38merge_sort_block_merge_config_selectorIiNS0_10empty_typeEEEZZNS1_27merge_sort_block_merge_implIS3_N6thrust23THRUST_200600_302600_NS10device_ptrIiEEPS5_jNS1_19radix_merge_compareILb0ELb1EiNS0_19identity_decomposerEEEEE10hipError_tT0_T1_T2_jT3_P12ihipStream_tbPNSt15iterator_traitsISH_E10value_typeEPNSN_ISI_E10value_typeEPSJ_NS1_7vsmem_tEENKUlT_SH_SI_SJ_E_clISB_PiSC_SC_EESG_SW_SH_SI_SJ_EUlSW_E_NS1_11comp_targetILNS1_3genE9ELNS1_11target_archE1100ELNS1_3gpuE3ELNS1_3repE0EEENS1_48merge_mergepath_partition_config_static_selectorELNS0_4arch9wavefront6targetE0EEEvSI_.has_indirect_call, 0
	.section	.AMDGPU.csdata,"",@progbits
; Kernel info:
; codeLenInByte = 0
; TotalNumSgprs: 0
; NumVgprs: 0
; ScratchSize: 0
; MemoryBound: 0
; FloatMode: 240
; IeeeMode: 1
; LDSByteSize: 0 bytes/workgroup (compile time only)
; SGPRBlocks: 0
; VGPRBlocks: 0
; NumSGPRsForWavesPerEU: 1
; NumVGPRsForWavesPerEU: 1
; Occupancy: 16
; WaveLimiterHint : 0
; COMPUTE_PGM_RSRC2:SCRATCH_EN: 0
; COMPUTE_PGM_RSRC2:USER_SGPR: 6
; COMPUTE_PGM_RSRC2:TRAP_HANDLER: 0
; COMPUTE_PGM_RSRC2:TGID_X_EN: 1
; COMPUTE_PGM_RSRC2:TGID_Y_EN: 0
; COMPUTE_PGM_RSRC2:TGID_Z_EN: 0
; COMPUTE_PGM_RSRC2:TIDIG_COMP_CNT: 0
	.section	.text._ZN7rocprim17ROCPRIM_400000_NS6detail17trampoline_kernelINS0_14default_configENS1_38merge_sort_block_merge_config_selectorIiNS0_10empty_typeEEEZZNS1_27merge_sort_block_merge_implIS3_N6thrust23THRUST_200600_302600_NS10device_ptrIiEEPS5_jNS1_19radix_merge_compareILb0ELb1EiNS0_19identity_decomposerEEEEE10hipError_tT0_T1_T2_jT3_P12ihipStream_tbPNSt15iterator_traitsISH_E10value_typeEPNSN_ISI_E10value_typeEPSJ_NS1_7vsmem_tEENKUlT_SH_SI_SJ_E_clISB_PiSC_SC_EESG_SW_SH_SI_SJ_EUlSW_E_NS1_11comp_targetILNS1_3genE8ELNS1_11target_archE1030ELNS1_3gpuE2ELNS1_3repE0EEENS1_48merge_mergepath_partition_config_static_selectorELNS0_4arch9wavefront6targetE0EEEvSI_,"axG",@progbits,_ZN7rocprim17ROCPRIM_400000_NS6detail17trampoline_kernelINS0_14default_configENS1_38merge_sort_block_merge_config_selectorIiNS0_10empty_typeEEEZZNS1_27merge_sort_block_merge_implIS3_N6thrust23THRUST_200600_302600_NS10device_ptrIiEEPS5_jNS1_19radix_merge_compareILb0ELb1EiNS0_19identity_decomposerEEEEE10hipError_tT0_T1_T2_jT3_P12ihipStream_tbPNSt15iterator_traitsISH_E10value_typeEPNSN_ISI_E10value_typeEPSJ_NS1_7vsmem_tEENKUlT_SH_SI_SJ_E_clISB_PiSC_SC_EESG_SW_SH_SI_SJ_EUlSW_E_NS1_11comp_targetILNS1_3genE8ELNS1_11target_archE1030ELNS1_3gpuE2ELNS1_3repE0EEENS1_48merge_mergepath_partition_config_static_selectorELNS0_4arch9wavefront6targetE0EEEvSI_,comdat
	.protected	_ZN7rocprim17ROCPRIM_400000_NS6detail17trampoline_kernelINS0_14default_configENS1_38merge_sort_block_merge_config_selectorIiNS0_10empty_typeEEEZZNS1_27merge_sort_block_merge_implIS3_N6thrust23THRUST_200600_302600_NS10device_ptrIiEEPS5_jNS1_19radix_merge_compareILb0ELb1EiNS0_19identity_decomposerEEEEE10hipError_tT0_T1_T2_jT3_P12ihipStream_tbPNSt15iterator_traitsISH_E10value_typeEPNSN_ISI_E10value_typeEPSJ_NS1_7vsmem_tEENKUlT_SH_SI_SJ_E_clISB_PiSC_SC_EESG_SW_SH_SI_SJ_EUlSW_E_NS1_11comp_targetILNS1_3genE8ELNS1_11target_archE1030ELNS1_3gpuE2ELNS1_3repE0EEENS1_48merge_mergepath_partition_config_static_selectorELNS0_4arch9wavefront6targetE0EEEvSI_ ; -- Begin function _ZN7rocprim17ROCPRIM_400000_NS6detail17trampoline_kernelINS0_14default_configENS1_38merge_sort_block_merge_config_selectorIiNS0_10empty_typeEEEZZNS1_27merge_sort_block_merge_implIS3_N6thrust23THRUST_200600_302600_NS10device_ptrIiEEPS5_jNS1_19radix_merge_compareILb0ELb1EiNS0_19identity_decomposerEEEEE10hipError_tT0_T1_T2_jT3_P12ihipStream_tbPNSt15iterator_traitsISH_E10value_typeEPNSN_ISI_E10value_typeEPSJ_NS1_7vsmem_tEENKUlT_SH_SI_SJ_E_clISB_PiSC_SC_EESG_SW_SH_SI_SJ_EUlSW_E_NS1_11comp_targetILNS1_3genE8ELNS1_11target_archE1030ELNS1_3gpuE2ELNS1_3repE0EEENS1_48merge_mergepath_partition_config_static_selectorELNS0_4arch9wavefront6targetE0EEEvSI_
	.globl	_ZN7rocprim17ROCPRIM_400000_NS6detail17trampoline_kernelINS0_14default_configENS1_38merge_sort_block_merge_config_selectorIiNS0_10empty_typeEEEZZNS1_27merge_sort_block_merge_implIS3_N6thrust23THRUST_200600_302600_NS10device_ptrIiEEPS5_jNS1_19radix_merge_compareILb0ELb1EiNS0_19identity_decomposerEEEEE10hipError_tT0_T1_T2_jT3_P12ihipStream_tbPNSt15iterator_traitsISH_E10value_typeEPNSN_ISI_E10value_typeEPSJ_NS1_7vsmem_tEENKUlT_SH_SI_SJ_E_clISB_PiSC_SC_EESG_SW_SH_SI_SJ_EUlSW_E_NS1_11comp_targetILNS1_3genE8ELNS1_11target_archE1030ELNS1_3gpuE2ELNS1_3repE0EEENS1_48merge_mergepath_partition_config_static_selectorELNS0_4arch9wavefront6targetE0EEEvSI_
	.p2align	8
	.type	_ZN7rocprim17ROCPRIM_400000_NS6detail17trampoline_kernelINS0_14default_configENS1_38merge_sort_block_merge_config_selectorIiNS0_10empty_typeEEEZZNS1_27merge_sort_block_merge_implIS3_N6thrust23THRUST_200600_302600_NS10device_ptrIiEEPS5_jNS1_19radix_merge_compareILb0ELb1EiNS0_19identity_decomposerEEEEE10hipError_tT0_T1_T2_jT3_P12ihipStream_tbPNSt15iterator_traitsISH_E10value_typeEPNSN_ISI_E10value_typeEPSJ_NS1_7vsmem_tEENKUlT_SH_SI_SJ_E_clISB_PiSC_SC_EESG_SW_SH_SI_SJ_EUlSW_E_NS1_11comp_targetILNS1_3genE8ELNS1_11target_archE1030ELNS1_3gpuE2ELNS1_3repE0EEENS1_48merge_mergepath_partition_config_static_selectorELNS0_4arch9wavefront6targetE0EEEvSI_,@function
_ZN7rocprim17ROCPRIM_400000_NS6detail17trampoline_kernelINS0_14default_configENS1_38merge_sort_block_merge_config_selectorIiNS0_10empty_typeEEEZZNS1_27merge_sort_block_merge_implIS3_N6thrust23THRUST_200600_302600_NS10device_ptrIiEEPS5_jNS1_19radix_merge_compareILb0ELb1EiNS0_19identity_decomposerEEEEE10hipError_tT0_T1_T2_jT3_P12ihipStream_tbPNSt15iterator_traitsISH_E10value_typeEPNSN_ISI_E10value_typeEPSJ_NS1_7vsmem_tEENKUlT_SH_SI_SJ_E_clISB_PiSC_SC_EESG_SW_SH_SI_SJ_EUlSW_E_NS1_11comp_targetILNS1_3genE8ELNS1_11target_archE1030ELNS1_3gpuE2ELNS1_3repE0EEENS1_48merge_mergepath_partition_config_static_selectorELNS0_4arch9wavefront6targetE0EEEvSI_: ; @_ZN7rocprim17ROCPRIM_400000_NS6detail17trampoline_kernelINS0_14default_configENS1_38merge_sort_block_merge_config_selectorIiNS0_10empty_typeEEEZZNS1_27merge_sort_block_merge_implIS3_N6thrust23THRUST_200600_302600_NS10device_ptrIiEEPS5_jNS1_19radix_merge_compareILb0ELb1EiNS0_19identity_decomposerEEEEE10hipError_tT0_T1_T2_jT3_P12ihipStream_tbPNSt15iterator_traitsISH_E10value_typeEPNSN_ISI_E10value_typeEPSJ_NS1_7vsmem_tEENKUlT_SH_SI_SJ_E_clISB_PiSC_SC_EESG_SW_SH_SI_SJ_EUlSW_E_NS1_11comp_targetILNS1_3genE8ELNS1_11target_archE1030ELNS1_3gpuE2ELNS1_3repE0EEENS1_48merge_mergepath_partition_config_static_selectorELNS0_4arch9wavefront6targetE0EEEvSI_
; %bb.0:
	s_load_dword s0, s[4:5], 0x0
	v_lshl_or_b32 v0, s6, 7, v0
	s_waitcnt lgkmcnt(0)
	v_cmp_gt_u32_e32 vcc_lo, s0, v0
	s_and_saveexec_b32 s0, vcc_lo
	s_cbranch_execz .LBB1200_6
; %bb.1:
	s_load_dwordx2 s[0:1], s[4:5], 0x4
	s_waitcnt lgkmcnt(0)
	s_lshr_b32 s2, s0, 9
	s_and_b32 s2, s2, 0x7ffffe
	s_sub_i32 s3, 0, s2
	s_add_i32 s2, s2, -1
	v_and_b32_e32 v1, s3, v0
	v_and_b32_e32 v5, s2, v0
	s_mov_b32 s3, 0
	s_mov_b32 s2, exec_lo
	v_lshlrev_b32_e32 v1, 10, v1
	v_add_nc_u32_e32 v2, s0, v1
	v_min_u32_e32 v4, s1, v2
	v_min_u32_e32 v2, s1, v1
	v_add_nc_u32_e32 v3, s0, v4
	v_min_u32_e32 v1, s1, v3
	s_load_dwordx2 s[0:1], s[4:5], 0x20
	v_lshlrev_b32_e32 v3, 10, v5
	v_sub_nc_u32_e32 v5, v1, v2
	v_sub_nc_u32_e32 v6, v1, v4
	v_min_u32_e32 v1, v5, v3
	v_sub_nc_u32_e32 v3, v4, v2
	v_sub_nc_u32_e64 v6, v1, v6 clamp
	v_min_u32_e32 v7, v1, v3
	v_cmpx_lt_u32_e64 v6, v7
	s_cbranch_execz .LBB1200_5
; %bb.2:
	s_load_dwordx2 s[6:7], s[4:5], 0x10
	v_mov_b32_e32 v5, 0
	s_load_dword s4, s[4:5], 0x18
	v_mov_b32_e32 v3, v5
	v_lshlrev_b64 v[10:11], 2, v[4:5]
	v_lshlrev_b64 v[8:9], 2, v[2:3]
	s_waitcnt lgkmcnt(0)
	v_add_co_u32 v3, vcc_lo, s6, v8
	v_add_co_ci_u32_e64 v8, null, s7, v9, vcc_lo
	v_add_co_u32 v9, vcc_lo, s6, v10
	v_add_co_ci_u32_e64 v10, null, s7, v11, vcc_lo
	.p2align	6
.LBB1200_3:                             ; =>This Inner Loop Header: Depth=1
	v_add_nc_u32_e32 v4, v7, v6
	v_mov_b32_e32 v12, v5
	v_lshrrev_b32_e32 v4, 1, v4
	v_xad_u32 v11, v4, -1, v1
	v_lshlrev_b64 v[13:14], 2, v[4:5]
	v_lshlrev_b64 v[11:12], 2, v[11:12]
	v_add_co_u32 v13, vcc_lo, v3, v13
	v_add_co_ci_u32_e64 v14, null, v8, v14, vcc_lo
	v_add_co_u32 v11, vcc_lo, v9, v11
	v_add_co_ci_u32_e64 v12, null, v10, v12, vcc_lo
	s_clause 0x1
	flat_load_dword v13, v[13:14]
	flat_load_dword v11, v[11:12]
	s_waitcnt vmcnt(1) lgkmcnt(1)
	v_and_b32_e32 v12, s4, v13
	s_waitcnt vmcnt(0) lgkmcnt(0)
	v_and_b32_e32 v11, s4, v11
	v_add_nc_u32_e32 v13, 1, v4
	v_cmp_gt_i32_e32 vcc_lo, v12, v11
	v_cndmask_b32_e32 v7, v7, v4, vcc_lo
	v_cndmask_b32_e32 v6, v13, v6, vcc_lo
	v_cmp_ge_u32_e32 vcc_lo, v6, v7
	s_or_b32 s3, vcc_lo, s3
	s_andn2_b32 exec_lo, exec_lo, s3
	s_cbranch_execnz .LBB1200_3
; %bb.4:
	s_or_b32 exec_lo, exec_lo, s3
.LBB1200_5:
	s_or_b32 exec_lo, exec_lo, s2
	v_mov_b32_e32 v1, 0
	v_add_nc_u32_e32 v2, v6, v2
	v_lshlrev_b64 v[0:1], 2, v[0:1]
	s_waitcnt lgkmcnt(0)
	v_add_co_u32 v0, vcc_lo, s0, v0
	v_add_co_ci_u32_e64 v1, null, s1, v1, vcc_lo
	global_store_dword v[0:1], v2, off
.LBB1200_6:
	s_endpgm
	.section	.rodata,"a",@progbits
	.p2align	6, 0x0
	.amdhsa_kernel _ZN7rocprim17ROCPRIM_400000_NS6detail17trampoline_kernelINS0_14default_configENS1_38merge_sort_block_merge_config_selectorIiNS0_10empty_typeEEEZZNS1_27merge_sort_block_merge_implIS3_N6thrust23THRUST_200600_302600_NS10device_ptrIiEEPS5_jNS1_19radix_merge_compareILb0ELb1EiNS0_19identity_decomposerEEEEE10hipError_tT0_T1_T2_jT3_P12ihipStream_tbPNSt15iterator_traitsISH_E10value_typeEPNSN_ISI_E10value_typeEPSJ_NS1_7vsmem_tEENKUlT_SH_SI_SJ_E_clISB_PiSC_SC_EESG_SW_SH_SI_SJ_EUlSW_E_NS1_11comp_targetILNS1_3genE8ELNS1_11target_archE1030ELNS1_3gpuE2ELNS1_3repE0EEENS1_48merge_mergepath_partition_config_static_selectorELNS0_4arch9wavefront6targetE0EEEvSI_
		.amdhsa_group_segment_fixed_size 0
		.amdhsa_private_segment_fixed_size 0
		.amdhsa_kernarg_size 40
		.amdhsa_user_sgpr_count 6
		.amdhsa_user_sgpr_private_segment_buffer 1
		.amdhsa_user_sgpr_dispatch_ptr 0
		.amdhsa_user_sgpr_queue_ptr 0
		.amdhsa_user_sgpr_kernarg_segment_ptr 1
		.amdhsa_user_sgpr_dispatch_id 0
		.amdhsa_user_sgpr_flat_scratch_init 0
		.amdhsa_user_sgpr_private_segment_size 0
		.amdhsa_wavefront_size32 1
		.amdhsa_uses_dynamic_stack 0
		.amdhsa_system_sgpr_private_segment_wavefront_offset 0
		.amdhsa_system_sgpr_workgroup_id_x 1
		.amdhsa_system_sgpr_workgroup_id_y 0
		.amdhsa_system_sgpr_workgroup_id_z 0
		.amdhsa_system_sgpr_workgroup_info 0
		.amdhsa_system_vgpr_workitem_id 0
		.amdhsa_next_free_vgpr 15
		.amdhsa_next_free_sgpr 8
		.amdhsa_reserve_vcc 1
		.amdhsa_reserve_flat_scratch 1
		.amdhsa_float_round_mode_32 0
		.amdhsa_float_round_mode_16_64 0
		.amdhsa_float_denorm_mode_32 3
		.amdhsa_float_denorm_mode_16_64 3
		.amdhsa_dx10_clamp 1
		.amdhsa_ieee_mode 1
		.amdhsa_fp16_overflow 0
		.amdhsa_workgroup_processor_mode 1
		.amdhsa_memory_ordered 1
		.amdhsa_forward_progress 1
		.amdhsa_shared_vgpr_count 0
		.amdhsa_exception_fp_ieee_invalid_op 0
		.amdhsa_exception_fp_denorm_src 0
		.amdhsa_exception_fp_ieee_div_zero 0
		.amdhsa_exception_fp_ieee_overflow 0
		.amdhsa_exception_fp_ieee_underflow 0
		.amdhsa_exception_fp_ieee_inexact 0
		.amdhsa_exception_int_div_zero 0
	.end_amdhsa_kernel
	.section	.text._ZN7rocprim17ROCPRIM_400000_NS6detail17trampoline_kernelINS0_14default_configENS1_38merge_sort_block_merge_config_selectorIiNS0_10empty_typeEEEZZNS1_27merge_sort_block_merge_implIS3_N6thrust23THRUST_200600_302600_NS10device_ptrIiEEPS5_jNS1_19radix_merge_compareILb0ELb1EiNS0_19identity_decomposerEEEEE10hipError_tT0_T1_T2_jT3_P12ihipStream_tbPNSt15iterator_traitsISH_E10value_typeEPNSN_ISI_E10value_typeEPSJ_NS1_7vsmem_tEENKUlT_SH_SI_SJ_E_clISB_PiSC_SC_EESG_SW_SH_SI_SJ_EUlSW_E_NS1_11comp_targetILNS1_3genE8ELNS1_11target_archE1030ELNS1_3gpuE2ELNS1_3repE0EEENS1_48merge_mergepath_partition_config_static_selectorELNS0_4arch9wavefront6targetE0EEEvSI_,"axG",@progbits,_ZN7rocprim17ROCPRIM_400000_NS6detail17trampoline_kernelINS0_14default_configENS1_38merge_sort_block_merge_config_selectorIiNS0_10empty_typeEEEZZNS1_27merge_sort_block_merge_implIS3_N6thrust23THRUST_200600_302600_NS10device_ptrIiEEPS5_jNS1_19radix_merge_compareILb0ELb1EiNS0_19identity_decomposerEEEEE10hipError_tT0_T1_T2_jT3_P12ihipStream_tbPNSt15iterator_traitsISH_E10value_typeEPNSN_ISI_E10value_typeEPSJ_NS1_7vsmem_tEENKUlT_SH_SI_SJ_E_clISB_PiSC_SC_EESG_SW_SH_SI_SJ_EUlSW_E_NS1_11comp_targetILNS1_3genE8ELNS1_11target_archE1030ELNS1_3gpuE2ELNS1_3repE0EEENS1_48merge_mergepath_partition_config_static_selectorELNS0_4arch9wavefront6targetE0EEEvSI_,comdat
.Lfunc_end1200:
	.size	_ZN7rocprim17ROCPRIM_400000_NS6detail17trampoline_kernelINS0_14default_configENS1_38merge_sort_block_merge_config_selectorIiNS0_10empty_typeEEEZZNS1_27merge_sort_block_merge_implIS3_N6thrust23THRUST_200600_302600_NS10device_ptrIiEEPS5_jNS1_19radix_merge_compareILb0ELb1EiNS0_19identity_decomposerEEEEE10hipError_tT0_T1_T2_jT3_P12ihipStream_tbPNSt15iterator_traitsISH_E10value_typeEPNSN_ISI_E10value_typeEPSJ_NS1_7vsmem_tEENKUlT_SH_SI_SJ_E_clISB_PiSC_SC_EESG_SW_SH_SI_SJ_EUlSW_E_NS1_11comp_targetILNS1_3genE8ELNS1_11target_archE1030ELNS1_3gpuE2ELNS1_3repE0EEENS1_48merge_mergepath_partition_config_static_selectorELNS0_4arch9wavefront6targetE0EEEvSI_, .Lfunc_end1200-_ZN7rocprim17ROCPRIM_400000_NS6detail17trampoline_kernelINS0_14default_configENS1_38merge_sort_block_merge_config_selectorIiNS0_10empty_typeEEEZZNS1_27merge_sort_block_merge_implIS3_N6thrust23THRUST_200600_302600_NS10device_ptrIiEEPS5_jNS1_19radix_merge_compareILb0ELb1EiNS0_19identity_decomposerEEEEE10hipError_tT0_T1_T2_jT3_P12ihipStream_tbPNSt15iterator_traitsISH_E10value_typeEPNSN_ISI_E10value_typeEPSJ_NS1_7vsmem_tEENKUlT_SH_SI_SJ_E_clISB_PiSC_SC_EESG_SW_SH_SI_SJ_EUlSW_E_NS1_11comp_targetILNS1_3genE8ELNS1_11target_archE1030ELNS1_3gpuE2ELNS1_3repE0EEENS1_48merge_mergepath_partition_config_static_selectorELNS0_4arch9wavefront6targetE0EEEvSI_
                                        ; -- End function
	.set _ZN7rocprim17ROCPRIM_400000_NS6detail17trampoline_kernelINS0_14default_configENS1_38merge_sort_block_merge_config_selectorIiNS0_10empty_typeEEEZZNS1_27merge_sort_block_merge_implIS3_N6thrust23THRUST_200600_302600_NS10device_ptrIiEEPS5_jNS1_19radix_merge_compareILb0ELb1EiNS0_19identity_decomposerEEEEE10hipError_tT0_T1_T2_jT3_P12ihipStream_tbPNSt15iterator_traitsISH_E10value_typeEPNSN_ISI_E10value_typeEPSJ_NS1_7vsmem_tEENKUlT_SH_SI_SJ_E_clISB_PiSC_SC_EESG_SW_SH_SI_SJ_EUlSW_E_NS1_11comp_targetILNS1_3genE8ELNS1_11target_archE1030ELNS1_3gpuE2ELNS1_3repE0EEENS1_48merge_mergepath_partition_config_static_selectorELNS0_4arch9wavefront6targetE0EEEvSI_.num_vgpr, 15
	.set _ZN7rocprim17ROCPRIM_400000_NS6detail17trampoline_kernelINS0_14default_configENS1_38merge_sort_block_merge_config_selectorIiNS0_10empty_typeEEEZZNS1_27merge_sort_block_merge_implIS3_N6thrust23THRUST_200600_302600_NS10device_ptrIiEEPS5_jNS1_19radix_merge_compareILb0ELb1EiNS0_19identity_decomposerEEEEE10hipError_tT0_T1_T2_jT3_P12ihipStream_tbPNSt15iterator_traitsISH_E10value_typeEPNSN_ISI_E10value_typeEPSJ_NS1_7vsmem_tEENKUlT_SH_SI_SJ_E_clISB_PiSC_SC_EESG_SW_SH_SI_SJ_EUlSW_E_NS1_11comp_targetILNS1_3genE8ELNS1_11target_archE1030ELNS1_3gpuE2ELNS1_3repE0EEENS1_48merge_mergepath_partition_config_static_selectorELNS0_4arch9wavefront6targetE0EEEvSI_.num_agpr, 0
	.set _ZN7rocprim17ROCPRIM_400000_NS6detail17trampoline_kernelINS0_14default_configENS1_38merge_sort_block_merge_config_selectorIiNS0_10empty_typeEEEZZNS1_27merge_sort_block_merge_implIS3_N6thrust23THRUST_200600_302600_NS10device_ptrIiEEPS5_jNS1_19radix_merge_compareILb0ELb1EiNS0_19identity_decomposerEEEEE10hipError_tT0_T1_T2_jT3_P12ihipStream_tbPNSt15iterator_traitsISH_E10value_typeEPNSN_ISI_E10value_typeEPSJ_NS1_7vsmem_tEENKUlT_SH_SI_SJ_E_clISB_PiSC_SC_EESG_SW_SH_SI_SJ_EUlSW_E_NS1_11comp_targetILNS1_3genE8ELNS1_11target_archE1030ELNS1_3gpuE2ELNS1_3repE0EEENS1_48merge_mergepath_partition_config_static_selectorELNS0_4arch9wavefront6targetE0EEEvSI_.numbered_sgpr, 8
	.set _ZN7rocprim17ROCPRIM_400000_NS6detail17trampoline_kernelINS0_14default_configENS1_38merge_sort_block_merge_config_selectorIiNS0_10empty_typeEEEZZNS1_27merge_sort_block_merge_implIS3_N6thrust23THRUST_200600_302600_NS10device_ptrIiEEPS5_jNS1_19radix_merge_compareILb0ELb1EiNS0_19identity_decomposerEEEEE10hipError_tT0_T1_T2_jT3_P12ihipStream_tbPNSt15iterator_traitsISH_E10value_typeEPNSN_ISI_E10value_typeEPSJ_NS1_7vsmem_tEENKUlT_SH_SI_SJ_E_clISB_PiSC_SC_EESG_SW_SH_SI_SJ_EUlSW_E_NS1_11comp_targetILNS1_3genE8ELNS1_11target_archE1030ELNS1_3gpuE2ELNS1_3repE0EEENS1_48merge_mergepath_partition_config_static_selectorELNS0_4arch9wavefront6targetE0EEEvSI_.num_named_barrier, 0
	.set _ZN7rocprim17ROCPRIM_400000_NS6detail17trampoline_kernelINS0_14default_configENS1_38merge_sort_block_merge_config_selectorIiNS0_10empty_typeEEEZZNS1_27merge_sort_block_merge_implIS3_N6thrust23THRUST_200600_302600_NS10device_ptrIiEEPS5_jNS1_19radix_merge_compareILb0ELb1EiNS0_19identity_decomposerEEEEE10hipError_tT0_T1_T2_jT3_P12ihipStream_tbPNSt15iterator_traitsISH_E10value_typeEPNSN_ISI_E10value_typeEPSJ_NS1_7vsmem_tEENKUlT_SH_SI_SJ_E_clISB_PiSC_SC_EESG_SW_SH_SI_SJ_EUlSW_E_NS1_11comp_targetILNS1_3genE8ELNS1_11target_archE1030ELNS1_3gpuE2ELNS1_3repE0EEENS1_48merge_mergepath_partition_config_static_selectorELNS0_4arch9wavefront6targetE0EEEvSI_.private_seg_size, 0
	.set _ZN7rocprim17ROCPRIM_400000_NS6detail17trampoline_kernelINS0_14default_configENS1_38merge_sort_block_merge_config_selectorIiNS0_10empty_typeEEEZZNS1_27merge_sort_block_merge_implIS3_N6thrust23THRUST_200600_302600_NS10device_ptrIiEEPS5_jNS1_19radix_merge_compareILb0ELb1EiNS0_19identity_decomposerEEEEE10hipError_tT0_T1_T2_jT3_P12ihipStream_tbPNSt15iterator_traitsISH_E10value_typeEPNSN_ISI_E10value_typeEPSJ_NS1_7vsmem_tEENKUlT_SH_SI_SJ_E_clISB_PiSC_SC_EESG_SW_SH_SI_SJ_EUlSW_E_NS1_11comp_targetILNS1_3genE8ELNS1_11target_archE1030ELNS1_3gpuE2ELNS1_3repE0EEENS1_48merge_mergepath_partition_config_static_selectorELNS0_4arch9wavefront6targetE0EEEvSI_.uses_vcc, 1
	.set _ZN7rocprim17ROCPRIM_400000_NS6detail17trampoline_kernelINS0_14default_configENS1_38merge_sort_block_merge_config_selectorIiNS0_10empty_typeEEEZZNS1_27merge_sort_block_merge_implIS3_N6thrust23THRUST_200600_302600_NS10device_ptrIiEEPS5_jNS1_19radix_merge_compareILb0ELb1EiNS0_19identity_decomposerEEEEE10hipError_tT0_T1_T2_jT3_P12ihipStream_tbPNSt15iterator_traitsISH_E10value_typeEPNSN_ISI_E10value_typeEPSJ_NS1_7vsmem_tEENKUlT_SH_SI_SJ_E_clISB_PiSC_SC_EESG_SW_SH_SI_SJ_EUlSW_E_NS1_11comp_targetILNS1_3genE8ELNS1_11target_archE1030ELNS1_3gpuE2ELNS1_3repE0EEENS1_48merge_mergepath_partition_config_static_selectorELNS0_4arch9wavefront6targetE0EEEvSI_.uses_flat_scratch, 1
	.set _ZN7rocprim17ROCPRIM_400000_NS6detail17trampoline_kernelINS0_14default_configENS1_38merge_sort_block_merge_config_selectorIiNS0_10empty_typeEEEZZNS1_27merge_sort_block_merge_implIS3_N6thrust23THRUST_200600_302600_NS10device_ptrIiEEPS5_jNS1_19radix_merge_compareILb0ELb1EiNS0_19identity_decomposerEEEEE10hipError_tT0_T1_T2_jT3_P12ihipStream_tbPNSt15iterator_traitsISH_E10value_typeEPNSN_ISI_E10value_typeEPSJ_NS1_7vsmem_tEENKUlT_SH_SI_SJ_E_clISB_PiSC_SC_EESG_SW_SH_SI_SJ_EUlSW_E_NS1_11comp_targetILNS1_3genE8ELNS1_11target_archE1030ELNS1_3gpuE2ELNS1_3repE0EEENS1_48merge_mergepath_partition_config_static_selectorELNS0_4arch9wavefront6targetE0EEEvSI_.has_dyn_sized_stack, 0
	.set _ZN7rocprim17ROCPRIM_400000_NS6detail17trampoline_kernelINS0_14default_configENS1_38merge_sort_block_merge_config_selectorIiNS0_10empty_typeEEEZZNS1_27merge_sort_block_merge_implIS3_N6thrust23THRUST_200600_302600_NS10device_ptrIiEEPS5_jNS1_19radix_merge_compareILb0ELb1EiNS0_19identity_decomposerEEEEE10hipError_tT0_T1_T2_jT3_P12ihipStream_tbPNSt15iterator_traitsISH_E10value_typeEPNSN_ISI_E10value_typeEPSJ_NS1_7vsmem_tEENKUlT_SH_SI_SJ_E_clISB_PiSC_SC_EESG_SW_SH_SI_SJ_EUlSW_E_NS1_11comp_targetILNS1_3genE8ELNS1_11target_archE1030ELNS1_3gpuE2ELNS1_3repE0EEENS1_48merge_mergepath_partition_config_static_selectorELNS0_4arch9wavefront6targetE0EEEvSI_.has_recursion, 0
	.set _ZN7rocprim17ROCPRIM_400000_NS6detail17trampoline_kernelINS0_14default_configENS1_38merge_sort_block_merge_config_selectorIiNS0_10empty_typeEEEZZNS1_27merge_sort_block_merge_implIS3_N6thrust23THRUST_200600_302600_NS10device_ptrIiEEPS5_jNS1_19radix_merge_compareILb0ELb1EiNS0_19identity_decomposerEEEEE10hipError_tT0_T1_T2_jT3_P12ihipStream_tbPNSt15iterator_traitsISH_E10value_typeEPNSN_ISI_E10value_typeEPSJ_NS1_7vsmem_tEENKUlT_SH_SI_SJ_E_clISB_PiSC_SC_EESG_SW_SH_SI_SJ_EUlSW_E_NS1_11comp_targetILNS1_3genE8ELNS1_11target_archE1030ELNS1_3gpuE2ELNS1_3repE0EEENS1_48merge_mergepath_partition_config_static_selectorELNS0_4arch9wavefront6targetE0EEEvSI_.has_indirect_call, 0
	.section	.AMDGPU.csdata,"",@progbits
; Kernel info:
; codeLenInByte = 448
; TotalNumSgprs: 10
; NumVgprs: 15
; ScratchSize: 0
; MemoryBound: 0
; FloatMode: 240
; IeeeMode: 1
; LDSByteSize: 0 bytes/workgroup (compile time only)
; SGPRBlocks: 0
; VGPRBlocks: 1
; NumSGPRsForWavesPerEU: 10
; NumVGPRsForWavesPerEU: 15
; Occupancy: 16
; WaveLimiterHint : 0
; COMPUTE_PGM_RSRC2:SCRATCH_EN: 0
; COMPUTE_PGM_RSRC2:USER_SGPR: 6
; COMPUTE_PGM_RSRC2:TRAP_HANDLER: 0
; COMPUTE_PGM_RSRC2:TGID_X_EN: 1
; COMPUTE_PGM_RSRC2:TGID_Y_EN: 0
; COMPUTE_PGM_RSRC2:TGID_Z_EN: 0
; COMPUTE_PGM_RSRC2:TIDIG_COMP_CNT: 0
	.section	.text._ZN7rocprim17ROCPRIM_400000_NS6detail17trampoline_kernelINS0_14default_configENS1_38merge_sort_block_merge_config_selectorIiNS0_10empty_typeEEEZZNS1_27merge_sort_block_merge_implIS3_N6thrust23THRUST_200600_302600_NS10device_ptrIiEEPS5_jNS1_19radix_merge_compareILb0ELb1EiNS0_19identity_decomposerEEEEE10hipError_tT0_T1_T2_jT3_P12ihipStream_tbPNSt15iterator_traitsISH_E10value_typeEPNSN_ISI_E10value_typeEPSJ_NS1_7vsmem_tEENKUlT_SH_SI_SJ_E_clISB_PiSC_SC_EESG_SW_SH_SI_SJ_EUlSW_E0_NS1_11comp_targetILNS1_3genE0ELNS1_11target_archE4294967295ELNS1_3gpuE0ELNS1_3repE0EEENS1_38merge_mergepath_config_static_selectorELNS0_4arch9wavefront6targetE0EEEvSI_,"axG",@progbits,_ZN7rocprim17ROCPRIM_400000_NS6detail17trampoline_kernelINS0_14default_configENS1_38merge_sort_block_merge_config_selectorIiNS0_10empty_typeEEEZZNS1_27merge_sort_block_merge_implIS3_N6thrust23THRUST_200600_302600_NS10device_ptrIiEEPS5_jNS1_19radix_merge_compareILb0ELb1EiNS0_19identity_decomposerEEEEE10hipError_tT0_T1_T2_jT3_P12ihipStream_tbPNSt15iterator_traitsISH_E10value_typeEPNSN_ISI_E10value_typeEPSJ_NS1_7vsmem_tEENKUlT_SH_SI_SJ_E_clISB_PiSC_SC_EESG_SW_SH_SI_SJ_EUlSW_E0_NS1_11comp_targetILNS1_3genE0ELNS1_11target_archE4294967295ELNS1_3gpuE0ELNS1_3repE0EEENS1_38merge_mergepath_config_static_selectorELNS0_4arch9wavefront6targetE0EEEvSI_,comdat
	.protected	_ZN7rocprim17ROCPRIM_400000_NS6detail17trampoline_kernelINS0_14default_configENS1_38merge_sort_block_merge_config_selectorIiNS0_10empty_typeEEEZZNS1_27merge_sort_block_merge_implIS3_N6thrust23THRUST_200600_302600_NS10device_ptrIiEEPS5_jNS1_19radix_merge_compareILb0ELb1EiNS0_19identity_decomposerEEEEE10hipError_tT0_T1_T2_jT3_P12ihipStream_tbPNSt15iterator_traitsISH_E10value_typeEPNSN_ISI_E10value_typeEPSJ_NS1_7vsmem_tEENKUlT_SH_SI_SJ_E_clISB_PiSC_SC_EESG_SW_SH_SI_SJ_EUlSW_E0_NS1_11comp_targetILNS1_3genE0ELNS1_11target_archE4294967295ELNS1_3gpuE0ELNS1_3repE0EEENS1_38merge_mergepath_config_static_selectorELNS0_4arch9wavefront6targetE0EEEvSI_ ; -- Begin function _ZN7rocprim17ROCPRIM_400000_NS6detail17trampoline_kernelINS0_14default_configENS1_38merge_sort_block_merge_config_selectorIiNS0_10empty_typeEEEZZNS1_27merge_sort_block_merge_implIS3_N6thrust23THRUST_200600_302600_NS10device_ptrIiEEPS5_jNS1_19radix_merge_compareILb0ELb1EiNS0_19identity_decomposerEEEEE10hipError_tT0_T1_T2_jT3_P12ihipStream_tbPNSt15iterator_traitsISH_E10value_typeEPNSN_ISI_E10value_typeEPSJ_NS1_7vsmem_tEENKUlT_SH_SI_SJ_E_clISB_PiSC_SC_EESG_SW_SH_SI_SJ_EUlSW_E0_NS1_11comp_targetILNS1_3genE0ELNS1_11target_archE4294967295ELNS1_3gpuE0ELNS1_3repE0EEENS1_38merge_mergepath_config_static_selectorELNS0_4arch9wavefront6targetE0EEEvSI_
	.globl	_ZN7rocprim17ROCPRIM_400000_NS6detail17trampoline_kernelINS0_14default_configENS1_38merge_sort_block_merge_config_selectorIiNS0_10empty_typeEEEZZNS1_27merge_sort_block_merge_implIS3_N6thrust23THRUST_200600_302600_NS10device_ptrIiEEPS5_jNS1_19radix_merge_compareILb0ELb1EiNS0_19identity_decomposerEEEEE10hipError_tT0_T1_T2_jT3_P12ihipStream_tbPNSt15iterator_traitsISH_E10value_typeEPNSN_ISI_E10value_typeEPSJ_NS1_7vsmem_tEENKUlT_SH_SI_SJ_E_clISB_PiSC_SC_EESG_SW_SH_SI_SJ_EUlSW_E0_NS1_11comp_targetILNS1_3genE0ELNS1_11target_archE4294967295ELNS1_3gpuE0ELNS1_3repE0EEENS1_38merge_mergepath_config_static_selectorELNS0_4arch9wavefront6targetE0EEEvSI_
	.p2align	8
	.type	_ZN7rocprim17ROCPRIM_400000_NS6detail17trampoline_kernelINS0_14default_configENS1_38merge_sort_block_merge_config_selectorIiNS0_10empty_typeEEEZZNS1_27merge_sort_block_merge_implIS3_N6thrust23THRUST_200600_302600_NS10device_ptrIiEEPS5_jNS1_19radix_merge_compareILb0ELb1EiNS0_19identity_decomposerEEEEE10hipError_tT0_T1_T2_jT3_P12ihipStream_tbPNSt15iterator_traitsISH_E10value_typeEPNSN_ISI_E10value_typeEPSJ_NS1_7vsmem_tEENKUlT_SH_SI_SJ_E_clISB_PiSC_SC_EESG_SW_SH_SI_SJ_EUlSW_E0_NS1_11comp_targetILNS1_3genE0ELNS1_11target_archE4294967295ELNS1_3gpuE0ELNS1_3repE0EEENS1_38merge_mergepath_config_static_selectorELNS0_4arch9wavefront6targetE0EEEvSI_,@function
_ZN7rocprim17ROCPRIM_400000_NS6detail17trampoline_kernelINS0_14default_configENS1_38merge_sort_block_merge_config_selectorIiNS0_10empty_typeEEEZZNS1_27merge_sort_block_merge_implIS3_N6thrust23THRUST_200600_302600_NS10device_ptrIiEEPS5_jNS1_19radix_merge_compareILb0ELb1EiNS0_19identity_decomposerEEEEE10hipError_tT0_T1_T2_jT3_P12ihipStream_tbPNSt15iterator_traitsISH_E10value_typeEPNSN_ISI_E10value_typeEPSJ_NS1_7vsmem_tEENKUlT_SH_SI_SJ_E_clISB_PiSC_SC_EESG_SW_SH_SI_SJ_EUlSW_E0_NS1_11comp_targetILNS1_3genE0ELNS1_11target_archE4294967295ELNS1_3gpuE0ELNS1_3repE0EEENS1_38merge_mergepath_config_static_selectorELNS0_4arch9wavefront6targetE0EEEvSI_: ; @_ZN7rocprim17ROCPRIM_400000_NS6detail17trampoline_kernelINS0_14default_configENS1_38merge_sort_block_merge_config_selectorIiNS0_10empty_typeEEEZZNS1_27merge_sort_block_merge_implIS3_N6thrust23THRUST_200600_302600_NS10device_ptrIiEEPS5_jNS1_19radix_merge_compareILb0ELb1EiNS0_19identity_decomposerEEEEE10hipError_tT0_T1_T2_jT3_P12ihipStream_tbPNSt15iterator_traitsISH_E10value_typeEPNSN_ISI_E10value_typeEPSJ_NS1_7vsmem_tEENKUlT_SH_SI_SJ_E_clISB_PiSC_SC_EESG_SW_SH_SI_SJ_EUlSW_E0_NS1_11comp_targetILNS1_3genE0ELNS1_11target_archE4294967295ELNS1_3gpuE0ELNS1_3repE0EEENS1_38merge_mergepath_config_static_selectorELNS0_4arch9wavefront6targetE0EEEvSI_
; %bb.0:
	.section	.rodata,"a",@progbits
	.p2align	6, 0x0
	.amdhsa_kernel _ZN7rocprim17ROCPRIM_400000_NS6detail17trampoline_kernelINS0_14default_configENS1_38merge_sort_block_merge_config_selectorIiNS0_10empty_typeEEEZZNS1_27merge_sort_block_merge_implIS3_N6thrust23THRUST_200600_302600_NS10device_ptrIiEEPS5_jNS1_19radix_merge_compareILb0ELb1EiNS0_19identity_decomposerEEEEE10hipError_tT0_T1_T2_jT3_P12ihipStream_tbPNSt15iterator_traitsISH_E10value_typeEPNSN_ISI_E10value_typeEPSJ_NS1_7vsmem_tEENKUlT_SH_SI_SJ_E_clISB_PiSC_SC_EESG_SW_SH_SI_SJ_EUlSW_E0_NS1_11comp_targetILNS1_3genE0ELNS1_11target_archE4294967295ELNS1_3gpuE0ELNS1_3repE0EEENS1_38merge_mergepath_config_static_selectorELNS0_4arch9wavefront6targetE0EEEvSI_
		.amdhsa_group_segment_fixed_size 0
		.amdhsa_private_segment_fixed_size 0
		.amdhsa_kernarg_size 64
		.amdhsa_user_sgpr_count 6
		.amdhsa_user_sgpr_private_segment_buffer 1
		.amdhsa_user_sgpr_dispatch_ptr 0
		.amdhsa_user_sgpr_queue_ptr 0
		.amdhsa_user_sgpr_kernarg_segment_ptr 1
		.amdhsa_user_sgpr_dispatch_id 0
		.amdhsa_user_sgpr_flat_scratch_init 0
		.amdhsa_user_sgpr_private_segment_size 0
		.amdhsa_wavefront_size32 1
		.amdhsa_uses_dynamic_stack 0
		.amdhsa_system_sgpr_private_segment_wavefront_offset 0
		.amdhsa_system_sgpr_workgroup_id_x 1
		.amdhsa_system_sgpr_workgroup_id_y 0
		.amdhsa_system_sgpr_workgroup_id_z 0
		.amdhsa_system_sgpr_workgroup_info 0
		.amdhsa_system_vgpr_workitem_id 0
		.amdhsa_next_free_vgpr 1
		.amdhsa_next_free_sgpr 1
		.amdhsa_reserve_vcc 0
		.amdhsa_reserve_flat_scratch 0
		.amdhsa_float_round_mode_32 0
		.amdhsa_float_round_mode_16_64 0
		.amdhsa_float_denorm_mode_32 3
		.amdhsa_float_denorm_mode_16_64 3
		.amdhsa_dx10_clamp 1
		.amdhsa_ieee_mode 1
		.amdhsa_fp16_overflow 0
		.amdhsa_workgroup_processor_mode 1
		.amdhsa_memory_ordered 1
		.amdhsa_forward_progress 1
		.amdhsa_shared_vgpr_count 0
		.amdhsa_exception_fp_ieee_invalid_op 0
		.amdhsa_exception_fp_denorm_src 0
		.amdhsa_exception_fp_ieee_div_zero 0
		.amdhsa_exception_fp_ieee_overflow 0
		.amdhsa_exception_fp_ieee_underflow 0
		.amdhsa_exception_fp_ieee_inexact 0
		.amdhsa_exception_int_div_zero 0
	.end_amdhsa_kernel
	.section	.text._ZN7rocprim17ROCPRIM_400000_NS6detail17trampoline_kernelINS0_14default_configENS1_38merge_sort_block_merge_config_selectorIiNS0_10empty_typeEEEZZNS1_27merge_sort_block_merge_implIS3_N6thrust23THRUST_200600_302600_NS10device_ptrIiEEPS5_jNS1_19radix_merge_compareILb0ELb1EiNS0_19identity_decomposerEEEEE10hipError_tT0_T1_T2_jT3_P12ihipStream_tbPNSt15iterator_traitsISH_E10value_typeEPNSN_ISI_E10value_typeEPSJ_NS1_7vsmem_tEENKUlT_SH_SI_SJ_E_clISB_PiSC_SC_EESG_SW_SH_SI_SJ_EUlSW_E0_NS1_11comp_targetILNS1_3genE0ELNS1_11target_archE4294967295ELNS1_3gpuE0ELNS1_3repE0EEENS1_38merge_mergepath_config_static_selectorELNS0_4arch9wavefront6targetE0EEEvSI_,"axG",@progbits,_ZN7rocprim17ROCPRIM_400000_NS6detail17trampoline_kernelINS0_14default_configENS1_38merge_sort_block_merge_config_selectorIiNS0_10empty_typeEEEZZNS1_27merge_sort_block_merge_implIS3_N6thrust23THRUST_200600_302600_NS10device_ptrIiEEPS5_jNS1_19radix_merge_compareILb0ELb1EiNS0_19identity_decomposerEEEEE10hipError_tT0_T1_T2_jT3_P12ihipStream_tbPNSt15iterator_traitsISH_E10value_typeEPNSN_ISI_E10value_typeEPSJ_NS1_7vsmem_tEENKUlT_SH_SI_SJ_E_clISB_PiSC_SC_EESG_SW_SH_SI_SJ_EUlSW_E0_NS1_11comp_targetILNS1_3genE0ELNS1_11target_archE4294967295ELNS1_3gpuE0ELNS1_3repE0EEENS1_38merge_mergepath_config_static_selectorELNS0_4arch9wavefront6targetE0EEEvSI_,comdat
.Lfunc_end1201:
	.size	_ZN7rocprim17ROCPRIM_400000_NS6detail17trampoline_kernelINS0_14default_configENS1_38merge_sort_block_merge_config_selectorIiNS0_10empty_typeEEEZZNS1_27merge_sort_block_merge_implIS3_N6thrust23THRUST_200600_302600_NS10device_ptrIiEEPS5_jNS1_19radix_merge_compareILb0ELb1EiNS0_19identity_decomposerEEEEE10hipError_tT0_T1_T2_jT3_P12ihipStream_tbPNSt15iterator_traitsISH_E10value_typeEPNSN_ISI_E10value_typeEPSJ_NS1_7vsmem_tEENKUlT_SH_SI_SJ_E_clISB_PiSC_SC_EESG_SW_SH_SI_SJ_EUlSW_E0_NS1_11comp_targetILNS1_3genE0ELNS1_11target_archE4294967295ELNS1_3gpuE0ELNS1_3repE0EEENS1_38merge_mergepath_config_static_selectorELNS0_4arch9wavefront6targetE0EEEvSI_, .Lfunc_end1201-_ZN7rocprim17ROCPRIM_400000_NS6detail17trampoline_kernelINS0_14default_configENS1_38merge_sort_block_merge_config_selectorIiNS0_10empty_typeEEEZZNS1_27merge_sort_block_merge_implIS3_N6thrust23THRUST_200600_302600_NS10device_ptrIiEEPS5_jNS1_19radix_merge_compareILb0ELb1EiNS0_19identity_decomposerEEEEE10hipError_tT0_T1_T2_jT3_P12ihipStream_tbPNSt15iterator_traitsISH_E10value_typeEPNSN_ISI_E10value_typeEPSJ_NS1_7vsmem_tEENKUlT_SH_SI_SJ_E_clISB_PiSC_SC_EESG_SW_SH_SI_SJ_EUlSW_E0_NS1_11comp_targetILNS1_3genE0ELNS1_11target_archE4294967295ELNS1_3gpuE0ELNS1_3repE0EEENS1_38merge_mergepath_config_static_selectorELNS0_4arch9wavefront6targetE0EEEvSI_
                                        ; -- End function
	.set _ZN7rocprim17ROCPRIM_400000_NS6detail17trampoline_kernelINS0_14default_configENS1_38merge_sort_block_merge_config_selectorIiNS0_10empty_typeEEEZZNS1_27merge_sort_block_merge_implIS3_N6thrust23THRUST_200600_302600_NS10device_ptrIiEEPS5_jNS1_19radix_merge_compareILb0ELb1EiNS0_19identity_decomposerEEEEE10hipError_tT0_T1_T2_jT3_P12ihipStream_tbPNSt15iterator_traitsISH_E10value_typeEPNSN_ISI_E10value_typeEPSJ_NS1_7vsmem_tEENKUlT_SH_SI_SJ_E_clISB_PiSC_SC_EESG_SW_SH_SI_SJ_EUlSW_E0_NS1_11comp_targetILNS1_3genE0ELNS1_11target_archE4294967295ELNS1_3gpuE0ELNS1_3repE0EEENS1_38merge_mergepath_config_static_selectorELNS0_4arch9wavefront6targetE0EEEvSI_.num_vgpr, 0
	.set _ZN7rocprim17ROCPRIM_400000_NS6detail17trampoline_kernelINS0_14default_configENS1_38merge_sort_block_merge_config_selectorIiNS0_10empty_typeEEEZZNS1_27merge_sort_block_merge_implIS3_N6thrust23THRUST_200600_302600_NS10device_ptrIiEEPS5_jNS1_19radix_merge_compareILb0ELb1EiNS0_19identity_decomposerEEEEE10hipError_tT0_T1_T2_jT3_P12ihipStream_tbPNSt15iterator_traitsISH_E10value_typeEPNSN_ISI_E10value_typeEPSJ_NS1_7vsmem_tEENKUlT_SH_SI_SJ_E_clISB_PiSC_SC_EESG_SW_SH_SI_SJ_EUlSW_E0_NS1_11comp_targetILNS1_3genE0ELNS1_11target_archE4294967295ELNS1_3gpuE0ELNS1_3repE0EEENS1_38merge_mergepath_config_static_selectorELNS0_4arch9wavefront6targetE0EEEvSI_.num_agpr, 0
	.set _ZN7rocprim17ROCPRIM_400000_NS6detail17trampoline_kernelINS0_14default_configENS1_38merge_sort_block_merge_config_selectorIiNS0_10empty_typeEEEZZNS1_27merge_sort_block_merge_implIS3_N6thrust23THRUST_200600_302600_NS10device_ptrIiEEPS5_jNS1_19radix_merge_compareILb0ELb1EiNS0_19identity_decomposerEEEEE10hipError_tT0_T1_T2_jT3_P12ihipStream_tbPNSt15iterator_traitsISH_E10value_typeEPNSN_ISI_E10value_typeEPSJ_NS1_7vsmem_tEENKUlT_SH_SI_SJ_E_clISB_PiSC_SC_EESG_SW_SH_SI_SJ_EUlSW_E0_NS1_11comp_targetILNS1_3genE0ELNS1_11target_archE4294967295ELNS1_3gpuE0ELNS1_3repE0EEENS1_38merge_mergepath_config_static_selectorELNS0_4arch9wavefront6targetE0EEEvSI_.numbered_sgpr, 0
	.set _ZN7rocprim17ROCPRIM_400000_NS6detail17trampoline_kernelINS0_14default_configENS1_38merge_sort_block_merge_config_selectorIiNS0_10empty_typeEEEZZNS1_27merge_sort_block_merge_implIS3_N6thrust23THRUST_200600_302600_NS10device_ptrIiEEPS5_jNS1_19radix_merge_compareILb0ELb1EiNS0_19identity_decomposerEEEEE10hipError_tT0_T1_T2_jT3_P12ihipStream_tbPNSt15iterator_traitsISH_E10value_typeEPNSN_ISI_E10value_typeEPSJ_NS1_7vsmem_tEENKUlT_SH_SI_SJ_E_clISB_PiSC_SC_EESG_SW_SH_SI_SJ_EUlSW_E0_NS1_11comp_targetILNS1_3genE0ELNS1_11target_archE4294967295ELNS1_3gpuE0ELNS1_3repE0EEENS1_38merge_mergepath_config_static_selectorELNS0_4arch9wavefront6targetE0EEEvSI_.num_named_barrier, 0
	.set _ZN7rocprim17ROCPRIM_400000_NS6detail17trampoline_kernelINS0_14default_configENS1_38merge_sort_block_merge_config_selectorIiNS0_10empty_typeEEEZZNS1_27merge_sort_block_merge_implIS3_N6thrust23THRUST_200600_302600_NS10device_ptrIiEEPS5_jNS1_19radix_merge_compareILb0ELb1EiNS0_19identity_decomposerEEEEE10hipError_tT0_T1_T2_jT3_P12ihipStream_tbPNSt15iterator_traitsISH_E10value_typeEPNSN_ISI_E10value_typeEPSJ_NS1_7vsmem_tEENKUlT_SH_SI_SJ_E_clISB_PiSC_SC_EESG_SW_SH_SI_SJ_EUlSW_E0_NS1_11comp_targetILNS1_3genE0ELNS1_11target_archE4294967295ELNS1_3gpuE0ELNS1_3repE0EEENS1_38merge_mergepath_config_static_selectorELNS0_4arch9wavefront6targetE0EEEvSI_.private_seg_size, 0
	.set _ZN7rocprim17ROCPRIM_400000_NS6detail17trampoline_kernelINS0_14default_configENS1_38merge_sort_block_merge_config_selectorIiNS0_10empty_typeEEEZZNS1_27merge_sort_block_merge_implIS3_N6thrust23THRUST_200600_302600_NS10device_ptrIiEEPS5_jNS1_19radix_merge_compareILb0ELb1EiNS0_19identity_decomposerEEEEE10hipError_tT0_T1_T2_jT3_P12ihipStream_tbPNSt15iterator_traitsISH_E10value_typeEPNSN_ISI_E10value_typeEPSJ_NS1_7vsmem_tEENKUlT_SH_SI_SJ_E_clISB_PiSC_SC_EESG_SW_SH_SI_SJ_EUlSW_E0_NS1_11comp_targetILNS1_3genE0ELNS1_11target_archE4294967295ELNS1_3gpuE0ELNS1_3repE0EEENS1_38merge_mergepath_config_static_selectorELNS0_4arch9wavefront6targetE0EEEvSI_.uses_vcc, 0
	.set _ZN7rocprim17ROCPRIM_400000_NS6detail17trampoline_kernelINS0_14default_configENS1_38merge_sort_block_merge_config_selectorIiNS0_10empty_typeEEEZZNS1_27merge_sort_block_merge_implIS3_N6thrust23THRUST_200600_302600_NS10device_ptrIiEEPS5_jNS1_19radix_merge_compareILb0ELb1EiNS0_19identity_decomposerEEEEE10hipError_tT0_T1_T2_jT3_P12ihipStream_tbPNSt15iterator_traitsISH_E10value_typeEPNSN_ISI_E10value_typeEPSJ_NS1_7vsmem_tEENKUlT_SH_SI_SJ_E_clISB_PiSC_SC_EESG_SW_SH_SI_SJ_EUlSW_E0_NS1_11comp_targetILNS1_3genE0ELNS1_11target_archE4294967295ELNS1_3gpuE0ELNS1_3repE0EEENS1_38merge_mergepath_config_static_selectorELNS0_4arch9wavefront6targetE0EEEvSI_.uses_flat_scratch, 0
	.set _ZN7rocprim17ROCPRIM_400000_NS6detail17trampoline_kernelINS0_14default_configENS1_38merge_sort_block_merge_config_selectorIiNS0_10empty_typeEEEZZNS1_27merge_sort_block_merge_implIS3_N6thrust23THRUST_200600_302600_NS10device_ptrIiEEPS5_jNS1_19radix_merge_compareILb0ELb1EiNS0_19identity_decomposerEEEEE10hipError_tT0_T1_T2_jT3_P12ihipStream_tbPNSt15iterator_traitsISH_E10value_typeEPNSN_ISI_E10value_typeEPSJ_NS1_7vsmem_tEENKUlT_SH_SI_SJ_E_clISB_PiSC_SC_EESG_SW_SH_SI_SJ_EUlSW_E0_NS1_11comp_targetILNS1_3genE0ELNS1_11target_archE4294967295ELNS1_3gpuE0ELNS1_3repE0EEENS1_38merge_mergepath_config_static_selectorELNS0_4arch9wavefront6targetE0EEEvSI_.has_dyn_sized_stack, 0
	.set _ZN7rocprim17ROCPRIM_400000_NS6detail17trampoline_kernelINS0_14default_configENS1_38merge_sort_block_merge_config_selectorIiNS0_10empty_typeEEEZZNS1_27merge_sort_block_merge_implIS3_N6thrust23THRUST_200600_302600_NS10device_ptrIiEEPS5_jNS1_19radix_merge_compareILb0ELb1EiNS0_19identity_decomposerEEEEE10hipError_tT0_T1_T2_jT3_P12ihipStream_tbPNSt15iterator_traitsISH_E10value_typeEPNSN_ISI_E10value_typeEPSJ_NS1_7vsmem_tEENKUlT_SH_SI_SJ_E_clISB_PiSC_SC_EESG_SW_SH_SI_SJ_EUlSW_E0_NS1_11comp_targetILNS1_3genE0ELNS1_11target_archE4294967295ELNS1_3gpuE0ELNS1_3repE0EEENS1_38merge_mergepath_config_static_selectorELNS0_4arch9wavefront6targetE0EEEvSI_.has_recursion, 0
	.set _ZN7rocprim17ROCPRIM_400000_NS6detail17trampoline_kernelINS0_14default_configENS1_38merge_sort_block_merge_config_selectorIiNS0_10empty_typeEEEZZNS1_27merge_sort_block_merge_implIS3_N6thrust23THRUST_200600_302600_NS10device_ptrIiEEPS5_jNS1_19radix_merge_compareILb0ELb1EiNS0_19identity_decomposerEEEEE10hipError_tT0_T1_T2_jT3_P12ihipStream_tbPNSt15iterator_traitsISH_E10value_typeEPNSN_ISI_E10value_typeEPSJ_NS1_7vsmem_tEENKUlT_SH_SI_SJ_E_clISB_PiSC_SC_EESG_SW_SH_SI_SJ_EUlSW_E0_NS1_11comp_targetILNS1_3genE0ELNS1_11target_archE4294967295ELNS1_3gpuE0ELNS1_3repE0EEENS1_38merge_mergepath_config_static_selectorELNS0_4arch9wavefront6targetE0EEEvSI_.has_indirect_call, 0
	.section	.AMDGPU.csdata,"",@progbits
; Kernel info:
; codeLenInByte = 0
; TotalNumSgprs: 0
; NumVgprs: 0
; ScratchSize: 0
; MemoryBound: 0
; FloatMode: 240
; IeeeMode: 1
; LDSByteSize: 0 bytes/workgroup (compile time only)
; SGPRBlocks: 0
; VGPRBlocks: 0
; NumSGPRsForWavesPerEU: 1
; NumVGPRsForWavesPerEU: 1
; Occupancy: 16
; WaveLimiterHint : 0
; COMPUTE_PGM_RSRC2:SCRATCH_EN: 0
; COMPUTE_PGM_RSRC2:USER_SGPR: 6
; COMPUTE_PGM_RSRC2:TRAP_HANDLER: 0
; COMPUTE_PGM_RSRC2:TGID_X_EN: 1
; COMPUTE_PGM_RSRC2:TGID_Y_EN: 0
; COMPUTE_PGM_RSRC2:TGID_Z_EN: 0
; COMPUTE_PGM_RSRC2:TIDIG_COMP_CNT: 0
	.section	.text._ZN7rocprim17ROCPRIM_400000_NS6detail17trampoline_kernelINS0_14default_configENS1_38merge_sort_block_merge_config_selectorIiNS0_10empty_typeEEEZZNS1_27merge_sort_block_merge_implIS3_N6thrust23THRUST_200600_302600_NS10device_ptrIiEEPS5_jNS1_19radix_merge_compareILb0ELb1EiNS0_19identity_decomposerEEEEE10hipError_tT0_T1_T2_jT3_P12ihipStream_tbPNSt15iterator_traitsISH_E10value_typeEPNSN_ISI_E10value_typeEPSJ_NS1_7vsmem_tEENKUlT_SH_SI_SJ_E_clISB_PiSC_SC_EESG_SW_SH_SI_SJ_EUlSW_E0_NS1_11comp_targetILNS1_3genE10ELNS1_11target_archE1201ELNS1_3gpuE5ELNS1_3repE0EEENS1_38merge_mergepath_config_static_selectorELNS0_4arch9wavefront6targetE0EEEvSI_,"axG",@progbits,_ZN7rocprim17ROCPRIM_400000_NS6detail17trampoline_kernelINS0_14default_configENS1_38merge_sort_block_merge_config_selectorIiNS0_10empty_typeEEEZZNS1_27merge_sort_block_merge_implIS3_N6thrust23THRUST_200600_302600_NS10device_ptrIiEEPS5_jNS1_19radix_merge_compareILb0ELb1EiNS0_19identity_decomposerEEEEE10hipError_tT0_T1_T2_jT3_P12ihipStream_tbPNSt15iterator_traitsISH_E10value_typeEPNSN_ISI_E10value_typeEPSJ_NS1_7vsmem_tEENKUlT_SH_SI_SJ_E_clISB_PiSC_SC_EESG_SW_SH_SI_SJ_EUlSW_E0_NS1_11comp_targetILNS1_3genE10ELNS1_11target_archE1201ELNS1_3gpuE5ELNS1_3repE0EEENS1_38merge_mergepath_config_static_selectorELNS0_4arch9wavefront6targetE0EEEvSI_,comdat
	.protected	_ZN7rocprim17ROCPRIM_400000_NS6detail17trampoline_kernelINS0_14default_configENS1_38merge_sort_block_merge_config_selectorIiNS0_10empty_typeEEEZZNS1_27merge_sort_block_merge_implIS3_N6thrust23THRUST_200600_302600_NS10device_ptrIiEEPS5_jNS1_19radix_merge_compareILb0ELb1EiNS0_19identity_decomposerEEEEE10hipError_tT0_T1_T2_jT3_P12ihipStream_tbPNSt15iterator_traitsISH_E10value_typeEPNSN_ISI_E10value_typeEPSJ_NS1_7vsmem_tEENKUlT_SH_SI_SJ_E_clISB_PiSC_SC_EESG_SW_SH_SI_SJ_EUlSW_E0_NS1_11comp_targetILNS1_3genE10ELNS1_11target_archE1201ELNS1_3gpuE5ELNS1_3repE0EEENS1_38merge_mergepath_config_static_selectorELNS0_4arch9wavefront6targetE0EEEvSI_ ; -- Begin function _ZN7rocprim17ROCPRIM_400000_NS6detail17trampoline_kernelINS0_14default_configENS1_38merge_sort_block_merge_config_selectorIiNS0_10empty_typeEEEZZNS1_27merge_sort_block_merge_implIS3_N6thrust23THRUST_200600_302600_NS10device_ptrIiEEPS5_jNS1_19radix_merge_compareILb0ELb1EiNS0_19identity_decomposerEEEEE10hipError_tT0_T1_T2_jT3_P12ihipStream_tbPNSt15iterator_traitsISH_E10value_typeEPNSN_ISI_E10value_typeEPSJ_NS1_7vsmem_tEENKUlT_SH_SI_SJ_E_clISB_PiSC_SC_EESG_SW_SH_SI_SJ_EUlSW_E0_NS1_11comp_targetILNS1_3genE10ELNS1_11target_archE1201ELNS1_3gpuE5ELNS1_3repE0EEENS1_38merge_mergepath_config_static_selectorELNS0_4arch9wavefront6targetE0EEEvSI_
	.globl	_ZN7rocprim17ROCPRIM_400000_NS6detail17trampoline_kernelINS0_14default_configENS1_38merge_sort_block_merge_config_selectorIiNS0_10empty_typeEEEZZNS1_27merge_sort_block_merge_implIS3_N6thrust23THRUST_200600_302600_NS10device_ptrIiEEPS5_jNS1_19radix_merge_compareILb0ELb1EiNS0_19identity_decomposerEEEEE10hipError_tT0_T1_T2_jT3_P12ihipStream_tbPNSt15iterator_traitsISH_E10value_typeEPNSN_ISI_E10value_typeEPSJ_NS1_7vsmem_tEENKUlT_SH_SI_SJ_E_clISB_PiSC_SC_EESG_SW_SH_SI_SJ_EUlSW_E0_NS1_11comp_targetILNS1_3genE10ELNS1_11target_archE1201ELNS1_3gpuE5ELNS1_3repE0EEENS1_38merge_mergepath_config_static_selectorELNS0_4arch9wavefront6targetE0EEEvSI_
	.p2align	8
	.type	_ZN7rocprim17ROCPRIM_400000_NS6detail17trampoline_kernelINS0_14default_configENS1_38merge_sort_block_merge_config_selectorIiNS0_10empty_typeEEEZZNS1_27merge_sort_block_merge_implIS3_N6thrust23THRUST_200600_302600_NS10device_ptrIiEEPS5_jNS1_19radix_merge_compareILb0ELb1EiNS0_19identity_decomposerEEEEE10hipError_tT0_T1_T2_jT3_P12ihipStream_tbPNSt15iterator_traitsISH_E10value_typeEPNSN_ISI_E10value_typeEPSJ_NS1_7vsmem_tEENKUlT_SH_SI_SJ_E_clISB_PiSC_SC_EESG_SW_SH_SI_SJ_EUlSW_E0_NS1_11comp_targetILNS1_3genE10ELNS1_11target_archE1201ELNS1_3gpuE5ELNS1_3repE0EEENS1_38merge_mergepath_config_static_selectorELNS0_4arch9wavefront6targetE0EEEvSI_,@function
_ZN7rocprim17ROCPRIM_400000_NS6detail17trampoline_kernelINS0_14default_configENS1_38merge_sort_block_merge_config_selectorIiNS0_10empty_typeEEEZZNS1_27merge_sort_block_merge_implIS3_N6thrust23THRUST_200600_302600_NS10device_ptrIiEEPS5_jNS1_19radix_merge_compareILb0ELb1EiNS0_19identity_decomposerEEEEE10hipError_tT0_T1_T2_jT3_P12ihipStream_tbPNSt15iterator_traitsISH_E10value_typeEPNSN_ISI_E10value_typeEPSJ_NS1_7vsmem_tEENKUlT_SH_SI_SJ_E_clISB_PiSC_SC_EESG_SW_SH_SI_SJ_EUlSW_E0_NS1_11comp_targetILNS1_3genE10ELNS1_11target_archE1201ELNS1_3gpuE5ELNS1_3repE0EEENS1_38merge_mergepath_config_static_selectorELNS0_4arch9wavefront6targetE0EEEvSI_: ; @_ZN7rocprim17ROCPRIM_400000_NS6detail17trampoline_kernelINS0_14default_configENS1_38merge_sort_block_merge_config_selectorIiNS0_10empty_typeEEEZZNS1_27merge_sort_block_merge_implIS3_N6thrust23THRUST_200600_302600_NS10device_ptrIiEEPS5_jNS1_19radix_merge_compareILb0ELb1EiNS0_19identity_decomposerEEEEE10hipError_tT0_T1_T2_jT3_P12ihipStream_tbPNSt15iterator_traitsISH_E10value_typeEPNSN_ISI_E10value_typeEPSJ_NS1_7vsmem_tEENKUlT_SH_SI_SJ_E_clISB_PiSC_SC_EESG_SW_SH_SI_SJ_EUlSW_E0_NS1_11comp_targetILNS1_3genE10ELNS1_11target_archE1201ELNS1_3gpuE5ELNS1_3repE0EEENS1_38merge_mergepath_config_static_selectorELNS0_4arch9wavefront6targetE0EEEvSI_
; %bb.0:
	.section	.rodata,"a",@progbits
	.p2align	6, 0x0
	.amdhsa_kernel _ZN7rocprim17ROCPRIM_400000_NS6detail17trampoline_kernelINS0_14default_configENS1_38merge_sort_block_merge_config_selectorIiNS0_10empty_typeEEEZZNS1_27merge_sort_block_merge_implIS3_N6thrust23THRUST_200600_302600_NS10device_ptrIiEEPS5_jNS1_19radix_merge_compareILb0ELb1EiNS0_19identity_decomposerEEEEE10hipError_tT0_T1_T2_jT3_P12ihipStream_tbPNSt15iterator_traitsISH_E10value_typeEPNSN_ISI_E10value_typeEPSJ_NS1_7vsmem_tEENKUlT_SH_SI_SJ_E_clISB_PiSC_SC_EESG_SW_SH_SI_SJ_EUlSW_E0_NS1_11comp_targetILNS1_3genE10ELNS1_11target_archE1201ELNS1_3gpuE5ELNS1_3repE0EEENS1_38merge_mergepath_config_static_selectorELNS0_4arch9wavefront6targetE0EEEvSI_
		.amdhsa_group_segment_fixed_size 0
		.amdhsa_private_segment_fixed_size 0
		.amdhsa_kernarg_size 64
		.amdhsa_user_sgpr_count 6
		.amdhsa_user_sgpr_private_segment_buffer 1
		.amdhsa_user_sgpr_dispatch_ptr 0
		.amdhsa_user_sgpr_queue_ptr 0
		.amdhsa_user_sgpr_kernarg_segment_ptr 1
		.amdhsa_user_sgpr_dispatch_id 0
		.amdhsa_user_sgpr_flat_scratch_init 0
		.amdhsa_user_sgpr_private_segment_size 0
		.amdhsa_wavefront_size32 1
		.amdhsa_uses_dynamic_stack 0
		.amdhsa_system_sgpr_private_segment_wavefront_offset 0
		.amdhsa_system_sgpr_workgroup_id_x 1
		.amdhsa_system_sgpr_workgroup_id_y 0
		.amdhsa_system_sgpr_workgroup_id_z 0
		.amdhsa_system_sgpr_workgroup_info 0
		.amdhsa_system_vgpr_workitem_id 0
		.amdhsa_next_free_vgpr 1
		.amdhsa_next_free_sgpr 1
		.amdhsa_reserve_vcc 0
		.amdhsa_reserve_flat_scratch 0
		.amdhsa_float_round_mode_32 0
		.amdhsa_float_round_mode_16_64 0
		.amdhsa_float_denorm_mode_32 3
		.amdhsa_float_denorm_mode_16_64 3
		.amdhsa_dx10_clamp 1
		.amdhsa_ieee_mode 1
		.amdhsa_fp16_overflow 0
		.amdhsa_workgroup_processor_mode 1
		.amdhsa_memory_ordered 1
		.amdhsa_forward_progress 1
		.amdhsa_shared_vgpr_count 0
		.amdhsa_exception_fp_ieee_invalid_op 0
		.amdhsa_exception_fp_denorm_src 0
		.amdhsa_exception_fp_ieee_div_zero 0
		.amdhsa_exception_fp_ieee_overflow 0
		.amdhsa_exception_fp_ieee_underflow 0
		.amdhsa_exception_fp_ieee_inexact 0
		.amdhsa_exception_int_div_zero 0
	.end_amdhsa_kernel
	.section	.text._ZN7rocprim17ROCPRIM_400000_NS6detail17trampoline_kernelINS0_14default_configENS1_38merge_sort_block_merge_config_selectorIiNS0_10empty_typeEEEZZNS1_27merge_sort_block_merge_implIS3_N6thrust23THRUST_200600_302600_NS10device_ptrIiEEPS5_jNS1_19radix_merge_compareILb0ELb1EiNS0_19identity_decomposerEEEEE10hipError_tT0_T1_T2_jT3_P12ihipStream_tbPNSt15iterator_traitsISH_E10value_typeEPNSN_ISI_E10value_typeEPSJ_NS1_7vsmem_tEENKUlT_SH_SI_SJ_E_clISB_PiSC_SC_EESG_SW_SH_SI_SJ_EUlSW_E0_NS1_11comp_targetILNS1_3genE10ELNS1_11target_archE1201ELNS1_3gpuE5ELNS1_3repE0EEENS1_38merge_mergepath_config_static_selectorELNS0_4arch9wavefront6targetE0EEEvSI_,"axG",@progbits,_ZN7rocprim17ROCPRIM_400000_NS6detail17trampoline_kernelINS0_14default_configENS1_38merge_sort_block_merge_config_selectorIiNS0_10empty_typeEEEZZNS1_27merge_sort_block_merge_implIS3_N6thrust23THRUST_200600_302600_NS10device_ptrIiEEPS5_jNS1_19radix_merge_compareILb0ELb1EiNS0_19identity_decomposerEEEEE10hipError_tT0_T1_T2_jT3_P12ihipStream_tbPNSt15iterator_traitsISH_E10value_typeEPNSN_ISI_E10value_typeEPSJ_NS1_7vsmem_tEENKUlT_SH_SI_SJ_E_clISB_PiSC_SC_EESG_SW_SH_SI_SJ_EUlSW_E0_NS1_11comp_targetILNS1_3genE10ELNS1_11target_archE1201ELNS1_3gpuE5ELNS1_3repE0EEENS1_38merge_mergepath_config_static_selectorELNS0_4arch9wavefront6targetE0EEEvSI_,comdat
.Lfunc_end1202:
	.size	_ZN7rocprim17ROCPRIM_400000_NS6detail17trampoline_kernelINS0_14default_configENS1_38merge_sort_block_merge_config_selectorIiNS0_10empty_typeEEEZZNS1_27merge_sort_block_merge_implIS3_N6thrust23THRUST_200600_302600_NS10device_ptrIiEEPS5_jNS1_19radix_merge_compareILb0ELb1EiNS0_19identity_decomposerEEEEE10hipError_tT0_T1_T2_jT3_P12ihipStream_tbPNSt15iterator_traitsISH_E10value_typeEPNSN_ISI_E10value_typeEPSJ_NS1_7vsmem_tEENKUlT_SH_SI_SJ_E_clISB_PiSC_SC_EESG_SW_SH_SI_SJ_EUlSW_E0_NS1_11comp_targetILNS1_3genE10ELNS1_11target_archE1201ELNS1_3gpuE5ELNS1_3repE0EEENS1_38merge_mergepath_config_static_selectorELNS0_4arch9wavefront6targetE0EEEvSI_, .Lfunc_end1202-_ZN7rocprim17ROCPRIM_400000_NS6detail17trampoline_kernelINS0_14default_configENS1_38merge_sort_block_merge_config_selectorIiNS0_10empty_typeEEEZZNS1_27merge_sort_block_merge_implIS3_N6thrust23THRUST_200600_302600_NS10device_ptrIiEEPS5_jNS1_19radix_merge_compareILb0ELb1EiNS0_19identity_decomposerEEEEE10hipError_tT0_T1_T2_jT3_P12ihipStream_tbPNSt15iterator_traitsISH_E10value_typeEPNSN_ISI_E10value_typeEPSJ_NS1_7vsmem_tEENKUlT_SH_SI_SJ_E_clISB_PiSC_SC_EESG_SW_SH_SI_SJ_EUlSW_E0_NS1_11comp_targetILNS1_3genE10ELNS1_11target_archE1201ELNS1_3gpuE5ELNS1_3repE0EEENS1_38merge_mergepath_config_static_selectorELNS0_4arch9wavefront6targetE0EEEvSI_
                                        ; -- End function
	.set _ZN7rocprim17ROCPRIM_400000_NS6detail17trampoline_kernelINS0_14default_configENS1_38merge_sort_block_merge_config_selectorIiNS0_10empty_typeEEEZZNS1_27merge_sort_block_merge_implIS3_N6thrust23THRUST_200600_302600_NS10device_ptrIiEEPS5_jNS1_19radix_merge_compareILb0ELb1EiNS0_19identity_decomposerEEEEE10hipError_tT0_T1_T2_jT3_P12ihipStream_tbPNSt15iterator_traitsISH_E10value_typeEPNSN_ISI_E10value_typeEPSJ_NS1_7vsmem_tEENKUlT_SH_SI_SJ_E_clISB_PiSC_SC_EESG_SW_SH_SI_SJ_EUlSW_E0_NS1_11comp_targetILNS1_3genE10ELNS1_11target_archE1201ELNS1_3gpuE5ELNS1_3repE0EEENS1_38merge_mergepath_config_static_selectorELNS0_4arch9wavefront6targetE0EEEvSI_.num_vgpr, 0
	.set _ZN7rocprim17ROCPRIM_400000_NS6detail17trampoline_kernelINS0_14default_configENS1_38merge_sort_block_merge_config_selectorIiNS0_10empty_typeEEEZZNS1_27merge_sort_block_merge_implIS3_N6thrust23THRUST_200600_302600_NS10device_ptrIiEEPS5_jNS1_19radix_merge_compareILb0ELb1EiNS0_19identity_decomposerEEEEE10hipError_tT0_T1_T2_jT3_P12ihipStream_tbPNSt15iterator_traitsISH_E10value_typeEPNSN_ISI_E10value_typeEPSJ_NS1_7vsmem_tEENKUlT_SH_SI_SJ_E_clISB_PiSC_SC_EESG_SW_SH_SI_SJ_EUlSW_E0_NS1_11comp_targetILNS1_3genE10ELNS1_11target_archE1201ELNS1_3gpuE5ELNS1_3repE0EEENS1_38merge_mergepath_config_static_selectorELNS0_4arch9wavefront6targetE0EEEvSI_.num_agpr, 0
	.set _ZN7rocprim17ROCPRIM_400000_NS6detail17trampoline_kernelINS0_14default_configENS1_38merge_sort_block_merge_config_selectorIiNS0_10empty_typeEEEZZNS1_27merge_sort_block_merge_implIS3_N6thrust23THRUST_200600_302600_NS10device_ptrIiEEPS5_jNS1_19radix_merge_compareILb0ELb1EiNS0_19identity_decomposerEEEEE10hipError_tT0_T1_T2_jT3_P12ihipStream_tbPNSt15iterator_traitsISH_E10value_typeEPNSN_ISI_E10value_typeEPSJ_NS1_7vsmem_tEENKUlT_SH_SI_SJ_E_clISB_PiSC_SC_EESG_SW_SH_SI_SJ_EUlSW_E0_NS1_11comp_targetILNS1_3genE10ELNS1_11target_archE1201ELNS1_3gpuE5ELNS1_3repE0EEENS1_38merge_mergepath_config_static_selectorELNS0_4arch9wavefront6targetE0EEEvSI_.numbered_sgpr, 0
	.set _ZN7rocprim17ROCPRIM_400000_NS6detail17trampoline_kernelINS0_14default_configENS1_38merge_sort_block_merge_config_selectorIiNS0_10empty_typeEEEZZNS1_27merge_sort_block_merge_implIS3_N6thrust23THRUST_200600_302600_NS10device_ptrIiEEPS5_jNS1_19radix_merge_compareILb0ELb1EiNS0_19identity_decomposerEEEEE10hipError_tT0_T1_T2_jT3_P12ihipStream_tbPNSt15iterator_traitsISH_E10value_typeEPNSN_ISI_E10value_typeEPSJ_NS1_7vsmem_tEENKUlT_SH_SI_SJ_E_clISB_PiSC_SC_EESG_SW_SH_SI_SJ_EUlSW_E0_NS1_11comp_targetILNS1_3genE10ELNS1_11target_archE1201ELNS1_3gpuE5ELNS1_3repE0EEENS1_38merge_mergepath_config_static_selectorELNS0_4arch9wavefront6targetE0EEEvSI_.num_named_barrier, 0
	.set _ZN7rocprim17ROCPRIM_400000_NS6detail17trampoline_kernelINS0_14default_configENS1_38merge_sort_block_merge_config_selectorIiNS0_10empty_typeEEEZZNS1_27merge_sort_block_merge_implIS3_N6thrust23THRUST_200600_302600_NS10device_ptrIiEEPS5_jNS1_19radix_merge_compareILb0ELb1EiNS0_19identity_decomposerEEEEE10hipError_tT0_T1_T2_jT3_P12ihipStream_tbPNSt15iterator_traitsISH_E10value_typeEPNSN_ISI_E10value_typeEPSJ_NS1_7vsmem_tEENKUlT_SH_SI_SJ_E_clISB_PiSC_SC_EESG_SW_SH_SI_SJ_EUlSW_E0_NS1_11comp_targetILNS1_3genE10ELNS1_11target_archE1201ELNS1_3gpuE5ELNS1_3repE0EEENS1_38merge_mergepath_config_static_selectorELNS0_4arch9wavefront6targetE0EEEvSI_.private_seg_size, 0
	.set _ZN7rocprim17ROCPRIM_400000_NS6detail17trampoline_kernelINS0_14default_configENS1_38merge_sort_block_merge_config_selectorIiNS0_10empty_typeEEEZZNS1_27merge_sort_block_merge_implIS3_N6thrust23THRUST_200600_302600_NS10device_ptrIiEEPS5_jNS1_19radix_merge_compareILb0ELb1EiNS0_19identity_decomposerEEEEE10hipError_tT0_T1_T2_jT3_P12ihipStream_tbPNSt15iterator_traitsISH_E10value_typeEPNSN_ISI_E10value_typeEPSJ_NS1_7vsmem_tEENKUlT_SH_SI_SJ_E_clISB_PiSC_SC_EESG_SW_SH_SI_SJ_EUlSW_E0_NS1_11comp_targetILNS1_3genE10ELNS1_11target_archE1201ELNS1_3gpuE5ELNS1_3repE0EEENS1_38merge_mergepath_config_static_selectorELNS0_4arch9wavefront6targetE0EEEvSI_.uses_vcc, 0
	.set _ZN7rocprim17ROCPRIM_400000_NS6detail17trampoline_kernelINS0_14default_configENS1_38merge_sort_block_merge_config_selectorIiNS0_10empty_typeEEEZZNS1_27merge_sort_block_merge_implIS3_N6thrust23THRUST_200600_302600_NS10device_ptrIiEEPS5_jNS1_19radix_merge_compareILb0ELb1EiNS0_19identity_decomposerEEEEE10hipError_tT0_T1_T2_jT3_P12ihipStream_tbPNSt15iterator_traitsISH_E10value_typeEPNSN_ISI_E10value_typeEPSJ_NS1_7vsmem_tEENKUlT_SH_SI_SJ_E_clISB_PiSC_SC_EESG_SW_SH_SI_SJ_EUlSW_E0_NS1_11comp_targetILNS1_3genE10ELNS1_11target_archE1201ELNS1_3gpuE5ELNS1_3repE0EEENS1_38merge_mergepath_config_static_selectorELNS0_4arch9wavefront6targetE0EEEvSI_.uses_flat_scratch, 0
	.set _ZN7rocprim17ROCPRIM_400000_NS6detail17trampoline_kernelINS0_14default_configENS1_38merge_sort_block_merge_config_selectorIiNS0_10empty_typeEEEZZNS1_27merge_sort_block_merge_implIS3_N6thrust23THRUST_200600_302600_NS10device_ptrIiEEPS5_jNS1_19radix_merge_compareILb0ELb1EiNS0_19identity_decomposerEEEEE10hipError_tT0_T1_T2_jT3_P12ihipStream_tbPNSt15iterator_traitsISH_E10value_typeEPNSN_ISI_E10value_typeEPSJ_NS1_7vsmem_tEENKUlT_SH_SI_SJ_E_clISB_PiSC_SC_EESG_SW_SH_SI_SJ_EUlSW_E0_NS1_11comp_targetILNS1_3genE10ELNS1_11target_archE1201ELNS1_3gpuE5ELNS1_3repE0EEENS1_38merge_mergepath_config_static_selectorELNS0_4arch9wavefront6targetE0EEEvSI_.has_dyn_sized_stack, 0
	.set _ZN7rocprim17ROCPRIM_400000_NS6detail17trampoline_kernelINS0_14default_configENS1_38merge_sort_block_merge_config_selectorIiNS0_10empty_typeEEEZZNS1_27merge_sort_block_merge_implIS3_N6thrust23THRUST_200600_302600_NS10device_ptrIiEEPS5_jNS1_19radix_merge_compareILb0ELb1EiNS0_19identity_decomposerEEEEE10hipError_tT0_T1_T2_jT3_P12ihipStream_tbPNSt15iterator_traitsISH_E10value_typeEPNSN_ISI_E10value_typeEPSJ_NS1_7vsmem_tEENKUlT_SH_SI_SJ_E_clISB_PiSC_SC_EESG_SW_SH_SI_SJ_EUlSW_E0_NS1_11comp_targetILNS1_3genE10ELNS1_11target_archE1201ELNS1_3gpuE5ELNS1_3repE0EEENS1_38merge_mergepath_config_static_selectorELNS0_4arch9wavefront6targetE0EEEvSI_.has_recursion, 0
	.set _ZN7rocprim17ROCPRIM_400000_NS6detail17trampoline_kernelINS0_14default_configENS1_38merge_sort_block_merge_config_selectorIiNS0_10empty_typeEEEZZNS1_27merge_sort_block_merge_implIS3_N6thrust23THRUST_200600_302600_NS10device_ptrIiEEPS5_jNS1_19radix_merge_compareILb0ELb1EiNS0_19identity_decomposerEEEEE10hipError_tT0_T1_T2_jT3_P12ihipStream_tbPNSt15iterator_traitsISH_E10value_typeEPNSN_ISI_E10value_typeEPSJ_NS1_7vsmem_tEENKUlT_SH_SI_SJ_E_clISB_PiSC_SC_EESG_SW_SH_SI_SJ_EUlSW_E0_NS1_11comp_targetILNS1_3genE10ELNS1_11target_archE1201ELNS1_3gpuE5ELNS1_3repE0EEENS1_38merge_mergepath_config_static_selectorELNS0_4arch9wavefront6targetE0EEEvSI_.has_indirect_call, 0
	.section	.AMDGPU.csdata,"",@progbits
; Kernel info:
; codeLenInByte = 0
; TotalNumSgprs: 0
; NumVgprs: 0
; ScratchSize: 0
; MemoryBound: 0
; FloatMode: 240
; IeeeMode: 1
; LDSByteSize: 0 bytes/workgroup (compile time only)
; SGPRBlocks: 0
; VGPRBlocks: 0
; NumSGPRsForWavesPerEU: 1
; NumVGPRsForWavesPerEU: 1
; Occupancy: 16
; WaveLimiterHint : 0
; COMPUTE_PGM_RSRC2:SCRATCH_EN: 0
; COMPUTE_PGM_RSRC2:USER_SGPR: 6
; COMPUTE_PGM_RSRC2:TRAP_HANDLER: 0
; COMPUTE_PGM_RSRC2:TGID_X_EN: 1
; COMPUTE_PGM_RSRC2:TGID_Y_EN: 0
; COMPUTE_PGM_RSRC2:TGID_Z_EN: 0
; COMPUTE_PGM_RSRC2:TIDIG_COMP_CNT: 0
	.section	.text._ZN7rocprim17ROCPRIM_400000_NS6detail17trampoline_kernelINS0_14default_configENS1_38merge_sort_block_merge_config_selectorIiNS0_10empty_typeEEEZZNS1_27merge_sort_block_merge_implIS3_N6thrust23THRUST_200600_302600_NS10device_ptrIiEEPS5_jNS1_19radix_merge_compareILb0ELb1EiNS0_19identity_decomposerEEEEE10hipError_tT0_T1_T2_jT3_P12ihipStream_tbPNSt15iterator_traitsISH_E10value_typeEPNSN_ISI_E10value_typeEPSJ_NS1_7vsmem_tEENKUlT_SH_SI_SJ_E_clISB_PiSC_SC_EESG_SW_SH_SI_SJ_EUlSW_E0_NS1_11comp_targetILNS1_3genE5ELNS1_11target_archE942ELNS1_3gpuE9ELNS1_3repE0EEENS1_38merge_mergepath_config_static_selectorELNS0_4arch9wavefront6targetE0EEEvSI_,"axG",@progbits,_ZN7rocprim17ROCPRIM_400000_NS6detail17trampoline_kernelINS0_14default_configENS1_38merge_sort_block_merge_config_selectorIiNS0_10empty_typeEEEZZNS1_27merge_sort_block_merge_implIS3_N6thrust23THRUST_200600_302600_NS10device_ptrIiEEPS5_jNS1_19radix_merge_compareILb0ELb1EiNS0_19identity_decomposerEEEEE10hipError_tT0_T1_T2_jT3_P12ihipStream_tbPNSt15iterator_traitsISH_E10value_typeEPNSN_ISI_E10value_typeEPSJ_NS1_7vsmem_tEENKUlT_SH_SI_SJ_E_clISB_PiSC_SC_EESG_SW_SH_SI_SJ_EUlSW_E0_NS1_11comp_targetILNS1_3genE5ELNS1_11target_archE942ELNS1_3gpuE9ELNS1_3repE0EEENS1_38merge_mergepath_config_static_selectorELNS0_4arch9wavefront6targetE0EEEvSI_,comdat
	.protected	_ZN7rocprim17ROCPRIM_400000_NS6detail17trampoline_kernelINS0_14default_configENS1_38merge_sort_block_merge_config_selectorIiNS0_10empty_typeEEEZZNS1_27merge_sort_block_merge_implIS3_N6thrust23THRUST_200600_302600_NS10device_ptrIiEEPS5_jNS1_19radix_merge_compareILb0ELb1EiNS0_19identity_decomposerEEEEE10hipError_tT0_T1_T2_jT3_P12ihipStream_tbPNSt15iterator_traitsISH_E10value_typeEPNSN_ISI_E10value_typeEPSJ_NS1_7vsmem_tEENKUlT_SH_SI_SJ_E_clISB_PiSC_SC_EESG_SW_SH_SI_SJ_EUlSW_E0_NS1_11comp_targetILNS1_3genE5ELNS1_11target_archE942ELNS1_3gpuE9ELNS1_3repE0EEENS1_38merge_mergepath_config_static_selectorELNS0_4arch9wavefront6targetE0EEEvSI_ ; -- Begin function _ZN7rocprim17ROCPRIM_400000_NS6detail17trampoline_kernelINS0_14default_configENS1_38merge_sort_block_merge_config_selectorIiNS0_10empty_typeEEEZZNS1_27merge_sort_block_merge_implIS3_N6thrust23THRUST_200600_302600_NS10device_ptrIiEEPS5_jNS1_19radix_merge_compareILb0ELb1EiNS0_19identity_decomposerEEEEE10hipError_tT0_T1_T2_jT3_P12ihipStream_tbPNSt15iterator_traitsISH_E10value_typeEPNSN_ISI_E10value_typeEPSJ_NS1_7vsmem_tEENKUlT_SH_SI_SJ_E_clISB_PiSC_SC_EESG_SW_SH_SI_SJ_EUlSW_E0_NS1_11comp_targetILNS1_3genE5ELNS1_11target_archE942ELNS1_3gpuE9ELNS1_3repE0EEENS1_38merge_mergepath_config_static_selectorELNS0_4arch9wavefront6targetE0EEEvSI_
	.globl	_ZN7rocprim17ROCPRIM_400000_NS6detail17trampoline_kernelINS0_14default_configENS1_38merge_sort_block_merge_config_selectorIiNS0_10empty_typeEEEZZNS1_27merge_sort_block_merge_implIS3_N6thrust23THRUST_200600_302600_NS10device_ptrIiEEPS5_jNS1_19radix_merge_compareILb0ELb1EiNS0_19identity_decomposerEEEEE10hipError_tT0_T1_T2_jT3_P12ihipStream_tbPNSt15iterator_traitsISH_E10value_typeEPNSN_ISI_E10value_typeEPSJ_NS1_7vsmem_tEENKUlT_SH_SI_SJ_E_clISB_PiSC_SC_EESG_SW_SH_SI_SJ_EUlSW_E0_NS1_11comp_targetILNS1_3genE5ELNS1_11target_archE942ELNS1_3gpuE9ELNS1_3repE0EEENS1_38merge_mergepath_config_static_selectorELNS0_4arch9wavefront6targetE0EEEvSI_
	.p2align	8
	.type	_ZN7rocprim17ROCPRIM_400000_NS6detail17trampoline_kernelINS0_14default_configENS1_38merge_sort_block_merge_config_selectorIiNS0_10empty_typeEEEZZNS1_27merge_sort_block_merge_implIS3_N6thrust23THRUST_200600_302600_NS10device_ptrIiEEPS5_jNS1_19radix_merge_compareILb0ELb1EiNS0_19identity_decomposerEEEEE10hipError_tT0_T1_T2_jT3_P12ihipStream_tbPNSt15iterator_traitsISH_E10value_typeEPNSN_ISI_E10value_typeEPSJ_NS1_7vsmem_tEENKUlT_SH_SI_SJ_E_clISB_PiSC_SC_EESG_SW_SH_SI_SJ_EUlSW_E0_NS1_11comp_targetILNS1_3genE5ELNS1_11target_archE942ELNS1_3gpuE9ELNS1_3repE0EEENS1_38merge_mergepath_config_static_selectorELNS0_4arch9wavefront6targetE0EEEvSI_,@function
_ZN7rocprim17ROCPRIM_400000_NS6detail17trampoline_kernelINS0_14default_configENS1_38merge_sort_block_merge_config_selectorIiNS0_10empty_typeEEEZZNS1_27merge_sort_block_merge_implIS3_N6thrust23THRUST_200600_302600_NS10device_ptrIiEEPS5_jNS1_19radix_merge_compareILb0ELb1EiNS0_19identity_decomposerEEEEE10hipError_tT0_T1_T2_jT3_P12ihipStream_tbPNSt15iterator_traitsISH_E10value_typeEPNSN_ISI_E10value_typeEPSJ_NS1_7vsmem_tEENKUlT_SH_SI_SJ_E_clISB_PiSC_SC_EESG_SW_SH_SI_SJ_EUlSW_E0_NS1_11comp_targetILNS1_3genE5ELNS1_11target_archE942ELNS1_3gpuE9ELNS1_3repE0EEENS1_38merge_mergepath_config_static_selectorELNS0_4arch9wavefront6targetE0EEEvSI_: ; @_ZN7rocprim17ROCPRIM_400000_NS6detail17trampoline_kernelINS0_14default_configENS1_38merge_sort_block_merge_config_selectorIiNS0_10empty_typeEEEZZNS1_27merge_sort_block_merge_implIS3_N6thrust23THRUST_200600_302600_NS10device_ptrIiEEPS5_jNS1_19radix_merge_compareILb0ELb1EiNS0_19identity_decomposerEEEEE10hipError_tT0_T1_T2_jT3_P12ihipStream_tbPNSt15iterator_traitsISH_E10value_typeEPNSN_ISI_E10value_typeEPSJ_NS1_7vsmem_tEENKUlT_SH_SI_SJ_E_clISB_PiSC_SC_EESG_SW_SH_SI_SJ_EUlSW_E0_NS1_11comp_targetILNS1_3genE5ELNS1_11target_archE942ELNS1_3gpuE9ELNS1_3repE0EEENS1_38merge_mergepath_config_static_selectorELNS0_4arch9wavefront6targetE0EEEvSI_
; %bb.0:
	.section	.rodata,"a",@progbits
	.p2align	6, 0x0
	.amdhsa_kernel _ZN7rocprim17ROCPRIM_400000_NS6detail17trampoline_kernelINS0_14default_configENS1_38merge_sort_block_merge_config_selectorIiNS0_10empty_typeEEEZZNS1_27merge_sort_block_merge_implIS3_N6thrust23THRUST_200600_302600_NS10device_ptrIiEEPS5_jNS1_19radix_merge_compareILb0ELb1EiNS0_19identity_decomposerEEEEE10hipError_tT0_T1_T2_jT3_P12ihipStream_tbPNSt15iterator_traitsISH_E10value_typeEPNSN_ISI_E10value_typeEPSJ_NS1_7vsmem_tEENKUlT_SH_SI_SJ_E_clISB_PiSC_SC_EESG_SW_SH_SI_SJ_EUlSW_E0_NS1_11comp_targetILNS1_3genE5ELNS1_11target_archE942ELNS1_3gpuE9ELNS1_3repE0EEENS1_38merge_mergepath_config_static_selectorELNS0_4arch9wavefront6targetE0EEEvSI_
		.amdhsa_group_segment_fixed_size 0
		.amdhsa_private_segment_fixed_size 0
		.amdhsa_kernarg_size 64
		.amdhsa_user_sgpr_count 6
		.amdhsa_user_sgpr_private_segment_buffer 1
		.amdhsa_user_sgpr_dispatch_ptr 0
		.amdhsa_user_sgpr_queue_ptr 0
		.amdhsa_user_sgpr_kernarg_segment_ptr 1
		.amdhsa_user_sgpr_dispatch_id 0
		.amdhsa_user_sgpr_flat_scratch_init 0
		.amdhsa_user_sgpr_private_segment_size 0
		.amdhsa_wavefront_size32 1
		.amdhsa_uses_dynamic_stack 0
		.amdhsa_system_sgpr_private_segment_wavefront_offset 0
		.amdhsa_system_sgpr_workgroup_id_x 1
		.amdhsa_system_sgpr_workgroup_id_y 0
		.amdhsa_system_sgpr_workgroup_id_z 0
		.amdhsa_system_sgpr_workgroup_info 0
		.amdhsa_system_vgpr_workitem_id 0
		.amdhsa_next_free_vgpr 1
		.amdhsa_next_free_sgpr 1
		.amdhsa_reserve_vcc 0
		.amdhsa_reserve_flat_scratch 0
		.amdhsa_float_round_mode_32 0
		.amdhsa_float_round_mode_16_64 0
		.amdhsa_float_denorm_mode_32 3
		.amdhsa_float_denorm_mode_16_64 3
		.amdhsa_dx10_clamp 1
		.amdhsa_ieee_mode 1
		.amdhsa_fp16_overflow 0
		.amdhsa_workgroup_processor_mode 1
		.amdhsa_memory_ordered 1
		.amdhsa_forward_progress 1
		.amdhsa_shared_vgpr_count 0
		.amdhsa_exception_fp_ieee_invalid_op 0
		.amdhsa_exception_fp_denorm_src 0
		.amdhsa_exception_fp_ieee_div_zero 0
		.amdhsa_exception_fp_ieee_overflow 0
		.amdhsa_exception_fp_ieee_underflow 0
		.amdhsa_exception_fp_ieee_inexact 0
		.amdhsa_exception_int_div_zero 0
	.end_amdhsa_kernel
	.section	.text._ZN7rocprim17ROCPRIM_400000_NS6detail17trampoline_kernelINS0_14default_configENS1_38merge_sort_block_merge_config_selectorIiNS0_10empty_typeEEEZZNS1_27merge_sort_block_merge_implIS3_N6thrust23THRUST_200600_302600_NS10device_ptrIiEEPS5_jNS1_19radix_merge_compareILb0ELb1EiNS0_19identity_decomposerEEEEE10hipError_tT0_T1_T2_jT3_P12ihipStream_tbPNSt15iterator_traitsISH_E10value_typeEPNSN_ISI_E10value_typeEPSJ_NS1_7vsmem_tEENKUlT_SH_SI_SJ_E_clISB_PiSC_SC_EESG_SW_SH_SI_SJ_EUlSW_E0_NS1_11comp_targetILNS1_3genE5ELNS1_11target_archE942ELNS1_3gpuE9ELNS1_3repE0EEENS1_38merge_mergepath_config_static_selectorELNS0_4arch9wavefront6targetE0EEEvSI_,"axG",@progbits,_ZN7rocprim17ROCPRIM_400000_NS6detail17trampoline_kernelINS0_14default_configENS1_38merge_sort_block_merge_config_selectorIiNS0_10empty_typeEEEZZNS1_27merge_sort_block_merge_implIS3_N6thrust23THRUST_200600_302600_NS10device_ptrIiEEPS5_jNS1_19radix_merge_compareILb0ELb1EiNS0_19identity_decomposerEEEEE10hipError_tT0_T1_T2_jT3_P12ihipStream_tbPNSt15iterator_traitsISH_E10value_typeEPNSN_ISI_E10value_typeEPSJ_NS1_7vsmem_tEENKUlT_SH_SI_SJ_E_clISB_PiSC_SC_EESG_SW_SH_SI_SJ_EUlSW_E0_NS1_11comp_targetILNS1_3genE5ELNS1_11target_archE942ELNS1_3gpuE9ELNS1_3repE0EEENS1_38merge_mergepath_config_static_selectorELNS0_4arch9wavefront6targetE0EEEvSI_,comdat
.Lfunc_end1203:
	.size	_ZN7rocprim17ROCPRIM_400000_NS6detail17trampoline_kernelINS0_14default_configENS1_38merge_sort_block_merge_config_selectorIiNS0_10empty_typeEEEZZNS1_27merge_sort_block_merge_implIS3_N6thrust23THRUST_200600_302600_NS10device_ptrIiEEPS5_jNS1_19radix_merge_compareILb0ELb1EiNS0_19identity_decomposerEEEEE10hipError_tT0_T1_T2_jT3_P12ihipStream_tbPNSt15iterator_traitsISH_E10value_typeEPNSN_ISI_E10value_typeEPSJ_NS1_7vsmem_tEENKUlT_SH_SI_SJ_E_clISB_PiSC_SC_EESG_SW_SH_SI_SJ_EUlSW_E0_NS1_11comp_targetILNS1_3genE5ELNS1_11target_archE942ELNS1_3gpuE9ELNS1_3repE0EEENS1_38merge_mergepath_config_static_selectorELNS0_4arch9wavefront6targetE0EEEvSI_, .Lfunc_end1203-_ZN7rocprim17ROCPRIM_400000_NS6detail17trampoline_kernelINS0_14default_configENS1_38merge_sort_block_merge_config_selectorIiNS0_10empty_typeEEEZZNS1_27merge_sort_block_merge_implIS3_N6thrust23THRUST_200600_302600_NS10device_ptrIiEEPS5_jNS1_19radix_merge_compareILb0ELb1EiNS0_19identity_decomposerEEEEE10hipError_tT0_T1_T2_jT3_P12ihipStream_tbPNSt15iterator_traitsISH_E10value_typeEPNSN_ISI_E10value_typeEPSJ_NS1_7vsmem_tEENKUlT_SH_SI_SJ_E_clISB_PiSC_SC_EESG_SW_SH_SI_SJ_EUlSW_E0_NS1_11comp_targetILNS1_3genE5ELNS1_11target_archE942ELNS1_3gpuE9ELNS1_3repE0EEENS1_38merge_mergepath_config_static_selectorELNS0_4arch9wavefront6targetE0EEEvSI_
                                        ; -- End function
	.set _ZN7rocprim17ROCPRIM_400000_NS6detail17trampoline_kernelINS0_14default_configENS1_38merge_sort_block_merge_config_selectorIiNS0_10empty_typeEEEZZNS1_27merge_sort_block_merge_implIS3_N6thrust23THRUST_200600_302600_NS10device_ptrIiEEPS5_jNS1_19radix_merge_compareILb0ELb1EiNS0_19identity_decomposerEEEEE10hipError_tT0_T1_T2_jT3_P12ihipStream_tbPNSt15iterator_traitsISH_E10value_typeEPNSN_ISI_E10value_typeEPSJ_NS1_7vsmem_tEENKUlT_SH_SI_SJ_E_clISB_PiSC_SC_EESG_SW_SH_SI_SJ_EUlSW_E0_NS1_11comp_targetILNS1_3genE5ELNS1_11target_archE942ELNS1_3gpuE9ELNS1_3repE0EEENS1_38merge_mergepath_config_static_selectorELNS0_4arch9wavefront6targetE0EEEvSI_.num_vgpr, 0
	.set _ZN7rocprim17ROCPRIM_400000_NS6detail17trampoline_kernelINS0_14default_configENS1_38merge_sort_block_merge_config_selectorIiNS0_10empty_typeEEEZZNS1_27merge_sort_block_merge_implIS3_N6thrust23THRUST_200600_302600_NS10device_ptrIiEEPS5_jNS1_19radix_merge_compareILb0ELb1EiNS0_19identity_decomposerEEEEE10hipError_tT0_T1_T2_jT3_P12ihipStream_tbPNSt15iterator_traitsISH_E10value_typeEPNSN_ISI_E10value_typeEPSJ_NS1_7vsmem_tEENKUlT_SH_SI_SJ_E_clISB_PiSC_SC_EESG_SW_SH_SI_SJ_EUlSW_E0_NS1_11comp_targetILNS1_3genE5ELNS1_11target_archE942ELNS1_3gpuE9ELNS1_3repE0EEENS1_38merge_mergepath_config_static_selectorELNS0_4arch9wavefront6targetE0EEEvSI_.num_agpr, 0
	.set _ZN7rocprim17ROCPRIM_400000_NS6detail17trampoline_kernelINS0_14default_configENS1_38merge_sort_block_merge_config_selectorIiNS0_10empty_typeEEEZZNS1_27merge_sort_block_merge_implIS3_N6thrust23THRUST_200600_302600_NS10device_ptrIiEEPS5_jNS1_19radix_merge_compareILb0ELb1EiNS0_19identity_decomposerEEEEE10hipError_tT0_T1_T2_jT3_P12ihipStream_tbPNSt15iterator_traitsISH_E10value_typeEPNSN_ISI_E10value_typeEPSJ_NS1_7vsmem_tEENKUlT_SH_SI_SJ_E_clISB_PiSC_SC_EESG_SW_SH_SI_SJ_EUlSW_E0_NS1_11comp_targetILNS1_3genE5ELNS1_11target_archE942ELNS1_3gpuE9ELNS1_3repE0EEENS1_38merge_mergepath_config_static_selectorELNS0_4arch9wavefront6targetE0EEEvSI_.numbered_sgpr, 0
	.set _ZN7rocprim17ROCPRIM_400000_NS6detail17trampoline_kernelINS0_14default_configENS1_38merge_sort_block_merge_config_selectorIiNS0_10empty_typeEEEZZNS1_27merge_sort_block_merge_implIS3_N6thrust23THRUST_200600_302600_NS10device_ptrIiEEPS5_jNS1_19radix_merge_compareILb0ELb1EiNS0_19identity_decomposerEEEEE10hipError_tT0_T1_T2_jT3_P12ihipStream_tbPNSt15iterator_traitsISH_E10value_typeEPNSN_ISI_E10value_typeEPSJ_NS1_7vsmem_tEENKUlT_SH_SI_SJ_E_clISB_PiSC_SC_EESG_SW_SH_SI_SJ_EUlSW_E0_NS1_11comp_targetILNS1_3genE5ELNS1_11target_archE942ELNS1_3gpuE9ELNS1_3repE0EEENS1_38merge_mergepath_config_static_selectorELNS0_4arch9wavefront6targetE0EEEvSI_.num_named_barrier, 0
	.set _ZN7rocprim17ROCPRIM_400000_NS6detail17trampoline_kernelINS0_14default_configENS1_38merge_sort_block_merge_config_selectorIiNS0_10empty_typeEEEZZNS1_27merge_sort_block_merge_implIS3_N6thrust23THRUST_200600_302600_NS10device_ptrIiEEPS5_jNS1_19radix_merge_compareILb0ELb1EiNS0_19identity_decomposerEEEEE10hipError_tT0_T1_T2_jT3_P12ihipStream_tbPNSt15iterator_traitsISH_E10value_typeEPNSN_ISI_E10value_typeEPSJ_NS1_7vsmem_tEENKUlT_SH_SI_SJ_E_clISB_PiSC_SC_EESG_SW_SH_SI_SJ_EUlSW_E0_NS1_11comp_targetILNS1_3genE5ELNS1_11target_archE942ELNS1_3gpuE9ELNS1_3repE0EEENS1_38merge_mergepath_config_static_selectorELNS0_4arch9wavefront6targetE0EEEvSI_.private_seg_size, 0
	.set _ZN7rocprim17ROCPRIM_400000_NS6detail17trampoline_kernelINS0_14default_configENS1_38merge_sort_block_merge_config_selectorIiNS0_10empty_typeEEEZZNS1_27merge_sort_block_merge_implIS3_N6thrust23THRUST_200600_302600_NS10device_ptrIiEEPS5_jNS1_19radix_merge_compareILb0ELb1EiNS0_19identity_decomposerEEEEE10hipError_tT0_T1_T2_jT3_P12ihipStream_tbPNSt15iterator_traitsISH_E10value_typeEPNSN_ISI_E10value_typeEPSJ_NS1_7vsmem_tEENKUlT_SH_SI_SJ_E_clISB_PiSC_SC_EESG_SW_SH_SI_SJ_EUlSW_E0_NS1_11comp_targetILNS1_3genE5ELNS1_11target_archE942ELNS1_3gpuE9ELNS1_3repE0EEENS1_38merge_mergepath_config_static_selectorELNS0_4arch9wavefront6targetE0EEEvSI_.uses_vcc, 0
	.set _ZN7rocprim17ROCPRIM_400000_NS6detail17trampoline_kernelINS0_14default_configENS1_38merge_sort_block_merge_config_selectorIiNS0_10empty_typeEEEZZNS1_27merge_sort_block_merge_implIS3_N6thrust23THRUST_200600_302600_NS10device_ptrIiEEPS5_jNS1_19radix_merge_compareILb0ELb1EiNS0_19identity_decomposerEEEEE10hipError_tT0_T1_T2_jT3_P12ihipStream_tbPNSt15iterator_traitsISH_E10value_typeEPNSN_ISI_E10value_typeEPSJ_NS1_7vsmem_tEENKUlT_SH_SI_SJ_E_clISB_PiSC_SC_EESG_SW_SH_SI_SJ_EUlSW_E0_NS1_11comp_targetILNS1_3genE5ELNS1_11target_archE942ELNS1_3gpuE9ELNS1_3repE0EEENS1_38merge_mergepath_config_static_selectorELNS0_4arch9wavefront6targetE0EEEvSI_.uses_flat_scratch, 0
	.set _ZN7rocprim17ROCPRIM_400000_NS6detail17trampoline_kernelINS0_14default_configENS1_38merge_sort_block_merge_config_selectorIiNS0_10empty_typeEEEZZNS1_27merge_sort_block_merge_implIS3_N6thrust23THRUST_200600_302600_NS10device_ptrIiEEPS5_jNS1_19radix_merge_compareILb0ELb1EiNS0_19identity_decomposerEEEEE10hipError_tT0_T1_T2_jT3_P12ihipStream_tbPNSt15iterator_traitsISH_E10value_typeEPNSN_ISI_E10value_typeEPSJ_NS1_7vsmem_tEENKUlT_SH_SI_SJ_E_clISB_PiSC_SC_EESG_SW_SH_SI_SJ_EUlSW_E0_NS1_11comp_targetILNS1_3genE5ELNS1_11target_archE942ELNS1_3gpuE9ELNS1_3repE0EEENS1_38merge_mergepath_config_static_selectorELNS0_4arch9wavefront6targetE0EEEvSI_.has_dyn_sized_stack, 0
	.set _ZN7rocprim17ROCPRIM_400000_NS6detail17trampoline_kernelINS0_14default_configENS1_38merge_sort_block_merge_config_selectorIiNS0_10empty_typeEEEZZNS1_27merge_sort_block_merge_implIS3_N6thrust23THRUST_200600_302600_NS10device_ptrIiEEPS5_jNS1_19radix_merge_compareILb0ELb1EiNS0_19identity_decomposerEEEEE10hipError_tT0_T1_T2_jT3_P12ihipStream_tbPNSt15iterator_traitsISH_E10value_typeEPNSN_ISI_E10value_typeEPSJ_NS1_7vsmem_tEENKUlT_SH_SI_SJ_E_clISB_PiSC_SC_EESG_SW_SH_SI_SJ_EUlSW_E0_NS1_11comp_targetILNS1_3genE5ELNS1_11target_archE942ELNS1_3gpuE9ELNS1_3repE0EEENS1_38merge_mergepath_config_static_selectorELNS0_4arch9wavefront6targetE0EEEvSI_.has_recursion, 0
	.set _ZN7rocprim17ROCPRIM_400000_NS6detail17trampoline_kernelINS0_14default_configENS1_38merge_sort_block_merge_config_selectorIiNS0_10empty_typeEEEZZNS1_27merge_sort_block_merge_implIS3_N6thrust23THRUST_200600_302600_NS10device_ptrIiEEPS5_jNS1_19radix_merge_compareILb0ELb1EiNS0_19identity_decomposerEEEEE10hipError_tT0_T1_T2_jT3_P12ihipStream_tbPNSt15iterator_traitsISH_E10value_typeEPNSN_ISI_E10value_typeEPSJ_NS1_7vsmem_tEENKUlT_SH_SI_SJ_E_clISB_PiSC_SC_EESG_SW_SH_SI_SJ_EUlSW_E0_NS1_11comp_targetILNS1_3genE5ELNS1_11target_archE942ELNS1_3gpuE9ELNS1_3repE0EEENS1_38merge_mergepath_config_static_selectorELNS0_4arch9wavefront6targetE0EEEvSI_.has_indirect_call, 0
	.section	.AMDGPU.csdata,"",@progbits
; Kernel info:
; codeLenInByte = 0
; TotalNumSgprs: 0
; NumVgprs: 0
; ScratchSize: 0
; MemoryBound: 0
; FloatMode: 240
; IeeeMode: 1
; LDSByteSize: 0 bytes/workgroup (compile time only)
; SGPRBlocks: 0
; VGPRBlocks: 0
; NumSGPRsForWavesPerEU: 1
; NumVGPRsForWavesPerEU: 1
; Occupancy: 16
; WaveLimiterHint : 0
; COMPUTE_PGM_RSRC2:SCRATCH_EN: 0
; COMPUTE_PGM_RSRC2:USER_SGPR: 6
; COMPUTE_PGM_RSRC2:TRAP_HANDLER: 0
; COMPUTE_PGM_RSRC2:TGID_X_EN: 1
; COMPUTE_PGM_RSRC2:TGID_Y_EN: 0
; COMPUTE_PGM_RSRC2:TGID_Z_EN: 0
; COMPUTE_PGM_RSRC2:TIDIG_COMP_CNT: 0
	.section	.text._ZN7rocprim17ROCPRIM_400000_NS6detail17trampoline_kernelINS0_14default_configENS1_38merge_sort_block_merge_config_selectorIiNS0_10empty_typeEEEZZNS1_27merge_sort_block_merge_implIS3_N6thrust23THRUST_200600_302600_NS10device_ptrIiEEPS5_jNS1_19radix_merge_compareILb0ELb1EiNS0_19identity_decomposerEEEEE10hipError_tT0_T1_T2_jT3_P12ihipStream_tbPNSt15iterator_traitsISH_E10value_typeEPNSN_ISI_E10value_typeEPSJ_NS1_7vsmem_tEENKUlT_SH_SI_SJ_E_clISB_PiSC_SC_EESG_SW_SH_SI_SJ_EUlSW_E0_NS1_11comp_targetILNS1_3genE4ELNS1_11target_archE910ELNS1_3gpuE8ELNS1_3repE0EEENS1_38merge_mergepath_config_static_selectorELNS0_4arch9wavefront6targetE0EEEvSI_,"axG",@progbits,_ZN7rocprim17ROCPRIM_400000_NS6detail17trampoline_kernelINS0_14default_configENS1_38merge_sort_block_merge_config_selectorIiNS0_10empty_typeEEEZZNS1_27merge_sort_block_merge_implIS3_N6thrust23THRUST_200600_302600_NS10device_ptrIiEEPS5_jNS1_19radix_merge_compareILb0ELb1EiNS0_19identity_decomposerEEEEE10hipError_tT0_T1_T2_jT3_P12ihipStream_tbPNSt15iterator_traitsISH_E10value_typeEPNSN_ISI_E10value_typeEPSJ_NS1_7vsmem_tEENKUlT_SH_SI_SJ_E_clISB_PiSC_SC_EESG_SW_SH_SI_SJ_EUlSW_E0_NS1_11comp_targetILNS1_3genE4ELNS1_11target_archE910ELNS1_3gpuE8ELNS1_3repE0EEENS1_38merge_mergepath_config_static_selectorELNS0_4arch9wavefront6targetE0EEEvSI_,comdat
	.protected	_ZN7rocprim17ROCPRIM_400000_NS6detail17trampoline_kernelINS0_14default_configENS1_38merge_sort_block_merge_config_selectorIiNS0_10empty_typeEEEZZNS1_27merge_sort_block_merge_implIS3_N6thrust23THRUST_200600_302600_NS10device_ptrIiEEPS5_jNS1_19radix_merge_compareILb0ELb1EiNS0_19identity_decomposerEEEEE10hipError_tT0_T1_T2_jT3_P12ihipStream_tbPNSt15iterator_traitsISH_E10value_typeEPNSN_ISI_E10value_typeEPSJ_NS1_7vsmem_tEENKUlT_SH_SI_SJ_E_clISB_PiSC_SC_EESG_SW_SH_SI_SJ_EUlSW_E0_NS1_11comp_targetILNS1_3genE4ELNS1_11target_archE910ELNS1_3gpuE8ELNS1_3repE0EEENS1_38merge_mergepath_config_static_selectorELNS0_4arch9wavefront6targetE0EEEvSI_ ; -- Begin function _ZN7rocprim17ROCPRIM_400000_NS6detail17trampoline_kernelINS0_14default_configENS1_38merge_sort_block_merge_config_selectorIiNS0_10empty_typeEEEZZNS1_27merge_sort_block_merge_implIS3_N6thrust23THRUST_200600_302600_NS10device_ptrIiEEPS5_jNS1_19radix_merge_compareILb0ELb1EiNS0_19identity_decomposerEEEEE10hipError_tT0_T1_T2_jT3_P12ihipStream_tbPNSt15iterator_traitsISH_E10value_typeEPNSN_ISI_E10value_typeEPSJ_NS1_7vsmem_tEENKUlT_SH_SI_SJ_E_clISB_PiSC_SC_EESG_SW_SH_SI_SJ_EUlSW_E0_NS1_11comp_targetILNS1_3genE4ELNS1_11target_archE910ELNS1_3gpuE8ELNS1_3repE0EEENS1_38merge_mergepath_config_static_selectorELNS0_4arch9wavefront6targetE0EEEvSI_
	.globl	_ZN7rocprim17ROCPRIM_400000_NS6detail17trampoline_kernelINS0_14default_configENS1_38merge_sort_block_merge_config_selectorIiNS0_10empty_typeEEEZZNS1_27merge_sort_block_merge_implIS3_N6thrust23THRUST_200600_302600_NS10device_ptrIiEEPS5_jNS1_19radix_merge_compareILb0ELb1EiNS0_19identity_decomposerEEEEE10hipError_tT0_T1_T2_jT3_P12ihipStream_tbPNSt15iterator_traitsISH_E10value_typeEPNSN_ISI_E10value_typeEPSJ_NS1_7vsmem_tEENKUlT_SH_SI_SJ_E_clISB_PiSC_SC_EESG_SW_SH_SI_SJ_EUlSW_E0_NS1_11comp_targetILNS1_3genE4ELNS1_11target_archE910ELNS1_3gpuE8ELNS1_3repE0EEENS1_38merge_mergepath_config_static_selectorELNS0_4arch9wavefront6targetE0EEEvSI_
	.p2align	8
	.type	_ZN7rocprim17ROCPRIM_400000_NS6detail17trampoline_kernelINS0_14default_configENS1_38merge_sort_block_merge_config_selectorIiNS0_10empty_typeEEEZZNS1_27merge_sort_block_merge_implIS3_N6thrust23THRUST_200600_302600_NS10device_ptrIiEEPS5_jNS1_19radix_merge_compareILb0ELb1EiNS0_19identity_decomposerEEEEE10hipError_tT0_T1_T2_jT3_P12ihipStream_tbPNSt15iterator_traitsISH_E10value_typeEPNSN_ISI_E10value_typeEPSJ_NS1_7vsmem_tEENKUlT_SH_SI_SJ_E_clISB_PiSC_SC_EESG_SW_SH_SI_SJ_EUlSW_E0_NS1_11comp_targetILNS1_3genE4ELNS1_11target_archE910ELNS1_3gpuE8ELNS1_3repE0EEENS1_38merge_mergepath_config_static_selectorELNS0_4arch9wavefront6targetE0EEEvSI_,@function
_ZN7rocprim17ROCPRIM_400000_NS6detail17trampoline_kernelINS0_14default_configENS1_38merge_sort_block_merge_config_selectorIiNS0_10empty_typeEEEZZNS1_27merge_sort_block_merge_implIS3_N6thrust23THRUST_200600_302600_NS10device_ptrIiEEPS5_jNS1_19radix_merge_compareILb0ELb1EiNS0_19identity_decomposerEEEEE10hipError_tT0_T1_T2_jT3_P12ihipStream_tbPNSt15iterator_traitsISH_E10value_typeEPNSN_ISI_E10value_typeEPSJ_NS1_7vsmem_tEENKUlT_SH_SI_SJ_E_clISB_PiSC_SC_EESG_SW_SH_SI_SJ_EUlSW_E0_NS1_11comp_targetILNS1_3genE4ELNS1_11target_archE910ELNS1_3gpuE8ELNS1_3repE0EEENS1_38merge_mergepath_config_static_selectorELNS0_4arch9wavefront6targetE0EEEvSI_: ; @_ZN7rocprim17ROCPRIM_400000_NS6detail17trampoline_kernelINS0_14default_configENS1_38merge_sort_block_merge_config_selectorIiNS0_10empty_typeEEEZZNS1_27merge_sort_block_merge_implIS3_N6thrust23THRUST_200600_302600_NS10device_ptrIiEEPS5_jNS1_19radix_merge_compareILb0ELb1EiNS0_19identity_decomposerEEEEE10hipError_tT0_T1_T2_jT3_P12ihipStream_tbPNSt15iterator_traitsISH_E10value_typeEPNSN_ISI_E10value_typeEPSJ_NS1_7vsmem_tEENKUlT_SH_SI_SJ_E_clISB_PiSC_SC_EESG_SW_SH_SI_SJ_EUlSW_E0_NS1_11comp_targetILNS1_3genE4ELNS1_11target_archE910ELNS1_3gpuE8ELNS1_3repE0EEENS1_38merge_mergepath_config_static_selectorELNS0_4arch9wavefront6targetE0EEEvSI_
; %bb.0:
	.section	.rodata,"a",@progbits
	.p2align	6, 0x0
	.amdhsa_kernel _ZN7rocprim17ROCPRIM_400000_NS6detail17trampoline_kernelINS0_14default_configENS1_38merge_sort_block_merge_config_selectorIiNS0_10empty_typeEEEZZNS1_27merge_sort_block_merge_implIS3_N6thrust23THRUST_200600_302600_NS10device_ptrIiEEPS5_jNS1_19radix_merge_compareILb0ELb1EiNS0_19identity_decomposerEEEEE10hipError_tT0_T1_T2_jT3_P12ihipStream_tbPNSt15iterator_traitsISH_E10value_typeEPNSN_ISI_E10value_typeEPSJ_NS1_7vsmem_tEENKUlT_SH_SI_SJ_E_clISB_PiSC_SC_EESG_SW_SH_SI_SJ_EUlSW_E0_NS1_11comp_targetILNS1_3genE4ELNS1_11target_archE910ELNS1_3gpuE8ELNS1_3repE0EEENS1_38merge_mergepath_config_static_selectorELNS0_4arch9wavefront6targetE0EEEvSI_
		.amdhsa_group_segment_fixed_size 0
		.amdhsa_private_segment_fixed_size 0
		.amdhsa_kernarg_size 64
		.amdhsa_user_sgpr_count 6
		.amdhsa_user_sgpr_private_segment_buffer 1
		.amdhsa_user_sgpr_dispatch_ptr 0
		.amdhsa_user_sgpr_queue_ptr 0
		.amdhsa_user_sgpr_kernarg_segment_ptr 1
		.amdhsa_user_sgpr_dispatch_id 0
		.amdhsa_user_sgpr_flat_scratch_init 0
		.amdhsa_user_sgpr_private_segment_size 0
		.amdhsa_wavefront_size32 1
		.amdhsa_uses_dynamic_stack 0
		.amdhsa_system_sgpr_private_segment_wavefront_offset 0
		.amdhsa_system_sgpr_workgroup_id_x 1
		.amdhsa_system_sgpr_workgroup_id_y 0
		.amdhsa_system_sgpr_workgroup_id_z 0
		.amdhsa_system_sgpr_workgroup_info 0
		.amdhsa_system_vgpr_workitem_id 0
		.amdhsa_next_free_vgpr 1
		.amdhsa_next_free_sgpr 1
		.amdhsa_reserve_vcc 0
		.amdhsa_reserve_flat_scratch 0
		.amdhsa_float_round_mode_32 0
		.amdhsa_float_round_mode_16_64 0
		.amdhsa_float_denorm_mode_32 3
		.amdhsa_float_denorm_mode_16_64 3
		.amdhsa_dx10_clamp 1
		.amdhsa_ieee_mode 1
		.amdhsa_fp16_overflow 0
		.amdhsa_workgroup_processor_mode 1
		.amdhsa_memory_ordered 1
		.amdhsa_forward_progress 1
		.amdhsa_shared_vgpr_count 0
		.amdhsa_exception_fp_ieee_invalid_op 0
		.amdhsa_exception_fp_denorm_src 0
		.amdhsa_exception_fp_ieee_div_zero 0
		.amdhsa_exception_fp_ieee_overflow 0
		.amdhsa_exception_fp_ieee_underflow 0
		.amdhsa_exception_fp_ieee_inexact 0
		.amdhsa_exception_int_div_zero 0
	.end_amdhsa_kernel
	.section	.text._ZN7rocprim17ROCPRIM_400000_NS6detail17trampoline_kernelINS0_14default_configENS1_38merge_sort_block_merge_config_selectorIiNS0_10empty_typeEEEZZNS1_27merge_sort_block_merge_implIS3_N6thrust23THRUST_200600_302600_NS10device_ptrIiEEPS5_jNS1_19radix_merge_compareILb0ELb1EiNS0_19identity_decomposerEEEEE10hipError_tT0_T1_T2_jT3_P12ihipStream_tbPNSt15iterator_traitsISH_E10value_typeEPNSN_ISI_E10value_typeEPSJ_NS1_7vsmem_tEENKUlT_SH_SI_SJ_E_clISB_PiSC_SC_EESG_SW_SH_SI_SJ_EUlSW_E0_NS1_11comp_targetILNS1_3genE4ELNS1_11target_archE910ELNS1_3gpuE8ELNS1_3repE0EEENS1_38merge_mergepath_config_static_selectorELNS0_4arch9wavefront6targetE0EEEvSI_,"axG",@progbits,_ZN7rocprim17ROCPRIM_400000_NS6detail17trampoline_kernelINS0_14default_configENS1_38merge_sort_block_merge_config_selectorIiNS0_10empty_typeEEEZZNS1_27merge_sort_block_merge_implIS3_N6thrust23THRUST_200600_302600_NS10device_ptrIiEEPS5_jNS1_19radix_merge_compareILb0ELb1EiNS0_19identity_decomposerEEEEE10hipError_tT0_T1_T2_jT3_P12ihipStream_tbPNSt15iterator_traitsISH_E10value_typeEPNSN_ISI_E10value_typeEPSJ_NS1_7vsmem_tEENKUlT_SH_SI_SJ_E_clISB_PiSC_SC_EESG_SW_SH_SI_SJ_EUlSW_E0_NS1_11comp_targetILNS1_3genE4ELNS1_11target_archE910ELNS1_3gpuE8ELNS1_3repE0EEENS1_38merge_mergepath_config_static_selectorELNS0_4arch9wavefront6targetE0EEEvSI_,comdat
.Lfunc_end1204:
	.size	_ZN7rocprim17ROCPRIM_400000_NS6detail17trampoline_kernelINS0_14default_configENS1_38merge_sort_block_merge_config_selectorIiNS0_10empty_typeEEEZZNS1_27merge_sort_block_merge_implIS3_N6thrust23THRUST_200600_302600_NS10device_ptrIiEEPS5_jNS1_19radix_merge_compareILb0ELb1EiNS0_19identity_decomposerEEEEE10hipError_tT0_T1_T2_jT3_P12ihipStream_tbPNSt15iterator_traitsISH_E10value_typeEPNSN_ISI_E10value_typeEPSJ_NS1_7vsmem_tEENKUlT_SH_SI_SJ_E_clISB_PiSC_SC_EESG_SW_SH_SI_SJ_EUlSW_E0_NS1_11comp_targetILNS1_3genE4ELNS1_11target_archE910ELNS1_3gpuE8ELNS1_3repE0EEENS1_38merge_mergepath_config_static_selectorELNS0_4arch9wavefront6targetE0EEEvSI_, .Lfunc_end1204-_ZN7rocprim17ROCPRIM_400000_NS6detail17trampoline_kernelINS0_14default_configENS1_38merge_sort_block_merge_config_selectorIiNS0_10empty_typeEEEZZNS1_27merge_sort_block_merge_implIS3_N6thrust23THRUST_200600_302600_NS10device_ptrIiEEPS5_jNS1_19radix_merge_compareILb0ELb1EiNS0_19identity_decomposerEEEEE10hipError_tT0_T1_T2_jT3_P12ihipStream_tbPNSt15iterator_traitsISH_E10value_typeEPNSN_ISI_E10value_typeEPSJ_NS1_7vsmem_tEENKUlT_SH_SI_SJ_E_clISB_PiSC_SC_EESG_SW_SH_SI_SJ_EUlSW_E0_NS1_11comp_targetILNS1_3genE4ELNS1_11target_archE910ELNS1_3gpuE8ELNS1_3repE0EEENS1_38merge_mergepath_config_static_selectorELNS0_4arch9wavefront6targetE0EEEvSI_
                                        ; -- End function
	.set _ZN7rocprim17ROCPRIM_400000_NS6detail17trampoline_kernelINS0_14default_configENS1_38merge_sort_block_merge_config_selectorIiNS0_10empty_typeEEEZZNS1_27merge_sort_block_merge_implIS3_N6thrust23THRUST_200600_302600_NS10device_ptrIiEEPS5_jNS1_19radix_merge_compareILb0ELb1EiNS0_19identity_decomposerEEEEE10hipError_tT0_T1_T2_jT3_P12ihipStream_tbPNSt15iterator_traitsISH_E10value_typeEPNSN_ISI_E10value_typeEPSJ_NS1_7vsmem_tEENKUlT_SH_SI_SJ_E_clISB_PiSC_SC_EESG_SW_SH_SI_SJ_EUlSW_E0_NS1_11comp_targetILNS1_3genE4ELNS1_11target_archE910ELNS1_3gpuE8ELNS1_3repE0EEENS1_38merge_mergepath_config_static_selectorELNS0_4arch9wavefront6targetE0EEEvSI_.num_vgpr, 0
	.set _ZN7rocprim17ROCPRIM_400000_NS6detail17trampoline_kernelINS0_14default_configENS1_38merge_sort_block_merge_config_selectorIiNS0_10empty_typeEEEZZNS1_27merge_sort_block_merge_implIS3_N6thrust23THRUST_200600_302600_NS10device_ptrIiEEPS5_jNS1_19radix_merge_compareILb0ELb1EiNS0_19identity_decomposerEEEEE10hipError_tT0_T1_T2_jT3_P12ihipStream_tbPNSt15iterator_traitsISH_E10value_typeEPNSN_ISI_E10value_typeEPSJ_NS1_7vsmem_tEENKUlT_SH_SI_SJ_E_clISB_PiSC_SC_EESG_SW_SH_SI_SJ_EUlSW_E0_NS1_11comp_targetILNS1_3genE4ELNS1_11target_archE910ELNS1_3gpuE8ELNS1_3repE0EEENS1_38merge_mergepath_config_static_selectorELNS0_4arch9wavefront6targetE0EEEvSI_.num_agpr, 0
	.set _ZN7rocprim17ROCPRIM_400000_NS6detail17trampoline_kernelINS0_14default_configENS1_38merge_sort_block_merge_config_selectorIiNS0_10empty_typeEEEZZNS1_27merge_sort_block_merge_implIS3_N6thrust23THRUST_200600_302600_NS10device_ptrIiEEPS5_jNS1_19radix_merge_compareILb0ELb1EiNS0_19identity_decomposerEEEEE10hipError_tT0_T1_T2_jT3_P12ihipStream_tbPNSt15iterator_traitsISH_E10value_typeEPNSN_ISI_E10value_typeEPSJ_NS1_7vsmem_tEENKUlT_SH_SI_SJ_E_clISB_PiSC_SC_EESG_SW_SH_SI_SJ_EUlSW_E0_NS1_11comp_targetILNS1_3genE4ELNS1_11target_archE910ELNS1_3gpuE8ELNS1_3repE0EEENS1_38merge_mergepath_config_static_selectorELNS0_4arch9wavefront6targetE0EEEvSI_.numbered_sgpr, 0
	.set _ZN7rocprim17ROCPRIM_400000_NS6detail17trampoline_kernelINS0_14default_configENS1_38merge_sort_block_merge_config_selectorIiNS0_10empty_typeEEEZZNS1_27merge_sort_block_merge_implIS3_N6thrust23THRUST_200600_302600_NS10device_ptrIiEEPS5_jNS1_19radix_merge_compareILb0ELb1EiNS0_19identity_decomposerEEEEE10hipError_tT0_T1_T2_jT3_P12ihipStream_tbPNSt15iterator_traitsISH_E10value_typeEPNSN_ISI_E10value_typeEPSJ_NS1_7vsmem_tEENKUlT_SH_SI_SJ_E_clISB_PiSC_SC_EESG_SW_SH_SI_SJ_EUlSW_E0_NS1_11comp_targetILNS1_3genE4ELNS1_11target_archE910ELNS1_3gpuE8ELNS1_3repE0EEENS1_38merge_mergepath_config_static_selectorELNS0_4arch9wavefront6targetE0EEEvSI_.num_named_barrier, 0
	.set _ZN7rocprim17ROCPRIM_400000_NS6detail17trampoline_kernelINS0_14default_configENS1_38merge_sort_block_merge_config_selectorIiNS0_10empty_typeEEEZZNS1_27merge_sort_block_merge_implIS3_N6thrust23THRUST_200600_302600_NS10device_ptrIiEEPS5_jNS1_19radix_merge_compareILb0ELb1EiNS0_19identity_decomposerEEEEE10hipError_tT0_T1_T2_jT3_P12ihipStream_tbPNSt15iterator_traitsISH_E10value_typeEPNSN_ISI_E10value_typeEPSJ_NS1_7vsmem_tEENKUlT_SH_SI_SJ_E_clISB_PiSC_SC_EESG_SW_SH_SI_SJ_EUlSW_E0_NS1_11comp_targetILNS1_3genE4ELNS1_11target_archE910ELNS1_3gpuE8ELNS1_3repE0EEENS1_38merge_mergepath_config_static_selectorELNS0_4arch9wavefront6targetE0EEEvSI_.private_seg_size, 0
	.set _ZN7rocprim17ROCPRIM_400000_NS6detail17trampoline_kernelINS0_14default_configENS1_38merge_sort_block_merge_config_selectorIiNS0_10empty_typeEEEZZNS1_27merge_sort_block_merge_implIS3_N6thrust23THRUST_200600_302600_NS10device_ptrIiEEPS5_jNS1_19radix_merge_compareILb0ELb1EiNS0_19identity_decomposerEEEEE10hipError_tT0_T1_T2_jT3_P12ihipStream_tbPNSt15iterator_traitsISH_E10value_typeEPNSN_ISI_E10value_typeEPSJ_NS1_7vsmem_tEENKUlT_SH_SI_SJ_E_clISB_PiSC_SC_EESG_SW_SH_SI_SJ_EUlSW_E0_NS1_11comp_targetILNS1_3genE4ELNS1_11target_archE910ELNS1_3gpuE8ELNS1_3repE0EEENS1_38merge_mergepath_config_static_selectorELNS0_4arch9wavefront6targetE0EEEvSI_.uses_vcc, 0
	.set _ZN7rocprim17ROCPRIM_400000_NS6detail17trampoline_kernelINS0_14default_configENS1_38merge_sort_block_merge_config_selectorIiNS0_10empty_typeEEEZZNS1_27merge_sort_block_merge_implIS3_N6thrust23THRUST_200600_302600_NS10device_ptrIiEEPS5_jNS1_19radix_merge_compareILb0ELb1EiNS0_19identity_decomposerEEEEE10hipError_tT0_T1_T2_jT3_P12ihipStream_tbPNSt15iterator_traitsISH_E10value_typeEPNSN_ISI_E10value_typeEPSJ_NS1_7vsmem_tEENKUlT_SH_SI_SJ_E_clISB_PiSC_SC_EESG_SW_SH_SI_SJ_EUlSW_E0_NS1_11comp_targetILNS1_3genE4ELNS1_11target_archE910ELNS1_3gpuE8ELNS1_3repE0EEENS1_38merge_mergepath_config_static_selectorELNS0_4arch9wavefront6targetE0EEEvSI_.uses_flat_scratch, 0
	.set _ZN7rocprim17ROCPRIM_400000_NS6detail17trampoline_kernelINS0_14default_configENS1_38merge_sort_block_merge_config_selectorIiNS0_10empty_typeEEEZZNS1_27merge_sort_block_merge_implIS3_N6thrust23THRUST_200600_302600_NS10device_ptrIiEEPS5_jNS1_19radix_merge_compareILb0ELb1EiNS0_19identity_decomposerEEEEE10hipError_tT0_T1_T2_jT3_P12ihipStream_tbPNSt15iterator_traitsISH_E10value_typeEPNSN_ISI_E10value_typeEPSJ_NS1_7vsmem_tEENKUlT_SH_SI_SJ_E_clISB_PiSC_SC_EESG_SW_SH_SI_SJ_EUlSW_E0_NS1_11comp_targetILNS1_3genE4ELNS1_11target_archE910ELNS1_3gpuE8ELNS1_3repE0EEENS1_38merge_mergepath_config_static_selectorELNS0_4arch9wavefront6targetE0EEEvSI_.has_dyn_sized_stack, 0
	.set _ZN7rocprim17ROCPRIM_400000_NS6detail17trampoline_kernelINS0_14default_configENS1_38merge_sort_block_merge_config_selectorIiNS0_10empty_typeEEEZZNS1_27merge_sort_block_merge_implIS3_N6thrust23THRUST_200600_302600_NS10device_ptrIiEEPS5_jNS1_19radix_merge_compareILb0ELb1EiNS0_19identity_decomposerEEEEE10hipError_tT0_T1_T2_jT3_P12ihipStream_tbPNSt15iterator_traitsISH_E10value_typeEPNSN_ISI_E10value_typeEPSJ_NS1_7vsmem_tEENKUlT_SH_SI_SJ_E_clISB_PiSC_SC_EESG_SW_SH_SI_SJ_EUlSW_E0_NS1_11comp_targetILNS1_3genE4ELNS1_11target_archE910ELNS1_3gpuE8ELNS1_3repE0EEENS1_38merge_mergepath_config_static_selectorELNS0_4arch9wavefront6targetE0EEEvSI_.has_recursion, 0
	.set _ZN7rocprim17ROCPRIM_400000_NS6detail17trampoline_kernelINS0_14default_configENS1_38merge_sort_block_merge_config_selectorIiNS0_10empty_typeEEEZZNS1_27merge_sort_block_merge_implIS3_N6thrust23THRUST_200600_302600_NS10device_ptrIiEEPS5_jNS1_19radix_merge_compareILb0ELb1EiNS0_19identity_decomposerEEEEE10hipError_tT0_T1_T2_jT3_P12ihipStream_tbPNSt15iterator_traitsISH_E10value_typeEPNSN_ISI_E10value_typeEPSJ_NS1_7vsmem_tEENKUlT_SH_SI_SJ_E_clISB_PiSC_SC_EESG_SW_SH_SI_SJ_EUlSW_E0_NS1_11comp_targetILNS1_3genE4ELNS1_11target_archE910ELNS1_3gpuE8ELNS1_3repE0EEENS1_38merge_mergepath_config_static_selectorELNS0_4arch9wavefront6targetE0EEEvSI_.has_indirect_call, 0
	.section	.AMDGPU.csdata,"",@progbits
; Kernel info:
; codeLenInByte = 0
; TotalNumSgprs: 0
; NumVgprs: 0
; ScratchSize: 0
; MemoryBound: 0
; FloatMode: 240
; IeeeMode: 1
; LDSByteSize: 0 bytes/workgroup (compile time only)
; SGPRBlocks: 0
; VGPRBlocks: 0
; NumSGPRsForWavesPerEU: 1
; NumVGPRsForWavesPerEU: 1
; Occupancy: 16
; WaveLimiterHint : 0
; COMPUTE_PGM_RSRC2:SCRATCH_EN: 0
; COMPUTE_PGM_RSRC2:USER_SGPR: 6
; COMPUTE_PGM_RSRC2:TRAP_HANDLER: 0
; COMPUTE_PGM_RSRC2:TGID_X_EN: 1
; COMPUTE_PGM_RSRC2:TGID_Y_EN: 0
; COMPUTE_PGM_RSRC2:TGID_Z_EN: 0
; COMPUTE_PGM_RSRC2:TIDIG_COMP_CNT: 0
	.section	.text._ZN7rocprim17ROCPRIM_400000_NS6detail17trampoline_kernelINS0_14default_configENS1_38merge_sort_block_merge_config_selectorIiNS0_10empty_typeEEEZZNS1_27merge_sort_block_merge_implIS3_N6thrust23THRUST_200600_302600_NS10device_ptrIiEEPS5_jNS1_19radix_merge_compareILb0ELb1EiNS0_19identity_decomposerEEEEE10hipError_tT0_T1_T2_jT3_P12ihipStream_tbPNSt15iterator_traitsISH_E10value_typeEPNSN_ISI_E10value_typeEPSJ_NS1_7vsmem_tEENKUlT_SH_SI_SJ_E_clISB_PiSC_SC_EESG_SW_SH_SI_SJ_EUlSW_E0_NS1_11comp_targetILNS1_3genE3ELNS1_11target_archE908ELNS1_3gpuE7ELNS1_3repE0EEENS1_38merge_mergepath_config_static_selectorELNS0_4arch9wavefront6targetE0EEEvSI_,"axG",@progbits,_ZN7rocprim17ROCPRIM_400000_NS6detail17trampoline_kernelINS0_14default_configENS1_38merge_sort_block_merge_config_selectorIiNS0_10empty_typeEEEZZNS1_27merge_sort_block_merge_implIS3_N6thrust23THRUST_200600_302600_NS10device_ptrIiEEPS5_jNS1_19radix_merge_compareILb0ELb1EiNS0_19identity_decomposerEEEEE10hipError_tT0_T1_T2_jT3_P12ihipStream_tbPNSt15iterator_traitsISH_E10value_typeEPNSN_ISI_E10value_typeEPSJ_NS1_7vsmem_tEENKUlT_SH_SI_SJ_E_clISB_PiSC_SC_EESG_SW_SH_SI_SJ_EUlSW_E0_NS1_11comp_targetILNS1_3genE3ELNS1_11target_archE908ELNS1_3gpuE7ELNS1_3repE0EEENS1_38merge_mergepath_config_static_selectorELNS0_4arch9wavefront6targetE0EEEvSI_,comdat
	.protected	_ZN7rocprim17ROCPRIM_400000_NS6detail17trampoline_kernelINS0_14default_configENS1_38merge_sort_block_merge_config_selectorIiNS0_10empty_typeEEEZZNS1_27merge_sort_block_merge_implIS3_N6thrust23THRUST_200600_302600_NS10device_ptrIiEEPS5_jNS1_19radix_merge_compareILb0ELb1EiNS0_19identity_decomposerEEEEE10hipError_tT0_T1_T2_jT3_P12ihipStream_tbPNSt15iterator_traitsISH_E10value_typeEPNSN_ISI_E10value_typeEPSJ_NS1_7vsmem_tEENKUlT_SH_SI_SJ_E_clISB_PiSC_SC_EESG_SW_SH_SI_SJ_EUlSW_E0_NS1_11comp_targetILNS1_3genE3ELNS1_11target_archE908ELNS1_3gpuE7ELNS1_3repE0EEENS1_38merge_mergepath_config_static_selectorELNS0_4arch9wavefront6targetE0EEEvSI_ ; -- Begin function _ZN7rocprim17ROCPRIM_400000_NS6detail17trampoline_kernelINS0_14default_configENS1_38merge_sort_block_merge_config_selectorIiNS0_10empty_typeEEEZZNS1_27merge_sort_block_merge_implIS3_N6thrust23THRUST_200600_302600_NS10device_ptrIiEEPS5_jNS1_19radix_merge_compareILb0ELb1EiNS0_19identity_decomposerEEEEE10hipError_tT0_T1_T2_jT3_P12ihipStream_tbPNSt15iterator_traitsISH_E10value_typeEPNSN_ISI_E10value_typeEPSJ_NS1_7vsmem_tEENKUlT_SH_SI_SJ_E_clISB_PiSC_SC_EESG_SW_SH_SI_SJ_EUlSW_E0_NS1_11comp_targetILNS1_3genE3ELNS1_11target_archE908ELNS1_3gpuE7ELNS1_3repE0EEENS1_38merge_mergepath_config_static_selectorELNS0_4arch9wavefront6targetE0EEEvSI_
	.globl	_ZN7rocprim17ROCPRIM_400000_NS6detail17trampoline_kernelINS0_14default_configENS1_38merge_sort_block_merge_config_selectorIiNS0_10empty_typeEEEZZNS1_27merge_sort_block_merge_implIS3_N6thrust23THRUST_200600_302600_NS10device_ptrIiEEPS5_jNS1_19radix_merge_compareILb0ELb1EiNS0_19identity_decomposerEEEEE10hipError_tT0_T1_T2_jT3_P12ihipStream_tbPNSt15iterator_traitsISH_E10value_typeEPNSN_ISI_E10value_typeEPSJ_NS1_7vsmem_tEENKUlT_SH_SI_SJ_E_clISB_PiSC_SC_EESG_SW_SH_SI_SJ_EUlSW_E0_NS1_11comp_targetILNS1_3genE3ELNS1_11target_archE908ELNS1_3gpuE7ELNS1_3repE0EEENS1_38merge_mergepath_config_static_selectorELNS0_4arch9wavefront6targetE0EEEvSI_
	.p2align	8
	.type	_ZN7rocprim17ROCPRIM_400000_NS6detail17trampoline_kernelINS0_14default_configENS1_38merge_sort_block_merge_config_selectorIiNS0_10empty_typeEEEZZNS1_27merge_sort_block_merge_implIS3_N6thrust23THRUST_200600_302600_NS10device_ptrIiEEPS5_jNS1_19radix_merge_compareILb0ELb1EiNS0_19identity_decomposerEEEEE10hipError_tT0_T1_T2_jT3_P12ihipStream_tbPNSt15iterator_traitsISH_E10value_typeEPNSN_ISI_E10value_typeEPSJ_NS1_7vsmem_tEENKUlT_SH_SI_SJ_E_clISB_PiSC_SC_EESG_SW_SH_SI_SJ_EUlSW_E0_NS1_11comp_targetILNS1_3genE3ELNS1_11target_archE908ELNS1_3gpuE7ELNS1_3repE0EEENS1_38merge_mergepath_config_static_selectorELNS0_4arch9wavefront6targetE0EEEvSI_,@function
_ZN7rocprim17ROCPRIM_400000_NS6detail17trampoline_kernelINS0_14default_configENS1_38merge_sort_block_merge_config_selectorIiNS0_10empty_typeEEEZZNS1_27merge_sort_block_merge_implIS3_N6thrust23THRUST_200600_302600_NS10device_ptrIiEEPS5_jNS1_19radix_merge_compareILb0ELb1EiNS0_19identity_decomposerEEEEE10hipError_tT0_T1_T2_jT3_P12ihipStream_tbPNSt15iterator_traitsISH_E10value_typeEPNSN_ISI_E10value_typeEPSJ_NS1_7vsmem_tEENKUlT_SH_SI_SJ_E_clISB_PiSC_SC_EESG_SW_SH_SI_SJ_EUlSW_E0_NS1_11comp_targetILNS1_3genE3ELNS1_11target_archE908ELNS1_3gpuE7ELNS1_3repE0EEENS1_38merge_mergepath_config_static_selectorELNS0_4arch9wavefront6targetE0EEEvSI_: ; @_ZN7rocprim17ROCPRIM_400000_NS6detail17trampoline_kernelINS0_14default_configENS1_38merge_sort_block_merge_config_selectorIiNS0_10empty_typeEEEZZNS1_27merge_sort_block_merge_implIS3_N6thrust23THRUST_200600_302600_NS10device_ptrIiEEPS5_jNS1_19radix_merge_compareILb0ELb1EiNS0_19identity_decomposerEEEEE10hipError_tT0_T1_T2_jT3_P12ihipStream_tbPNSt15iterator_traitsISH_E10value_typeEPNSN_ISI_E10value_typeEPSJ_NS1_7vsmem_tEENKUlT_SH_SI_SJ_E_clISB_PiSC_SC_EESG_SW_SH_SI_SJ_EUlSW_E0_NS1_11comp_targetILNS1_3genE3ELNS1_11target_archE908ELNS1_3gpuE7ELNS1_3repE0EEENS1_38merge_mergepath_config_static_selectorELNS0_4arch9wavefront6targetE0EEEvSI_
; %bb.0:
	.section	.rodata,"a",@progbits
	.p2align	6, 0x0
	.amdhsa_kernel _ZN7rocprim17ROCPRIM_400000_NS6detail17trampoline_kernelINS0_14default_configENS1_38merge_sort_block_merge_config_selectorIiNS0_10empty_typeEEEZZNS1_27merge_sort_block_merge_implIS3_N6thrust23THRUST_200600_302600_NS10device_ptrIiEEPS5_jNS1_19radix_merge_compareILb0ELb1EiNS0_19identity_decomposerEEEEE10hipError_tT0_T1_T2_jT3_P12ihipStream_tbPNSt15iterator_traitsISH_E10value_typeEPNSN_ISI_E10value_typeEPSJ_NS1_7vsmem_tEENKUlT_SH_SI_SJ_E_clISB_PiSC_SC_EESG_SW_SH_SI_SJ_EUlSW_E0_NS1_11comp_targetILNS1_3genE3ELNS1_11target_archE908ELNS1_3gpuE7ELNS1_3repE0EEENS1_38merge_mergepath_config_static_selectorELNS0_4arch9wavefront6targetE0EEEvSI_
		.amdhsa_group_segment_fixed_size 0
		.amdhsa_private_segment_fixed_size 0
		.amdhsa_kernarg_size 64
		.amdhsa_user_sgpr_count 6
		.amdhsa_user_sgpr_private_segment_buffer 1
		.amdhsa_user_sgpr_dispatch_ptr 0
		.amdhsa_user_sgpr_queue_ptr 0
		.amdhsa_user_sgpr_kernarg_segment_ptr 1
		.amdhsa_user_sgpr_dispatch_id 0
		.amdhsa_user_sgpr_flat_scratch_init 0
		.amdhsa_user_sgpr_private_segment_size 0
		.amdhsa_wavefront_size32 1
		.amdhsa_uses_dynamic_stack 0
		.amdhsa_system_sgpr_private_segment_wavefront_offset 0
		.amdhsa_system_sgpr_workgroup_id_x 1
		.amdhsa_system_sgpr_workgroup_id_y 0
		.amdhsa_system_sgpr_workgroup_id_z 0
		.amdhsa_system_sgpr_workgroup_info 0
		.amdhsa_system_vgpr_workitem_id 0
		.amdhsa_next_free_vgpr 1
		.amdhsa_next_free_sgpr 1
		.amdhsa_reserve_vcc 0
		.amdhsa_reserve_flat_scratch 0
		.amdhsa_float_round_mode_32 0
		.amdhsa_float_round_mode_16_64 0
		.amdhsa_float_denorm_mode_32 3
		.amdhsa_float_denorm_mode_16_64 3
		.amdhsa_dx10_clamp 1
		.amdhsa_ieee_mode 1
		.amdhsa_fp16_overflow 0
		.amdhsa_workgroup_processor_mode 1
		.amdhsa_memory_ordered 1
		.amdhsa_forward_progress 1
		.amdhsa_shared_vgpr_count 0
		.amdhsa_exception_fp_ieee_invalid_op 0
		.amdhsa_exception_fp_denorm_src 0
		.amdhsa_exception_fp_ieee_div_zero 0
		.amdhsa_exception_fp_ieee_overflow 0
		.amdhsa_exception_fp_ieee_underflow 0
		.amdhsa_exception_fp_ieee_inexact 0
		.amdhsa_exception_int_div_zero 0
	.end_amdhsa_kernel
	.section	.text._ZN7rocprim17ROCPRIM_400000_NS6detail17trampoline_kernelINS0_14default_configENS1_38merge_sort_block_merge_config_selectorIiNS0_10empty_typeEEEZZNS1_27merge_sort_block_merge_implIS3_N6thrust23THRUST_200600_302600_NS10device_ptrIiEEPS5_jNS1_19radix_merge_compareILb0ELb1EiNS0_19identity_decomposerEEEEE10hipError_tT0_T1_T2_jT3_P12ihipStream_tbPNSt15iterator_traitsISH_E10value_typeEPNSN_ISI_E10value_typeEPSJ_NS1_7vsmem_tEENKUlT_SH_SI_SJ_E_clISB_PiSC_SC_EESG_SW_SH_SI_SJ_EUlSW_E0_NS1_11comp_targetILNS1_3genE3ELNS1_11target_archE908ELNS1_3gpuE7ELNS1_3repE0EEENS1_38merge_mergepath_config_static_selectorELNS0_4arch9wavefront6targetE0EEEvSI_,"axG",@progbits,_ZN7rocprim17ROCPRIM_400000_NS6detail17trampoline_kernelINS0_14default_configENS1_38merge_sort_block_merge_config_selectorIiNS0_10empty_typeEEEZZNS1_27merge_sort_block_merge_implIS3_N6thrust23THRUST_200600_302600_NS10device_ptrIiEEPS5_jNS1_19radix_merge_compareILb0ELb1EiNS0_19identity_decomposerEEEEE10hipError_tT0_T1_T2_jT3_P12ihipStream_tbPNSt15iterator_traitsISH_E10value_typeEPNSN_ISI_E10value_typeEPSJ_NS1_7vsmem_tEENKUlT_SH_SI_SJ_E_clISB_PiSC_SC_EESG_SW_SH_SI_SJ_EUlSW_E0_NS1_11comp_targetILNS1_3genE3ELNS1_11target_archE908ELNS1_3gpuE7ELNS1_3repE0EEENS1_38merge_mergepath_config_static_selectorELNS0_4arch9wavefront6targetE0EEEvSI_,comdat
.Lfunc_end1205:
	.size	_ZN7rocprim17ROCPRIM_400000_NS6detail17trampoline_kernelINS0_14default_configENS1_38merge_sort_block_merge_config_selectorIiNS0_10empty_typeEEEZZNS1_27merge_sort_block_merge_implIS3_N6thrust23THRUST_200600_302600_NS10device_ptrIiEEPS5_jNS1_19radix_merge_compareILb0ELb1EiNS0_19identity_decomposerEEEEE10hipError_tT0_T1_T2_jT3_P12ihipStream_tbPNSt15iterator_traitsISH_E10value_typeEPNSN_ISI_E10value_typeEPSJ_NS1_7vsmem_tEENKUlT_SH_SI_SJ_E_clISB_PiSC_SC_EESG_SW_SH_SI_SJ_EUlSW_E0_NS1_11comp_targetILNS1_3genE3ELNS1_11target_archE908ELNS1_3gpuE7ELNS1_3repE0EEENS1_38merge_mergepath_config_static_selectorELNS0_4arch9wavefront6targetE0EEEvSI_, .Lfunc_end1205-_ZN7rocprim17ROCPRIM_400000_NS6detail17trampoline_kernelINS0_14default_configENS1_38merge_sort_block_merge_config_selectorIiNS0_10empty_typeEEEZZNS1_27merge_sort_block_merge_implIS3_N6thrust23THRUST_200600_302600_NS10device_ptrIiEEPS5_jNS1_19radix_merge_compareILb0ELb1EiNS0_19identity_decomposerEEEEE10hipError_tT0_T1_T2_jT3_P12ihipStream_tbPNSt15iterator_traitsISH_E10value_typeEPNSN_ISI_E10value_typeEPSJ_NS1_7vsmem_tEENKUlT_SH_SI_SJ_E_clISB_PiSC_SC_EESG_SW_SH_SI_SJ_EUlSW_E0_NS1_11comp_targetILNS1_3genE3ELNS1_11target_archE908ELNS1_3gpuE7ELNS1_3repE0EEENS1_38merge_mergepath_config_static_selectorELNS0_4arch9wavefront6targetE0EEEvSI_
                                        ; -- End function
	.set _ZN7rocprim17ROCPRIM_400000_NS6detail17trampoline_kernelINS0_14default_configENS1_38merge_sort_block_merge_config_selectorIiNS0_10empty_typeEEEZZNS1_27merge_sort_block_merge_implIS3_N6thrust23THRUST_200600_302600_NS10device_ptrIiEEPS5_jNS1_19radix_merge_compareILb0ELb1EiNS0_19identity_decomposerEEEEE10hipError_tT0_T1_T2_jT3_P12ihipStream_tbPNSt15iterator_traitsISH_E10value_typeEPNSN_ISI_E10value_typeEPSJ_NS1_7vsmem_tEENKUlT_SH_SI_SJ_E_clISB_PiSC_SC_EESG_SW_SH_SI_SJ_EUlSW_E0_NS1_11comp_targetILNS1_3genE3ELNS1_11target_archE908ELNS1_3gpuE7ELNS1_3repE0EEENS1_38merge_mergepath_config_static_selectorELNS0_4arch9wavefront6targetE0EEEvSI_.num_vgpr, 0
	.set _ZN7rocprim17ROCPRIM_400000_NS6detail17trampoline_kernelINS0_14default_configENS1_38merge_sort_block_merge_config_selectorIiNS0_10empty_typeEEEZZNS1_27merge_sort_block_merge_implIS3_N6thrust23THRUST_200600_302600_NS10device_ptrIiEEPS5_jNS1_19radix_merge_compareILb0ELb1EiNS0_19identity_decomposerEEEEE10hipError_tT0_T1_T2_jT3_P12ihipStream_tbPNSt15iterator_traitsISH_E10value_typeEPNSN_ISI_E10value_typeEPSJ_NS1_7vsmem_tEENKUlT_SH_SI_SJ_E_clISB_PiSC_SC_EESG_SW_SH_SI_SJ_EUlSW_E0_NS1_11comp_targetILNS1_3genE3ELNS1_11target_archE908ELNS1_3gpuE7ELNS1_3repE0EEENS1_38merge_mergepath_config_static_selectorELNS0_4arch9wavefront6targetE0EEEvSI_.num_agpr, 0
	.set _ZN7rocprim17ROCPRIM_400000_NS6detail17trampoline_kernelINS0_14default_configENS1_38merge_sort_block_merge_config_selectorIiNS0_10empty_typeEEEZZNS1_27merge_sort_block_merge_implIS3_N6thrust23THRUST_200600_302600_NS10device_ptrIiEEPS5_jNS1_19radix_merge_compareILb0ELb1EiNS0_19identity_decomposerEEEEE10hipError_tT0_T1_T2_jT3_P12ihipStream_tbPNSt15iterator_traitsISH_E10value_typeEPNSN_ISI_E10value_typeEPSJ_NS1_7vsmem_tEENKUlT_SH_SI_SJ_E_clISB_PiSC_SC_EESG_SW_SH_SI_SJ_EUlSW_E0_NS1_11comp_targetILNS1_3genE3ELNS1_11target_archE908ELNS1_3gpuE7ELNS1_3repE0EEENS1_38merge_mergepath_config_static_selectorELNS0_4arch9wavefront6targetE0EEEvSI_.numbered_sgpr, 0
	.set _ZN7rocprim17ROCPRIM_400000_NS6detail17trampoline_kernelINS0_14default_configENS1_38merge_sort_block_merge_config_selectorIiNS0_10empty_typeEEEZZNS1_27merge_sort_block_merge_implIS3_N6thrust23THRUST_200600_302600_NS10device_ptrIiEEPS5_jNS1_19radix_merge_compareILb0ELb1EiNS0_19identity_decomposerEEEEE10hipError_tT0_T1_T2_jT3_P12ihipStream_tbPNSt15iterator_traitsISH_E10value_typeEPNSN_ISI_E10value_typeEPSJ_NS1_7vsmem_tEENKUlT_SH_SI_SJ_E_clISB_PiSC_SC_EESG_SW_SH_SI_SJ_EUlSW_E0_NS1_11comp_targetILNS1_3genE3ELNS1_11target_archE908ELNS1_3gpuE7ELNS1_3repE0EEENS1_38merge_mergepath_config_static_selectorELNS0_4arch9wavefront6targetE0EEEvSI_.num_named_barrier, 0
	.set _ZN7rocprim17ROCPRIM_400000_NS6detail17trampoline_kernelINS0_14default_configENS1_38merge_sort_block_merge_config_selectorIiNS0_10empty_typeEEEZZNS1_27merge_sort_block_merge_implIS3_N6thrust23THRUST_200600_302600_NS10device_ptrIiEEPS5_jNS1_19radix_merge_compareILb0ELb1EiNS0_19identity_decomposerEEEEE10hipError_tT0_T1_T2_jT3_P12ihipStream_tbPNSt15iterator_traitsISH_E10value_typeEPNSN_ISI_E10value_typeEPSJ_NS1_7vsmem_tEENKUlT_SH_SI_SJ_E_clISB_PiSC_SC_EESG_SW_SH_SI_SJ_EUlSW_E0_NS1_11comp_targetILNS1_3genE3ELNS1_11target_archE908ELNS1_3gpuE7ELNS1_3repE0EEENS1_38merge_mergepath_config_static_selectorELNS0_4arch9wavefront6targetE0EEEvSI_.private_seg_size, 0
	.set _ZN7rocprim17ROCPRIM_400000_NS6detail17trampoline_kernelINS0_14default_configENS1_38merge_sort_block_merge_config_selectorIiNS0_10empty_typeEEEZZNS1_27merge_sort_block_merge_implIS3_N6thrust23THRUST_200600_302600_NS10device_ptrIiEEPS5_jNS1_19radix_merge_compareILb0ELb1EiNS0_19identity_decomposerEEEEE10hipError_tT0_T1_T2_jT3_P12ihipStream_tbPNSt15iterator_traitsISH_E10value_typeEPNSN_ISI_E10value_typeEPSJ_NS1_7vsmem_tEENKUlT_SH_SI_SJ_E_clISB_PiSC_SC_EESG_SW_SH_SI_SJ_EUlSW_E0_NS1_11comp_targetILNS1_3genE3ELNS1_11target_archE908ELNS1_3gpuE7ELNS1_3repE0EEENS1_38merge_mergepath_config_static_selectorELNS0_4arch9wavefront6targetE0EEEvSI_.uses_vcc, 0
	.set _ZN7rocprim17ROCPRIM_400000_NS6detail17trampoline_kernelINS0_14default_configENS1_38merge_sort_block_merge_config_selectorIiNS0_10empty_typeEEEZZNS1_27merge_sort_block_merge_implIS3_N6thrust23THRUST_200600_302600_NS10device_ptrIiEEPS5_jNS1_19radix_merge_compareILb0ELb1EiNS0_19identity_decomposerEEEEE10hipError_tT0_T1_T2_jT3_P12ihipStream_tbPNSt15iterator_traitsISH_E10value_typeEPNSN_ISI_E10value_typeEPSJ_NS1_7vsmem_tEENKUlT_SH_SI_SJ_E_clISB_PiSC_SC_EESG_SW_SH_SI_SJ_EUlSW_E0_NS1_11comp_targetILNS1_3genE3ELNS1_11target_archE908ELNS1_3gpuE7ELNS1_3repE0EEENS1_38merge_mergepath_config_static_selectorELNS0_4arch9wavefront6targetE0EEEvSI_.uses_flat_scratch, 0
	.set _ZN7rocprim17ROCPRIM_400000_NS6detail17trampoline_kernelINS0_14default_configENS1_38merge_sort_block_merge_config_selectorIiNS0_10empty_typeEEEZZNS1_27merge_sort_block_merge_implIS3_N6thrust23THRUST_200600_302600_NS10device_ptrIiEEPS5_jNS1_19radix_merge_compareILb0ELb1EiNS0_19identity_decomposerEEEEE10hipError_tT0_T1_T2_jT3_P12ihipStream_tbPNSt15iterator_traitsISH_E10value_typeEPNSN_ISI_E10value_typeEPSJ_NS1_7vsmem_tEENKUlT_SH_SI_SJ_E_clISB_PiSC_SC_EESG_SW_SH_SI_SJ_EUlSW_E0_NS1_11comp_targetILNS1_3genE3ELNS1_11target_archE908ELNS1_3gpuE7ELNS1_3repE0EEENS1_38merge_mergepath_config_static_selectorELNS0_4arch9wavefront6targetE0EEEvSI_.has_dyn_sized_stack, 0
	.set _ZN7rocprim17ROCPRIM_400000_NS6detail17trampoline_kernelINS0_14default_configENS1_38merge_sort_block_merge_config_selectorIiNS0_10empty_typeEEEZZNS1_27merge_sort_block_merge_implIS3_N6thrust23THRUST_200600_302600_NS10device_ptrIiEEPS5_jNS1_19radix_merge_compareILb0ELb1EiNS0_19identity_decomposerEEEEE10hipError_tT0_T1_T2_jT3_P12ihipStream_tbPNSt15iterator_traitsISH_E10value_typeEPNSN_ISI_E10value_typeEPSJ_NS1_7vsmem_tEENKUlT_SH_SI_SJ_E_clISB_PiSC_SC_EESG_SW_SH_SI_SJ_EUlSW_E0_NS1_11comp_targetILNS1_3genE3ELNS1_11target_archE908ELNS1_3gpuE7ELNS1_3repE0EEENS1_38merge_mergepath_config_static_selectorELNS0_4arch9wavefront6targetE0EEEvSI_.has_recursion, 0
	.set _ZN7rocprim17ROCPRIM_400000_NS6detail17trampoline_kernelINS0_14default_configENS1_38merge_sort_block_merge_config_selectorIiNS0_10empty_typeEEEZZNS1_27merge_sort_block_merge_implIS3_N6thrust23THRUST_200600_302600_NS10device_ptrIiEEPS5_jNS1_19radix_merge_compareILb0ELb1EiNS0_19identity_decomposerEEEEE10hipError_tT0_T1_T2_jT3_P12ihipStream_tbPNSt15iterator_traitsISH_E10value_typeEPNSN_ISI_E10value_typeEPSJ_NS1_7vsmem_tEENKUlT_SH_SI_SJ_E_clISB_PiSC_SC_EESG_SW_SH_SI_SJ_EUlSW_E0_NS1_11comp_targetILNS1_3genE3ELNS1_11target_archE908ELNS1_3gpuE7ELNS1_3repE0EEENS1_38merge_mergepath_config_static_selectorELNS0_4arch9wavefront6targetE0EEEvSI_.has_indirect_call, 0
	.section	.AMDGPU.csdata,"",@progbits
; Kernel info:
; codeLenInByte = 0
; TotalNumSgprs: 0
; NumVgprs: 0
; ScratchSize: 0
; MemoryBound: 0
; FloatMode: 240
; IeeeMode: 1
; LDSByteSize: 0 bytes/workgroup (compile time only)
; SGPRBlocks: 0
; VGPRBlocks: 0
; NumSGPRsForWavesPerEU: 1
; NumVGPRsForWavesPerEU: 1
; Occupancy: 16
; WaveLimiterHint : 0
; COMPUTE_PGM_RSRC2:SCRATCH_EN: 0
; COMPUTE_PGM_RSRC2:USER_SGPR: 6
; COMPUTE_PGM_RSRC2:TRAP_HANDLER: 0
; COMPUTE_PGM_RSRC2:TGID_X_EN: 1
; COMPUTE_PGM_RSRC2:TGID_Y_EN: 0
; COMPUTE_PGM_RSRC2:TGID_Z_EN: 0
; COMPUTE_PGM_RSRC2:TIDIG_COMP_CNT: 0
	.section	.text._ZN7rocprim17ROCPRIM_400000_NS6detail17trampoline_kernelINS0_14default_configENS1_38merge_sort_block_merge_config_selectorIiNS0_10empty_typeEEEZZNS1_27merge_sort_block_merge_implIS3_N6thrust23THRUST_200600_302600_NS10device_ptrIiEEPS5_jNS1_19radix_merge_compareILb0ELb1EiNS0_19identity_decomposerEEEEE10hipError_tT0_T1_T2_jT3_P12ihipStream_tbPNSt15iterator_traitsISH_E10value_typeEPNSN_ISI_E10value_typeEPSJ_NS1_7vsmem_tEENKUlT_SH_SI_SJ_E_clISB_PiSC_SC_EESG_SW_SH_SI_SJ_EUlSW_E0_NS1_11comp_targetILNS1_3genE2ELNS1_11target_archE906ELNS1_3gpuE6ELNS1_3repE0EEENS1_38merge_mergepath_config_static_selectorELNS0_4arch9wavefront6targetE0EEEvSI_,"axG",@progbits,_ZN7rocprim17ROCPRIM_400000_NS6detail17trampoline_kernelINS0_14default_configENS1_38merge_sort_block_merge_config_selectorIiNS0_10empty_typeEEEZZNS1_27merge_sort_block_merge_implIS3_N6thrust23THRUST_200600_302600_NS10device_ptrIiEEPS5_jNS1_19radix_merge_compareILb0ELb1EiNS0_19identity_decomposerEEEEE10hipError_tT0_T1_T2_jT3_P12ihipStream_tbPNSt15iterator_traitsISH_E10value_typeEPNSN_ISI_E10value_typeEPSJ_NS1_7vsmem_tEENKUlT_SH_SI_SJ_E_clISB_PiSC_SC_EESG_SW_SH_SI_SJ_EUlSW_E0_NS1_11comp_targetILNS1_3genE2ELNS1_11target_archE906ELNS1_3gpuE6ELNS1_3repE0EEENS1_38merge_mergepath_config_static_selectorELNS0_4arch9wavefront6targetE0EEEvSI_,comdat
	.protected	_ZN7rocprim17ROCPRIM_400000_NS6detail17trampoline_kernelINS0_14default_configENS1_38merge_sort_block_merge_config_selectorIiNS0_10empty_typeEEEZZNS1_27merge_sort_block_merge_implIS3_N6thrust23THRUST_200600_302600_NS10device_ptrIiEEPS5_jNS1_19radix_merge_compareILb0ELb1EiNS0_19identity_decomposerEEEEE10hipError_tT0_T1_T2_jT3_P12ihipStream_tbPNSt15iterator_traitsISH_E10value_typeEPNSN_ISI_E10value_typeEPSJ_NS1_7vsmem_tEENKUlT_SH_SI_SJ_E_clISB_PiSC_SC_EESG_SW_SH_SI_SJ_EUlSW_E0_NS1_11comp_targetILNS1_3genE2ELNS1_11target_archE906ELNS1_3gpuE6ELNS1_3repE0EEENS1_38merge_mergepath_config_static_selectorELNS0_4arch9wavefront6targetE0EEEvSI_ ; -- Begin function _ZN7rocprim17ROCPRIM_400000_NS6detail17trampoline_kernelINS0_14default_configENS1_38merge_sort_block_merge_config_selectorIiNS0_10empty_typeEEEZZNS1_27merge_sort_block_merge_implIS3_N6thrust23THRUST_200600_302600_NS10device_ptrIiEEPS5_jNS1_19radix_merge_compareILb0ELb1EiNS0_19identity_decomposerEEEEE10hipError_tT0_T1_T2_jT3_P12ihipStream_tbPNSt15iterator_traitsISH_E10value_typeEPNSN_ISI_E10value_typeEPSJ_NS1_7vsmem_tEENKUlT_SH_SI_SJ_E_clISB_PiSC_SC_EESG_SW_SH_SI_SJ_EUlSW_E0_NS1_11comp_targetILNS1_3genE2ELNS1_11target_archE906ELNS1_3gpuE6ELNS1_3repE0EEENS1_38merge_mergepath_config_static_selectorELNS0_4arch9wavefront6targetE0EEEvSI_
	.globl	_ZN7rocprim17ROCPRIM_400000_NS6detail17trampoline_kernelINS0_14default_configENS1_38merge_sort_block_merge_config_selectorIiNS0_10empty_typeEEEZZNS1_27merge_sort_block_merge_implIS3_N6thrust23THRUST_200600_302600_NS10device_ptrIiEEPS5_jNS1_19radix_merge_compareILb0ELb1EiNS0_19identity_decomposerEEEEE10hipError_tT0_T1_T2_jT3_P12ihipStream_tbPNSt15iterator_traitsISH_E10value_typeEPNSN_ISI_E10value_typeEPSJ_NS1_7vsmem_tEENKUlT_SH_SI_SJ_E_clISB_PiSC_SC_EESG_SW_SH_SI_SJ_EUlSW_E0_NS1_11comp_targetILNS1_3genE2ELNS1_11target_archE906ELNS1_3gpuE6ELNS1_3repE0EEENS1_38merge_mergepath_config_static_selectorELNS0_4arch9wavefront6targetE0EEEvSI_
	.p2align	8
	.type	_ZN7rocprim17ROCPRIM_400000_NS6detail17trampoline_kernelINS0_14default_configENS1_38merge_sort_block_merge_config_selectorIiNS0_10empty_typeEEEZZNS1_27merge_sort_block_merge_implIS3_N6thrust23THRUST_200600_302600_NS10device_ptrIiEEPS5_jNS1_19radix_merge_compareILb0ELb1EiNS0_19identity_decomposerEEEEE10hipError_tT0_T1_T2_jT3_P12ihipStream_tbPNSt15iterator_traitsISH_E10value_typeEPNSN_ISI_E10value_typeEPSJ_NS1_7vsmem_tEENKUlT_SH_SI_SJ_E_clISB_PiSC_SC_EESG_SW_SH_SI_SJ_EUlSW_E0_NS1_11comp_targetILNS1_3genE2ELNS1_11target_archE906ELNS1_3gpuE6ELNS1_3repE0EEENS1_38merge_mergepath_config_static_selectorELNS0_4arch9wavefront6targetE0EEEvSI_,@function
_ZN7rocprim17ROCPRIM_400000_NS6detail17trampoline_kernelINS0_14default_configENS1_38merge_sort_block_merge_config_selectorIiNS0_10empty_typeEEEZZNS1_27merge_sort_block_merge_implIS3_N6thrust23THRUST_200600_302600_NS10device_ptrIiEEPS5_jNS1_19radix_merge_compareILb0ELb1EiNS0_19identity_decomposerEEEEE10hipError_tT0_T1_T2_jT3_P12ihipStream_tbPNSt15iterator_traitsISH_E10value_typeEPNSN_ISI_E10value_typeEPSJ_NS1_7vsmem_tEENKUlT_SH_SI_SJ_E_clISB_PiSC_SC_EESG_SW_SH_SI_SJ_EUlSW_E0_NS1_11comp_targetILNS1_3genE2ELNS1_11target_archE906ELNS1_3gpuE6ELNS1_3repE0EEENS1_38merge_mergepath_config_static_selectorELNS0_4arch9wavefront6targetE0EEEvSI_: ; @_ZN7rocprim17ROCPRIM_400000_NS6detail17trampoline_kernelINS0_14default_configENS1_38merge_sort_block_merge_config_selectorIiNS0_10empty_typeEEEZZNS1_27merge_sort_block_merge_implIS3_N6thrust23THRUST_200600_302600_NS10device_ptrIiEEPS5_jNS1_19radix_merge_compareILb0ELb1EiNS0_19identity_decomposerEEEEE10hipError_tT0_T1_T2_jT3_P12ihipStream_tbPNSt15iterator_traitsISH_E10value_typeEPNSN_ISI_E10value_typeEPSJ_NS1_7vsmem_tEENKUlT_SH_SI_SJ_E_clISB_PiSC_SC_EESG_SW_SH_SI_SJ_EUlSW_E0_NS1_11comp_targetILNS1_3genE2ELNS1_11target_archE906ELNS1_3gpuE6ELNS1_3repE0EEENS1_38merge_mergepath_config_static_selectorELNS0_4arch9wavefront6targetE0EEEvSI_
; %bb.0:
	.section	.rodata,"a",@progbits
	.p2align	6, 0x0
	.amdhsa_kernel _ZN7rocprim17ROCPRIM_400000_NS6detail17trampoline_kernelINS0_14default_configENS1_38merge_sort_block_merge_config_selectorIiNS0_10empty_typeEEEZZNS1_27merge_sort_block_merge_implIS3_N6thrust23THRUST_200600_302600_NS10device_ptrIiEEPS5_jNS1_19radix_merge_compareILb0ELb1EiNS0_19identity_decomposerEEEEE10hipError_tT0_T1_T2_jT3_P12ihipStream_tbPNSt15iterator_traitsISH_E10value_typeEPNSN_ISI_E10value_typeEPSJ_NS1_7vsmem_tEENKUlT_SH_SI_SJ_E_clISB_PiSC_SC_EESG_SW_SH_SI_SJ_EUlSW_E0_NS1_11comp_targetILNS1_3genE2ELNS1_11target_archE906ELNS1_3gpuE6ELNS1_3repE0EEENS1_38merge_mergepath_config_static_selectorELNS0_4arch9wavefront6targetE0EEEvSI_
		.amdhsa_group_segment_fixed_size 0
		.amdhsa_private_segment_fixed_size 0
		.amdhsa_kernarg_size 64
		.amdhsa_user_sgpr_count 6
		.amdhsa_user_sgpr_private_segment_buffer 1
		.amdhsa_user_sgpr_dispatch_ptr 0
		.amdhsa_user_sgpr_queue_ptr 0
		.amdhsa_user_sgpr_kernarg_segment_ptr 1
		.amdhsa_user_sgpr_dispatch_id 0
		.amdhsa_user_sgpr_flat_scratch_init 0
		.amdhsa_user_sgpr_private_segment_size 0
		.amdhsa_wavefront_size32 1
		.amdhsa_uses_dynamic_stack 0
		.amdhsa_system_sgpr_private_segment_wavefront_offset 0
		.amdhsa_system_sgpr_workgroup_id_x 1
		.amdhsa_system_sgpr_workgroup_id_y 0
		.amdhsa_system_sgpr_workgroup_id_z 0
		.amdhsa_system_sgpr_workgroup_info 0
		.amdhsa_system_vgpr_workitem_id 0
		.amdhsa_next_free_vgpr 1
		.amdhsa_next_free_sgpr 1
		.amdhsa_reserve_vcc 0
		.amdhsa_reserve_flat_scratch 0
		.amdhsa_float_round_mode_32 0
		.amdhsa_float_round_mode_16_64 0
		.amdhsa_float_denorm_mode_32 3
		.amdhsa_float_denorm_mode_16_64 3
		.amdhsa_dx10_clamp 1
		.amdhsa_ieee_mode 1
		.amdhsa_fp16_overflow 0
		.amdhsa_workgroup_processor_mode 1
		.amdhsa_memory_ordered 1
		.amdhsa_forward_progress 1
		.amdhsa_shared_vgpr_count 0
		.amdhsa_exception_fp_ieee_invalid_op 0
		.amdhsa_exception_fp_denorm_src 0
		.amdhsa_exception_fp_ieee_div_zero 0
		.amdhsa_exception_fp_ieee_overflow 0
		.amdhsa_exception_fp_ieee_underflow 0
		.amdhsa_exception_fp_ieee_inexact 0
		.amdhsa_exception_int_div_zero 0
	.end_amdhsa_kernel
	.section	.text._ZN7rocprim17ROCPRIM_400000_NS6detail17trampoline_kernelINS0_14default_configENS1_38merge_sort_block_merge_config_selectorIiNS0_10empty_typeEEEZZNS1_27merge_sort_block_merge_implIS3_N6thrust23THRUST_200600_302600_NS10device_ptrIiEEPS5_jNS1_19radix_merge_compareILb0ELb1EiNS0_19identity_decomposerEEEEE10hipError_tT0_T1_T2_jT3_P12ihipStream_tbPNSt15iterator_traitsISH_E10value_typeEPNSN_ISI_E10value_typeEPSJ_NS1_7vsmem_tEENKUlT_SH_SI_SJ_E_clISB_PiSC_SC_EESG_SW_SH_SI_SJ_EUlSW_E0_NS1_11comp_targetILNS1_3genE2ELNS1_11target_archE906ELNS1_3gpuE6ELNS1_3repE0EEENS1_38merge_mergepath_config_static_selectorELNS0_4arch9wavefront6targetE0EEEvSI_,"axG",@progbits,_ZN7rocprim17ROCPRIM_400000_NS6detail17trampoline_kernelINS0_14default_configENS1_38merge_sort_block_merge_config_selectorIiNS0_10empty_typeEEEZZNS1_27merge_sort_block_merge_implIS3_N6thrust23THRUST_200600_302600_NS10device_ptrIiEEPS5_jNS1_19radix_merge_compareILb0ELb1EiNS0_19identity_decomposerEEEEE10hipError_tT0_T1_T2_jT3_P12ihipStream_tbPNSt15iterator_traitsISH_E10value_typeEPNSN_ISI_E10value_typeEPSJ_NS1_7vsmem_tEENKUlT_SH_SI_SJ_E_clISB_PiSC_SC_EESG_SW_SH_SI_SJ_EUlSW_E0_NS1_11comp_targetILNS1_3genE2ELNS1_11target_archE906ELNS1_3gpuE6ELNS1_3repE0EEENS1_38merge_mergepath_config_static_selectorELNS0_4arch9wavefront6targetE0EEEvSI_,comdat
.Lfunc_end1206:
	.size	_ZN7rocprim17ROCPRIM_400000_NS6detail17trampoline_kernelINS0_14default_configENS1_38merge_sort_block_merge_config_selectorIiNS0_10empty_typeEEEZZNS1_27merge_sort_block_merge_implIS3_N6thrust23THRUST_200600_302600_NS10device_ptrIiEEPS5_jNS1_19radix_merge_compareILb0ELb1EiNS0_19identity_decomposerEEEEE10hipError_tT0_T1_T2_jT3_P12ihipStream_tbPNSt15iterator_traitsISH_E10value_typeEPNSN_ISI_E10value_typeEPSJ_NS1_7vsmem_tEENKUlT_SH_SI_SJ_E_clISB_PiSC_SC_EESG_SW_SH_SI_SJ_EUlSW_E0_NS1_11comp_targetILNS1_3genE2ELNS1_11target_archE906ELNS1_3gpuE6ELNS1_3repE0EEENS1_38merge_mergepath_config_static_selectorELNS0_4arch9wavefront6targetE0EEEvSI_, .Lfunc_end1206-_ZN7rocprim17ROCPRIM_400000_NS6detail17trampoline_kernelINS0_14default_configENS1_38merge_sort_block_merge_config_selectorIiNS0_10empty_typeEEEZZNS1_27merge_sort_block_merge_implIS3_N6thrust23THRUST_200600_302600_NS10device_ptrIiEEPS5_jNS1_19radix_merge_compareILb0ELb1EiNS0_19identity_decomposerEEEEE10hipError_tT0_T1_T2_jT3_P12ihipStream_tbPNSt15iterator_traitsISH_E10value_typeEPNSN_ISI_E10value_typeEPSJ_NS1_7vsmem_tEENKUlT_SH_SI_SJ_E_clISB_PiSC_SC_EESG_SW_SH_SI_SJ_EUlSW_E0_NS1_11comp_targetILNS1_3genE2ELNS1_11target_archE906ELNS1_3gpuE6ELNS1_3repE0EEENS1_38merge_mergepath_config_static_selectorELNS0_4arch9wavefront6targetE0EEEvSI_
                                        ; -- End function
	.set _ZN7rocprim17ROCPRIM_400000_NS6detail17trampoline_kernelINS0_14default_configENS1_38merge_sort_block_merge_config_selectorIiNS0_10empty_typeEEEZZNS1_27merge_sort_block_merge_implIS3_N6thrust23THRUST_200600_302600_NS10device_ptrIiEEPS5_jNS1_19radix_merge_compareILb0ELb1EiNS0_19identity_decomposerEEEEE10hipError_tT0_T1_T2_jT3_P12ihipStream_tbPNSt15iterator_traitsISH_E10value_typeEPNSN_ISI_E10value_typeEPSJ_NS1_7vsmem_tEENKUlT_SH_SI_SJ_E_clISB_PiSC_SC_EESG_SW_SH_SI_SJ_EUlSW_E0_NS1_11comp_targetILNS1_3genE2ELNS1_11target_archE906ELNS1_3gpuE6ELNS1_3repE0EEENS1_38merge_mergepath_config_static_selectorELNS0_4arch9wavefront6targetE0EEEvSI_.num_vgpr, 0
	.set _ZN7rocprim17ROCPRIM_400000_NS6detail17trampoline_kernelINS0_14default_configENS1_38merge_sort_block_merge_config_selectorIiNS0_10empty_typeEEEZZNS1_27merge_sort_block_merge_implIS3_N6thrust23THRUST_200600_302600_NS10device_ptrIiEEPS5_jNS1_19radix_merge_compareILb0ELb1EiNS0_19identity_decomposerEEEEE10hipError_tT0_T1_T2_jT3_P12ihipStream_tbPNSt15iterator_traitsISH_E10value_typeEPNSN_ISI_E10value_typeEPSJ_NS1_7vsmem_tEENKUlT_SH_SI_SJ_E_clISB_PiSC_SC_EESG_SW_SH_SI_SJ_EUlSW_E0_NS1_11comp_targetILNS1_3genE2ELNS1_11target_archE906ELNS1_3gpuE6ELNS1_3repE0EEENS1_38merge_mergepath_config_static_selectorELNS0_4arch9wavefront6targetE0EEEvSI_.num_agpr, 0
	.set _ZN7rocprim17ROCPRIM_400000_NS6detail17trampoline_kernelINS0_14default_configENS1_38merge_sort_block_merge_config_selectorIiNS0_10empty_typeEEEZZNS1_27merge_sort_block_merge_implIS3_N6thrust23THRUST_200600_302600_NS10device_ptrIiEEPS5_jNS1_19radix_merge_compareILb0ELb1EiNS0_19identity_decomposerEEEEE10hipError_tT0_T1_T2_jT3_P12ihipStream_tbPNSt15iterator_traitsISH_E10value_typeEPNSN_ISI_E10value_typeEPSJ_NS1_7vsmem_tEENKUlT_SH_SI_SJ_E_clISB_PiSC_SC_EESG_SW_SH_SI_SJ_EUlSW_E0_NS1_11comp_targetILNS1_3genE2ELNS1_11target_archE906ELNS1_3gpuE6ELNS1_3repE0EEENS1_38merge_mergepath_config_static_selectorELNS0_4arch9wavefront6targetE0EEEvSI_.numbered_sgpr, 0
	.set _ZN7rocprim17ROCPRIM_400000_NS6detail17trampoline_kernelINS0_14default_configENS1_38merge_sort_block_merge_config_selectorIiNS0_10empty_typeEEEZZNS1_27merge_sort_block_merge_implIS3_N6thrust23THRUST_200600_302600_NS10device_ptrIiEEPS5_jNS1_19radix_merge_compareILb0ELb1EiNS0_19identity_decomposerEEEEE10hipError_tT0_T1_T2_jT3_P12ihipStream_tbPNSt15iterator_traitsISH_E10value_typeEPNSN_ISI_E10value_typeEPSJ_NS1_7vsmem_tEENKUlT_SH_SI_SJ_E_clISB_PiSC_SC_EESG_SW_SH_SI_SJ_EUlSW_E0_NS1_11comp_targetILNS1_3genE2ELNS1_11target_archE906ELNS1_3gpuE6ELNS1_3repE0EEENS1_38merge_mergepath_config_static_selectorELNS0_4arch9wavefront6targetE0EEEvSI_.num_named_barrier, 0
	.set _ZN7rocprim17ROCPRIM_400000_NS6detail17trampoline_kernelINS0_14default_configENS1_38merge_sort_block_merge_config_selectorIiNS0_10empty_typeEEEZZNS1_27merge_sort_block_merge_implIS3_N6thrust23THRUST_200600_302600_NS10device_ptrIiEEPS5_jNS1_19radix_merge_compareILb0ELb1EiNS0_19identity_decomposerEEEEE10hipError_tT0_T1_T2_jT3_P12ihipStream_tbPNSt15iterator_traitsISH_E10value_typeEPNSN_ISI_E10value_typeEPSJ_NS1_7vsmem_tEENKUlT_SH_SI_SJ_E_clISB_PiSC_SC_EESG_SW_SH_SI_SJ_EUlSW_E0_NS1_11comp_targetILNS1_3genE2ELNS1_11target_archE906ELNS1_3gpuE6ELNS1_3repE0EEENS1_38merge_mergepath_config_static_selectorELNS0_4arch9wavefront6targetE0EEEvSI_.private_seg_size, 0
	.set _ZN7rocprim17ROCPRIM_400000_NS6detail17trampoline_kernelINS0_14default_configENS1_38merge_sort_block_merge_config_selectorIiNS0_10empty_typeEEEZZNS1_27merge_sort_block_merge_implIS3_N6thrust23THRUST_200600_302600_NS10device_ptrIiEEPS5_jNS1_19radix_merge_compareILb0ELb1EiNS0_19identity_decomposerEEEEE10hipError_tT0_T1_T2_jT3_P12ihipStream_tbPNSt15iterator_traitsISH_E10value_typeEPNSN_ISI_E10value_typeEPSJ_NS1_7vsmem_tEENKUlT_SH_SI_SJ_E_clISB_PiSC_SC_EESG_SW_SH_SI_SJ_EUlSW_E0_NS1_11comp_targetILNS1_3genE2ELNS1_11target_archE906ELNS1_3gpuE6ELNS1_3repE0EEENS1_38merge_mergepath_config_static_selectorELNS0_4arch9wavefront6targetE0EEEvSI_.uses_vcc, 0
	.set _ZN7rocprim17ROCPRIM_400000_NS6detail17trampoline_kernelINS0_14default_configENS1_38merge_sort_block_merge_config_selectorIiNS0_10empty_typeEEEZZNS1_27merge_sort_block_merge_implIS3_N6thrust23THRUST_200600_302600_NS10device_ptrIiEEPS5_jNS1_19radix_merge_compareILb0ELb1EiNS0_19identity_decomposerEEEEE10hipError_tT0_T1_T2_jT3_P12ihipStream_tbPNSt15iterator_traitsISH_E10value_typeEPNSN_ISI_E10value_typeEPSJ_NS1_7vsmem_tEENKUlT_SH_SI_SJ_E_clISB_PiSC_SC_EESG_SW_SH_SI_SJ_EUlSW_E0_NS1_11comp_targetILNS1_3genE2ELNS1_11target_archE906ELNS1_3gpuE6ELNS1_3repE0EEENS1_38merge_mergepath_config_static_selectorELNS0_4arch9wavefront6targetE0EEEvSI_.uses_flat_scratch, 0
	.set _ZN7rocprim17ROCPRIM_400000_NS6detail17trampoline_kernelINS0_14default_configENS1_38merge_sort_block_merge_config_selectorIiNS0_10empty_typeEEEZZNS1_27merge_sort_block_merge_implIS3_N6thrust23THRUST_200600_302600_NS10device_ptrIiEEPS5_jNS1_19radix_merge_compareILb0ELb1EiNS0_19identity_decomposerEEEEE10hipError_tT0_T1_T2_jT3_P12ihipStream_tbPNSt15iterator_traitsISH_E10value_typeEPNSN_ISI_E10value_typeEPSJ_NS1_7vsmem_tEENKUlT_SH_SI_SJ_E_clISB_PiSC_SC_EESG_SW_SH_SI_SJ_EUlSW_E0_NS1_11comp_targetILNS1_3genE2ELNS1_11target_archE906ELNS1_3gpuE6ELNS1_3repE0EEENS1_38merge_mergepath_config_static_selectorELNS0_4arch9wavefront6targetE0EEEvSI_.has_dyn_sized_stack, 0
	.set _ZN7rocprim17ROCPRIM_400000_NS6detail17trampoline_kernelINS0_14default_configENS1_38merge_sort_block_merge_config_selectorIiNS0_10empty_typeEEEZZNS1_27merge_sort_block_merge_implIS3_N6thrust23THRUST_200600_302600_NS10device_ptrIiEEPS5_jNS1_19radix_merge_compareILb0ELb1EiNS0_19identity_decomposerEEEEE10hipError_tT0_T1_T2_jT3_P12ihipStream_tbPNSt15iterator_traitsISH_E10value_typeEPNSN_ISI_E10value_typeEPSJ_NS1_7vsmem_tEENKUlT_SH_SI_SJ_E_clISB_PiSC_SC_EESG_SW_SH_SI_SJ_EUlSW_E0_NS1_11comp_targetILNS1_3genE2ELNS1_11target_archE906ELNS1_3gpuE6ELNS1_3repE0EEENS1_38merge_mergepath_config_static_selectorELNS0_4arch9wavefront6targetE0EEEvSI_.has_recursion, 0
	.set _ZN7rocprim17ROCPRIM_400000_NS6detail17trampoline_kernelINS0_14default_configENS1_38merge_sort_block_merge_config_selectorIiNS0_10empty_typeEEEZZNS1_27merge_sort_block_merge_implIS3_N6thrust23THRUST_200600_302600_NS10device_ptrIiEEPS5_jNS1_19radix_merge_compareILb0ELb1EiNS0_19identity_decomposerEEEEE10hipError_tT0_T1_T2_jT3_P12ihipStream_tbPNSt15iterator_traitsISH_E10value_typeEPNSN_ISI_E10value_typeEPSJ_NS1_7vsmem_tEENKUlT_SH_SI_SJ_E_clISB_PiSC_SC_EESG_SW_SH_SI_SJ_EUlSW_E0_NS1_11comp_targetILNS1_3genE2ELNS1_11target_archE906ELNS1_3gpuE6ELNS1_3repE0EEENS1_38merge_mergepath_config_static_selectorELNS0_4arch9wavefront6targetE0EEEvSI_.has_indirect_call, 0
	.section	.AMDGPU.csdata,"",@progbits
; Kernel info:
; codeLenInByte = 0
; TotalNumSgprs: 0
; NumVgprs: 0
; ScratchSize: 0
; MemoryBound: 0
; FloatMode: 240
; IeeeMode: 1
; LDSByteSize: 0 bytes/workgroup (compile time only)
; SGPRBlocks: 0
; VGPRBlocks: 0
; NumSGPRsForWavesPerEU: 1
; NumVGPRsForWavesPerEU: 1
; Occupancy: 16
; WaveLimiterHint : 0
; COMPUTE_PGM_RSRC2:SCRATCH_EN: 0
; COMPUTE_PGM_RSRC2:USER_SGPR: 6
; COMPUTE_PGM_RSRC2:TRAP_HANDLER: 0
; COMPUTE_PGM_RSRC2:TGID_X_EN: 1
; COMPUTE_PGM_RSRC2:TGID_Y_EN: 0
; COMPUTE_PGM_RSRC2:TGID_Z_EN: 0
; COMPUTE_PGM_RSRC2:TIDIG_COMP_CNT: 0
	.section	.text._ZN7rocprim17ROCPRIM_400000_NS6detail17trampoline_kernelINS0_14default_configENS1_38merge_sort_block_merge_config_selectorIiNS0_10empty_typeEEEZZNS1_27merge_sort_block_merge_implIS3_N6thrust23THRUST_200600_302600_NS10device_ptrIiEEPS5_jNS1_19radix_merge_compareILb0ELb1EiNS0_19identity_decomposerEEEEE10hipError_tT0_T1_T2_jT3_P12ihipStream_tbPNSt15iterator_traitsISH_E10value_typeEPNSN_ISI_E10value_typeEPSJ_NS1_7vsmem_tEENKUlT_SH_SI_SJ_E_clISB_PiSC_SC_EESG_SW_SH_SI_SJ_EUlSW_E0_NS1_11comp_targetILNS1_3genE9ELNS1_11target_archE1100ELNS1_3gpuE3ELNS1_3repE0EEENS1_38merge_mergepath_config_static_selectorELNS0_4arch9wavefront6targetE0EEEvSI_,"axG",@progbits,_ZN7rocprim17ROCPRIM_400000_NS6detail17trampoline_kernelINS0_14default_configENS1_38merge_sort_block_merge_config_selectorIiNS0_10empty_typeEEEZZNS1_27merge_sort_block_merge_implIS3_N6thrust23THRUST_200600_302600_NS10device_ptrIiEEPS5_jNS1_19radix_merge_compareILb0ELb1EiNS0_19identity_decomposerEEEEE10hipError_tT0_T1_T2_jT3_P12ihipStream_tbPNSt15iterator_traitsISH_E10value_typeEPNSN_ISI_E10value_typeEPSJ_NS1_7vsmem_tEENKUlT_SH_SI_SJ_E_clISB_PiSC_SC_EESG_SW_SH_SI_SJ_EUlSW_E0_NS1_11comp_targetILNS1_3genE9ELNS1_11target_archE1100ELNS1_3gpuE3ELNS1_3repE0EEENS1_38merge_mergepath_config_static_selectorELNS0_4arch9wavefront6targetE0EEEvSI_,comdat
	.protected	_ZN7rocprim17ROCPRIM_400000_NS6detail17trampoline_kernelINS0_14default_configENS1_38merge_sort_block_merge_config_selectorIiNS0_10empty_typeEEEZZNS1_27merge_sort_block_merge_implIS3_N6thrust23THRUST_200600_302600_NS10device_ptrIiEEPS5_jNS1_19radix_merge_compareILb0ELb1EiNS0_19identity_decomposerEEEEE10hipError_tT0_T1_T2_jT3_P12ihipStream_tbPNSt15iterator_traitsISH_E10value_typeEPNSN_ISI_E10value_typeEPSJ_NS1_7vsmem_tEENKUlT_SH_SI_SJ_E_clISB_PiSC_SC_EESG_SW_SH_SI_SJ_EUlSW_E0_NS1_11comp_targetILNS1_3genE9ELNS1_11target_archE1100ELNS1_3gpuE3ELNS1_3repE0EEENS1_38merge_mergepath_config_static_selectorELNS0_4arch9wavefront6targetE0EEEvSI_ ; -- Begin function _ZN7rocprim17ROCPRIM_400000_NS6detail17trampoline_kernelINS0_14default_configENS1_38merge_sort_block_merge_config_selectorIiNS0_10empty_typeEEEZZNS1_27merge_sort_block_merge_implIS3_N6thrust23THRUST_200600_302600_NS10device_ptrIiEEPS5_jNS1_19radix_merge_compareILb0ELb1EiNS0_19identity_decomposerEEEEE10hipError_tT0_T1_T2_jT3_P12ihipStream_tbPNSt15iterator_traitsISH_E10value_typeEPNSN_ISI_E10value_typeEPSJ_NS1_7vsmem_tEENKUlT_SH_SI_SJ_E_clISB_PiSC_SC_EESG_SW_SH_SI_SJ_EUlSW_E0_NS1_11comp_targetILNS1_3genE9ELNS1_11target_archE1100ELNS1_3gpuE3ELNS1_3repE0EEENS1_38merge_mergepath_config_static_selectorELNS0_4arch9wavefront6targetE0EEEvSI_
	.globl	_ZN7rocprim17ROCPRIM_400000_NS6detail17trampoline_kernelINS0_14default_configENS1_38merge_sort_block_merge_config_selectorIiNS0_10empty_typeEEEZZNS1_27merge_sort_block_merge_implIS3_N6thrust23THRUST_200600_302600_NS10device_ptrIiEEPS5_jNS1_19radix_merge_compareILb0ELb1EiNS0_19identity_decomposerEEEEE10hipError_tT0_T1_T2_jT3_P12ihipStream_tbPNSt15iterator_traitsISH_E10value_typeEPNSN_ISI_E10value_typeEPSJ_NS1_7vsmem_tEENKUlT_SH_SI_SJ_E_clISB_PiSC_SC_EESG_SW_SH_SI_SJ_EUlSW_E0_NS1_11comp_targetILNS1_3genE9ELNS1_11target_archE1100ELNS1_3gpuE3ELNS1_3repE0EEENS1_38merge_mergepath_config_static_selectorELNS0_4arch9wavefront6targetE0EEEvSI_
	.p2align	8
	.type	_ZN7rocprim17ROCPRIM_400000_NS6detail17trampoline_kernelINS0_14default_configENS1_38merge_sort_block_merge_config_selectorIiNS0_10empty_typeEEEZZNS1_27merge_sort_block_merge_implIS3_N6thrust23THRUST_200600_302600_NS10device_ptrIiEEPS5_jNS1_19radix_merge_compareILb0ELb1EiNS0_19identity_decomposerEEEEE10hipError_tT0_T1_T2_jT3_P12ihipStream_tbPNSt15iterator_traitsISH_E10value_typeEPNSN_ISI_E10value_typeEPSJ_NS1_7vsmem_tEENKUlT_SH_SI_SJ_E_clISB_PiSC_SC_EESG_SW_SH_SI_SJ_EUlSW_E0_NS1_11comp_targetILNS1_3genE9ELNS1_11target_archE1100ELNS1_3gpuE3ELNS1_3repE0EEENS1_38merge_mergepath_config_static_selectorELNS0_4arch9wavefront6targetE0EEEvSI_,@function
_ZN7rocprim17ROCPRIM_400000_NS6detail17trampoline_kernelINS0_14default_configENS1_38merge_sort_block_merge_config_selectorIiNS0_10empty_typeEEEZZNS1_27merge_sort_block_merge_implIS3_N6thrust23THRUST_200600_302600_NS10device_ptrIiEEPS5_jNS1_19radix_merge_compareILb0ELb1EiNS0_19identity_decomposerEEEEE10hipError_tT0_T1_T2_jT3_P12ihipStream_tbPNSt15iterator_traitsISH_E10value_typeEPNSN_ISI_E10value_typeEPSJ_NS1_7vsmem_tEENKUlT_SH_SI_SJ_E_clISB_PiSC_SC_EESG_SW_SH_SI_SJ_EUlSW_E0_NS1_11comp_targetILNS1_3genE9ELNS1_11target_archE1100ELNS1_3gpuE3ELNS1_3repE0EEENS1_38merge_mergepath_config_static_selectorELNS0_4arch9wavefront6targetE0EEEvSI_: ; @_ZN7rocprim17ROCPRIM_400000_NS6detail17trampoline_kernelINS0_14default_configENS1_38merge_sort_block_merge_config_selectorIiNS0_10empty_typeEEEZZNS1_27merge_sort_block_merge_implIS3_N6thrust23THRUST_200600_302600_NS10device_ptrIiEEPS5_jNS1_19radix_merge_compareILb0ELb1EiNS0_19identity_decomposerEEEEE10hipError_tT0_T1_T2_jT3_P12ihipStream_tbPNSt15iterator_traitsISH_E10value_typeEPNSN_ISI_E10value_typeEPSJ_NS1_7vsmem_tEENKUlT_SH_SI_SJ_E_clISB_PiSC_SC_EESG_SW_SH_SI_SJ_EUlSW_E0_NS1_11comp_targetILNS1_3genE9ELNS1_11target_archE1100ELNS1_3gpuE3ELNS1_3repE0EEENS1_38merge_mergepath_config_static_selectorELNS0_4arch9wavefront6targetE0EEEvSI_
; %bb.0:
	.section	.rodata,"a",@progbits
	.p2align	6, 0x0
	.amdhsa_kernel _ZN7rocprim17ROCPRIM_400000_NS6detail17trampoline_kernelINS0_14default_configENS1_38merge_sort_block_merge_config_selectorIiNS0_10empty_typeEEEZZNS1_27merge_sort_block_merge_implIS3_N6thrust23THRUST_200600_302600_NS10device_ptrIiEEPS5_jNS1_19radix_merge_compareILb0ELb1EiNS0_19identity_decomposerEEEEE10hipError_tT0_T1_T2_jT3_P12ihipStream_tbPNSt15iterator_traitsISH_E10value_typeEPNSN_ISI_E10value_typeEPSJ_NS1_7vsmem_tEENKUlT_SH_SI_SJ_E_clISB_PiSC_SC_EESG_SW_SH_SI_SJ_EUlSW_E0_NS1_11comp_targetILNS1_3genE9ELNS1_11target_archE1100ELNS1_3gpuE3ELNS1_3repE0EEENS1_38merge_mergepath_config_static_selectorELNS0_4arch9wavefront6targetE0EEEvSI_
		.amdhsa_group_segment_fixed_size 0
		.amdhsa_private_segment_fixed_size 0
		.amdhsa_kernarg_size 64
		.amdhsa_user_sgpr_count 6
		.amdhsa_user_sgpr_private_segment_buffer 1
		.amdhsa_user_sgpr_dispatch_ptr 0
		.amdhsa_user_sgpr_queue_ptr 0
		.amdhsa_user_sgpr_kernarg_segment_ptr 1
		.amdhsa_user_sgpr_dispatch_id 0
		.amdhsa_user_sgpr_flat_scratch_init 0
		.amdhsa_user_sgpr_private_segment_size 0
		.amdhsa_wavefront_size32 1
		.amdhsa_uses_dynamic_stack 0
		.amdhsa_system_sgpr_private_segment_wavefront_offset 0
		.amdhsa_system_sgpr_workgroup_id_x 1
		.amdhsa_system_sgpr_workgroup_id_y 0
		.amdhsa_system_sgpr_workgroup_id_z 0
		.amdhsa_system_sgpr_workgroup_info 0
		.amdhsa_system_vgpr_workitem_id 0
		.amdhsa_next_free_vgpr 1
		.amdhsa_next_free_sgpr 1
		.amdhsa_reserve_vcc 0
		.amdhsa_reserve_flat_scratch 0
		.amdhsa_float_round_mode_32 0
		.amdhsa_float_round_mode_16_64 0
		.amdhsa_float_denorm_mode_32 3
		.amdhsa_float_denorm_mode_16_64 3
		.amdhsa_dx10_clamp 1
		.amdhsa_ieee_mode 1
		.amdhsa_fp16_overflow 0
		.amdhsa_workgroup_processor_mode 1
		.amdhsa_memory_ordered 1
		.amdhsa_forward_progress 1
		.amdhsa_shared_vgpr_count 0
		.amdhsa_exception_fp_ieee_invalid_op 0
		.amdhsa_exception_fp_denorm_src 0
		.amdhsa_exception_fp_ieee_div_zero 0
		.amdhsa_exception_fp_ieee_overflow 0
		.amdhsa_exception_fp_ieee_underflow 0
		.amdhsa_exception_fp_ieee_inexact 0
		.amdhsa_exception_int_div_zero 0
	.end_amdhsa_kernel
	.section	.text._ZN7rocprim17ROCPRIM_400000_NS6detail17trampoline_kernelINS0_14default_configENS1_38merge_sort_block_merge_config_selectorIiNS0_10empty_typeEEEZZNS1_27merge_sort_block_merge_implIS3_N6thrust23THRUST_200600_302600_NS10device_ptrIiEEPS5_jNS1_19radix_merge_compareILb0ELb1EiNS0_19identity_decomposerEEEEE10hipError_tT0_T1_T2_jT3_P12ihipStream_tbPNSt15iterator_traitsISH_E10value_typeEPNSN_ISI_E10value_typeEPSJ_NS1_7vsmem_tEENKUlT_SH_SI_SJ_E_clISB_PiSC_SC_EESG_SW_SH_SI_SJ_EUlSW_E0_NS1_11comp_targetILNS1_3genE9ELNS1_11target_archE1100ELNS1_3gpuE3ELNS1_3repE0EEENS1_38merge_mergepath_config_static_selectorELNS0_4arch9wavefront6targetE0EEEvSI_,"axG",@progbits,_ZN7rocprim17ROCPRIM_400000_NS6detail17trampoline_kernelINS0_14default_configENS1_38merge_sort_block_merge_config_selectorIiNS0_10empty_typeEEEZZNS1_27merge_sort_block_merge_implIS3_N6thrust23THRUST_200600_302600_NS10device_ptrIiEEPS5_jNS1_19radix_merge_compareILb0ELb1EiNS0_19identity_decomposerEEEEE10hipError_tT0_T1_T2_jT3_P12ihipStream_tbPNSt15iterator_traitsISH_E10value_typeEPNSN_ISI_E10value_typeEPSJ_NS1_7vsmem_tEENKUlT_SH_SI_SJ_E_clISB_PiSC_SC_EESG_SW_SH_SI_SJ_EUlSW_E0_NS1_11comp_targetILNS1_3genE9ELNS1_11target_archE1100ELNS1_3gpuE3ELNS1_3repE0EEENS1_38merge_mergepath_config_static_selectorELNS0_4arch9wavefront6targetE0EEEvSI_,comdat
.Lfunc_end1207:
	.size	_ZN7rocprim17ROCPRIM_400000_NS6detail17trampoline_kernelINS0_14default_configENS1_38merge_sort_block_merge_config_selectorIiNS0_10empty_typeEEEZZNS1_27merge_sort_block_merge_implIS3_N6thrust23THRUST_200600_302600_NS10device_ptrIiEEPS5_jNS1_19radix_merge_compareILb0ELb1EiNS0_19identity_decomposerEEEEE10hipError_tT0_T1_T2_jT3_P12ihipStream_tbPNSt15iterator_traitsISH_E10value_typeEPNSN_ISI_E10value_typeEPSJ_NS1_7vsmem_tEENKUlT_SH_SI_SJ_E_clISB_PiSC_SC_EESG_SW_SH_SI_SJ_EUlSW_E0_NS1_11comp_targetILNS1_3genE9ELNS1_11target_archE1100ELNS1_3gpuE3ELNS1_3repE0EEENS1_38merge_mergepath_config_static_selectorELNS0_4arch9wavefront6targetE0EEEvSI_, .Lfunc_end1207-_ZN7rocprim17ROCPRIM_400000_NS6detail17trampoline_kernelINS0_14default_configENS1_38merge_sort_block_merge_config_selectorIiNS0_10empty_typeEEEZZNS1_27merge_sort_block_merge_implIS3_N6thrust23THRUST_200600_302600_NS10device_ptrIiEEPS5_jNS1_19radix_merge_compareILb0ELb1EiNS0_19identity_decomposerEEEEE10hipError_tT0_T1_T2_jT3_P12ihipStream_tbPNSt15iterator_traitsISH_E10value_typeEPNSN_ISI_E10value_typeEPSJ_NS1_7vsmem_tEENKUlT_SH_SI_SJ_E_clISB_PiSC_SC_EESG_SW_SH_SI_SJ_EUlSW_E0_NS1_11comp_targetILNS1_3genE9ELNS1_11target_archE1100ELNS1_3gpuE3ELNS1_3repE0EEENS1_38merge_mergepath_config_static_selectorELNS0_4arch9wavefront6targetE0EEEvSI_
                                        ; -- End function
	.set _ZN7rocprim17ROCPRIM_400000_NS6detail17trampoline_kernelINS0_14default_configENS1_38merge_sort_block_merge_config_selectorIiNS0_10empty_typeEEEZZNS1_27merge_sort_block_merge_implIS3_N6thrust23THRUST_200600_302600_NS10device_ptrIiEEPS5_jNS1_19radix_merge_compareILb0ELb1EiNS0_19identity_decomposerEEEEE10hipError_tT0_T1_T2_jT3_P12ihipStream_tbPNSt15iterator_traitsISH_E10value_typeEPNSN_ISI_E10value_typeEPSJ_NS1_7vsmem_tEENKUlT_SH_SI_SJ_E_clISB_PiSC_SC_EESG_SW_SH_SI_SJ_EUlSW_E0_NS1_11comp_targetILNS1_3genE9ELNS1_11target_archE1100ELNS1_3gpuE3ELNS1_3repE0EEENS1_38merge_mergepath_config_static_selectorELNS0_4arch9wavefront6targetE0EEEvSI_.num_vgpr, 0
	.set _ZN7rocprim17ROCPRIM_400000_NS6detail17trampoline_kernelINS0_14default_configENS1_38merge_sort_block_merge_config_selectorIiNS0_10empty_typeEEEZZNS1_27merge_sort_block_merge_implIS3_N6thrust23THRUST_200600_302600_NS10device_ptrIiEEPS5_jNS1_19radix_merge_compareILb0ELb1EiNS0_19identity_decomposerEEEEE10hipError_tT0_T1_T2_jT3_P12ihipStream_tbPNSt15iterator_traitsISH_E10value_typeEPNSN_ISI_E10value_typeEPSJ_NS1_7vsmem_tEENKUlT_SH_SI_SJ_E_clISB_PiSC_SC_EESG_SW_SH_SI_SJ_EUlSW_E0_NS1_11comp_targetILNS1_3genE9ELNS1_11target_archE1100ELNS1_3gpuE3ELNS1_3repE0EEENS1_38merge_mergepath_config_static_selectorELNS0_4arch9wavefront6targetE0EEEvSI_.num_agpr, 0
	.set _ZN7rocprim17ROCPRIM_400000_NS6detail17trampoline_kernelINS0_14default_configENS1_38merge_sort_block_merge_config_selectorIiNS0_10empty_typeEEEZZNS1_27merge_sort_block_merge_implIS3_N6thrust23THRUST_200600_302600_NS10device_ptrIiEEPS5_jNS1_19radix_merge_compareILb0ELb1EiNS0_19identity_decomposerEEEEE10hipError_tT0_T1_T2_jT3_P12ihipStream_tbPNSt15iterator_traitsISH_E10value_typeEPNSN_ISI_E10value_typeEPSJ_NS1_7vsmem_tEENKUlT_SH_SI_SJ_E_clISB_PiSC_SC_EESG_SW_SH_SI_SJ_EUlSW_E0_NS1_11comp_targetILNS1_3genE9ELNS1_11target_archE1100ELNS1_3gpuE3ELNS1_3repE0EEENS1_38merge_mergepath_config_static_selectorELNS0_4arch9wavefront6targetE0EEEvSI_.numbered_sgpr, 0
	.set _ZN7rocprim17ROCPRIM_400000_NS6detail17trampoline_kernelINS0_14default_configENS1_38merge_sort_block_merge_config_selectorIiNS0_10empty_typeEEEZZNS1_27merge_sort_block_merge_implIS3_N6thrust23THRUST_200600_302600_NS10device_ptrIiEEPS5_jNS1_19radix_merge_compareILb0ELb1EiNS0_19identity_decomposerEEEEE10hipError_tT0_T1_T2_jT3_P12ihipStream_tbPNSt15iterator_traitsISH_E10value_typeEPNSN_ISI_E10value_typeEPSJ_NS1_7vsmem_tEENKUlT_SH_SI_SJ_E_clISB_PiSC_SC_EESG_SW_SH_SI_SJ_EUlSW_E0_NS1_11comp_targetILNS1_3genE9ELNS1_11target_archE1100ELNS1_3gpuE3ELNS1_3repE0EEENS1_38merge_mergepath_config_static_selectorELNS0_4arch9wavefront6targetE0EEEvSI_.num_named_barrier, 0
	.set _ZN7rocprim17ROCPRIM_400000_NS6detail17trampoline_kernelINS0_14default_configENS1_38merge_sort_block_merge_config_selectorIiNS0_10empty_typeEEEZZNS1_27merge_sort_block_merge_implIS3_N6thrust23THRUST_200600_302600_NS10device_ptrIiEEPS5_jNS1_19radix_merge_compareILb0ELb1EiNS0_19identity_decomposerEEEEE10hipError_tT0_T1_T2_jT3_P12ihipStream_tbPNSt15iterator_traitsISH_E10value_typeEPNSN_ISI_E10value_typeEPSJ_NS1_7vsmem_tEENKUlT_SH_SI_SJ_E_clISB_PiSC_SC_EESG_SW_SH_SI_SJ_EUlSW_E0_NS1_11comp_targetILNS1_3genE9ELNS1_11target_archE1100ELNS1_3gpuE3ELNS1_3repE0EEENS1_38merge_mergepath_config_static_selectorELNS0_4arch9wavefront6targetE0EEEvSI_.private_seg_size, 0
	.set _ZN7rocprim17ROCPRIM_400000_NS6detail17trampoline_kernelINS0_14default_configENS1_38merge_sort_block_merge_config_selectorIiNS0_10empty_typeEEEZZNS1_27merge_sort_block_merge_implIS3_N6thrust23THRUST_200600_302600_NS10device_ptrIiEEPS5_jNS1_19radix_merge_compareILb0ELb1EiNS0_19identity_decomposerEEEEE10hipError_tT0_T1_T2_jT3_P12ihipStream_tbPNSt15iterator_traitsISH_E10value_typeEPNSN_ISI_E10value_typeEPSJ_NS1_7vsmem_tEENKUlT_SH_SI_SJ_E_clISB_PiSC_SC_EESG_SW_SH_SI_SJ_EUlSW_E0_NS1_11comp_targetILNS1_3genE9ELNS1_11target_archE1100ELNS1_3gpuE3ELNS1_3repE0EEENS1_38merge_mergepath_config_static_selectorELNS0_4arch9wavefront6targetE0EEEvSI_.uses_vcc, 0
	.set _ZN7rocprim17ROCPRIM_400000_NS6detail17trampoline_kernelINS0_14default_configENS1_38merge_sort_block_merge_config_selectorIiNS0_10empty_typeEEEZZNS1_27merge_sort_block_merge_implIS3_N6thrust23THRUST_200600_302600_NS10device_ptrIiEEPS5_jNS1_19radix_merge_compareILb0ELb1EiNS0_19identity_decomposerEEEEE10hipError_tT0_T1_T2_jT3_P12ihipStream_tbPNSt15iterator_traitsISH_E10value_typeEPNSN_ISI_E10value_typeEPSJ_NS1_7vsmem_tEENKUlT_SH_SI_SJ_E_clISB_PiSC_SC_EESG_SW_SH_SI_SJ_EUlSW_E0_NS1_11comp_targetILNS1_3genE9ELNS1_11target_archE1100ELNS1_3gpuE3ELNS1_3repE0EEENS1_38merge_mergepath_config_static_selectorELNS0_4arch9wavefront6targetE0EEEvSI_.uses_flat_scratch, 0
	.set _ZN7rocprim17ROCPRIM_400000_NS6detail17trampoline_kernelINS0_14default_configENS1_38merge_sort_block_merge_config_selectorIiNS0_10empty_typeEEEZZNS1_27merge_sort_block_merge_implIS3_N6thrust23THRUST_200600_302600_NS10device_ptrIiEEPS5_jNS1_19radix_merge_compareILb0ELb1EiNS0_19identity_decomposerEEEEE10hipError_tT0_T1_T2_jT3_P12ihipStream_tbPNSt15iterator_traitsISH_E10value_typeEPNSN_ISI_E10value_typeEPSJ_NS1_7vsmem_tEENKUlT_SH_SI_SJ_E_clISB_PiSC_SC_EESG_SW_SH_SI_SJ_EUlSW_E0_NS1_11comp_targetILNS1_3genE9ELNS1_11target_archE1100ELNS1_3gpuE3ELNS1_3repE0EEENS1_38merge_mergepath_config_static_selectorELNS0_4arch9wavefront6targetE0EEEvSI_.has_dyn_sized_stack, 0
	.set _ZN7rocprim17ROCPRIM_400000_NS6detail17trampoline_kernelINS0_14default_configENS1_38merge_sort_block_merge_config_selectorIiNS0_10empty_typeEEEZZNS1_27merge_sort_block_merge_implIS3_N6thrust23THRUST_200600_302600_NS10device_ptrIiEEPS5_jNS1_19radix_merge_compareILb0ELb1EiNS0_19identity_decomposerEEEEE10hipError_tT0_T1_T2_jT3_P12ihipStream_tbPNSt15iterator_traitsISH_E10value_typeEPNSN_ISI_E10value_typeEPSJ_NS1_7vsmem_tEENKUlT_SH_SI_SJ_E_clISB_PiSC_SC_EESG_SW_SH_SI_SJ_EUlSW_E0_NS1_11comp_targetILNS1_3genE9ELNS1_11target_archE1100ELNS1_3gpuE3ELNS1_3repE0EEENS1_38merge_mergepath_config_static_selectorELNS0_4arch9wavefront6targetE0EEEvSI_.has_recursion, 0
	.set _ZN7rocprim17ROCPRIM_400000_NS6detail17trampoline_kernelINS0_14default_configENS1_38merge_sort_block_merge_config_selectorIiNS0_10empty_typeEEEZZNS1_27merge_sort_block_merge_implIS3_N6thrust23THRUST_200600_302600_NS10device_ptrIiEEPS5_jNS1_19radix_merge_compareILb0ELb1EiNS0_19identity_decomposerEEEEE10hipError_tT0_T1_T2_jT3_P12ihipStream_tbPNSt15iterator_traitsISH_E10value_typeEPNSN_ISI_E10value_typeEPSJ_NS1_7vsmem_tEENKUlT_SH_SI_SJ_E_clISB_PiSC_SC_EESG_SW_SH_SI_SJ_EUlSW_E0_NS1_11comp_targetILNS1_3genE9ELNS1_11target_archE1100ELNS1_3gpuE3ELNS1_3repE0EEENS1_38merge_mergepath_config_static_selectorELNS0_4arch9wavefront6targetE0EEEvSI_.has_indirect_call, 0
	.section	.AMDGPU.csdata,"",@progbits
; Kernel info:
; codeLenInByte = 0
; TotalNumSgprs: 0
; NumVgprs: 0
; ScratchSize: 0
; MemoryBound: 0
; FloatMode: 240
; IeeeMode: 1
; LDSByteSize: 0 bytes/workgroup (compile time only)
; SGPRBlocks: 0
; VGPRBlocks: 0
; NumSGPRsForWavesPerEU: 1
; NumVGPRsForWavesPerEU: 1
; Occupancy: 16
; WaveLimiterHint : 0
; COMPUTE_PGM_RSRC2:SCRATCH_EN: 0
; COMPUTE_PGM_RSRC2:USER_SGPR: 6
; COMPUTE_PGM_RSRC2:TRAP_HANDLER: 0
; COMPUTE_PGM_RSRC2:TGID_X_EN: 1
; COMPUTE_PGM_RSRC2:TGID_Y_EN: 0
; COMPUTE_PGM_RSRC2:TGID_Z_EN: 0
; COMPUTE_PGM_RSRC2:TIDIG_COMP_CNT: 0
	.section	.text._ZN7rocprim17ROCPRIM_400000_NS6detail17trampoline_kernelINS0_14default_configENS1_38merge_sort_block_merge_config_selectorIiNS0_10empty_typeEEEZZNS1_27merge_sort_block_merge_implIS3_N6thrust23THRUST_200600_302600_NS10device_ptrIiEEPS5_jNS1_19radix_merge_compareILb0ELb1EiNS0_19identity_decomposerEEEEE10hipError_tT0_T1_T2_jT3_P12ihipStream_tbPNSt15iterator_traitsISH_E10value_typeEPNSN_ISI_E10value_typeEPSJ_NS1_7vsmem_tEENKUlT_SH_SI_SJ_E_clISB_PiSC_SC_EESG_SW_SH_SI_SJ_EUlSW_E0_NS1_11comp_targetILNS1_3genE8ELNS1_11target_archE1030ELNS1_3gpuE2ELNS1_3repE0EEENS1_38merge_mergepath_config_static_selectorELNS0_4arch9wavefront6targetE0EEEvSI_,"axG",@progbits,_ZN7rocprim17ROCPRIM_400000_NS6detail17trampoline_kernelINS0_14default_configENS1_38merge_sort_block_merge_config_selectorIiNS0_10empty_typeEEEZZNS1_27merge_sort_block_merge_implIS3_N6thrust23THRUST_200600_302600_NS10device_ptrIiEEPS5_jNS1_19radix_merge_compareILb0ELb1EiNS0_19identity_decomposerEEEEE10hipError_tT0_T1_T2_jT3_P12ihipStream_tbPNSt15iterator_traitsISH_E10value_typeEPNSN_ISI_E10value_typeEPSJ_NS1_7vsmem_tEENKUlT_SH_SI_SJ_E_clISB_PiSC_SC_EESG_SW_SH_SI_SJ_EUlSW_E0_NS1_11comp_targetILNS1_3genE8ELNS1_11target_archE1030ELNS1_3gpuE2ELNS1_3repE0EEENS1_38merge_mergepath_config_static_selectorELNS0_4arch9wavefront6targetE0EEEvSI_,comdat
	.protected	_ZN7rocprim17ROCPRIM_400000_NS6detail17trampoline_kernelINS0_14default_configENS1_38merge_sort_block_merge_config_selectorIiNS0_10empty_typeEEEZZNS1_27merge_sort_block_merge_implIS3_N6thrust23THRUST_200600_302600_NS10device_ptrIiEEPS5_jNS1_19radix_merge_compareILb0ELb1EiNS0_19identity_decomposerEEEEE10hipError_tT0_T1_T2_jT3_P12ihipStream_tbPNSt15iterator_traitsISH_E10value_typeEPNSN_ISI_E10value_typeEPSJ_NS1_7vsmem_tEENKUlT_SH_SI_SJ_E_clISB_PiSC_SC_EESG_SW_SH_SI_SJ_EUlSW_E0_NS1_11comp_targetILNS1_3genE8ELNS1_11target_archE1030ELNS1_3gpuE2ELNS1_3repE0EEENS1_38merge_mergepath_config_static_selectorELNS0_4arch9wavefront6targetE0EEEvSI_ ; -- Begin function _ZN7rocprim17ROCPRIM_400000_NS6detail17trampoline_kernelINS0_14default_configENS1_38merge_sort_block_merge_config_selectorIiNS0_10empty_typeEEEZZNS1_27merge_sort_block_merge_implIS3_N6thrust23THRUST_200600_302600_NS10device_ptrIiEEPS5_jNS1_19radix_merge_compareILb0ELb1EiNS0_19identity_decomposerEEEEE10hipError_tT0_T1_T2_jT3_P12ihipStream_tbPNSt15iterator_traitsISH_E10value_typeEPNSN_ISI_E10value_typeEPSJ_NS1_7vsmem_tEENKUlT_SH_SI_SJ_E_clISB_PiSC_SC_EESG_SW_SH_SI_SJ_EUlSW_E0_NS1_11comp_targetILNS1_3genE8ELNS1_11target_archE1030ELNS1_3gpuE2ELNS1_3repE0EEENS1_38merge_mergepath_config_static_selectorELNS0_4arch9wavefront6targetE0EEEvSI_
	.globl	_ZN7rocprim17ROCPRIM_400000_NS6detail17trampoline_kernelINS0_14default_configENS1_38merge_sort_block_merge_config_selectorIiNS0_10empty_typeEEEZZNS1_27merge_sort_block_merge_implIS3_N6thrust23THRUST_200600_302600_NS10device_ptrIiEEPS5_jNS1_19radix_merge_compareILb0ELb1EiNS0_19identity_decomposerEEEEE10hipError_tT0_T1_T2_jT3_P12ihipStream_tbPNSt15iterator_traitsISH_E10value_typeEPNSN_ISI_E10value_typeEPSJ_NS1_7vsmem_tEENKUlT_SH_SI_SJ_E_clISB_PiSC_SC_EESG_SW_SH_SI_SJ_EUlSW_E0_NS1_11comp_targetILNS1_3genE8ELNS1_11target_archE1030ELNS1_3gpuE2ELNS1_3repE0EEENS1_38merge_mergepath_config_static_selectorELNS0_4arch9wavefront6targetE0EEEvSI_
	.p2align	8
	.type	_ZN7rocprim17ROCPRIM_400000_NS6detail17trampoline_kernelINS0_14default_configENS1_38merge_sort_block_merge_config_selectorIiNS0_10empty_typeEEEZZNS1_27merge_sort_block_merge_implIS3_N6thrust23THRUST_200600_302600_NS10device_ptrIiEEPS5_jNS1_19radix_merge_compareILb0ELb1EiNS0_19identity_decomposerEEEEE10hipError_tT0_T1_T2_jT3_P12ihipStream_tbPNSt15iterator_traitsISH_E10value_typeEPNSN_ISI_E10value_typeEPSJ_NS1_7vsmem_tEENKUlT_SH_SI_SJ_E_clISB_PiSC_SC_EESG_SW_SH_SI_SJ_EUlSW_E0_NS1_11comp_targetILNS1_3genE8ELNS1_11target_archE1030ELNS1_3gpuE2ELNS1_3repE0EEENS1_38merge_mergepath_config_static_selectorELNS0_4arch9wavefront6targetE0EEEvSI_,@function
_ZN7rocprim17ROCPRIM_400000_NS6detail17trampoline_kernelINS0_14default_configENS1_38merge_sort_block_merge_config_selectorIiNS0_10empty_typeEEEZZNS1_27merge_sort_block_merge_implIS3_N6thrust23THRUST_200600_302600_NS10device_ptrIiEEPS5_jNS1_19radix_merge_compareILb0ELb1EiNS0_19identity_decomposerEEEEE10hipError_tT0_T1_T2_jT3_P12ihipStream_tbPNSt15iterator_traitsISH_E10value_typeEPNSN_ISI_E10value_typeEPSJ_NS1_7vsmem_tEENKUlT_SH_SI_SJ_E_clISB_PiSC_SC_EESG_SW_SH_SI_SJ_EUlSW_E0_NS1_11comp_targetILNS1_3genE8ELNS1_11target_archE1030ELNS1_3gpuE2ELNS1_3repE0EEENS1_38merge_mergepath_config_static_selectorELNS0_4arch9wavefront6targetE0EEEvSI_: ; @_ZN7rocprim17ROCPRIM_400000_NS6detail17trampoline_kernelINS0_14default_configENS1_38merge_sort_block_merge_config_selectorIiNS0_10empty_typeEEEZZNS1_27merge_sort_block_merge_implIS3_N6thrust23THRUST_200600_302600_NS10device_ptrIiEEPS5_jNS1_19radix_merge_compareILb0ELb1EiNS0_19identity_decomposerEEEEE10hipError_tT0_T1_T2_jT3_P12ihipStream_tbPNSt15iterator_traitsISH_E10value_typeEPNSN_ISI_E10value_typeEPSJ_NS1_7vsmem_tEENKUlT_SH_SI_SJ_E_clISB_PiSC_SC_EESG_SW_SH_SI_SJ_EUlSW_E0_NS1_11comp_targetILNS1_3genE8ELNS1_11target_archE1030ELNS1_3gpuE2ELNS1_3repE0EEENS1_38merge_mergepath_config_static_selectorELNS0_4arch9wavefront6targetE0EEEvSI_
; %bb.0:
	s_clause 0x1
	s_load_dwordx2 s[14:15], s[4:5], 0x40
	s_load_dwordx2 s[2:3], s[4:5], 0x30
	s_add_u32 s12, s4, 64
	s_addc_u32 s13, s5, 0
	s_waitcnt lgkmcnt(0)
	s_mul_i32 s0, s15, s8
	s_add_i32 s0, s0, s7
	s_mul_i32 s0, s0, s14
	s_add_i32 s0, s0, s6
	s_cmp_ge_u32 s0, s2
	s_cbranch_scc1 .LBB1208_27
; %bb.1:
	s_clause 0x2
	s_load_dwordx2 s[8:9], s[4:5], 0x28
	s_load_dwordx2 s[10:11], s[4:5], 0x38
	;; [unrolled: 1-line block ×3, first 2 shown]
	s_mov_b32 s1, 0
	v_mov_b32_e32 v2, 0
	s_mov_b32 s21, s1
                                        ; implicit-def: $vgpr5
	global_load_dword v1, v2, s[12:13] offset:14
	s_waitcnt lgkmcnt(0)
	s_lshr_b32 s22, s8, 10
	s_cmp_lg_u32 s0, s22
	s_cselect_b32 s7, -1, 0
	s_lshl_b64 s[16:17], s[0:1], 2
	s_add_u32 s10, s10, s16
	s_addc_u32 s11, s11, s17
	s_lshr_b32 s2, s9, 9
	s_load_dwordx2 s[16:17], s[10:11], 0x0
	s_and_b32 s2, s2, 0x7ffffe
	s_lshl_b32 s10, s0, 10
	s_sub_i32 s2, 0, s2
	s_and_b32 s11, s0, s2
	s_or_b32 s2, s0, s2
	s_lshl_b32 s15, s11, 11
	s_lshl_b32 s11, s11, 10
	s_add_i32 s15, s15, s9
	s_sub_i32 s20, s10, s11
	s_sub_i32 s11, s15, s11
	s_add_i32 s15, s15, s20
	s_min_u32 s23, s8, s11
	s_add_i32 s11, s11, s9
	s_waitcnt lgkmcnt(0)
	s_sub_i32 s9, s15, s16
	s_sub_i32 s15, s15, s17
	s_min_u32 s20, s8, s9
	s_addk_i32 s15, 0x400
	s_cmp_eq_u32 s2, -1
	s_cselect_b32 s2, s11, s15
	s_cselect_b32 s9, s23, s17
	s_mov_b32 s17, s1
	s_min_u32 s11, s2, s8
	s_sub_i32 s2, s9, s16
	s_lshl_b64 s[16:17], s[16:17], 2
	s_sub_i32 s9, s11, s20
	s_add_u32 s16, s18, s16
	s_addc_u32 s17, s19, s17
	s_lshl_b64 s[20:21], s[20:21], 2
	s_add_u32 s11, s18, s20
	s_addc_u32 s15, s19, s21
	s_cmp_lt_u32 s6, s14
	s_cselect_b32 s6, 12, 18
	s_add_u32 s12, s12, s6
	s_addc_u32 s13, s13, 0
	s_cmp_eq_u32 s0, s22
	global_load_ushort v3, v2, s[12:13]
	s_mov_b32 s0, -1
	s_waitcnt vmcnt(1)
	v_lshrrev_b32_e32 v4, 16, v1
	v_and_b32_e32 v1, 0xffff, v1
	v_mul_lo_u32 v1, v1, v4
                                        ; implicit-def: $vgpr4
	s_waitcnt vmcnt(0)
	v_mul_lo_u32 v7, v1, v3
	v_lshlrev_b32_e32 v3, 2, v0
                                        ; implicit-def: $vgpr1
	v_add_nc_u32_e32 v6, v7, v0
	s_cbranch_scc0 .LBB1208_17
; %bb.2:
	s_andn2_b32 vcc_lo, exec_lo, s0
	s_cbranch_vccz .LBB1208_18
.LBB1208_3:
	v_mov_b32_e32 v2, 0
	s_and_saveexec_b32 s6, s1
	s_cbranch_execz .LBB1208_5
.LBB1208_4:
	v_mov_b32_e32 v7, 0
	v_mov_b32_e32 v2, v7
	v_lshlrev_b64 v[8:9], 2, v[1:2]
	v_add_co_u32 v8, vcc_lo, s16, v8
	v_add_co_ci_u32_e64 v9, null, s17, v9, vcc_lo
	v_sub_co_u32 v6, vcc_lo, v1, s2
	v_lshlrev_b64 v[1:2], 2, v[6:7]
	v_add_co_u32 v1, s0, s11, v1
	v_add_co_ci_u32_e64 v2, null, s15, v2, s0
	v_cndmask_b32_e32 v1, v1, v8, vcc_lo
	v_cndmask_b32_e32 v2, v2, v9, vcc_lo
	global_load_dword v2, v[1:2], off
.LBB1208_5:
	s_or_b32 exec_lo, exec_lo, s6
	s_load_dwordx2 s[4:5], s[4:5], 0x10
	v_lshlrev_b32_e32 v1, 1, v0
	s_mov_b32 s0, exec_lo
	s_waitcnt vmcnt(0)
	ds_write2st64_b32 v3, v4, v2 offset1:8
	s_waitcnt lgkmcnt(0)
	s_barrier
	v_min_u32_e32 v7, v5, v1
	buffer_gl0_inv
	v_sub_nc_u32_e64 v6, v7, s9 clamp
	v_min_u32_e32 v8, s2, v7
	v_cmpx_lt_u32_e64 v6, v8
	s_cbranch_execz .LBB1208_9
; %bb.6:
	v_lshlrev_b32_e32 v9, 2, v7
	s_mov_b32 s1, 0
	v_lshl_add_u32 v9, s2, 2, v9
	.p2align	6
.LBB1208_7:                             ; =>This Inner Loop Header: Depth=1
	v_add_nc_u32_e32 v10, v8, v6
	v_lshrrev_b32_e32 v10, 1, v10
	v_not_b32_e32 v11, v10
	v_lshlrev_b32_e32 v12, 2, v10
	v_add_nc_u32_e32 v13, 1, v10
	v_lshl_add_u32 v11, v11, 2, v9
	ds_read_b32 v12, v12
	ds_read_b32 v11, v11
	s_waitcnt lgkmcnt(1)
	v_and_b32_e32 v12, s3, v12
	s_waitcnt lgkmcnt(0)
	v_and_b32_e32 v11, s3, v11
	v_cmp_gt_i32_e32 vcc_lo, v12, v11
	v_cndmask_b32_e32 v8, v8, v10, vcc_lo
	v_cndmask_b32_e32 v6, v13, v6, vcc_lo
	v_cmp_ge_u32_e32 vcc_lo, v6, v8
	s_or_b32 s1, vcc_lo, s1
	s_andn2_b32 exec_lo, exec_lo, s1
	s_cbranch_execnz .LBB1208_7
; %bb.8:
	s_or_b32 exec_lo, exec_lo, s1
.LBB1208_9:
	s_or_b32 exec_lo, exec_lo, s0
	v_sub_nc_u32_e32 v7, v7, v6
	v_cmp_ge_u32_e32 vcc_lo, s2, v6
	v_add_nc_u32_e32 v7, s2, v7
	v_cmp_le_u32_e64 s0, v7, v5
	s_or_b32 s0, vcc_lo, s0
	s_and_saveexec_b32 s6, s0
	s_cbranch_execz .LBB1208_15
; %bb.10:
	v_cmp_gt_u32_e32 vcc_lo, s2, v6
                                        ; implicit-def: $vgpr2
	s_and_saveexec_b32 s0, vcc_lo
; %bb.11:
	v_lshlrev_b32_e32 v2, 2, v6
	ds_read_b32 v2, v2
; %bb.12:
	s_or_b32 exec_lo, exec_lo, s0
	v_cmp_ge_u32_e64 s0, v7, v5
	s_mov_b32 s9, exec_lo
                                        ; implicit-def: $vgpr4
	v_cmpx_lt_u32_e64 v7, v5
; %bb.13:
	v_lshlrev_b32_e32 v4, 2, v7
	ds_read_b32 v4, v4
; %bb.14:
	s_or_b32 exec_lo, exec_lo, s9
	s_waitcnt lgkmcnt(0)
	v_and_b32_e32 v8, s3, v4
	v_and_b32_e32 v9, s3, v2
	v_cmp_le_i32_e64 s1, v9, v8
	s_and_b32 s1, vcc_lo, s1
	s_or_b32 vcc_lo, s0, s1
	v_cndmask_b32_e32 v8, v7, v6, vcc_lo
	v_cndmask_b32_e64 v9, v5, s2, vcc_lo
	v_add_nc_u32_e32 v8, 1, v8
	v_add_nc_u32_e32 v9, -1, v9
	v_cndmask_b32_e32 v6, v6, v8, vcc_lo
	v_min_u32_e32 v9, v8, v9
	v_cndmask_b32_e32 v7, v8, v7, vcc_lo
	v_cmp_gt_u32_e64 s0, s2, v6
	v_lshlrev_b32_e32 v9, 2, v9
	v_cmp_ge_u32_e64 s2, v7, v5
	ds_read_b32 v9, v9
	s_waitcnt lgkmcnt(0)
	v_cndmask_b32_e32 v10, v9, v4, vcc_lo
	v_cndmask_b32_e32 v9, v2, v9, vcc_lo
	;; [unrolled: 1-line block ×3, first 2 shown]
	v_and_b32_e32 v11, s3, v10
	v_and_b32_e32 v12, s3, v9
	v_cmp_le_i32_e64 s1, v12, v11
	s_and_b32 s0, s0, s1
	s_or_b32 vcc_lo, s2, s0
	v_cndmask_b32_e32 v2, v10, v9, vcc_lo
.LBB1208_15:
	s_or_b32 exec_lo, exec_lo, s6
	v_lshrrev_b32_e32 v6, 2, v0
	v_or_b32_e32 v5, 0x200, v0
	v_lshrrev_b32_e32 v7, 3, v0
	s_mov_b32 s11, 0
	v_and_b32_e32 v6, 0x7c, v6
	v_lshrrev_b32_e32 v8, 3, v5
	s_lshl_b64 s[0:1], s[10:11], 2
	s_barrier
	s_add_u32 s0, s4, s0
	v_lshl_add_u32 v1, v1, 2, v6
	v_and_b32_e32 v6, 60, v7
	v_and_b32_e32 v7, 0x7c, v8
	buffer_gl0_inv
	s_barrier
	buffer_gl0_inv
	s_addc_u32 s1, s5, s1
	ds_write2_b32 v1, v4, v2 offset1:1
	v_add_co_u32 v1, s0, s0, v3
	v_add_nc_u32_e32 v4, v6, v3
	v_add_nc_u32_e32 v6, v7, v3
	v_add_co_ci_u32_e64 v2, null, s1, 0, s0
	s_and_b32 vcc_lo, exec_lo, s7
	s_waitcnt lgkmcnt(0)
	s_cbranch_vccz .LBB1208_21
; %bb.16:
	s_barrier
	buffer_gl0_inv
	ds_read_b32 v7, v4
	ds_read_b32 v3, v6 offset:2048
	s_mov_b32 s11, -1
	s_waitcnt lgkmcnt(1)
	global_store_dword v[1:2], v7, off
	s_cbranch_execz .LBB1208_22
	s_branch .LBB1208_25
.LBB1208_17:
	v_sub_co_u32 v1, vcc_lo, v0, s2
	v_add_co_u32 v4, s0, s16, v3
	v_add_co_ci_u32_e64 v5, null, s17, 0, s0
	v_lshlrev_b64 v[1:2], 2, v[1:2]
	s_mov_b32 s1, -1
	v_add_co_u32 v1, s0, s11, v1
	v_add_co_ci_u32_e64 v2, null, s15, v2, s0
	s_add_i32 s0, s9, s2
	v_cndmask_b32_e32 v1, v1, v4, vcc_lo
	v_cndmask_b32_e32 v2, v2, v5, vcc_lo
	v_mov_b32_e32 v5, s0
	global_load_dword v4, v[1:2], off
	v_add_nc_u32_e32 v1, v7, v0
	s_cbranch_execnz .LBB1208_3
.LBB1208_18:
	s_waitcnt vmcnt(0)
	v_mov_b32_e32 v4, 0
	s_add_i32 s6, s9, s2
	s_mov_b32 s1, exec_lo
	v_cmpx_gt_u32_e64 s6, v0
	s_cbranch_execz .LBB1208_20
; %bb.19:
	v_sub_co_u32 v1, vcc_lo, v0, s2
	v_mov_b32_e32 v2, 0
	v_add_co_u32 v4, s0, s16, v3
	v_add_co_ci_u32_e64 v5, null, s17, 0, s0
	v_lshlrev_b64 v[1:2], 2, v[1:2]
	v_add_co_u32 v1, s0, s11, v1
	v_add_co_ci_u32_e64 v2, null, s15, v2, s0
	v_cndmask_b32_e32 v1, v1, v4, vcc_lo
	v_cndmask_b32_e32 v2, v2, v5, vcc_lo
	global_load_dword v4, v[1:2], off
.LBB1208_20:
	s_or_b32 exec_lo, exec_lo, s1
	v_cmp_gt_u32_e64 s1, s6, v6
	v_mov_b32_e32 v5, s6
	v_mov_b32_e32 v1, v6
	;; [unrolled: 1-line block ×3, first 2 shown]
	s_and_saveexec_b32 s6, s1
	s_cbranch_execnz .LBB1208_4
	s_branch .LBB1208_5
.LBB1208_21:
                                        ; implicit-def: $vgpr3
.LBB1208_22:
	s_barrier
	s_waitcnt lgkmcnt(0)
	s_waitcnt_vscnt null, 0x0
	buffer_gl0_inv
	ds_read_b32 v3, v6 offset:2048
	s_sub_i32 s0, s8, s10
	s_mov_b32 s1, exec_lo
	v_cmpx_gt_u32_e64 s0, v0
	s_cbranch_execz .LBB1208_24
; %bb.23:
	ds_read_b32 v0, v4
	s_waitcnt lgkmcnt(0)
	global_store_dword v[1:2], v0, off
.LBB1208_24:
	s_or_b32 exec_lo, exec_lo, s1
	v_cmp_gt_u32_e64 s11, s0, v5
.LBB1208_25:
	s_and_saveexec_b32 s0, s11
	s_cbranch_execz .LBB1208_27
; %bb.26:
	v_add_co_u32 v0, vcc_lo, 0x800, v1
	v_add_co_ci_u32_e64 v1, null, 0, v2, vcc_lo
	s_waitcnt lgkmcnt(0)
	global_store_dword v[0:1], v3, off
.LBB1208_27:
	s_endpgm
	.section	.rodata,"a",@progbits
	.p2align	6, 0x0
	.amdhsa_kernel _ZN7rocprim17ROCPRIM_400000_NS6detail17trampoline_kernelINS0_14default_configENS1_38merge_sort_block_merge_config_selectorIiNS0_10empty_typeEEEZZNS1_27merge_sort_block_merge_implIS3_N6thrust23THRUST_200600_302600_NS10device_ptrIiEEPS5_jNS1_19radix_merge_compareILb0ELb1EiNS0_19identity_decomposerEEEEE10hipError_tT0_T1_T2_jT3_P12ihipStream_tbPNSt15iterator_traitsISH_E10value_typeEPNSN_ISI_E10value_typeEPSJ_NS1_7vsmem_tEENKUlT_SH_SI_SJ_E_clISB_PiSC_SC_EESG_SW_SH_SI_SJ_EUlSW_E0_NS1_11comp_targetILNS1_3genE8ELNS1_11target_archE1030ELNS1_3gpuE2ELNS1_3repE0EEENS1_38merge_mergepath_config_static_selectorELNS0_4arch9wavefront6targetE0EEEvSI_
		.amdhsa_group_segment_fixed_size 4224
		.amdhsa_private_segment_fixed_size 0
		.amdhsa_kernarg_size 320
		.amdhsa_user_sgpr_count 6
		.amdhsa_user_sgpr_private_segment_buffer 1
		.amdhsa_user_sgpr_dispatch_ptr 0
		.amdhsa_user_sgpr_queue_ptr 0
		.amdhsa_user_sgpr_kernarg_segment_ptr 1
		.amdhsa_user_sgpr_dispatch_id 0
		.amdhsa_user_sgpr_flat_scratch_init 0
		.amdhsa_user_sgpr_private_segment_size 0
		.amdhsa_wavefront_size32 1
		.amdhsa_uses_dynamic_stack 0
		.amdhsa_system_sgpr_private_segment_wavefront_offset 0
		.amdhsa_system_sgpr_workgroup_id_x 1
		.amdhsa_system_sgpr_workgroup_id_y 1
		.amdhsa_system_sgpr_workgroup_id_z 1
		.amdhsa_system_sgpr_workgroup_info 0
		.amdhsa_system_vgpr_workitem_id 0
		.amdhsa_next_free_vgpr 14
		.amdhsa_next_free_sgpr 24
		.amdhsa_reserve_vcc 1
		.amdhsa_reserve_flat_scratch 0
		.amdhsa_float_round_mode_32 0
		.amdhsa_float_round_mode_16_64 0
		.amdhsa_float_denorm_mode_32 3
		.amdhsa_float_denorm_mode_16_64 3
		.amdhsa_dx10_clamp 1
		.amdhsa_ieee_mode 1
		.amdhsa_fp16_overflow 0
		.amdhsa_workgroup_processor_mode 1
		.amdhsa_memory_ordered 1
		.amdhsa_forward_progress 1
		.amdhsa_shared_vgpr_count 0
		.amdhsa_exception_fp_ieee_invalid_op 0
		.amdhsa_exception_fp_denorm_src 0
		.amdhsa_exception_fp_ieee_div_zero 0
		.amdhsa_exception_fp_ieee_overflow 0
		.amdhsa_exception_fp_ieee_underflow 0
		.amdhsa_exception_fp_ieee_inexact 0
		.amdhsa_exception_int_div_zero 0
	.end_amdhsa_kernel
	.section	.text._ZN7rocprim17ROCPRIM_400000_NS6detail17trampoline_kernelINS0_14default_configENS1_38merge_sort_block_merge_config_selectorIiNS0_10empty_typeEEEZZNS1_27merge_sort_block_merge_implIS3_N6thrust23THRUST_200600_302600_NS10device_ptrIiEEPS5_jNS1_19radix_merge_compareILb0ELb1EiNS0_19identity_decomposerEEEEE10hipError_tT0_T1_T2_jT3_P12ihipStream_tbPNSt15iterator_traitsISH_E10value_typeEPNSN_ISI_E10value_typeEPSJ_NS1_7vsmem_tEENKUlT_SH_SI_SJ_E_clISB_PiSC_SC_EESG_SW_SH_SI_SJ_EUlSW_E0_NS1_11comp_targetILNS1_3genE8ELNS1_11target_archE1030ELNS1_3gpuE2ELNS1_3repE0EEENS1_38merge_mergepath_config_static_selectorELNS0_4arch9wavefront6targetE0EEEvSI_,"axG",@progbits,_ZN7rocprim17ROCPRIM_400000_NS6detail17trampoline_kernelINS0_14default_configENS1_38merge_sort_block_merge_config_selectorIiNS0_10empty_typeEEEZZNS1_27merge_sort_block_merge_implIS3_N6thrust23THRUST_200600_302600_NS10device_ptrIiEEPS5_jNS1_19radix_merge_compareILb0ELb1EiNS0_19identity_decomposerEEEEE10hipError_tT0_T1_T2_jT3_P12ihipStream_tbPNSt15iterator_traitsISH_E10value_typeEPNSN_ISI_E10value_typeEPSJ_NS1_7vsmem_tEENKUlT_SH_SI_SJ_E_clISB_PiSC_SC_EESG_SW_SH_SI_SJ_EUlSW_E0_NS1_11comp_targetILNS1_3genE8ELNS1_11target_archE1030ELNS1_3gpuE2ELNS1_3repE0EEENS1_38merge_mergepath_config_static_selectorELNS0_4arch9wavefront6targetE0EEEvSI_,comdat
.Lfunc_end1208:
	.size	_ZN7rocprim17ROCPRIM_400000_NS6detail17trampoline_kernelINS0_14default_configENS1_38merge_sort_block_merge_config_selectorIiNS0_10empty_typeEEEZZNS1_27merge_sort_block_merge_implIS3_N6thrust23THRUST_200600_302600_NS10device_ptrIiEEPS5_jNS1_19radix_merge_compareILb0ELb1EiNS0_19identity_decomposerEEEEE10hipError_tT0_T1_T2_jT3_P12ihipStream_tbPNSt15iterator_traitsISH_E10value_typeEPNSN_ISI_E10value_typeEPSJ_NS1_7vsmem_tEENKUlT_SH_SI_SJ_E_clISB_PiSC_SC_EESG_SW_SH_SI_SJ_EUlSW_E0_NS1_11comp_targetILNS1_3genE8ELNS1_11target_archE1030ELNS1_3gpuE2ELNS1_3repE0EEENS1_38merge_mergepath_config_static_selectorELNS0_4arch9wavefront6targetE0EEEvSI_, .Lfunc_end1208-_ZN7rocprim17ROCPRIM_400000_NS6detail17trampoline_kernelINS0_14default_configENS1_38merge_sort_block_merge_config_selectorIiNS0_10empty_typeEEEZZNS1_27merge_sort_block_merge_implIS3_N6thrust23THRUST_200600_302600_NS10device_ptrIiEEPS5_jNS1_19radix_merge_compareILb0ELb1EiNS0_19identity_decomposerEEEEE10hipError_tT0_T1_T2_jT3_P12ihipStream_tbPNSt15iterator_traitsISH_E10value_typeEPNSN_ISI_E10value_typeEPSJ_NS1_7vsmem_tEENKUlT_SH_SI_SJ_E_clISB_PiSC_SC_EESG_SW_SH_SI_SJ_EUlSW_E0_NS1_11comp_targetILNS1_3genE8ELNS1_11target_archE1030ELNS1_3gpuE2ELNS1_3repE0EEENS1_38merge_mergepath_config_static_selectorELNS0_4arch9wavefront6targetE0EEEvSI_
                                        ; -- End function
	.set _ZN7rocprim17ROCPRIM_400000_NS6detail17trampoline_kernelINS0_14default_configENS1_38merge_sort_block_merge_config_selectorIiNS0_10empty_typeEEEZZNS1_27merge_sort_block_merge_implIS3_N6thrust23THRUST_200600_302600_NS10device_ptrIiEEPS5_jNS1_19radix_merge_compareILb0ELb1EiNS0_19identity_decomposerEEEEE10hipError_tT0_T1_T2_jT3_P12ihipStream_tbPNSt15iterator_traitsISH_E10value_typeEPNSN_ISI_E10value_typeEPSJ_NS1_7vsmem_tEENKUlT_SH_SI_SJ_E_clISB_PiSC_SC_EESG_SW_SH_SI_SJ_EUlSW_E0_NS1_11comp_targetILNS1_3genE8ELNS1_11target_archE1030ELNS1_3gpuE2ELNS1_3repE0EEENS1_38merge_mergepath_config_static_selectorELNS0_4arch9wavefront6targetE0EEEvSI_.num_vgpr, 14
	.set _ZN7rocprim17ROCPRIM_400000_NS6detail17trampoline_kernelINS0_14default_configENS1_38merge_sort_block_merge_config_selectorIiNS0_10empty_typeEEEZZNS1_27merge_sort_block_merge_implIS3_N6thrust23THRUST_200600_302600_NS10device_ptrIiEEPS5_jNS1_19radix_merge_compareILb0ELb1EiNS0_19identity_decomposerEEEEE10hipError_tT0_T1_T2_jT3_P12ihipStream_tbPNSt15iterator_traitsISH_E10value_typeEPNSN_ISI_E10value_typeEPSJ_NS1_7vsmem_tEENKUlT_SH_SI_SJ_E_clISB_PiSC_SC_EESG_SW_SH_SI_SJ_EUlSW_E0_NS1_11comp_targetILNS1_3genE8ELNS1_11target_archE1030ELNS1_3gpuE2ELNS1_3repE0EEENS1_38merge_mergepath_config_static_selectorELNS0_4arch9wavefront6targetE0EEEvSI_.num_agpr, 0
	.set _ZN7rocprim17ROCPRIM_400000_NS6detail17trampoline_kernelINS0_14default_configENS1_38merge_sort_block_merge_config_selectorIiNS0_10empty_typeEEEZZNS1_27merge_sort_block_merge_implIS3_N6thrust23THRUST_200600_302600_NS10device_ptrIiEEPS5_jNS1_19radix_merge_compareILb0ELb1EiNS0_19identity_decomposerEEEEE10hipError_tT0_T1_T2_jT3_P12ihipStream_tbPNSt15iterator_traitsISH_E10value_typeEPNSN_ISI_E10value_typeEPSJ_NS1_7vsmem_tEENKUlT_SH_SI_SJ_E_clISB_PiSC_SC_EESG_SW_SH_SI_SJ_EUlSW_E0_NS1_11comp_targetILNS1_3genE8ELNS1_11target_archE1030ELNS1_3gpuE2ELNS1_3repE0EEENS1_38merge_mergepath_config_static_selectorELNS0_4arch9wavefront6targetE0EEEvSI_.numbered_sgpr, 24
	.set _ZN7rocprim17ROCPRIM_400000_NS6detail17trampoline_kernelINS0_14default_configENS1_38merge_sort_block_merge_config_selectorIiNS0_10empty_typeEEEZZNS1_27merge_sort_block_merge_implIS3_N6thrust23THRUST_200600_302600_NS10device_ptrIiEEPS5_jNS1_19radix_merge_compareILb0ELb1EiNS0_19identity_decomposerEEEEE10hipError_tT0_T1_T2_jT3_P12ihipStream_tbPNSt15iterator_traitsISH_E10value_typeEPNSN_ISI_E10value_typeEPSJ_NS1_7vsmem_tEENKUlT_SH_SI_SJ_E_clISB_PiSC_SC_EESG_SW_SH_SI_SJ_EUlSW_E0_NS1_11comp_targetILNS1_3genE8ELNS1_11target_archE1030ELNS1_3gpuE2ELNS1_3repE0EEENS1_38merge_mergepath_config_static_selectorELNS0_4arch9wavefront6targetE0EEEvSI_.num_named_barrier, 0
	.set _ZN7rocprim17ROCPRIM_400000_NS6detail17trampoline_kernelINS0_14default_configENS1_38merge_sort_block_merge_config_selectorIiNS0_10empty_typeEEEZZNS1_27merge_sort_block_merge_implIS3_N6thrust23THRUST_200600_302600_NS10device_ptrIiEEPS5_jNS1_19radix_merge_compareILb0ELb1EiNS0_19identity_decomposerEEEEE10hipError_tT0_T1_T2_jT3_P12ihipStream_tbPNSt15iterator_traitsISH_E10value_typeEPNSN_ISI_E10value_typeEPSJ_NS1_7vsmem_tEENKUlT_SH_SI_SJ_E_clISB_PiSC_SC_EESG_SW_SH_SI_SJ_EUlSW_E0_NS1_11comp_targetILNS1_3genE8ELNS1_11target_archE1030ELNS1_3gpuE2ELNS1_3repE0EEENS1_38merge_mergepath_config_static_selectorELNS0_4arch9wavefront6targetE0EEEvSI_.private_seg_size, 0
	.set _ZN7rocprim17ROCPRIM_400000_NS6detail17trampoline_kernelINS0_14default_configENS1_38merge_sort_block_merge_config_selectorIiNS0_10empty_typeEEEZZNS1_27merge_sort_block_merge_implIS3_N6thrust23THRUST_200600_302600_NS10device_ptrIiEEPS5_jNS1_19radix_merge_compareILb0ELb1EiNS0_19identity_decomposerEEEEE10hipError_tT0_T1_T2_jT3_P12ihipStream_tbPNSt15iterator_traitsISH_E10value_typeEPNSN_ISI_E10value_typeEPSJ_NS1_7vsmem_tEENKUlT_SH_SI_SJ_E_clISB_PiSC_SC_EESG_SW_SH_SI_SJ_EUlSW_E0_NS1_11comp_targetILNS1_3genE8ELNS1_11target_archE1030ELNS1_3gpuE2ELNS1_3repE0EEENS1_38merge_mergepath_config_static_selectorELNS0_4arch9wavefront6targetE0EEEvSI_.uses_vcc, 1
	.set _ZN7rocprim17ROCPRIM_400000_NS6detail17trampoline_kernelINS0_14default_configENS1_38merge_sort_block_merge_config_selectorIiNS0_10empty_typeEEEZZNS1_27merge_sort_block_merge_implIS3_N6thrust23THRUST_200600_302600_NS10device_ptrIiEEPS5_jNS1_19radix_merge_compareILb0ELb1EiNS0_19identity_decomposerEEEEE10hipError_tT0_T1_T2_jT3_P12ihipStream_tbPNSt15iterator_traitsISH_E10value_typeEPNSN_ISI_E10value_typeEPSJ_NS1_7vsmem_tEENKUlT_SH_SI_SJ_E_clISB_PiSC_SC_EESG_SW_SH_SI_SJ_EUlSW_E0_NS1_11comp_targetILNS1_3genE8ELNS1_11target_archE1030ELNS1_3gpuE2ELNS1_3repE0EEENS1_38merge_mergepath_config_static_selectorELNS0_4arch9wavefront6targetE0EEEvSI_.uses_flat_scratch, 0
	.set _ZN7rocprim17ROCPRIM_400000_NS6detail17trampoline_kernelINS0_14default_configENS1_38merge_sort_block_merge_config_selectorIiNS0_10empty_typeEEEZZNS1_27merge_sort_block_merge_implIS3_N6thrust23THRUST_200600_302600_NS10device_ptrIiEEPS5_jNS1_19radix_merge_compareILb0ELb1EiNS0_19identity_decomposerEEEEE10hipError_tT0_T1_T2_jT3_P12ihipStream_tbPNSt15iterator_traitsISH_E10value_typeEPNSN_ISI_E10value_typeEPSJ_NS1_7vsmem_tEENKUlT_SH_SI_SJ_E_clISB_PiSC_SC_EESG_SW_SH_SI_SJ_EUlSW_E0_NS1_11comp_targetILNS1_3genE8ELNS1_11target_archE1030ELNS1_3gpuE2ELNS1_3repE0EEENS1_38merge_mergepath_config_static_selectorELNS0_4arch9wavefront6targetE0EEEvSI_.has_dyn_sized_stack, 0
	.set _ZN7rocprim17ROCPRIM_400000_NS6detail17trampoline_kernelINS0_14default_configENS1_38merge_sort_block_merge_config_selectorIiNS0_10empty_typeEEEZZNS1_27merge_sort_block_merge_implIS3_N6thrust23THRUST_200600_302600_NS10device_ptrIiEEPS5_jNS1_19radix_merge_compareILb0ELb1EiNS0_19identity_decomposerEEEEE10hipError_tT0_T1_T2_jT3_P12ihipStream_tbPNSt15iterator_traitsISH_E10value_typeEPNSN_ISI_E10value_typeEPSJ_NS1_7vsmem_tEENKUlT_SH_SI_SJ_E_clISB_PiSC_SC_EESG_SW_SH_SI_SJ_EUlSW_E0_NS1_11comp_targetILNS1_3genE8ELNS1_11target_archE1030ELNS1_3gpuE2ELNS1_3repE0EEENS1_38merge_mergepath_config_static_selectorELNS0_4arch9wavefront6targetE0EEEvSI_.has_recursion, 0
	.set _ZN7rocprim17ROCPRIM_400000_NS6detail17trampoline_kernelINS0_14default_configENS1_38merge_sort_block_merge_config_selectorIiNS0_10empty_typeEEEZZNS1_27merge_sort_block_merge_implIS3_N6thrust23THRUST_200600_302600_NS10device_ptrIiEEPS5_jNS1_19radix_merge_compareILb0ELb1EiNS0_19identity_decomposerEEEEE10hipError_tT0_T1_T2_jT3_P12ihipStream_tbPNSt15iterator_traitsISH_E10value_typeEPNSN_ISI_E10value_typeEPSJ_NS1_7vsmem_tEENKUlT_SH_SI_SJ_E_clISB_PiSC_SC_EESG_SW_SH_SI_SJ_EUlSW_E0_NS1_11comp_targetILNS1_3genE8ELNS1_11target_archE1030ELNS1_3gpuE2ELNS1_3repE0EEENS1_38merge_mergepath_config_static_selectorELNS0_4arch9wavefront6targetE0EEEvSI_.has_indirect_call, 0
	.section	.AMDGPU.csdata,"",@progbits
; Kernel info:
; codeLenInByte = 1424
; TotalNumSgprs: 26
; NumVgprs: 14
; ScratchSize: 0
; MemoryBound: 0
; FloatMode: 240
; IeeeMode: 1
; LDSByteSize: 4224 bytes/workgroup (compile time only)
; SGPRBlocks: 0
; VGPRBlocks: 1
; NumSGPRsForWavesPerEU: 26
; NumVGPRsForWavesPerEU: 14
; Occupancy: 16
; WaveLimiterHint : 1
; COMPUTE_PGM_RSRC2:SCRATCH_EN: 0
; COMPUTE_PGM_RSRC2:USER_SGPR: 6
; COMPUTE_PGM_RSRC2:TRAP_HANDLER: 0
; COMPUTE_PGM_RSRC2:TGID_X_EN: 1
; COMPUTE_PGM_RSRC2:TGID_Y_EN: 1
; COMPUTE_PGM_RSRC2:TGID_Z_EN: 1
; COMPUTE_PGM_RSRC2:TIDIG_COMP_CNT: 0
	.section	.text._ZN7rocprim17ROCPRIM_400000_NS6detail17trampoline_kernelINS0_14default_configENS1_38merge_sort_block_merge_config_selectorIiNS0_10empty_typeEEEZZNS1_27merge_sort_block_merge_implIS3_N6thrust23THRUST_200600_302600_NS10device_ptrIiEEPS5_jNS1_19radix_merge_compareILb0ELb1EiNS0_19identity_decomposerEEEEE10hipError_tT0_T1_T2_jT3_P12ihipStream_tbPNSt15iterator_traitsISH_E10value_typeEPNSN_ISI_E10value_typeEPSJ_NS1_7vsmem_tEENKUlT_SH_SI_SJ_E_clISB_PiSC_SC_EESG_SW_SH_SI_SJ_EUlSW_E1_NS1_11comp_targetILNS1_3genE0ELNS1_11target_archE4294967295ELNS1_3gpuE0ELNS1_3repE0EEENS1_36merge_oddeven_config_static_selectorELNS0_4arch9wavefront6targetE0EEEvSI_,"axG",@progbits,_ZN7rocprim17ROCPRIM_400000_NS6detail17trampoline_kernelINS0_14default_configENS1_38merge_sort_block_merge_config_selectorIiNS0_10empty_typeEEEZZNS1_27merge_sort_block_merge_implIS3_N6thrust23THRUST_200600_302600_NS10device_ptrIiEEPS5_jNS1_19radix_merge_compareILb0ELb1EiNS0_19identity_decomposerEEEEE10hipError_tT0_T1_T2_jT3_P12ihipStream_tbPNSt15iterator_traitsISH_E10value_typeEPNSN_ISI_E10value_typeEPSJ_NS1_7vsmem_tEENKUlT_SH_SI_SJ_E_clISB_PiSC_SC_EESG_SW_SH_SI_SJ_EUlSW_E1_NS1_11comp_targetILNS1_3genE0ELNS1_11target_archE4294967295ELNS1_3gpuE0ELNS1_3repE0EEENS1_36merge_oddeven_config_static_selectorELNS0_4arch9wavefront6targetE0EEEvSI_,comdat
	.protected	_ZN7rocprim17ROCPRIM_400000_NS6detail17trampoline_kernelINS0_14default_configENS1_38merge_sort_block_merge_config_selectorIiNS0_10empty_typeEEEZZNS1_27merge_sort_block_merge_implIS3_N6thrust23THRUST_200600_302600_NS10device_ptrIiEEPS5_jNS1_19radix_merge_compareILb0ELb1EiNS0_19identity_decomposerEEEEE10hipError_tT0_T1_T2_jT3_P12ihipStream_tbPNSt15iterator_traitsISH_E10value_typeEPNSN_ISI_E10value_typeEPSJ_NS1_7vsmem_tEENKUlT_SH_SI_SJ_E_clISB_PiSC_SC_EESG_SW_SH_SI_SJ_EUlSW_E1_NS1_11comp_targetILNS1_3genE0ELNS1_11target_archE4294967295ELNS1_3gpuE0ELNS1_3repE0EEENS1_36merge_oddeven_config_static_selectorELNS0_4arch9wavefront6targetE0EEEvSI_ ; -- Begin function _ZN7rocprim17ROCPRIM_400000_NS6detail17trampoline_kernelINS0_14default_configENS1_38merge_sort_block_merge_config_selectorIiNS0_10empty_typeEEEZZNS1_27merge_sort_block_merge_implIS3_N6thrust23THRUST_200600_302600_NS10device_ptrIiEEPS5_jNS1_19radix_merge_compareILb0ELb1EiNS0_19identity_decomposerEEEEE10hipError_tT0_T1_T2_jT3_P12ihipStream_tbPNSt15iterator_traitsISH_E10value_typeEPNSN_ISI_E10value_typeEPSJ_NS1_7vsmem_tEENKUlT_SH_SI_SJ_E_clISB_PiSC_SC_EESG_SW_SH_SI_SJ_EUlSW_E1_NS1_11comp_targetILNS1_3genE0ELNS1_11target_archE4294967295ELNS1_3gpuE0ELNS1_3repE0EEENS1_36merge_oddeven_config_static_selectorELNS0_4arch9wavefront6targetE0EEEvSI_
	.globl	_ZN7rocprim17ROCPRIM_400000_NS6detail17trampoline_kernelINS0_14default_configENS1_38merge_sort_block_merge_config_selectorIiNS0_10empty_typeEEEZZNS1_27merge_sort_block_merge_implIS3_N6thrust23THRUST_200600_302600_NS10device_ptrIiEEPS5_jNS1_19radix_merge_compareILb0ELb1EiNS0_19identity_decomposerEEEEE10hipError_tT0_T1_T2_jT3_P12ihipStream_tbPNSt15iterator_traitsISH_E10value_typeEPNSN_ISI_E10value_typeEPSJ_NS1_7vsmem_tEENKUlT_SH_SI_SJ_E_clISB_PiSC_SC_EESG_SW_SH_SI_SJ_EUlSW_E1_NS1_11comp_targetILNS1_3genE0ELNS1_11target_archE4294967295ELNS1_3gpuE0ELNS1_3repE0EEENS1_36merge_oddeven_config_static_selectorELNS0_4arch9wavefront6targetE0EEEvSI_
	.p2align	8
	.type	_ZN7rocprim17ROCPRIM_400000_NS6detail17trampoline_kernelINS0_14default_configENS1_38merge_sort_block_merge_config_selectorIiNS0_10empty_typeEEEZZNS1_27merge_sort_block_merge_implIS3_N6thrust23THRUST_200600_302600_NS10device_ptrIiEEPS5_jNS1_19radix_merge_compareILb0ELb1EiNS0_19identity_decomposerEEEEE10hipError_tT0_T1_T2_jT3_P12ihipStream_tbPNSt15iterator_traitsISH_E10value_typeEPNSN_ISI_E10value_typeEPSJ_NS1_7vsmem_tEENKUlT_SH_SI_SJ_E_clISB_PiSC_SC_EESG_SW_SH_SI_SJ_EUlSW_E1_NS1_11comp_targetILNS1_3genE0ELNS1_11target_archE4294967295ELNS1_3gpuE0ELNS1_3repE0EEENS1_36merge_oddeven_config_static_selectorELNS0_4arch9wavefront6targetE0EEEvSI_,@function
_ZN7rocprim17ROCPRIM_400000_NS6detail17trampoline_kernelINS0_14default_configENS1_38merge_sort_block_merge_config_selectorIiNS0_10empty_typeEEEZZNS1_27merge_sort_block_merge_implIS3_N6thrust23THRUST_200600_302600_NS10device_ptrIiEEPS5_jNS1_19radix_merge_compareILb0ELb1EiNS0_19identity_decomposerEEEEE10hipError_tT0_T1_T2_jT3_P12ihipStream_tbPNSt15iterator_traitsISH_E10value_typeEPNSN_ISI_E10value_typeEPSJ_NS1_7vsmem_tEENKUlT_SH_SI_SJ_E_clISB_PiSC_SC_EESG_SW_SH_SI_SJ_EUlSW_E1_NS1_11comp_targetILNS1_3genE0ELNS1_11target_archE4294967295ELNS1_3gpuE0ELNS1_3repE0EEENS1_36merge_oddeven_config_static_selectorELNS0_4arch9wavefront6targetE0EEEvSI_: ; @_ZN7rocprim17ROCPRIM_400000_NS6detail17trampoline_kernelINS0_14default_configENS1_38merge_sort_block_merge_config_selectorIiNS0_10empty_typeEEEZZNS1_27merge_sort_block_merge_implIS3_N6thrust23THRUST_200600_302600_NS10device_ptrIiEEPS5_jNS1_19radix_merge_compareILb0ELb1EiNS0_19identity_decomposerEEEEE10hipError_tT0_T1_T2_jT3_P12ihipStream_tbPNSt15iterator_traitsISH_E10value_typeEPNSN_ISI_E10value_typeEPSJ_NS1_7vsmem_tEENKUlT_SH_SI_SJ_E_clISB_PiSC_SC_EESG_SW_SH_SI_SJ_EUlSW_E1_NS1_11comp_targetILNS1_3genE0ELNS1_11target_archE4294967295ELNS1_3gpuE0ELNS1_3repE0EEENS1_36merge_oddeven_config_static_selectorELNS0_4arch9wavefront6targetE0EEEvSI_
; %bb.0:
	.section	.rodata,"a",@progbits
	.p2align	6, 0x0
	.amdhsa_kernel _ZN7rocprim17ROCPRIM_400000_NS6detail17trampoline_kernelINS0_14default_configENS1_38merge_sort_block_merge_config_selectorIiNS0_10empty_typeEEEZZNS1_27merge_sort_block_merge_implIS3_N6thrust23THRUST_200600_302600_NS10device_ptrIiEEPS5_jNS1_19radix_merge_compareILb0ELb1EiNS0_19identity_decomposerEEEEE10hipError_tT0_T1_T2_jT3_P12ihipStream_tbPNSt15iterator_traitsISH_E10value_typeEPNSN_ISI_E10value_typeEPSJ_NS1_7vsmem_tEENKUlT_SH_SI_SJ_E_clISB_PiSC_SC_EESG_SW_SH_SI_SJ_EUlSW_E1_NS1_11comp_targetILNS1_3genE0ELNS1_11target_archE4294967295ELNS1_3gpuE0ELNS1_3repE0EEENS1_36merge_oddeven_config_static_selectorELNS0_4arch9wavefront6targetE0EEEvSI_
		.amdhsa_group_segment_fixed_size 0
		.amdhsa_private_segment_fixed_size 0
		.amdhsa_kernarg_size 48
		.amdhsa_user_sgpr_count 6
		.amdhsa_user_sgpr_private_segment_buffer 1
		.amdhsa_user_sgpr_dispatch_ptr 0
		.amdhsa_user_sgpr_queue_ptr 0
		.amdhsa_user_sgpr_kernarg_segment_ptr 1
		.amdhsa_user_sgpr_dispatch_id 0
		.amdhsa_user_sgpr_flat_scratch_init 0
		.amdhsa_user_sgpr_private_segment_size 0
		.amdhsa_wavefront_size32 1
		.amdhsa_uses_dynamic_stack 0
		.amdhsa_system_sgpr_private_segment_wavefront_offset 0
		.amdhsa_system_sgpr_workgroup_id_x 1
		.amdhsa_system_sgpr_workgroup_id_y 0
		.amdhsa_system_sgpr_workgroup_id_z 0
		.amdhsa_system_sgpr_workgroup_info 0
		.amdhsa_system_vgpr_workitem_id 0
		.amdhsa_next_free_vgpr 1
		.amdhsa_next_free_sgpr 1
		.amdhsa_reserve_vcc 0
		.amdhsa_reserve_flat_scratch 0
		.amdhsa_float_round_mode_32 0
		.amdhsa_float_round_mode_16_64 0
		.amdhsa_float_denorm_mode_32 3
		.amdhsa_float_denorm_mode_16_64 3
		.amdhsa_dx10_clamp 1
		.amdhsa_ieee_mode 1
		.amdhsa_fp16_overflow 0
		.amdhsa_workgroup_processor_mode 1
		.amdhsa_memory_ordered 1
		.amdhsa_forward_progress 1
		.amdhsa_shared_vgpr_count 0
		.amdhsa_exception_fp_ieee_invalid_op 0
		.amdhsa_exception_fp_denorm_src 0
		.amdhsa_exception_fp_ieee_div_zero 0
		.amdhsa_exception_fp_ieee_overflow 0
		.amdhsa_exception_fp_ieee_underflow 0
		.amdhsa_exception_fp_ieee_inexact 0
		.amdhsa_exception_int_div_zero 0
	.end_amdhsa_kernel
	.section	.text._ZN7rocprim17ROCPRIM_400000_NS6detail17trampoline_kernelINS0_14default_configENS1_38merge_sort_block_merge_config_selectorIiNS0_10empty_typeEEEZZNS1_27merge_sort_block_merge_implIS3_N6thrust23THRUST_200600_302600_NS10device_ptrIiEEPS5_jNS1_19radix_merge_compareILb0ELb1EiNS0_19identity_decomposerEEEEE10hipError_tT0_T1_T2_jT3_P12ihipStream_tbPNSt15iterator_traitsISH_E10value_typeEPNSN_ISI_E10value_typeEPSJ_NS1_7vsmem_tEENKUlT_SH_SI_SJ_E_clISB_PiSC_SC_EESG_SW_SH_SI_SJ_EUlSW_E1_NS1_11comp_targetILNS1_3genE0ELNS1_11target_archE4294967295ELNS1_3gpuE0ELNS1_3repE0EEENS1_36merge_oddeven_config_static_selectorELNS0_4arch9wavefront6targetE0EEEvSI_,"axG",@progbits,_ZN7rocprim17ROCPRIM_400000_NS6detail17trampoline_kernelINS0_14default_configENS1_38merge_sort_block_merge_config_selectorIiNS0_10empty_typeEEEZZNS1_27merge_sort_block_merge_implIS3_N6thrust23THRUST_200600_302600_NS10device_ptrIiEEPS5_jNS1_19radix_merge_compareILb0ELb1EiNS0_19identity_decomposerEEEEE10hipError_tT0_T1_T2_jT3_P12ihipStream_tbPNSt15iterator_traitsISH_E10value_typeEPNSN_ISI_E10value_typeEPSJ_NS1_7vsmem_tEENKUlT_SH_SI_SJ_E_clISB_PiSC_SC_EESG_SW_SH_SI_SJ_EUlSW_E1_NS1_11comp_targetILNS1_3genE0ELNS1_11target_archE4294967295ELNS1_3gpuE0ELNS1_3repE0EEENS1_36merge_oddeven_config_static_selectorELNS0_4arch9wavefront6targetE0EEEvSI_,comdat
.Lfunc_end1209:
	.size	_ZN7rocprim17ROCPRIM_400000_NS6detail17trampoline_kernelINS0_14default_configENS1_38merge_sort_block_merge_config_selectorIiNS0_10empty_typeEEEZZNS1_27merge_sort_block_merge_implIS3_N6thrust23THRUST_200600_302600_NS10device_ptrIiEEPS5_jNS1_19radix_merge_compareILb0ELb1EiNS0_19identity_decomposerEEEEE10hipError_tT0_T1_T2_jT3_P12ihipStream_tbPNSt15iterator_traitsISH_E10value_typeEPNSN_ISI_E10value_typeEPSJ_NS1_7vsmem_tEENKUlT_SH_SI_SJ_E_clISB_PiSC_SC_EESG_SW_SH_SI_SJ_EUlSW_E1_NS1_11comp_targetILNS1_3genE0ELNS1_11target_archE4294967295ELNS1_3gpuE0ELNS1_3repE0EEENS1_36merge_oddeven_config_static_selectorELNS0_4arch9wavefront6targetE0EEEvSI_, .Lfunc_end1209-_ZN7rocprim17ROCPRIM_400000_NS6detail17trampoline_kernelINS0_14default_configENS1_38merge_sort_block_merge_config_selectorIiNS0_10empty_typeEEEZZNS1_27merge_sort_block_merge_implIS3_N6thrust23THRUST_200600_302600_NS10device_ptrIiEEPS5_jNS1_19radix_merge_compareILb0ELb1EiNS0_19identity_decomposerEEEEE10hipError_tT0_T1_T2_jT3_P12ihipStream_tbPNSt15iterator_traitsISH_E10value_typeEPNSN_ISI_E10value_typeEPSJ_NS1_7vsmem_tEENKUlT_SH_SI_SJ_E_clISB_PiSC_SC_EESG_SW_SH_SI_SJ_EUlSW_E1_NS1_11comp_targetILNS1_3genE0ELNS1_11target_archE4294967295ELNS1_3gpuE0ELNS1_3repE0EEENS1_36merge_oddeven_config_static_selectorELNS0_4arch9wavefront6targetE0EEEvSI_
                                        ; -- End function
	.set _ZN7rocprim17ROCPRIM_400000_NS6detail17trampoline_kernelINS0_14default_configENS1_38merge_sort_block_merge_config_selectorIiNS0_10empty_typeEEEZZNS1_27merge_sort_block_merge_implIS3_N6thrust23THRUST_200600_302600_NS10device_ptrIiEEPS5_jNS1_19radix_merge_compareILb0ELb1EiNS0_19identity_decomposerEEEEE10hipError_tT0_T1_T2_jT3_P12ihipStream_tbPNSt15iterator_traitsISH_E10value_typeEPNSN_ISI_E10value_typeEPSJ_NS1_7vsmem_tEENKUlT_SH_SI_SJ_E_clISB_PiSC_SC_EESG_SW_SH_SI_SJ_EUlSW_E1_NS1_11comp_targetILNS1_3genE0ELNS1_11target_archE4294967295ELNS1_3gpuE0ELNS1_3repE0EEENS1_36merge_oddeven_config_static_selectorELNS0_4arch9wavefront6targetE0EEEvSI_.num_vgpr, 0
	.set _ZN7rocprim17ROCPRIM_400000_NS6detail17trampoline_kernelINS0_14default_configENS1_38merge_sort_block_merge_config_selectorIiNS0_10empty_typeEEEZZNS1_27merge_sort_block_merge_implIS3_N6thrust23THRUST_200600_302600_NS10device_ptrIiEEPS5_jNS1_19radix_merge_compareILb0ELb1EiNS0_19identity_decomposerEEEEE10hipError_tT0_T1_T2_jT3_P12ihipStream_tbPNSt15iterator_traitsISH_E10value_typeEPNSN_ISI_E10value_typeEPSJ_NS1_7vsmem_tEENKUlT_SH_SI_SJ_E_clISB_PiSC_SC_EESG_SW_SH_SI_SJ_EUlSW_E1_NS1_11comp_targetILNS1_3genE0ELNS1_11target_archE4294967295ELNS1_3gpuE0ELNS1_3repE0EEENS1_36merge_oddeven_config_static_selectorELNS0_4arch9wavefront6targetE0EEEvSI_.num_agpr, 0
	.set _ZN7rocprim17ROCPRIM_400000_NS6detail17trampoline_kernelINS0_14default_configENS1_38merge_sort_block_merge_config_selectorIiNS0_10empty_typeEEEZZNS1_27merge_sort_block_merge_implIS3_N6thrust23THRUST_200600_302600_NS10device_ptrIiEEPS5_jNS1_19radix_merge_compareILb0ELb1EiNS0_19identity_decomposerEEEEE10hipError_tT0_T1_T2_jT3_P12ihipStream_tbPNSt15iterator_traitsISH_E10value_typeEPNSN_ISI_E10value_typeEPSJ_NS1_7vsmem_tEENKUlT_SH_SI_SJ_E_clISB_PiSC_SC_EESG_SW_SH_SI_SJ_EUlSW_E1_NS1_11comp_targetILNS1_3genE0ELNS1_11target_archE4294967295ELNS1_3gpuE0ELNS1_3repE0EEENS1_36merge_oddeven_config_static_selectorELNS0_4arch9wavefront6targetE0EEEvSI_.numbered_sgpr, 0
	.set _ZN7rocprim17ROCPRIM_400000_NS6detail17trampoline_kernelINS0_14default_configENS1_38merge_sort_block_merge_config_selectorIiNS0_10empty_typeEEEZZNS1_27merge_sort_block_merge_implIS3_N6thrust23THRUST_200600_302600_NS10device_ptrIiEEPS5_jNS1_19radix_merge_compareILb0ELb1EiNS0_19identity_decomposerEEEEE10hipError_tT0_T1_T2_jT3_P12ihipStream_tbPNSt15iterator_traitsISH_E10value_typeEPNSN_ISI_E10value_typeEPSJ_NS1_7vsmem_tEENKUlT_SH_SI_SJ_E_clISB_PiSC_SC_EESG_SW_SH_SI_SJ_EUlSW_E1_NS1_11comp_targetILNS1_3genE0ELNS1_11target_archE4294967295ELNS1_3gpuE0ELNS1_3repE0EEENS1_36merge_oddeven_config_static_selectorELNS0_4arch9wavefront6targetE0EEEvSI_.num_named_barrier, 0
	.set _ZN7rocprim17ROCPRIM_400000_NS6detail17trampoline_kernelINS0_14default_configENS1_38merge_sort_block_merge_config_selectorIiNS0_10empty_typeEEEZZNS1_27merge_sort_block_merge_implIS3_N6thrust23THRUST_200600_302600_NS10device_ptrIiEEPS5_jNS1_19radix_merge_compareILb0ELb1EiNS0_19identity_decomposerEEEEE10hipError_tT0_T1_T2_jT3_P12ihipStream_tbPNSt15iterator_traitsISH_E10value_typeEPNSN_ISI_E10value_typeEPSJ_NS1_7vsmem_tEENKUlT_SH_SI_SJ_E_clISB_PiSC_SC_EESG_SW_SH_SI_SJ_EUlSW_E1_NS1_11comp_targetILNS1_3genE0ELNS1_11target_archE4294967295ELNS1_3gpuE0ELNS1_3repE0EEENS1_36merge_oddeven_config_static_selectorELNS0_4arch9wavefront6targetE0EEEvSI_.private_seg_size, 0
	.set _ZN7rocprim17ROCPRIM_400000_NS6detail17trampoline_kernelINS0_14default_configENS1_38merge_sort_block_merge_config_selectorIiNS0_10empty_typeEEEZZNS1_27merge_sort_block_merge_implIS3_N6thrust23THRUST_200600_302600_NS10device_ptrIiEEPS5_jNS1_19radix_merge_compareILb0ELb1EiNS0_19identity_decomposerEEEEE10hipError_tT0_T1_T2_jT3_P12ihipStream_tbPNSt15iterator_traitsISH_E10value_typeEPNSN_ISI_E10value_typeEPSJ_NS1_7vsmem_tEENKUlT_SH_SI_SJ_E_clISB_PiSC_SC_EESG_SW_SH_SI_SJ_EUlSW_E1_NS1_11comp_targetILNS1_3genE0ELNS1_11target_archE4294967295ELNS1_3gpuE0ELNS1_3repE0EEENS1_36merge_oddeven_config_static_selectorELNS0_4arch9wavefront6targetE0EEEvSI_.uses_vcc, 0
	.set _ZN7rocprim17ROCPRIM_400000_NS6detail17trampoline_kernelINS0_14default_configENS1_38merge_sort_block_merge_config_selectorIiNS0_10empty_typeEEEZZNS1_27merge_sort_block_merge_implIS3_N6thrust23THRUST_200600_302600_NS10device_ptrIiEEPS5_jNS1_19radix_merge_compareILb0ELb1EiNS0_19identity_decomposerEEEEE10hipError_tT0_T1_T2_jT3_P12ihipStream_tbPNSt15iterator_traitsISH_E10value_typeEPNSN_ISI_E10value_typeEPSJ_NS1_7vsmem_tEENKUlT_SH_SI_SJ_E_clISB_PiSC_SC_EESG_SW_SH_SI_SJ_EUlSW_E1_NS1_11comp_targetILNS1_3genE0ELNS1_11target_archE4294967295ELNS1_3gpuE0ELNS1_3repE0EEENS1_36merge_oddeven_config_static_selectorELNS0_4arch9wavefront6targetE0EEEvSI_.uses_flat_scratch, 0
	.set _ZN7rocprim17ROCPRIM_400000_NS6detail17trampoline_kernelINS0_14default_configENS1_38merge_sort_block_merge_config_selectorIiNS0_10empty_typeEEEZZNS1_27merge_sort_block_merge_implIS3_N6thrust23THRUST_200600_302600_NS10device_ptrIiEEPS5_jNS1_19radix_merge_compareILb0ELb1EiNS0_19identity_decomposerEEEEE10hipError_tT0_T1_T2_jT3_P12ihipStream_tbPNSt15iterator_traitsISH_E10value_typeEPNSN_ISI_E10value_typeEPSJ_NS1_7vsmem_tEENKUlT_SH_SI_SJ_E_clISB_PiSC_SC_EESG_SW_SH_SI_SJ_EUlSW_E1_NS1_11comp_targetILNS1_3genE0ELNS1_11target_archE4294967295ELNS1_3gpuE0ELNS1_3repE0EEENS1_36merge_oddeven_config_static_selectorELNS0_4arch9wavefront6targetE0EEEvSI_.has_dyn_sized_stack, 0
	.set _ZN7rocprim17ROCPRIM_400000_NS6detail17trampoline_kernelINS0_14default_configENS1_38merge_sort_block_merge_config_selectorIiNS0_10empty_typeEEEZZNS1_27merge_sort_block_merge_implIS3_N6thrust23THRUST_200600_302600_NS10device_ptrIiEEPS5_jNS1_19radix_merge_compareILb0ELb1EiNS0_19identity_decomposerEEEEE10hipError_tT0_T1_T2_jT3_P12ihipStream_tbPNSt15iterator_traitsISH_E10value_typeEPNSN_ISI_E10value_typeEPSJ_NS1_7vsmem_tEENKUlT_SH_SI_SJ_E_clISB_PiSC_SC_EESG_SW_SH_SI_SJ_EUlSW_E1_NS1_11comp_targetILNS1_3genE0ELNS1_11target_archE4294967295ELNS1_3gpuE0ELNS1_3repE0EEENS1_36merge_oddeven_config_static_selectorELNS0_4arch9wavefront6targetE0EEEvSI_.has_recursion, 0
	.set _ZN7rocprim17ROCPRIM_400000_NS6detail17trampoline_kernelINS0_14default_configENS1_38merge_sort_block_merge_config_selectorIiNS0_10empty_typeEEEZZNS1_27merge_sort_block_merge_implIS3_N6thrust23THRUST_200600_302600_NS10device_ptrIiEEPS5_jNS1_19radix_merge_compareILb0ELb1EiNS0_19identity_decomposerEEEEE10hipError_tT0_T1_T2_jT3_P12ihipStream_tbPNSt15iterator_traitsISH_E10value_typeEPNSN_ISI_E10value_typeEPSJ_NS1_7vsmem_tEENKUlT_SH_SI_SJ_E_clISB_PiSC_SC_EESG_SW_SH_SI_SJ_EUlSW_E1_NS1_11comp_targetILNS1_3genE0ELNS1_11target_archE4294967295ELNS1_3gpuE0ELNS1_3repE0EEENS1_36merge_oddeven_config_static_selectorELNS0_4arch9wavefront6targetE0EEEvSI_.has_indirect_call, 0
	.section	.AMDGPU.csdata,"",@progbits
; Kernel info:
; codeLenInByte = 0
; TotalNumSgprs: 0
; NumVgprs: 0
; ScratchSize: 0
; MemoryBound: 0
; FloatMode: 240
; IeeeMode: 1
; LDSByteSize: 0 bytes/workgroup (compile time only)
; SGPRBlocks: 0
; VGPRBlocks: 0
; NumSGPRsForWavesPerEU: 1
; NumVGPRsForWavesPerEU: 1
; Occupancy: 16
; WaveLimiterHint : 0
; COMPUTE_PGM_RSRC2:SCRATCH_EN: 0
; COMPUTE_PGM_RSRC2:USER_SGPR: 6
; COMPUTE_PGM_RSRC2:TRAP_HANDLER: 0
; COMPUTE_PGM_RSRC2:TGID_X_EN: 1
; COMPUTE_PGM_RSRC2:TGID_Y_EN: 0
; COMPUTE_PGM_RSRC2:TGID_Z_EN: 0
; COMPUTE_PGM_RSRC2:TIDIG_COMP_CNT: 0
	.section	.text._ZN7rocprim17ROCPRIM_400000_NS6detail17trampoline_kernelINS0_14default_configENS1_38merge_sort_block_merge_config_selectorIiNS0_10empty_typeEEEZZNS1_27merge_sort_block_merge_implIS3_N6thrust23THRUST_200600_302600_NS10device_ptrIiEEPS5_jNS1_19radix_merge_compareILb0ELb1EiNS0_19identity_decomposerEEEEE10hipError_tT0_T1_T2_jT3_P12ihipStream_tbPNSt15iterator_traitsISH_E10value_typeEPNSN_ISI_E10value_typeEPSJ_NS1_7vsmem_tEENKUlT_SH_SI_SJ_E_clISB_PiSC_SC_EESG_SW_SH_SI_SJ_EUlSW_E1_NS1_11comp_targetILNS1_3genE10ELNS1_11target_archE1201ELNS1_3gpuE5ELNS1_3repE0EEENS1_36merge_oddeven_config_static_selectorELNS0_4arch9wavefront6targetE0EEEvSI_,"axG",@progbits,_ZN7rocprim17ROCPRIM_400000_NS6detail17trampoline_kernelINS0_14default_configENS1_38merge_sort_block_merge_config_selectorIiNS0_10empty_typeEEEZZNS1_27merge_sort_block_merge_implIS3_N6thrust23THRUST_200600_302600_NS10device_ptrIiEEPS5_jNS1_19radix_merge_compareILb0ELb1EiNS0_19identity_decomposerEEEEE10hipError_tT0_T1_T2_jT3_P12ihipStream_tbPNSt15iterator_traitsISH_E10value_typeEPNSN_ISI_E10value_typeEPSJ_NS1_7vsmem_tEENKUlT_SH_SI_SJ_E_clISB_PiSC_SC_EESG_SW_SH_SI_SJ_EUlSW_E1_NS1_11comp_targetILNS1_3genE10ELNS1_11target_archE1201ELNS1_3gpuE5ELNS1_3repE0EEENS1_36merge_oddeven_config_static_selectorELNS0_4arch9wavefront6targetE0EEEvSI_,comdat
	.protected	_ZN7rocprim17ROCPRIM_400000_NS6detail17trampoline_kernelINS0_14default_configENS1_38merge_sort_block_merge_config_selectorIiNS0_10empty_typeEEEZZNS1_27merge_sort_block_merge_implIS3_N6thrust23THRUST_200600_302600_NS10device_ptrIiEEPS5_jNS1_19radix_merge_compareILb0ELb1EiNS0_19identity_decomposerEEEEE10hipError_tT0_T1_T2_jT3_P12ihipStream_tbPNSt15iterator_traitsISH_E10value_typeEPNSN_ISI_E10value_typeEPSJ_NS1_7vsmem_tEENKUlT_SH_SI_SJ_E_clISB_PiSC_SC_EESG_SW_SH_SI_SJ_EUlSW_E1_NS1_11comp_targetILNS1_3genE10ELNS1_11target_archE1201ELNS1_3gpuE5ELNS1_3repE0EEENS1_36merge_oddeven_config_static_selectorELNS0_4arch9wavefront6targetE0EEEvSI_ ; -- Begin function _ZN7rocprim17ROCPRIM_400000_NS6detail17trampoline_kernelINS0_14default_configENS1_38merge_sort_block_merge_config_selectorIiNS0_10empty_typeEEEZZNS1_27merge_sort_block_merge_implIS3_N6thrust23THRUST_200600_302600_NS10device_ptrIiEEPS5_jNS1_19radix_merge_compareILb0ELb1EiNS0_19identity_decomposerEEEEE10hipError_tT0_T1_T2_jT3_P12ihipStream_tbPNSt15iterator_traitsISH_E10value_typeEPNSN_ISI_E10value_typeEPSJ_NS1_7vsmem_tEENKUlT_SH_SI_SJ_E_clISB_PiSC_SC_EESG_SW_SH_SI_SJ_EUlSW_E1_NS1_11comp_targetILNS1_3genE10ELNS1_11target_archE1201ELNS1_3gpuE5ELNS1_3repE0EEENS1_36merge_oddeven_config_static_selectorELNS0_4arch9wavefront6targetE0EEEvSI_
	.globl	_ZN7rocprim17ROCPRIM_400000_NS6detail17trampoline_kernelINS0_14default_configENS1_38merge_sort_block_merge_config_selectorIiNS0_10empty_typeEEEZZNS1_27merge_sort_block_merge_implIS3_N6thrust23THRUST_200600_302600_NS10device_ptrIiEEPS5_jNS1_19radix_merge_compareILb0ELb1EiNS0_19identity_decomposerEEEEE10hipError_tT0_T1_T2_jT3_P12ihipStream_tbPNSt15iterator_traitsISH_E10value_typeEPNSN_ISI_E10value_typeEPSJ_NS1_7vsmem_tEENKUlT_SH_SI_SJ_E_clISB_PiSC_SC_EESG_SW_SH_SI_SJ_EUlSW_E1_NS1_11comp_targetILNS1_3genE10ELNS1_11target_archE1201ELNS1_3gpuE5ELNS1_3repE0EEENS1_36merge_oddeven_config_static_selectorELNS0_4arch9wavefront6targetE0EEEvSI_
	.p2align	8
	.type	_ZN7rocprim17ROCPRIM_400000_NS6detail17trampoline_kernelINS0_14default_configENS1_38merge_sort_block_merge_config_selectorIiNS0_10empty_typeEEEZZNS1_27merge_sort_block_merge_implIS3_N6thrust23THRUST_200600_302600_NS10device_ptrIiEEPS5_jNS1_19radix_merge_compareILb0ELb1EiNS0_19identity_decomposerEEEEE10hipError_tT0_T1_T2_jT3_P12ihipStream_tbPNSt15iterator_traitsISH_E10value_typeEPNSN_ISI_E10value_typeEPSJ_NS1_7vsmem_tEENKUlT_SH_SI_SJ_E_clISB_PiSC_SC_EESG_SW_SH_SI_SJ_EUlSW_E1_NS1_11comp_targetILNS1_3genE10ELNS1_11target_archE1201ELNS1_3gpuE5ELNS1_3repE0EEENS1_36merge_oddeven_config_static_selectorELNS0_4arch9wavefront6targetE0EEEvSI_,@function
_ZN7rocprim17ROCPRIM_400000_NS6detail17trampoline_kernelINS0_14default_configENS1_38merge_sort_block_merge_config_selectorIiNS0_10empty_typeEEEZZNS1_27merge_sort_block_merge_implIS3_N6thrust23THRUST_200600_302600_NS10device_ptrIiEEPS5_jNS1_19radix_merge_compareILb0ELb1EiNS0_19identity_decomposerEEEEE10hipError_tT0_T1_T2_jT3_P12ihipStream_tbPNSt15iterator_traitsISH_E10value_typeEPNSN_ISI_E10value_typeEPSJ_NS1_7vsmem_tEENKUlT_SH_SI_SJ_E_clISB_PiSC_SC_EESG_SW_SH_SI_SJ_EUlSW_E1_NS1_11comp_targetILNS1_3genE10ELNS1_11target_archE1201ELNS1_3gpuE5ELNS1_3repE0EEENS1_36merge_oddeven_config_static_selectorELNS0_4arch9wavefront6targetE0EEEvSI_: ; @_ZN7rocprim17ROCPRIM_400000_NS6detail17trampoline_kernelINS0_14default_configENS1_38merge_sort_block_merge_config_selectorIiNS0_10empty_typeEEEZZNS1_27merge_sort_block_merge_implIS3_N6thrust23THRUST_200600_302600_NS10device_ptrIiEEPS5_jNS1_19radix_merge_compareILb0ELb1EiNS0_19identity_decomposerEEEEE10hipError_tT0_T1_T2_jT3_P12ihipStream_tbPNSt15iterator_traitsISH_E10value_typeEPNSN_ISI_E10value_typeEPSJ_NS1_7vsmem_tEENKUlT_SH_SI_SJ_E_clISB_PiSC_SC_EESG_SW_SH_SI_SJ_EUlSW_E1_NS1_11comp_targetILNS1_3genE10ELNS1_11target_archE1201ELNS1_3gpuE5ELNS1_3repE0EEENS1_36merge_oddeven_config_static_selectorELNS0_4arch9wavefront6targetE0EEEvSI_
; %bb.0:
	.section	.rodata,"a",@progbits
	.p2align	6, 0x0
	.amdhsa_kernel _ZN7rocprim17ROCPRIM_400000_NS6detail17trampoline_kernelINS0_14default_configENS1_38merge_sort_block_merge_config_selectorIiNS0_10empty_typeEEEZZNS1_27merge_sort_block_merge_implIS3_N6thrust23THRUST_200600_302600_NS10device_ptrIiEEPS5_jNS1_19radix_merge_compareILb0ELb1EiNS0_19identity_decomposerEEEEE10hipError_tT0_T1_T2_jT3_P12ihipStream_tbPNSt15iterator_traitsISH_E10value_typeEPNSN_ISI_E10value_typeEPSJ_NS1_7vsmem_tEENKUlT_SH_SI_SJ_E_clISB_PiSC_SC_EESG_SW_SH_SI_SJ_EUlSW_E1_NS1_11comp_targetILNS1_3genE10ELNS1_11target_archE1201ELNS1_3gpuE5ELNS1_3repE0EEENS1_36merge_oddeven_config_static_selectorELNS0_4arch9wavefront6targetE0EEEvSI_
		.amdhsa_group_segment_fixed_size 0
		.amdhsa_private_segment_fixed_size 0
		.amdhsa_kernarg_size 48
		.amdhsa_user_sgpr_count 6
		.amdhsa_user_sgpr_private_segment_buffer 1
		.amdhsa_user_sgpr_dispatch_ptr 0
		.amdhsa_user_sgpr_queue_ptr 0
		.amdhsa_user_sgpr_kernarg_segment_ptr 1
		.amdhsa_user_sgpr_dispatch_id 0
		.amdhsa_user_sgpr_flat_scratch_init 0
		.amdhsa_user_sgpr_private_segment_size 0
		.amdhsa_wavefront_size32 1
		.amdhsa_uses_dynamic_stack 0
		.amdhsa_system_sgpr_private_segment_wavefront_offset 0
		.amdhsa_system_sgpr_workgroup_id_x 1
		.amdhsa_system_sgpr_workgroup_id_y 0
		.amdhsa_system_sgpr_workgroup_id_z 0
		.amdhsa_system_sgpr_workgroup_info 0
		.amdhsa_system_vgpr_workitem_id 0
		.amdhsa_next_free_vgpr 1
		.amdhsa_next_free_sgpr 1
		.amdhsa_reserve_vcc 0
		.amdhsa_reserve_flat_scratch 0
		.amdhsa_float_round_mode_32 0
		.amdhsa_float_round_mode_16_64 0
		.amdhsa_float_denorm_mode_32 3
		.amdhsa_float_denorm_mode_16_64 3
		.amdhsa_dx10_clamp 1
		.amdhsa_ieee_mode 1
		.amdhsa_fp16_overflow 0
		.amdhsa_workgroup_processor_mode 1
		.amdhsa_memory_ordered 1
		.amdhsa_forward_progress 1
		.amdhsa_shared_vgpr_count 0
		.amdhsa_exception_fp_ieee_invalid_op 0
		.amdhsa_exception_fp_denorm_src 0
		.amdhsa_exception_fp_ieee_div_zero 0
		.amdhsa_exception_fp_ieee_overflow 0
		.amdhsa_exception_fp_ieee_underflow 0
		.amdhsa_exception_fp_ieee_inexact 0
		.amdhsa_exception_int_div_zero 0
	.end_amdhsa_kernel
	.section	.text._ZN7rocprim17ROCPRIM_400000_NS6detail17trampoline_kernelINS0_14default_configENS1_38merge_sort_block_merge_config_selectorIiNS0_10empty_typeEEEZZNS1_27merge_sort_block_merge_implIS3_N6thrust23THRUST_200600_302600_NS10device_ptrIiEEPS5_jNS1_19radix_merge_compareILb0ELb1EiNS0_19identity_decomposerEEEEE10hipError_tT0_T1_T2_jT3_P12ihipStream_tbPNSt15iterator_traitsISH_E10value_typeEPNSN_ISI_E10value_typeEPSJ_NS1_7vsmem_tEENKUlT_SH_SI_SJ_E_clISB_PiSC_SC_EESG_SW_SH_SI_SJ_EUlSW_E1_NS1_11comp_targetILNS1_3genE10ELNS1_11target_archE1201ELNS1_3gpuE5ELNS1_3repE0EEENS1_36merge_oddeven_config_static_selectorELNS0_4arch9wavefront6targetE0EEEvSI_,"axG",@progbits,_ZN7rocprim17ROCPRIM_400000_NS6detail17trampoline_kernelINS0_14default_configENS1_38merge_sort_block_merge_config_selectorIiNS0_10empty_typeEEEZZNS1_27merge_sort_block_merge_implIS3_N6thrust23THRUST_200600_302600_NS10device_ptrIiEEPS5_jNS1_19radix_merge_compareILb0ELb1EiNS0_19identity_decomposerEEEEE10hipError_tT0_T1_T2_jT3_P12ihipStream_tbPNSt15iterator_traitsISH_E10value_typeEPNSN_ISI_E10value_typeEPSJ_NS1_7vsmem_tEENKUlT_SH_SI_SJ_E_clISB_PiSC_SC_EESG_SW_SH_SI_SJ_EUlSW_E1_NS1_11comp_targetILNS1_3genE10ELNS1_11target_archE1201ELNS1_3gpuE5ELNS1_3repE0EEENS1_36merge_oddeven_config_static_selectorELNS0_4arch9wavefront6targetE0EEEvSI_,comdat
.Lfunc_end1210:
	.size	_ZN7rocprim17ROCPRIM_400000_NS6detail17trampoline_kernelINS0_14default_configENS1_38merge_sort_block_merge_config_selectorIiNS0_10empty_typeEEEZZNS1_27merge_sort_block_merge_implIS3_N6thrust23THRUST_200600_302600_NS10device_ptrIiEEPS5_jNS1_19radix_merge_compareILb0ELb1EiNS0_19identity_decomposerEEEEE10hipError_tT0_T1_T2_jT3_P12ihipStream_tbPNSt15iterator_traitsISH_E10value_typeEPNSN_ISI_E10value_typeEPSJ_NS1_7vsmem_tEENKUlT_SH_SI_SJ_E_clISB_PiSC_SC_EESG_SW_SH_SI_SJ_EUlSW_E1_NS1_11comp_targetILNS1_3genE10ELNS1_11target_archE1201ELNS1_3gpuE5ELNS1_3repE0EEENS1_36merge_oddeven_config_static_selectorELNS0_4arch9wavefront6targetE0EEEvSI_, .Lfunc_end1210-_ZN7rocprim17ROCPRIM_400000_NS6detail17trampoline_kernelINS0_14default_configENS1_38merge_sort_block_merge_config_selectorIiNS0_10empty_typeEEEZZNS1_27merge_sort_block_merge_implIS3_N6thrust23THRUST_200600_302600_NS10device_ptrIiEEPS5_jNS1_19radix_merge_compareILb0ELb1EiNS0_19identity_decomposerEEEEE10hipError_tT0_T1_T2_jT3_P12ihipStream_tbPNSt15iterator_traitsISH_E10value_typeEPNSN_ISI_E10value_typeEPSJ_NS1_7vsmem_tEENKUlT_SH_SI_SJ_E_clISB_PiSC_SC_EESG_SW_SH_SI_SJ_EUlSW_E1_NS1_11comp_targetILNS1_3genE10ELNS1_11target_archE1201ELNS1_3gpuE5ELNS1_3repE0EEENS1_36merge_oddeven_config_static_selectorELNS0_4arch9wavefront6targetE0EEEvSI_
                                        ; -- End function
	.set _ZN7rocprim17ROCPRIM_400000_NS6detail17trampoline_kernelINS0_14default_configENS1_38merge_sort_block_merge_config_selectorIiNS0_10empty_typeEEEZZNS1_27merge_sort_block_merge_implIS3_N6thrust23THRUST_200600_302600_NS10device_ptrIiEEPS5_jNS1_19radix_merge_compareILb0ELb1EiNS0_19identity_decomposerEEEEE10hipError_tT0_T1_T2_jT3_P12ihipStream_tbPNSt15iterator_traitsISH_E10value_typeEPNSN_ISI_E10value_typeEPSJ_NS1_7vsmem_tEENKUlT_SH_SI_SJ_E_clISB_PiSC_SC_EESG_SW_SH_SI_SJ_EUlSW_E1_NS1_11comp_targetILNS1_3genE10ELNS1_11target_archE1201ELNS1_3gpuE5ELNS1_3repE0EEENS1_36merge_oddeven_config_static_selectorELNS0_4arch9wavefront6targetE0EEEvSI_.num_vgpr, 0
	.set _ZN7rocprim17ROCPRIM_400000_NS6detail17trampoline_kernelINS0_14default_configENS1_38merge_sort_block_merge_config_selectorIiNS0_10empty_typeEEEZZNS1_27merge_sort_block_merge_implIS3_N6thrust23THRUST_200600_302600_NS10device_ptrIiEEPS5_jNS1_19radix_merge_compareILb0ELb1EiNS0_19identity_decomposerEEEEE10hipError_tT0_T1_T2_jT3_P12ihipStream_tbPNSt15iterator_traitsISH_E10value_typeEPNSN_ISI_E10value_typeEPSJ_NS1_7vsmem_tEENKUlT_SH_SI_SJ_E_clISB_PiSC_SC_EESG_SW_SH_SI_SJ_EUlSW_E1_NS1_11comp_targetILNS1_3genE10ELNS1_11target_archE1201ELNS1_3gpuE5ELNS1_3repE0EEENS1_36merge_oddeven_config_static_selectorELNS0_4arch9wavefront6targetE0EEEvSI_.num_agpr, 0
	.set _ZN7rocprim17ROCPRIM_400000_NS6detail17trampoline_kernelINS0_14default_configENS1_38merge_sort_block_merge_config_selectorIiNS0_10empty_typeEEEZZNS1_27merge_sort_block_merge_implIS3_N6thrust23THRUST_200600_302600_NS10device_ptrIiEEPS5_jNS1_19radix_merge_compareILb0ELb1EiNS0_19identity_decomposerEEEEE10hipError_tT0_T1_T2_jT3_P12ihipStream_tbPNSt15iterator_traitsISH_E10value_typeEPNSN_ISI_E10value_typeEPSJ_NS1_7vsmem_tEENKUlT_SH_SI_SJ_E_clISB_PiSC_SC_EESG_SW_SH_SI_SJ_EUlSW_E1_NS1_11comp_targetILNS1_3genE10ELNS1_11target_archE1201ELNS1_3gpuE5ELNS1_3repE0EEENS1_36merge_oddeven_config_static_selectorELNS0_4arch9wavefront6targetE0EEEvSI_.numbered_sgpr, 0
	.set _ZN7rocprim17ROCPRIM_400000_NS6detail17trampoline_kernelINS0_14default_configENS1_38merge_sort_block_merge_config_selectorIiNS0_10empty_typeEEEZZNS1_27merge_sort_block_merge_implIS3_N6thrust23THRUST_200600_302600_NS10device_ptrIiEEPS5_jNS1_19radix_merge_compareILb0ELb1EiNS0_19identity_decomposerEEEEE10hipError_tT0_T1_T2_jT3_P12ihipStream_tbPNSt15iterator_traitsISH_E10value_typeEPNSN_ISI_E10value_typeEPSJ_NS1_7vsmem_tEENKUlT_SH_SI_SJ_E_clISB_PiSC_SC_EESG_SW_SH_SI_SJ_EUlSW_E1_NS1_11comp_targetILNS1_3genE10ELNS1_11target_archE1201ELNS1_3gpuE5ELNS1_3repE0EEENS1_36merge_oddeven_config_static_selectorELNS0_4arch9wavefront6targetE0EEEvSI_.num_named_barrier, 0
	.set _ZN7rocprim17ROCPRIM_400000_NS6detail17trampoline_kernelINS0_14default_configENS1_38merge_sort_block_merge_config_selectorIiNS0_10empty_typeEEEZZNS1_27merge_sort_block_merge_implIS3_N6thrust23THRUST_200600_302600_NS10device_ptrIiEEPS5_jNS1_19radix_merge_compareILb0ELb1EiNS0_19identity_decomposerEEEEE10hipError_tT0_T1_T2_jT3_P12ihipStream_tbPNSt15iterator_traitsISH_E10value_typeEPNSN_ISI_E10value_typeEPSJ_NS1_7vsmem_tEENKUlT_SH_SI_SJ_E_clISB_PiSC_SC_EESG_SW_SH_SI_SJ_EUlSW_E1_NS1_11comp_targetILNS1_3genE10ELNS1_11target_archE1201ELNS1_3gpuE5ELNS1_3repE0EEENS1_36merge_oddeven_config_static_selectorELNS0_4arch9wavefront6targetE0EEEvSI_.private_seg_size, 0
	.set _ZN7rocprim17ROCPRIM_400000_NS6detail17trampoline_kernelINS0_14default_configENS1_38merge_sort_block_merge_config_selectorIiNS0_10empty_typeEEEZZNS1_27merge_sort_block_merge_implIS3_N6thrust23THRUST_200600_302600_NS10device_ptrIiEEPS5_jNS1_19radix_merge_compareILb0ELb1EiNS0_19identity_decomposerEEEEE10hipError_tT0_T1_T2_jT3_P12ihipStream_tbPNSt15iterator_traitsISH_E10value_typeEPNSN_ISI_E10value_typeEPSJ_NS1_7vsmem_tEENKUlT_SH_SI_SJ_E_clISB_PiSC_SC_EESG_SW_SH_SI_SJ_EUlSW_E1_NS1_11comp_targetILNS1_3genE10ELNS1_11target_archE1201ELNS1_3gpuE5ELNS1_3repE0EEENS1_36merge_oddeven_config_static_selectorELNS0_4arch9wavefront6targetE0EEEvSI_.uses_vcc, 0
	.set _ZN7rocprim17ROCPRIM_400000_NS6detail17trampoline_kernelINS0_14default_configENS1_38merge_sort_block_merge_config_selectorIiNS0_10empty_typeEEEZZNS1_27merge_sort_block_merge_implIS3_N6thrust23THRUST_200600_302600_NS10device_ptrIiEEPS5_jNS1_19radix_merge_compareILb0ELb1EiNS0_19identity_decomposerEEEEE10hipError_tT0_T1_T2_jT3_P12ihipStream_tbPNSt15iterator_traitsISH_E10value_typeEPNSN_ISI_E10value_typeEPSJ_NS1_7vsmem_tEENKUlT_SH_SI_SJ_E_clISB_PiSC_SC_EESG_SW_SH_SI_SJ_EUlSW_E1_NS1_11comp_targetILNS1_3genE10ELNS1_11target_archE1201ELNS1_3gpuE5ELNS1_3repE0EEENS1_36merge_oddeven_config_static_selectorELNS0_4arch9wavefront6targetE0EEEvSI_.uses_flat_scratch, 0
	.set _ZN7rocprim17ROCPRIM_400000_NS6detail17trampoline_kernelINS0_14default_configENS1_38merge_sort_block_merge_config_selectorIiNS0_10empty_typeEEEZZNS1_27merge_sort_block_merge_implIS3_N6thrust23THRUST_200600_302600_NS10device_ptrIiEEPS5_jNS1_19radix_merge_compareILb0ELb1EiNS0_19identity_decomposerEEEEE10hipError_tT0_T1_T2_jT3_P12ihipStream_tbPNSt15iterator_traitsISH_E10value_typeEPNSN_ISI_E10value_typeEPSJ_NS1_7vsmem_tEENKUlT_SH_SI_SJ_E_clISB_PiSC_SC_EESG_SW_SH_SI_SJ_EUlSW_E1_NS1_11comp_targetILNS1_3genE10ELNS1_11target_archE1201ELNS1_3gpuE5ELNS1_3repE0EEENS1_36merge_oddeven_config_static_selectorELNS0_4arch9wavefront6targetE0EEEvSI_.has_dyn_sized_stack, 0
	.set _ZN7rocprim17ROCPRIM_400000_NS6detail17trampoline_kernelINS0_14default_configENS1_38merge_sort_block_merge_config_selectorIiNS0_10empty_typeEEEZZNS1_27merge_sort_block_merge_implIS3_N6thrust23THRUST_200600_302600_NS10device_ptrIiEEPS5_jNS1_19radix_merge_compareILb0ELb1EiNS0_19identity_decomposerEEEEE10hipError_tT0_T1_T2_jT3_P12ihipStream_tbPNSt15iterator_traitsISH_E10value_typeEPNSN_ISI_E10value_typeEPSJ_NS1_7vsmem_tEENKUlT_SH_SI_SJ_E_clISB_PiSC_SC_EESG_SW_SH_SI_SJ_EUlSW_E1_NS1_11comp_targetILNS1_3genE10ELNS1_11target_archE1201ELNS1_3gpuE5ELNS1_3repE0EEENS1_36merge_oddeven_config_static_selectorELNS0_4arch9wavefront6targetE0EEEvSI_.has_recursion, 0
	.set _ZN7rocprim17ROCPRIM_400000_NS6detail17trampoline_kernelINS0_14default_configENS1_38merge_sort_block_merge_config_selectorIiNS0_10empty_typeEEEZZNS1_27merge_sort_block_merge_implIS3_N6thrust23THRUST_200600_302600_NS10device_ptrIiEEPS5_jNS1_19radix_merge_compareILb0ELb1EiNS0_19identity_decomposerEEEEE10hipError_tT0_T1_T2_jT3_P12ihipStream_tbPNSt15iterator_traitsISH_E10value_typeEPNSN_ISI_E10value_typeEPSJ_NS1_7vsmem_tEENKUlT_SH_SI_SJ_E_clISB_PiSC_SC_EESG_SW_SH_SI_SJ_EUlSW_E1_NS1_11comp_targetILNS1_3genE10ELNS1_11target_archE1201ELNS1_3gpuE5ELNS1_3repE0EEENS1_36merge_oddeven_config_static_selectorELNS0_4arch9wavefront6targetE0EEEvSI_.has_indirect_call, 0
	.section	.AMDGPU.csdata,"",@progbits
; Kernel info:
; codeLenInByte = 0
; TotalNumSgprs: 0
; NumVgprs: 0
; ScratchSize: 0
; MemoryBound: 0
; FloatMode: 240
; IeeeMode: 1
; LDSByteSize: 0 bytes/workgroup (compile time only)
; SGPRBlocks: 0
; VGPRBlocks: 0
; NumSGPRsForWavesPerEU: 1
; NumVGPRsForWavesPerEU: 1
; Occupancy: 16
; WaveLimiterHint : 0
; COMPUTE_PGM_RSRC2:SCRATCH_EN: 0
; COMPUTE_PGM_RSRC2:USER_SGPR: 6
; COMPUTE_PGM_RSRC2:TRAP_HANDLER: 0
; COMPUTE_PGM_RSRC2:TGID_X_EN: 1
; COMPUTE_PGM_RSRC2:TGID_Y_EN: 0
; COMPUTE_PGM_RSRC2:TGID_Z_EN: 0
; COMPUTE_PGM_RSRC2:TIDIG_COMP_CNT: 0
	.section	.text._ZN7rocprim17ROCPRIM_400000_NS6detail17trampoline_kernelINS0_14default_configENS1_38merge_sort_block_merge_config_selectorIiNS0_10empty_typeEEEZZNS1_27merge_sort_block_merge_implIS3_N6thrust23THRUST_200600_302600_NS10device_ptrIiEEPS5_jNS1_19radix_merge_compareILb0ELb1EiNS0_19identity_decomposerEEEEE10hipError_tT0_T1_T2_jT3_P12ihipStream_tbPNSt15iterator_traitsISH_E10value_typeEPNSN_ISI_E10value_typeEPSJ_NS1_7vsmem_tEENKUlT_SH_SI_SJ_E_clISB_PiSC_SC_EESG_SW_SH_SI_SJ_EUlSW_E1_NS1_11comp_targetILNS1_3genE5ELNS1_11target_archE942ELNS1_3gpuE9ELNS1_3repE0EEENS1_36merge_oddeven_config_static_selectorELNS0_4arch9wavefront6targetE0EEEvSI_,"axG",@progbits,_ZN7rocprim17ROCPRIM_400000_NS6detail17trampoline_kernelINS0_14default_configENS1_38merge_sort_block_merge_config_selectorIiNS0_10empty_typeEEEZZNS1_27merge_sort_block_merge_implIS3_N6thrust23THRUST_200600_302600_NS10device_ptrIiEEPS5_jNS1_19radix_merge_compareILb0ELb1EiNS0_19identity_decomposerEEEEE10hipError_tT0_T1_T2_jT3_P12ihipStream_tbPNSt15iterator_traitsISH_E10value_typeEPNSN_ISI_E10value_typeEPSJ_NS1_7vsmem_tEENKUlT_SH_SI_SJ_E_clISB_PiSC_SC_EESG_SW_SH_SI_SJ_EUlSW_E1_NS1_11comp_targetILNS1_3genE5ELNS1_11target_archE942ELNS1_3gpuE9ELNS1_3repE0EEENS1_36merge_oddeven_config_static_selectorELNS0_4arch9wavefront6targetE0EEEvSI_,comdat
	.protected	_ZN7rocprim17ROCPRIM_400000_NS6detail17trampoline_kernelINS0_14default_configENS1_38merge_sort_block_merge_config_selectorIiNS0_10empty_typeEEEZZNS1_27merge_sort_block_merge_implIS3_N6thrust23THRUST_200600_302600_NS10device_ptrIiEEPS5_jNS1_19radix_merge_compareILb0ELb1EiNS0_19identity_decomposerEEEEE10hipError_tT0_T1_T2_jT3_P12ihipStream_tbPNSt15iterator_traitsISH_E10value_typeEPNSN_ISI_E10value_typeEPSJ_NS1_7vsmem_tEENKUlT_SH_SI_SJ_E_clISB_PiSC_SC_EESG_SW_SH_SI_SJ_EUlSW_E1_NS1_11comp_targetILNS1_3genE5ELNS1_11target_archE942ELNS1_3gpuE9ELNS1_3repE0EEENS1_36merge_oddeven_config_static_selectorELNS0_4arch9wavefront6targetE0EEEvSI_ ; -- Begin function _ZN7rocprim17ROCPRIM_400000_NS6detail17trampoline_kernelINS0_14default_configENS1_38merge_sort_block_merge_config_selectorIiNS0_10empty_typeEEEZZNS1_27merge_sort_block_merge_implIS3_N6thrust23THRUST_200600_302600_NS10device_ptrIiEEPS5_jNS1_19radix_merge_compareILb0ELb1EiNS0_19identity_decomposerEEEEE10hipError_tT0_T1_T2_jT3_P12ihipStream_tbPNSt15iterator_traitsISH_E10value_typeEPNSN_ISI_E10value_typeEPSJ_NS1_7vsmem_tEENKUlT_SH_SI_SJ_E_clISB_PiSC_SC_EESG_SW_SH_SI_SJ_EUlSW_E1_NS1_11comp_targetILNS1_3genE5ELNS1_11target_archE942ELNS1_3gpuE9ELNS1_3repE0EEENS1_36merge_oddeven_config_static_selectorELNS0_4arch9wavefront6targetE0EEEvSI_
	.globl	_ZN7rocprim17ROCPRIM_400000_NS6detail17trampoline_kernelINS0_14default_configENS1_38merge_sort_block_merge_config_selectorIiNS0_10empty_typeEEEZZNS1_27merge_sort_block_merge_implIS3_N6thrust23THRUST_200600_302600_NS10device_ptrIiEEPS5_jNS1_19radix_merge_compareILb0ELb1EiNS0_19identity_decomposerEEEEE10hipError_tT0_T1_T2_jT3_P12ihipStream_tbPNSt15iterator_traitsISH_E10value_typeEPNSN_ISI_E10value_typeEPSJ_NS1_7vsmem_tEENKUlT_SH_SI_SJ_E_clISB_PiSC_SC_EESG_SW_SH_SI_SJ_EUlSW_E1_NS1_11comp_targetILNS1_3genE5ELNS1_11target_archE942ELNS1_3gpuE9ELNS1_3repE0EEENS1_36merge_oddeven_config_static_selectorELNS0_4arch9wavefront6targetE0EEEvSI_
	.p2align	8
	.type	_ZN7rocprim17ROCPRIM_400000_NS6detail17trampoline_kernelINS0_14default_configENS1_38merge_sort_block_merge_config_selectorIiNS0_10empty_typeEEEZZNS1_27merge_sort_block_merge_implIS3_N6thrust23THRUST_200600_302600_NS10device_ptrIiEEPS5_jNS1_19radix_merge_compareILb0ELb1EiNS0_19identity_decomposerEEEEE10hipError_tT0_T1_T2_jT3_P12ihipStream_tbPNSt15iterator_traitsISH_E10value_typeEPNSN_ISI_E10value_typeEPSJ_NS1_7vsmem_tEENKUlT_SH_SI_SJ_E_clISB_PiSC_SC_EESG_SW_SH_SI_SJ_EUlSW_E1_NS1_11comp_targetILNS1_3genE5ELNS1_11target_archE942ELNS1_3gpuE9ELNS1_3repE0EEENS1_36merge_oddeven_config_static_selectorELNS0_4arch9wavefront6targetE0EEEvSI_,@function
_ZN7rocprim17ROCPRIM_400000_NS6detail17trampoline_kernelINS0_14default_configENS1_38merge_sort_block_merge_config_selectorIiNS0_10empty_typeEEEZZNS1_27merge_sort_block_merge_implIS3_N6thrust23THRUST_200600_302600_NS10device_ptrIiEEPS5_jNS1_19radix_merge_compareILb0ELb1EiNS0_19identity_decomposerEEEEE10hipError_tT0_T1_T2_jT3_P12ihipStream_tbPNSt15iterator_traitsISH_E10value_typeEPNSN_ISI_E10value_typeEPSJ_NS1_7vsmem_tEENKUlT_SH_SI_SJ_E_clISB_PiSC_SC_EESG_SW_SH_SI_SJ_EUlSW_E1_NS1_11comp_targetILNS1_3genE5ELNS1_11target_archE942ELNS1_3gpuE9ELNS1_3repE0EEENS1_36merge_oddeven_config_static_selectorELNS0_4arch9wavefront6targetE0EEEvSI_: ; @_ZN7rocprim17ROCPRIM_400000_NS6detail17trampoline_kernelINS0_14default_configENS1_38merge_sort_block_merge_config_selectorIiNS0_10empty_typeEEEZZNS1_27merge_sort_block_merge_implIS3_N6thrust23THRUST_200600_302600_NS10device_ptrIiEEPS5_jNS1_19radix_merge_compareILb0ELb1EiNS0_19identity_decomposerEEEEE10hipError_tT0_T1_T2_jT3_P12ihipStream_tbPNSt15iterator_traitsISH_E10value_typeEPNSN_ISI_E10value_typeEPSJ_NS1_7vsmem_tEENKUlT_SH_SI_SJ_E_clISB_PiSC_SC_EESG_SW_SH_SI_SJ_EUlSW_E1_NS1_11comp_targetILNS1_3genE5ELNS1_11target_archE942ELNS1_3gpuE9ELNS1_3repE0EEENS1_36merge_oddeven_config_static_selectorELNS0_4arch9wavefront6targetE0EEEvSI_
; %bb.0:
	.section	.rodata,"a",@progbits
	.p2align	6, 0x0
	.amdhsa_kernel _ZN7rocprim17ROCPRIM_400000_NS6detail17trampoline_kernelINS0_14default_configENS1_38merge_sort_block_merge_config_selectorIiNS0_10empty_typeEEEZZNS1_27merge_sort_block_merge_implIS3_N6thrust23THRUST_200600_302600_NS10device_ptrIiEEPS5_jNS1_19radix_merge_compareILb0ELb1EiNS0_19identity_decomposerEEEEE10hipError_tT0_T1_T2_jT3_P12ihipStream_tbPNSt15iterator_traitsISH_E10value_typeEPNSN_ISI_E10value_typeEPSJ_NS1_7vsmem_tEENKUlT_SH_SI_SJ_E_clISB_PiSC_SC_EESG_SW_SH_SI_SJ_EUlSW_E1_NS1_11comp_targetILNS1_3genE5ELNS1_11target_archE942ELNS1_3gpuE9ELNS1_3repE0EEENS1_36merge_oddeven_config_static_selectorELNS0_4arch9wavefront6targetE0EEEvSI_
		.amdhsa_group_segment_fixed_size 0
		.amdhsa_private_segment_fixed_size 0
		.amdhsa_kernarg_size 48
		.amdhsa_user_sgpr_count 6
		.amdhsa_user_sgpr_private_segment_buffer 1
		.amdhsa_user_sgpr_dispatch_ptr 0
		.amdhsa_user_sgpr_queue_ptr 0
		.amdhsa_user_sgpr_kernarg_segment_ptr 1
		.amdhsa_user_sgpr_dispatch_id 0
		.amdhsa_user_sgpr_flat_scratch_init 0
		.amdhsa_user_sgpr_private_segment_size 0
		.amdhsa_wavefront_size32 1
		.amdhsa_uses_dynamic_stack 0
		.amdhsa_system_sgpr_private_segment_wavefront_offset 0
		.amdhsa_system_sgpr_workgroup_id_x 1
		.amdhsa_system_sgpr_workgroup_id_y 0
		.amdhsa_system_sgpr_workgroup_id_z 0
		.amdhsa_system_sgpr_workgroup_info 0
		.amdhsa_system_vgpr_workitem_id 0
		.amdhsa_next_free_vgpr 1
		.amdhsa_next_free_sgpr 1
		.amdhsa_reserve_vcc 0
		.amdhsa_reserve_flat_scratch 0
		.amdhsa_float_round_mode_32 0
		.amdhsa_float_round_mode_16_64 0
		.amdhsa_float_denorm_mode_32 3
		.amdhsa_float_denorm_mode_16_64 3
		.amdhsa_dx10_clamp 1
		.amdhsa_ieee_mode 1
		.amdhsa_fp16_overflow 0
		.amdhsa_workgroup_processor_mode 1
		.amdhsa_memory_ordered 1
		.amdhsa_forward_progress 1
		.amdhsa_shared_vgpr_count 0
		.amdhsa_exception_fp_ieee_invalid_op 0
		.amdhsa_exception_fp_denorm_src 0
		.amdhsa_exception_fp_ieee_div_zero 0
		.amdhsa_exception_fp_ieee_overflow 0
		.amdhsa_exception_fp_ieee_underflow 0
		.amdhsa_exception_fp_ieee_inexact 0
		.amdhsa_exception_int_div_zero 0
	.end_amdhsa_kernel
	.section	.text._ZN7rocprim17ROCPRIM_400000_NS6detail17trampoline_kernelINS0_14default_configENS1_38merge_sort_block_merge_config_selectorIiNS0_10empty_typeEEEZZNS1_27merge_sort_block_merge_implIS3_N6thrust23THRUST_200600_302600_NS10device_ptrIiEEPS5_jNS1_19radix_merge_compareILb0ELb1EiNS0_19identity_decomposerEEEEE10hipError_tT0_T1_T2_jT3_P12ihipStream_tbPNSt15iterator_traitsISH_E10value_typeEPNSN_ISI_E10value_typeEPSJ_NS1_7vsmem_tEENKUlT_SH_SI_SJ_E_clISB_PiSC_SC_EESG_SW_SH_SI_SJ_EUlSW_E1_NS1_11comp_targetILNS1_3genE5ELNS1_11target_archE942ELNS1_3gpuE9ELNS1_3repE0EEENS1_36merge_oddeven_config_static_selectorELNS0_4arch9wavefront6targetE0EEEvSI_,"axG",@progbits,_ZN7rocprim17ROCPRIM_400000_NS6detail17trampoline_kernelINS0_14default_configENS1_38merge_sort_block_merge_config_selectorIiNS0_10empty_typeEEEZZNS1_27merge_sort_block_merge_implIS3_N6thrust23THRUST_200600_302600_NS10device_ptrIiEEPS5_jNS1_19radix_merge_compareILb0ELb1EiNS0_19identity_decomposerEEEEE10hipError_tT0_T1_T2_jT3_P12ihipStream_tbPNSt15iterator_traitsISH_E10value_typeEPNSN_ISI_E10value_typeEPSJ_NS1_7vsmem_tEENKUlT_SH_SI_SJ_E_clISB_PiSC_SC_EESG_SW_SH_SI_SJ_EUlSW_E1_NS1_11comp_targetILNS1_3genE5ELNS1_11target_archE942ELNS1_3gpuE9ELNS1_3repE0EEENS1_36merge_oddeven_config_static_selectorELNS0_4arch9wavefront6targetE0EEEvSI_,comdat
.Lfunc_end1211:
	.size	_ZN7rocprim17ROCPRIM_400000_NS6detail17trampoline_kernelINS0_14default_configENS1_38merge_sort_block_merge_config_selectorIiNS0_10empty_typeEEEZZNS1_27merge_sort_block_merge_implIS3_N6thrust23THRUST_200600_302600_NS10device_ptrIiEEPS5_jNS1_19radix_merge_compareILb0ELb1EiNS0_19identity_decomposerEEEEE10hipError_tT0_T1_T2_jT3_P12ihipStream_tbPNSt15iterator_traitsISH_E10value_typeEPNSN_ISI_E10value_typeEPSJ_NS1_7vsmem_tEENKUlT_SH_SI_SJ_E_clISB_PiSC_SC_EESG_SW_SH_SI_SJ_EUlSW_E1_NS1_11comp_targetILNS1_3genE5ELNS1_11target_archE942ELNS1_3gpuE9ELNS1_3repE0EEENS1_36merge_oddeven_config_static_selectorELNS0_4arch9wavefront6targetE0EEEvSI_, .Lfunc_end1211-_ZN7rocprim17ROCPRIM_400000_NS6detail17trampoline_kernelINS0_14default_configENS1_38merge_sort_block_merge_config_selectorIiNS0_10empty_typeEEEZZNS1_27merge_sort_block_merge_implIS3_N6thrust23THRUST_200600_302600_NS10device_ptrIiEEPS5_jNS1_19radix_merge_compareILb0ELb1EiNS0_19identity_decomposerEEEEE10hipError_tT0_T1_T2_jT3_P12ihipStream_tbPNSt15iterator_traitsISH_E10value_typeEPNSN_ISI_E10value_typeEPSJ_NS1_7vsmem_tEENKUlT_SH_SI_SJ_E_clISB_PiSC_SC_EESG_SW_SH_SI_SJ_EUlSW_E1_NS1_11comp_targetILNS1_3genE5ELNS1_11target_archE942ELNS1_3gpuE9ELNS1_3repE0EEENS1_36merge_oddeven_config_static_selectorELNS0_4arch9wavefront6targetE0EEEvSI_
                                        ; -- End function
	.set _ZN7rocprim17ROCPRIM_400000_NS6detail17trampoline_kernelINS0_14default_configENS1_38merge_sort_block_merge_config_selectorIiNS0_10empty_typeEEEZZNS1_27merge_sort_block_merge_implIS3_N6thrust23THRUST_200600_302600_NS10device_ptrIiEEPS5_jNS1_19radix_merge_compareILb0ELb1EiNS0_19identity_decomposerEEEEE10hipError_tT0_T1_T2_jT3_P12ihipStream_tbPNSt15iterator_traitsISH_E10value_typeEPNSN_ISI_E10value_typeEPSJ_NS1_7vsmem_tEENKUlT_SH_SI_SJ_E_clISB_PiSC_SC_EESG_SW_SH_SI_SJ_EUlSW_E1_NS1_11comp_targetILNS1_3genE5ELNS1_11target_archE942ELNS1_3gpuE9ELNS1_3repE0EEENS1_36merge_oddeven_config_static_selectorELNS0_4arch9wavefront6targetE0EEEvSI_.num_vgpr, 0
	.set _ZN7rocprim17ROCPRIM_400000_NS6detail17trampoline_kernelINS0_14default_configENS1_38merge_sort_block_merge_config_selectorIiNS0_10empty_typeEEEZZNS1_27merge_sort_block_merge_implIS3_N6thrust23THRUST_200600_302600_NS10device_ptrIiEEPS5_jNS1_19radix_merge_compareILb0ELb1EiNS0_19identity_decomposerEEEEE10hipError_tT0_T1_T2_jT3_P12ihipStream_tbPNSt15iterator_traitsISH_E10value_typeEPNSN_ISI_E10value_typeEPSJ_NS1_7vsmem_tEENKUlT_SH_SI_SJ_E_clISB_PiSC_SC_EESG_SW_SH_SI_SJ_EUlSW_E1_NS1_11comp_targetILNS1_3genE5ELNS1_11target_archE942ELNS1_3gpuE9ELNS1_3repE0EEENS1_36merge_oddeven_config_static_selectorELNS0_4arch9wavefront6targetE0EEEvSI_.num_agpr, 0
	.set _ZN7rocprim17ROCPRIM_400000_NS6detail17trampoline_kernelINS0_14default_configENS1_38merge_sort_block_merge_config_selectorIiNS0_10empty_typeEEEZZNS1_27merge_sort_block_merge_implIS3_N6thrust23THRUST_200600_302600_NS10device_ptrIiEEPS5_jNS1_19radix_merge_compareILb0ELb1EiNS0_19identity_decomposerEEEEE10hipError_tT0_T1_T2_jT3_P12ihipStream_tbPNSt15iterator_traitsISH_E10value_typeEPNSN_ISI_E10value_typeEPSJ_NS1_7vsmem_tEENKUlT_SH_SI_SJ_E_clISB_PiSC_SC_EESG_SW_SH_SI_SJ_EUlSW_E1_NS1_11comp_targetILNS1_3genE5ELNS1_11target_archE942ELNS1_3gpuE9ELNS1_3repE0EEENS1_36merge_oddeven_config_static_selectorELNS0_4arch9wavefront6targetE0EEEvSI_.numbered_sgpr, 0
	.set _ZN7rocprim17ROCPRIM_400000_NS6detail17trampoline_kernelINS0_14default_configENS1_38merge_sort_block_merge_config_selectorIiNS0_10empty_typeEEEZZNS1_27merge_sort_block_merge_implIS3_N6thrust23THRUST_200600_302600_NS10device_ptrIiEEPS5_jNS1_19radix_merge_compareILb0ELb1EiNS0_19identity_decomposerEEEEE10hipError_tT0_T1_T2_jT3_P12ihipStream_tbPNSt15iterator_traitsISH_E10value_typeEPNSN_ISI_E10value_typeEPSJ_NS1_7vsmem_tEENKUlT_SH_SI_SJ_E_clISB_PiSC_SC_EESG_SW_SH_SI_SJ_EUlSW_E1_NS1_11comp_targetILNS1_3genE5ELNS1_11target_archE942ELNS1_3gpuE9ELNS1_3repE0EEENS1_36merge_oddeven_config_static_selectorELNS0_4arch9wavefront6targetE0EEEvSI_.num_named_barrier, 0
	.set _ZN7rocprim17ROCPRIM_400000_NS6detail17trampoline_kernelINS0_14default_configENS1_38merge_sort_block_merge_config_selectorIiNS0_10empty_typeEEEZZNS1_27merge_sort_block_merge_implIS3_N6thrust23THRUST_200600_302600_NS10device_ptrIiEEPS5_jNS1_19radix_merge_compareILb0ELb1EiNS0_19identity_decomposerEEEEE10hipError_tT0_T1_T2_jT3_P12ihipStream_tbPNSt15iterator_traitsISH_E10value_typeEPNSN_ISI_E10value_typeEPSJ_NS1_7vsmem_tEENKUlT_SH_SI_SJ_E_clISB_PiSC_SC_EESG_SW_SH_SI_SJ_EUlSW_E1_NS1_11comp_targetILNS1_3genE5ELNS1_11target_archE942ELNS1_3gpuE9ELNS1_3repE0EEENS1_36merge_oddeven_config_static_selectorELNS0_4arch9wavefront6targetE0EEEvSI_.private_seg_size, 0
	.set _ZN7rocprim17ROCPRIM_400000_NS6detail17trampoline_kernelINS0_14default_configENS1_38merge_sort_block_merge_config_selectorIiNS0_10empty_typeEEEZZNS1_27merge_sort_block_merge_implIS3_N6thrust23THRUST_200600_302600_NS10device_ptrIiEEPS5_jNS1_19radix_merge_compareILb0ELb1EiNS0_19identity_decomposerEEEEE10hipError_tT0_T1_T2_jT3_P12ihipStream_tbPNSt15iterator_traitsISH_E10value_typeEPNSN_ISI_E10value_typeEPSJ_NS1_7vsmem_tEENKUlT_SH_SI_SJ_E_clISB_PiSC_SC_EESG_SW_SH_SI_SJ_EUlSW_E1_NS1_11comp_targetILNS1_3genE5ELNS1_11target_archE942ELNS1_3gpuE9ELNS1_3repE0EEENS1_36merge_oddeven_config_static_selectorELNS0_4arch9wavefront6targetE0EEEvSI_.uses_vcc, 0
	.set _ZN7rocprim17ROCPRIM_400000_NS6detail17trampoline_kernelINS0_14default_configENS1_38merge_sort_block_merge_config_selectorIiNS0_10empty_typeEEEZZNS1_27merge_sort_block_merge_implIS3_N6thrust23THRUST_200600_302600_NS10device_ptrIiEEPS5_jNS1_19radix_merge_compareILb0ELb1EiNS0_19identity_decomposerEEEEE10hipError_tT0_T1_T2_jT3_P12ihipStream_tbPNSt15iterator_traitsISH_E10value_typeEPNSN_ISI_E10value_typeEPSJ_NS1_7vsmem_tEENKUlT_SH_SI_SJ_E_clISB_PiSC_SC_EESG_SW_SH_SI_SJ_EUlSW_E1_NS1_11comp_targetILNS1_3genE5ELNS1_11target_archE942ELNS1_3gpuE9ELNS1_3repE0EEENS1_36merge_oddeven_config_static_selectorELNS0_4arch9wavefront6targetE0EEEvSI_.uses_flat_scratch, 0
	.set _ZN7rocprim17ROCPRIM_400000_NS6detail17trampoline_kernelINS0_14default_configENS1_38merge_sort_block_merge_config_selectorIiNS0_10empty_typeEEEZZNS1_27merge_sort_block_merge_implIS3_N6thrust23THRUST_200600_302600_NS10device_ptrIiEEPS5_jNS1_19radix_merge_compareILb0ELb1EiNS0_19identity_decomposerEEEEE10hipError_tT0_T1_T2_jT3_P12ihipStream_tbPNSt15iterator_traitsISH_E10value_typeEPNSN_ISI_E10value_typeEPSJ_NS1_7vsmem_tEENKUlT_SH_SI_SJ_E_clISB_PiSC_SC_EESG_SW_SH_SI_SJ_EUlSW_E1_NS1_11comp_targetILNS1_3genE5ELNS1_11target_archE942ELNS1_3gpuE9ELNS1_3repE0EEENS1_36merge_oddeven_config_static_selectorELNS0_4arch9wavefront6targetE0EEEvSI_.has_dyn_sized_stack, 0
	.set _ZN7rocprim17ROCPRIM_400000_NS6detail17trampoline_kernelINS0_14default_configENS1_38merge_sort_block_merge_config_selectorIiNS0_10empty_typeEEEZZNS1_27merge_sort_block_merge_implIS3_N6thrust23THRUST_200600_302600_NS10device_ptrIiEEPS5_jNS1_19radix_merge_compareILb0ELb1EiNS0_19identity_decomposerEEEEE10hipError_tT0_T1_T2_jT3_P12ihipStream_tbPNSt15iterator_traitsISH_E10value_typeEPNSN_ISI_E10value_typeEPSJ_NS1_7vsmem_tEENKUlT_SH_SI_SJ_E_clISB_PiSC_SC_EESG_SW_SH_SI_SJ_EUlSW_E1_NS1_11comp_targetILNS1_3genE5ELNS1_11target_archE942ELNS1_3gpuE9ELNS1_3repE0EEENS1_36merge_oddeven_config_static_selectorELNS0_4arch9wavefront6targetE0EEEvSI_.has_recursion, 0
	.set _ZN7rocprim17ROCPRIM_400000_NS6detail17trampoline_kernelINS0_14default_configENS1_38merge_sort_block_merge_config_selectorIiNS0_10empty_typeEEEZZNS1_27merge_sort_block_merge_implIS3_N6thrust23THRUST_200600_302600_NS10device_ptrIiEEPS5_jNS1_19radix_merge_compareILb0ELb1EiNS0_19identity_decomposerEEEEE10hipError_tT0_T1_T2_jT3_P12ihipStream_tbPNSt15iterator_traitsISH_E10value_typeEPNSN_ISI_E10value_typeEPSJ_NS1_7vsmem_tEENKUlT_SH_SI_SJ_E_clISB_PiSC_SC_EESG_SW_SH_SI_SJ_EUlSW_E1_NS1_11comp_targetILNS1_3genE5ELNS1_11target_archE942ELNS1_3gpuE9ELNS1_3repE0EEENS1_36merge_oddeven_config_static_selectorELNS0_4arch9wavefront6targetE0EEEvSI_.has_indirect_call, 0
	.section	.AMDGPU.csdata,"",@progbits
; Kernel info:
; codeLenInByte = 0
; TotalNumSgprs: 0
; NumVgprs: 0
; ScratchSize: 0
; MemoryBound: 0
; FloatMode: 240
; IeeeMode: 1
; LDSByteSize: 0 bytes/workgroup (compile time only)
; SGPRBlocks: 0
; VGPRBlocks: 0
; NumSGPRsForWavesPerEU: 1
; NumVGPRsForWavesPerEU: 1
; Occupancy: 16
; WaveLimiterHint : 0
; COMPUTE_PGM_RSRC2:SCRATCH_EN: 0
; COMPUTE_PGM_RSRC2:USER_SGPR: 6
; COMPUTE_PGM_RSRC2:TRAP_HANDLER: 0
; COMPUTE_PGM_RSRC2:TGID_X_EN: 1
; COMPUTE_PGM_RSRC2:TGID_Y_EN: 0
; COMPUTE_PGM_RSRC2:TGID_Z_EN: 0
; COMPUTE_PGM_RSRC2:TIDIG_COMP_CNT: 0
	.section	.text._ZN7rocprim17ROCPRIM_400000_NS6detail17trampoline_kernelINS0_14default_configENS1_38merge_sort_block_merge_config_selectorIiNS0_10empty_typeEEEZZNS1_27merge_sort_block_merge_implIS3_N6thrust23THRUST_200600_302600_NS10device_ptrIiEEPS5_jNS1_19radix_merge_compareILb0ELb1EiNS0_19identity_decomposerEEEEE10hipError_tT0_T1_T2_jT3_P12ihipStream_tbPNSt15iterator_traitsISH_E10value_typeEPNSN_ISI_E10value_typeEPSJ_NS1_7vsmem_tEENKUlT_SH_SI_SJ_E_clISB_PiSC_SC_EESG_SW_SH_SI_SJ_EUlSW_E1_NS1_11comp_targetILNS1_3genE4ELNS1_11target_archE910ELNS1_3gpuE8ELNS1_3repE0EEENS1_36merge_oddeven_config_static_selectorELNS0_4arch9wavefront6targetE0EEEvSI_,"axG",@progbits,_ZN7rocprim17ROCPRIM_400000_NS6detail17trampoline_kernelINS0_14default_configENS1_38merge_sort_block_merge_config_selectorIiNS0_10empty_typeEEEZZNS1_27merge_sort_block_merge_implIS3_N6thrust23THRUST_200600_302600_NS10device_ptrIiEEPS5_jNS1_19radix_merge_compareILb0ELb1EiNS0_19identity_decomposerEEEEE10hipError_tT0_T1_T2_jT3_P12ihipStream_tbPNSt15iterator_traitsISH_E10value_typeEPNSN_ISI_E10value_typeEPSJ_NS1_7vsmem_tEENKUlT_SH_SI_SJ_E_clISB_PiSC_SC_EESG_SW_SH_SI_SJ_EUlSW_E1_NS1_11comp_targetILNS1_3genE4ELNS1_11target_archE910ELNS1_3gpuE8ELNS1_3repE0EEENS1_36merge_oddeven_config_static_selectorELNS0_4arch9wavefront6targetE0EEEvSI_,comdat
	.protected	_ZN7rocprim17ROCPRIM_400000_NS6detail17trampoline_kernelINS0_14default_configENS1_38merge_sort_block_merge_config_selectorIiNS0_10empty_typeEEEZZNS1_27merge_sort_block_merge_implIS3_N6thrust23THRUST_200600_302600_NS10device_ptrIiEEPS5_jNS1_19radix_merge_compareILb0ELb1EiNS0_19identity_decomposerEEEEE10hipError_tT0_T1_T2_jT3_P12ihipStream_tbPNSt15iterator_traitsISH_E10value_typeEPNSN_ISI_E10value_typeEPSJ_NS1_7vsmem_tEENKUlT_SH_SI_SJ_E_clISB_PiSC_SC_EESG_SW_SH_SI_SJ_EUlSW_E1_NS1_11comp_targetILNS1_3genE4ELNS1_11target_archE910ELNS1_3gpuE8ELNS1_3repE0EEENS1_36merge_oddeven_config_static_selectorELNS0_4arch9wavefront6targetE0EEEvSI_ ; -- Begin function _ZN7rocprim17ROCPRIM_400000_NS6detail17trampoline_kernelINS0_14default_configENS1_38merge_sort_block_merge_config_selectorIiNS0_10empty_typeEEEZZNS1_27merge_sort_block_merge_implIS3_N6thrust23THRUST_200600_302600_NS10device_ptrIiEEPS5_jNS1_19radix_merge_compareILb0ELb1EiNS0_19identity_decomposerEEEEE10hipError_tT0_T1_T2_jT3_P12ihipStream_tbPNSt15iterator_traitsISH_E10value_typeEPNSN_ISI_E10value_typeEPSJ_NS1_7vsmem_tEENKUlT_SH_SI_SJ_E_clISB_PiSC_SC_EESG_SW_SH_SI_SJ_EUlSW_E1_NS1_11comp_targetILNS1_3genE4ELNS1_11target_archE910ELNS1_3gpuE8ELNS1_3repE0EEENS1_36merge_oddeven_config_static_selectorELNS0_4arch9wavefront6targetE0EEEvSI_
	.globl	_ZN7rocprim17ROCPRIM_400000_NS6detail17trampoline_kernelINS0_14default_configENS1_38merge_sort_block_merge_config_selectorIiNS0_10empty_typeEEEZZNS1_27merge_sort_block_merge_implIS3_N6thrust23THRUST_200600_302600_NS10device_ptrIiEEPS5_jNS1_19radix_merge_compareILb0ELb1EiNS0_19identity_decomposerEEEEE10hipError_tT0_T1_T2_jT3_P12ihipStream_tbPNSt15iterator_traitsISH_E10value_typeEPNSN_ISI_E10value_typeEPSJ_NS1_7vsmem_tEENKUlT_SH_SI_SJ_E_clISB_PiSC_SC_EESG_SW_SH_SI_SJ_EUlSW_E1_NS1_11comp_targetILNS1_3genE4ELNS1_11target_archE910ELNS1_3gpuE8ELNS1_3repE0EEENS1_36merge_oddeven_config_static_selectorELNS0_4arch9wavefront6targetE0EEEvSI_
	.p2align	8
	.type	_ZN7rocprim17ROCPRIM_400000_NS6detail17trampoline_kernelINS0_14default_configENS1_38merge_sort_block_merge_config_selectorIiNS0_10empty_typeEEEZZNS1_27merge_sort_block_merge_implIS3_N6thrust23THRUST_200600_302600_NS10device_ptrIiEEPS5_jNS1_19radix_merge_compareILb0ELb1EiNS0_19identity_decomposerEEEEE10hipError_tT0_T1_T2_jT3_P12ihipStream_tbPNSt15iterator_traitsISH_E10value_typeEPNSN_ISI_E10value_typeEPSJ_NS1_7vsmem_tEENKUlT_SH_SI_SJ_E_clISB_PiSC_SC_EESG_SW_SH_SI_SJ_EUlSW_E1_NS1_11comp_targetILNS1_3genE4ELNS1_11target_archE910ELNS1_3gpuE8ELNS1_3repE0EEENS1_36merge_oddeven_config_static_selectorELNS0_4arch9wavefront6targetE0EEEvSI_,@function
_ZN7rocprim17ROCPRIM_400000_NS6detail17trampoline_kernelINS0_14default_configENS1_38merge_sort_block_merge_config_selectorIiNS0_10empty_typeEEEZZNS1_27merge_sort_block_merge_implIS3_N6thrust23THRUST_200600_302600_NS10device_ptrIiEEPS5_jNS1_19radix_merge_compareILb0ELb1EiNS0_19identity_decomposerEEEEE10hipError_tT0_T1_T2_jT3_P12ihipStream_tbPNSt15iterator_traitsISH_E10value_typeEPNSN_ISI_E10value_typeEPSJ_NS1_7vsmem_tEENKUlT_SH_SI_SJ_E_clISB_PiSC_SC_EESG_SW_SH_SI_SJ_EUlSW_E1_NS1_11comp_targetILNS1_3genE4ELNS1_11target_archE910ELNS1_3gpuE8ELNS1_3repE0EEENS1_36merge_oddeven_config_static_selectorELNS0_4arch9wavefront6targetE0EEEvSI_: ; @_ZN7rocprim17ROCPRIM_400000_NS6detail17trampoline_kernelINS0_14default_configENS1_38merge_sort_block_merge_config_selectorIiNS0_10empty_typeEEEZZNS1_27merge_sort_block_merge_implIS3_N6thrust23THRUST_200600_302600_NS10device_ptrIiEEPS5_jNS1_19radix_merge_compareILb0ELb1EiNS0_19identity_decomposerEEEEE10hipError_tT0_T1_T2_jT3_P12ihipStream_tbPNSt15iterator_traitsISH_E10value_typeEPNSN_ISI_E10value_typeEPSJ_NS1_7vsmem_tEENKUlT_SH_SI_SJ_E_clISB_PiSC_SC_EESG_SW_SH_SI_SJ_EUlSW_E1_NS1_11comp_targetILNS1_3genE4ELNS1_11target_archE910ELNS1_3gpuE8ELNS1_3repE0EEENS1_36merge_oddeven_config_static_selectorELNS0_4arch9wavefront6targetE0EEEvSI_
; %bb.0:
	.section	.rodata,"a",@progbits
	.p2align	6, 0x0
	.amdhsa_kernel _ZN7rocprim17ROCPRIM_400000_NS6detail17trampoline_kernelINS0_14default_configENS1_38merge_sort_block_merge_config_selectorIiNS0_10empty_typeEEEZZNS1_27merge_sort_block_merge_implIS3_N6thrust23THRUST_200600_302600_NS10device_ptrIiEEPS5_jNS1_19radix_merge_compareILb0ELb1EiNS0_19identity_decomposerEEEEE10hipError_tT0_T1_T2_jT3_P12ihipStream_tbPNSt15iterator_traitsISH_E10value_typeEPNSN_ISI_E10value_typeEPSJ_NS1_7vsmem_tEENKUlT_SH_SI_SJ_E_clISB_PiSC_SC_EESG_SW_SH_SI_SJ_EUlSW_E1_NS1_11comp_targetILNS1_3genE4ELNS1_11target_archE910ELNS1_3gpuE8ELNS1_3repE0EEENS1_36merge_oddeven_config_static_selectorELNS0_4arch9wavefront6targetE0EEEvSI_
		.amdhsa_group_segment_fixed_size 0
		.amdhsa_private_segment_fixed_size 0
		.amdhsa_kernarg_size 48
		.amdhsa_user_sgpr_count 6
		.amdhsa_user_sgpr_private_segment_buffer 1
		.amdhsa_user_sgpr_dispatch_ptr 0
		.amdhsa_user_sgpr_queue_ptr 0
		.amdhsa_user_sgpr_kernarg_segment_ptr 1
		.amdhsa_user_sgpr_dispatch_id 0
		.amdhsa_user_sgpr_flat_scratch_init 0
		.amdhsa_user_sgpr_private_segment_size 0
		.amdhsa_wavefront_size32 1
		.amdhsa_uses_dynamic_stack 0
		.amdhsa_system_sgpr_private_segment_wavefront_offset 0
		.amdhsa_system_sgpr_workgroup_id_x 1
		.amdhsa_system_sgpr_workgroup_id_y 0
		.amdhsa_system_sgpr_workgroup_id_z 0
		.amdhsa_system_sgpr_workgroup_info 0
		.amdhsa_system_vgpr_workitem_id 0
		.amdhsa_next_free_vgpr 1
		.amdhsa_next_free_sgpr 1
		.amdhsa_reserve_vcc 0
		.amdhsa_reserve_flat_scratch 0
		.amdhsa_float_round_mode_32 0
		.amdhsa_float_round_mode_16_64 0
		.amdhsa_float_denorm_mode_32 3
		.amdhsa_float_denorm_mode_16_64 3
		.amdhsa_dx10_clamp 1
		.amdhsa_ieee_mode 1
		.amdhsa_fp16_overflow 0
		.amdhsa_workgroup_processor_mode 1
		.amdhsa_memory_ordered 1
		.amdhsa_forward_progress 1
		.amdhsa_shared_vgpr_count 0
		.amdhsa_exception_fp_ieee_invalid_op 0
		.amdhsa_exception_fp_denorm_src 0
		.amdhsa_exception_fp_ieee_div_zero 0
		.amdhsa_exception_fp_ieee_overflow 0
		.amdhsa_exception_fp_ieee_underflow 0
		.amdhsa_exception_fp_ieee_inexact 0
		.amdhsa_exception_int_div_zero 0
	.end_amdhsa_kernel
	.section	.text._ZN7rocprim17ROCPRIM_400000_NS6detail17trampoline_kernelINS0_14default_configENS1_38merge_sort_block_merge_config_selectorIiNS0_10empty_typeEEEZZNS1_27merge_sort_block_merge_implIS3_N6thrust23THRUST_200600_302600_NS10device_ptrIiEEPS5_jNS1_19radix_merge_compareILb0ELb1EiNS0_19identity_decomposerEEEEE10hipError_tT0_T1_T2_jT3_P12ihipStream_tbPNSt15iterator_traitsISH_E10value_typeEPNSN_ISI_E10value_typeEPSJ_NS1_7vsmem_tEENKUlT_SH_SI_SJ_E_clISB_PiSC_SC_EESG_SW_SH_SI_SJ_EUlSW_E1_NS1_11comp_targetILNS1_3genE4ELNS1_11target_archE910ELNS1_3gpuE8ELNS1_3repE0EEENS1_36merge_oddeven_config_static_selectorELNS0_4arch9wavefront6targetE0EEEvSI_,"axG",@progbits,_ZN7rocprim17ROCPRIM_400000_NS6detail17trampoline_kernelINS0_14default_configENS1_38merge_sort_block_merge_config_selectorIiNS0_10empty_typeEEEZZNS1_27merge_sort_block_merge_implIS3_N6thrust23THRUST_200600_302600_NS10device_ptrIiEEPS5_jNS1_19radix_merge_compareILb0ELb1EiNS0_19identity_decomposerEEEEE10hipError_tT0_T1_T2_jT3_P12ihipStream_tbPNSt15iterator_traitsISH_E10value_typeEPNSN_ISI_E10value_typeEPSJ_NS1_7vsmem_tEENKUlT_SH_SI_SJ_E_clISB_PiSC_SC_EESG_SW_SH_SI_SJ_EUlSW_E1_NS1_11comp_targetILNS1_3genE4ELNS1_11target_archE910ELNS1_3gpuE8ELNS1_3repE0EEENS1_36merge_oddeven_config_static_selectorELNS0_4arch9wavefront6targetE0EEEvSI_,comdat
.Lfunc_end1212:
	.size	_ZN7rocprim17ROCPRIM_400000_NS6detail17trampoline_kernelINS0_14default_configENS1_38merge_sort_block_merge_config_selectorIiNS0_10empty_typeEEEZZNS1_27merge_sort_block_merge_implIS3_N6thrust23THRUST_200600_302600_NS10device_ptrIiEEPS5_jNS1_19radix_merge_compareILb0ELb1EiNS0_19identity_decomposerEEEEE10hipError_tT0_T1_T2_jT3_P12ihipStream_tbPNSt15iterator_traitsISH_E10value_typeEPNSN_ISI_E10value_typeEPSJ_NS1_7vsmem_tEENKUlT_SH_SI_SJ_E_clISB_PiSC_SC_EESG_SW_SH_SI_SJ_EUlSW_E1_NS1_11comp_targetILNS1_3genE4ELNS1_11target_archE910ELNS1_3gpuE8ELNS1_3repE0EEENS1_36merge_oddeven_config_static_selectorELNS0_4arch9wavefront6targetE0EEEvSI_, .Lfunc_end1212-_ZN7rocprim17ROCPRIM_400000_NS6detail17trampoline_kernelINS0_14default_configENS1_38merge_sort_block_merge_config_selectorIiNS0_10empty_typeEEEZZNS1_27merge_sort_block_merge_implIS3_N6thrust23THRUST_200600_302600_NS10device_ptrIiEEPS5_jNS1_19radix_merge_compareILb0ELb1EiNS0_19identity_decomposerEEEEE10hipError_tT0_T1_T2_jT3_P12ihipStream_tbPNSt15iterator_traitsISH_E10value_typeEPNSN_ISI_E10value_typeEPSJ_NS1_7vsmem_tEENKUlT_SH_SI_SJ_E_clISB_PiSC_SC_EESG_SW_SH_SI_SJ_EUlSW_E1_NS1_11comp_targetILNS1_3genE4ELNS1_11target_archE910ELNS1_3gpuE8ELNS1_3repE0EEENS1_36merge_oddeven_config_static_selectorELNS0_4arch9wavefront6targetE0EEEvSI_
                                        ; -- End function
	.set _ZN7rocprim17ROCPRIM_400000_NS6detail17trampoline_kernelINS0_14default_configENS1_38merge_sort_block_merge_config_selectorIiNS0_10empty_typeEEEZZNS1_27merge_sort_block_merge_implIS3_N6thrust23THRUST_200600_302600_NS10device_ptrIiEEPS5_jNS1_19radix_merge_compareILb0ELb1EiNS0_19identity_decomposerEEEEE10hipError_tT0_T1_T2_jT3_P12ihipStream_tbPNSt15iterator_traitsISH_E10value_typeEPNSN_ISI_E10value_typeEPSJ_NS1_7vsmem_tEENKUlT_SH_SI_SJ_E_clISB_PiSC_SC_EESG_SW_SH_SI_SJ_EUlSW_E1_NS1_11comp_targetILNS1_3genE4ELNS1_11target_archE910ELNS1_3gpuE8ELNS1_3repE0EEENS1_36merge_oddeven_config_static_selectorELNS0_4arch9wavefront6targetE0EEEvSI_.num_vgpr, 0
	.set _ZN7rocprim17ROCPRIM_400000_NS6detail17trampoline_kernelINS0_14default_configENS1_38merge_sort_block_merge_config_selectorIiNS0_10empty_typeEEEZZNS1_27merge_sort_block_merge_implIS3_N6thrust23THRUST_200600_302600_NS10device_ptrIiEEPS5_jNS1_19radix_merge_compareILb0ELb1EiNS0_19identity_decomposerEEEEE10hipError_tT0_T1_T2_jT3_P12ihipStream_tbPNSt15iterator_traitsISH_E10value_typeEPNSN_ISI_E10value_typeEPSJ_NS1_7vsmem_tEENKUlT_SH_SI_SJ_E_clISB_PiSC_SC_EESG_SW_SH_SI_SJ_EUlSW_E1_NS1_11comp_targetILNS1_3genE4ELNS1_11target_archE910ELNS1_3gpuE8ELNS1_3repE0EEENS1_36merge_oddeven_config_static_selectorELNS0_4arch9wavefront6targetE0EEEvSI_.num_agpr, 0
	.set _ZN7rocprim17ROCPRIM_400000_NS6detail17trampoline_kernelINS0_14default_configENS1_38merge_sort_block_merge_config_selectorIiNS0_10empty_typeEEEZZNS1_27merge_sort_block_merge_implIS3_N6thrust23THRUST_200600_302600_NS10device_ptrIiEEPS5_jNS1_19radix_merge_compareILb0ELb1EiNS0_19identity_decomposerEEEEE10hipError_tT0_T1_T2_jT3_P12ihipStream_tbPNSt15iterator_traitsISH_E10value_typeEPNSN_ISI_E10value_typeEPSJ_NS1_7vsmem_tEENKUlT_SH_SI_SJ_E_clISB_PiSC_SC_EESG_SW_SH_SI_SJ_EUlSW_E1_NS1_11comp_targetILNS1_3genE4ELNS1_11target_archE910ELNS1_3gpuE8ELNS1_3repE0EEENS1_36merge_oddeven_config_static_selectorELNS0_4arch9wavefront6targetE0EEEvSI_.numbered_sgpr, 0
	.set _ZN7rocprim17ROCPRIM_400000_NS6detail17trampoline_kernelINS0_14default_configENS1_38merge_sort_block_merge_config_selectorIiNS0_10empty_typeEEEZZNS1_27merge_sort_block_merge_implIS3_N6thrust23THRUST_200600_302600_NS10device_ptrIiEEPS5_jNS1_19radix_merge_compareILb0ELb1EiNS0_19identity_decomposerEEEEE10hipError_tT0_T1_T2_jT3_P12ihipStream_tbPNSt15iterator_traitsISH_E10value_typeEPNSN_ISI_E10value_typeEPSJ_NS1_7vsmem_tEENKUlT_SH_SI_SJ_E_clISB_PiSC_SC_EESG_SW_SH_SI_SJ_EUlSW_E1_NS1_11comp_targetILNS1_3genE4ELNS1_11target_archE910ELNS1_3gpuE8ELNS1_3repE0EEENS1_36merge_oddeven_config_static_selectorELNS0_4arch9wavefront6targetE0EEEvSI_.num_named_barrier, 0
	.set _ZN7rocprim17ROCPRIM_400000_NS6detail17trampoline_kernelINS0_14default_configENS1_38merge_sort_block_merge_config_selectorIiNS0_10empty_typeEEEZZNS1_27merge_sort_block_merge_implIS3_N6thrust23THRUST_200600_302600_NS10device_ptrIiEEPS5_jNS1_19radix_merge_compareILb0ELb1EiNS0_19identity_decomposerEEEEE10hipError_tT0_T1_T2_jT3_P12ihipStream_tbPNSt15iterator_traitsISH_E10value_typeEPNSN_ISI_E10value_typeEPSJ_NS1_7vsmem_tEENKUlT_SH_SI_SJ_E_clISB_PiSC_SC_EESG_SW_SH_SI_SJ_EUlSW_E1_NS1_11comp_targetILNS1_3genE4ELNS1_11target_archE910ELNS1_3gpuE8ELNS1_3repE0EEENS1_36merge_oddeven_config_static_selectorELNS0_4arch9wavefront6targetE0EEEvSI_.private_seg_size, 0
	.set _ZN7rocprim17ROCPRIM_400000_NS6detail17trampoline_kernelINS0_14default_configENS1_38merge_sort_block_merge_config_selectorIiNS0_10empty_typeEEEZZNS1_27merge_sort_block_merge_implIS3_N6thrust23THRUST_200600_302600_NS10device_ptrIiEEPS5_jNS1_19radix_merge_compareILb0ELb1EiNS0_19identity_decomposerEEEEE10hipError_tT0_T1_T2_jT3_P12ihipStream_tbPNSt15iterator_traitsISH_E10value_typeEPNSN_ISI_E10value_typeEPSJ_NS1_7vsmem_tEENKUlT_SH_SI_SJ_E_clISB_PiSC_SC_EESG_SW_SH_SI_SJ_EUlSW_E1_NS1_11comp_targetILNS1_3genE4ELNS1_11target_archE910ELNS1_3gpuE8ELNS1_3repE0EEENS1_36merge_oddeven_config_static_selectorELNS0_4arch9wavefront6targetE0EEEvSI_.uses_vcc, 0
	.set _ZN7rocprim17ROCPRIM_400000_NS6detail17trampoline_kernelINS0_14default_configENS1_38merge_sort_block_merge_config_selectorIiNS0_10empty_typeEEEZZNS1_27merge_sort_block_merge_implIS3_N6thrust23THRUST_200600_302600_NS10device_ptrIiEEPS5_jNS1_19radix_merge_compareILb0ELb1EiNS0_19identity_decomposerEEEEE10hipError_tT0_T1_T2_jT3_P12ihipStream_tbPNSt15iterator_traitsISH_E10value_typeEPNSN_ISI_E10value_typeEPSJ_NS1_7vsmem_tEENKUlT_SH_SI_SJ_E_clISB_PiSC_SC_EESG_SW_SH_SI_SJ_EUlSW_E1_NS1_11comp_targetILNS1_3genE4ELNS1_11target_archE910ELNS1_3gpuE8ELNS1_3repE0EEENS1_36merge_oddeven_config_static_selectorELNS0_4arch9wavefront6targetE0EEEvSI_.uses_flat_scratch, 0
	.set _ZN7rocprim17ROCPRIM_400000_NS6detail17trampoline_kernelINS0_14default_configENS1_38merge_sort_block_merge_config_selectorIiNS0_10empty_typeEEEZZNS1_27merge_sort_block_merge_implIS3_N6thrust23THRUST_200600_302600_NS10device_ptrIiEEPS5_jNS1_19radix_merge_compareILb0ELb1EiNS0_19identity_decomposerEEEEE10hipError_tT0_T1_T2_jT3_P12ihipStream_tbPNSt15iterator_traitsISH_E10value_typeEPNSN_ISI_E10value_typeEPSJ_NS1_7vsmem_tEENKUlT_SH_SI_SJ_E_clISB_PiSC_SC_EESG_SW_SH_SI_SJ_EUlSW_E1_NS1_11comp_targetILNS1_3genE4ELNS1_11target_archE910ELNS1_3gpuE8ELNS1_3repE0EEENS1_36merge_oddeven_config_static_selectorELNS0_4arch9wavefront6targetE0EEEvSI_.has_dyn_sized_stack, 0
	.set _ZN7rocprim17ROCPRIM_400000_NS6detail17trampoline_kernelINS0_14default_configENS1_38merge_sort_block_merge_config_selectorIiNS0_10empty_typeEEEZZNS1_27merge_sort_block_merge_implIS3_N6thrust23THRUST_200600_302600_NS10device_ptrIiEEPS5_jNS1_19radix_merge_compareILb0ELb1EiNS0_19identity_decomposerEEEEE10hipError_tT0_T1_T2_jT3_P12ihipStream_tbPNSt15iterator_traitsISH_E10value_typeEPNSN_ISI_E10value_typeEPSJ_NS1_7vsmem_tEENKUlT_SH_SI_SJ_E_clISB_PiSC_SC_EESG_SW_SH_SI_SJ_EUlSW_E1_NS1_11comp_targetILNS1_3genE4ELNS1_11target_archE910ELNS1_3gpuE8ELNS1_3repE0EEENS1_36merge_oddeven_config_static_selectorELNS0_4arch9wavefront6targetE0EEEvSI_.has_recursion, 0
	.set _ZN7rocprim17ROCPRIM_400000_NS6detail17trampoline_kernelINS0_14default_configENS1_38merge_sort_block_merge_config_selectorIiNS0_10empty_typeEEEZZNS1_27merge_sort_block_merge_implIS3_N6thrust23THRUST_200600_302600_NS10device_ptrIiEEPS5_jNS1_19radix_merge_compareILb0ELb1EiNS0_19identity_decomposerEEEEE10hipError_tT0_T1_T2_jT3_P12ihipStream_tbPNSt15iterator_traitsISH_E10value_typeEPNSN_ISI_E10value_typeEPSJ_NS1_7vsmem_tEENKUlT_SH_SI_SJ_E_clISB_PiSC_SC_EESG_SW_SH_SI_SJ_EUlSW_E1_NS1_11comp_targetILNS1_3genE4ELNS1_11target_archE910ELNS1_3gpuE8ELNS1_3repE0EEENS1_36merge_oddeven_config_static_selectorELNS0_4arch9wavefront6targetE0EEEvSI_.has_indirect_call, 0
	.section	.AMDGPU.csdata,"",@progbits
; Kernel info:
; codeLenInByte = 0
; TotalNumSgprs: 0
; NumVgprs: 0
; ScratchSize: 0
; MemoryBound: 0
; FloatMode: 240
; IeeeMode: 1
; LDSByteSize: 0 bytes/workgroup (compile time only)
; SGPRBlocks: 0
; VGPRBlocks: 0
; NumSGPRsForWavesPerEU: 1
; NumVGPRsForWavesPerEU: 1
; Occupancy: 16
; WaveLimiterHint : 0
; COMPUTE_PGM_RSRC2:SCRATCH_EN: 0
; COMPUTE_PGM_RSRC2:USER_SGPR: 6
; COMPUTE_PGM_RSRC2:TRAP_HANDLER: 0
; COMPUTE_PGM_RSRC2:TGID_X_EN: 1
; COMPUTE_PGM_RSRC2:TGID_Y_EN: 0
; COMPUTE_PGM_RSRC2:TGID_Z_EN: 0
; COMPUTE_PGM_RSRC2:TIDIG_COMP_CNT: 0
	.section	.text._ZN7rocprim17ROCPRIM_400000_NS6detail17trampoline_kernelINS0_14default_configENS1_38merge_sort_block_merge_config_selectorIiNS0_10empty_typeEEEZZNS1_27merge_sort_block_merge_implIS3_N6thrust23THRUST_200600_302600_NS10device_ptrIiEEPS5_jNS1_19radix_merge_compareILb0ELb1EiNS0_19identity_decomposerEEEEE10hipError_tT0_T1_T2_jT3_P12ihipStream_tbPNSt15iterator_traitsISH_E10value_typeEPNSN_ISI_E10value_typeEPSJ_NS1_7vsmem_tEENKUlT_SH_SI_SJ_E_clISB_PiSC_SC_EESG_SW_SH_SI_SJ_EUlSW_E1_NS1_11comp_targetILNS1_3genE3ELNS1_11target_archE908ELNS1_3gpuE7ELNS1_3repE0EEENS1_36merge_oddeven_config_static_selectorELNS0_4arch9wavefront6targetE0EEEvSI_,"axG",@progbits,_ZN7rocprim17ROCPRIM_400000_NS6detail17trampoline_kernelINS0_14default_configENS1_38merge_sort_block_merge_config_selectorIiNS0_10empty_typeEEEZZNS1_27merge_sort_block_merge_implIS3_N6thrust23THRUST_200600_302600_NS10device_ptrIiEEPS5_jNS1_19radix_merge_compareILb0ELb1EiNS0_19identity_decomposerEEEEE10hipError_tT0_T1_T2_jT3_P12ihipStream_tbPNSt15iterator_traitsISH_E10value_typeEPNSN_ISI_E10value_typeEPSJ_NS1_7vsmem_tEENKUlT_SH_SI_SJ_E_clISB_PiSC_SC_EESG_SW_SH_SI_SJ_EUlSW_E1_NS1_11comp_targetILNS1_3genE3ELNS1_11target_archE908ELNS1_3gpuE7ELNS1_3repE0EEENS1_36merge_oddeven_config_static_selectorELNS0_4arch9wavefront6targetE0EEEvSI_,comdat
	.protected	_ZN7rocprim17ROCPRIM_400000_NS6detail17trampoline_kernelINS0_14default_configENS1_38merge_sort_block_merge_config_selectorIiNS0_10empty_typeEEEZZNS1_27merge_sort_block_merge_implIS3_N6thrust23THRUST_200600_302600_NS10device_ptrIiEEPS5_jNS1_19radix_merge_compareILb0ELb1EiNS0_19identity_decomposerEEEEE10hipError_tT0_T1_T2_jT3_P12ihipStream_tbPNSt15iterator_traitsISH_E10value_typeEPNSN_ISI_E10value_typeEPSJ_NS1_7vsmem_tEENKUlT_SH_SI_SJ_E_clISB_PiSC_SC_EESG_SW_SH_SI_SJ_EUlSW_E1_NS1_11comp_targetILNS1_3genE3ELNS1_11target_archE908ELNS1_3gpuE7ELNS1_3repE0EEENS1_36merge_oddeven_config_static_selectorELNS0_4arch9wavefront6targetE0EEEvSI_ ; -- Begin function _ZN7rocprim17ROCPRIM_400000_NS6detail17trampoline_kernelINS0_14default_configENS1_38merge_sort_block_merge_config_selectorIiNS0_10empty_typeEEEZZNS1_27merge_sort_block_merge_implIS3_N6thrust23THRUST_200600_302600_NS10device_ptrIiEEPS5_jNS1_19radix_merge_compareILb0ELb1EiNS0_19identity_decomposerEEEEE10hipError_tT0_T1_T2_jT3_P12ihipStream_tbPNSt15iterator_traitsISH_E10value_typeEPNSN_ISI_E10value_typeEPSJ_NS1_7vsmem_tEENKUlT_SH_SI_SJ_E_clISB_PiSC_SC_EESG_SW_SH_SI_SJ_EUlSW_E1_NS1_11comp_targetILNS1_3genE3ELNS1_11target_archE908ELNS1_3gpuE7ELNS1_3repE0EEENS1_36merge_oddeven_config_static_selectorELNS0_4arch9wavefront6targetE0EEEvSI_
	.globl	_ZN7rocprim17ROCPRIM_400000_NS6detail17trampoline_kernelINS0_14default_configENS1_38merge_sort_block_merge_config_selectorIiNS0_10empty_typeEEEZZNS1_27merge_sort_block_merge_implIS3_N6thrust23THRUST_200600_302600_NS10device_ptrIiEEPS5_jNS1_19radix_merge_compareILb0ELb1EiNS0_19identity_decomposerEEEEE10hipError_tT0_T1_T2_jT3_P12ihipStream_tbPNSt15iterator_traitsISH_E10value_typeEPNSN_ISI_E10value_typeEPSJ_NS1_7vsmem_tEENKUlT_SH_SI_SJ_E_clISB_PiSC_SC_EESG_SW_SH_SI_SJ_EUlSW_E1_NS1_11comp_targetILNS1_3genE3ELNS1_11target_archE908ELNS1_3gpuE7ELNS1_3repE0EEENS1_36merge_oddeven_config_static_selectorELNS0_4arch9wavefront6targetE0EEEvSI_
	.p2align	8
	.type	_ZN7rocprim17ROCPRIM_400000_NS6detail17trampoline_kernelINS0_14default_configENS1_38merge_sort_block_merge_config_selectorIiNS0_10empty_typeEEEZZNS1_27merge_sort_block_merge_implIS3_N6thrust23THRUST_200600_302600_NS10device_ptrIiEEPS5_jNS1_19radix_merge_compareILb0ELb1EiNS0_19identity_decomposerEEEEE10hipError_tT0_T1_T2_jT3_P12ihipStream_tbPNSt15iterator_traitsISH_E10value_typeEPNSN_ISI_E10value_typeEPSJ_NS1_7vsmem_tEENKUlT_SH_SI_SJ_E_clISB_PiSC_SC_EESG_SW_SH_SI_SJ_EUlSW_E1_NS1_11comp_targetILNS1_3genE3ELNS1_11target_archE908ELNS1_3gpuE7ELNS1_3repE0EEENS1_36merge_oddeven_config_static_selectorELNS0_4arch9wavefront6targetE0EEEvSI_,@function
_ZN7rocprim17ROCPRIM_400000_NS6detail17trampoline_kernelINS0_14default_configENS1_38merge_sort_block_merge_config_selectorIiNS0_10empty_typeEEEZZNS1_27merge_sort_block_merge_implIS3_N6thrust23THRUST_200600_302600_NS10device_ptrIiEEPS5_jNS1_19radix_merge_compareILb0ELb1EiNS0_19identity_decomposerEEEEE10hipError_tT0_T1_T2_jT3_P12ihipStream_tbPNSt15iterator_traitsISH_E10value_typeEPNSN_ISI_E10value_typeEPSJ_NS1_7vsmem_tEENKUlT_SH_SI_SJ_E_clISB_PiSC_SC_EESG_SW_SH_SI_SJ_EUlSW_E1_NS1_11comp_targetILNS1_3genE3ELNS1_11target_archE908ELNS1_3gpuE7ELNS1_3repE0EEENS1_36merge_oddeven_config_static_selectorELNS0_4arch9wavefront6targetE0EEEvSI_: ; @_ZN7rocprim17ROCPRIM_400000_NS6detail17trampoline_kernelINS0_14default_configENS1_38merge_sort_block_merge_config_selectorIiNS0_10empty_typeEEEZZNS1_27merge_sort_block_merge_implIS3_N6thrust23THRUST_200600_302600_NS10device_ptrIiEEPS5_jNS1_19radix_merge_compareILb0ELb1EiNS0_19identity_decomposerEEEEE10hipError_tT0_T1_T2_jT3_P12ihipStream_tbPNSt15iterator_traitsISH_E10value_typeEPNSN_ISI_E10value_typeEPSJ_NS1_7vsmem_tEENKUlT_SH_SI_SJ_E_clISB_PiSC_SC_EESG_SW_SH_SI_SJ_EUlSW_E1_NS1_11comp_targetILNS1_3genE3ELNS1_11target_archE908ELNS1_3gpuE7ELNS1_3repE0EEENS1_36merge_oddeven_config_static_selectorELNS0_4arch9wavefront6targetE0EEEvSI_
; %bb.0:
	.section	.rodata,"a",@progbits
	.p2align	6, 0x0
	.amdhsa_kernel _ZN7rocprim17ROCPRIM_400000_NS6detail17trampoline_kernelINS0_14default_configENS1_38merge_sort_block_merge_config_selectorIiNS0_10empty_typeEEEZZNS1_27merge_sort_block_merge_implIS3_N6thrust23THRUST_200600_302600_NS10device_ptrIiEEPS5_jNS1_19radix_merge_compareILb0ELb1EiNS0_19identity_decomposerEEEEE10hipError_tT0_T1_T2_jT3_P12ihipStream_tbPNSt15iterator_traitsISH_E10value_typeEPNSN_ISI_E10value_typeEPSJ_NS1_7vsmem_tEENKUlT_SH_SI_SJ_E_clISB_PiSC_SC_EESG_SW_SH_SI_SJ_EUlSW_E1_NS1_11comp_targetILNS1_3genE3ELNS1_11target_archE908ELNS1_3gpuE7ELNS1_3repE0EEENS1_36merge_oddeven_config_static_selectorELNS0_4arch9wavefront6targetE0EEEvSI_
		.amdhsa_group_segment_fixed_size 0
		.amdhsa_private_segment_fixed_size 0
		.amdhsa_kernarg_size 48
		.amdhsa_user_sgpr_count 6
		.amdhsa_user_sgpr_private_segment_buffer 1
		.amdhsa_user_sgpr_dispatch_ptr 0
		.amdhsa_user_sgpr_queue_ptr 0
		.amdhsa_user_sgpr_kernarg_segment_ptr 1
		.amdhsa_user_sgpr_dispatch_id 0
		.amdhsa_user_sgpr_flat_scratch_init 0
		.amdhsa_user_sgpr_private_segment_size 0
		.amdhsa_wavefront_size32 1
		.amdhsa_uses_dynamic_stack 0
		.amdhsa_system_sgpr_private_segment_wavefront_offset 0
		.amdhsa_system_sgpr_workgroup_id_x 1
		.amdhsa_system_sgpr_workgroup_id_y 0
		.amdhsa_system_sgpr_workgroup_id_z 0
		.amdhsa_system_sgpr_workgroup_info 0
		.amdhsa_system_vgpr_workitem_id 0
		.amdhsa_next_free_vgpr 1
		.amdhsa_next_free_sgpr 1
		.amdhsa_reserve_vcc 0
		.amdhsa_reserve_flat_scratch 0
		.amdhsa_float_round_mode_32 0
		.amdhsa_float_round_mode_16_64 0
		.amdhsa_float_denorm_mode_32 3
		.amdhsa_float_denorm_mode_16_64 3
		.amdhsa_dx10_clamp 1
		.amdhsa_ieee_mode 1
		.amdhsa_fp16_overflow 0
		.amdhsa_workgroup_processor_mode 1
		.amdhsa_memory_ordered 1
		.amdhsa_forward_progress 1
		.amdhsa_shared_vgpr_count 0
		.amdhsa_exception_fp_ieee_invalid_op 0
		.amdhsa_exception_fp_denorm_src 0
		.amdhsa_exception_fp_ieee_div_zero 0
		.amdhsa_exception_fp_ieee_overflow 0
		.amdhsa_exception_fp_ieee_underflow 0
		.amdhsa_exception_fp_ieee_inexact 0
		.amdhsa_exception_int_div_zero 0
	.end_amdhsa_kernel
	.section	.text._ZN7rocprim17ROCPRIM_400000_NS6detail17trampoline_kernelINS0_14default_configENS1_38merge_sort_block_merge_config_selectorIiNS0_10empty_typeEEEZZNS1_27merge_sort_block_merge_implIS3_N6thrust23THRUST_200600_302600_NS10device_ptrIiEEPS5_jNS1_19radix_merge_compareILb0ELb1EiNS0_19identity_decomposerEEEEE10hipError_tT0_T1_T2_jT3_P12ihipStream_tbPNSt15iterator_traitsISH_E10value_typeEPNSN_ISI_E10value_typeEPSJ_NS1_7vsmem_tEENKUlT_SH_SI_SJ_E_clISB_PiSC_SC_EESG_SW_SH_SI_SJ_EUlSW_E1_NS1_11comp_targetILNS1_3genE3ELNS1_11target_archE908ELNS1_3gpuE7ELNS1_3repE0EEENS1_36merge_oddeven_config_static_selectorELNS0_4arch9wavefront6targetE0EEEvSI_,"axG",@progbits,_ZN7rocprim17ROCPRIM_400000_NS6detail17trampoline_kernelINS0_14default_configENS1_38merge_sort_block_merge_config_selectorIiNS0_10empty_typeEEEZZNS1_27merge_sort_block_merge_implIS3_N6thrust23THRUST_200600_302600_NS10device_ptrIiEEPS5_jNS1_19radix_merge_compareILb0ELb1EiNS0_19identity_decomposerEEEEE10hipError_tT0_T1_T2_jT3_P12ihipStream_tbPNSt15iterator_traitsISH_E10value_typeEPNSN_ISI_E10value_typeEPSJ_NS1_7vsmem_tEENKUlT_SH_SI_SJ_E_clISB_PiSC_SC_EESG_SW_SH_SI_SJ_EUlSW_E1_NS1_11comp_targetILNS1_3genE3ELNS1_11target_archE908ELNS1_3gpuE7ELNS1_3repE0EEENS1_36merge_oddeven_config_static_selectorELNS0_4arch9wavefront6targetE0EEEvSI_,comdat
.Lfunc_end1213:
	.size	_ZN7rocprim17ROCPRIM_400000_NS6detail17trampoline_kernelINS0_14default_configENS1_38merge_sort_block_merge_config_selectorIiNS0_10empty_typeEEEZZNS1_27merge_sort_block_merge_implIS3_N6thrust23THRUST_200600_302600_NS10device_ptrIiEEPS5_jNS1_19radix_merge_compareILb0ELb1EiNS0_19identity_decomposerEEEEE10hipError_tT0_T1_T2_jT3_P12ihipStream_tbPNSt15iterator_traitsISH_E10value_typeEPNSN_ISI_E10value_typeEPSJ_NS1_7vsmem_tEENKUlT_SH_SI_SJ_E_clISB_PiSC_SC_EESG_SW_SH_SI_SJ_EUlSW_E1_NS1_11comp_targetILNS1_3genE3ELNS1_11target_archE908ELNS1_3gpuE7ELNS1_3repE0EEENS1_36merge_oddeven_config_static_selectorELNS0_4arch9wavefront6targetE0EEEvSI_, .Lfunc_end1213-_ZN7rocprim17ROCPRIM_400000_NS6detail17trampoline_kernelINS0_14default_configENS1_38merge_sort_block_merge_config_selectorIiNS0_10empty_typeEEEZZNS1_27merge_sort_block_merge_implIS3_N6thrust23THRUST_200600_302600_NS10device_ptrIiEEPS5_jNS1_19radix_merge_compareILb0ELb1EiNS0_19identity_decomposerEEEEE10hipError_tT0_T1_T2_jT3_P12ihipStream_tbPNSt15iterator_traitsISH_E10value_typeEPNSN_ISI_E10value_typeEPSJ_NS1_7vsmem_tEENKUlT_SH_SI_SJ_E_clISB_PiSC_SC_EESG_SW_SH_SI_SJ_EUlSW_E1_NS1_11comp_targetILNS1_3genE3ELNS1_11target_archE908ELNS1_3gpuE7ELNS1_3repE0EEENS1_36merge_oddeven_config_static_selectorELNS0_4arch9wavefront6targetE0EEEvSI_
                                        ; -- End function
	.set _ZN7rocprim17ROCPRIM_400000_NS6detail17trampoline_kernelINS0_14default_configENS1_38merge_sort_block_merge_config_selectorIiNS0_10empty_typeEEEZZNS1_27merge_sort_block_merge_implIS3_N6thrust23THRUST_200600_302600_NS10device_ptrIiEEPS5_jNS1_19radix_merge_compareILb0ELb1EiNS0_19identity_decomposerEEEEE10hipError_tT0_T1_T2_jT3_P12ihipStream_tbPNSt15iterator_traitsISH_E10value_typeEPNSN_ISI_E10value_typeEPSJ_NS1_7vsmem_tEENKUlT_SH_SI_SJ_E_clISB_PiSC_SC_EESG_SW_SH_SI_SJ_EUlSW_E1_NS1_11comp_targetILNS1_3genE3ELNS1_11target_archE908ELNS1_3gpuE7ELNS1_3repE0EEENS1_36merge_oddeven_config_static_selectorELNS0_4arch9wavefront6targetE0EEEvSI_.num_vgpr, 0
	.set _ZN7rocprim17ROCPRIM_400000_NS6detail17trampoline_kernelINS0_14default_configENS1_38merge_sort_block_merge_config_selectorIiNS0_10empty_typeEEEZZNS1_27merge_sort_block_merge_implIS3_N6thrust23THRUST_200600_302600_NS10device_ptrIiEEPS5_jNS1_19radix_merge_compareILb0ELb1EiNS0_19identity_decomposerEEEEE10hipError_tT0_T1_T2_jT3_P12ihipStream_tbPNSt15iterator_traitsISH_E10value_typeEPNSN_ISI_E10value_typeEPSJ_NS1_7vsmem_tEENKUlT_SH_SI_SJ_E_clISB_PiSC_SC_EESG_SW_SH_SI_SJ_EUlSW_E1_NS1_11comp_targetILNS1_3genE3ELNS1_11target_archE908ELNS1_3gpuE7ELNS1_3repE0EEENS1_36merge_oddeven_config_static_selectorELNS0_4arch9wavefront6targetE0EEEvSI_.num_agpr, 0
	.set _ZN7rocprim17ROCPRIM_400000_NS6detail17trampoline_kernelINS0_14default_configENS1_38merge_sort_block_merge_config_selectorIiNS0_10empty_typeEEEZZNS1_27merge_sort_block_merge_implIS3_N6thrust23THRUST_200600_302600_NS10device_ptrIiEEPS5_jNS1_19radix_merge_compareILb0ELb1EiNS0_19identity_decomposerEEEEE10hipError_tT0_T1_T2_jT3_P12ihipStream_tbPNSt15iterator_traitsISH_E10value_typeEPNSN_ISI_E10value_typeEPSJ_NS1_7vsmem_tEENKUlT_SH_SI_SJ_E_clISB_PiSC_SC_EESG_SW_SH_SI_SJ_EUlSW_E1_NS1_11comp_targetILNS1_3genE3ELNS1_11target_archE908ELNS1_3gpuE7ELNS1_3repE0EEENS1_36merge_oddeven_config_static_selectorELNS0_4arch9wavefront6targetE0EEEvSI_.numbered_sgpr, 0
	.set _ZN7rocprim17ROCPRIM_400000_NS6detail17trampoline_kernelINS0_14default_configENS1_38merge_sort_block_merge_config_selectorIiNS0_10empty_typeEEEZZNS1_27merge_sort_block_merge_implIS3_N6thrust23THRUST_200600_302600_NS10device_ptrIiEEPS5_jNS1_19radix_merge_compareILb0ELb1EiNS0_19identity_decomposerEEEEE10hipError_tT0_T1_T2_jT3_P12ihipStream_tbPNSt15iterator_traitsISH_E10value_typeEPNSN_ISI_E10value_typeEPSJ_NS1_7vsmem_tEENKUlT_SH_SI_SJ_E_clISB_PiSC_SC_EESG_SW_SH_SI_SJ_EUlSW_E1_NS1_11comp_targetILNS1_3genE3ELNS1_11target_archE908ELNS1_3gpuE7ELNS1_3repE0EEENS1_36merge_oddeven_config_static_selectorELNS0_4arch9wavefront6targetE0EEEvSI_.num_named_barrier, 0
	.set _ZN7rocprim17ROCPRIM_400000_NS6detail17trampoline_kernelINS0_14default_configENS1_38merge_sort_block_merge_config_selectorIiNS0_10empty_typeEEEZZNS1_27merge_sort_block_merge_implIS3_N6thrust23THRUST_200600_302600_NS10device_ptrIiEEPS5_jNS1_19radix_merge_compareILb0ELb1EiNS0_19identity_decomposerEEEEE10hipError_tT0_T1_T2_jT3_P12ihipStream_tbPNSt15iterator_traitsISH_E10value_typeEPNSN_ISI_E10value_typeEPSJ_NS1_7vsmem_tEENKUlT_SH_SI_SJ_E_clISB_PiSC_SC_EESG_SW_SH_SI_SJ_EUlSW_E1_NS1_11comp_targetILNS1_3genE3ELNS1_11target_archE908ELNS1_3gpuE7ELNS1_3repE0EEENS1_36merge_oddeven_config_static_selectorELNS0_4arch9wavefront6targetE0EEEvSI_.private_seg_size, 0
	.set _ZN7rocprim17ROCPRIM_400000_NS6detail17trampoline_kernelINS0_14default_configENS1_38merge_sort_block_merge_config_selectorIiNS0_10empty_typeEEEZZNS1_27merge_sort_block_merge_implIS3_N6thrust23THRUST_200600_302600_NS10device_ptrIiEEPS5_jNS1_19radix_merge_compareILb0ELb1EiNS0_19identity_decomposerEEEEE10hipError_tT0_T1_T2_jT3_P12ihipStream_tbPNSt15iterator_traitsISH_E10value_typeEPNSN_ISI_E10value_typeEPSJ_NS1_7vsmem_tEENKUlT_SH_SI_SJ_E_clISB_PiSC_SC_EESG_SW_SH_SI_SJ_EUlSW_E1_NS1_11comp_targetILNS1_3genE3ELNS1_11target_archE908ELNS1_3gpuE7ELNS1_3repE0EEENS1_36merge_oddeven_config_static_selectorELNS0_4arch9wavefront6targetE0EEEvSI_.uses_vcc, 0
	.set _ZN7rocprim17ROCPRIM_400000_NS6detail17trampoline_kernelINS0_14default_configENS1_38merge_sort_block_merge_config_selectorIiNS0_10empty_typeEEEZZNS1_27merge_sort_block_merge_implIS3_N6thrust23THRUST_200600_302600_NS10device_ptrIiEEPS5_jNS1_19radix_merge_compareILb0ELb1EiNS0_19identity_decomposerEEEEE10hipError_tT0_T1_T2_jT3_P12ihipStream_tbPNSt15iterator_traitsISH_E10value_typeEPNSN_ISI_E10value_typeEPSJ_NS1_7vsmem_tEENKUlT_SH_SI_SJ_E_clISB_PiSC_SC_EESG_SW_SH_SI_SJ_EUlSW_E1_NS1_11comp_targetILNS1_3genE3ELNS1_11target_archE908ELNS1_3gpuE7ELNS1_3repE0EEENS1_36merge_oddeven_config_static_selectorELNS0_4arch9wavefront6targetE0EEEvSI_.uses_flat_scratch, 0
	.set _ZN7rocprim17ROCPRIM_400000_NS6detail17trampoline_kernelINS0_14default_configENS1_38merge_sort_block_merge_config_selectorIiNS0_10empty_typeEEEZZNS1_27merge_sort_block_merge_implIS3_N6thrust23THRUST_200600_302600_NS10device_ptrIiEEPS5_jNS1_19radix_merge_compareILb0ELb1EiNS0_19identity_decomposerEEEEE10hipError_tT0_T1_T2_jT3_P12ihipStream_tbPNSt15iterator_traitsISH_E10value_typeEPNSN_ISI_E10value_typeEPSJ_NS1_7vsmem_tEENKUlT_SH_SI_SJ_E_clISB_PiSC_SC_EESG_SW_SH_SI_SJ_EUlSW_E1_NS1_11comp_targetILNS1_3genE3ELNS1_11target_archE908ELNS1_3gpuE7ELNS1_3repE0EEENS1_36merge_oddeven_config_static_selectorELNS0_4arch9wavefront6targetE0EEEvSI_.has_dyn_sized_stack, 0
	.set _ZN7rocprim17ROCPRIM_400000_NS6detail17trampoline_kernelINS0_14default_configENS1_38merge_sort_block_merge_config_selectorIiNS0_10empty_typeEEEZZNS1_27merge_sort_block_merge_implIS3_N6thrust23THRUST_200600_302600_NS10device_ptrIiEEPS5_jNS1_19radix_merge_compareILb0ELb1EiNS0_19identity_decomposerEEEEE10hipError_tT0_T1_T2_jT3_P12ihipStream_tbPNSt15iterator_traitsISH_E10value_typeEPNSN_ISI_E10value_typeEPSJ_NS1_7vsmem_tEENKUlT_SH_SI_SJ_E_clISB_PiSC_SC_EESG_SW_SH_SI_SJ_EUlSW_E1_NS1_11comp_targetILNS1_3genE3ELNS1_11target_archE908ELNS1_3gpuE7ELNS1_3repE0EEENS1_36merge_oddeven_config_static_selectorELNS0_4arch9wavefront6targetE0EEEvSI_.has_recursion, 0
	.set _ZN7rocprim17ROCPRIM_400000_NS6detail17trampoline_kernelINS0_14default_configENS1_38merge_sort_block_merge_config_selectorIiNS0_10empty_typeEEEZZNS1_27merge_sort_block_merge_implIS3_N6thrust23THRUST_200600_302600_NS10device_ptrIiEEPS5_jNS1_19radix_merge_compareILb0ELb1EiNS0_19identity_decomposerEEEEE10hipError_tT0_T1_T2_jT3_P12ihipStream_tbPNSt15iterator_traitsISH_E10value_typeEPNSN_ISI_E10value_typeEPSJ_NS1_7vsmem_tEENKUlT_SH_SI_SJ_E_clISB_PiSC_SC_EESG_SW_SH_SI_SJ_EUlSW_E1_NS1_11comp_targetILNS1_3genE3ELNS1_11target_archE908ELNS1_3gpuE7ELNS1_3repE0EEENS1_36merge_oddeven_config_static_selectorELNS0_4arch9wavefront6targetE0EEEvSI_.has_indirect_call, 0
	.section	.AMDGPU.csdata,"",@progbits
; Kernel info:
; codeLenInByte = 0
; TotalNumSgprs: 0
; NumVgprs: 0
; ScratchSize: 0
; MemoryBound: 0
; FloatMode: 240
; IeeeMode: 1
; LDSByteSize: 0 bytes/workgroup (compile time only)
; SGPRBlocks: 0
; VGPRBlocks: 0
; NumSGPRsForWavesPerEU: 1
; NumVGPRsForWavesPerEU: 1
; Occupancy: 16
; WaveLimiterHint : 0
; COMPUTE_PGM_RSRC2:SCRATCH_EN: 0
; COMPUTE_PGM_RSRC2:USER_SGPR: 6
; COMPUTE_PGM_RSRC2:TRAP_HANDLER: 0
; COMPUTE_PGM_RSRC2:TGID_X_EN: 1
; COMPUTE_PGM_RSRC2:TGID_Y_EN: 0
; COMPUTE_PGM_RSRC2:TGID_Z_EN: 0
; COMPUTE_PGM_RSRC2:TIDIG_COMP_CNT: 0
	.section	.text._ZN7rocprim17ROCPRIM_400000_NS6detail17trampoline_kernelINS0_14default_configENS1_38merge_sort_block_merge_config_selectorIiNS0_10empty_typeEEEZZNS1_27merge_sort_block_merge_implIS3_N6thrust23THRUST_200600_302600_NS10device_ptrIiEEPS5_jNS1_19radix_merge_compareILb0ELb1EiNS0_19identity_decomposerEEEEE10hipError_tT0_T1_T2_jT3_P12ihipStream_tbPNSt15iterator_traitsISH_E10value_typeEPNSN_ISI_E10value_typeEPSJ_NS1_7vsmem_tEENKUlT_SH_SI_SJ_E_clISB_PiSC_SC_EESG_SW_SH_SI_SJ_EUlSW_E1_NS1_11comp_targetILNS1_3genE2ELNS1_11target_archE906ELNS1_3gpuE6ELNS1_3repE0EEENS1_36merge_oddeven_config_static_selectorELNS0_4arch9wavefront6targetE0EEEvSI_,"axG",@progbits,_ZN7rocprim17ROCPRIM_400000_NS6detail17trampoline_kernelINS0_14default_configENS1_38merge_sort_block_merge_config_selectorIiNS0_10empty_typeEEEZZNS1_27merge_sort_block_merge_implIS3_N6thrust23THRUST_200600_302600_NS10device_ptrIiEEPS5_jNS1_19radix_merge_compareILb0ELb1EiNS0_19identity_decomposerEEEEE10hipError_tT0_T1_T2_jT3_P12ihipStream_tbPNSt15iterator_traitsISH_E10value_typeEPNSN_ISI_E10value_typeEPSJ_NS1_7vsmem_tEENKUlT_SH_SI_SJ_E_clISB_PiSC_SC_EESG_SW_SH_SI_SJ_EUlSW_E1_NS1_11comp_targetILNS1_3genE2ELNS1_11target_archE906ELNS1_3gpuE6ELNS1_3repE0EEENS1_36merge_oddeven_config_static_selectorELNS0_4arch9wavefront6targetE0EEEvSI_,comdat
	.protected	_ZN7rocprim17ROCPRIM_400000_NS6detail17trampoline_kernelINS0_14default_configENS1_38merge_sort_block_merge_config_selectorIiNS0_10empty_typeEEEZZNS1_27merge_sort_block_merge_implIS3_N6thrust23THRUST_200600_302600_NS10device_ptrIiEEPS5_jNS1_19radix_merge_compareILb0ELb1EiNS0_19identity_decomposerEEEEE10hipError_tT0_T1_T2_jT3_P12ihipStream_tbPNSt15iterator_traitsISH_E10value_typeEPNSN_ISI_E10value_typeEPSJ_NS1_7vsmem_tEENKUlT_SH_SI_SJ_E_clISB_PiSC_SC_EESG_SW_SH_SI_SJ_EUlSW_E1_NS1_11comp_targetILNS1_3genE2ELNS1_11target_archE906ELNS1_3gpuE6ELNS1_3repE0EEENS1_36merge_oddeven_config_static_selectorELNS0_4arch9wavefront6targetE0EEEvSI_ ; -- Begin function _ZN7rocprim17ROCPRIM_400000_NS6detail17trampoline_kernelINS0_14default_configENS1_38merge_sort_block_merge_config_selectorIiNS0_10empty_typeEEEZZNS1_27merge_sort_block_merge_implIS3_N6thrust23THRUST_200600_302600_NS10device_ptrIiEEPS5_jNS1_19radix_merge_compareILb0ELb1EiNS0_19identity_decomposerEEEEE10hipError_tT0_T1_T2_jT3_P12ihipStream_tbPNSt15iterator_traitsISH_E10value_typeEPNSN_ISI_E10value_typeEPSJ_NS1_7vsmem_tEENKUlT_SH_SI_SJ_E_clISB_PiSC_SC_EESG_SW_SH_SI_SJ_EUlSW_E1_NS1_11comp_targetILNS1_3genE2ELNS1_11target_archE906ELNS1_3gpuE6ELNS1_3repE0EEENS1_36merge_oddeven_config_static_selectorELNS0_4arch9wavefront6targetE0EEEvSI_
	.globl	_ZN7rocprim17ROCPRIM_400000_NS6detail17trampoline_kernelINS0_14default_configENS1_38merge_sort_block_merge_config_selectorIiNS0_10empty_typeEEEZZNS1_27merge_sort_block_merge_implIS3_N6thrust23THRUST_200600_302600_NS10device_ptrIiEEPS5_jNS1_19radix_merge_compareILb0ELb1EiNS0_19identity_decomposerEEEEE10hipError_tT0_T1_T2_jT3_P12ihipStream_tbPNSt15iterator_traitsISH_E10value_typeEPNSN_ISI_E10value_typeEPSJ_NS1_7vsmem_tEENKUlT_SH_SI_SJ_E_clISB_PiSC_SC_EESG_SW_SH_SI_SJ_EUlSW_E1_NS1_11comp_targetILNS1_3genE2ELNS1_11target_archE906ELNS1_3gpuE6ELNS1_3repE0EEENS1_36merge_oddeven_config_static_selectorELNS0_4arch9wavefront6targetE0EEEvSI_
	.p2align	8
	.type	_ZN7rocprim17ROCPRIM_400000_NS6detail17trampoline_kernelINS0_14default_configENS1_38merge_sort_block_merge_config_selectorIiNS0_10empty_typeEEEZZNS1_27merge_sort_block_merge_implIS3_N6thrust23THRUST_200600_302600_NS10device_ptrIiEEPS5_jNS1_19radix_merge_compareILb0ELb1EiNS0_19identity_decomposerEEEEE10hipError_tT0_T1_T2_jT3_P12ihipStream_tbPNSt15iterator_traitsISH_E10value_typeEPNSN_ISI_E10value_typeEPSJ_NS1_7vsmem_tEENKUlT_SH_SI_SJ_E_clISB_PiSC_SC_EESG_SW_SH_SI_SJ_EUlSW_E1_NS1_11comp_targetILNS1_3genE2ELNS1_11target_archE906ELNS1_3gpuE6ELNS1_3repE0EEENS1_36merge_oddeven_config_static_selectorELNS0_4arch9wavefront6targetE0EEEvSI_,@function
_ZN7rocprim17ROCPRIM_400000_NS6detail17trampoline_kernelINS0_14default_configENS1_38merge_sort_block_merge_config_selectorIiNS0_10empty_typeEEEZZNS1_27merge_sort_block_merge_implIS3_N6thrust23THRUST_200600_302600_NS10device_ptrIiEEPS5_jNS1_19radix_merge_compareILb0ELb1EiNS0_19identity_decomposerEEEEE10hipError_tT0_T1_T2_jT3_P12ihipStream_tbPNSt15iterator_traitsISH_E10value_typeEPNSN_ISI_E10value_typeEPSJ_NS1_7vsmem_tEENKUlT_SH_SI_SJ_E_clISB_PiSC_SC_EESG_SW_SH_SI_SJ_EUlSW_E1_NS1_11comp_targetILNS1_3genE2ELNS1_11target_archE906ELNS1_3gpuE6ELNS1_3repE0EEENS1_36merge_oddeven_config_static_selectorELNS0_4arch9wavefront6targetE0EEEvSI_: ; @_ZN7rocprim17ROCPRIM_400000_NS6detail17trampoline_kernelINS0_14default_configENS1_38merge_sort_block_merge_config_selectorIiNS0_10empty_typeEEEZZNS1_27merge_sort_block_merge_implIS3_N6thrust23THRUST_200600_302600_NS10device_ptrIiEEPS5_jNS1_19radix_merge_compareILb0ELb1EiNS0_19identity_decomposerEEEEE10hipError_tT0_T1_T2_jT3_P12ihipStream_tbPNSt15iterator_traitsISH_E10value_typeEPNSN_ISI_E10value_typeEPSJ_NS1_7vsmem_tEENKUlT_SH_SI_SJ_E_clISB_PiSC_SC_EESG_SW_SH_SI_SJ_EUlSW_E1_NS1_11comp_targetILNS1_3genE2ELNS1_11target_archE906ELNS1_3gpuE6ELNS1_3repE0EEENS1_36merge_oddeven_config_static_selectorELNS0_4arch9wavefront6targetE0EEEvSI_
; %bb.0:
	.section	.rodata,"a",@progbits
	.p2align	6, 0x0
	.amdhsa_kernel _ZN7rocprim17ROCPRIM_400000_NS6detail17trampoline_kernelINS0_14default_configENS1_38merge_sort_block_merge_config_selectorIiNS0_10empty_typeEEEZZNS1_27merge_sort_block_merge_implIS3_N6thrust23THRUST_200600_302600_NS10device_ptrIiEEPS5_jNS1_19radix_merge_compareILb0ELb1EiNS0_19identity_decomposerEEEEE10hipError_tT0_T1_T2_jT3_P12ihipStream_tbPNSt15iterator_traitsISH_E10value_typeEPNSN_ISI_E10value_typeEPSJ_NS1_7vsmem_tEENKUlT_SH_SI_SJ_E_clISB_PiSC_SC_EESG_SW_SH_SI_SJ_EUlSW_E1_NS1_11comp_targetILNS1_3genE2ELNS1_11target_archE906ELNS1_3gpuE6ELNS1_3repE0EEENS1_36merge_oddeven_config_static_selectorELNS0_4arch9wavefront6targetE0EEEvSI_
		.amdhsa_group_segment_fixed_size 0
		.amdhsa_private_segment_fixed_size 0
		.amdhsa_kernarg_size 48
		.amdhsa_user_sgpr_count 6
		.amdhsa_user_sgpr_private_segment_buffer 1
		.amdhsa_user_sgpr_dispatch_ptr 0
		.amdhsa_user_sgpr_queue_ptr 0
		.amdhsa_user_sgpr_kernarg_segment_ptr 1
		.amdhsa_user_sgpr_dispatch_id 0
		.amdhsa_user_sgpr_flat_scratch_init 0
		.amdhsa_user_sgpr_private_segment_size 0
		.amdhsa_wavefront_size32 1
		.amdhsa_uses_dynamic_stack 0
		.amdhsa_system_sgpr_private_segment_wavefront_offset 0
		.amdhsa_system_sgpr_workgroup_id_x 1
		.amdhsa_system_sgpr_workgroup_id_y 0
		.amdhsa_system_sgpr_workgroup_id_z 0
		.amdhsa_system_sgpr_workgroup_info 0
		.amdhsa_system_vgpr_workitem_id 0
		.amdhsa_next_free_vgpr 1
		.amdhsa_next_free_sgpr 1
		.amdhsa_reserve_vcc 0
		.amdhsa_reserve_flat_scratch 0
		.amdhsa_float_round_mode_32 0
		.amdhsa_float_round_mode_16_64 0
		.amdhsa_float_denorm_mode_32 3
		.amdhsa_float_denorm_mode_16_64 3
		.amdhsa_dx10_clamp 1
		.amdhsa_ieee_mode 1
		.amdhsa_fp16_overflow 0
		.amdhsa_workgroup_processor_mode 1
		.amdhsa_memory_ordered 1
		.amdhsa_forward_progress 1
		.amdhsa_shared_vgpr_count 0
		.amdhsa_exception_fp_ieee_invalid_op 0
		.amdhsa_exception_fp_denorm_src 0
		.amdhsa_exception_fp_ieee_div_zero 0
		.amdhsa_exception_fp_ieee_overflow 0
		.amdhsa_exception_fp_ieee_underflow 0
		.amdhsa_exception_fp_ieee_inexact 0
		.amdhsa_exception_int_div_zero 0
	.end_amdhsa_kernel
	.section	.text._ZN7rocprim17ROCPRIM_400000_NS6detail17trampoline_kernelINS0_14default_configENS1_38merge_sort_block_merge_config_selectorIiNS0_10empty_typeEEEZZNS1_27merge_sort_block_merge_implIS3_N6thrust23THRUST_200600_302600_NS10device_ptrIiEEPS5_jNS1_19radix_merge_compareILb0ELb1EiNS0_19identity_decomposerEEEEE10hipError_tT0_T1_T2_jT3_P12ihipStream_tbPNSt15iterator_traitsISH_E10value_typeEPNSN_ISI_E10value_typeEPSJ_NS1_7vsmem_tEENKUlT_SH_SI_SJ_E_clISB_PiSC_SC_EESG_SW_SH_SI_SJ_EUlSW_E1_NS1_11comp_targetILNS1_3genE2ELNS1_11target_archE906ELNS1_3gpuE6ELNS1_3repE0EEENS1_36merge_oddeven_config_static_selectorELNS0_4arch9wavefront6targetE0EEEvSI_,"axG",@progbits,_ZN7rocprim17ROCPRIM_400000_NS6detail17trampoline_kernelINS0_14default_configENS1_38merge_sort_block_merge_config_selectorIiNS0_10empty_typeEEEZZNS1_27merge_sort_block_merge_implIS3_N6thrust23THRUST_200600_302600_NS10device_ptrIiEEPS5_jNS1_19radix_merge_compareILb0ELb1EiNS0_19identity_decomposerEEEEE10hipError_tT0_T1_T2_jT3_P12ihipStream_tbPNSt15iterator_traitsISH_E10value_typeEPNSN_ISI_E10value_typeEPSJ_NS1_7vsmem_tEENKUlT_SH_SI_SJ_E_clISB_PiSC_SC_EESG_SW_SH_SI_SJ_EUlSW_E1_NS1_11comp_targetILNS1_3genE2ELNS1_11target_archE906ELNS1_3gpuE6ELNS1_3repE0EEENS1_36merge_oddeven_config_static_selectorELNS0_4arch9wavefront6targetE0EEEvSI_,comdat
.Lfunc_end1214:
	.size	_ZN7rocprim17ROCPRIM_400000_NS6detail17trampoline_kernelINS0_14default_configENS1_38merge_sort_block_merge_config_selectorIiNS0_10empty_typeEEEZZNS1_27merge_sort_block_merge_implIS3_N6thrust23THRUST_200600_302600_NS10device_ptrIiEEPS5_jNS1_19radix_merge_compareILb0ELb1EiNS0_19identity_decomposerEEEEE10hipError_tT0_T1_T2_jT3_P12ihipStream_tbPNSt15iterator_traitsISH_E10value_typeEPNSN_ISI_E10value_typeEPSJ_NS1_7vsmem_tEENKUlT_SH_SI_SJ_E_clISB_PiSC_SC_EESG_SW_SH_SI_SJ_EUlSW_E1_NS1_11comp_targetILNS1_3genE2ELNS1_11target_archE906ELNS1_3gpuE6ELNS1_3repE0EEENS1_36merge_oddeven_config_static_selectorELNS0_4arch9wavefront6targetE0EEEvSI_, .Lfunc_end1214-_ZN7rocprim17ROCPRIM_400000_NS6detail17trampoline_kernelINS0_14default_configENS1_38merge_sort_block_merge_config_selectorIiNS0_10empty_typeEEEZZNS1_27merge_sort_block_merge_implIS3_N6thrust23THRUST_200600_302600_NS10device_ptrIiEEPS5_jNS1_19radix_merge_compareILb0ELb1EiNS0_19identity_decomposerEEEEE10hipError_tT0_T1_T2_jT3_P12ihipStream_tbPNSt15iterator_traitsISH_E10value_typeEPNSN_ISI_E10value_typeEPSJ_NS1_7vsmem_tEENKUlT_SH_SI_SJ_E_clISB_PiSC_SC_EESG_SW_SH_SI_SJ_EUlSW_E1_NS1_11comp_targetILNS1_3genE2ELNS1_11target_archE906ELNS1_3gpuE6ELNS1_3repE0EEENS1_36merge_oddeven_config_static_selectorELNS0_4arch9wavefront6targetE0EEEvSI_
                                        ; -- End function
	.set _ZN7rocprim17ROCPRIM_400000_NS6detail17trampoline_kernelINS0_14default_configENS1_38merge_sort_block_merge_config_selectorIiNS0_10empty_typeEEEZZNS1_27merge_sort_block_merge_implIS3_N6thrust23THRUST_200600_302600_NS10device_ptrIiEEPS5_jNS1_19radix_merge_compareILb0ELb1EiNS0_19identity_decomposerEEEEE10hipError_tT0_T1_T2_jT3_P12ihipStream_tbPNSt15iterator_traitsISH_E10value_typeEPNSN_ISI_E10value_typeEPSJ_NS1_7vsmem_tEENKUlT_SH_SI_SJ_E_clISB_PiSC_SC_EESG_SW_SH_SI_SJ_EUlSW_E1_NS1_11comp_targetILNS1_3genE2ELNS1_11target_archE906ELNS1_3gpuE6ELNS1_3repE0EEENS1_36merge_oddeven_config_static_selectorELNS0_4arch9wavefront6targetE0EEEvSI_.num_vgpr, 0
	.set _ZN7rocprim17ROCPRIM_400000_NS6detail17trampoline_kernelINS0_14default_configENS1_38merge_sort_block_merge_config_selectorIiNS0_10empty_typeEEEZZNS1_27merge_sort_block_merge_implIS3_N6thrust23THRUST_200600_302600_NS10device_ptrIiEEPS5_jNS1_19radix_merge_compareILb0ELb1EiNS0_19identity_decomposerEEEEE10hipError_tT0_T1_T2_jT3_P12ihipStream_tbPNSt15iterator_traitsISH_E10value_typeEPNSN_ISI_E10value_typeEPSJ_NS1_7vsmem_tEENKUlT_SH_SI_SJ_E_clISB_PiSC_SC_EESG_SW_SH_SI_SJ_EUlSW_E1_NS1_11comp_targetILNS1_3genE2ELNS1_11target_archE906ELNS1_3gpuE6ELNS1_3repE0EEENS1_36merge_oddeven_config_static_selectorELNS0_4arch9wavefront6targetE0EEEvSI_.num_agpr, 0
	.set _ZN7rocprim17ROCPRIM_400000_NS6detail17trampoline_kernelINS0_14default_configENS1_38merge_sort_block_merge_config_selectorIiNS0_10empty_typeEEEZZNS1_27merge_sort_block_merge_implIS3_N6thrust23THRUST_200600_302600_NS10device_ptrIiEEPS5_jNS1_19radix_merge_compareILb0ELb1EiNS0_19identity_decomposerEEEEE10hipError_tT0_T1_T2_jT3_P12ihipStream_tbPNSt15iterator_traitsISH_E10value_typeEPNSN_ISI_E10value_typeEPSJ_NS1_7vsmem_tEENKUlT_SH_SI_SJ_E_clISB_PiSC_SC_EESG_SW_SH_SI_SJ_EUlSW_E1_NS1_11comp_targetILNS1_3genE2ELNS1_11target_archE906ELNS1_3gpuE6ELNS1_3repE0EEENS1_36merge_oddeven_config_static_selectorELNS0_4arch9wavefront6targetE0EEEvSI_.numbered_sgpr, 0
	.set _ZN7rocprim17ROCPRIM_400000_NS6detail17trampoline_kernelINS0_14default_configENS1_38merge_sort_block_merge_config_selectorIiNS0_10empty_typeEEEZZNS1_27merge_sort_block_merge_implIS3_N6thrust23THRUST_200600_302600_NS10device_ptrIiEEPS5_jNS1_19radix_merge_compareILb0ELb1EiNS0_19identity_decomposerEEEEE10hipError_tT0_T1_T2_jT3_P12ihipStream_tbPNSt15iterator_traitsISH_E10value_typeEPNSN_ISI_E10value_typeEPSJ_NS1_7vsmem_tEENKUlT_SH_SI_SJ_E_clISB_PiSC_SC_EESG_SW_SH_SI_SJ_EUlSW_E1_NS1_11comp_targetILNS1_3genE2ELNS1_11target_archE906ELNS1_3gpuE6ELNS1_3repE0EEENS1_36merge_oddeven_config_static_selectorELNS0_4arch9wavefront6targetE0EEEvSI_.num_named_barrier, 0
	.set _ZN7rocprim17ROCPRIM_400000_NS6detail17trampoline_kernelINS0_14default_configENS1_38merge_sort_block_merge_config_selectorIiNS0_10empty_typeEEEZZNS1_27merge_sort_block_merge_implIS3_N6thrust23THRUST_200600_302600_NS10device_ptrIiEEPS5_jNS1_19radix_merge_compareILb0ELb1EiNS0_19identity_decomposerEEEEE10hipError_tT0_T1_T2_jT3_P12ihipStream_tbPNSt15iterator_traitsISH_E10value_typeEPNSN_ISI_E10value_typeEPSJ_NS1_7vsmem_tEENKUlT_SH_SI_SJ_E_clISB_PiSC_SC_EESG_SW_SH_SI_SJ_EUlSW_E1_NS1_11comp_targetILNS1_3genE2ELNS1_11target_archE906ELNS1_3gpuE6ELNS1_3repE0EEENS1_36merge_oddeven_config_static_selectorELNS0_4arch9wavefront6targetE0EEEvSI_.private_seg_size, 0
	.set _ZN7rocprim17ROCPRIM_400000_NS6detail17trampoline_kernelINS0_14default_configENS1_38merge_sort_block_merge_config_selectorIiNS0_10empty_typeEEEZZNS1_27merge_sort_block_merge_implIS3_N6thrust23THRUST_200600_302600_NS10device_ptrIiEEPS5_jNS1_19radix_merge_compareILb0ELb1EiNS0_19identity_decomposerEEEEE10hipError_tT0_T1_T2_jT3_P12ihipStream_tbPNSt15iterator_traitsISH_E10value_typeEPNSN_ISI_E10value_typeEPSJ_NS1_7vsmem_tEENKUlT_SH_SI_SJ_E_clISB_PiSC_SC_EESG_SW_SH_SI_SJ_EUlSW_E1_NS1_11comp_targetILNS1_3genE2ELNS1_11target_archE906ELNS1_3gpuE6ELNS1_3repE0EEENS1_36merge_oddeven_config_static_selectorELNS0_4arch9wavefront6targetE0EEEvSI_.uses_vcc, 0
	.set _ZN7rocprim17ROCPRIM_400000_NS6detail17trampoline_kernelINS0_14default_configENS1_38merge_sort_block_merge_config_selectorIiNS0_10empty_typeEEEZZNS1_27merge_sort_block_merge_implIS3_N6thrust23THRUST_200600_302600_NS10device_ptrIiEEPS5_jNS1_19radix_merge_compareILb0ELb1EiNS0_19identity_decomposerEEEEE10hipError_tT0_T1_T2_jT3_P12ihipStream_tbPNSt15iterator_traitsISH_E10value_typeEPNSN_ISI_E10value_typeEPSJ_NS1_7vsmem_tEENKUlT_SH_SI_SJ_E_clISB_PiSC_SC_EESG_SW_SH_SI_SJ_EUlSW_E1_NS1_11comp_targetILNS1_3genE2ELNS1_11target_archE906ELNS1_3gpuE6ELNS1_3repE0EEENS1_36merge_oddeven_config_static_selectorELNS0_4arch9wavefront6targetE0EEEvSI_.uses_flat_scratch, 0
	.set _ZN7rocprim17ROCPRIM_400000_NS6detail17trampoline_kernelINS0_14default_configENS1_38merge_sort_block_merge_config_selectorIiNS0_10empty_typeEEEZZNS1_27merge_sort_block_merge_implIS3_N6thrust23THRUST_200600_302600_NS10device_ptrIiEEPS5_jNS1_19radix_merge_compareILb0ELb1EiNS0_19identity_decomposerEEEEE10hipError_tT0_T1_T2_jT3_P12ihipStream_tbPNSt15iterator_traitsISH_E10value_typeEPNSN_ISI_E10value_typeEPSJ_NS1_7vsmem_tEENKUlT_SH_SI_SJ_E_clISB_PiSC_SC_EESG_SW_SH_SI_SJ_EUlSW_E1_NS1_11comp_targetILNS1_3genE2ELNS1_11target_archE906ELNS1_3gpuE6ELNS1_3repE0EEENS1_36merge_oddeven_config_static_selectorELNS0_4arch9wavefront6targetE0EEEvSI_.has_dyn_sized_stack, 0
	.set _ZN7rocprim17ROCPRIM_400000_NS6detail17trampoline_kernelINS0_14default_configENS1_38merge_sort_block_merge_config_selectorIiNS0_10empty_typeEEEZZNS1_27merge_sort_block_merge_implIS3_N6thrust23THRUST_200600_302600_NS10device_ptrIiEEPS5_jNS1_19radix_merge_compareILb0ELb1EiNS0_19identity_decomposerEEEEE10hipError_tT0_T1_T2_jT3_P12ihipStream_tbPNSt15iterator_traitsISH_E10value_typeEPNSN_ISI_E10value_typeEPSJ_NS1_7vsmem_tEENKUlT_SH_SI_SJ_E_clISB_PiSC_SC_EESG_SW_SH_SI_SJ_EUlSW_E1_NS1_11comp_targetILNS1_3genE2ELNS1_11target_archE906ELNS1_3gpuE6ELNS1_3repE0EEENS1_36merge_oddeven_config_static_selectorELNS0_4arch9wavefront6targetE0EEEvSI_.has_recursion, 0
	.set _ZN7rocprim17ROCPRIM_400000_NS6detail17trampoline_kernelINS0_14default_configENS1_38merge_sort_block_merge_config_selectorIiNS0_10empty_typeEEEZZNS1_27merge_sort_block_merge_implIS3_N6thrust23THRUST_200600_302600_NS10device_ptrIiEEPS5_jNS1_19radix_merge_compareILb0ELb1EiNS0_19identity_decomposerEEEEE10hipError_tT0_T1_T2_jT3_P12ihipStream_tbPNSt15iterator_traitsISH_E10value_typeEPNSN_ISI_E10value_typeEPSJ_NS1_7vsmem_tEENKUlT_SH_SI_SJ_E_clISB_PiSC_SC_EESG_SW_SH_SI_SJ_EUlSW_E1_NS1_11comp_targetILNS1_3genE2ELNS1_11target_archE906ELNS1_3gpuE6ELNS1_3repE0EEENS1_36merge_oddeven_config_static_selectorELNS0_4arch9wavefront6targetE0EEEvSI_.has_indirect_call, 0
	.section	.AMDGPU.csdata,"",@progbits
; Kernel info:
; codeLenInByte = 0
; TotalNumSgprs: 0
; NumVgprs: 0
; ScratchSize: 0
; MemoryBound: 0
; FloatMode: 240
; IeeeMode: 1
; LDSByteSize: 0 bytes/workgroup (compile time only)
; SGPRBlocks: 0
; VGPRBlocks: 0
; NumSGPRsForWavesPerEU: 1
; NumVGPRsForWavesPerEU: 1
; Occupancy: 16
; WaveLimiterHint : 0
; COMPUTE_PGM_RSRC2:SCRATCH_EN: 0
; COMPUTE_PGM_RSRC2:USER_SGPR: 6
; COMPUTE_PGM_RSRC2:TRAP_HANDLER: 0
; COMPUTE_PGM_RSRC2:TGID_X_EN: 1
; COMPUTE_PGM_RSRC2:TGID_Y_EN: 0
; COMPUTE_PGM_RSRC2:TGID_Z_EN: 0
; COMPUTE_PGM_RSRC2:TIDIG_COMP_CNT: 0
	.section	.text._ZN7rocprim17ROCPRIM_400000_NS6detail17trampoline_kernelINS0_14default_configENS1_38merge_sort_block_merge_config_selectorIiNS0_10empty_typeEEEZZNS1_27merge_sort_block_merge_implIS3_N6thrust23THRUST_200600_302600_NS10device_ptrIiEEPS5_jNS1_19radix_merge_compareILb0ELb1EiNS0_19identity_decomposerEEEEE10hipError_tT0_T1_T2_jT3_P12ihipStream_tbPNSt15iterator_traitsISH_E10value_typeEPNSN_ISI_E10value_typeEPSJ_NS1_7vsmem_tEENKUlT_SH_SI_SJ_E_clISB_PiSC_SC_EESG_SW_SH_SI_SJ_EUlSW_E1_NS1_11comp_targetILNS1_3genE9ELNS1_11target_archE1100ELNS1_3gpuE3ELNS1_3repE0EEENS1_36merge_oddeven_config_static_selectorELNS0_4arch9wavefront6targetE0EEEvSI_,"axG",@progbits,_ZN7rocprim17ROCPRIM_400000_NS6detail17trampoline_kernelINS0_14default_configENS1_38merge_sort_block_merge_config_selectorIiNS0_10empty_typeEEEZZNS1_27merge_sort_block_merge_implIS3_N6thrust23THRUST_200600_302600_NS10device_ptrIiEEPS5_jNS1_19radix_merge_compareILb0ELb1EiNS0_19identity_decomposerEEEEE10hipError_tT0_T1_T2_jT3_P12ihipStream_tbPNSt15iterator_traitsISH_E10value_typeEPNSN_ISI_E10value_typeEPSJ_NS1_7vsmem_tEENKUlT_SH_SI_SJ_E_clISB_PiSC_SC_EESG_SW_SH_SI_SJ_EUlSW_E1_NS1_11comp_targetILNS1_3genE9ELNS1_11target_archE1100ELNS1_3gpuE3ELNS1_3repE0EEENS1_36merge_oddeven_config_static_selectorELNS0_4arch9wavefront6targetE0EEEvSI_,comdat
	.protected	_ZN7rocprim17ROCPRIM_400000_NS6detail17trampoline_kernelINS0_14default_configENS1_38merge_sort_block_merge_config_selectorIiNS0_10empty_typeEEEZZNS1_27merge_sort_block_merge_implIS3_N6thrust23THRUST_200600_302600_NS10device_ptrIiEEPS5_jNS1_19radix_merge_compareILb0ELb1EiNS0_19identity_decomposerEEEEE10hipError_tT0_T1_T2_jT3_P12ihipStream_tbPNSt15iterator_traitsISH_E10value_typeEPNSN_ISI_E10value_typeEPSJ_NS1_7vsmem_tEENKUlT_SH_SI_SJ_E_clISB_PiSC_SC_EESG_SW_SH_SI_SJ_EUlSW_E1_NS1_11comp_targetILNS1_3genE9ELNS1_11target_archE1100ELNS1_3gpuE3ELNS1_3repE0EEENS1_36merge_oddeven_config_static_selectorELNS0_4arch9wavefront6targetE0EEEvSI_ ; -- Begin function _ZN7rocprim17ROCPRIM_400000_NS6detail17trampoline_kernelINS0_14default_configENS1_38merge_sort_block_merge_config_selectorIiNS0_10empty_typeEEEZZNS1_27merge_sort_block_merge_implIS3_N6thrust23THRUST_200600_302600_NS10device_ptrIiEEPS5_jNS1_19radix_merge_compareILb0ELb1EiNS0_19identity_decomposerEEEEE10hipError_tT0_T1_T2_jT3_P12ihipStream_tbPNSt15iterator_traitsISH_E10value_typeEPNSN_ISI_E10value_typeEPSJ_NS1_7vsmem_tEENKUlT_SH_SI_SJ_E_clISB_PiSC_SC_EESG_SW_SH_SI_SJ_EUlSW_E1_NS1_11comp_targetILNS1_3genE9ELNS1_11target_archE1100ELNS1_3gpuE3ELNS1_3repE0EEENS1_36merge_oddeven_config_static_selectorELNS0_4arch9wavefront6targetE0EEEvSI_
	.globl	_ZN7rocprim17ROCPRIM_400000_NS6detail17trampoline_kernelINS0_14default_configENS1_38merge_sort_block_merge_config_selectorIiNS0_10empty_typeEEEZZNS1_27merge_sort_block_merge_implIS3_N6thrust23THRUST_200600_302600_NS10device_ptrIiEEPS5_jNS1_19radix_merge_compareILb0ELb1EiNS0_19identity_decomposerEEEEE10hipError_tT0_T1_T2_jT3_P12ihipStream_tbPNSt15iterator_traitsISH_E10value_typeEPNSN_ISI_E10value_typeEPSJ_NS1_7vsmem_tEENKUlT_SH_SI_SJ_E_clISB_PiSC_SC_EESG_SW_SH_SI_SJ_EUlSW_E1_NS1_11comp_targetILNS1_3genE9ELNS1_11target_archE1100ELNS1_3gpuE3ELNS1_3repE0EEENS1_36merge_oddeven_config_static_selectorELNS0_4arch9wavefront6targetE0EEEvSI_
	.p2align	8
	.type	_ZN7rocprim17ROCPRIM_400000_NS6detail17trampoline_kernelINS0_14default_configENS1_38merge_sort_block_merge_config_selectorIiNS0_10empty_typeEEEZZNS1_27merge_sort_block_merge_implIS3_N6thrust23THRUST_200600_302600_NS10device_ptrIiEEPS5_jNS1_19radix_merge_compareILb0ELb1EiNS0_19identity_decomposerEEEEE10hipError_tT0_T1_T2_jT3_P12ihipStream_tbPNSt15iterator_traitsISH_E10value_typeEPNSN_ISI_E10value_typeEPSJ_NS1_7vsmem_tEENKUlT_SH_SI_SJ_E_clISB_PiSC_SC_EESG_SW_SH_SI_SJ_EUlSW_E1_NS1_11comp_targetILNS1_3genE9ELNS1_11target_archE1100ELNS1_3gpuE3ELNS1_3repE0EEENS1_36merge_oddeven_config_static_selectorELNS0_4arch9wavefront6targetE0EEEvSI_,@function
_ZN7rocprim17ROCPRIM_400000_NS6detail17trampoline_kernelINS0_14default_configENS1_38merge_sort_block_merge_config_selectorIiNS0_10empty_typeEEEZZNS1_27merge_sort_block_merge_implIS3_N6thrust23THRUST_200600_302600_NS10device_ptrIiEEPS5_jNS1_19radix_merge_compareILb0ELb1EiNS0_19identity_decomposerEEEEE10hipError_tT0_T1_T2_jT3_P12ihipStream_tbPNSt15iterator_traitsISH_E10value_typeEPNSN_ISI_E10value_typeEPSJ_NS1_7vsmem_tEENKUlT_SH_SI_SJ_E_clISB_PiSC_SC_EESG_SW_SH_SI_SJ_EUlSW_E1_NS1_11comp_targetILNS1_3genE9ELNS1_11target_archE1100ELNS1_3gpuE3ELNS1_3repE0EEENS1_36merge_oddeven_config_static_selectorELNS0_4arch9wavefront6targetE0EEEvSI_: ; @_ZN7rocprim17ROCPRIM_400000_NS6detail17trampoline_kernelINS0_14default_configENS1_38merge_sort_block_merge_config_selectorIiNS0_10empty_typeEEEZZNS1_27merge_sort_block_merge_implIS3_N6thrust23THRUST_200600_302600_NS10device_ptrIiEEPS5_jNS1_19radix_merge_compareILb0ELb1EiNS0_19identity_decomposerEEEEE10hipError_tT0_T1_T2_jT3_P12ihipStream_tbPNSt15iterator_traitsISH_E10value_typeEPNSN_ISI_E10value_typeEPSJ_NS1_7vsmem_tEENKUlT_SH_SI_SJ_E_clISB_PiSC_SC_EESG_SW_SH_SI_SJ_EUlSW_E1_NS1_11comp_targetILNS1_3genE9ELNS1_11target_archE1100ELNS1_3gpuE3ELNS1_3repE0EEENS1_36merge_oddeven_config_static_selectorELNS0_4arch9wavefront6targetE0EEEvSI_
; %bb.0:
	.section	.rodata,"a",@progbits
	.p2align	6, 0x0
	.amdhsa_kernel _ZN7rocprim17ROCPRIM_400000_NS6detail17trampoline_kernelINS0_14default_configENS1_38merge_sort_block_merge_config_selectorIiNS0_10empty_typeEEEZZNS1_27merge_sort_block_merge_implIS3_N6thrust23THRUST_200600_302600_NS10device_ptrIiEEPS5_jNS1_19radix_merge_compareILb0ELb1EiNS0_19identity_decomposerEEEEE10hipError_tT0_T1_T2_jT3_P12ihipStream_tbPNSt15iterator_traitsISH_E10value_typeEPNSN_ISI_E10value_typeEPSJ_NS1_7vsmem_tEENKUlT_SH_SI_SJ_E_clISB_PiSC_SC_EESG_SW_SH_SI_SJ_EUlSW_E1_NS1_11comp_targetILNS1_3genE9ELNS1_11target_archE1100ELNS1_3gpuE3ELNS1_3repE0EEENS1_36merge_oddeven_config_static_selectorELNS0_4arch9wavefront6targetE0EEEvSI_
		.amdhsa_group_segment_fixed_size 0
		.amdhsa_private_segment_fixed_size 0
		.amdhsa_kernarg_size 48
		.amdhsa_user_sgpr_count 6
		.amdhsa_user_sgpr_private_segment_buffer 1
		.amdhsa_user_sgpr_dispatch_ptr 0
		.amdhsa_user_sgpr_queue_ptr 0
		.amdhsa_user_sgpr_kernarg_segment_ptr 1
		.amdhsa_user_sgpr_dispatch_id 0
		.amdhsa_user_sgpr_flat_scratch_init 0
		.amdhsa_user_sgpr_private_segment_size 0
		.amdhsa_wavefront_size32 1
		.amdhsa_uses_dynamic_stack 0
		.amdhsa_system_sgpr_private_segment_wavefront_offset 0
		.amdhsa_system_sgpr_workgroup_id_x 1
		.amdhsa_system_sgpr_workgroup_id_y 0
		.amdhsa_system_sgpr_workgroup_id_z 0
		.amdhsa_system_sgpr_workgroup_info 0
		.amdhsa_system_vgpr_workitem_id 0
		.amdhsa_next_free_vgpr 1
		.amdhsa_next_free_sgpr 1
		.amdhsa_reserve_vcc 0
		.amdhsa_reserve_flat_scratch 0
		.amdhsa_float_round_mode_32 0
		.amdhsa_float_round_mode_16_64 0
		.amdhsa_float_denorm_mode_32 3
		.amdhsa_float_denorm_mode_16_64 3
		.amdhsa_dx10_clamp 1
		.amdhsa_ieee_mode 1
		.amdhsa_fp16_overflow 0
		.amdhsa_workgroup_processor_mode 1
		.amdhsa_memory_ordered 1
		.amdhsa_forward_progress 1
		.amdhsa_shared_vgpr_count 0
		.amdhsa_exception_fp_ieee_invalid_op 0
		.amdhsa_exception_fp_denorm_src 0
		.amdhsa_exception_fp_ieee_div_zero 0
		.amdhsa_exception_fp_ieee_overflow 0
		.amdhsa_exception_fp_ieee_underflow 0
		.amdhsa_exception_fp_ieee_inexact 0
		.amdhsa_exception_int_div_zero 0
	.end_amdhsa_kernel
	.section	.text._ZN7rocprim17ROCPRIM_400000_NS6detail17trampoline_kernelINS0_14default_configENS1_38merge_sort_block_merge_config_selectorIiNS0_10empty_typeEEEZZNS1_27merge_sort_block_merge_implIS3_N6thrust23THRUST_200600_302600_NS10device_ptrIiEEPS5_jNS1_19radix_merge_compareILb0ELb1EiNS0_19identity_decomposerEEEEE10hipError_tT0_T1_T2_jT3_P12ihipStream_tbPNSt15iterator_traitsISH_E10value_typeEPNSN_ISI_E10value_typeEPSJ_NS1_7vsmem_tEENKUlT_SH_SI_SJ_E_clISB_PiSC_SC_EESG_SW_SH_SI_SJ_EUlSW_E1_NS1_11comp_targetILNS1_3genE9ELNS1_11target_archE1100ELNS1_3gpuE3ELNS1_3repE0EEENS1_36merge_oddeven_config_static_selectorELNS0_4arch9wavefront6targetE0EEEvSI_,"axG",@progbits,_ZN7rocprim17ROCPRIM_400000_NS6detail17trampoline_kernelINS0_14default_configENS1_38merge_sort_block_merge_config_selectorIiNS0_10empty_typeEEEZZNS1_27merge_sort_block_merge_implIS3_N6thrust23THRUST_200600_302600_NS10device_ptrIiEEPS5_jNS1_19radix_merge_compareILb0ELb1EiNS0_19identity_decomposerEEEEE10hipError_tT0_T1_T2_jT3_P12ihipStream_tbPNSt15iterator_traitsISH_E10value_typeEPNSN_ISI_E10value_typeEPSJ_NS1_7vsmem_tEENKUlT_SH_SI_SJ_E_clISB_PiSC_SC_EESG_SW_SH_SI_SJ_EUlSW_E1_NS1_11comp_targetILNS1_3genE9ELNS1_11target_archE1100ELNS1_3gpuE3ELNS1_3repE0EEENS1_36merge_oddeven_config_static_selectorELNS0_4arch9wavefront6targetE0EEEvSI_,comdat
.Lfunc_end1215:
	.size	_ZN7rocprim17ROCPRIM_400000_NS6detail17trampoline_kernelINS0_14default_configENS1_38merge_sort_block_merge_config_selectorIiNS0_10empty_typeEEEZZNS1_27merge_sort_block_merge_implIS3_N6thrust23THRUST_200600_302600_NS10device_ptrIiEEPS5_jNS1_19radix_merge_compareILb0ELb1EiNS0_19identity_decomposerEEEEE10hipError_tT0_T1_T2_jT3_P12ihipStream_tbPNSt15iterator_traitsISH_E10value_typeEPNSN_ISI_E10value_typeEPSJ_NS1_7vsmem_tEENKUlT_SH_SI_SJ_E_clISB_PiSC_SC_EESG_SW_SH_SI_SJ_EUlSW_E1_NS1_11comp_targetILNS1_3genE9ELNS1_11target_archE1100ELNS1_3gpuE3ELNS1_3repE0EEENS1_36merge_oddeven_config_static_selectorELNS0_4arch9wavefront6targetE0EEEvSI_, .Lfunc_end1215-_ZN7rocprim17ROCPRIM_400000_NS6detail17trampoline_kernelINS0_14default_configENS1_38merge_sort_block_merge_config_selectorIiNS0_10empty_typeEEEZZNS1_27merge_sort_block_merge_implIS3_N6thrust23THRUST_200600_302600_NS10device_ptrIiEEPS5_jNS1_19radix_merge_compareILb0ELb1EiNS0_19identity_decomposerEEEEE10hipError_tT0_T1_T2_jT3_P12ihipStream_tbPNSt15iterator_traitsISH_E10value_typeEPNSN_ISI_E10value_typeEPSJ_NS1_7vsmem_tEENKUlT_SH_SI_SJ_E_clISB_PiSC_SC_EESG_SW_SH_SI_SJ_EUlSW_E1_NS1_11comp_targetILNS1_3genE9ELNS1_11target_archE1100ELNS1_3gpuE3ELNS1_3repE0EEENS1_36merge_oddeven_config_static_selectorELNS0_4arch9wavefront6targetE0EEEvSI_
                                        ; -- End function
	.set _ZN7rocprim17ROCPRIM_400000_NS6detail17trampoline_kernelINS0_14default_configENS1_38merge_sort_block_merge_config_selectorIiNS0_10empty_typeEEEZZNS1_27merge_sort_block_merge_implIS3_N6thrust23THRUST_200600_302600_NS10device_ptrIiEEPS5_jNS1_19radix_merge_compareILb0ELb1EiNS0_19identity_decomposerEEEEE10hipError_tT0_T1_T2_jT3_P12ihipStream_tbPNSt15iterator_traitsISH_E10value_typeEPNSN_ISI_E10value_typeEPSJ_NS1_7vsmem_tEENKUlT_SH_SI_SJ_E_clISB_PiSC_SC_EESG_SW_SH_SI_SJ_EUlSW_E1_NS1_11comp_targetILNS1_3genE9ELNS1_11target_archE1100ELNS1_3gpuE3ELNS1_3repE0EEENS1_36merge_oddeven_config_static_selectorELNS0_4arch9wavefront6targetE0EEEvSI_.num_vgpr, 0
	.set _ZN7rocprim17ROCPRIM_400000_NS6detail17trampoline_kernelINS0_14default_configENS1_38merge_sort_block_merge_config_selectorIiNS0_10empty_typeEEEZZNS1_27merge_sort_block_merge_implIS3_N6thrust23THRUST_200600_302600_NS10device_ptrIiEEPS5_jNS1_19radix_merge_compareILb0ELb1EiNS0_19identity_decomposerEEEEE10hipError_tT0_T1_T2_jT3_P12ihipStream_tbPNSt15iterator_traitsISH_E10value_typeEPNSN_ISI_E10value_typeEPSJ_NS1_7vsmem_tEENKUlT_SH_SI_SJ_E_clISB_PiSC_SC_EESG_SW_SH_SI_SJ_EUlSW_E1_NS1_11comp_targetILNS1_3genE9ELNS1_11target_archE1100ELNS1_3gpuE3ELNS1_3repE0EEENS1_36merge_oddeven_config_static_selectorELNS0_4arch9wavefront6targetE0EEEvSI_.num_agpr, 0
	.set _ZN7rocprim17ROCPRIM_400000_NS6detail17trampoline_kernelINS0_14default_configENS1_38merge_sort_block_merge_config_selectorIiNS0_10empty_typeEEEZZNS1_27merge_sort_block_merge_implIS3_N6thrust23THRUST_200600_302600_NS10device_ptrIiEEPS5_jNS1_19radix_merge_compareILb0ELb1EiNS0_19identity_decomposerEEEEE10hipError_tT0_T1_T2_jT3_P12ihipStream_tbPNSt15iterator_traitsISH_E10value_typeEPNSN_ISI_E10value_typeEPSJ_NS1_7vsmem_tEENKUlT_SH_SI_SJ_E_clISB_PiSC_SC_EESG_SW_SH_SI_SJ_EUlSW_E1_NS1_11comp_targetILNS1_3genE9ELNS1_11target_archE1100ELNS1_3gpuE3ELNS1_3repE0EEENS1_36merge_oddeven_config_static_selectorELNS0_4arch9wavefront6targetE0EEEvSI_.numbered_sgpr, 0
	.set _ZN7rocprim17ROCPRIM_400000_NS6detail17trampoline_kernelINS0_14default_configENS1_38merge_sort_block_merge_config_selectorIiNS0_10empty_typeEEEZZNS1_27merge_sort_block_merge_implIS3_N6thrust23THRUST_200600_302600_NS10device_ptrIiEEPS5_jNS1_19radix_merge_compareILb0ELb1EiNS0_19identity_decomposerEEEEE10hipError_tT0_T1_T2_jT3_P12ihipStream_tbPNSt15iterator_traitsISH_E10value_typeEPNSN_ISI_E10value_typeEPSJ_NS1_7vsmem_tEENKUlT_SH_SI_SJ_E_clISB_PiSC_SC_EESG_SW_SH_SI_SJ_EUlSW_E1_NS1_11comp_targetILNS1_3genE9ELNS1_11target_archE1100ELNS1_3gpuE3ELNS1_3repE0EEENS1_36merge_oddeven_config_static_selectorELNS0_4arch9wavefront6targetE0EEEvSI_.num_named_barrier, 0
	.set _ZN7rocprim17ROCPRIM_400000_NS6detail17trampoline_kernelINS0_14default_configENS1_38merge_sort_block_merge_config_selectorIiNS0_10empty_typeEEEZZNS1_27merge_sort_block_merge_implIS3_N6thrust23THRUST_200600_302600_NS10device_ptrIiEEPS5_jNS1_19radix_merge_compareILb0ELb1EiNS0_19identity_decomposerEEEEE10hipError_tT0_T1_T2_jT3_P12ihipStream_tbPNSt15iterator_traitsISH_E10value_typeEPNSN_ISI_E10value_typeEPSJ_NS1_7vsmem_tEENKUlT_SH_SI_SJ_E_clISB_PiSC_SC_EESG_SW_SH_SI_SJ_EUlSW_E1_NS1_11comp_targetILNS1_3genE9ELNS1_11target_archE1100ELNS1_3gpuE3ELNS1_3repE0EEENS1_36merge_oddeven_config_static_selectorELNS0_4arch9wavefront6targetE0EEEvSI_.private_seg_size, 0
	.set _ZN7rocprim17ROCPRIM_400000_NS6detail17trampoline_kernelINS0_14default_configENS1_38merge_sort_block_merge_config_selectorIiNS0_10empty_typeEEEZZNS1_27merge_sort_block_merge_implIS3_N6thrust23THRUST_200600_302600_NS10device_ptrIiEEPS5_jNS1_19radix_merge_compareILb0ELb1EiNS0_19identity_decomposerEEEEE10hipError_tT0_T1_T2_jT3_P12ihipStream_tbPNSt15iterator_traitsISH_E10value_typeEPNSN_ISI_E10value_typeEPSJ_NS1_7vsmem_tEENKUlT_SH_SI_SJ_E_clISB_PiSC_SC_EESG_SW_SH_SI_SJ_EUlSW_E1_NS1_11comp_targetILNS1_3genE9ELNS1_11target_archE1100ELNS1_3gpuE3ELNS1_3repE0EEENS1_36merge_oddeven_config_static_selectorELNS0_4arch9wavefront6targetE0EEEvSI_.uses_vcc, 0
	.set _ZN7rocprim17ROCPRIM_400000_NS6detail17trampoline_kernelINS0_14default_configENS1_38merge_sort_block_merge_config_selectorIiNS0_10empty_typeEEEZZNS1_27merge_sort_block_merge_implIS3_N6thrust23THRUST_200600_302600_NS10device_ptrIiEEPS5_jNS1_19radix_merge_compareILb0ELb1EiNS0_19identity_decomposerEEEEE10hipError_tT0_T1_T2_jT3_P12ihipStream_tbPNSt15iterator_traitsISH_E10value_typeEPNSN_ISI_E10value_typeEPSJ_NS1_7vsmem_tEENKUlT_SH_SI_SJ_E_clISB_PiSC_SC_EESG_SW_SH_SI_SJ_EUlSW_E1_NS1_11comp_targetILNS1_3genE9ELNS1_11target_archE1100ELNS1_3gpuE3ELNS1_3repE0EEENS1_36merge_oddeven_config_static_selectorELNS0_4arch9wavefront6targetE0EEEvSI_.uses_flat_scratch, 0
	.set _ZN7rocprim17ROCPRIM_400000_NS6detail17trampoline_kernelINS0_14default_configENS1_38merge_sort_block_merge_config_selectorIiNS0_10empty_typeEEEZZNS1_27merge_sort_block_merge_implIS3_N6thrust23THRUST_200600_302600_NS10device_ptrIiEEPS5_jNS1_19radix_merge_compareILb0ELb1EiNS0_19identity_decomposerEEEEE10hipError_tT0_T1_T2_jT3_P12ihipStream_tbPNSt15iterator_traitsISH_E10value_typeEPNSN_ISI_E10value_typeEPSJ_NS1_7vsmem_tEENKUlT_SH_SI_SJ_E_clISB_PiSC_SC_EESG_SW_SH_SI_SJ_EUlSW_E1_NS1_11comp_targetILNS1_3genE9ELNS1_11target_archE1100ELNS1_3gpuE3ELNS1_3repE0EEENS1_36merge_oddeven_config_static_selectorELNS0_4arch9wavefront6targetE0EEEvSI_.has_dyn_sized_stack, 0
	.set _ZN7rocprim17ROCPRIM_400000_NS6detail17trampoline_kernelINS0_14default_configENS1_38merge_sort_block_merge_config_selectorIiNS0_10empty_typeEEEZZNS1_27merge_sort_block_merge_implIS3_N6thrust23THRUST_200600_302600_NS10device_ptrIiEEPS5_jNS1_19radix_merge_compareILb0ELb1EiNS0_19identity_decomposerEEEEE10hipError_tT0_T1_T2_jT3_P12ihipStream_tbPNSt15iterator_traitsISH_E10value_typeEPNSN_ISI_E10value_typeEPSJ_NS1_7vsmem_tEENKUlT_SH_SI_SJ_E_clISB_PiSC_SC_EESG_SW_SH_SI_SJ_EUlSW_E1_NS1_11comp_targetILNS1_3genE9ELNS1_11target_archE1100ELNS1_3gpuE3ELNS1_3repE0EEENS1_36merge_oddeven_config_static_selectorELNS0_4arch9wavefront6targetE0EEEvSI_.has_recursion, 0
	.set _ZN7rocprim17ROCPRIM_400000_NS6detail17trampoline_kernelINS0_14default_configENS1_38merge_sort_block_merge_config_selectorIiNS0_10empty_typeEEEZZNS1_27merge_sort_block_merge_implIS3_N6thrust23THRUST_200600_302600_NS10device_ptrIiEEPS5_jNS1_19radix_merge_compareILb0ELb1EiNS0_19identity_decomposerEEEEE10hipError_tT0_T1_T2_jT3_P12ihipStream_tbPNSt15iterator_traitsISH_E10value_typeEPNSN_ISI_E10value_typeEPSJ_NS1_7vsmem_tEENKUlT_SH_SI_SJ_E_clISB_PiSC_SC_EESG_SW_SH_SI_SJ_EUlSW_E1_NS1_11comp_targetILNS1_3genE9ELNS1_11target_archE1100ELNS1_3gpuE3ELNS1_3repE0EEENS1_36merge_oddeven_config_static_selectorELNS0_4arch9wavefront6targetE0EEEvSI_.has_indirect_call, 0
	.section	.AMDGPU.csdata,"",@progbits
; Kernel info:
; codeLenInByte = 0
; TotalNumSgprs: 0
; NumVgprs: 0
; ScratchSize: 0
; MemoryBound: 0
; FloatMode: 240
; IeeeMode: 1
; LDSByteSize: 0 bytes/workgroup (compile time only)
; SGPRBlocks: 0
; VGPRBlocks: 0
; NumSGPRsForWavesPerEU: 1
; NumVGPRsForWavesPerEU: 1
; Occupancy: 16
; WaveLimiterHint : 0
; COMPUTE_PGM_RSRC2:SCRATCH_EN: 0
; COMPUTE_PGM_RSRC2:USER_SGPR: 6
; COMPUTE_PGM_RSRC2:TRAP_HANDLER: 0
; COMPUTE_PGM_RSRC2:TGID_X_EN: 1
; COMPUTE_PGM_RSRC2:TGID_Y_EN: 0
; COMPUTE_PGM_RSRC2:TGID_Z_EN: 0
; COMPUTE_PGM_RSRC2:TIDIG_COMP_CNT: 0
	.section	.text._ZN7rocprim17ROCPRIM_400000_NS6detail17trampoline_kernelINS0_14default_configENS1_38merge_sort_block_merge_config_selectorIiNS0_10empty_typeEEEZZNS1_27merge_sort_block_merge_implIS3_N6thrust23THRUST_200600_302600_NS10device_ptrIiEEPS5_jNS1_19radix_merge_compareILb0ELb1EiNS0_19identity_decomposerEEEEE10hipError_tT0_T1_T2_jT3_P12ihipStream_tbPNSt15iterator_traitsISH_E10value_typeEPNSN_ISI_E10value_typeEPSJ_NS1_7vsmem_tEENKUlT_SH_SI_SJ_E_clISB_PiSC_SC_EESG_SW_SH_SI_SJ_EUlSW_E1_NS1_11comp_targetILNS1_3genE8ELNS1_11target_archE1030ELNS1_3gpuE2ELNS1_3repE0EEENS1_36merge_oddeven_config_static_selectorELNS0_4arch9wavefront6targetE0EEEvSI_,"axG",@progbits,_ZN7rocprim17ROCPRIM_400000_NS6detail17trampoline_kernelINS0_14default_configENS1_38merge_sort_block_merge_config_selectorIiNS0_10empty_typeEEEZZNS1_27merge_sort_block_merge_implIS3_N6thrust23THRUST_200600_302600_NS10device_ptrIiEEPS5_jNS1_19radix_merge_compareILb0ELb1EiNS0_19identity_decomposerEEEEE10hipError_tT0_T1_T2_jT3_P12ihipStream_tbPNSt15iterator_traitsISH_E10value_typeEPNSN_ISI_E10value_typeEPSJ_NS1_7vsmem_tEENKUlT_SH_SI_SJ_E_clISB_PiSC_SC_EESG_SW_SH_SI_SJ_EUlSW_E1_NS1_11comp_targetILNS1_3genE8ELNS1_11target_archE1030ELNS1_3gpuE2ELNS1_3repE0EEENS1_36merge_oddeven_config_static_selectorELNS0_4arch9wavefront6targetE0EEEvSI_,comdat
	.protected	_ZN7rocprim17ROCPRIM_400000_NS6detail17trampoline_kernelINS0_14default_configENS1_38merge_sort_block_merge_config_selectorIiNS0_10empty_typeEEEZZNS1_27merge_sort_block_merge_implIS3_N6thrust23THRUST_200600_302600_NS10device_ptrIiEEPS5_jNS1_19radix_merge_compareILb0ELb1EiNS0_19identity_decomposerEEEEE10hipError_tT0_T1_T2_jT3_P12ihipStream_tbPNSt15iterator_traitsISH_E10value_typeEPNSN_ISI_E10value_typeEPSJ_NS1_7vsmem_tEENKUlT_SH_SI_SJ_E_clISB_PiSC_SC_EESG_SW_SH_SI_SJ_EUlSW_E1_NS1_11comp_targetILNS1_3genE8ELNS1_11target_archE1030ELNS1_3gpuE2ELNS1_3repE0EEENS1_36merge_oddeven_config_static_selectorELNS0_4arch9wavefront6targetE0EEEvSI_ ; -- Begin function _ZN7rocprim17ROCPRIM_400000_NS6detail17trampoline_kernelINS0_14default_configENS1_38merge_sort_block_merge_config_selectorIiNS0_10empty_typeEEEZZNS1_27merge_sort_block_merge_implIS3_N6thrust23THRUST_200600_302600_NS10device_ptrIiEEPS5_jNS1_19radix_merge_compareILb0ELb1EiNS0_19identity_decomposerEEEEE10hipError_tT0_T1_T2_jT3_P12ihipStream_tbPNSt15iterator_traitsISH_E10value_typeEPNSN_ISI_E10value_typeEPSJ_NS1_7vsmem_tEENKUlT_SH_SI_SJ_E_clISB_PiSC_SC_EESG_SW_SH_SI_SJ_EUlSW_E1_NS1_11comp_targetILNS1_3genE8ELNS1_11target_archE1030ELNS1_3gpuE2ELNS1_3repE0EEENS1_36merge_oddeven_config_static_selectorELNS0_4arch9wavefront6targetE0EEEvSI_
	.globl	_ZN7rocprim17ROCPRIM_400000_NS6detail17trampoline_kernelINS0_14default_configENS1_38merge_sort_block_merge_config_selectorIiNS0_10empty_typeEEEZZNS1_27merge_sort_block_merge_implIS3_N6thrust23THRUST_200600_302600_NS10device_ptrIiEEPS5_jNS1_19radix_merge_compareILb0ELb1EiNS0_19identity_decomposerEEEEE10hipError_tT0_T1_T2_jT3_P12ihipStream_tbPNSt15iterator_traitsISH_E10value_typeEPNSN_ISI_E10value_typeEPSJ_NS1_7vsmem_tEENKUlT_SH_SI_SJ_E_clISB_PiSC_SC_EESG_SW_SH_SI_SJ_EUlSW_E1_NS1_11comp_targetILNS1_3genE8ELNS1_11target_archE1030ELNS1_3gpuE2ELNS1_3repE0EEENS1_36merge_oddeven_config_static_selectorELNS0_4arch9wavefront6targetE0EEEvSI_
	.p2align	8
	.type	_ZN7rocprim17ROCPRIM_400000_NS6detail17trampoline_kernelINS0_14default_configENS1_38merge_sort_block_merge_config_selectorIiNS0_10empty_typeEEEZZNS1_27merge_sort_block_merge_implIS3_N6thrust23THRUST_200600_302600_NS10device_ptrIiEEPS5_jNS1_19radix_merge_compareILb0ELb1EiNS0_19identity_decomposerEEEEE10hipError_tT0_T1_T2_jT3_P12ihipStream_tbPNSt15iterator_traitsISH_E10value_typeEPNSN_ISI_E10value_typeEPSJ_NS1_7vsmem_tEENKUlT_SH_SI_SJ_E_clISB_PiSC_SC_EESG_SW_SH_SI_SJ_EUlSW_E1_NS1_11comp_targetILNS1_3genE8ELNS1_11target_archE1030ELNS1_3gpuE2ELNS1_3repE0EEENS1_36merge_oddeven_config_static_selectorELNS0_4arch9wavefront6targetE0EEEvSI_,@function
_ZN7rocprim17ROCPRIM_400000_NS6detail17trampoline_kernelINS0_14default_configENS1_38merge_sort_block_merge_config_selectorIiNS0_10empty_typeEEEZZNS1_27merge_sort_block_merge_implIS3_N6thrust23THRUST_200600_302600_NS10device_ptrIiEEPS5_jNS1_19radix_merge_compareILb0ELb1EiNS0_19identity_decomposerEEEEE10hipError_tT0_T1_T2_jT3_P12ihipStream_tbPNSt15iterator_traitsISH_E10value_typeEPNSN_ISI_E10value_typeEPSJ_NS1_7vsmem_tEENKUlT_SH_SI_SJ_E_clISB_PiSC_SC_EESG_SW_SH_SI_SJ_EUlSW_E1_NS1_11comp_targetILNS1_3genE8ELNS1_11target_archE1030ELNS1_3gpuE2ELNS1_3repE0EEENS1_36merge_oddeven_config_static_selectorELNS0_4arch9wavefront6targetE0EEEvSI_: ; @_ZN7rocprim17ROCPRIM_400000_NS6detail17trampoline_kernelINS0_14default_configENS1_38merge_sort_block_merge_config_selectorIiNS0_10empty_typeEEEZZNS1_27merge_sort_block_merge_implIS3_N6thrust23THRUST_200600_302600_NS10device_ptrIiEEPS5_jNS1_19radix_merge_compareILb0ELb1EiNS0_19identity_decomposerEEEEE10hipError_tT0_T1_T2_jT3_P12ihipStream_tbPNSt15iterator_traitsISH_E10value_typeEPNSN_ISI_E10value_typeEPSJ_NS1_7vsmem_tEENKUlT_SH_SI_SJ_E_clISB_PiSC_SC_EESG_SW_SH_SI_SJ_EUlSW_E1_NS1_11comp_targetILNS1_3genE8ELNS1_11target_archE1030ELNS1_3gpuE2ELNS1_3repE0EEENS1_36merge_oddeven_config_static_selectorELNS0_4arch9wavefront6targetE0EEEvSI_
; %bb.0:
	s_load_dword s7, s[4:5], 0x20
	s_waitcnt lgkmcnt(0)
	s_lshr_b32 s0, s7, 8
	s_cmp_lg_u32 s6, s0
	s_cselect_b32 s14, -1, 0
	s_cmp_eq_u32 s6, s0
	s_cselect_b32 s12, -1, 0
	s_lshl_b32 s2, s6, 8
	s_sub_i32 s0, s7, s2
	v_cmp_gt_u32_e64 s1, s0, v0
	s_or_b32 s0, s14, s1
	s_and_saveexec_b32 s3, s0
	s_cbranch_execz .LBB1216_20
; %bb.1:
	s_clause 0x1
	s_load_dwordx4 s[8:11], s[4:5], 0x0
	s_load_dword s13, s[4:5], 0x24
	s_mov_b32 s3, 0
	v_lshlrev_b32_e32 v1, 2, v0
	s_lshl_b64 s[16:17], s[2:3], 2
	v_add_nc_u32_e32 v0, s2, v0
	s_waitcnt lgkmcnt(0)
	s_add_u32 s16, s8, s16
	s_addc_u32 s17, s9, s17
	s_lshr_b32 s0, s13, 8
	global_load_dword v2, v1, s[16:17]
	s_sub_i32 s15, 0, s0
	s_and_b32 s6, s6, s15
	s_and_b32 s0, s6, s0
	s_lshl_b32 s15, s6, 8
	s_sub_i32 s6, 0, s13
	s_cmp_eq_u32 s0, 0
	s_cselect_b32 s0, -1, 0
	s_and_b32 s16, s0, exec_lo
	s_cselect_b32 s6, s13, s6
	s_add_i32 s6, s6, s15
	s_cmp_gt_u32 s7, s6
	s_cbranch_scc1 .LBB1216_3
; %bb.2:
	v_cmp_gt_u32_e32 vcc_lo, s7, v0
	s_or_b32 s3, vcc_lo, s14
	s_and_b32 s3, s3, exec_lo
	s_cbranch_execz .LBB1216_4
	s_branch .LBB1216_18
.LBB1216_3:
.LBB1216_4:
	s_load_dword s2, s[4:5], 0x28
	s_min_u32 s4, s6, s7
	s_and_b32 vcc_lo, exec_lo, s12
	s_add_i32 s5, s15, s4
	s_add_i32 s13, s4, s13
	v_subrev_nc_u32_e32 v0, s5, v0
	s_min_u32 s5, s15, s4
	v_add_nc_u32_e32 v3, s5, v0
	s_min_u32 s5, s13, s7
	s_waitcnt vmcnt(0) lgkmcnt(0)
	v_and_b32_e32 v4, s2, v2
	s_cbranch_vccz .LBB1216_12
; %bb.5:
                                        ; implicit-def: $vgpr0
	s_and_saveexec_b32 s7, s1
	s_cbranch_execz .LBB1216_11
; %bb.6:
	v_mov_b32_e32 v5, s4
	s_cmp_ge_u32 s6, s5
	s_cbranch_scc1 .LBB1216_10
; %bb.7:
	v_mov_b32_e32 v6, s5
	v_mov_b32_e32 v5, s4
	;; [unrolled: 1-line block ×3, first 2 shown]
	s_mov_b32 s1, 0
	.p2align	6
.LBB1216_8:                             ; =>This Inner Loop Header: Depth=1
	v_add_nc_u32_e32 v0, v5, v6
	v_lshrrev_b32_e32 v0, 1, v0
	v_lshlrev_b64 v[7:8], 2, v[0:1]
	v_add_co_u32 v7, vcc_lo, s8, v7
	v_add_co_ci_u32_e64 v8, null, s9, v8, vcc_lo
	global_load_dword v7, v[7:8], off
	s_waitcnt vmcnt(0)
	v_and_b32_e32 v7, s2, v7
	v_cmp_gt_i32_e32 vcc_lo, v4, v7
	v_cndmask_b32_e64 v8, 0, 1, vcc_lo
	v_cmp_le_i32_e32 vcc_lo, v7, v4
	v_cndmask_b32_e64 v7, 0, 1, vcc_lo
	v_cndmask_b32_e64 v7, v7, v8, s0
	v_add_nc_u32_e32 v8, 1, v0
	v_and_b32_e32 v7, 1, v7
	v_cmp_eq_u32_e32 vcc_lo, 1, v7
	v_cndmask_b32_e32 v6, v0, v6, vcc_lo
	v_cndmask_b32_e32 v5, v5, v8, vcc_lo
	v_cmp_ge_u32_e32 vcc_lo, v5, v6
	s_or_b32 s1, vcc_lo, s1
	s_andn2_b32 exec_lo, exec_lo, s1
	s_cbranch_execnz .LBB1216_8
; %bb.9:
	s_or_b32 exec_lo, exec_lo, s1
.LBB1216_10:
	v_add_nc_u32_e32 v0, v5, v3
	s_or_b32 s3, s3, exec_lo
.LBB1216_11:
	s_or_b32 exec_lo, exec_lo, s7
	s_branch .LBB1216_18
.LBB1216_12:
                                        ; implicit-def: $vgpr0
	s_cbranch_execz .LBB1216_18
; %bb.13:
	v_mov_b32_e32 v5, s4
	s_cmp_ge_u32 s6, s5
	s_cbranch_scc1 .LBB1216_17
; %bb.14:
	v_mov_b32_e32 v6, s5
	v_mov_b32_e32 v5, s4
	v_mov_b32_e32 v1, 0
	s_mov_b32 s1, 0
	.p2align	6
.LBB1216_15:                            ; =>This Inner Loop Header: Depth=1
	v_add_nc_u32_e32 v0, v5, v6
	v_lshrrev_b32_e32 v0, 1, v0
	v_lshlrev_b64 v[7:8], 2, v[0:1]
	v_add_co_u32 v7, vcc_lo, s8, v7
	v_add_co_ci_u32_e64 v8, null, s9, v8, vcc_lo
	global_load_dword v7, v[7:8], off
	s_waitcnt vmcnt(0)
	v_and_b32_e32 v7, s2, v7
	v_cmp_gt_i32_e32 vcc_lo, v4, v7
	v_cndmask_b32_e64 v8, 0, 1, vcc_lo
	v_cmp_le_i32_e32 vcc_lo, v7, v4
	v_cndmask_b32_e64 v7, 0, 1, vcc_lo
	v_cndmask_b32_e64 v7, v7, v8, s0
	v_add_nc_u32_e32 v8, 1, v0
	v_and_b32_e32 v7, 1, v7
	v_cmp_eq_u32_e32 vcc_lo, 1, v7
	v_cndmask_b32_e32 v6, v0, v6, vcc_lo
	v_cndmask_b32_e32 v5, v5, v8, vcc_lo
	v_cmp_ge_u32_e32 vcc_lo, v5, v6
	s_or_b32 s1, vcc_lo, s1
	s_andn2_b32 exec_lo, exec_lo, s1
	s_cbranch_execnz .LBB1216_15
; %bb.16:
	s_or_b32 exec_lo, exec_lo, s1
.LBB1216_17:
	v_add_nc_u32_e32 v0, v5, v3
	s_mov_b32 s3, -1
.LBB1216_18:
	s_and_b32 exec_lo, exec_lo, s3
	s_cbranch_execz .LBB1216_20
; %bb.19:
	v_mov_b32_e32 v1, 0
	v_lshlrev_b64 v[0:1], 2, v[0:1]
	v_add_co_u32 v0, vcc_lo, s10, v0
	v_add_co_ci_u32_e64 v1, null, s11, v1, vcc_lo
	s_waitcnt vmcnt(0)
	global_store_dword v[0:1], v2, off
.LBB1216_20:
	s_endpgm
	.section	.rodata,"a",@progbits
	.p2align	6, 0x0
	.amdhsa_kernel _ZN7rocprim17ROCPRIM_400000_NS6detail17trampoline_kernelINS0_14default_configENS1_38merge_sort_block_merge_config_selectorIiNS0_10empty_typeEEEZZNS1_27merge_sort_block_merge_implIS3_N6thrust23THRUST_200600_302600_NS10device_ptrIiEEPS5_jNS1_19radix_merge_compareILb0ELb1EiNS0_19identity_decomposerEEEEE10hipError_tT0_T1_T2_jT3_P12ihipStream_tbPNSt15iterator_traitsISH_E10value_typeEPNSN_ISI_E10value_typeEPSJ_NS1_7vsmem_tEENKUlT_SH_SI_SJ_E_clISB_PiSC_SC_EESG_SW_SH_SI_SJ_EUlSW_E1_NS1_11comp_targetILNS1_3genE8ELNS1_11target_archE1030ELNS1_3gpuE2ELNS1_3repE0EEENS1_36merge_oddeven_config_static_selectorELNS0_4arch9wavefront6targetE0EEEvSI_
		.amdhsa_group_segment_fixed_size 0
		.amdhsa_private_segment_fixed_size 0
		.amdhsa_kernarg_size 48
		.amdhsa_user_sgpr_count 6
		.amdhsa_user_sgpr_private_segment_buffer 1
		.amdhsa_user_sgpr_dispatch_ptr 0
		.amdhsa_user_sgpr_queue_ptr 0
		.amdhsa_user_sgpr_kernarg_segment_ptr 1
		.amdhsa_user_sgpr_dispatch_id 0
		.amdhsa_user_sgpr_flat_scratch_init 0
		.amdhsa_user_sgpr_private_segment_size 0
		.amdhsa_wavefront_size32 1
		.amdhsa_uses_dynamic_stack 0
		.amdhsa_system_sgpr_private_segment_wavefront_offset 0
		.amdhsa_system_sgpr_workgroup_id_x 1
		.amdhsa_system_sgpr_workgroup_id_y 0
		.amdhsa_system_sgpr_workgroup_id_z 0
		.amdhsa_system_sgpr_workgroup_info 0
		.amdhsa_system_vgpr_workitem_id 0
		.amdhsa_next_free_vgpr 9
		.amdhsa_next_free_sgpr 18
		.amdhsa_reserve_vcc 1
		.amdhsa_reserve_flat_scratch 0
		.amdhsa_float_round_mode_32 0
		.amdhsa_float_round_mode_16_64 0
		.amdhsa_float_denorm_mode_32 3
		.amdhsa_float_denorm_mode_16_64 3
		.amdhsa_dx10_clamp 1
		.amdhsa_ieee_mode 1
		.amdhsa_fp16_overflow 0
		.amdhsa_workgroup_processor_mode 1
		.amdhsa_memory_ordered 1
		.amdhsa_forward_progress 1
		.amdhsa_shared_vgpr_count 0
		.amdhsa_exception_fp_ieee_invalid_op 0
		.amdhsa_exception_fp_denorm_src 0
		.amdhsa_exception_fp_ieee_div_zero 0
		.amdhsa_exception_fp_ieee_overflow 0
		.amdhsa_exception_fp_ieee_underflow 0
		.amdhsa_exception_fp_ieee_inexact 0
		.amdhsa_exception_int_div_zero 0
	.end_amdhsa_kernel
	.section	.text._ZN7rocprim17ROCPRIM_400000_NS6detail17trampoline_kernelINS0_14default_configENS1_38merge_sort_block_merge_config_selectorIiNS0_10empty_typeEEEZZNS1_27merge_sort_block_merge_implIS3_N6thrust23THRUST_200600_302600_NS10device_ptrIiEEPS5_jNS1_19radix_merge_compareILb0ELb1EiNS0_19identity_decomposerEEEEE10hipError_tT0_T1_T2_jT3_P12ihipStream_tbPNSt15iterator_traitsISH_E10value_typeEPNSN_ISI_E10value_typeEPSJ_NS1_7vsmem_tEENKUlT_SH_SI_SJ_E_clISB_PiSC_SC_EESG_SW_SH_SI_SJ_EUlSW_E1_NS1_11comp_targetILNS1_3genE8ELNS1_11target_archE1030ELNS1_3gpuE2ELNS1_3repE0EEENS1_36merge_oddeven_config_static_selectorELNS0_4arch9wavefront6targetE0EEEvSI_,"axG",@progbits,_ZN7rocprim17ROCPRIM_400000_NS6detail17trampoline_kernelINS0_14default_configENS1_38merge_sort_block_merge_config_selectorIiNS0_10empty_typeEEEZZNS1_27merge_sort_block_merge_implIS3_N6thrust23THRUST_200600_302600_NS10device_ptrIiEEPS5_jNS1_19radix_merge_compareILb0ELb1EiNS0_19identity_decomposerEEEEE10hipError_tT0_T1_T2_jT3_P12ihipStream_tbPNSt15iterator_traitsISH_E10value_typeEPNSN_ISI_E10value_typeEPSJ_NS1_7vsmem_tEENKUlT_SH_SI_SJ_E_clISB_PiSC_SC_EESG_SW_SH_SI_SJ_EUlSW_E1_NS1_11comp_targetILNS1_3genE8ELNS1_11target_archE1030ELNS1_3gpuE2ELNS1_3repE0EEENS1_36merge_oddeven_config_static_selectorELNS0_4arch9wavefront6targetE0EEEvSI_,comdat
.Lfunc_end1216:
	.size	_ZN7rocprim17ROCPRIM_400000_NS6detail17trampoline_kernelINS0_14default_configENS1_38merge_sort_block_merge_config_selectorIiNS0_10empty_typeEEEZZNS1_27merge_sort_block_merge_implIS3_N6thrust23THRUST_200600_302600_NS10device_ptrIiEEPS5_jNS1_19radix_merge_compareILb0ELb1EiNS0_19identity_decomposerEEEEE10hipError_tT0_T1_T2_jT3_P12ihipStream_tbPNSt15iterator_traitsISH_E10value_typeEPNSN_ISI_E10value_typeEPSJ_NS1_7vsmem_tEENKUlT_SH_SI_SJ_E_clISB_PiSC_SC_EESG_SW_SH_SI_SJ_EUlSW_E1_NS1_11comp_targetILNS1_3genE8ELNS1_11target_archE1030ELNS1_3gpuE2ELNS1_3repE0EEENS1_36merge_oddeven_config_static_selectorELNS0_4arch9wavefront6targetE0EEEvSI_, .Lfunc_end1216-_ZN7rocprim17ROCPRIM_400000_NS6detail17trampoline_kernelINS0_14default_configENS1_38merge_sort_block_merge_config_selectorIiNS0_10empty_typeEEEZZNS1_27merge_sort_block_merge_implIS3_N6thrust23THRUST_200600_302600_NS10device_ptrIiEEPS5_jNS1_19radix_merge_compareILb0ELb1EiNS0_19identity_decomposerEEEEE10hipError_tT0_T1_T2_jT3_P12ihipStream_tbPNSt15iterator_traitsISH_E10value_typeEPNSN_ISI_E10value_typeEPSJ_NS1_7vsmem_tEENKUlT_SH_SI_SJ_E_clISB_PiSC_SC_EESG_SW_SH_SI_SJ_EUlSW_E1_NS1_11comp_targetILNS1_3genE8ELNS1_11target_archE1030ELNS1_3gpuE2ELNS1_3repE0EEENS1_36merge_oddeven_config_static_selectorELNS0_4arch9wavefront6targetE0EEEvSI_
                                        ; -- End function
	.set _ZN7rocprim17ROCPRIM_400000_NS6detail17trampoline_kernelINS0_14default_configENS1_38merge_sort_block_merge_config_selectorIiNS0_10empty_typeEEEZZNS1_27merge_sort_block_merge_implIS3_N6thrust23THRUST_200600_302600_NS10device_ptrIiEEPS5_jNS1_19radix_merge_compareILb0ELb1EiNS0_19identity_decomposerEEEEE10hipError_tT0_T1_T2_jT3_P12ihipStream_tbPNSt15iterator_traitsISH_E10value_typeEPNSN_ISI_E10value_typeEPSJ_NS1_7vsmem_tEENKUlT_SH_SI_SJ_E_clISB_PiSC_SC_EESG_SW_SH_SI_SJ_EUlSW_E1_NS1_11comp_targetILNS1_3genE8ELNS1_11target_archE1030ELNS1_3gpuE2ELNS1_3repE0EEENS1_36merge_oddeven_config_static_selectorELNS0_4arch9wavefront6targetE0EEEvSI_.num_vgpr, 9
	.set _ZN7rocprim17ROCPRIM_400000_NS6detail17trampoline_kernelINS0_14default_configENS1_38merge_sort_block_merge_config_selectorIiNS0_10empty_typeEEEZZNS1_27merge_sort_block_merge_implIS3_N6thrust23THRUST_200600_302600_NS10device_ptrIiEEPS5_jNS1_19radix_merge_compareILb0ELb1EiNS0_19identity_decomposerEEEEE10hipError_tT0_T1_T2_jT3_P12ihipStream_tbPNSt15iterator_traitsISH_E10value_typeEPNSN_ISI_E10value_typeEPSJ_NS1_7vsmem_tEENKUlT_SH_SI_SJ_E_clISB_PiSC_SC_EESG_SW_SH_SI_SJ_EUlSW_E1_NS1_11comp_targetILNS1_3genE8ELNS1_11target_archE1030ELNS1_3gpuE2ELNS1_3repE0EEENS1_36merge_oddeven_config_static_selectorELNS0_4arch9wavefront6targetE0EEEvSI_.num_agpr, 0
	.set _ZN7rocprim17ROCPRIM_400000_NS6detail17trampoline_kernelINS0_14default_configENS1_38merge_sort_block_merge_config_selectorIiNS0_10empty_typeEEEZZNS1_27merge_sort_block_merge_implIS3_N6thrust23THRUST_200600_302600_NS10device_ptrIiEEPS5_jNS1_19radix_merge_compareILb0ELb1EiNS0_19identity_decomposerEEEEE10hipError_tT0_T1_T2_jT3_P12ihipStream_tbPNSt15iterator_traitsISH_E10value_typeEPNSN_ISI_E10value_typeEPSJ_NS1_7vsmem_tEENKUlT_SH_SI_SJ_E_clISB_PiSC_SC_EESG_SW_SH_SI_SJ_EUlSW_E1_NS1_11comp_targetILNS1_3genE8ELNS1_11target_archE1030ELNS1_3gpuE2ELNS1_3repE0EEENS1_36merge_oddeven_config_static_selectorELNS0_4arch9wavefront6targetE0EEEvSI_.numbered_sgpr, 18
	.set _ZN7rocprim17ROCPRIM_400000_NS6detail17trampoline_kernelINS0_14default_configENS1_38merge_sort_block_merge_config_selectorIiNS0_10empty_typeEEEZZNS1_27merge_sort_block_merge_implIS3_N6thrust23THRUST_200600_302600_NS10device_ptrIiEEPS5_jNS1_19radix_merge_compareILb0ELb1EiNS0_19identity_decomposerEEEEE10hipError_tT0_T1_T2_jT3_P12ihipStream_tbPNSt15iterator_traitsISH_E10value_typeEPNSN_ISI_E10value_typeEPSJ_NS1_7vsmem_tEENKUlT_SH_SI_SJ_E_clISB_PiSC_SC_EESG_SW_SH_SI_SJ_EUlSW_E1_NS1_11comp_targetILNS1_3genE8ELNS1_11target_archE1030ELNS1_3gpuE2ELNS1_3repE0EEENS1_36merge_oddeven_config_static_selectorELNS0_4arch9wavefront6targetE0EEEvSI_.num_named_barrier, 0
	.set _ZN7rocprim17ROCPRIM_400000_NS6detail17trampoline_kernelINS0_14default_configENS1_38merge_sort_block_merge_config_selectorIiNS0_10empty_typeEEEZZNS1_27merge_sort_block_merge_implIS3_N6thrust23THRUST_200600_302600_NS10device_ptrIiEEPS5_jNS1_19radix_merge_compareILb0ELb1EiNS0_19identity_decomposerEEEEE10hipError_tT0_T1_T2_jT3_P12ihipStream_tbPNSt15iterator_traitsISH_E10value_typeEPNSN_ISI_E10value_typeEPSJ_NS1_7vsmem_tEENKUlT_SH_SI_SJ_E_clISB_PiSC_SC_EESG_SW_SH_SI_SJ_EUlSW_E1_NS1_11comp_targetILNS1_3genE8ELNS1_11target_archE1030ELNS1_3gpuE2ELNS1_3repE0EEENS1_36merge_oddeven_config_static_selectorELNS0_4arch9wavefront6targetE0EEEvSI_.private_seg_size, 0
	.set _ZN7rocprim17ROCPRIM_400000_NS6detail17trampoline_kernelINS0_14default_configENS1_38merge_sort_block_merge_config_selectorIiNS0_10empty_typeEEEZZNS1_27merge_sort_block_merge_implIS3_N6thrust23THRUST_200600_302600_NS10device_ptrIiEEPS5_jNS1_19radix_merge_compareILb0ELb1EiNS0_19identity_decomposerEEEEE10hipError_tT0_T1_T2_jT3_P12ihipStream_tbPNSt15iterator_traitsISH_E10value_typeEPNSN_ISI_E10value_typeEPSJ_NS1_7vsmem_tEENKUlT_SH_SI_SJ_E_clISB_PiSC_SC_EESG_SW_SH_SI_SJ_EUlSW_E1_NS1_11comp_targetILNS1_3genE8ELNS1_11target_archE1030ELNS1_3gpuE2ELNS1_3repE0EEENS1_36merge_oddeven_config_static_selectorELNS0_4arch9wavefront6targetE0EEEvSI_.uses_vcc, 1
	.set _ZN7rocprim17ROCPRIM_400000_NS6detail17trampoline_kernelINS0_14default_configENS1_38merge_sort_block_merge_config_selectorIiNS0_10empty_typeEEEZZNS1_27merge_sort_block_merge_implIS3_N6thrust23THRUST_200600_302600_NS10device_ptrIiEEPS5_jNS1_19radix_merge_compareILb0ELb1EiNS0_19identity_decomposerEEEEE10hipError_tT0_T1_T2_jT3_P12ihipStream_tbPNSt15iterator_traitsISH_E10value_typeEPNSN_ISI_E10value_typeEPSJ_NS1_7vsmem_tEENKUlT_SH_SI_SJ_E_clISB_PiSC_SC_EESG_SW_SH_SI_SJ_EUlSW_E1_NS1_11comp_targetILNS1_3genE8ELNS1_11target_archE1030ELNS1_3gpuE2ELNS1_3repE0EEENS1_36merge_oddeven_config_static_selectorELNS0_4arch9wavefront6targetE0EEEvSI_.uses_flat_scratch, 0
	.set _ZN7rocprim17ROCPRIM_400000_NS6detail17trampoline_kernelINS0_14default_configENS1_38merge_sort_block_merge_config_selectorIiNS0_10empty_typeEEEZZNS1_27merge_sort_block_merge_implIS3_N6thrust23THRUST_200600_302600_NS10device_ptrIiEEPS5_jNS1_19radix_merge_compareILb0ELb1EiNS0_19identity_decomposerEEEEE10hipError_tT0_T1_T2_jT3_P12ihipStream_tbPNSt15iterator_traitsISH_E10value_typeEPNSN_ISI_E10value_typeEPSJ_NS1_7vsmem_tEENKUlT_SH_SI_SJ_E_clISB_PiSC_SC_EESG_SW_SH_SI_SJ_EUlSW_E1_NS1_11comp_targetILNS1_3genE8ELNS1_11target_archE1030ELNS1_3gpuE2ELNS1_3repE0EEENS1_36merge_oddeven_config_static_selectorELNS0_4arch9wavefront6targetE0EEEvSI_.has_dyn_sized_stack, 0
	.set _ZN7rocprim17ROCPRIM_400000_NS6detail17trampoline_kernelINS0_14default_configENS1_38merge_sort_block_merge_config_selectorIiNS0_10empty_typeEEEZZNS1_27merge_sort_block_merge_implIS3_N6thrust23THRUST_200600_302600_NS10device_ptrIiEEPS5_jNS1_19radix_merge_compareILb0ELb1EiNS0_19identity_decomposerEEEEE10hipError_tT0_T1_T2_jT3_P12ihipStream_tbPNSt15iterator_traitsISH_E10value_typeEPNSN_ISI_E10value_typeEPSJ_NS1_7vsmem_tEENKUlT_SH_SI_SJ_E_clISB_PiSC_SC_EESG_SW_SH_SI_SJ_EUlSW_E1_NS1_11comp_targetILNS1_3genE8ELNS1_11target_archE1030ELNS1_3gpuE2ELNS1_3repE0EEENS1_36merge_oddeven_config_static_selectorELNS0_4arch9wavefront6targetE0EEEvSI_.has_recursion, 0
	.set _ZN7rocprim17ROCPRIM_400000_NS6detail17trampoline_kernelINS0_14default_configENS1_38merge_sort_block_merge_config_selectorIiNS0_10empty_typeEEEZZNS1_27merge_sort_block_merge_implIS3_N6thrust23THRUST_200600_302600_NS10device_ptrIiEEPS5_jNS1_19radix_merge_compareILb0ELb1EiNS0_19identity_decomposerEEEEE10hipError_tT0_T1_T2_jT3_P12ihipStream_tbPNSt15iterator_traitsISH_E10value_typeEPNSN_ISI_E10value_typeEPSJ_NS1_7vsmem_tEENKUlT_SH_SI_SJ_E_clISB_PiSC_SC_EESG_SW_SH_SI_SJ_EUlSW_E1_NS1_11comp_targetILNS1_3genE8ELNS1_11target_archE1030ELNS1_3gpuE2ELNS1_3repE0EEENS1_36merge_oddeven_config_static_selectorELNS0_4arch9wavefront6targetE0EEEvSI_.has_indirect_call, 0
	.section	.AMDGPU.csdata,"",@progbits
; Kernel info:
; codeLenInByte = 692
; TotalNumSgprs: 20
; NumVgprs: 9
; ScratchSize: 0
; MemoryBound: 0
; FloatMode: 240
; IeeeMode: 1
; LDSByteSize: 0 bytes/workgroup (compile time only)
; SGPRBlocks: 0
; VGPRBlocks: 1
; NumSGPRsForWavesPerEU: 20
; NumVGPRsForWavesPerEU: 9
; Occupancy: 16
; WaveLimiterHint : 0
; COMPUTE_PGM_RSRC2:SCRATCH_EN: 0
; COMPUTE_PGM_RSRC2:USER_SGPR: 6
; COMPUTE_PGM_RSRC2:TRAP_HANDLER: 0
; COMPUTE_PGM_RSRC2:TGID_X_EN: 1
; COMPUTE_PGM_RSRC2:TGID_Y_EN: 0
; COMPUTE_PGM_RSRC2:TGID_Z_EN: 0
; COMPUTE_PGM_RSRC2:TIDIG_COMP_CNT: 0
	.section	.text._ZN7rocprim17ROCPRIM_400000_NS6detail17trampoline_kernelINS0_14default_configENS1_35radix_sort_onesweep_config_selectorIiNS0_10empty_typeEEEZNS1_34radix_sort_onesweep_global_offsetsIS3_Lb0EN6thrust23THRUST_200600_302600_NS10device_ptrIiEEPS5_jNS0_19identity_decomposerEEE10hipError_tT1_T2_PT3_SH_jT4_jjP12ihipStream_tbEUlT_E_NS1_11comp_targetILNS1_3genE0ELNS1_11target_archE4294967295ELNS1_3gpuE0ELNS1_3repE0EEENS1_52radix_sort_onesweep_histogram_config_static_selectorELNS0_4arch9wavefront6targetE0EEEvSF_,"axG",@progbits,_ZN7rocprim17ROCPRIM_400000_NS6detail17trampoline_kernelINS0_14default_configENS1_35radix_sort_onesweep_config_selectorIiNS0_10empty_typeEEEZNS1_34radix_sort_onesweep_global_offsetsIS3_Lb0EN6thrust23THRUST_200600_302600_NS10device_ptrIiEEPS5_jNS0_19identity_decomposerEEE10hipError_tT1_T2_PT3_SH_jT4_jjP12ihipStream_tbEUlT_E_NS1_11comp_targetILNS1_3genE0ELNS1_11target_archE4294967295ELNS1_3gpuE0ELNS1_3repE0EEENS1_52radix_sort_onesweep_histogram_config_static_selectorELNS0_4arch9wavefront6targetE0EEEvSF_,comdat
	.protected	_ZN7rocprim17ROCPRIM_400000_NS6detail17trampoline_kernelINS0_14default_configENS1_35radix_sort_onesweep_config_selectorIiNS0_10empty_typeEEEZNS1_34radix_sort_onesweep_global_offsetsIS3_Lb0EN6thrust23THRUST_200600_302600_NS10device_ptrIiEEPS5_jNS0_19identity_decomposerEEE10hipError_tT1_T2_PT3_SH_jT4_jjP12ihipStream_tbEUlT_E_NS1_11comp_targetILNS1_3genE0ELNS1_11target_archE4294967295ELNS1_3gpuE0ELNS1_3repE0EEENS1_52radix_sort_onesweep_histogram_config_static_selectorELNS0_4arch9wavefront6targetE0EEEvSF_ ; -- Begin function _ZN7rocprim17ROCPRIM_400000_NS6detail17trampoline_kernelINS0_14default_configENS1_35radix_sort_onesweep_config_selectorIiNS0_10empty_typeEEEZNS1_34radix_sort_onesweep_global_offsetsIS3_Lb0EN6thrust23THRUST_200600_302600_NS10device_ptrIiEEPS5_jNS0_19identity_decomposerEEE10hipError_tT1_T2_PT3_SH_jT4_jjP12ihipStream_tbEUlT_E_NS1_11comp_targetILNS1_3genE0ELNS1_11target_archE4294967295ELNS1_3gpuE0ELNS1_3repE0EEENS1_52radix_sort_onesweep_histogram_config_static_selectorELNS0_4arch9wavefront6targetE0EEEvSF_
	.globl	_ZN7rocprim17ROCPRIM_400000_NS6detail17trampoline_kernelINS0_14default_configENS1_35radix_sort_onesweep_config_selectorIiNS0_10empty_typeEEEZNS1_34radix_sort_onesweep_global_offsetsIS3_Lb0EN6thrust23THRUST_200600_302600_NS10device_ptrIiEEPS5_jNS0_19identity_decomposerEEE10hipError_tT1_T2_PT3_SH_jT4_jjP12ihipStream_tbEUlT_E_NS1_11comp_targetILNS1_3genE0ELNS1_11target_archE4294967295ELNS1_3gpuE0ELNS1_3repE0EEENS1_52radix_sort_onesweep_histogram_config_static_selectorELNS0_4arch9wavefront6targetE0EEEvSF_
	.p2align	8
	.type	_ZN7rocprim17ROCPRIM_400000_NS6detail17trampoline_kernelINS0_14default_configENS1_35radix_sort_onesweep_config_selectorIiNS0_10empty_typeEEEZNS1_34radix_sort_onesweep_global_offsetsIS3_Lb0EN6thrust23THRUST_200600_302600_NS10device_ptrIiEEPS5_jNS0_19identity_decomposerEEE10hipError_tT1_T2_PT3_SH_jT4_jjP12ihipStream_tbEUlT_E_NS1_11comp_targetILNS1_3genE0ELNS1_11target_archE4294967295ELNS1_3gpuE0ELNS1_3repE0EEENS1_52radix_sort_onesweep_histogram_config_static_selectorELNS0_4arch9wavefront6targetE0EEEvSF_,@function
_ZN7rocprim17ROCPRIM_400000_NS6detail17trampoline_kernelINS0_14default_configENS1_35radix_sort_onesweep_config_selectorIiNS0_10empty_typeEEEZNS1_34radix_sort_onesweep_global_offsetsIS3_Lb0EN6thrust23THRUST_200600_302600_NS10device_ptrIiEEPS5_jNS0_19identity_decomposerEEE10hipError_tT1_T2_PT3_SH_jT4_jjP12ihipStream_tbEUlT_E_NS1_11comp_targetILNS1_3genE0ELNS1_11target_archE4294967295ELNS1_3gpuE0ELNS1_3repE0EEENS1_52radix_sort_onesweep_histogram_config_static_selectorELNS0_4arch9wavefront6targetE0EEEvSF_: ; @_ZN7rocprim17ROCPRIM_400000_NS6detail17trampoline_kernelINS0_14default_configENS1_35radix_sort_onesweep_config_selectorIiNS0_10empty_typeEEEZNS1_34radix_sort_onesweep_global_offsetsIS3_Lb0EN6thrust23THRUST_200600_302600_NS10device_ptrIiEEPS5_jNS0_19identity_decomposerEEE10hipError_tT1_T2_PT3_SH_jT4_jjP12ihipStream_tbEUlT_E_NS1_11comp_targetILNS1_3genE0ELNS1_11target_archE4294967295ELNS1_3gpuE0ELNS1_3repE0EEENS1_52radix_sort_onesweep_histogram_config_static_selectorELNS0_4arch9wavefront6targetE0EEEvSF_
; %bb.0:
	.section	.rodata,"a",@progbits
	.p2align	6, 0x0
	.amdhsa_kernel _ZN7rocprim17ROCPRIM_400000_NS6detail17trampoline_kernelINS0_14default_configENS1_35radix_sort_onesweep_config_selectorIiNS0_10empty_typeEEEZNS1_34radix_sort_onesweep_global_offsetsIS3_Lb0EN6thrust23THRUST_200600_302600_NS10device_ptrIiEEPS5_jNS0_19identity_decomposerEEE10hipError_tT1_T2_PT3_SH_jT4_jjP12ihipStream_tbEUlT_E_NS1_11comp_targetILNS1_3genE0ELNS1_11target_archE4294967295ELNS1_3gpuE0ELNS1_3repE0EEENS1_52radix_sort_onesweep_histogram_config_static_selectorELNS0_4arch9wavefront6targetE0EEEvSF_
		.amdhsa_group_segment_fixed_size 0
		.amdhsa_private_segment_fixed_size 0
		.amdhsa_kernarg_size 40
		.amdhsa_user_sgpr_count 6
		.amdhsa_user_sgpr_private_segment_buffer 1
		.amdhsa_user_sgpr_dispatch_ptr 0
		.amdhsa_user_sgpr_queue_ptr 0
		.amdhsa_user_sgpr_kernarg_segment_ptr 1
		.amdhsa_user_sgpr_dispatch_id 0
		.amdhsa_user_sgpr_flat_scratch_init 0
		.amdhsa_user_sgpr_private_segment_size 0
		.amdhsa_wavefront_size32 1
		.amdhsa_uses_dynamic_stack 0
		.amdhsa_system_sgpr_private_segment_wavefront_offset 0
		.amdhsa_system_sgpr_workgroup_id_x 1
		.amdhsa_system_sgpr_workgroup_id_y 0
		.amdhsa_system_sgpr_workgroup_id_z 0
		.amdhsa_system_sgpr_workgroup_info 0
		.amdhsa_system_vgpr_workitem_id 0
		.amdhsa_next_free_vgpr 1
		.amdhsa_next_free_sgpr 1
		.amdhsa_reserve_vcc 0
		.amdhsa_reserve_flat_scratch 0
		.amdhsa_float_round_mode_32 0
		.amdhsa_float_round_mode_16_64 0
		.amdhsa_float_denorm_mode_32 3
		.amdhsa_float_denorm_mode_16_64 3
		.amdhsa_dx10_clamp 1
		.amdhsa_ieee_mode 1
		.amdhsa_fp16_overflow 0
		.amdhsa_workgroup_processor_mode 1
		.amdhsa_memory_ordered 1
		.amdhsa_forward_progress 1
		.amdhsa_shared_vgpr_count 0
		.amdhsa_exception_fp_ieee_invalid_op 0
		.amdhsa_exception_fp_denorm_src 0
		.amdhsa_exception_fp_ieee_div_zero 0
		.amdhsa_exception_fp_ieee_overflow 0
		.amdhsa_exception_fp_ieee_underflow 0
		.amdhsa_exception_fp_ieee_inexact 0
		.amdhsa_exception_int_div_zero 0
	.end_amdhsa_kernel
	.section	.text._ZN7rocprim17ROCPRIM_400000_NS6detail17trampoline_kernelINS0_14default_configENS1_35radix_sort_onesweep_config_selectorIiNS0_10empty_typeEEEZNS1_34radix_sort_onesweep_global_offsetsIS3_Lb0EN6thrust23THRUST_200600_302600_NS10device_ptrIiEEPS5_jNS0_19identity_decomposerEEE10hipError_tT1_T2_PT3_SH_jT4_jjP12ihipStream_tbEUlT_E_NS1_11comp_targetILNS1_3genE0ELNS1_11target_archE4294967295ELNS1_3gpuE0ELNS1_3repE0EEENS1_52radix_sort_onesweep_histogram_config_static_selectorELNS0_4arch9wavefront6targetE0EEEvSF_,"axG",@progbits,_ZN7rocprim17ROCPRIM_400000_NS6detail17trampoline_kernelINS0_14default_configENS1_35radix_sort_onesweep_config_selectorIiNS0_10empty_typeEEEZNS1_34radix_sort_onesweep_global_offsetsIS3_Lb0EN6thrust23THRUST_200600_302600_NS10device_ptrIiEEPS5_jNS0_19identity_decomposerEEE10hipError_tT1_T2_PT3_SH_jT4_jjP12ihipStream_tbEUlT_E_NS1_11comp_targetILNS1_3genE0ELNS1_11target_archE4294967295ELNS1_3gpuE0ELNS1_3repE0EEENS1_52radix_sort_onesweep_histogram_config_static_selectorELNS0_4arch9wavefront6targetE0EEEvSF_,comdat
.Lfunc_end1217:
	.size	_ZN7rocprim17ROCPRIM_400000_NS6detail17trampoline_kernelINS0_14default_configENS1_35radix_sort_onesweep_config_selectorIiNS0_10empty_typeEEEZNS1_34radix_sort_onesweep_global_offsetsIS3_Lb0EN6thrust23THRUST_200600_302600_NS10device_ptrIiEEPS5_jNS0_19identity_decomposerEEE10hipError_tT1_T2_PT3_SH_jT4_jjP12ihipStream_tbEUlT_E_NS1_11comp_targetILNS1_3genE0ELNS1_11target_archE4294967295ELNS1_3gpuE0ELNS1_3repE0EEENS1_52radix_sort_onesweep_histogram_config_static_selectorELNS0_4arch9wavefront6targetE0EEEvSF_, .Lfunc_end1217-_ZN7rocprim17ROCPRIM_400000_NS6detail17trampoline_kernelINS0_14default_configENS1_35radix_sort_onesweep_config_selectorIiNS0_10empty_typeEEEZNS1_34radix_sort_onesweep_global_offsetsIS3_Lb0EN6thrust23THRUST_200600_302600_NS10device_ptrIiEEPS5_jNS0_19identity_decomposerEEE10hipError_tT1_T2_PT3_SH_jT4_jjP12ihipStream_tbEUlT_E_NS1_11comp_targetILNS1_3genE0ELNS1_11target_archE4294967295ELNS1_3gpuE0ELNS1_3repE0EEENS1_52radix_sort_onesweep_histogram_config_static_selectorELNS0_4arch9wavefront6targetE0EEEvSF_
                                        ; -- End function
	.set _ZN7rocprim17ROCPRIM_400000_NS6detail17trampoline_kernelINS0_14default_configENS1_35radix_sort_onesweep_config_selectorIiNS0_10empty_typeEEEZNS1_34radix_sort_onesweep_global_offsetsIS3_Lb0EN6thrust23THRUST_200600_302600_NS10device_ptrIiEEPS5_jNS0_19identity_decomposerEEE10hipError_tT1_T2_PT3_SH_jT4_jjP12ihipStream_tbEUlT_E_NS1_11comp_targetILNS1_3genE0ELNS1_11target_archE4294967295ELNS1_3gpuE0ELNS1_3repE0EEENS1_52radix_sort_onesweep_histogram_config_static_selectorELNS0_4arch9wavefront6targetE0EEEvSF_.num_vgpr, 0
	.set _ZN7rocprim17ROCPRIM_400000_NS6detail17trampoline_kernelINS0_14default_configENS1_35radix_sort_onesweep_config_selectorIiNS0_10empty_typeEEEZNS1_34radix_sort_onesweep_global_offsetsIS3_Lb0EN6thrust23THRUST_200600_302600_NS10device_ptrIiEEPS5_jNS0_19identity_decomposerEEE10hipError_tT1_T2_PT3_SH_jT4_jjP12ihipStream_tbEUlT_E_NS1_11comp_targetILNS1_3genE0ELNS1_11target_archE4294967295ELNS1_3gpuE0ELNS1_3repE0EEENS1_52radix_sort_onesweep_histogram_config_static_selectorELNS0_4arch9wavefront6targetE0EEEvSF_.num_agpr, 0
	.set _ZN7rocprim17ROCPRIM_400000_NS6detail17trampoline_kernelINS0_14default_configENS1_35radix_sort_onesweep_config_selectorIiNS0_10empty_typeEEEZNS1_34radix_sort_onesweep_global_offsetsIS3_Lb0EN6thrust23THRUST_200600_302600_NS10device_ptrIiEEPS5_jNS0_19identity_decomposerEEE10hipError_tT1_T2_PT3_SH_jT4_jjP12ihipStream_tbEUlT_E_NS1_11comp_targetILNS1_3genE0ELNS1_11target_archE4294967295ELNS1_3gpuE0ELNS1_3repE0EEENS1_52radix_sort_onesweep_histogram_config_static_selectorELNS0_4arch9wavefront6targetE0EEEvSF_.numbered_sgpr, 0
	.set _ZN7rocprim17ROCPRIM_400000_NS6detail17trampoline_kernelINS0_14default_configENS1_35radix_sort_onesweep_config_selectorIiNS0_10empty_typeEEEZNS1_34radix_sort_onesweep_global_offsetsIS3_Lb0EN6thrust23THRUST_200600_302600_NS10device_ptrIiEEPS5_jNS0_19identity_decomposerEEE10hipError_tT1_T2_PT3_SH_jT4_jjP12ihipStream_tbEUlT_E_NS1_11comp_targetILNS1_3genE0ELNS1_11target_archE4294967295ELNS1_3gpuE0ELNS1_3repE0EEENS1_52radix_sort_onesweep_histogram_config_static_selectorELNS0_4arch9wavefront6targetE0EEEvSF_.num_named_barrier, 0
	.set _ZN7rocprim17ROCPRIM_400000_NS6detail17trampoline_kernelINS0_14default_configENS1_35radix_sort_onesweep_config_selectorIiNS0_10empty_typeEEEZNS1_34radix_sort_onesweep_global_offsetsIS3_Lb0EN6thrust23THRUST_200600_302600_NS10device_ptrIiEEPS5_jNS0_19identity_decomposerEEE10hipError_tT1_T2_PT3_SH_jT4_jjP12ihipStream_tbEUlT_E_NS1_11comp_targetILNS1_3genE0ELNS1_11target_archE4294967295ELNS1_3gpuE0ELNS1_3repE0EEENS1_52radix_sort_onesweep_histogram_config_static_selectorELNS0_4arch9wavefront6targetE0EEEvSF_.private_seg_size, 0
	.set _ZN7rocprim17ROCPRIM_400000_NS6detail17trampoline_kernelINS0_14default_configENS1_35radix_sort_onesweep_config_selectorIiNS0_10empty_typeEEEZNS1_34radix_sort_onesweep_global_offsetsIS3_Lb0EN6thrust23THRUST_200600_302600_NS10device_ptrIiEEPS5_jNS0_19identity_decomposerEEE10hipError_tT1_T2_PT3_SH_jT4_jjP12ihipStream_tbEUlT_E_NS1_11comp_targetILNS1_3genE0ELNS1_11target_archE4294967295ELNS1_3gpuE0ELNS1_3repE0EEENS1_52radix_sort_onesweep_histogram_config_static_selectorELNS0_4arch9wavefront6targetE0EEEvSF_.uses_vcc, 0
	.set _ZN7rocprim17ROCPRIM_400000_NS6detail17trampoline_kernelINS0_14default_configENS1_35radix_sort_onesweep_config_selectorIiNS0_10empty_typeEEEZNS1_34radix_sort_onesweep_global_offsetsIS3_Lb0EN6thrust23THRUST_200600_302600_NS10device_ptrIiEEPS5_jNS0_19identity_decomposerEEE10hipError_tT1_T2_PT3_SH_jT4_jjP12ihipStream_tbEUlT_E_NS1_11comp_targetILNS1_3genE0ELNS1_11target_archE4294967295ELNS1_3gpuE0ELNS1_3repE0EEENS1_52radix_sort_onesweep_histogram_config_static_selectorELNS0_4arch9wavefront6targetE0EEEvSF_.uses_flat_scratch, 0
	.set _ZN7rocprim17ROCPRIM_400000_NS6detail17trampoline_kernelINS0_14default_configENS1_35radix_sort_onesweep_config_selectorIiNS0_10empty_typeEEEZNS1_34radix_sort_onesweep_global_offsetsIS3_Lb0EN6thrust23THRUST_200600_302600_NS10device_ptrIiEEPS5_jNS0_19identity_decomposerEEE10hipError_tT1_T2_PT3_SH_jT4_jjP12ihipStream_tbEUlT_E_NS1_11comp_targetILNS1_3genE0ELNS1_11target_archE4294967295ELNS1_3gpuE0ELNS1_3repE0EEENS1_52radix_sort_onesweep_histogram_config_static_selectorELNS0_4arch9wavefront6targetE0EEEvSF_.has_dyn_sized_stack, 0
	.set _ZN7rocprim17ROCPRIM_400000_NS6detail17trampoline_kernelINS0_14default_configENS1_35radix_sort_onesweep_config_selectorIiNS0_10empty_typeEEEZNS1_34radix_sort_onesweep_global_offsetsIS3_Lb0EN6thrust23THRUST_200600_302600_NS10device_ptrIiEEPS5_jNS0_19identity_decomposerEEE10hipError_tT1_T2_PT3_SH_jT4_jjP12ihipStream_tbEUlT_E_NS1_11comp_targetILNS1_3genE0ELNS1_11target_archE4294967295ELNS1_3gpuE0ELNS1_3repE0EEENS1_52radix_sort_onesweep_histogram_config_static_selectorELNS0_4arch9wavefront6targetE0EEEvSF_.has_recursion, 0
	.set _ZN7rocprim17ROCPRIM_400000_NS6detail17trampoline_kernelINS0_14default_configENS1_35radix_sort_onesweep_config_selectorIiNS0_10empty_typeEEEZNS1_34radix_sort_onesweep_global_offsetsIS3_Lb0EN6thrust23THRUST_200600_302600_NS10device_ptrIiEEPS5_jNS0_19identity_decomposerEEE10hipError_tT1_T2_PT3_SH_jT4_jjP12ihipStream_tbEUlT_E_NS1_11comp_targetILNS1_3genE0ELNS1_11target_archE4294967295ELNS1_3gpuE0ELNS1_3repE0EEENS1_52radix_sort_onesweep_histogram_config_static_selectorELNS0_4arch9wavefront6targetE0EEEvSF_.has_indirect_call, 0
	.section	.AMDGPU.csdata,"",@progbits
; Kernel info:
; codeLenInByte = 0
; TotalNumSgprs: 0
; NumVgprs: 0
; ScratchSize: 0
; MemoryBound: 0
; FloatMode: 240
; IeeeMode: 1
; LDSByteSize: 0 bytes/workgroup (compile time only)
; SGPRBlocks: 0
; VGPRBlocks: 0
; NumSGPRsForWavesPerEU: 1
; NumVGPRsForWavesPerEU: 1
; Occupancy: 16
; WaveLimiterHint : 0
; COMPUTE_PGM_RSRC2:SCRATCH_EN: 0
; COMPUTE_PGM_RSRC2:USER_SGPR: 6
; COMPUTE_PGM_RSRC2:TRAP_HANDLER: 0
; COMPUTE_PGM_RSRC2:TGID_X_EN: 1
; COMPUTE_PGM_RSRC2:TGID_Y_EN: 0
; COMPUTE_PGM_RSRC2:TGID_Z_EN: 0
; COMPUTE_PGM_RSRC2:TIDIG_COMP_CNT: 0
	.section	.text._ZN7rocprim17ROCPRIM_400000_NS6detail17trampoline_kernelINS0_14default_configENS1_35radix_sort_onesweep_config_selectorIiNS0_10empty_typeEEEZNS1_34radix_sort_onesweep_global_offsetsIS3_Lb0EN6thrust23THRUST_200600_302600_NS10device_ptrIiEEPS5_jNS0_19identity_decomposerEEE10hipError_tT1_T2_PT3_SH_jT4_jjP12ihipStream_tbEUlT_E_NS1_11comp_targetILNS1_3genE6ELNS1_11target_archE950ELNS1_3gpuE13ELNS1_3repE0EEENS1_52radix_sort_onesweep_histogram_config_static_selectorELNS0_4arch9wavefront6targetE0EEEvSF_,"axG",@progbits,_ZN7rocprim17ROCPRIM_400000_NS6detail17trampoline_kernelINS0_14default_configENS1_35radix_sort_onesweep_config_selectorIiNS0_10empty_typeEEEZNS1_34radix_sort_onesweep_global_offsetsIS3_Lb0EN6thrust23THRUST_200600_302600_NS10device_ptrIiEEPS5_jNS0_19identity_decomposerEEE10hipError_tT1_T2_PT3_SH_jT4_jjP12ihipStream_tbEUlT_E_NS1_11comp_targetILNS1_3genE6ELNS1_11target_archE950ELNS1_3gpuE13ELNS1_3repE0EEENS1_52radix_sort_onesweep_histogram_config_static_selectorELNS0_4arch9wavefront6targetE0EEEvSF_,comdat
	.protected	_ZN7rocprim17ROCPRIM_400000_NS6detail17trampoline_kernelINS0_14default_configENS1_35radix_sort_onesweep_config_selectorIiNS0_10empty_typeEEEZNS1_34radix_sort_onesweep_global_offsetsIS3_Lb0EN6thrust23THRUST_200600_302600_NS10device_ptrIiEEPS5_jNS0_19identity_decomposerEEE10hipError_tT1_T2_PT3_SH_jT4_jjP12ihipStream_tbEUlT_E_NS1_11comp_targetILNS1_3genE6ELNS1_11target_archE950ELNS1_3gpuE13ELNS1_3repE0EEENS1_52radix_sort_onesweep_histogram_config_static_selectorELNS0_4arch9wavefront6targetE0EEEvSF_ ; -- Begin function _ZN7rocprim17ROCPRIM_400000_NS6detail17trampoline_kernelINS0_14default_configENS1_35radix_sort_onesweep_config_selectorIiNS0_10empty_typeEEEZNS1_34radix_sort_onesweep_global_offsetsIS3_Lb0EN6thrust23THRUST_200600_302600_NS10device_ptrIiEEPS5_jNS0_19identity_decomposerEEE10hipError_tT1_T2_PT3_SH_jT4_jjP12ihipStream_tbEUlT_E_NS1_11comp_targetILNS1_3genE6ELNS1_11target_archE950ELNS1_3gpuE13ELNS1_3repE0EEENS1_52radix_sort_onesweep_histogram_config_static_selectorELNS0_4arch9wavefront6targetE0EEEvSF_
	.globl	_ZN7rocprim17ROCPRIM_400000_NS6detail17trampoline_kernelINS0_14default_configENS1_35radix_sort_onesweep_config_selectorIiNS0_10empty_typeEEEZNS1_34radix_sort_onesweep_global_offsetsIS3_Lb0EN6thrust23THRUST_200600_302600_NS10device_ptrIiEEPS5_jNS0_19identity_decomposerEEE10hipError_tT1_T2_PT3_SH_jT4_jjP12ihipStream_tbEUlT_E_NS1_11comp_targetILNS1_3genE6ELNS1_11target_archE950ELNS1_3gpuE13ELNS1_3repE0EEENS1_52radix_sort_onesweep_histogram_config_static_selectorELNS0_4arch9wavefront6targetE0EEEvSF_
	.p2align	8
	.type	_ZN7rocprim17ROCPRIM_400000_NS6detail17trampoline_kernelINS0_14default_configENS1_35radix_sort_onesweep_config_selectorIiNS0_10empty_typeEEEZNS1_34radix_sort_onesweep_global_offsetsIS3_Lb0EN6thrust23THRUST_200600_302600_NS10device_ptrIiEEPS5_jNS0_19identity_decomposerEEE10hipError_tT1_T2_PT3_SH_jT4_jjP12ihipStream_tbEUlT_E_NS1_11comp_targetILNS1_3genE6ELNS1_11target_archE950ELNS1_3gpuE13ELNS1_3repE0EEENS1_52radix_sort_onesweep_histogram_config_static_selectorELNS0_4arch9wavefront6targetE0EEEvSF_,@function
_ZN7rocprim17ROCPRIM_400000_NS6detail17trampoline_kernelINS0_14default_configENS1_35radix_sort_onesweep_config_selectorIiNS0_10empty_typeEEEZNS1_34radix_sort_onesweep_global_offsetsIS3_Lb0EN6thrust23THRUST_200600_302600_NS10device_ptrIiEEPS5_jNS0_19identity_decomposerEEE10hipError_tT1_T2_PT3_SH_jT4_jjP12ihipStream_tbEUlT_E_NS1_11comp_targetILNS1_3genE6ELNS1_11target_archE950ELNS1_3gpuE13ELNS1_3repE0EEENS1_52radix_sort_onesweep_histogram_config_static_selectorELNS0_4arch9wavefront6targetE0EEEvSF_: ; @_ZN7rocprim17ROCPRIM_400000_NS6detail17trampoline_kernelINS0_14default_configENS1_35radix_sort_onesweep_config_selectorIiNS0_10empty_typeEEEZNS1_34radix_sort_onesweep_global_offsetsIS3_Lb0EN6thrust23THRUST_200600_302600_NS10device_ptrIiEEPS5_jNS0_19identity_decomposerEEE10hipError_tT1_T2_PT3_SH_jT4_jjP12ihipStream_tbEUlT_E_NS1_11comp_targetILNS1_3genE6ELNS1_11target_archE950ELNS1_3gpuE13ELNS1_3repE0EEENS1_52radix_sort_onesweep_histogram_config_static_selectorELNS0_4arch9wavefront6targetE0EEEvSF_
; %bb.0:
	.section	.rodata,"a",@progbits
	.p2align	6, 0x0
	.amdhsa_kernel _ZN7rocprim17ROCPRIM_400000_NS6detail17trampoline_kernelINS0_14default_configENS1_35radix_sort_onesweep_config_selectorIiNS0_10empty_typeEEEZNS1_34radix_sort_onesweep_global_offsetsIS3_Lb0EN6thrust23THRUST_200600_302600_NS10device_ptrIiEEPS5_jNS0_19identity_decomposerEEE10hipError_tT1_T2_PT3_SH_jT4_jjP12ihipStream_tbEUlT_E_NS1_11comp_targetILNS1_3genE6ELNS1_11target_archE950ELNS1_3gpuE13ELNS1_3repE0EEENS1_52radix_sort_onesweep_histogram_config_static_selectorELNS0_4arch9wavefront6targetE0EEEvSF_
		.amdhsa_group_segment_fixed_size 0
		.amdhsa_private_segment_fixed_size 0
		.amdhsa_kernarg_size 40
		.amdhsa_user_sgpr_count 6
		.amdhsa_user_sgpr_private_segment_buffer 1
		.amdhsa_user_sgpr_dispatch_ptr 0
		.amdhsa_user_sgpr_queue_ptr 0
		.amdhsa_user_sgpr_kernarg_segment_ptr 1
		.amdhsa_user_sgpr_dispatch_id 0
		.amdhsa_user_sgpr_flat_scratch_init 0
		.amdhsa_user_sgpr_private_segment_size 0
		.amdhsa_wavefront_size32 1
		.amdhsa_uses_dynamic_stack 0
		.amdhsa_system_sgpr_private_segment_wavefront_offset 0
		.amdhsa_system_sgpr_workgroup_id_x 1
		.amdhsa_system_sgpr_workgroup_id_y 0
		.amdhsa_system_sgpr_workgroup_id_z 0
		.amdhsa_system_sgpr_workgroup_info 0
		.amdhsa_system_vgpr_workitem_id 0
		.amdhsa_next_free_vgpr 1
		.amdhsa_next_free_sgpr 1
		.amdhsa_reserve_vcc 0
		.amdhsa_reserve_flat_scratch 0
		.amdhsa_float_round_mode_32 0
		.amdhsa_float_round_mode_16_64 0
		.amdhsa_float_denorm_mode_32 3
		.amdhsa_float_denorm_mode_16_64 3
		.amdhsa_dx10_clamp 1
		.amdhsa_ieee_mode 1
		.amdhsa_fp16_overflow 0
		.amdhsa_workgroup_processor_mode 1
		.amdhsa_memory_ordered 1
		.amdhsa_forward_progress 1
		.amdhsa_shared_vgpr_count 0
		.amdhsa_exception_fp_ieee_invalid_op 0
		.amdhsa_exception_fp_denorm_src 0
		.amdhsa_exception_fp_ieee_div_zero 0
		.amdhsa_exception_fp_ieee_overflow 0
		.amdhsa_exception_fp_ieee_underflow 0
		.amdhsa_exception_fp_ieee_inexact 0
		.amdhsa_exception_int_div_zero 0
	.end_amdhsa_kernel
	.section	.text._ZN7rocprim17ROCPRIM_400000_NS6detail17trampoline_kernelINS0_14default_configENS1_35radix_sort_onesweep_config_selectorIiNS0_10empty_typeEEEZNS1_34radix_sort_onesweep_global_offsetsIS3_Lb0EN6thrust23THRUST_200600_302600_NS10device_ptrIiEEPS5_jNS0_19identity_decomposerEEE10hipError_tT1_T2_PT3_SH_jT4_jjP12ihipStream_tbEUlT_E_NS1_11comp_targetILNS1_3genE6ELNS1_11target_archE950ELNS1_3gpuE13ELNS1_3repE0EEENS1_52radix_sort_onesweep_histogram_config_static_selectorELNS0_4arch9wavefront6targetE0EEEvSF_,"axG",@progbits,_ZN7rocprim17ROCPRIM_400000_NS6detail17trampoline_kernelINS0_14default_configENS1_35radix_sort_onesweep_config_selectorIiNS0_10empty_typeEEEZNS1_34radix_sort_onesweep_global_offsetsIS3_Lb0EN6thrust23THRUST_200600_302600_NS10device_ptrIiEEPS5_jNS0_19identity_decomposerEEE10hipError_tT1_T2_PT3_SH_jT4_jjP12ihipStream_tbEUlT_E_NS1_11comp_targetILNS1_3genE6ELNS1_11target_archE950ELNS1_3gpuE13ELNS1_3repE0EEENS1_52radix_sort_onesweep_histogram_config_static_selectorELNS0_4arch9wavefront6targetE0EEEvSF_,comdat
.Lfunc_end1218:
	.size	_ZN7rocprim17ROCPRIM_400000_NS6detail17trampoline_kernelINS0_14default_configENS1_35radix_sort_onesweep_config_selectorIiNS0_10empty_typeEEEZNS1_34radix_sort_onesweep_global_offsetsIS3_Lb0EN6thrust23THRUST_200600_302600_NS10device_ptrIiEEPS5_jNS0_19identity_decomposerEEE10hipError_tT1_T2_PT3_SH_jT4_jjP12ihipStream_tbEUlT_E_NS1_11comp_targetILNS1_3genE6ELNS1_11target_archE950ELNS1_3gpuE13ELNS1_3repE0EEENS1_52radix_sort_onesweep_histogram_config_static_selectorELNS0_4arch9wavefront6targetE0EEEvSF_, .Lfunc_end1218-_ZN7rocprim17ROCPRIM_400000_NS6detail17trampoline_kernelINS0_14default_configENS1_35radix_sort_onesweep_config_selectorIiNS0_10empty_typeEEEZNS1_34radix_sort_onesweep_global_offsetsIS3_Lb0EN6thrust23THRUST_200600_302600_NS10device_ptrIiEEPS5_jNS0_19identity_decomposerEEE10hipError_tT1_T2_PT3_SH_jT4_jjP12ihipStream_tbEUlT_E_NS1_11comp_targetILNS1_3genE6ELNS1_11target_archE950ELNS1_3gpuE13ELNS1_3repE0EEENS1_52radix_sort_onesweep_histogram_config_static_selectorELNS0_4arch9wavefront6targetE0EEEvSF_
                                        ; -- End function
	.set _ZN7rocprim17ROCPRIM_400000_NS6detail17trampoline_kernelINS0_14default_configENS1_35radix_sort_onesweep_config_selectorIiNS0_10empty_typeEEEZNS1_34radix_sort_onesweep_global_offsetsIS3_Lb0EN6thrust23THRUST_200600_302600_NS10device_ptrIiEEPS5_jNS0_19identity_decomposerEEE10hipError_tT1_T2_PT3_SH_jT4_jjP12ihipStream_tbEUlT_E_NS1_11comp_targetILNS1_3genE6ELNS1_11target_archE950ELNS1_3gpuE13ELNS1_3repE0EEENS1_52radix_sort_onesweep_histogram_config_static_selectorELNS0_4arch9wavefront6targetE0EEEvSF_.num_vgpr, 0
	.set _ZN7rocprim17ROCPRIM_400000_NS6detail17trampoline_kernelINS0_14default_configENS1_35radix_sort_onesweep_config_selectorIiNS0_10empty_typeEEEZNS1_34radix_sort_onesweep_global_offsetsIS3_Lb0EN6thrust23THRUST_200600_302600_NS10device_ptrIiEEPS5_jNS0_19identity_decomposerEEE10hipError_tT1_T2_PT3_SH_jT4_jjP12ihipStream_tbEUlT_E_NS1_11comp_targetILNS1_3genE6ELNS1_11target_archE950ELNS1_3gpuE13ELNS1_3repE0EEENS1_52radix_sort_onesweep_histogram_config_static_selectorELNS0_4arch9wavefront6targetE0EEEvSF_.num_agpr, 0
	.set _ZN7rocprim17ROCPRIM_400000_NS6detail17trampoline_kernelINS0_14default_configENS1_35radix_sort_onesweep_config_selectorIiNS0_10empty_typeEEEZNS1_34radix_sort_onesweep_global_offsetsIS3_Lb0EN6thrust23THRUST_200600_302600_NS10device_ptrIiEEPS5_jNS0_19identity_decomposerEEE10hipError_tT1_T2_PT3_SH_jT4_jjP12ihipStream_tbEUlT_E_NS1_11comp_targetILNS1_3genE6ELNS1_11target_archE950ELNS1_3gpuE13ELNS1_3repE0EEENS1_52radix_sort_onesweep_histogram_config_static_selectorELNS0_4arch9wavefront6targetE0EEEvSF_.numbered_sgpr, 0
	.set _ZN7rocprim17ROCPRIM_400000_NS6detail17trampoline_kernelINS0_14default_configENS1_35radix_sort_onesweep_config_selectorIiNS0_10empty_typeEEEZNS1_34radix_sort_onesweep_global_offsetsIS3_Lb0EN6thrust23THRUST_200600_302600_NS10device_ptrIiEEPS5_jNS0_19identity_decomposerEEE10hipError_tT1_T2_PT3_SH_jT4_jjP12ihipStream_tbEUlT_E_NS1_11comp_targetILNS1_3genE6ELNS1_11target_archE950ELNS1_3gpuE13ELNS1_3repE0EEENS1_52radix_sort_onesweep_histogram_config_static_selectorELNS0_4arch9wavefront6targetE0EEEvSF_.num_named_barrier, 0
	.set _ZN7rocprim17ROCPRIM_400000_NS6detail17trampoline_kernelINS0_14default_configENS1_35radix_sort_onesweep_config_selectorIiNS0_10empty_typeEEEZNS1_34radix_sort_onesweep_global_offsetsIS3_Lb0EN6thrust23THRUST_200600_302600_NS10device_ptrIiEEPS5_jNS0_19identity_decomposerEEE10hipError_tT1_T2_PT3_SH_jT4_jjP12ihipStream_tbEUlT_E_NS1_11comp_targetILNS1_3genE6ELNS1_11target_archE950ELNS1_3gpuE13ELNS1_3repE0EEENS1_52radix_sort_onesweep_histogram_config_static_selectorELNS0_4arch9wavefront6targetE0EEEvSF_.private_seg_size, 0
	.set _ZN7rocprim17ROCPRIM_400000_NS6detail17trampoline_kernelINS0_14default_configENS1_35radix_sort_onesweep_config_selectorIiNS0_10empty_typeEEEZNS1_34radix_sort_onesweep_global_offsetsIS3_Lb0EN6thrust23THRUST_200600_302600_NS10device_ptrIiEEPS5_jNS0_19identity_decomposerEEE10hipError_tT1_T2_PT3_SH_jT4_jjP12ihipStream_tbEUlT_E_NS1_11comp_targetILNS1_3genE6ELNS1_11target_archE950ELNS1_3gpuE13ELNS1_3repE0EEENS1_52radix_sort_onesweep_histogram_config_static_selectorELNS0_4arch9wavefront6targetE0EEEvSF_.uses_vcc, 0
	.set _ZN7rocprim17ROCPRIM_400000_NS6detail17trampoline_kernelINS0_14default_configENS1_35radix_sort_onesweep_config_selectorIiNS0_10empty_typeEEEZNS1_34radix_sort_onesweep_global_offsetsIS3_Lb0EN6thrust23THRUST_200600_302600_NS10device_ptrIiEEPS5_jNS0_19identity_decomposerEEE10hipError_tT1_T2_PT3_SH_jT4_jjP12ihipStream_tbEUlT_E_NS1_11comp_targetILNS1_3genE6ELNS1_11target_archE950ELNS1_3gpuE13ELNS1_3repE0EEENS1_52radix_sort_onesweep_histogram_config_static_selectorELNS0_4arch9wavefront6targetE0EEEvSF_.uses_flat_scratch, 0
	.set _ZN7rocprim17ROCPRIM_400000_NS6detail17trampoline_kernelINS0_14default_configENS1_35radix_sort_onesweep_config_selectorIiNS0_10empty_typeEEEZNS1_34radix_sort_onesweep_global_offsetsIS3_Lb0EN6thrust23THRUST_200600_302600_NS10device_ptrIiEEPS5_jNS0_19identity_decomposerEEE10hipError_tT1_T2_PT3_SH_jT4_jjP12ihipStream_tbEUlT_E_NS1_11comp_targetILNS1_3genE6ELNS1_11target_archE950ELNS1_3gpuE13ELNS1_3repE0EEENS1_52radix_sort_onesweep_histogram_config_static_selectorELNS0_4arch9wavefront6targetE0EEEvSF_.has_dyn_sized_stack, 0
	.set _ZN7rocprim17ROCPRIM_400000_NS6detail17trampoline_kernelINS0_14default_configENS1_35radix_sort_onesweep_config_selectorIiNS0_10empty_typeEEEZNS1_34radix_sort_onesweep_global_offsetsIS3_Lb0EN6thrust23THRUST_200600_302600_NS10device_ptrIiEEPS5_jNS0_19identity_decomposerEEE10hipError_tT1_T2_PT3_SH_jT4_jjP12ihipStream_tbEUlT_E_NS1_11comp_targetILNS1_3genE6ELNS1_11target_archE950ELNS1_3gpuE13ELNS1_3repE0EEENS1_52radix_sort_onesweep_histogram_config_static_selectorELNS0_4arch9wavefront6targetE0EEEvSF_.has_recursion, 0
	.set _ZN7rocprim17ROCPRIM_400000_NS6detail17trampoline_kernelINS0_14default_configENS1_35radix_sort_onesweep_config_selectorIiNS0_10empty_typeEEEZNS1_34radix_sort_onesweep_global_offsetsIS3_Lb0EN6thrust23THRUST_200600_302600_NS10device_ptrIiEEPS5_jNS0_19identity_decomposerEEE10hipError_tT1_T2_PT3_SH_jT4_jjP12ihipStream_tbEUlT_E_NS1_11comp_targetILNS1_3genE6ELNS1_11target_archE950ELNS1_3gpuE13ELNS1_3repE0EEENS1_52radix_sort_onesweep_histogram_config_static_selectorELNS0_4arch9wavefront6targetE0EEEvSF_.has_indirect_call, 0
	.section	.AMDGPU.csdata,"",@progbits
; Kernel info:
; codeLenInByte = 0
; TotalNumSgprs: 0
; NumVgprs: 0
; ScratchSize: 0
; MemoryBound: 0
; FloatMode: 240
; IeeeMode: 1
; LDSByteSize: 0 bytes/workgroup (compile time only)
; SGPRBlocks: 0
; VGPRBlocks: 0
; NumSGPRsForWavesPerEU: 1
; NumVGPRsForWavesPerEU: 1
; Occupancy: 16
; WaveLimiterHint : 0
; COMPUTE_PGM_RSRC2:SCRATCH_EN: 0
; COMPUTE_PGM_RSRC2:USER_SGPR: 6
; COMPUTE_PGM_RSRC2:TRAP_HANDLER: 0
; COMPUTE_PGM_RSRC2:TGID_X_EN: 1
; COMPUTE_PGM_RSRC2:TGID_Y_EN: 0
; COMPUTE_PGM_RSRC2:TGID_Z_EN: 0
; COMPUTE_PGM_RSRC2:TIDIG_COMP_CNT: 0
	.section	.text._ZN7rocprim17ROCPRIM_400000_NS6detail17trampoline_kernelINS0_14default_configENS1_35radix_sort_onesweep_config_selectorIiNS0_10empty_typeEEEZNS1_34radix_sort_onesweep_global_offsetsIS3_Lb0EN6thrust23THRUST_200600_302600_NS10device_ptrIiEEPS5_jNS0_19identity_decomposerEEE10hipError_tT1_T2_PT3_SH_jT4_jjP12ihipStream_tbEUlT_E_NS1_11comp_targetILNS1_3genE5ELNS1_11target_archE942ELNS1_3gpuE9ELNS1_3repE0EEENS1_52radix_sort_onesweep_histogram_config_static_selectorELNS0_4arch9wavefront6targetE0EEEvSF_,"axG",@progbits,_ZN7rocprim17ROCPRIM_400000_NS6detail17trampoline_kernelINS0_14default_configENS1_35radix_sort_onesweep_config_selectorIiNS0_10empty_typeEEEZNS1_34radix_sort_onesweep_global_offsetsIS3_Lb0EN6thrust23THRUST_200600_302600_NS10device_ptrIiEEPS5_jNS0_19identity_decomposerEEE10hipError_tT1_T2_PT3_SH_jT4_jjP12ihipStream_tbEUlT_E_NS1_11comp_targetILNS1_3genE5ELNS1_11target_archE942ELNS1_3gpuE9ELNS1_3repE0EEENS1_52radix_sort_onesweep_histogram_config_static_selectorELNS0_4arch9wavefront6targetE0EEEvSF_,comdat
	.protected	_ZN7rocprim17ROCPRIM_400000_NS6detail17trampoline_kernelINS0_14default_configENS1_35radix_sort_onesweep_config_selectorIiNS0_10empty_typeEEEZNS1_34radix_sort_onesweep_global_offsetsIS3_Lb0EN6thrust23THRUST_200600_302600_NS10device_ptrIiEEPS5_jNS0_19identity_decomposerEEE10hipError_tT1_T2_PT3_SH_jT4_jjP12ihipStream_tbEUlT_E_NS1_11comp_targetILNS1_3genE5ELNS1_11target_archE942ELNS1_3gpuE9ELNS1_3repE0EEENS1_52radix_sort_onesweep_histogram_config_static_selectorELNS0_4arch9wavefront6targetE0EEEvSF_ ; -- Begin function _ZN7rocprim17ROCPRIM_400000_NS6detail17trampoline_kernelINS0_14default_configENS1_35radix_sort_onesweep_config_selectorIiNS0_10empty_typeEEEZNS1_34radix_sort_onesweep_global_offsetsIS3_Lb0EN6thrust23THRUST_200600_302600_NS10device_ptrIiEEPS5_jNS0_19identity_decomposerEEE10hipError_tT1_T2_PT3_SH_jT4_jjP12ihipStream_tbEUlT_E_NS1_11comp_targetILNS1_3genE5ELNS1_11target_archE942ELNS1_3gpuE9ELNS1_3repE0EEENS1_52radix_sort_onesweep_histogram_config_static_selectorELNS0_4arch9wavefront6targetE0EEEvSF_
	.globl	_ZN7rocprim17ROCPRIM_400000_NS6detail17trampoline_kernelINS0_14default_configENS1_35radix_sort_onesweep_config_selectorIiNS0_10empty_typeEEEZNS1_34radix_sort_onesweep_global_offsetsIS3_Lb0EN6thrust23THRUST_200600_302600_NS10device_ptrIiEEPS5_jNS0_19identity_decomposerEEE10hipError_tT1_T2_PT3_SH_jT4_jjP12ihipStream_tbEUlT_E_NS1_11comp_targetILNS1_3genE5ELNS1_11target_archE942ELNS1_3gpuE9ELNS1_3repE0EEENS1_52radix_sort_onesweep_histogram_config_static_selectorELNS0_4arch9wavefront6targetE0EEEvSF_
	.p2align	8
	.type	_ZN7rocprim17ROCPRIM_400000_NS6detail17trampoline_kernelINS0_14default_configENS1_35radix_sort_onesweep_config_selectorIiNS0_10empty_typeEEEZNS1_34radix_sort_onesweep_global_offsetsIS3_Lb0EN6thrust23THRUST_200600_302600_NS10device_ptrIiEEPS5_jNS0_19identity_decomposerEEE10hipError_tT1_T2_PT3_SH_jT4_jjP12ihipStream_tbEUlT_E_NS1_11comp_targetILNS1_3genE5ELNS1_11target_archE942ELNS1_3gpuE9ELNS1_3repE0EEENS1_52radix_sort_onesweep_histogram_config_static_selectorELNS0_4arch9wavefront6targetE0EEEvSF_,@function
_ZN7rocprim17ROCPRIM_400000_NS6detail17trampoline_kernelINS0_14default_configENS1_35radix_sort_onesweep_config_selectorIiNS0_10empty_typeEEEZNS1_34radix_sort_onesweep_global_offsetsIS3_Lb0EN6thrust23THRUST_200600_302600_NS10device_ptrIiEEPS5_jNS0_19identity_decomposerEEE10hipError_tT1_T2_PT3_SH_jT4_jjP12ihipStream_tbEUlT_E_NS1_11comp_targetILNS1_3genE5ELNS1_11target_archE942ELNS1_3gpuE9ELNS1_3repE0EEENS1_52radix_sort_onesweep_histogram_config_static_selectorELNS0_4arch9wavefront6targetE0EEEvSF_: ; @_ZN7rocprim17ROCPRIM_400000_NS6detail17trampoline_kernelINS0_14default_configENS1_35radix_sort_onesweep_config_selectorIiNS0_10empty_typeEEEZNS1_34radix_sort_onesweep_global_offsetsIS3_Lb0EN6thrust23THRUST_200600_302600_NS10device_ptrIiEEPS5_jNS0_19identity_decomposerEEE10hipError_tT1_T2_PT3_SH_jT4_jjP12ihipStream_tbEUlT_E_NS1_11comp_targetILNS1_3genE5ELNS1_11target_archE942ELNS1_3gpuE9ELNS1_3repE0EEENS1_52radix_sort_onesweep_histogram_config_static_selectorELNS0_4arch9wavefront6targetE0EEEvSF_
; %bb.0:
	.section	.rodata,"a",@progbits
	.p2align	6, 0x0
	.amdhsa_kernel _ZN7rocprim17ROCPRIM_400000_NS6detail17trampoline_kernelINS0_14default_configENS1_35radix_sort_onesweep_config_selectorIiNS0_10empty_typeEEEZNS1_34radix_sort_onesweep_global_offsetsIS3_Lb0EN6thrust23THRUST_200600_302600_NS10device_ptrIiEEPS5_jNS0_19identity_decomposerEEE10hipError_tT1_T2_PT3_SH_jT4_jjP12ihipStream_tbEUlT_E_NS1_11comp_targetILNS1_3genE5ELNS1_11target_archE942ELNS1_3gpuE9ELNS1_3repE0EEENS1_52radix_sort_onesweep_histogram_config_static_selectorELNS0_4arch9wavefront6targetE0EEEvSF_
		.amdhsa_group_segment_fixed_size 0
		.amdhsa_private_segment_fixed_size 0
		.amdhsa_kernarg_size 40
		.amdhsa_user_sgpr_count 6
		.amdhsa_user_sgpr_private_segment_buffer 1
		.amdhsa_user_sgpr_dispatch_ptr 0
		.amdhsa_user_sgpr_queue_ptr 0
		.amdhsa_user_sgpr_kernarg_segment_ptr 1
		.amdhsa_user_sgpr_dispatch_id 0
		.amdhsa_user_sgpr_flat_scratch_init 0
		.amdhsa_user_sgpr_private_segment_size 0
		.amdhsa_wavefront_size32 1
		.amdhsa_uses_dynamic_stack 0
		.amdhsa_system_sgpr_private_segment_wavefront_offset 0
		.amdhsa_system_sgpr_workgroup_id_x 1
		.amdhsa_system_sgpr_workgroup_id_y 0
		.amdhsa_system_sgpr_workgroup_id_z 0
		.amdhsa_system_sgpr_workgroup_info 0
		.amdhsa_system_vgpr_workitem_id 0
		.amdhsa_next_free_vgpr 1
		.amdhsa_next_free_sgpr 1
		.amdhsa_reserve_vcc 0
		.amdhsa_reserve_flat_scratch 0
		.amdhsa_float_round_mode_32 0
		.amdhsa_float_round_mode_16_64 0
		.amdhsa_float_denorm_mode_32 3
		.amdhsa_float_denorm_mode_16_64 3
		.amdhsa_dx10_clamp 1
		.amdhsa_ieee_mode 1
		.amdhsa_fp16_overflow 0
		.amdhsa_workgroup_processor_mode 1
		.amdhsa_memory_ordered 1
		.amdhsa_forward_progress 1
		.amdhsa_shared_vgpr_count 0
		.amdhsa_exception_fp_ieee_invalid_op 0
		.amdhsa_exception_fp_denorm_src 0
		.amdhsa_exception_fp_ieee_div_zero 0
		.amdhsa_exception_fp_ieee_overflow 0
		.amdhsa_exception_fp_ieee_underflow 0
		.amdhsa_exception_fp_ieee_inexact 0
		.amdhsa_exception_int_div_zero 0
	.end_amdhsa_kernel
	.section	.text._ZN7rocprim17ROCPRIM_400000_NS6detail17trampoline_kernelINS0_14default_configENS1_35radix_sort_onesweep_config_selectorIiNS0_10empty_typeEEEZNS1_34radix_sort_onesweep_global_offsetsIS3_Lb0EN6thrust23THRUST_200600_302600_NS10device_ptrIiEEPS5_jNS0_19identity_decomposerEEE10hipError_tT1_T2_PT3_SH_jT4_jjP12ihipStream_tbEUlT_E_NS1_11comp_targetILNS1_3genE5ELNS1_11target_archE942ELNS1_3gpuE9ELNS1_3repE0EEENS1_52radix_sort_onesweep_histogram_config_static_selectorELNS0_4arch9wavefront6targetE0EEEvSF_,"axG",@progbits,_ZN7rocprim17ROCPRIM_400000_NS6detail17trampoline_kernelINS0_14default_configENS1_35radix_sort_onesweep_config_selectorIiNS0_10empty_typeEEEZNS1_34radix_sort_onesweep_global_offsetsIS3_Lb0EN6thrust23THRUST_200600_302600_NS10device_ptrIiEEPS5_jNS0_19identity_decomposerEEE10hipError_tT1_T2_PT3_SH_jT4_jjP12ihipStream_tbEUlT_E_NS1_11comp_targetILNS1_3genE5ELNS1_11target_archE942ELNS1_3gpuE9ELNS1_3repE0EEENS1_52radix_sort_onesweep_histogram_config_static_selectorELNS0_4arch9wavefront6targetE0EEEvSF_,comdat
.Lfunc_end1219:
	.size	_ZN7rocprim17ROCPRIM_400000_NS6detail17trampoline_kernelINS0_14default_configENS1_35radix_sort_onesweep_config_selectorIiNS0_10empty_typeEEEZNS1_34radix_sort_onesweep_global_offsetsIS3_Lb0EN6thrust23THRUST_200600_302600_NS10device_ptrIiEEPS5_jNS0_19identity_decomposerEEE10hipError_tT1_T2_PT3_SH_jT4_jjP12ihipStream_tbEUlT_E_NS1_11comp_targetILNS1_3genE5ELNS1_11target_archE942ELNS1_3gpuE9ELNS1_3repE0EEENS1_52radix_sort_onesweep_histogram_config_static_selectorELNS0_4arch9wavefront6targetE0EEEvSF_, .Lfunc_end1219-_ZN7rocprim17ROCPRIM_400000_NS6detail17trampoline_kernelINS0_14default_configENS1_35radix_sort_onesweep_config_selectorIiNS0_10empty_typeEEEZNS1_34radix_sort_onesweep_global_offsetsIS3_Lb0EN6thrust23THRUST_200600_302600_NS10device_ptrIiEEPS5_jNS0_19identity_decomposerEEE10hipError_tT1_T2_PT3_SH_jT4_jjP12ihipStream_tbEUlT_E_NS1_11comp_targetILNS1_3genE5ELNS1_11target_archE942ELNS1_3gpuE9ELNS1_3repE0EEENS1_52radix_sort_onesweep_histogram_config_static_selectorELNS0_4arch9wavefront6targetE0EEEvSF_
                                        ; -- End function
	.set _ZN7rocprim17ROCPRIM_400000_NS6detail17trampoline_kernelINS0_14default_configENS1_35radix_sort_onesweep_config_selectorIiNS0_10empty_typeEEEZNS1_34radix_sort_onesweep_global_offsetsIS3_Lb0EN6thrust23THRUST_200600_302600_NS10device_ptrIiEEPS5_jNS0_19identity_decomposerEEE10hipError_tT1_T2_PT3_SH_jT4_jjP12ihipStream_tbEUlT_E_NS1_11comp_targetILNS1_3genE5ELNS1_11target_archE942ELNS1_3gpuE9ELNS1_3repE0EEENS1_52radix_sort_onesweep_histogram_config_static_selectorELNS0_4arch9wavefront6targetE0EEEvSF_.num_vgpr, 0
	.set _ZN7rocprim17ROCPRIM_400000_NS6detail17trampoline_kernelINS0_14default_configENS1_35radix_sort_onesweep_config_selectorIiNS0_10empty_typeEEEZNS1_34radix_sort_onesweep_global_offsetsIS3_Lb0EN6thrust23THRUST_200600_302600_NS10device_ptrIiEEPS5_jNS0_19identity_decomposerEEE10hipError_tT1_T2_PT3_SH_jT4_jjP12ihipStream_tbEUlT_E_NS1_11comp_targetILNS1_3genE5ELNS1_11target_archE942ELNS1_3gpuE9ELNS1_3repE0EEENS1_52radix_sort_onesweep_histogram_config_static_selectorELNS0_4arch9wavefront6targetE0EEEvSF_.num_agpr, 0
	.set _ZN7rocprim17ROCPRIM_400000_NS6detail17trampoline_kernelINS0_14default_configENS1_35radix_sort_onesweep_config_selectorIiNS0_10empty_typeEEEZNS1_34radix_sort_onesweep_global_offsetsIS3_Lb0EN6thrust23THRUST_200600_302600_NS10device_ptrIiEEPS5_jNS0_19identity_decomposerEEE10hipError_tT1_T2_PT3_SH_jT4_jjP12ihipStream_tbEUlT_E_NS1_11comp_targetILNS1_3genE5ELNS1_11target_archE942ELNS1_3gpuE9ELNS1_3repE0EEENS1_52radix_sort_onesweep_histogram_config_static_selectorELNS0_4arch9wavefront6targetE0EEEvSF_.numbered_sgpr, 0
	.set _ZN7rocprim17ROCPRIM_400000_NS6detail17trampoline_kernelINS0_14default_configENS1_35radix_sort_onesweep_config_selectorIiNS0_10empty_typeEEEZNS1_34radix_sort_onesweep_global_offsetsIS3_Lb0EN6thrust23THRUST_200600_302600_NS10device_ptrIiEEPS5_jNS0_19identity_decomposerEEE10hipError_tT1_T2_PT3_SH_jT4_jjP12ihipStream_tbEUlT_E_NS1_11comp_targetILNS1_3genE5ELNS1_11target_archE942ELNS1_3gpuE9ELNS1_3repE0EEENS1_52radix_sort_onesweep_histogram_config_static_selectorELNS0_4arch9wavefront6targetE0EEEvSF_.num_named_barrier, 0
	.set _ZN7rocprim17ROCPRIM_400000_NS6detail17trampoline_kernelINS0_14default_configENS1_35radix_sort_onesweep_config_selectorIiNS0_10empty_typeEEEZNS1_34radix_sort_onesweep_global_offsetsIS3_Lb0EN6thrust23THRUST_200600_302600_NS10device_ptrIiEEPS5_jNS0_19identity_decomposerEEE10hipError_tT1_T2_PT3_SH_jT4_jjP12ihipStream_tbEUlT_E_NS1_11comp_targetILNS1_3genE5ELNS1_11target_archE942ELNS1_3gpuE9ELNS1_3repE0EEENS1_52radix_sort_onesweep_histogram_config_static_selectorELNS0_4arch9wavefront6targetE0EEEvSF_.private_seg_size, 0
	.set _ZN7rocprim17ROCPRIM_400000_NS6detail17trampoline_kernelINS0_14default_configENS1_35radix_sort_onesweep_config_selectorIiNS0_10empty_typeEEEZNS1_34radix_sort_onesweep_global_offsetsIS3_Lb0EN6thrust23THRUST_200600_302600_NS10device_ptrIiEEPS5_jNS0_19identity_decomposerEEE10hipError_tT1_T2_PT3_SH_jT4_jjP12ihipStream_tbEUlT_E_NS1_11comp_targetILNS1_3genE5ELNS1_11target_archE942ELNS1_3gpuE9ELNS1_3repE0EEENS1_52radix_sort_onesweep_histogram_config_static_selectorELNS0_4arch9wavefront6targetE0EEEvSF_.uses_vcc, 0
	.set _ZN7rocprim17ROCPRIM_400000_NS6detail17trampoline_kernelINS0_14default_configENS1_35radix_sort_onesweep_config_selectorIiNS0_10empty_typeEEEZNS1_34radix_sort_onesweep_global_offsetsIS3_Lb0EN6thrust23THRUST_200600_302600_NS10device_ptrIiEEPS5_jNS0_19identity_decomposerEEE10hipError_tT1_T2_PT3_SH_jT4_jjP12ihipStream_tbEUlT_E_NS1_11comp_targetILNS1_3genE5ELNS1_11target_archE942ELNS1_3gpuE9ELNS1_3repE0EEENS1_52radix_sort_onesweep_histogram_config_static_selectorELNS0_4arch9wavefront6targetE0EEEvSF_.uses_flat_scratch, 0
	.set _ZN7rocprim17ROCPRIM_400000_NS6detail17trampoline_kernelINS0_14default_configENS1_35radix_sort_onesweep_config_selectorIiNS0_10empty_typeEEEZNS1_34radix_sort_onesweep_global_offsetsIS3_Lb0EN6thrust23THRUST_200600_302600_NS10device_ptrIiEEPS5_jNS0_19identity_decomposerEEE10hipError_tT1_T2_PT3_SH_jT4_jjP12ihipStream_tbEUlT_E_NS1_11comp_targetILNS1_3genE5ELNS1_11target_archE942ELNS1_3gpuE9ELNS1_3repE0EEENS1_52radix_sort_onesweep_histogram_config_static_selectorELNS0_4arch9wavefront6targetE0EEEvSF_.has_dyn_sized_stack, 0
	.set _ZN7rocprim17ROCPRIM_400000_NS6detail17trampoline_kernelINS0_14default_configENS1_35radix_sort_onesweep_config_selectorIiNS0_10empty_typeEEEZNS1_34radix_sort_onesweep_global_offsetsIS3_Lb0EN6thrust23THRUST_200600_302600_NS10device_ptrIiEEPS5_jNS0_19identity_decomposerEEE10hipError_tT1_T2_PT3_SH_jT4_jjP12ihipStream_tbEUlT_E_NS1_11comp_targetILNS1_3genE5ELNS1_11target_archE942ELNS1_3gpuE9ELNS1_3repE0EEENS1_52radix_sort_onesweep_histogram_config_static_selectorELNS0_4arch9wavefront6targetE0EEEvSF_.has_recursion, 0
	.set _ZN7rocprim17ROCPRIM_400000_NS6detail17trampoline_kernelINS0_14default_configENS1_35radix_sort_onesweep_config_selectorIiNS0_10empty_typeEEEZNS1_34radix_sort_onesweep_global_offsetsIS3_Lb0EN6thrust23THRUST_200600_302600_NS10device_ptrIiEEPS5_jNS0_19identity_decomposerEEE10hipError_tT1_T2_PT3_SH_jT4_jjP12ihipStream_tbEUlT_E_NS1_11comp_targetILNS1_3genE5ELNS1_11target_archE942ELNS1_3gpuE9ELNS1_3repE0EEENS1_52radix_sort_onesweep_histogram_config_static_selectorELNS0_4arch9wavefront6targetE0EEEvSF_.has_indirect_call, 0
	.section	.AMDGPU.csdata,"",@progbits
; Kernel info:
; codeLenInByte = 0
; TotalNumSgprs: 0
; NumVgprs: 0
; ScratchSize: 0
; MemoryBound: 0
; FloatMode: 240
; IeeeMode: 1
; LDSByteSize: 0 bytes/workgroup (compile time only)
; SGPRBlocks: 0
; VGPRBlocks: 0
; NumSGPRsForWavesPerEU: 1
; NumVGPRsForWavesPerEU: 1
; Occupancy: 16
; WaveLimiterHint : 0
; COMPUTE_PGM_RSRC2:SCRATCH_EN: 0
; COMPUTE_PGM_RSRC2:USER_SGPR: 6
; COMPUTE_PGM_RSRC2:TRAP_HANDLER: 0
; COMPUTE_PGM_RSRC2:TGID_X_EN: 1
; COMPUTE_PGM_RSRC2:TGID_Y_EN: 0
; COMPUTE_PGM_RSRC2:TGID_Z_EN: 0
; COMPUTE_PGM_RSRC2:TIDIG_COMP_CNT: 0
	.section	.text._ZN7rocprim17ROCPRIM_400000_NS6detail17trampoline_kernelINS0_14default_configENS1_35radix_sort_onesweep_config_selectorIiNS0_10empty_typeEEEZNS1_34radix_sort_onesweep_global_offsetsIS3_Lb0EN6thrust23THRUST_200600_302600_NS10device_ptrIiEEPS5_jNS0_19identity_decomposerEEE10hipError_tT1_T2_PT3_SH_jT4_jjP12ihipStream_tbEUlT_E_NS1_11comp_targetILNS1_3genE2ELNS1_11target_archE906ELNS1_3gpuE6ELNS1_3repE0EEENS1_52radix_sort_onesweep_histogram_config_static_selectorELNS0_4arch9wavefront6targetE0EEEvSF_,"axG",@progbits,_ZN7rocprim17ROCPRIM_400000_NS6detail17trampoline_kernelINS0_14default_configENS1_35radix_sort_onesweep_config_selectorIiNS0_10empty_typeEEEZNS1_34radix_sort_onesweep_global_offsetsIS3_Lb0EN6thrust23THRUST_200600_302600_NS10device_ptrIiEEPS5_jNS0_19identity_decomposerEEE10hipError_tT1_T2_PT3_SH_jT4_jjP12ihipStream_tbEUlT_E_NS1_11comp_targetILNS1_3genE2ELNS1_11target_archE906ELNS1_3gpuE6ELNS1_3repE0EEENS1_52radix_sort_onesweep_histogram_config_static_selectorELNS0_4arch9wavefront6targetE0EEEvSF_,comdat
	.protected	_ZN7rocprim17ROCPRIM_400000_NS6detail17trampoline_kernelINS0_14default_configENS1_35radix_sort_onesweep_config_selectorIiNS0_10empty_typeEEEZNS1_34radix_sort_onesweep_global_offsetsIS3_Lb0EN6thrust23THRUST_200600_302600_NS10device_ptrIiEEPS5_jNS0_19identity_decomposerEEE10hipError_tT1_T2_PT3_SH_jT4_jjP12ihipStream_tbEUlT_E_NS1_11comp_targetILNS1_3genE2ELNS1_11target_archE906ELNS1_3gpuE6ELNS1_3repE0EEENS1_52radix_sort_onesweep_histogram_config_static_selectorELNS0_4arch9wavefront6targetE0EEEvSF_ ; -- Begin function _ZN7rocprim17ROCPRIM_400000_NS6detail17trampoline_kernelINS0_14default_configENS1_35radix_sort_onesweep_config_selectorIiNS0_10empty_typeEEEZNS1_34radix_sort_onesweep_global_offsetsIS3_Lb0EN6thrust23THRUST_200600_302600_NS10device_ptrIiEEPS5_jNS0_19identity_decomposerEEE10hipError_tT1_T2_PT3_SH_jT4_jjP12ihipStream_tbEUlT_E_NS1_11comp_targetILNS1_3genE2ELNS1_11target_archE906ELNS1_3gpuE6ELNS1_3repE0EEENS1_52radix_sort_onesweep_histogram_config_static_selectorELNS0_4arch9wavefront6targetE0EEEvSF_
	.globl	_ZN7rocprim17ROCPRIM_400000_NS6detail17trampoline_kernelINS0_14default_configENS1_35radix_sort_onesweep_config_selectorIiNS0_10empty_typeEEEZNS1_34radix_sort_onesweep_global_offsetsIS3_Lb0EN6thrust23THRUST_200600_302600_NS10device_ptrIiEEPS5_jNS0_19identity_decomposerEEE10hipError_tT1_T2_PT3_SH_jT4_jjP12ihipStream_tbEUlT_E_NS1_11comp_targetILNS1_3genE2ELNS1_11target_archE906ELNS1_3gpuE6ELNS1_3repE0EEENS1_52radix_sort_onesweep_histogram_config_static_selectorELNS0_4arch9wavefront6targetE0EEEvSF_
	.p2align	8
	.type	_ZN7rocprim17ROCPRIM_400000_NS6detail17trampoline_kernelINS0_14default_configENS1_35radix_sort_onesweep_config_selectorIiNS0_10empty_typeEEEZNS1_34radix_sort_onesweep_global_offsetsIS3_Lb0EN6thrust23THRUST_200600_302600_NS10device_ptrIiEEPS5_jNS0_19identity_decomposerEEE10hipError_tT1_T2_PT3_SH_jT4_jjP12ihipStream_tbEUlT_E_NS1_11comp_targetILNS1_3genE2ELNS1_11target_archE906ELNS1_3gpuE6ELNS1_3repE0EEENS1_52radix_sort_onesweep_histogram_config_static_selectorELNS0_4arch9wavefront6targetE0EEEvSF_,@function
_ZN7rocprim17ROCPRIM_400000_NS6detail17trampoline_kernelINS0_14default_configENS1_35radix_sort_onesweep_config_selectorIiNS0_10empty_typeEEEZNS1_34radix_sort_onesweep_global_offsetsIS3_Lb0EN6thrust23THRUST_200600_302600_NS10device_ptrIiEEPS5_jNS0_19identity_decomposerEEE10hipError_tT1_T2_PT3_SH_jT4_jjP12ihipStream_tbEUlT_E_NS1_11comp_targetILNS1_3genE2ELNS1_11target_archE906ELNS1_3gpuE6ELNS1_3repE0EEENS1_52radix_sort_onesweep_histogram_config_static_selectorELNS0_4arch9wavefront6targetE0EEEvSF_: ; @_ZN7rocprim17ROCPRIM_400000_NS6detail17trampoline_kernelINS0_14default_configENS1_35radix_sort_onesweep_config_selectorIiNS0_10empty_typeEEEZNS1_34radix_sort_onesweep_global_offsetsIS3_Lb0EN6thrust23THRUST_200600_302600_NS10device_ptrIiEEPS5_jNS0_19identity_decomposerEEE10hipError_tT1_T2_PT3_SH_jT4_jjP12ihipStream_tbEUlT_E_NS1_11comp_targetILNS1_3genE2ELNS1_11target_archE906ELNS1_3gpuE6ELNS1_3repE0EEENS1_52radix_sort_onesweep_histogram_config_static_selectorELNS0_4arch9wavefront6targetE0EEEvSF_
; %bb.0:
	.section	.rodata,"a",@progbits
	.p2align	6, 0x0
	.amdhsa_kernel _ZN7rocprim17ROCPRIM_400000_NS6detail17trampoline_kernelINS0_14default_configENS1_35radix_sort_onesweep_config_selectorIiNS0_10empty_typeEEEZNS1_34radix_sort_onesweep_global_offsetsIS3_Lb0EN6thrust23THRUST_200600_302600_NS10device_ptrIiEEPS5_jNS0_19identity_decomposerEEE10hipError_tT1_T2_PT3_SH_jT4_jjP12ihipStream_tbEUlT_E_NS1_11comp_targetILNS1_3genE2ELNS1_11target_archE906ELNS1_3gpuE6ELNS1_3repE0EEENS1_52radix_sort_onesweep_histogram_config_static_selectorELNS0_4arch9wavefront6targetE0EEEvSF_
		.amdhsa_group_segment_fixed_size 0
		.amdhsa_private_segment_fixed_size 0
		.amdhsa_kernarg_size 40
		.amdhsa_user_sgpr_count 6
		.amdhsa_user_sgpr_private_segment_buffer 1
		.amdhsa_user_sgpr_dispatch_ptr 0
		.amdhsa_user_sgpr_queue_ptr 0
		.amdhsa_user_sgpr_kernarg_segment_ptr 1
		.amdhsa_user_sgpr_dispatch_id 0
		.amdhsa_user_sgpr_flat_scratch_init 0
		.amdhsa_user_sgpr_private_segment_size 0
		.amdhsa_wavefront_size32 1
		.amdhsa_uses_dynamic_stack 0
		.amdhsa_system_sgpr_private_segment_wavefront_offset 0
		.amdhsa_system_sgpr_workgroup_id_x 1
		.amdhsa_system_sgpr_workgroup_id_y 0
		.amdhsa_system_sgpr_workgroup_id_z 0
		.amdhsa_system_sgpr_workgroup_info 0
		.amdhsa_system_vgpr_workitem_id 0
		.amdhsa_next_free_vgpr 1
		.amdhsa_next_free_sgpr 1
		.amdhsa_reserve_vcc 0
		.amdhsa_reserve_flat_scratch 0
		.amdhsa_float_round_mode_32 0
		.amdhsa_float_round_mode_16_64 0
		.amdhsa_float_denorm_mode_32 3
		.amdhsa_float_denorm_mode_16_64 3
		.amdhsa_dx10_clamp 1
		.amdhsa_ieee_mode 1
		.amdhsa_fp16_overflow 0
		.amdhsa_workgroup_processor_mode 1
		.amdhsa_memory_ordered 1
		.amdhsa_forward_progress 1
		.amdhsa_shared_vgpr_count 0
		.amdhsa_exception_fp_ieee_invalid_op 0
		.amdhsa_exception_fp_denorm_src 0
		.amdhsa_exception_fp_ieee_div_zero 0
		.amdhsa_exception_fp_ieee_overflow 0
		.amdhsa_exception_fp_ieee_underflow 0
		.amdhsa_exception_fp_ieee_inexact 0
		.amdhsa_exception_int_div_zero 0
	.end_amdhsa_kernel
	.section	.text._ZN7rocprim17ROCPRIM_400000_NS6detail17trampoline_kernelINS0_14default_configENS1_35radix_sort_onesweep_config_selectorIiNS0_10empty_typeEEEZNS1_34radix_sort_onesweep_global_offsetsIS3_Lb0EN6thrust23THRUST_200600_302600_NS10device_ptrIiEEPS5_jNS0_19identity_decomposerEEE10hipError_tT1_T2_PT3_SH_jT4_jjP12ihipStream_tbEUlT_E_NS1_11comp_targetILNS1_3genE2ELNS1_11target_archE906ELNS1_3gpuE6ELNS1_3repE0EEENS1_52radix_sort_onesweep_histogram_config_static_selectorELNS0_4arch9wavefront6targetE0EEEvSF_,"axG",@progbits,_ZN7rocprim17ROCPRIM_400000_NS6detail17trampoline_kernelINS0_14default_configENS1_35radix_sort_onesweep_config_selectorIiNS0_10empty_typeEEEZNS1_34radix_sort_onesweep_global_offsetsIS3_Lb0EN6thrust23THRUST_200600_302600_NS10device_ptrIiEEPS5_jNS0_19identity_decomposerEEE10hipError_tT1_T2_PT3_SH_jT4_jjP12ihipStream_tbEUlT_E_NS1_11comp_targetILNS1_3genE2ELNS1_11target_archE906ELNS1_3gpuE6ELNS1_3repE0EEENS1_52radix_sort_onesweep_histogram_config_static_selectorELNS0_4arch9wavefront6targetE0EEEvSF_,comdat
.Lfunc_end1220:
	.size	_ZN7rocprim17ROCPRIM_400000_NS6detail17trampoline_kernelINS0_14default_configENS1_35radix_sort_onesweep_config_selectorIiNS0_10empty_typeEEEZNS1_34radix_sort_onesweep_global_offsetsIS3_Lb0EN6thrust23THRUST_200600_302600_NS10device_ptrIiEEPS5_jNS0_19identity_decomposerEEE10hipError_tT1_T2_PT3_SH_jT4_jjP12ihipStream_tbEUlT_E_NS1_11comp_targetILNS1_3genE2ELNS1_11target_archE906ELNS1_3gpuE6ELNS1_3repE0EEENS1_52radix_sort_onesweep_histogram_config_static_selectorELNS0_4arch9wavefront6targetE0EEEvSF_, .Lfunc_end1220-_ZN7rocprim17ROCPRIM_400000_NS6detail17trampoline_kernelINS0_14default_configENS1_35radix_sort_onesweep_config_selectorIiNS0_10empty_typeEEEZNS1_34radix_sort_onesweep_global_offsetsIS3_Lb0EN6thrust23THRUST_200600_302600_NS10device_ptrIiEEPS5_jNS0_19identity_decomposerEEE10hipError_tT1_T2_PT3_SH_jT4_jjP12ihipStream_tbEUlT_E_NS1_11comp_targetILNS1_3genE2ELNS1_11target_archE906ELNS1_3gpuE6ELNS1_3repE0EEENS1_52radix_sort_onesweep_histogram_config_static_selectorELNS0_4arch9wavefront6targetE0EEEvSF_
                                        ; -- End function
	.set _ZN7rocprim17ROCPRIM_400000_NS6detail17trampoline_kernelINS0_14default_configENS1_35radix_sort_onesweep_config_selectorIiNS0_10empty_typeEEEZNS1_34radix_sort_onesweep_global_offsetsIS3_Lb0EN6thrust23THRUST_200600_302600_NS10device_ptrIiEEPS5_jNS0_19identity_decomposerEEE10hipError_tT1_T2_PT3_SH_jT4_jjP12ihipStream_tbEUlT_E_NS1_11comp_targetILNS1_3genE2ELNS1_11target_archE906ELNS1_3gpuE6ELNS1_3repE0EEENS1_52radix_sort_onesweep_histogram_config_static_selectorELNS0_4arch9wavefront6targetE0EEEvSF_.num_vgpr, 0
	.set _ZN7rocprim17ROCPRIM_400000_NS6detail17trampoline_kernelINS0_14default_configENS1_35radix_sort_onesweep_config_selectorIiNS0_10empty_typeEEEZNS1_34radix_sort_onesweep_global_offsetsIS3_Lb0EN6thrust23THRUST_200600_302600_NS10device_ptrIiEEPS5_jNS0_19identity_decomposerEEE10hipError_tT1_T2_PT3_SH_jT4_jjP12ihipStream_tbEUlT_E_NS1_11comp_targetILNS1_3genE2ELNS1_11target_archE906ELNS1_3gpuE6ELNS1_3repE0EEENS1_52radix_sort_onesweep_histogram_config_static_selectorELNS0_4arch9wavefront6targetE0EEEvSF_.num_agpr, 0
	.set _ZN7rocprim17ROCPRIM_400000_NS6detail17trampoline_kernelINS0_14default_configENS1_35radix_sort_onesweep_config_selectorIiNS0_10empty_typeEEEZNS1_34radix_sort_onesweep_global_offsetsIS3_Lb0EN6thrust23THRUST_200600_302600_NS10device_ptrIiEEPS5_jNS0_19identity_decomposerEEE10hipError_tT1_T2_PT3_SH_jT4_jjP12ihipStream_tbEUlT_E_NS1_11comp_targetILNS1_3genE2ELNS1_11target_archE906ELNS1_3gpuE6ELNS1_3repE0EEENS1_52radix_sort_onesweep_histogram_config_static_selectorELNS0_4arch9wavefront6targetE0EEEvSF_.numbered_sgpr, 0
	.set _ZN7rocprim17ROCPRIM_400000_NS6detail17trampoline_kernelINS0_14default_configENS1_35radix_sort_onesweep_config_selectorIiNS0_10empty_typeEEEZNS1_34radix_sort_onesweep_global_offsetsIS3_Lb0EN6thrust23THRUST_200600_302600_NS10device_ptrIiEEPS5_jNS0_19identity_decomposerEEE10hipError_tT1_T2_PT3_SH_jT4_jjP12ihipStream_tbEUlT_E_NS1_11comp_targetILNS1_3genE2ELNS1_11target_archE906ELNS1_3gpuE6ELNS1_3repE0EEENS1_52radix_sort_onesweep_histogram_config_static_selectorELNS0_4arch9wavefront6targetE0EEEvSF_.num_named_barrier, 0
	.set _ZN7rocprim17ROCPRIM_400000_NS6detail17trampoline_kernelINS0_14default_configENS1_35radix_sort_onesweep_config_selectorIiNS0_10empty_typeEEEZNS1_34radix_sort_onesweep_global_offsetsIS3_Lb0EN6thrust23THRUST_200600_302600_NS10device_ptrIiEEPS5_jNS0_19identity_decomposerEEE10hipError_tT1_T2_PT3_SH_jT4_jjP12ihipStream_tbEUlT_E_NS1_11comp_targetILNS1_3genE2ELNS1_11target_archE906ELNS1_3gpuE6ELNS1_3repE0EEENS1_52radix_sort_onesweep_histogram_config_static_selectorELNS0_4arch9wavefront6targetE0EEEvSF_.private_seg_size, 0
	.set _ZN7rocprim17ROCPRIM_400000_NS6detail17trampoline_kernelINS0_14default_configENS1_35radix_sort_onesweep_config_selectorIiNS0_10empty_typeEEEZNS1_34radix_sort_onesweep_global_offsetsIS3_Lb0EN6thrust23THRUST_200600_302600_NS10device_ptrIiEEPS5_jNS0_19identity_decomposerEEE10hipError_tT1_T2_PT3_SH_jT4_jjP12ihipStream_tbEUlT_E_NS1_11comp_targetILNS1_3genE2ELNS1_11target_archE906ELNS1_3gpuE6ELNS1_3repE0EEENS1_52radix_sort_onesweep_histogram_config_static_selectorELNS0_4arch9wavefront6targetE0EEEvSF_.uses_vcc, 0
	.set _ZN7rocprim17ROCPRIM_400000_NS6detail17trampoline_kernelINS0_14default_configENS1_35radix_sort_onesweep_config_selectorIiNS0_10empty_typeEEEZNS1_34radix_sort_onesweep_global_offsetsIS3_Lb0EN6thrust23THRUST_200600_302600_NS10device_ptrIiEEPS5_jNS0_19identity_decomposerEEE10hipError_tT1_T2_PT3_SH_jT4_jjP12ihipStream_tbEUlT_E_NS1_11comp_targetILNS1_3genE2ELNS1_11target_archE906ELNS1_3gpuE6ELNS1_3repE0EEENS1_52radix_sort_onesweep_histogram_config_static_selectorELNS0_4arch9wavefront6targetE0EEEvSF_.uses_flat_scratch, 0
	.set _ZN7rocprim17ROCPRIM_400000_NS6detail17trampoline_kernelINS0_14default_configENS1_35radix_sort_onesweep_config_selectorIiNS0_10empty_typeEEEZNS1_34radix_sort_onesweep_global_offsetsIS3_Lb0EN6thrust23THRUST_200600_302600_NS10device_ptrIiEEPS5_jNS0_19identity_decomposerEEE10hipError_tT1_T2_PT3_SH_jT4_jjP12ihipStream_tbEUlT_E_NS1_11comp_targetILNS1_3genE2ELNS1_11target_archE906ELNS1_3gpuE6ELNS1_3repE0EEENS1_52radix_sort_onesweep_histogram_config_static_selectorELNS0_4arch9wavefront6targetE0EEEvSF_.has_dyn_sized_stack, 0
	.set _ZN7rocprim17ROCPRIM_400000_NS6detail17trampoline_kernelINS0_14default_configENS1_35radix_sort_onesweep_config_selectorIiNS0_10empty_typeEEEZNS1_34radix_sort_onesweep_global_offsetsIS3_Lb0EN6thrust23THRUST_200600_302600_NS10device_ptrIiEEPS5_jNS0_19identity_decomposerEEE10hipError_tT1_T2_PT3_SH_jT4_jjP12ihipStream_tbEUlT_E_NS1_11comp_targetILNS1_3genE2ELNS1_11target_archE906ELNS1_3gpuE6ELNS1_3repE0EEENS1_52radix_sort_onesweep_histogram_config_static_selectorELNS0_4arch9wavefront6targetE0EEEvSF_.has_recursion, 0
	.set _ZN7rocprim17ROCPRIM_400000_NS6detail17trampoline_kernelINS0_14default_configENS1_35radix_sort_onesweep_config_selectorIiNS0_10empty_typeEEEZNS1_34radix_sort_onesweep_global_offsetsIS3_Lb0EN6thrust23THRUST_200600_302600_NS10device_ptrIiEEPS5_jNS0_19identity_decomposerEEE10hipError_tT1_T2_PT3_SH_jT4_jjP12ihipStream_tbEUlT_E_NS1_11comp_targetILNS1_3genE2ELNS1_11target_archE906ELNS1_3gpuE6ELNS1_3repE0EEENS1_52radix_sort_onesweep_histogram_config_static_selectorELNS0_4arch9wavefront6targetE0EEEvSF_.has_indirect_call, 0
	.section	.AMDGPU.csdata,"",@progbits
; Kernel info:
; codeLenInByte = 0
; TotalNumSgprs: 0
; NumVgprs: 0
; ScratchSize: 0
; MemoryBound: 0
; FloatMode: 240
; IeeeMode: 1
; LDSByteSize: 0 bytes/workgroup (compile time only)
; SGPRBlocks: 0
; VGPRBlocks: 0
; NumSGPRsForWavesPerEU: 1
; NumVGPRsForWavesPerEU: 1
; Occupancy: 16
; WaveLimiterHint : 0
; COMPUTE_PGM_RSRC2:SCRATCH_EN: 0
; COMPUTE_PGM_RSRC2:USER_SGPR: 6
; COMPUTE_PGM_RSRC2:TRAP_HANDLER: 0
; COMPUTE_PGM_RSRC2:TGID_X_EN: 1
; COMPUTE_PGM_RSRC2:TGID_Y_EN: 0
; COMPUTE_PGM_RSRC2:TGID_Z_EN: 0
; COMPUTE_PGM_RSRC2:TIDIG_COMP_CNT: 0
	.section	.text._ZN7rocprim17ROCPRIM_400000_NS6detail17trampoline_kernelINS0_14default_configENS1_35radix_sort_onesweep_config_selectorIiNS0_10empty_typeEEEZNS1_34radix_sort_onesweep_global_offsetsIS3_Lb0EN6thrust23THRUST_200600_302600_NS10device_ptrIiEEPS5_jNS0_19identity_decomposerEEE10hipError_tT1_T2_PT3_SH_jT4_jjP12ihipStream_tbEUlT_E_NS1_11comp_targetILNS1_3genE4ELNS1_11target_archE910ELNS1_3gpuE8ELNS1_3repE0EEENS1_52radix_sort_onesweep_histogram_config_static_selectorELNS0_4arch9wavefront6targetE0EEEvSF_,"axG",@progbits,_ZN7rocprim17ROCPRIM_400000_NS6detail17trampoline_kernelINS0_14default_configENS1_35radix_sort_onesweep_config_selectorIiNS0_10empty_typeEEEZNS1_34radix_sort_onesweep_global_offsetsIS3_Lb0EN6thrust23THRUST_200600_302600_NS10device_ptrIiEEPS5_jNS0_19identity_decomposerEEE10hipError_tT1_T2_PT3_SH_jT4_jjP12ihipStream_tbEUlT_E_NS1_11comp_targetILNS1_3genE4ELNS1_11target_archE910ELNS1_3gpuE8ELNS1_3repE0EEENS1_52radix_sort_onesweep_histogram_config_static_selectorELNS0_4arch9wavefront6targetE0EEEvSF_,comdat
	.protected	_ZN7rocprim17ROCPRIM_400000_NS6detail17trampoline_kernelINS0_14default_configENS1_35radix_sort_onesweep_config_selectorIiNS0_10empty_typeEEEZNS1_34radix_sort_onesweep_global_offsetsIS3_Lb0EN6thrust23THRUST_200600_302600_NS10device_ptrIiEEPS5_jNS0_19identity_decomposerEEE10hipError_tT1_T2_PT3_SH_jT4_jjP12ihipStream_tbEUlT_E_NS1_11comp_targetILNS1_3genE4ELNS1_11target_archE910ELNS1_3gpuE8ELNS1_3repE0EEENS1_52radix_sort_onesweep_histogram_config_static_selectorELNS0_4arch9wavefront6targetE0EEEvSF_ ; -- Begin function _ZN7rocprim17ROCPRIM_400000_NS6detail17trampoline_kernelINS0_14default_configENS1_35radix_sort_onesweep_config_selectorIiNS0_10empty_typeEEEZNS1_34radix_sort_onesweep_global_offsetsIS3_Lb0EN6thrust23THRUST_200600_302600_NS10device_ptrIiEEPS5_jNS0_19identity_decomposerEEE10hipError_tT1_T2_PT3_SH_jT4_jjP12ihipStream_tbEUlT_E_NS1_11comp_targetILNS1_3genE4ELNS1_11target_archE910ELNS1_3gpuE8ELNS1_3repE0EEENS1_52radix_sort_onesweep_histogram_config_static_selectorELNS0_4arch9wavefront6targetE0EEEvSF_
	.globl	_ZN7rocprim17ROCPRIM_400000_NS6detail17trampoline_kernelINS0_14default_configENS1_35radix_sort_onesweep_config_selectorIiNS0_10empty_typeEEEZNS1_34radix_sort_onesweep_global_offsetsIS3_Lb0EN6thrust23THRUST_200600_302600_NS10device_ptrIiEEPS5_jNS0_19identity_decomposerEEE10hipError_tT1_T2_PT3_SH_jT4_jjP12ihipStream_tbEUlT_E_NS1_11comp_targetILNS1_3genE4ELNS1_11target_archE910ELNS1_3gpuE8ELNS1_3repE0EEENS1_52radix_sort_onesweep_histogram_config_static_selectorELNS0_4arch9wavefront6targetE0EEEvSF_
	.p2align	8
	.type	_ZN7rocprim17ROCPRIM_400000_NS6detail17trampoline_kernelINS0_14default_configENS1_35radix_sort_onesweep_config_selectorIiNS0_10empty_typeEEEZNS1_34radix_sort_onesweep_global_offsetsIS3_Lb0EN6thrust23THRUST_200600_302600_NS10device_ptrIiEEPS5_jNS0_19identity_decomposerEEE10hipError_tT1_T2_PT3_SH_jT4_jjP12ihipStream_tbEUlT_E_NS1_11comp_targetILNS1_3genE4ELNS1_11target_archE910ELNS1_3gpuE8ELNS1_3repE0EEENS1_52radix_sort_onesweep_histogram_config_static_selectorELNS0_4arch9wavefront6targetE0EEEvSF_,@function
_ZN7rocprim17ROCPRIM_400000_NS6detail17trampoline_kernelINS0_14default_configENS1_35radix_sort_onesweep_config_selectorIiNS0_10empty_typeEEEZNS1_34radix_sort_onesweep_global_offsetsIS3_Lb0EN6thrust23THRUST_200600_302600_NS10device_ptrIiEEPS5_jNS0_19identity_decomposerEEE10hipError_tT1_T2_PT3_SH_jT4_jjP12ihipStream_tbEUlT_E_NS1_11comp_targetILNS1_3genE4ELNS1_11target_archE910ELNS1_3gpuE8ELNS1_3repE0EEENS1_52radix_sort_onesweep_histogram_config_static_selectorELNS0_4arch9wavefront6targetE0EEEvSF_: ; @_ZN7rocprim17ROCPRIM_400000_NS6detail17trampoline_kernelINS0_14default_configENS1_35radix_sort_onesweep_config_selectorIiNS0_10empty_typeEEEZNS1_34radix_sort_onesweep_global_offsetsIS3_Lb0EN6thrust23THRUST_200600_302600_NS10device_ptrIiEEPS5_jNS0_19identity_decomposerEEE10hipError_tT1_T2_PT3_SH_jT4_jjP12ihipStream_tbEUlT_E_NS1_11comp_targetILNS1_3genE4ELNS1_11target_archE910ELNS1_3gpuE8ELNS1_3repE0EEENS1_52radix_sort_onesweep_histogram_config_static_selectorELNS0_4arch9wavefront6targetE0EEEvSF_
; %bb.0:
	.section	.rodata,"a",@progbits
	.p2align	6, 0x0
	.amdhsa_kernel _ZN7rocprim17ROCPRIM_400000_NS6detail17trampoline_kernelINS0_14default_configENS1_35radix_sort_onesweep_config_selectorIiNS0_10empty_typeEEEZNS1_34radix_sort_onesweep_global_offsetsIS3_Lb0EN6thrust23THRUST_200600_302600_NS10device_ptrIiEEPS5_jNS0_19identity_decomposerEEE10hipError_tT1_T2_PT3_SH_jT4_jjP12ihipStream_tbEUlT_E_NS1_11comp_targetILNS1_3genE4ELNS1_11target_archE910ELNS1_3gpuE8ELNS1_3repE0EEENS1_52radix_sort_onesweep_histogram_config_static_selectorELNS0_4arch9wavefront6targetE0EEEvSF_
		.amdhsa_group_segment_fixed_size 0
		.amdhsa_private_segment_fixed_size 0
		.amdhsa_kernarg_size 40
		.amdhsa_user_sgpr_count 6
		.amdhsa_user_sgpr_private_segment_buffer 1
		.amdhsa_user_sgpr_dispatch_ptr 0
		.amdhsa_user_sgpr_queue_ptr 0
		.amdhsa_user_sgpr_kernarg_segment_ptr 1
		.amdhsa_user_sgpr_dispatch_id 0
		.amdhsa_user_sgpr_flat_scratch_init 0
		.amdhsa_user_sgpr_private_segment_size 0
		.amdhsa_wavefront_size32 1
		.amdhsa_uses_dynamic_stack 0
		.amdhsa_system_sgpr_private_segment_wavefront_offset 0
		.amdhsa_system_sgpr_workgroup_id_x 1
		.amdhsa_system_sgpr_workgroup_id_y 0
		.amdhsa_system_sgpr_workgroup_id_z 0
		.amdhsa_system_sgpr_workgroup_info 0
		.amdhsa_system_vgpr_workitem_id 0
		.amdhsa_next_free_vgpr 1
		.amdhsa_next_free_sgpr 1
		.amdhsa_reserve_vcc 0
		.amdhsa_reserve_flat_scratch 0
		.amdhsa_float_round_mode_32 0
		.amdhsa_float_round_mode_16_64 0
		.amdhsa_float_denorm_mode_32 3
		.amdhsa_float_denorm_mode_16_64 3
		.amdhsa_dx10_clamp 1
		.amdhsa_ieee_mode 1
		.amdhsa_fp16_overflow 0
		.amdhsa_workgroup_processor_mode 1
		.amdhsa_memory_ordered 1
		.amdhsa_forward_progress 1
		.amdhsa_shared_vgpr_count 0
		.amdhsa_exception_fp_ieee_invalid_op 0
		.amdhsa_exception_fp_denorm_src 0
		.amdhsa_exception_fp_ieee_div_zero 0
		.amdhsa_exception_fp_ieee_overflow 0
		.amdhsa_exception_fp_ieee_underflow 0
		.amdhsa_exception_fp_ieee_inexact 0
		.amdhsa_exception_int_div_zero 0
	.end_amdhsa_kernel
	.section	.text._ZN7rocprim17ROCPRIM_400000_NS6detail17trampoline_kernelINS0_14default_configENS1_35radix_sort_onesweep_config_selectorIiNS0_10empty_typeEEEZNS1_34radix_sort_onesweep_global_offsetsIS3_Lb0EN6thrust23THRUST_200600_302600_NS10device_ptrIiEEPS5_jNS0_19identity_decomposerEEE10hipError_tT1_T2_PT3_SH_jT4_jjP12ihipStream_tbEUlT_E_NS1_11comp_targetILNS1_3genE4ELNS1_11target_archE910ELNS1_3gpuE8ELNS1_3repE0EEENS1_52radix_sort_onesweep_histogram_config_static_selectorELNS0_4arch9wavefront6targetE0EEEvSF_,"axG",@progbits,_ZN7rocprim17ROCPRIM_400000_NS6detail17trampoline_kernelINS0_14default_configENS1_35radix_sort_onesweep_config_selectorIiNS0_10empty_typeEEEZNS1_34radix_sort_onesweep_global_offsetsIS3_Lb0EN6thrust23THRUST_200600_302600_NS10device_ptrIiEEPS5_jNS0_19identity_decomposerEEE10hipError_tT1_T2_PT3_SH_jT4_jjP12ihipStream_tbEUlT_E_NS1_11comp_targetILNS1_3genE4ELNS1_11target_archE910ELNS1_3gpuE8ELNS1_3repE0EEENS1_52radix_sort_onesweep_histogram_config_static_selectorELNS0_4arch9wavefront6targetE0EEEvSF_,comdat
.Lfunc_end1221:
	.size	_ZN7rocprim17ROCPRIM_400000_NS6detail17trampoline_kernelINS0_14default_configENS1_35radix_sort_onesweep_config_selectorIiNS0_10empty_typeEEEZNS1_34radix_sort_onesweep_global_offsetsIS3_Lb0EN6thrust23THRUST_200600_302600_NS10device_ptrIiEEPS5_jNS0_19identity_decomposerEEE10hipError_tT1_T2_PT3_SH_jT4_jjP12ihipStream_tbEUlT_E_NS1_11comp_targetILNS1_3genE4ELNS1_11target_archE910ELNS1_3gpuE8ELNS1_3repE0EEENS1_52radix_sort_onesweep_histogram_config_static_selectorELNS0_4arch9wavefront6targetE0EEEvSF_, .Lfunc_end1221-_ZN7rocprim17ROCPRIM_400000_NS6detail17trampoline_kernelINS0_14default_configENS1_35radix_sort_onesweep_config_selectorIiNS0_10empty_typeEEEZNS1_34radix_sort_onesweep_global_offsetsIS3_Lb0EN6thrust23THRUST_200600_302600_NS10device_ptrIiEEPS5_jNS0_19identity_decomposerEEE10hipError_tT1_T2_PT3_SH_jT4_jjP12ihipStream_tbEUlT_E_NS1_11comp_targetILNS1_3genE4ELNS1_11target_archE910ELNS1_3gpuE8ELNS1_3repE0EEENS1_52radix_sort_onesweep_histogram_config_static_selectorELNS0_4arch9wavefront6targetE0EEEvSF_
                                        ; -- End function
	.set _ZN7rocprim17ROCPRIM_400000_NS6detail17trampoline_kernelINS0_14default_configENS1_35radix_sort_onesweep_config_selectorIiNS0_10empty_typeEEEZNS1_34radix_sort_onesweep_global_offsetsIS3_Lb0EN6thrust23THRUST_200600_302600_NS10device_ptrIiEEPS5_jNS0_19identity_decomposerEEE10hipError_tT1_T2_PT3_SH_jT4_jjP12ihipStream_tbEUlT_E_NS1_11comp_targetILNS1_3genE4ELNS1_11target_archE910ELNS1_3gpuE8ELNS1_3repE0EEENS1_52radix_sort_onesweep_histogram_config_static_selectorELNS0_4arch9wavefront6targetE0EEEvSF_.num_vgpr, 0
	.set _ZN7rocprim17ROCPRIM_400000_NS6detail17trampoline_kernelINS0_14default_configENS1_35radix_sort_onesweep_config_selectorIiNS0_10empty_typeEEEZNS1_34radix_sort_onesweep_global_offsetsIS3_Lb0EN6thrust23THRUST_200600_302600_NS10device_ptrIiEEPS5_jNS0_19identity_decomposerEEE10hipError_tT1_T2_PT3_SH_jT4_jjP12ihipStream_tbEUlT_E_NS1_11comp_targetILNS1_3genE4ELNS1_11target_archE910ELNS1_3gpuE8ELNS1_3repE0EEENS1_52radix_sort_onesweep_histogram_config_static_selectorELNS0_4arch9wavefront6targetE0EEEvSF_.num_agpr, 0
	.set _ZN7rocprim17ROCPRIM_400000_NS6detail17trampoline_kernelINS0_14default_configENS1_35radix_sort_onesweep_config_selectorIiNS0_10empty_typeEEEZNS1_34radix_sort_onesweep_global_offsetsIS3_Lb0EN6thrust23THRUST_200600_302600_NS10device_ptrIiEEPS5_jNS0_19identity_decomposerEEE10hipError_tT1_T2_PT3_SH_jT4_jjP12ihipStream_tbEUlT_E_NS1_11comp_targetILNS1_3genE4ELNS1_11target_archE910ELNS1_3gpuE8ELNS1_3repE0EEENS1_52radix_sort_onesweep_histogram_config_static_selectorELNS0_4arch9wavefront6targetE0EEEvSF_.numbered_sgpr, 0
	.set _ZN7rocprim17ROCPRIM_400000_NS6detail17trampoline_kernelINS0_14default_configENS1_35radix_sort_onesweep_config_selectorIiNS0_10empty_typeEEEZNS1_34radix_sort_onesweep_global_offsetsIS3_Lb0EN6thrust23THRUST_200600_302600_NS10device_ptrIiEEPS5_jNS0_19identity_decomposerEEE10hipError_tT1_T2_PT3_SH_jT4_jjP12ihipStream_tbEUlT_E_NS1_11comp_targetILNS1_3genE4ELNS1_11target_archE910ELNS1_3gpuE8ELNS1_3repE0EEENS1_52radix_sort_onesweep_histogram_config_static_selectorELNS0_4arch9wavefront6targetE0EEEvSF_.num_named_barrier, 0
	.set _ZN7rocprim17ROCPRIM_400000_NS6detail17trampoline_kernelINS0_14default_configENS1_35radix_sort_onesweep_config_selectorIiNS0_10empty_typeEEEZNS1_34radix_sort_onesweep_global_offsetsIS3_Lb0EN6thrust23THRUST_200600_302600_NS10device_ptrIiEEPS5_jNS0_19identity_decomposerEEE10hipError_tT1_T2_PT3_SH_jT4_jjP12ihipStream_tbEUlT_E_NS1_11comp_targetILNS1_3genE4ELNS1_11target_archE910ELNS1_3gpuE8ELNS1_3repE0EEENS1_52radix_sort_onesweep_histogram_config_static_selectorELNS0_4arch9wavefront6targetE0EEEvSF_.private_seg_size, 0
	.set _ZN7rocprim17ROCPRIM_400000_NS6detail17trampoline_kernelINS0_14default_configENS1_35radix_sort_onesweep_config_selectorIiNS0_10empty_typeEEEZNS1_34radix_sort_onesweep_global_offsetsIS3_Lb0EN6thrust23THRUST_200600_302600_NS10device_ptrIiEEPS5_jNS0_19identity_decomposerEEE10hipError_tT1_T2_PT3_SH_jT4_jjP12ihipStream_tbEUlT_E_NS1_11comp_targetILNS1_3genE4ELNS1_11target_archE910ELNS1_3gpuE8ELNS1_3repE0EEENS1_52radix_sort_onesweep_histogram_config_static_selectorELNS0_4arch9wavefront6targetE0EEEvSF_.uses_vcc, 0
	.set _ZN7rocprim17ROCPRIM_400000_NS6detail17trampoline_kernelINS0_14default_configENS1_35radix_sort_onesweep_config_selectorIiNS0_10empty_typeEEEZNS1_34radix_sort_onesweep_global_offsetsIS3_Lb0EN6thrust23THRUST_200600_302600_NS10device_ptrIiEEPS5_jNS0_19identity_decomposerEEE10hipError_tT1_T2_PT3_SH_jT4_jjP12ihipStream_tbEUlT_E_NS1_11comp_targetILNS1_3genE4ELNS1_11target_archE910ELNS1_3gpuE8ELNS1_3repE0EEENS1_52radix_sort_onesweep_histogram_config_static_selectorELNS0_4arch9wavefront6targetE0EEEvSF_.uses_flat_scratch, 0
	.set _ZN7rocprim17ROCPRIM_400000_NS6detail17trampoline_kernelINS0_14default_configENS1_35radix_sort_onesweep_config_selectorIiNS0_10empty_typeEEEZNS1_34radix_sort_onesweep_global_offsetsIS3_Lb0EN6thrust23THRUST_200600_302600_NS10device_ptrIiEEPS5_jNS0_19identity_decomposerEEE10hipError_tT1_T2_PT3_SH_jT4_jjP12ihipStream_tbEUlT_E_NS1_11comp_targetILNS1_3genE4ELNS1_11target_archE910ELNS1_3gpuE8ELNS1_3repE0EEENS1_52radix_sort_onesweep_histogram_config_static_selectorELNS0_4arch9wavefront6targetE0EEEvSF_.has_dyn_sized_stack, 0
	.set _ZN7rocprim17ROCPRIM_400000_NS6detail17trampoline_kernelINS0_14default_configENS1_35radix_sort_onesweep_config_selectorIiNS0_10empty_typeEEEZNS1_34radix_sort_onesweep_global_offsetsIS3_Lb0EN6thrust23THRUST_200600_302600_NS10device_ptrIiEEPS5_jNS0_19identity_decomposerEEE10hipError_tT1_T2_PT3_SH_jT4_jjP12ihipStream_tbEUlT_E_NS1_11comp_targetILNS1_3genE4ELNS1_11target_archE910ELNS1_3gpuE8ELNS1_3repE0EEENS1_52radix_sort_onesweep_histogram_config_static_selectorELNS0_4arch9wavefront6targetE0EEEvSF_.has_recursion, 0
	.set _ZN7rocprim17ROCPRIM_400000_NS6detail17trampoline_kernelINS0_14default_configENS1_35radix_sort_onesweep_config_selectorIiNS0_10empty_typeEEEZNS1_34radix_sort_onesweep_global_offsetsIS3_Lb0EN6thrust23THRUST_200600_302600_NS10device_ptrIiEEPS5_jNS0_19identity_decomposerEEE10hipError_tT1_T2_PT3_SH_jT4_jjP12ihipStream_tbEUlT_E_NS1_11comp_targetILNS1_3genE4ELNS1_11target_archE910ELNS1_3gpuE8ELNS1_3repE0EEENS1_52radix_sort_onesweep_histogram_config_static_selectorELNS0_4arch9wavefront6targetE0EEEvSF_.has_indirect_call, 0
	.section	.AMDGPU.csdata,"",@progbits
; Kernel info:
; codeLenInByte = 0
; TotalNumSgprs: 0
; NumVgprs: 0
; ScratchSize: 0
; MemoryBound: 0
; FloatMode: 240
; IeeeMode: 1
; LDSByteSize: 0 bytes/workgroup (compile time only)
; SGPRBlocks: 0
; VGPRBlocks: 0
; NumSGPRsForWavesPerEU: 1
; NumVGPRsForWavesPerEU: 1
; Occupancy: 16
; WaveLimiterHint : 0
; COMPUTE_PGM_RSRC2:SCRATCH_EN: 0
; COMPUTE_PGM_RSRC2:USER_SGPR: 6
; COMPUTE_PGM_RSRC2:TRAP_HANDLER: 0
; COMPUTE_PGM_RSRC2:TGID_X_EN: 1
; COMPUTE_PGM_RSRC2:TGID_Y_EN: 0
; COMPUTE_PGM_RSRC2:TGID_Z_EN: 0
; COMPUTE_PGM_RSRC2:TIDIG_COMP_CNT: 0
	.section	.text._ZN7rocprim17ROCPRIM_400000_NS6detail17trampoline_kernelINS0_14default_configENS1_35radix_sort_onesweep_config_selectorIiNS0_10empty_typeEEEZNS1_34radix_sort_onesweep_global_offsetsIS3_Lb0EN6thrust23THRUST_200600_302600_NS10device_ptrIiEEPS5_jNS0_19identity_decomposerEEE10hipError_tT1_T2_PT3_SH_jT4_jjP12ihipStream_tbEUlT_E_NS1_11comp_targetILNS1_3genE3ELNS1_11target_archE908ELNS1_3gpuE7ELNS1_3repE0EEENS1_52radix_sort_onesweep_histogram_config_static_selectorELNS0_4arch9wavefront6targetE0EEEvSF_,"axG",@progbits,_ZN7rocprim17ROCPRIM_400000_NS6detail17trampoline_kernelINS0_14default_configENS1_35radix_sort_onesweep_config_selectorIiNS0_10empty_typeEEEZNS1_34radix_sort_onesweep_global_offsetsIS3_Lb0EN6thrust23THRUST_200600_302600_NS10device_ptrIiEEPS5_jNS0_19identity_decomposerEEE10hipError_tT1_T2_PT3_SH_jT4_jjP12ihipStream_tbEUlT_E_NS1_11comp_targetILNS1_3genE3ELNS1_11target_archE908ELNS1_3gpuE7ELNS1_3repE0EEENS1_52radix_sort_onesweep_histogram_config_static_selectorELNS0_4arch9wavefront6targetE0EEEvSF_,comdat
	.protected	_ZN7rocprim17ROCPRIM_400000_NS6detail17trampoline_kernelINS0_14default_configENS1_35radix_sort_onesweep_config_selectorIiNS0_10empty_typeEEEZNS1_34radix_sort_onesweep_global_offsetsIS3_Lb0EN6thrust23THRUST_200600_302600_NS10device_ptrIiEEPS5_jNS0_19identity_decomposerEEE10hipError_tT1_T2_PT3_SH_jT4_jjP12ihipStream_tbEUlT_E_NS1_11comp_targetILNS1_3genE3ELNS1_11target_archE908ELNS1_3gpuE7ELNS1_3repE0EEENS1_52radix_sort_onesweep_histogram_config_static_selectorELNS0_4arch9wavefront6targetE0EEEvSF_ ; -- Begin function _ZN7rocprim17ROCPRIM_400000_NS6detail17trampoline_kernelINS0_14default_configENS1_35radix_sort_onesweep_config_selectorIiNS0_10empty_typeEEEZNS1_34radix_sort_onesweep_global_offsetsIS3_Lb0EN6thrust23THRUST_200600_302600_NS10device_ptrIiEEPS5_jNS0_19identity_decomposerEEE10hipError_tT1_T2_PT3_SH_jT4_jjP12ihipStream_tbEUlT_E_NS1_11comp_targetILNS1_3genE3ELNS1_11target_archE908ELNS1_3gpuE7ELNS1_3repE0EEENS1_52radix_sort_onesweep_histogram_config_static_selectorELNS0_4arch9wavefront6targetE0EEEvSF_
	.globl	_ZN7rocprim17ROCPRIM_400000_NS6detail17trampoline_kernelINS0_14default_configENS1_35radix_sort_onesweep_config_selectorIiNS0_10empty_typeEEEZNS1_34radix_sort_onesweep_global_offsetsIS3_Lb0EN6thrust23THRUST_200600_302600_NS10device_ptrIiEEPS5_jNS0_19identity_decomposerEEE10hipError_tT1_T2_PT3_SH_jT4_jjP12ihipStream_tbEUlT_E_NS1_11comp_targetILNS1_3genE3ELNS1_11target_archE908ELNS1_3gpuE7ELNS1_3repE0EEENS1_52radix_sort_onesweep_histogram_config_static_selectorELNS0_4arch9wavefront6targetE0EEEvSF_
	.p2align	8
	.type	_ZN7rocprim17ROCPRIM_400000_NS6detail17trampoline_kernelINS0_14default_configENS1_35radix_sort_onesweep_config_selectorIiNS0_10empty_typeEEEZNS1_34radix_sort_onesweep_global_offsetsIS3_Lb0EN6thrust23THRUST_200600_302600_NS10device_ptrIiEEPS5_jNS0_19identity_decomposerEEE10hipError_tT1_T2_PT3_SH_jT4_jjP12ihipStream_tbEUlT_E_NS1_11comp_targetILNS1_3genE3ELNS1_11target_archE908ELNS1_3gpuE7ELNS1_3repE0EEENS1_52radix_sort_onesweep_histogram_config_static_selectorELNS0_4arch9wavefront6targetE0EEEvSF_,@function
_ZN7rocprim17ROCPRIM_400000_NS6detail17trampoline_kernelINS0_14default_configENS1_35radix_sort_onesweep_config_selectorIiNS0_10empty_typeEEEZNS1_34radix_sort_onesweep_global_offsetsIS3_Lb0EN6thrust23THRUST_200600_302600_NS10device_ptrIiEEPS5_jNS0_19identity_decomposerEEE10hipError_tT1_T2_PT3_SH_jT4_jjP12ihipStream_tbEUlT_E_NS1_11comp_targetILNS1_3genE3ELNS1_11target_archE908ELNS1_3gpuE7ELNS1_3repE0EEENS1_52radix_sort_onesweep_histogram_config_static_selectorELNS0_4arch9wavefront6targetE0EEEvSF_: ; @_ZN7rocprim17ROCPRIM_400000_NS6detail17trampoline_kernelINS0_14default_configENS1_35radix_sort_onesweep_config_selectorIiNS0_10empty_typeEEEZNS1_34radix_sort_onesweep_global_offsetsIS3_Lb0EN6thrust23THRUST_200600_302600_NS10device_ptrIiEEPS5_jNS0_19identity_decomposerEEE10hipError_tT1_T2_PT3_SH_jT4_jjP12ihipStream_tbEUlT_E_NS1_11comp_targetILNS1_3genE3ELNS1_11target_archE908ELNS1_3gpuE7ELNS1_3repE0EEENS1_52radix_sort_onesweep_histogram_config_static_selectorELNS0_4arch9wavefront6targetE0EEEvSF_
; %bb.0:
	.section	.rodata,"a",@progbits
	.p2align	6, 0x0
	.amdhsa_kernel _ZN7rocprim17ROCPRIM_400000_NS6detail17trampoline_kernelINS0_14default_configENS1_35radix_sort_onesweep_config_selectorIiNS0_10empty_typeEEEZNS1_34radix_sort_onesweep_global_offsetsIS3_Lb0EN6thrust23THRUST_200600_302600_NS10device_ptrIiEEPS5_jNS0_19identity_decomposerEEE10hipError_tT1_T2_PT3_SH_jT4_jjP12ihipStream_tbEUlT_E_NS1_11comp_targetILNS1_3genE3ELNS1_11target_archE908ELNS1_3gpuE7ELNS1_3repE0EEENS1_52radix_sort_onesweep_histogram_config_static_selectorELNS0_4arch9wavefront6targetE0EEEvSF_
		.amdhsa_group_segment_fixed_size 0
		.amdhsa_private_segment_fixed_size 0
		.amdhsa_kernarg_size 40
		.amdhsa_user_sgpr_count 6
		.amdhsa_user_sgpr_private_segment_buffer 1
		.amdhsa_user_sgpr_dispatch_ptr 0
		.amdhsa_user_sgpr_queue_ptr 0
		.amdhsa_user_sgpr_kernarg_segment_ptr 1
		.amdhsa_user_sgpr_dispatch_id 0
		.amdhsa_user_sgpr_flat_scratch_init 0
		.amdhsa_user_sgpr_private_segment_size 0
		.amdhsa_wavefront_size32 1
		.amdhsa_uses_dynamic_stack 0
		.amdhsa_system_sgpr_private_segment_wavefront_offset 0
		.amdhsa_system_sgpr_workgroup_id_x 1
		.amdhsa_system_sgpr_workgroup_id_y 0
		.amdhsa_system_sgpr_workgroup_id_z 0
		.amdhsa_system_sgpr_workgroup_info 0
		.amdhsa_system_vgpr_workitem_id 0
		.amdhsa_next_free_vgpr 1
		.amdhsa_next_free_sgpr 1
		.amdhsa_reserve_vcc 0
		.amdhsa_reserve_flat_scratch 0
		.amdhsa_float_round_mode_32 0
		.amdhsa_float_round_mode_16_64 0
		.amdhsa_float_denorm_mode_32 3
		.amdhsa_float_denorm_mode_16_64 3
		.amdhsa_dx10_clamp 1
		.amdhsa_ieee_mode 1
		.amdhsa_fp16_overflow 0
		.amdhsa_workgroup_processor_mode 1
		.amdhsa_memory_ordered 1
		.amdhsa_forward_progress 1
		.amdhsa_shared_vgpr_count 0
		.amdhsa_exception_fp_ieee_invalid_op 0
		.amdhsa_exception_fp_denorm_src 0
		.amdhsa_exception_fp_ieee_div_zero 0
		.amdhsa_exception_fp_ieee_overflow 0
		.amdhsa_exception_fp_ieee_underflow 0
		.amdhsa_exception_fp_ieee_inexact 0
		.amdhsa_exception_int_div_zero 0
	.end_amdhsa_kernel
	.section	.text._ZN7rocprim17ROCPRIM_400000_NS6detail17trampoline_kernelINS0_14default_configENS1_35radix_sort_onesweep_config_selectorIiNS0_10empty_typeEEEZNS1_34radix_sort_onesweep_global_offsetsIS3_Lb0EN6thrust23THRUST_200600_302600_NS10device_ptrIiEEPS5_jNS0_19identity_decomposerEEE10hipError_tT1_T2_PT3_SH_jT4_jjP12ihipStream_tbEUlT_E_NS1_11comp_targetILNS1_3genE3ELNS1_11target_archE908ELNS1_3gpuE7ELNS1_3repE0EEENS1_52radix_sort_onesweep_histogram_config_static_selectorELNS0_4arch9wavefront6targetE0EEEvSF_,"axG",@progbits,_ZN7rocprim17ROCPRIM_400000_NS6detail17trampoline_kernelINS0_14default_configENS1_35radix_sort_onesweep_config_selectorIiNS0_10empty_typeEEEZNS1_34radix_sort_onesweep_global_offsetsIS3_Lb0EN6thrust23THRUST_200600_302600_NS10device_ptrIiEEPS5_jNS0_19identity_decomposerEEE10hipError_tT1_T2_PT3_SH_jT4_jjP12ihipStream_tbEUlT_E_NS1_11comp_targetILNS1_3genE3ELNS1_11target_archE908ELNS1_3gpuE7ELNS1_3repE0EEENS1_52radix_sort_onesweep_histogram_config_static_selectorELNS0_4arch9wavefront6targetE0EEEvSF_,comdat
.Lfunc_end1222:
	.size	_ZN7rocprim17ROCPRIM_400000_NS6detail17trampoline_kernelINS0_14default_configENS1_35radix_sort_onesweep_config_selectorIiNS0_10empty_typeEEEZNS1_34radix_sort_onesweep_global_offsetsIS3_Lb0EN6thrust23THRUST_200600_302600_NS10device_ptrIiEEPS5_jNS0_19identity_decomposerEEE10hipError_tT1_T2_PT3_SH_jT4_jjP12ihipStream_tbEUlT_E_NS1_11comp_targetILNS1_3genE3ELNS1_11target_archE908ELNS1_3gpuE7ELNS1_3repE0EEENS1_52radix_sort_onesweep_histogram_config_static_selectorELNS0_4arch9wavefront6targetE0EEEvSF_, .Lfunc_end1222-_ZN7rocprim17ROCPRIM_400000_NS6detail17trampoline_kernelINS0_14default_configENS1_35radix_sort_onesweep_config_selectorIiNS0_10empty_typeEEEZNS1_34radix_sort_onesweep_global_offsetsIS3_Lb0EN6thrust23THRUST_200600_302600_NS10device_ptrIiEEPS5_jNS0_19identity_decomposerEEE10hipError_tT1_T2_PT3_SH_jT4_jjP12ihipStream_tbEUlT_E_NS1_11comp_targetILNS1_3genE3ELNS1_11target_archE908ELNS1_3gpuE7ELNS1_3repE0EEENS1_52radix_sort_onesweep_histogram_config_static_selectorELNS0_4arch9wavefront6targetE0EEEvSF_
                                        ; -- End function
	.set _ZN7rocprim17ROCPRIM_400000_NS6detail17trampoline_kernelINS0_14default_configENS1_35radix_sort_onesweep_config_selectorIiNS0_10empty_typeEEEZNS1_34radix_sort_onesweep_global_offsetsIS3_Lb0EN6thrust23THRUST_200600_302600_NS10device_ptrIiEEPS5_jNS0_19identity_decomposerEEE10hipError_tT1_T2_PT3_SH_jT4_jjP12ihipStream_tbEUlT_E_NS1_11comp_targetILNS1_3genE3ELNS1_11target_archE908ELNS1_3gpuE7ELNS1_3repE0EEENS1_52radix_sort_onesweep_histogram_config_static_selectorELNS0_4arch9wavefront6targetE0EEEvSF_.num_vgpr, 0
	.set _ZN7rocprim17ROCPRIM_400000_NS6detail17trampoline_kernelINS0_14default_configENS1_35radix_sort_onesweep_config_selectorIiNS0_10empty_typeEEEZNS1_34radix_sort_onesweep_global_offsetsIS3_Lb0EN6thrust23THRUST_200600_302600_NS10device_ptrIiEEPS5_jNS0_19identity_decomposerEEE10hipError_tT1_T2_PT3_SH_jT4_jjP12ihipStream_tbEUlT_E_NS1_11comp_targetILNS1_3genE3ELNS1_11target_archE908ELNS1_3gpuE7ELNS1_3repE0EEENS1_52radix_sort_onesweep_histogram_config_static_selectorELNS0_4arch9wavefront6targetE0EEEvSF_.num_agpr, 0
	.set _ZN7rocprim17ROCPRIM_400000_NS6detail17trampoline_kernelINS0_14default_configENS1_35radix_sort_onesweep_config_selectorIiNS0_10empty_typeEEEZNS1_34radix_sort_onesweep_global_offsetsIS3_Lb0EN6thrust23THRUST_200600_302600_NS10device_ptrIiEEPS5_jNS0_19identity_decomposerEEE10hipError_tT1_T2_PT3_SH_jT4_jjP12ihipStream_tbEUlT_E_NS1_11comp_targetILNS1_3genE3ELNS1_11target_archE908ELNS1_3gpuE7ELNS1_3repE0EEENS1_52radix_sort_onesweep_histogram_config_static_selectorELNS0_4arch9wavefront6targetE0EEEvSF_.numbered_sgpr, 0
	.set _ZN7rocprim17ROCPRIM_400000_NS6detail17trampoline_kernelINS0_14default_configENS1_35radix_sort_onesweep_config_selectorIiNS0_10empty_typeEEEZNS1_34radix_sort_onesweep_global_offsetsIS3_Lb0EN6thrust23THRUST_200600_302600_NS10device_ptrIiEEPS5_jNS0_19identity_decomposerEEE10hipError_tT1_T2_PT3_SH_jT4_jjP12ihipStream_tbEUlT_E_NS1_11comp_targetILNS1_3genE3ELNS1_11target_archE908ELNS1_3gpuE7ELNS1_3repE0EEENS1_52radix_sort_onesweep_histogram_config_static_selectorELNS0_4arch9wavefront6targetE0EEEvSF_.num_named_barrier, 0
	.set _ZN7rocprim17ROCPRIM_400000_NS6detail17trampoline_kernelINS0_14default_configENS1_35radix_sort_onesweep_config_selectorIiNS0_10empty_typeEEEZNS1_34radix_sort_onesweep_global_offsetsIS3_Lb0EN6thrust23THRUST_200600_302600_NS10device_ptrIiEEPS5_jNS0_19identity_decomposerEEE10hipError_tT1_T2_PT3_SH_jT4_jjP12ihipStream_tbEUlT_E_NS1_11comp_targetILNS1_3genE3ELNS1_11target_archE908ELNS1_3gpuE7ELNS1_3repE0EEENS1_52radix_sort_onesweep_histogram_config_static_selectorELNS0_4arch9wavefront6targetE0EEEvSF_.private_seg_size, 0
	.set _ZN7rocprim17ROCPRIM_400000_NS6detail17trampoline_kernelINS0_14default_configENS1_35radix_sort_onesweep_config_selectorIiNS0_10empty_typeEEEZNS1_34radix_sort_onesweep_global_offsetsIS3_Lb0EN6thrust23THRUST_200600_302600_NS10device_ptrIiEEPS5_jNS0_19identity_decomposerEEE10hipError_tT1_T2_PT3_SH_jT4_jjP12ihipStream_tbEUlT_E_NS1_11comp_targetILNS1_3genE3ELNS1_11target_archE908ELNS1_3gpuE7ELNS1_3repE0EEENS1_52radix_sort_onesweep_histogram_config_static_selectorELNS0_4arch9wavefront6targetE0EEEvSF_.uses_vcc, 0
	.set _ZN7rocprim17ROCPRIM_400000_NS6detail17trampoline_kernelINS0_14default_configENS1_35radix_sort_onesweep_config_selectorIiNS0_10empty_typeEEEZNS1_34radix_sort_onesweep_global_offsetsIS3_Lb0EN6thrust23THRUST_200600_302600_NS10device_ptrIiEEPS5_jNS0_19identity_decomposerEEE10hipError_tT1_T2_PT3_SH_jT4_jjP12ihipStream_tbEUlT_E_NS1_11comp_targetILNS1_3genE3ELNS1_11target_archE908ELNS1_3gpuE7ELNS1_3repE0EEENS1_52radix_sort_onesweep_histogram_config_static_selectorELNS0_4arch9wavefront6targetE0EEEvSF_.uses_flat_scratch, 0
	.set _ZN7rocprim17ROCPRIM_400000_NS6detail17trampoline_kernelINS0_14default_configENS1_35radix_sort_onesweep_config_selectorIiNS0_10empty_typeEEEZNS1_34radix_sort_onesweep_global_offsetsIS3_Lb0EN6thrust23THRUST_200600_302600_NS10device_ptrIiEEPS5_jNS0_19identity_decomposerEEE10hipError_tT1_T2_PT3_SH_jT4_jjP12ihipStream_tbEUlT_E_NS1_11comp_targetILNS1_3genE3ELNS1_11target_archE908ELNS1_3gpuE7ELNS1_3repE0EEENS1_52radix_sort_onesweep_histogram_config_static_selectorELNS0_4arch9wavefront6targetE0EEEvSF_.has_dyn_sized_stack, 0
	.set _ZN7rocprim17ROCPRIM_400000_NS6detail17trampoline_kernelINS0_14default_configENS1_35radix_sort_onesweep_config_selectorIiNS0_10empty_typeEEEZNS1_34radix_sort_onesweep_global_offsetsIS3_Lb0EN6thrust23THRUST_200600_302600_NS10device_ptrIiEEPS5_jNS0_19identity_decomposerEEE10hipError_tT1_T2_PT3_SH_jT4_jjP12ihipStream_tbEUlT_E_NS1_11comp_targetILNS1_3genE3ELNS1_11target_archE908ELNS1_3gpuE7ELNS1_3repE0EEENS1_52radix_sort_onesweep_histogram_config_static_selectorELNS0_4arch9wavefront6targetE0EEEvSF_.has_recursion, 0
	.set _ZN7rocprim17ROCPRIM_400000_NS6detail17trampoline_kernelINS0_14default_configENS1_35radix_sort_onesweep_config_selectorIiNS0_10empty_typeEEEZNS1_34radix_sort_onesweep_global_offsetsIS3_Lb0EN6thrust23THRUST_200600_302600_NS10device_ptrIiEEPS5_jNS0_19identity_decomposerEEE10hipError_tT1_T2_PT3_SH_jT4_jjP12ihipStream_tbEUlT_E_NS1_11comp_targetILNS1_3genE3ELNS1_11target_archE908ELNS1_3gpuE7ELNS1_3repE0EEENS1_52radix_sort_onesweep_histogram_config_static_selectorELNS0_4arch9wavefront6targetE0EEEvSF_.has_indirect_call, 0
	.section	.AMDGPU.csdata,"",@progbits
; Kernel info:
; codeLenInByte = 0
; TotalNumSgprs: 0
; NumVgprs: 0
; ScratchSize: 0
; MemoryBound: 0
; FloatMode: 240
; IeeeMode: 1
; LDSByteSize: 0 bytes/workgroup (compile time only)
; SGPRBlocks: 0
; VGPRBlocks: 0
; NumSGPRsForWavesPerEU: 1
; NumVGPRsForWavesPerEU: 1
; Occupancy: 16
; WaveLimiterHint : 0
; COMPUTE_PGM_RSRC2:SCRATCH_EN: 0
; COMPUTE_PGM_RSRC2:USER_SGPR: 6
; COMPUTE_PGM_RSRC2:TRAP_HANDLER: 0
; COMPUTE_PGM_RSRC2:TGID_X_EN: 1
; COMPUTE_PGM_RSRC2:TGID_Y_EN: 0
; COMPUTE_PGM_RSRC2:TGID_Z_EN: 0
; COMPUTE_PGM_RSRC2:TIDIG_COMP_CNT: 0
	.section	.text._ZN7rocprim17ROCPRIM_400000_NS6detail17trampoline_kernelINS0_14default_configENS1_35radix_sort_onesweep_config_selectorIiNS0_10empty_typeEEEZNS1_34radix_sort_onesweep_global_offsetsIS3_Lb0EN6thrust23THRUST_200600_302600_NS10device_ptrIiEEPS5_jNS0_19identity_decomposerEEE10hipError_tT1_T2_PT3_SH_jT4_jjP12ihipStream_tbEUlT_E_NS1_11comp_targetILNS1_3genE10ELNS1_11target_archE1201ELNS1_3gpuE5ELNS1_3repE0EEENS1_52radix_sort_onesweep_histogram_config_static_selectorELNS0_4arch9wavefront6targetE0EEEvSF_,"axG",@progbits,_ZN7rocprim17ROCPRIM_400000_NS6detail17trampoline_kernelINS0_14default_configENS1_35radix_sort_onesweep_config_selectorIiNS0_10empty_typeEEEZNS1_34radix_sort_onesweep_global_offsetsIS3_Lb0EN6thrust23THRUST_200600_302600_NS10device_ptrIiEEPS5_jNS0_19identity_decomposerEEE10hipError_tT1_T2_PT3_SH_jT4_jjP12ihipStream_tbEUlT_E_NS1_11comp_targetILNS1_3genE10ELNS1_11target_archE1201ELNS1_3gpuE5ELNS1_3repE0EEENS1_52radix_sort_onesweep_histogram_config_static_selectorELNS0_4arch9wavefront6targetE0EEEvSF_,comdat
	.protected	_ZN7rocprim17ROCPRIM_400000_NS6detail17trampoline_kernelINS0_14default_configENS1_35radix_sort_onesweep_config_selectorIiNS0_10empty_typeEEEZNS1_34radix_sort_onesweep_global_offsetsIS3_Lb0EN6thrust23THRUST_200600_302600_NS10device_ptrIiEEPS5_jNS0_19identity_decomposerEEE10hipError_tT1_T2_PT3_SH_jT4_jjP12ihipStream_tbEUlT_E_NS1_11comp_targetILNS1_3genE10ELNS1_11target_archE1201ELNS1_3gpuE5ELNS1_3repE0EEENS1_52radix_sort_onesweep_histogram_config_static_selectorELNS0_4arch9wavefront6targetE0EEEvSF_ ; -- Begin function _ZN7rocprim17ROCPRIM_400000_NS6detail17trampoline_kernelINS0_14default_configENS1_35radix_sort_onesweep_config_selectorIiNS0_10empty_typeEEEZNS1_34radix_sort_onesweep_global_offsetsIS3_Lb0EN6thrust23THRUST_200600_302600_NS10device_ptrIiEEPS5_jNS0_19identity_decomposerEEE10hipError_tT1_T2_PT3_SH_jT4_jjP12ihipStream_tbEUlT_E_NS1_11comp_targetILNS1_3genE10ELNS1_11target_archE1201ELNS1_3gpuE5ELNS1_3repE0EEENS1_52radix_sort_onesweep_histogram_config_static_selectorELNS0_4arch9wavefront6targetE0EEEvSF_
	.globl	_ZN7rocprim17ROCPRIM_400000_NS6detail17trampoline_kernelINS0_14default_configENS1_35radix_sort_onesweep_config_selectorIiNS0_10empty_typeEEEZNS1_34radix_sort_onesweep_global_offsetsIS3_Lb0EN6thrust23THRUST_200600_302600_NS10device_ptrIiEEPS5_jNS0_19identity_decomposerEEE10hipError_tT1_T2_PT3_SH_jT4_jjP12ihipStream_tbEUlT_E_NS1_11comp_targetILNS1_3genE10ELNS1_11target_archE1201ELNS1_3gpuE5ELNS1_3repE0EEENS1_52radix_sort_onesweep_histogram_config_static_selectorELNS0_4arch9wavefront6targetE0EEEvSF_
	.p2align	8
	.type	_ZN7rocprim17ROCPRIM_400000_NS6detail17trampoline_kernelINS0_14default_configENS1_35radix_sort_onesweep_config_selectorIiNS0_10empty_typeEEEZNS1_34radix_sort_onesweep_global_offsetsIS3_Lb0EN6thrust23THRUST_200600_302600_NS10device_ptrIiEEPS5_jNS0_19identity_decomposerEEE10hipError_tT1_T2_PT3_SH_jT4_jjP12ihipStream_tbEUlT_E_NS1_11comp_targetILNS1_3genE10ELNS1_11target_archE1201ELNS1_3gpuE5ELNS1_3repE0EEENS1_52radix_sort_onesweep_histogram_config_static_selectorELNS0_4arch9wavefront6targetE0EEEvSF_,@function
_ZN7rocprim17ROCPRIM_400000_NS6detail17trampoline_kernelINS0_14default_configENS1_35radix_sort_onesweep_config_selectorIiNS0_10empty_typeEEEZNS1_34radix_sort_onesweep_global_offsetsIS3_Lb0EN6thrust23THRUST_200600_302600_NS10device_ptrIiEEPS5_jNS0_19identity_decomposerEEE10hipError_tT1_T2_PT3_SH_jT4_jjP12ihipStream_tbEUlT_E_NS1_11comp_targetILNS1_3genE10ELNS1_11target_archE1201ELNS1_3gpuE5ELNS1_3repE0EEENS1_52radix_sort_onesweep_histogram_config_static_selectorELNS0_4arch9wavefront6targetE0EEEvSF_: ; @_ZN7rocprim17ROCPRIM_400000_NS6detail17trampoline_kernelINS0_14default_configENS1_35radix_sort_onesweep_config_selectorIiNS0_10empty_typeEEEZNS1_34radix_sort_onesweep_global_offsetsIS3_Lb0EN6thrust23THRUST_200600_302600_NS10device_ptrIiEEPS5_jNS0_19identity_decomposerEEE10hipError_tT1_T2_PT3_SH_jT4_jjP12ihipStream_tbEUlT_E_NS1_11comp_targetILNS1_3genE10ELNS1_11target_archE1201ELNS1_3gpuE5ELNS1_3repE0EEENS1_52radix_sort_onesweep_histogram_config_static_selectorELNS0_4arch9wavefront6targetE0EEEvSF_
; %bb.0:
	.section	.rodata,"a",@progbits
	.p2align	6, 0x0
	.amdhsa_kernel _ZN7rocprim17ROCPRIM_400000_NS6detail17trampoline_kernelINS0_14default_configENS1_35radix_sort_onesweep_config_selectorIiNS0_10empty_typeEEEZNS1_34radix_sort_onesweep_global_offsetsIS3_Lb0EN6thrust23THRUST_200600_302600_NS10device_ptrIiEEPS5_jNS0_19identity_decomposerEEE10hipError_tT1_T2_PT3_SH_jT4_jjP12ihipStream_tbEUlT_E_NS1_11comp_targetILNS1_3genE10ELNS1_11target_archE1201ELNS1_3gpuE5ELNS1_3repE0EEENS1_52radix_sort_onesweep_histogram_config_static_selectorELNS0_4arch9wavefront6targetE0EEEvSF_
		.amdhsa_group_segment_fixed_size 0
		.amdhsa_private_segment_fixed_size 0
		.amdhsa_kernarg_size 40
		.amdhsa_user_sgpr_count 6
		.amdhsa_user_sgpr_private_segment_buffer 1
		.amdhsa_user_sgpr_dispatch_ptr 0
		.amdhsa_user_sgpr_queue_ptr 0
		.amdhsa_user_sgpr_kernarg_segment_ptr 1
		.amdhsa_user_sgpr_dispatch_id 0
		.amdhsa_user_sgpr_flat_scratch_init 0
		.amdhsa_user_sgpr_private_segment_size 0
		.amdhsa_wavefront_size32 1
		.amdhsa_uses_dynamic_stack 0
		.amdhsa_system_sgpr_private_segment_wavefront_offset 0
		.amdhsa_system_sgpr_workgroup_id_x 1
		.amdhsa_system_sgpr_workgroup_id_y 0
		.amdhsa_system_sgpr_workgroup_id_z 0
		.amdhsa_system_sgpr_workgroup_info 0
		.amdhsa_system_vgpr_workitem_id 0
		.amdhsa_next_free_vgpr 1
		.amdhsa_next_free_sgpr 1
		.amdhsa_reserve_vcc 0
		.amdhsa_reserve_flat_scratch 0
		.amdhsa_float_round_mode_32 0
		.amdhsa_float_round_mode_16_64 0
		.amdhsa_float_denorm_mode_32 3
		.amdhsa_float_denorm_mode_16_64 3
		.amdhsa_dx10_clamp 1
		.amdhsa_ieee_mode 1
		.amdhsa_fp16_overflow 0
		.amdhsa_workgroup_processor_mode 1
		.amdhsa_memory_ordered 1
		.amdhsa_forward_progress 1
		.amdhsa_shared_vgpr_count 0
		.amdhsa_exception_fp_ieee_invalid_op 0
		.amdhsa_exception_fp_denorm_src 0
		.amdhsa_exception_fp_ieee_div_zero 0
		.amdhsa_exception_fp_ieee_overflow 0
		.amdhsa_exception_fp_ieee_underflow 0
		.amdhsa_exception_fp_ieee_inexact 0
		.amdhsa_exception_int_div_zero 0
	.end_amdhsa_kernel
	.section	.text._ZN7rocprim17ROCPRIM_400000_NS6detail17trampoline_kernelINS0_14default_configENS1_35radix_sort_onesweep_config_selectorIiNS0_10empty_typeEEEZNS1_34radix_sort_onesweep_global_offsetsIS3_Lb0EN6thrust23THRUST_200600_302600_NS10device_ptrIiEEPS5_jNS0_19identity_decomposerEEE10hipError_tT1_T2_PT3_SH_jT4_jjP12ihipStream_tbEUlT_E_NS1_11comp_targetILNS1_3genE10ELNS1_11target_archE1201ELNS1_3gpuE5ELNS1_3repE0EEENS1_52radix_sort_onesweep_histogram_config_static_selectorELNS0_4arch9wavefront6targetE0EEEvSF_,"axG",@progbits,_ZN7rocprim17ROCPRIM_400000_NS6detail17trampoline_kernelINS0_14default_configENS1_35radix_sort_onesweep_config_selectorIiNS0_10empty_typeEEEZNS1_34radix_sort_onesweep_global_offsetsIS3_Lb0EN6thrust23THRUST_200600_302600_NS10device_ptrIiEEPS5_jNS0_19identity_decomposerEEE10hipError_tT1_T2_PT3_SH_jT4_jjP12ihipStream_tbEUlT_E_NS1_11comp_targetILNS1_3genE10ELNS1_11target_archE1201ELNS1_3gpuE5ELNS1_3repE0EEENS1_52radix_sort_onesweep_histogram_config_static_selectorELNS0_4arch9wavefront6targetE0EEEvSF_,comdat
.Lfunc_end1223:
	.size	_ZN7rocprim17ROCPRIM_400000_NS6detail17trampoline_kernelINS0_14default_configENS1_35radix_sort_onesweep_config_selectorIiNS0_10empty_typeEEEZNS1_34radix_sort_onesweep_global_offsetsIS3_Lb0EN6thrust23THRUST_200600_302600_NS10device_ptrIiEEPS5_jNS0_19identity_decomposerEEE10hipError_tT1_T2_PT3_SH_jT4_jjP12ihipStream_tbEUlT_E_NS1_11comp_targetILNS1_3genE10ELNS1_11target_archE1201ELNS1_3gpuE5ELNS1_3repE0EEENS1_52radix_sort_onesweep_histogram_config_static_selectorELNS0_4arch9wavefront6targetE0EEEvSF_, .Lfunc_end1223-_ZN7rocprim17ROCPRIM_400000_NS6detail17trampoline_kernelINS0_14default_configENS1_35radix_sort_onesweep_config_selectorIiNS0_10empty_typeEEEZNS1_34radix_sort_onesweep_global_offsetsIS3_Lb0EN6thrust23THRUST_200600_302600_NS10device_ptrIiEEPS5_jNS0_19identity_decomposerEEE10hipError_tT1_T2_PT3_SH_jT4_jjP12ihipStream_tbEUlT_E_NS1_11comp_targetILNS1_3genE10ELNS1_11target_archE1201ELNS1_3gpuE5ELNS1_3repE0EEENS1_52radix_sort_onesweep_histogram_config_static_selectorELNS0_4arch9wavefront6targetE0EEEvSF_
                                        ; -- End function
	.set _ZN7rocprim17ROCPRIM_400000_NS6detail17trampoline_kernelINS0_14default_configENS1_35radix_sort_onesweep_config_selectorIiNS0_10empty_typeEEEZNS1_34radix_sort_onesweep_global_offsetsIS3_Lb0EN6thrust23THRUST_200600_302600_NS10device_ptrIiEEPS5_jNS0_19identity_decomposerEEE10hipError_tT1_T2_PT3_SH_jT4_jjP12ihipStream_tbEUlT_E_NS1_11comp_targetILNS1_3genE10ELNS1_11target_archE1201ELNS1_3gpuE5ELNS1_3repE0EEENS1_52radix_sort_onesweep_histogram_config_static_selectorELNS0_4arch9wavefront6targetE0EEEvSF_.num_vgpr, 0
	.set _ZN7rocprim17ROCPRIM_400000_NS6detail17trampoline_kernelINS0_14default_configENS1_35radix_sort_onesweep_config_selectorIiNS0_10empty_typeEEEZNS1_34radix_sort_onesweep_global_offsetsIS3_Lb0EN6thrust23THRUST_200600_302600_NS10device_ptrIiEEPS5_jNS0_19identity_decomposerEEE10hipError_tT1_T2_PT3_SH_jT4_jjP12ihipStream_tbEUlT_E_NS1_11comp_targetILNS1_3genE10ELNS1_11target_archE1201ELNS1_3gpuE5ELNS1_3repE0EEENS1_52radix_sort_onesweep_histogram_config_static_selectorELNS0_4arch9wavefront6targetE0EEEvSF_.num_agpr, 0
	.set _ZN7rocprim17ROCPRIM_400000_NS6detail17trampoline_kernelINS0_14default_configENS1_35radix_sort_onesweep_config_selectorIiNS0_10empty_typeEEEZNS1_34radix_sort_onesweep_global_offsetsIS3_Lb0EN6thrust23THRUST_200600_302600_NS10device_ptrIiEEPS5_jNS0_19identity_decomposerEEE10hipError_tT1_T2_PT3_SH_jT4_jjP12ihipStream_tbEUlT_E_NS1_11comp_targetILNS1_3genE10ELNS1_11target_archE1201ELNS1_3gpuE5ELNS1_3repE0EEENS1_52radix_sort_onesweep_histogram_config_static_selectorELNS0_4arch9wavefront6targetE0EEEvSF_.numbered_sgpr, 0
	.set _ZN7rocprim17ROCPRIM_400000_NS6detail17trampoline_kernelINS0_14default_configENS1_35radix_sort_onesweep_config_selectorIiNS0_10empty_typeEEEZNS1_34radix_sort_onesweep_global_offsetsIS3_Lb0EN6thrust23THRUST_200600_302600_NS10device_ptrIiEEPS5_jNS0_19identity_decomposerEEE10hipError_tT1_T2_PT3_SH_jT4_jjP12ihipStream_tbEUlT_E_NS1_11comp_targetILNS1_3genE10ELNS1_11target_archE1201ELNS1_3gpuE5ELNS1_3repE0EEENS1_52radix_sort_onesweep_histogram_config_static_selectorELNS0_4arch9wavefront6targetE0EEEvSF_.num_named_barrier, 0
	.set _ZN7rocprim17ROCPRIM_400000_NS6detail17trampoline_kernelINS0_14default_configENS1_35radix_sort_onesweep_config_selectorIiNS0_10empty_typeEEEZNS1_34radix_sort_onesweep_global_offsetsIS3_Lb0EN6thrust23THRUST_200600_302600_NS10device_ptrIiEEPS5_jNS0_19identity_decomposerEEE10hipError_tT1_T2_PT3_SH_jT4_jjP12ihipStream_tbEUlT_E_NS1_11comp_targetILNS1_3genE10ELNS1_11target_archE1201ELNS1_3gpuE5ELNS1_3repE0EEENS1_52radix_sort_onesweep_histogram_config_static_selectorELNS0_4arch9wavefront6targetE0EEEvSF_.private_seg_size, 0
	.set _ZN7rocprim17ROCPRIM_400000_NS6detail17trampoline_kernelINS0_14default_configENS1_35radix_sort_onesweep_config_selectorIiNS0_10empty_typeEEEZNS1_34radix_sort_onesweep_global_offsetsIS3_Lb0EN6thrust23THRUST_200600_302600_NS10device_ptrIiEEPS5_jNS0_19identity_decomposerEEE10hipError_tT1_T2_PT3_SH_jT4_jjP12ihipStream_tbEUlT_E_NS1_11comp_targetILNS1_3genE10ELNS1_11target_archE1201ELNS1_3gpuE5ELNS1_3repE0EEENS1_52radix_sort_onesweep_histogram_config_static_selectorELNS0_4arch9wavefront6targetE0EEEvSF_.uses_vcc, 0
	.set _ZN7rocprim17ROCPRIM_400000_NS6detail17trampoline_kernelINS0_14default_configENS1_35radix_sort_onesweep_config_selectorIiNS0_10empty_typeEEEZNS1_34radix_sort_onesweep_global_offsetsIS3_Lb0EN6thrust23THRUST_200600_302600_NS10device_ptrIiEEPS5_jNS0_19identity_decomposerEEE10hipError_tT1_T2_PT3_SH_jT4_jjP12ihipStream_tbEUlT_E_NS1_11comp_targetILNS1_3genE10ELNS1_11target_archE1201ELNS1_3gpuE5ELNS1_3repE0EEENS1_52radix_sort_onesweep_histogram_config_static_selectorELNS0_4arch9wavefront6targetE0EEEvSF_.uses_flat_scratch, 0
	.set _ZN7rocprim17ROCPRIM_400000_NS6detail17trampoline_kernelINS0_14default_configENS1_35radix_sort_onesweep_config_selectorIiNS0_10empty_typeEEEZNS1_34radix_sort_onesweep_global_offsetsIS3_Lb0EN6thrust23THRUST_200600_302600_NS10device_ptrIiEEPS5_jNS0_19identity_decomposerEEE10hipError_tT1_T2_PT3_SH_jT4_jjP12ihipStream_tbEUlT_E_NS1_11comp_targetILNS1_3genE10ELNS1_11target_archE1201ELNS1_3gpuE5ELNS1_3repE0EEENS1_52radix_sort_onesweep_histogram_config_static_selectorELNS0_4arch9wavefront6targetE0EEEvSF_.has_dyn_sized_stack, 0
	.set _ZN7rocprim17ROCPRIM_400000_NS6detail17trampoline_kernelINS0_14default_configENS1_35radix_sort_onesweep_config_selectorIiNS0_10empty_typeEEEZNS1_34radix_sort_onesweep_global_offsetsIS3_Lb0EN6thrust23THRUST_200600_302600_NS10device_ptrIiEEPS5_jNS0_19identity_decomposerEEE10hipError_tT1_T2_PT3_SH_jT4_jjP12ihipStream_tbEUlT_E_NS1_11comp_targetILNS1_3genE10ELNS1_11target_archE1201ELNS1_3gpuE5ELNS1_3repE0EEENS1_52radix_sort_onesweep_histogram_config_static_selectorELNS0_4arch9wavefront6targetE0EEEvSF_.has_recursion, 0
	.set _ZN7rocprim17ROCPRIM_400000_NS6detail17trampoline_kernelINS0_14default_configENS1_35radix_sort_onesweep_config_selectorIiNS0_10empty_typeEEEZNS1_34radix_sort_onesweep_global_offsetsIS3_Lb0EN6thrust23THRUST_200600_302600_NS10device_ptrIiEEPS5_jNS0_19identity_decomposerEEE10hipError_tT1_T2_PT3_SH_jT4_jjP12ihipStream_tbEUlT_E_NS1_11comp_targetILNS1_3genE10ELNS1_11target_archE1201ELNS1_3gpuE5ELNS1_3repE0EEENS1_52radix_sort_onesweep_histogram_config_static_selectorELNS0_4arch9wavefront6targetE0EEEvSF_.has_indirect_call, 0
	.section	.AMDGPU.csdata,"",@progbits
; Kernel info:
; codeLenInByte = 0
; TotalNumSgprs: 0
; NumVgprs: 0
; ScratchSize: 0
; MemoryBound: 0
; FloatMode: 240
; IeeeMode: 1
; LDSByteSize: 0 bytes/workgroup (compile time only)
; SGPRBlocks: 0
; VGPRBlocks: 0
; NumSGPRsForWavesPerEU: 1
; NumVGPRsForWavesPerEU: 1
; Occupancy: 16
; WaveLimiterHint : 0
; COMPUTE_PGM_RSRC2:SCRATCH_EN: 0
; COMPUTE_PGM_RSRC2:USER_SGPR: 6
; COMPUTE_PGM_RSRC2:TRAP_HANDLER: 0
; COMPUTE_PGM_RSRC2:TGID_X_EN: 1
; COMPUTE_PGM_RSRC2:TGID_Y_EN: 0
; COMPUTE_PGM_RSRC2:TGID_Z_EN: 0
; COMPUTE_PGM_RSRC2:TIDIG_COMP_CNT: 0
	.section	.text._ZN7rocprim17ROCPRIM_400000_NS6detail17trampoline_kernelINS0_14default_configENS1_35radix_sort_onesweep_config_selectorIiNS0_10empty_typeEEEZNS1_34radix_sort_onesweep_global_offsetsIS3_Lb0EN6thrust23THRUST_200600_302600_NS10device_ptrIiEEPS5_jNS0_19identity_decomposerEEE10hipError_tT1_T2_PT3_SH_jT4_jjP12ihipStream_tbEUlT_E_NS1_11comp_targetILNS1_3genE9ELNS1_11target_archE1100ELNS1_3gpuE3ELNS1_3repE0EEENS1_52radix_sort_onesweep_histogram_config_static_selectorELNS0_4arch9wavefront6targetE0EEEvSF_,"axG",@progbits,_ZN7rocprim17ROCPRIM_400000_NS6detail17trampoline_kernelINS0_14default_configENS1_35radix_sort_onesweep_config_selectorIiNS0_10empty_typeEEEZNS1_34radix_sort_onesweep_global_offsetsIS3_Lb0EN6thrust23THRUST_200600_302600_NS10device_ptrIiEEPS5_jNS0_19identity_decomposerEEE10hipError_tT1_T2_PT3_SH_jT4_jjP12ihipStream_tbEUlT_E_NS1_11comp_targetILNS1_3genE9ELNS1_11target_archE1100ELNS1_3gpuE3ELNS1_3repE0EEENS1_52radix_sort_onesweep_histogram_config_static_selectorELNS0_4arch9wavefront6targetE0EEEvSF_,comdat
	.protected	_ZN7rocprim17ROCPRIM_400000_NS6detail17trampoline_kernelINS0_14default_configENS1_35radix_sort_onesweep_config_selectorIiNS0_10empty_typeEEEZNS1_34radix_sort_onesweep_global_offsetsIS3_Lb0EN6thrust23THRUST_200600_302600_NS10device_ptrIiEEPS5_jNS0_19identity_decomposerEEE10hipError_tT1_T2_PT3_SH_jT4_jjP12ihipStream_tbEUlT_E_NS1_11comp_targetILNS1_3genE9ELNS1_11target_archE1100ELNS1_3gpuE3ELNS1_3repE0EEENS1_52radix_sort_onesweep_histogram_config_static_selectorELNS0_4arch9wavefront6targetE0EEEvSF_ ; -- Begin function _ZN7rocprim17ROCPRIM_400000_NS6detail17trampoline_kernelINS0_14default_configENS1_35radix_sort_onesweep_config_selectorIiNS0_10empty_typeEEEZNS1_34radix_sort_onesweep_global_offsetsIS3_Lb0EN6thrust23THRUST_200600_302600_NS10device_ptrIiEEPS5_jNS0_19identity_decomposerEEE10hipError_tT1_T2_PT3_SH_jT4_jjP12ihipStream_tbEUlT_E_NS1_11comp_targetILNS1_3genE9ELNS1_11target_archE1100ELNS1_3gpuE3ELNS1_3repE0EEENS1_52radix_sort_onesweep_histogram_config_static_selectorELNS0_4arch9wavefront6targetE0EEEvSF_
	.globl	_ZN7rocprim17ROCPRIM_400000_NS6detail17trampoline_kernelINS0_14default_configENS1_35radix_sort_onesweep_config_selectorIiNS0_10empty_typeEEEZNS1_34radix_sort_onesweep_global_offsetsIS3_Lb0EN6thrust23THRUST_200600_302600_NS10device_ptrIiEEPS5_jNS0_19identity_decomposerEEE10hipError_tT1_T2_PT3_SH_jT4_jjP12ihipStream_tbEUlT_E_NS1_11comp_targetILNS1_3genE9ELNS1_11target_archE1100ELNS1_3gpuE3ELNS1_3repE0EEENS1_52radix_sort_onesweep_histogram_config_static_selectorELNS0_4arch9wavefront6targetE0EEEvSF_
	.p2align	8
	.type	_ZN7rocprim17ROCPRIM_400000_NS6detail17trampoline_kernelINS0_14default_configENS1_35radix_sort_onesweep_config_selectorIiNS0_10empty_typeEEEZNS1_34radix_sort_onesweep_global_offsetsIS3_Lb0EN6thrust23THRUST_200600_302600_NS10device_ptrIiEEPS5_jNS0_19identity_decomposerEEE10hipError_tT1_T2_PT3_SH_jT4_jjP12ihipStream_tbEUlT_E_NS1_11comp_targetILNS1_3genE9ELNS1_11target_archE1100ELNS1_3gpuE3ELNS1_3repE0EEENS1_52radix_sort_onesweep_histogram_config_static_selectorELNS0_4arch9wavefront6targetE0EEEvSF_,@function
_ZN7rocprim17ROCPRIM_400000_NS6detail17trampoline_kernelINS0_14default_configENS1_35radix_sort_onesweep_config_selectorIiNS0_10empty_typeEEEZNS1_34radix_sort_onesweep_global_offsetsIS3_Lb0EN6thrust23THRUST_200600_302600_NS10device_ptrIiEEPS5_jNS0_19identity_decomposerEEE10hipError_tT1_T2_PT3_SH_jT4_jjP12ihipStream_tbEUlT_E_NS1_11comp_targetILNS1_3genE9ELNS1_11target_archE1100ELNS1_3gpuE3ELNS1_3repE0EEENS1_52radix_sort_onesweep_histogram_config_static_selectorELNS0_4arch9wavefront6targetE0EEEvSF_: ; @_ZN7rocprim17ROCPRIM_400000_NS6detail17trampoline_kernelINS0_14default_configENS1_35radix_sort_onesweep_config_selectorIiNS0_10empty_typeEEEZNS1_34radix_sort_onesweep_global_offsetsIS3_Lb0EN6thrust23THRUST_200600_302600_NS10device_ptrIiEEPS5_jNS0_19identity_decomposerEEE10hipError_tT1_T2_PT3_SH_jT4_jjP12ihipStream_tbEUlT_E_NS1_11comp_targetILNS1_3genE9ELNS1_11target_archE1100ELNS1_3gpuE3ELNS1_3repE0EEENS1_52radix_sort_onesweep_histogram_config_static_selectorELNS0_4arch9wavefront6targetE0EEEvSF_
; %bb.0:
	.section	.rodata,"a",@progbits
	.p2align	6, 0x0
	.amdhsa_kernel _ZN7rocprim17ROCPRIM_400000_NS6detail17trampoline_kernelINS0_14default_configENS1_35radix_sort_onesweep_config_selectorIiNS0_10empty_typeEEEZNS1_34radix_sort_onesweep_global_offsetsIS3_Lb0EN6thrust23THRUST_200600_302600_NS10device_ptrIiEEPS5_jNS0_19identity_decomposerEEE10hipError_tT1_T2_PT3_SH_jT4_jjP12ihipStream_tbEUlT_E_NS1_11comp_targetILNS1_3genE9ELNS1_11target_archE1100ELNS1_3gpuE3ELNS1_3repE0EEENS1_52radix_sort_onesweep_histogram_config_static_selectorELNS0_4arch9wavefront6targetE0EEEvSF_
		.amdhsa_group_segment_fixed_size 0
		.amdhsa_private_segment_fixed_size 0
		.amdhsa_kernarg_size 40
		.amdhsa_user_sgpr_count 6
		.amdhsa_user_sgpr_private_segment_buffer 1
		.amdhsa_user_sgpr_dispatch_ptr 0
		.amdhsa_user_sgpr_queue_ptr 0
		.amdhsa_user_sgpr_kernarg_segment_ptr 1
		.amdhsa_user_sgpr_dispatch_id 0
		.amdhsa_user_sgpr_flat_scratch_init 0
		.amdhsa_user_sgpr_private_segment_size 0
		.amdhsa_wavefront_size32 1
		.amdhsa_uses_dynamic_stack 0
		.amdhsa_system_sgpr_private_segment_wavefront_offset 0
		.amdhsa_system_sgpr_workgroup_id_x 1
		.amdhsa_system_sgpr_workgroup_id_y 0
		.amdhsa_system_sgpr_workgroup_id_z 0
		.amdhsa_system_sgpr_workgroup_info 0
		.amdhsa_system_vgpr_workitem_id 0
		.amdhsa_next_free_vgpr 1
		.amdhsa_next_free_sgpr 1
		.amdhsa_reserve_vcc 0
		.amdhsa_reserve_flat_scratch 0
		.amdhsa_float_round_mode_32 0
		.amdhsa_float_round_mode_16_64 0
		.amdhsa_float_denorm_mode_32 3
		.amdhsa_float_denorm_mode_16_64 3
		.amdhsa_dx10_clamp 1
		.amdhsa_ieee_mode 1
		.amdhsa_fp16_overflow 0
		.amdhsa_workgroup_processor_mode 1
		.amdhsa_memory_ordered 1
		.amdhsa_forward_progress 1
		.amdhsa_shared_vgpr_count 0
		.amdhsa_exception_fp_ieee_invalid_op 0
		.amdhsa_exception_fp_denorm_src 0
		.amdhsa_exception_fp_ieee_div_zero 0
		.amdhsa_exception_fp_ieee_overflow 0
		.amdhsa_exception_fp_ieee_underflow 0
		.amdhsa_exception_fp_ieee_inexact 0
		.amdhsa_exception_int_div_zero 0
	.end_amdhsa_kernel
	.section	.text._ZN7rocprim17ROCPRIM_400000_NS6detail17trampoline_kernelINS0_14default_configENS1_35radix_sort_onesweep_config_selectorIiNS0_10empty_typeEEEZNS1_34radix_sort_onesweep_global_offsetsIS3_Lb0EN6thrust23THRUST_200600_302600_NS10device_ptrIiEEPS5_jNS0_19identity_decomposerEEE10hipError_tT1_T2_PT3_SH_jT4_jjP12ihipStream_tbEUlT_E_NS1_11comp_targetILNS1_3genE9ELNS1_11target_archE1100ELNS1_3gpuE3ELNS1_3repE0EEENS1_52radix_sort_onesweep_histogram_config_static_selectorELNS0_4arch9wavefront6targetE0EEEvSF_,"axG",@progbits,_ZN7rocprim17ROCPRIM_400000_NS6detail17trampoline_kernelINS0_14default_configENS1_35radix_sort_onesweep_config_selectorIiNS0_10empty_typeEEEZNS1_34radix_sort_onesweep_global_offsetsIS3_Lb0EN6thrust23THRUST_200600_302600_NS10device_ptrIiEEPS5_jNS0_19identity_decomposerEEE10hipError_tT1_T2_PT3_SH_jT4_jjP12ihipStream_tbEUlT_E_NS1_11comp_targetILNS1_3genE9ELNS1_11target_archE1100ELNS1_3gpuE3ELNS1_3repE0EEENS1_52radix_sort_onesweep_histogram_config_static_selectorELNS0_4arch9wavefront6targetE0EEEvSF_,comdat
.Lfunc_end1224:
	.size	_ZN7rocprim17ROCPRIM_400000_NS6detail17trampoline_kernelINS0_14default_configENS1_35radix_sort_onesweep_config_selectorIiNS0_10empty_typeEEEZNS1_34radix_sort_onesweep_global_offsetsIS3_Lb0EN6thrust23THRUST_200600_302600_NS10device_ptrIiEEPS5_jNS0_19identity_decomposerEEE10hipError_tT1_T2_PT3_SH_jT4_jjP12ihipStream_tbEUlT_E_NS1_11comp_targetILNS1_3genE9ELNS1_11target_archE1100ELNS1_3gpuE3ELNS1_3repE0EEENS1_52radix_sort_onesweep_histogram_config_static_selectorELNS0_4arch9wavefront6targetE0EEEvSF_, .Lfunc_end1224-_ZN7rocprim17ROCPRIM_400000_NS6detail17trampoline_kernelINS0_14default_configENS1_35radix_sort_onesweep_config_selectorIiNS0_10empty_typeEEEZNS1_34radix_sort_onesweep_global_offsetsIS3_Lb0EN6thrust23THRUST_200600_302600_NS10device_ptrIiEEPS5_jNS0_19identity_decomposerEEE10hipError_tT1_T2_PT3_SH_jT4_jjP12ihipStream_tbEUlT_E_NS1_11comp_targetILNS1_3genE9ELNS1_11target_archE1100ELNS1_3gpuE3ELNS1_3repE0EEENS1_52radix_sort_onesweep_histogram_config_static_selectorELNS0_4arch9wavefront6targetE0EEEvSF_
                                        ; -- End function
	.set _ZN7rocprim17ROCPRIM_400000_NS6detail17trampoline_kernelINS0_14default_configENS1_35radix_sort_onesweep_config_selectorIiNS0_10empty_typeEEEZNS1_34radix_sort_onesweep_global_offsetsIS3_Lb0EN6thrust23THRUST_200600_302600_NS10device_ptrIiEEPS5_jNS0_19identity_decomposerEEE10hipError_tT1_T2_PT3_SH_jT4_jjP12ihipStream_tbEUlT_E_NS1_11comp_targetILNS1_3genE9ELNS1_11target_archE1100ELNS1_3gpuE3ELNS1_3repE0EEENS1_52radix_sort_onesweep_histogram_config_static_selectorELNS0_4arch9wavefront6targetE0EEEvSF_.num_vgpr, 0
	.set _ZN7rocprim17ROCPRIM_400000_NS6detail17trampoline_kernelINS0_14default_configENS1_35radix_sort_onesweep_config_selectorIiNS0_10empty_typeEEEZNS1_34radix_sort_onesweep_global_offsetsIS3_Lb0EN6thrust23THRUST_200600_302600_NS10device_ptrIiEEPS5_jNS0_19identity_decomposerEEE10hipError_tT1_T2_PT3_SH_jT4_jjP12ihipStream_tbEUlT_E_NS1_11comp_targetILNS1_3genE9ELNS1_11target_archE1100ELNS1_3gpuE3ELNS1_3repE0EEENS1_52radix_sort_onesweep_histogram_config_static_selectorELNS0_4arch9wavefront6targetE0EEEvSF_.num_agpr, 0
	.set _ZN7rocprim17ROCPRIM_400000_NS6detail17trampoline_kernelINS0_14default_configENS1_35radix_sort_onesweep_config_selectorIiNS0_10empty_typeEEEZNS1_34radix_sort_onesweep_global_offsetsIS3_Lb0EN6thrust23THRUST_200600_302600_NS10device_ptrIiEEPS5_jNS0_19identity_decomposerEEE10hipError_tT1_T2_PT3_SH_jT4_jjP12ihipStream_tbEUlT_E_NS1_11comp_targetILNS1_3genE9ELNS1_11target_archE1100ELNS1_3gpuE3ELNS1_3repE0EEENS1_52radix_sort_onesweep_histogram_config_static_selectorELNS0_4arch9wavefront6targetE0EEEvSF_.numbered_sgpr, 0
	.set _ZN7rocprim17ROCPRIM_400000_NS6detail17trampoline_kernelINS0_14default_configENS1_35radix_sort_onesweep_config_selectorIiNS0_10empty_typeEEEZNS1_34radix_sort_onesweep_global_offsetsIS3_Lb0EN6thrust23THRUST_200600_302600_NS10device_ptrIiEEPS5_jNS0_19identity_decomposerEEE10hipError_tT1_T2_PT3_SH_jT4_jjP12ihipStream_tbEUlT_E_NS1_11comp_targetILNS1_3genE9ELNS1_11target_archE1100ELNS1_3gpuE3ELNS1_3repE0EEENS1_52radix_sort_onesweep_histogram_config_static_selectorELNS0_4arch9wavefront6targetE0EEEvSF_.num_named_barrier, 0
	.set _ZN7rocprim17ROCPRIM_400000_NS6detail17trampoline_kernelINS0_14default_configENS1_35radix_sort_onesweep_config_selectorIiNS0_10empty_typeEEEZNS1_34radix_sort_onesweep_global_offsetsIS3_Lb0EN6thrust23THRUST_200600_302600_NS10device_ptrIiEEPS5_jNS0_19identity_decomposerEEE10hipError_tT1_T2_PT3_SH_jT4_jjP12ihipStream_tbEUlT_E_NS1_11comp_targetILNS1_3genE9ELNS1_11target_archE1100ELNS1_3gpuE3ELNS1_3repE0EEENS1_52radix_sort_onesweep_histogram_config_static_selectorELNS0_4arch9wavefront6targetE0EEEvSF_.private_seg_size, 0
	.set _ZN7rocprim17ROCPRIM_400000_NS6detail17trampoline_kernelINS0_14default_configENS1_35radix_sort_onesweep_config_selectorIiNS0_10empty_typeEEEZNS1_34radix_sort_onesweep_global_offsetsIS3_Lb0EN6thrust23THRUST_200600_302600_NS10device_ptrIiEEPS5_jNS0_19identity_decomposerEEE10hipError_tT1_T2_PT3_SH_jT4_jjP12ihipStream_tbEUlT_E_NS1_11comp_targetILNS1_3genE9ELNS1_11target_archE1100ELNS1_3gpuE3ELNS1_3repE0EEENS1_52radix_sort_onesweep_histogram_config_static_selectorELNS0_4arch9wavefront6targetE0EEEvSF_.uses_vcc, 0
	.set _ZN7rocprim17ROCPRIM_400000_NS6detail17trampoline_kernelINS0_14default_configENS1_35radix_sort_onesweep_config_selectorIiNS0_10empty_typeEEEZNS1_34radix_sort_onesweep_global_offsetsIS3_Lb0EN6thrust23THRUST_200600_302600_NS10device_ptrIiEEPS5_jNS0_19identity_decomposerEEE10hipError_tT1_T2_PT3_SH_jT4_jjP12ihipStream_tbEUlT_E_NS1_11comp_targetILNS1_3genE9ELNS1_11target_archE1100ELNS1_3gpuE3ELNS1_3repE0EEENS1_52radix_sort_onesweep_histogram_config_static_selectorELNS0_4arch9wavefront6targetE0EEEvSF_.uses_flat_scratch, 0
	.set _ZN7rocprim17ROCPRIM_400000_NS6detail17trampoline_kernelINS0_14default_configENS1_35radix_sort_onesweep_config_selectorIiNS0_10empty_typeEEEZNS1_34radix_sort_onesweep_global_offsetsIS3_Lb0EN6thrust23THRUST_200600_302600_NS10device_ptrIiEEPS5_jNS0_19identity_decomposerEEE10hipError_tT1_T2_PT3_SH_jT4_jjP12ihipStream_tbEUlT_E_NS1_11comp_targetILNS1_3genE9ELNS1_11target_archE1100ELNS1_3gpuE3ELNS1_3repE0EEENS1_52radix_sort_onesweep_histogram_config_static_selectorELNS0_4arch9wavefront6targetE0EEEvSF_.has_dyn_sized_stack, 0
	.set _ZN7rocprim17ROCPRIM_400000_NS6detail17trampoline_kernelINS0_14default_configENS1_35radix_sort_onesweep_config_selectorIiNS0_10empty_typeEEEZNS1_34radix_sort_onesweep_global_offsetsIS3_Lb0EN6thrust23THRUST_200600_302600_NS10device_ptrIiEEPS5_jNS0_19identity_decomposerEEE10hipError_tT1_T2_PT3_SH_jT4_jjP12ihipStream_tbEUlT_E_NS1_11comp_targetILNS1_3genE9ELNS1_11target_archE1100ELNS1_3gpuE3ELNS1_3repE0EEENS1_52radix_sort_onesweep_histogram_config_static_selectorELNS0_4arch9wavefront6targetE0EEEvSF_.has_recursion, 0
	.set _ZN7rocprim17ROCPRIM_400000_NS6detail17trampoline_kernelINS0_14default_configENS1_35radix_sort_onesweep_config_selectorIiNS0_10empty_typeEEEZNS1_34radix_sort_onesweep_global_offsetsIS3_Lb0EN6thrust23THRUST_200600_302600_NS10device_ptrIiEEPS5_jNS0_19identity_decomposerEEE10hipError_tT1_T2_PT3_SH_jT4_jjP12ihipStream_tbEUlT_E_NS1_11comp_targetILNS1_3genE9ELNS1_11target_archE1100ELNS1_3gpuE3ELNS1_3repE0EEENS1_52radix_sort_onesweep_histogram_config_static_selectorELNS0_4arch9wavefront6targetE0EEEvSF_.has_indirect_call, 0
	.section	.AMDGPU.csdata,"",@progbits
; Kernel info:
; codeLenInByte = 0
; TotalNumSgprs: 0
; NumVgprs: 0
; ScratchSize: 0
; MemoryBound: 0
; FloatMode: 240
; IeeeMode: 1
; LDSByteSize: 0 bytes/workgroup (compile time only)
; SGPRBlocks: 0
; VGPRBlocks: 0
; NumSGPRsForWavesPerEU: 1
; NumVGPRsForWavesPerEU: 1
; Occupancy: 16
; WaveLimiterHint : 0
; COMPUTE_PGM_RSRC2:SCRATCH_EN: 0
; COMPUTE_PGM_RSRC2:USER_SGPR: 6
; COMPUTE_PGM_RSRC2:TRAP_HANDLER: 0
; COMPUTE_PGM_RSRC2:TGID_X_EN: 1
; COMPUTE_PGM_RSRC2:TGID_Y_EN: 0
; COMPUTE_PGM_RSRC2:TGID_Z_EN: 0
; COMPUTE_PGM_RSRC2:TIDIG_COMP_CNT: 0
	.section	.text._ZN7rocprim17ROCPRIM_400000_NS6detail17trampoline_kernelINS0_14default_configENS1_35radix_sort_onesweep_config_selectorIiNS0_10empty_typeEEEZNS1_34radix_sort_onesweep_global_offsetsIS3_Lb0EN6thrust23THRUST_200600_302600_NS10device_ptrIiEEPS5_jNS0_19identity_decomposerEEE10hipError_tT1_T2_PT3_SH_jT4_jjP12ihipStream_tbEUlT_E_NS1_11comp_targetILNS1_3genE8ELNS1_11target_archE1030ELNS1_3gpuE2ELNS1_3repE0EEENS1_52radix_sort_onesweep_histogram_config_static_selectorELNS0_4arch9wavefront6targetE0EEEvSF_,"axG",@progbits,_ZN7rocprim17ROCPRIM_400000_NS6detail17trampoline_kernelINS0_14default_configENS1_35radix_sort_onesweep_config_selectorIiNS0_10empty_typeEEEZNS1_34radix_sort_onesweep_global_offsetsIS3_Lb0EN6thrust23THRUST_200600_302600_NS10device_ptrIiEEPS5_jNS0_19identity_decomposerEEE10hipError_tT1_T2_PT3_SH_jT4_jjP12ihipStream_tbEUlT_E_NS1_11comp_targetILNS1_3genE8ELNS1_11target_archE1030ELNS1_3gpuE2ELNS1_3repE0EEENS1_52radix_sort_onesweep_histogram_config_static_selectorELNS0_4arch9wavefront6targetE0EEEvSF_,comdat
	.protected	_ZN7rocprim17ROCPRIM_400000_NS6detail17trampoline_kernelINS0_14default_configENS1_35radix_sort_onesweep_config_selectorIiNS0_10empty_typeEEEZNS1_34radix_sort_onesweep_global_offsetsIS3_Lb0EN6thrust23THRUST_200600_302600_NS10device_ptrIiEEPS5_jNS0_19identity_decomposerEEE10hipError_tT1_T2_PT3_SH_jT4_jjP12ihipStream_tbEUlT_E_NS1_11comp_targetILNS1_3genE8ELNS1_11target_archE1030ELNS1_3gpuE2ELNS1_3repE0EEENS1_52radix_sort_onesweep_histogram_config_static_selectorELNS0_4arch9wavefront6targetE0EEEvSF_ ; -- Begin function _ZN7rocprim17ROCPRIM_400000_NS6detail17trampoline_kernelINS0_14default_configENS1_35radix_sort_onesweep_config_selectorIiNS0_10empty_typeEEEZNS1_34radix_sort_onesweep_global_offsetsIS3_Lb0EN6thrust23THRUST_200600_302600_NS10device_ptrIiEEPS5_jNS0_19identity_decomposerEEE10hipError_tT1_T2_PT3_SH_jT4_jjP12ihipStream_tbEUlT_E_NS1_11comp_targetILNS1_3genE8ELNS1_11target_archE1030ELNS1_3gpuE2ELNS1_3repE0EEENS1_52radix_sort_onesweep_histogram_config_static_selectorELNS0_4arch9wavefront6targetE0EEEvSF_
	.globl	_ZN7rocprim17ROCPRIM_400000_NS6detail17trampoline_kernelINS0_14default_configENS1_35radix_sort_onesweep_config_selectorIiNS0_10empty_typeEEEZNS1_34radix_sort_onesweep_global_offsetsIS3_Lb0EN6thrust23THRUST_200600_302600_NS10device_ptrIiEEPS5_jNS0_19identity_decomposerEEE10hipError_tT1_T2_PT3_SH_jT4_jjP12ihipStream_tbEUlT_E_NS1_11comp_targetILNS1_3genE8ELNS1_11target_archE1030ELNS1_3gpuE2ELNS1_3repE0EEENS1_52radix_sort_onesweep_histogram_config_static_selectorELNS0_4arch9wavefront6targetE0EEEvSF_
	.p2align	8
	.type	_ZN7rocprim17ROCPRIM_400000_NS6detail17trampoline_kernelINS0_14default_configENS1_35radix_sort_onesweep_config_selectorIiNS0_10empty_typeEEEZNS1_34radix_sort_onesweep_global_offsetsIS3_Lb0EN6thrust23THRUST_200600_302600_NS10device_ptrIiEEPS5_jNS0_19identity_decomposerEEE10hipError_tT1_T2_PT3_SH_jT4_jjP12ihipStream_tbEUlT_E_NS1_11comp_targetILNS1_3genE8ELNS1_11target_archE1030ELNS1_3gpuE2ELNS1_3repE0EEENS1_52radix_sort_onesweep_histogram_config_static_selectorELNS0_4arch9wavefront6targetE0EEEvSF_,@function
_ZN7rocprim17ROCPRIM_400000_NS6detail17trampoline_kernelINS0_14default_configENS1_35radix_sort_onesweep_config_selectorIiNS0_10empty_typeEEEZNS1_34radix_sort_onesweep_global_offsetsIS3_Lb0EN6thrust23THRUST_200600_302600_NS10device_ptrIiEEPS5_jNS0_19identity_decomposerEEE10hipError_tT1_T2_PT3_SH_jT4_jjP12ihipStream_tbEUlT_E_NS1_11comp_targetILNS1_3genE8ELNS1_11target_archE1030ELNS1_3gpuE2ELNS1_3repE0EEENS1_52radix_sort_onesweep_histogram_config_static_selectorELNS0_4arch9wavefront6targetE0EEEvSF_: ; @_ZN7rocprim17ROCPRIM_400000_NS6detail17trampoline_kernelINS0_14default_configENS1_35radix_sort_onesweep_config_selectorIiNS0_10empty_typeEEEZNS1_34radix_sort_onesweep_global_offsetsIS3_Lb0EN6thrust23THRUST_200600_302600_NS10device_ptrIiEEPS5_jNS0_19identity_decomposerEEE10hipError_tT1_T2_PT3_SH_jT4_jjP12ihipStream_tbEUlT_E_NS1_11comp_targetILNS1_3genE8ELNS1_11target_archE1030ELNS1_3gpuE2ELNS1_3repE0EEENS1_52radix_sort_onesweep_histogram_config_static_selectorELNS0_4arch9wavefront6targetE0EEEvSF_
; %bb.0:
	s_clause 0x2
	s_load_dword s0, s[4:5], 0x14
	s_load_dwordx4 s[8:11], s[4:5], 0x0
	s_load_dwordx2 s[2:3], s[4:5], 0x1c
	s_lshl_b32 s12, s6, 12
	s_mov_b32 s1, -1
	s_waitcnt lgkmcnt(0)
	s_cmp_ge_u32 s6, s0
	s_cbranch_scc0 .LBB1225_85
; %bb.1:
	s_load_dword s4, s[4:5], 0x10
	v_mov_b32_e32 v1, 0
	s_mov_b32 s13, 0
	s_lshl_b32 s5, s0, 12
	s_lshl_b64 s[0:1], s[12:13], 2
	v_mov_b32_e32 v2, v1
	v_mov_b32_e32 v3, v1
	;; [unrolled: 1-line block ×3, first 2 shown]
	s_waitcnt lgkmcnt(0)
	s_sub_i32 s4, s4, s5
	s_add_u32 s0, s8, s0
	s_addc_u32 s1, s9, s1
	s_mov_b32 s5, exec_lo
	v_cmpx_gt_u32_e64 s4, v0
	s_cbranch_execz .LBB1225_3
; %bb.2:
	v_lshlrev_b32_e32 v2, 2, v0
	v_mov_b32_e32 v5, v1
	v_mov_b32_e32 v3, v1
	;; [unrolled: 1-line block ×3, first 2 shown]
	global_load_dword v2, v2, s[0:1]
	s_waitcnt vmcnt(0)
	v_mov_b32_e32 v1, v2
	v_mov_b32_e32 v2, v3
	;; [unrolled: 1-line block ×4, first 2 shown]
.LBB1225_3:
	s_or_b32 exec_lo, exec_lo, s5
	v_or_b32_e32 v8, 0x400, v0
	s_mov_b32 s5, exec_lo
	v_cmpx_gt_u32_e64 s4, v8
	s_cbranch_execz .LBB1225_5
; %bb.4:
	v_lshlrev_b32_e32 v2, 2, v8
	global_load_dword v2, v2, s[0:1]
.LBB1225_5:
	s_or_b32 exec_lo, exec_lo, s5
	v_or_b32_e32 v7, 0x800, v0
	s_mov_b32 s5, exec_lo
	v_cmpx_gt_u32_e64 s4, v7
	s_cbranch_execz .LBB1225_7
; %bb.6:
	v_lshlrev_b32_e32 v3, 2, v7
	global_load_dword v3, v3, s[0:1]
.LBB1225_7:
	;; [unrolled: 9-line block ×3, first 2 shown]
	s_or_b32 exec_lo, exec_lo, s5
	v_or_b32_e32 v5, 0xfffffc00, v0
	v_lshlrev_b32_e32 v9, 2, v0
	v_mov_b32_e32 v10, 0
	s_mov_b32 s0, 0
.LBB1225_10:                            ; =>This Inner Loop Header: Depth=1
	v_add_nc_u32_e32 v5, 0x400, v5
	ds_write_b32 v9, v10
	v_add_nc_u32_e32 v9, 0x1000, v9
	v_cmp_lt_u32_e32 vcc_lo, 0xbff, v5
	s_or_b32 s0, vcc_lo, s0
	s_andn2_b32 exec_lo, exec_lo, s0
	s_cbranch_execnz .LBB1225_10
; %bb.11:
	s_or_b32 exec_lo, exec_lo, s0
	s_cmp_le_u32 s3, s2
	v_cmp_le_u32_e32 vcc_lo, s4, v0
	s_cselect_b32 s1, -1, 0
	v_and_b32_e32 v5, 3, v0
	s_and_b32 s0, s1, exec_lo
	s_cselect_b32 s5, 8, 10
	v_xor_b32_e32 v1, 0x80000000, v1
	v_mov_b32_e32 v9, s5
	s_nor_b32 s6, s1, vcc_lo
	s_waitcnt vmcnt(0) lgkmcnt(0)
	s_barrier
	buffer_gl0_inv
	s_and_saveexec_b32 s0, s6
	s_cbranch_execz .LBB1225_13
; %bb.12:
	v_lshrrev_b32_e32 v9, s2, v1
	s_sub_i32 s6, s3, s2
	v_lshlrev_b32_e32 v10, 2, v5
	s_min_u32 s6, s6, 8
	v_bfe_u32 v9, v9, 0, s6
	v_lshl_or_b32 v9, v9, 4, v10
	v_mov_b32_e32 v10, 1
	ds_add_u32 v9, v10
	v_mov_b32_e32 v9, 0
.LBB1225_13:
	s_or_b32 exec_lo, exec_lo, s0
	s_mov_b32 s7, -1
	s_mov_b32 s6, exec_lo
	v_cmpx_gt_i32_e32 10, v9
; %bb.14:
	v_cmp_eq_u32_e64 s0, 0, v9
	s_orn2_b32 s7, s0, exec_lo
; %bb.15:
	s_or_b32 exec_lo, exec_lo, s6
	s_and_saveexec_b32 s6, s7
	s_cbranch_execz .LBB1225_28
; %bb.16:
	s_add_i32 s7, s2, 8
	s_cmp_le_u32 s3, s7
	s_cselect_b32 s0, -1, 0
	s_and_b32 s13, s0, exec_lo
	s_cselect_b32 s13, 8, 10
	v_mov_b32_e32 v9, s13
	s_nor_b32 s13, s0, vcc_lo
	s_and_saveexec_b32 s0, s13
	s_cbranch_execz .LBB1225_18
; %bb.17:
	v_lshrrev_b32_e32 v9, s7, v1
	s_sub_i32 s7, s3, s7
	v_lshlrev_b32_e32 v10, 2, v5
	s_min_u32 s7, s7, 8
	v_bfe_u32 v9, v9, 0, s7
	v_lshl_or_b32 v9, v9, 4, v10
	v_mov_b32_e32 v10, 1
	ds_add_u32 v9, v10 offset:4096
	v_mov_b32_e32 v9, 0
.LBB1225_18:
	s_or_b32 exec_lo, exec_lo, s0
	s_mov_b32 s7, -1
	s_mov_b32 s13, exec_lo
	v_cmpx_gt_i32_e32 10, v9
; %bb.19:
	v_cmp_eq_u32_e64 s0, 0, v9
	s_orn2_b32 s7, s0, exec_lo
; %bb.20:
	s_or_b32 exec_lo, exec_lo, s13
	s_and_b32 exec_lo, exec_lo, s7
	s_cbranch_execz .LBB1225_28
; %bb.21:
	s_add_i32 s7, s2, 16
	s_cmp_le_u32 s3, s7
	s_cselect_b32 s0, -1, 0
	s_and_b32 s13, s0, exec_lo
	s_cselect_b32 s13, 8, 10
	v_mov_b32_e32 v9, s13
	s_nor_b32 s13, s0, vcc_lo
	s_and_saveexec_b32 s0, s13
	s_cbranch_execz .LBB1225_23
; %bb.22:
	v_lshrrev_b32_e32 v9, s7, v1
	s_sub_i32 s7, s3, s7
	v_lshlrev_b32_e32 v10, 2, v5
	s_min_u32 s7, s7, 8
	v_bfe_u32 v9, v9, 0, s7
	v_lshl_or_b32 v9, v9, 4, v10
	v_mov_b32_e32 v10, 1
	ds_add_u32 v9, v10 offset:8192
	v_mov_b32_e32 v9, 0
.LBB1225_23:
	s_or_b32 exec_lo, exec_lo, s0
	s_mov_b32 s7, -1
	s_mov_b32 s13, exec_lo
	v_cmpx_gt_i32_e32 10, v9
; %bb.24:
	v_cmp_eq_u32_e64 s0, 0, v9
	s_orn2_b32 s7, s0, exec_lo
; %bb.25:
	s_or_b32 exec_lo, exec_lo, s13
	s_and_b32 exec_lo, exec_lo, s7
	s_cbranch_execz .LBB1225_28
; %bb.26:
	s_add_i32 s0, s2, 24
	s_cmp_gt_u32 s3, s0
	s_cselect_b32 s7, -1, 0
	s_xor_b32 s13, vcc_lo, -1
	s_and_b32 s7, s7, s13
	s_and_b32 exec_lo, exec_lo, s7
	s_cbranch_execz .LBB1225_28
; %bb.27:
	v_lshrrev_b32_e32 v1, s0, v1
	s_sub_i32 s0, s3, s0
	v_lshlrev_b32_e32 v9, 2, v5
	s_min_u32 s0, s0, 8
	v_bfe_u32 v1, v1, 0, s0
	v_lshl_or_b32 v1, v1, 4, v9
	v_mov_b32_e32 v9, 1
	ds_add_u32 v1, v9 offset:12288
.LBB1225_28:
	s_or_b32 exec_lo, exec_lo, s6
	v_cmp_le_u32_e32 vcc_lo, s4, v8
	v_xor_b32_e32 v1, 0x80000000, v2
	v_mov_b32_e32 v2, s5
	s_nor_b32 s6, s1, vcc_lo
	s_and_saveexec_b32 s0, s6
	s_cbranch_execz .LBB1225_30
; %bb.29:
	v_lshrrev_b32_e32 v2, s2, v1
	s_sub_i32 s6, s3, s2
	v_lshlrev_b32_e32 v8, 2, v5
	s_min_u32 s6, s6, 8
	v_bfe_u32 v2, v2, 0, s6
	v_lshl_or_b32 v2, v2, 4, v8
	v_mov_b32_e32 v8, 1
	ds_add_u32 v2, v8
	v_mov_b32_e32 v2, 0
.LBB1225_30:
	s_or_b32 exec_lo, exec_lo, s0
	s_mov_b32 s7, -1
	s_mov_b32 s6, exec_lo
	v_cmpx_gt_i32_e32 10, v2
; %bb.31:
	v_cmp_eq_u32_e64 s0, 0, v2
	s_orn2_b32 s7, s0, exec_lo
; %bb.32:
	s_or_b32 exec_lo, exec_lo, s6
	s_and_saveexec_b32 s6, s7
	s_cbranch_execz .LBB1225_45
; %bb.33:
	s_add_i32 s7, s2, 8
	s_cmp_le_u32 s3, s7
	s_cselect_b32 s0, -1, 0
	s_and_b32 s13, s0, exec_lo
	s_cselect_b32 s13, 8, 10
	v_mov_b32_e32 v2, s13
	s_nor_b32 s13, s0, vcc_lo
	s_and_saveexec_b32 s0, s13
	s_cbranch_execz .LBB1225_35
; %bb.34:
	v_lshrrev_b32_e32 v2, s7, v1
	s_sub_i32 s7, s3, s7
	v_lshlrev_b32_e32 v8, 2, v5
	s_min_u32 s7, s7, 8
	v_bfe_u32 v2, v2, 0, s7
	v_lshl_or_b32 v2, v2, 4, v8
	v_mov_b32_e32 v8, 1
	ds_add_u32 v2, v8 offset:4096
	v_mov_b32_e32 v2, 0
.LBB1225_35:
	s_or_b32 exec_lo, exec_lo, s0
	s_mov_b32 s7, -1
	s_mov_b32 s13, exec_lo
	v_cmpx_gt_i32_e32 10, v2
; %bb.36:
	v_cmp_eq_u32_e64 s0, 0, v2
	s_orn2_b32 s7, s0, exec_lo
; %bb.37:
	s_or_b32 exec_lo, exec_lo, s13
	s_and_b32 exec_lo, exec_lo, s7
	s_cbranch_execz .LBB1225_45
; %bb.38:
	s_add_i32 s7, s2, 16
	s_cmp_le_u32 s3, s7
	s_cselect_b32 s0, -1, 0
	s_and_b32 s13, s0, exec_lo
	s_cselect_b32 s13, 8, 10
	v_mov_b32_e32 v2, s13
	s_nor_b32 s13, s0, vcc_lo
	s_and_saveexec_b32 s0, s13
	s_cbranch_execz .LBB1225_40
; %bb.39:
	v_lshrrev_b32_e32 v2, s7, v1
	s_sub_i32 s7, s3, s7
	v_lshlrev_b32_e32 v8, 2, v5
	s_min_u32 s7, s7, 8
	v_bfe_u32 v2, v2, 0, s7
	v_lshl_or_b32 v2, v2, 4, v8
	v_mov_b32_e32 v8, 1
	ds_add_u32 v2, v8 offset:8192
	v_mov_b32_e32 v2, 0
.LBB1225_40:
	s_or_b32 exec_lo, exec_lo, s0
	s_mov_b32 s7, -1
	s_mov_b32 s13, exec_lo
	v_cmpx_gt_i32_e32 10, v2
; %bb.41:
	v_cmp_eq_u32_e64 s0, 0, v2
	s_orn2_b32 s7, s0, exec_lo
; %bb.42:
	s_or_b32 exec_lo, exec_lo, s13
	s_and_b32 exec_lo, exec_lo, s7
	s_cbranch_execz .LBB1225_45
; %bb.43:
	s_add_i32 s0, s2, 24
	s_cmp_gt_u32 s3, s0
	s_cselect_b32 s7, -1, 0
	s_xor_b32 s13, vcc_lo, -1
	s_and_b32 s7, s7, s13
	s_and_b32 exec_lo, exec_lo, s7
	s_cbranch_execz .LBB1225_45
; %bb.44:
	v_lshrrev_b32_e32 v1, s0, v1
	s_sub_i32 s0, s3, s0
	v_lshlrev_b32_e32 v2, 2, v5
	s_min_u32 s0, s0, 8
	v_bfe_u32 v1, v1, 0, s0
	v_lshl_or_b32 v1, v1, 4, v2
	v_mov_b32_e32 v2, 1
	ds_add_u32 v1, v2 offset:12288
.LBB1225_45:
	s_or_b32 exec_lo, exec_lo, s6
	v_cmp_le_u32_e32 vcc_lo, s4, v7
	v_xor_b32_e32 v1, 0x80000000, v3
	v_mov_b32_e32 v2, s5
	s_nor_b32 s6, s1, vcc_lo
	s_and_saveexec_b32 s0, s6
	s_cbranch_execz .LBB1225_47
; %bb.46:
	v_lshrrev_b32_e32 v2, s2, v1
	s_sub_i32 s6, s3, s2
	v_lshlrev_b32_e32 v3, 2, v5
	s_min_u32 s6, s6, 8
	v_bfe_u32 v2, v2, 0, s6
	v_lshl_or_b32 v2, v2, 4, v3
	v_mov_b32_e32 v3, 1
	ds_add_u32 v2, v3
	v_mov_b32_e32 v2, 0
.LBB1225_47:
	s_or_b32 exec_lo, exec_lo, s0
	s_mov_b32 s7, -1
	s_mov_b32 s6, exec_lo
	v_cmpx_gt_i32_e32 10, v2
; %bb.48:
	v_cmp_eq_u32_e64 s0, 0, v2
	s_orn2_b32 s7, s0, exec_lo
; %bb.49:
	s_or_b32 exec_lo, exec_lo, s6
	s_and_saveexec_b32 s6, s7
	s_cbranch_execz .LBB1225_62
; %bb.50:
	s_add_i32 s7, s2, 8
	s_cmp_le_u32 s3, s7
	s_cselect_b32 s0, -1, 0
	s_and_b32 s13, s0, exec_lo
	s_cselect_b32 s13, 8, 10
	v_mov_b32_e32 v2, s13
	s_nor_b32 s13, s0, vcc_lo
	s_and_saveexec_b32 s0, s13
	s_cbranch_execz .LBB1225_52
; %bb.51:
	v_lshrrev_b32_e32 v2, s7, v1
	s_sub_i32 s7, s3, s7
	v_lshlrev_b32_e32 v3, 2, v5
	s_min_u32 s7, s7, 8
	v_bfe_u32 v2, v2, 0, s7
	v_lshl_or_b32 v2, v2, 4, v3
	v_mov_b32_e32 v3, 1
	ds_add_u32 v2, v3 offset:4096
	v_mov_b32_e32 v2, 0
.LBB1225_52:
	s_or_b32 exec_lo, exec_lo, s0
	s_mov_b32 s7, -1
	s_mov_b32 s13, exec_lo
	v_cmpx_gt_i32_e32 10, v2
; %bb.53:
	v_cmp_eq_u32_e64 s0, 0, v2
	s_orn2_b32 s7, s0, exec_lo
; %bb.54:
	s_or_b32 exec_lo, exec_lo, s13
	s_and_b32 exec_lo, exec_lo, s7
	s_cbranch_execz .LBB1225_62
; %bb.55:
	s_add_i32 s7, s2, 16
	s_cmp_le_u32 s3, s7
	s_cselect_b32 s0, -1, 0
	s_and_b32 s13, s0, exec_lo
	s_cselect_b32 s13, 8, 10
	v_mov_b32_e32 v2, s13
	s_nor_b32 s13, s0, vcc_lo
	s_and_saveexec_b32 s0, s13
	s_cbranch_execz .LBB1225_57
; %bb.56:
	v_lshrrev_b32_e32 v2, s7, v1
	s_sub_i32 s7, s3, s7
	v_lshlrev_b32_e32 v3, 2, v5
	s_min_u32 s7, s7, 8
	v_bfe_u32 v2, v2, 0, s7
	v_lshl_or_b32 v2, v2, 4, v3
	v_mov_b32_e32 v3, 1
	ds_add_u32 v2, v3 offset:8192
	v_mov_b32_e32 v2, 0
.LBB1225_57:
	s_or_b32 exec_lo, exec_lo, s0
	s_mov_b32 s7, -1
	s_mov_b32 s13, exec_lo
	v_cmpx_gt_i32_e32 10, v2
; %bb.58:
	v_cmp_eq_u32_e64 s0, 0, v2
	s_orn2_b32 s7, s0, exec_lo
; %bb.59:
	s_or_b32 exec_lo, exec_lo, s13
	s_and_b32 exec_lo, exec_lo, s7
	s_cbranch_execz .LBB1225_62
; %bb.60:
	s_add_i32 s0, s2, 24
	s_cmp_gt_u32 s3, s0
	s_cselect_b32 s7, -1, 0
	s_xor_b32 s13, vcc_lo, -1
	s_and_b32 s7, s7, s13
	s_and_b32 exec_lo, exec_lo, s7
	s_cbranch_execz .LBB1225_62
; %bb.61:
	v_lshrrev_b32_e32 v1, s0, v1
	s_sub_i32 s0, s3, s0
	v_lshlrev_b32_e32 v2, 2, v5
	s_min_u32 s0, s0, 8
	v_bfe_u32 v1, v1, 0, s0
	v_lshl_or_b32 v1, v1, 4, v2
	v_mov_b32_e32 v2, 1
	ds_add_u32 v1, v2 offset:12288
.LBB1225_62:
	s_or_b32 exec_lo, exec_lo, s6
	v_cmp_le_u32_e32 vcc_lo, s4, v6
	v_xor_b32_e32 v1, 0x80000000, v4
	v_mov_b32_e32 v2, s5
	s_nor_b32 s1, s1, vcc_lo
	s_and_saveexec_b32 s0, s1
	s_cbranch_execz .LBB1225_64
; %bb.63:
	v_lshrrev_b32_e32 v2, s2, v1
	s_sub_i32 s1, s3, s2
	v_lshlrev_b32_e32 v3, 2, v5
	s_min_u32 s1, s1, 8
	v_bfe_u32 v2, v2, 0, s1
	v_lshl_or_b32 v2, v2, 4, v3
	v_mov_b32_e32 v3, 1
	ds_add_u32 v2, v3
	v_mov_b32_e32 v2, 0
.LBB1225_64:
	s_or_b32 exec_lo, exec_lo, s0
	s_mov_b32 s4, -1
	s_mov_b32 s1, exec_lo
	v_cmpx_gt_i32_e32 10, v2
; %bb.65:
	v_cmp_eq_u32_e64 s0, 0, v2
	s_orn2_b32 s4, s0, exec_lo
; %bb.66:
	s_or_b32 exec_lo, exec_lo, s1
	s_and_saveexec_b32 s1, s4
	s_cbranch_execz .LBB1225_79
; %bb.67:
	s_add_i32 s4, s2, 8
	s_cmp_le_u32 s3, s4
	s_cselect_b32 s0, -1, 0
	s_and_b32 s5, s0, exec_lo
	s_cselect_b32 s5, 8, 10
	v_mov_b32_e32 v2, s5
	s_nor_b32 s5, s0, vcc_lo
	s_and_saveexec_b32 s0, s5
	s_cbranch_execz .LBB1225_69
; %bb.68:
	v_lshrrev_b32_e32 v2, s4, v1
	s_sub_i32 s4, s3, s4
	v_lshlrev_b32_e32 v3, 2, v5
	s_min_u32 s4, s4, 8
	v_bfe_u32 v2, v2, 0, s4
	v_lshl_or_b32 v2, v2, 4, v3
	v_mov_b32_e32 v3, 1
	ds_add_u32 v2, v3 offset:4096
	v_mov_b32_e32 v2, 0
.LBB1225_69:
	s_or_b32 exec_lo, exec_lo, s0
	s_mov_b32 s4, -1
	s_mov_b32 s5, exec_lo
	v_cmpx_gt_i32_e32 10, v2
; %bb.70:
	v_cmp_eq_u32_e64 s0, 0, v2
	s_orn2_b32 s4, s0, exec_lo
; %bb.71:
	s_or_b32 exec_lo, exec_lo, s5
	s_and_b32 exec_lo, exec_lo, s4
	s_cbranch_execz .LBB1225_79
; %bb.72:
	s_add_i32 s4, s2, 16
	s_cmp_le_u32 s3, s4
	s_cselect_b32 s0, -1, 0
	s_and_b32 s5, s0, exec_lo
	s_cselect_b32 s5, 8, 10
	v_mov_b32_e32 v2, s5
	s_nor_b32 s5, s0, vcc_lo
	s_and_saveexec_b32 s0, s5
	s_cbranch_execz .LBB1225_74
; %bb.73:
	v_lshrrev_b32_e32 v2, s4, v1
	s_sub_i32 s4, s3, s4
	v_lshlrev_b32_e32 v3, 2, v5
	s_min_u32 s4, s4, 8
	v_bfe_u32 v2, v2, 0, s4
	v_lshl_or_b32 v2, v2, 4, v3
	v_mov_b32_e32 v3, 1
	ds_add_u32 v2, v3 offset:8192
	v_mov_b32_e32 v2, 0
.LBB1225_74:
	s_or_b32 exec_lo, exec_lo, s0
	s_mov_b32 s4, -1
	s_mov_b32 s5, exec_lo
	v_cmpx_gt_i32_e32 10, v2
; %bb.75:
	v_cmp_eq_u32_e64 s0, 0, v2
	s_orn2_b32 s4, s0, exec_lo
; %bb.76:
	s_or_b32 exec_lo, exec_lo, s5
	s_and_b32 exec_lo, exec_lo, s4
	s_cbranch_execz .LBB1225_79
; %bb.77:
	s_add_i32 s0, s2, 24
	s_cmp_gt_u32 s3, s0
	s_cselect_b32 s4, -1, 0
	s_xor_b32 s5, vcc_lo, -1
	s_and_b32 s4, s4, s5
	s_and_b32 exec_lo, exec_lo, s4
	s_cbranch_execz .LBB1225_79
; %bb.78:
	v_lshrrev_b32_e32 v1, s0, v1
	s_sub_i32 s0, s3, s0
	v_lshlrev_b32_e32 v2, 2, v5
	s_min_u32 s0, s0, 8
	v_bfe_u32 v1, v1, 0, s0
	v_lshl_or_b32 v1, v1, 4, v2
	v_mov_b32_e32 v2, 1
	ds_add_u32 v1, v2 offset:12288
.LBB1225_79:
	s_or_b32 exec_lo, exec_lo, s1
	s_cmp_gt_u32 s3, s2
	s_waitcnt lgkmcnt(0)
	s_barrier
	buffer_gl0_inv
	s_cbranch_scc0 .LBB1225_84
; %bb.80:
	v_lshlrev_b32_e32 v3, 4, v0
	v_mov_b32_e32 v2, 0
	v_mov_b32_e32 v1, v0
	s_mov_b32 s1, s2
	v_cmp_gt_u32_e32 vcc_lo, 0x100, v0
	s_inst_prefetch 0x1
	s_branch .LBB1225_82
	.p2align	6
.LBB1225_81:                            ;   in Loop: Header=BB1225_82 Depth=1
	s_or_b32 exec_lo, exec_lo, s4
	v_add_nc_u32_e32 v1, 0x100, v1
	v_add_nc_u32_e32 v3, 0x1000, v3
	s_add_i32 s1, s1, 8
	s_cmp_lt_u32 s1, s3
	s_cbranch_scc0 .LBB1225_84
.LBB1225_82:                            ; =>This Inner Loop Header: Depth=1
	s_and_saveexec_b32 s4, vcc_lo
	s_cbranch_execz .LBB1225_81
; %bb.83:                               ;   in Loop: Header=BB1225_82 Depth=1
	ds_read2_b32 v[4:5], v3 offset1:1
	ds_read2_b32 v[6:7], v3 offset0:2 offset1:3
	s_waitcnt lgkmcnt(1)
	v_add_nc_u32_e32 v8, v5, v4
	v_lshlrev_b64 v[4:5], 2, v[1:2]
	s_waitcnt lgkmcnt(0)
	v_add3_u32 v6, v8, v6, v7
	v_add_co_u32 v4, s0, s10, v4
	v_add_co_ci_u32_e64 v5, null, s11, v5, s0
	global_atomic_add v[4:5], v6, off
	s_branch .LBB1225_81
.LBB1225_84:
	s_inst_prefetch 0x2
	s_mov_b32 s1, 0
.LBB1225_85:
	s_and_b32 vcc_lo, exec_lo, s1
	s_cbranch_vccz .LBB1225_125
; %bb.86:
	s_cmp_eq_u32 s2, 0
	s_mov_b32 s13, 0
	s_cselect_b32 s4, -1, 0
	s_cmp_eq_u32 s3, 32
	v_lshlrev_b32_e32 v1, 2, v0
	s_cselect_b32 s5, -1, 0
	s_lshl_b64 s[0:1], s[12:13], 2
	s_and_b32 s4, s4, s5
	s_add_u32 s0, s8, s0
	s_addc_u32 s1, s9, s1
	v_add_co_u32 v4, s5, s0, v1
	v_add_co_ci_u32_e64 v5, null, s1, 0, s5
	v_add_co_u32 v2, vcc_lo, 0x1000, v4
	v_add_co_ci_u32_e64 v3, null, 0, v5, vcc_lo
	v_add_co_u32 v7, vcc_lo, 0x2000, v4
	v_add_co_ci_u32_e64 v8, null, 0, v5, vcc_lo
	;; [unrolled: 2-line block ×3, first 2 shown]
	s_clause 0x3
	global_load_dword v6, v1, s[0:1]
	global_load_dword v5, v[2:3], off
	global_load_dword v4, v[7:8], off
	;; [unrolled: 1-line block ×3, first 2 shown]
	v_mov_b32_e32 v2, 0
	v_or_b32_e32 v7, 0xfffffc00, v0
	s_and_b32 vcc_lo, exec_lo, s4
	s_mov_b32 s0, -1
	s_cbranch_vccnz .LBB1225_120
; %bb.87:
	v_or_b32_e32 v8, 0xfffffc00, v0
.LBB1225_88:                            ; =>This Inner Loop Header: Depth=1
	v_add_nc_u32_e32 v8, 0x400, v8
	ds_write_b32 v1, v2
	v_add_nc_u32_e32 v1, 0x1000, v1
	v_cmp_lt_u32_e32 vcc_lo, 0xbff, v8
	s_or_b32 s13, vcc_lo, s13
	s_andn2_b32 exec_lo, exec_lo, s13
	s_cbranch_execnz .LBB1225_88
; %bb.89:
	s_or_b32 exec_lo, exec_lo, s13
	s_cmp_gt_u32 s3, s2
	s_waitcnt vmcnt(0) lgkmcnt(0)
	s_waitcnt_vscnt null, 0x0
	s_cselect_b32 s0, -1, 0
	s_barrier
	s_and_b32 vcc_lo, exec_lo, s0
	buffer_gl0_inv
	s_cbranch_vccz .LBB1225_114
; %bb.90:
	v_xor_b32_e32 v9, 0x80000000, v6
	s_sub_i32 s1, s3, s2
	v_and_b32_e32 v1, 3, v0
	s_min_u32 s1, s1, 8
	v_mov_b32_e32 v10, 1
	v_lshrrev_b32_e32 v8, s2, v9
	s_lshl_b32 s1, -1, s1
	v_lshlrev_b32_e32 v2, 2, v1
	s_not_b32 s4, s1
	s_add_i32 s1, s2, 8
	v_and_b32_e32 v8, s4, v8
	s_cmp_le_u32 s3, s1
	s_mov_b32 s7, -1
	s_cselect_b32 s5, -1, 0
	s_and_b32 vcc_lo, exec_lo, s5
	v_lshl_or_b32 v8, v8, 4, v2
	ds_add_u32 v8, v10
	v_xor_b32_e32 v8, 0x80000000, v5
	v_lshrrev_b32_e32 v10, s2, v8
	v_and_b32_e32 v10, s4, v10
	s_cbranch_vccz .LBB1225_92
; %bb.91:
	v_lshlrev_b32_e32 v11, 4, v10
	s_mov_b32 s6, -1
	s_cbranch_execz .LBB1225_93
	s_branch .LBB1225_100
.LBB1225_92:
	s_mov_b32 s6, 0
                                        ; implicit-def: $vgpr11
	s_andn2_b32 vcc_lo, exec_lo, s7
	s_cbranch_vccnz .LBB1225_100
.LBB1225_93:
	s_sub_i32 s7, s3, s1
	v_lshrrev_b32_e32 v11, s1, v9
	s_min_u32 s7, s7, 8
	s_lshl_b32 s7, -1, s7
	s_not_b32 s8, s7
	s_add_i32 s7, s2, 16
	v_and_b32_e32 v11, s8, v11
	s_cmp_gt_u32 s3, s7
	s_cselect_b32 s9, -1, 0
	s_cmp_le_u32 s3, s7
	v_lshl_or_b32 v12, v11, 4, v2
	v_mov_b32_e32 v11, 1
	ds_add_u32 v12, v11 offset:4096
	s_cbranch_scc1 .LBB1225_96
; %bb.94:
	v_lshrrev_b32_e32 v12, s7, v9
	s_sub_i32 s12, s3, s7
	s_min_u32 s12, s12, 8
	v_bfe_u32 v12, v12, 0, s12
	s_add_i32 s12, s2, 24
	s_cmp_le_u32 s3, s12
	v_lshl_or_b32 v12, v12, 4, v2
	ds_add_u32 v12, v11 offset:8192
	s_cbranch_scc1 .LBB1225_96
; %bb.95:
	v_lshrrev_b32_e32 v9, s12, v9
	s_sub_i32 s12, s3, s12
	v_mov_b32_e32 v12, 1
	s_min_u32 s12, s12, 8
	v_bfe_u32 v9, v9, 0, s12
	v_lshl_or_b32 v9, v9, 4, v2
	ds_add_u32 v9, v12 offset:12288
.LBB1225_96:
	v_lshrrev_b32_e32 v9, s1, v8
	v_lshl_or_b32 v10, v10, 4, v2
	s_andn2_b32 vcc_lo, exec_lo, s9
	v_and_b32_e32 v9, s8, v9
	v_lshl_or_b32 v9, v9, 4, v2
	ds_add_u32 v10, v11
	ds_add_u32 v9, v11 offset:4096
	s_cbranch_vccnz .LBB1225_99
; %bb.97:
	v_lshrrev_b32_e32 v9, s7, v8
	s_sub_i32 s7, s3, s7
	v_mov_b32_e32 v10, 1
	s_min_u32 s7, s7, 8
                                        ; implicit-def: $vgpr11
	v_bfe_u32 v9, v9, 0, s7
	s_add_i32 s7, s2, 24
	s_cmp_gt_u32 s3, s7
	v_lshl_or_b32 v9, v9, 4, v2
	ds_add_u32 v9, v10 offset:8192
	s_cbranch_scc0 .LBB1225_100
; %bb.98:
	v_lshrrev_b32_e32 v8, s7, v8
	s_sub_i32 s6, s3, s7
	s_min_u32 s6, s6, 8
	v_bfe_u32 v8, v8, 0, s6
	s_mov_b32 s6, -1
	v_lshl_add_u32 v11, v8, 4, 0x3000
	s_branch .LBB1225_100
.LBB1225_99:
                                        ; implicit-def: $vgpr11
.LBB1225_100:
	s_and_b32 vcc_lo, exec_lo, s6
	s_cbranch_vccz .LBB1225_102
; %bb.101:
	v_lshl_add_u32 v8, v1, 2, v11
	v_mov_b32_e32 v9, 1
	ds_add_u32 v8, v9
.LBB1225_102:
	v_xor_b32_e32 v10, 0x80000000, v4
	v_mov_b32_e32 v9, 1
	s_and_b32 vcc_lo, exec_lo, s5
	v_lshrrev_b32_e32 v8, s2, v10
	v_and_b32_e32 v8, s4, v8
	v_lshl_or_b32 v8, v8, 4, v2
	ds_add_u32 v8, v9
	v_xor_b32_e32 v8, 0x80000000, v3
	v_lshrrev_b32_e32 v9, s2, v8
	v_and_b32_e32 v9, s4, v9
	s_cbranch_vccz .LBB1225_104
; %bb.103:
	v_lshlrev_b32_e32 v11, 4, v9
	s_mov_b32 s4, -1
	s_cbranch_execz .LBB1225_105
	s_branch .LBB1225_112
.LBB1225_104:
	s_mov_b32 s4, 0
                                        ; implicit-def: $vgpr11
.LBB1225_105:
	s_sub_i32 s5, s3, s1
	v_lshrrev_b32_e32 v11, s1, v10
	s_min_u32 s5, s5, 8
	s_lshl_b32 s5, -1, s5
	s_not_b32 s6, s5
	s_add_i32 s5, s2, 16
	v_and_b32_e32 v11, s6, v11
	s_cmp_gt_u32 s3, s5
	s_cselect_b32 s7, -1, 0
	s_cmp_le_u32 s3, s5
	v_lshl_or_b32 v12, v11, 4, v2
	v_mov_b32_e32 v11, 1
	ds_add_u32 v12, v11 offset:4096
	s_cbranch_scc1 .LBB1225_108
; %bb.106:
	v_lshrrev_b32_e32 v12, s5, v10
	s_sub_i32 s8, s3, s5
	s_min_u32 s8, s8, 8
	v_bfe_u32 v12, v12, 0, s8
	s_add_i32 s8, s2, 24
	s_cmp_le_u32 s3, s8
	v_lshl_or_b32 v12, v12, 4, v2
	ds_add_u32 v12, v11 offset:8192
	s_cbranch_scc1 .LBB1225_108
; %bb.107:
	v_lshrrev_b32_e32 v10, s8, v10
	s_sub_i32 s8, s3, s8
	v_mov_b32_e32 v12, 1
	s_min_u32 s8, s8, 8
	v_bfe_u32 v10, v10, 0, s8
	v_lshl_or_b32 v10, v10, 4, v2
	ds_add_u32 v10, v12 offset:12288
.LBB1225_108:
	v_lshrrev_b32_e32 v10, s1, v8
	v_lshl_or_b32 v9, v9, 4, v2
	s_andn2_b32 vcc_lo, exec_lo, s7
	v_and_b32_e32 v10, s6, v10
	v_lshl_or_b32 v10, v10, 4, v2
	ds_add_u32 v9, v11
	ds_add_u32 v10, v11 offset:4096
	s_cbranch_vccnz .LBB1225_111
; %bb.109:
	v_lshrrev_b32_e32 v9, s5, v8
	s_sub_i32 s1, s3, s5
                                        ; implicit-def: $vgpr11
	s_min_u32 s1, s1, 8
	v_bfe_u32 v9, v9, 0, s1
	s_add_i32 s1, s2, 24
	s_cmp_gt_u32 s3, s1
	v_lshl_or_b32 v2, v9, 4, v2
	v_mov_b32_e32 v9, 1
	ds_add_u32 v2, v9 offset:8192
	s_cbranch_scc0 .LBB1225_112
; %bb.110:
	v_lshrrev_b32_e32 v2, s1, v8
	s_sub_i32 s1, s3, s1
	s_mov_b32 s4, -1
	s_min_u32 s1, s1, 8
	v_bfe_u32 v2, v2, 0, s1
	v_lshl_add_u32 v11, v2, 4, 0x3000
	s_branch .LBB1225_112
.LBB1225_111:
                                        ; implicit-def: $vgpr11
.LBB1225_112:
	s_and_b32 vcc_lo, exec_lo, s4
	s_cbranch_vccz .LBB1225_114
; %bb.113:
	v_lshl_add_u32 v1, v1, 2, v11
	v_mov_b32_e32 v2, 1
	ds_add_u32 v1, v2
.LBB1225_114:
	s_and_b32 vcc_lo, exec_lo, s0
	s_waitcnt lgkmcnt(0)
	s_barrier
	buffer_gl0_inv
	s_cbranch_vccz .LBB1225_119
; %bb.115:
	v_lshlrev_b32_e32 v8, 4, v0
	v_mov_b32_e32 v2, 0
	v_mov_b32_e32 v1, v0
	v_cmp_gt_u32_e32 vcc_lo, 0x100, v0
	s_inst_prefetch 0x1
	s_branch .LBB1225_117
	.p2align	6
.LBB1225_116:                           ;   in Loop: Header=BB1225_117 Depth=1
	s_or_b32 exec_lo, exec_lo, s1
	v_add_nc_u32_e32 v1, 0x100, v1
	v_add_nc_u32_e32 v8, 0x1000, v8
	s_add_i32 s2, s2, 8
	s_cmp_ge_u32 s2, s3
	s_cbranch_scc1 .LBB1225_119
.LBB1225_117:                           ; =>This Inner Loop Header: Depth=1
	s_and_saveexec_b32 s1, vcc_lo
	s_cbranch_execz .LBB1225_116
; %bb.118:                              ;   in Loop: Header=BB1225_117 Depth=1
	ds_read2_b32 v[9:10], v8 offset1:1
	ds_read2_b32 v[11:12], v8 offset0:2 offset1:3
	s_waitcnt lgkmcnt(1)
	v_add_nc_u32_e32 v13, v10, v9
	v_lshlrev_b64 v[9:10], 2, v[1:2]
	s_waitcnt lgkmcnt(0)
	v_add3_u32 v11, v13, v11, v12
	v_add_co_u32 v9, s0, s10, v9
	v_add_co_ci_u32_e64 v10, null, s11, v10, s0
	global_atomic_add v[9:10], v11, off
	s_branch .LBB1225_116
.LBB1225_119:
	s_inst_prefetch 0x2
	s_mov_b32 s0, 0
.LBB1225_120:
	s_and_b32 vcc_lo, exec_lo, s0
	s_cbranch_vccz .LBB1225_125
; %bb.121:
	v_lshlrev_b32_e32 v1, 2, v0
	v_mov_b32_e32 v2, 0
	s_mov_b32 s0, 0
.LBB1225_122:                           ; =>This Inner Loop Header: Depth=1
	v_add_nc_u32_e32 v7, 0x400, v7
	ds_write_b32 v1, v2
	v_add_nc_u32_e32 v1, 0x1000, v1
	v_cmp_lt_u32_e32 vcc_lo, 0xbff, v7
	s_or_b32 s0, vcc_lo, s0
	s_andn2_b32 exec_lo, exec_lo, s0
	s_cbranch_execnz .LBB1225_122
; %bb.123:
	s_or_b32 exec_lo, exec_lo, s0
	v_and_b32_e32 v1, 3, v0
	v_mov_b32_e32 v7, 2
	s_waitcnt vmcnt(3)
	v_lshlrev_b32_e32 v2, 4, v6
	v_bfe_u32 v9, v6, 8, 8
	v_bfe_u32 v10, v6, 16, 8
	v_lshlrev_b32_e32 v1, 2, v1
	v_lshlrev_b32_sdwa v6, v7, v6 dst_sel:DWORD dst_unused:UNUSED_PAD src0_sel:DWORD src1_sel:BYTE_3
	v_mov_b32_e32 v8, 1
	s_waitcnt vmcnt(0) lgkmcnt(0)
	s_waitcnt_vscnt null, 0x0
	s_barrier
	v_and_or_b32 v2, 0xff0, v2, v1
	v_lshl_or_b32 v9, v9, 4, v1
	v_xor_b32_e32 v6, 0x200, v6
	buffer_gl0_inv
	v_lshl_or_b32 v10, v10, 4, v1
	ds_add_u32 v2, v8
	v_lshlrev_b32_e32 v2, 4, v5
	v_bfe_u32 v11, v5, 8, 8
	ds_add_u32 v9, v8 offset:4096
	ds_add_u32 v10, v8 offset:8192
	v_lshl_or_b32 v6, v6, 2, v1
	v_lshlrev_b32_sdwa v10, v7, v5 dst_sel:DWORD dst_unused:UNUSED_PAD src0_sel:DWORD src1_sel:BYTE_3
	v_and_or_b32 v2, 0xff0, v2, v1
	v_lshl_or_b32 v9, v11, 4, v1
	v_bfe_u32 v5, v5, 16, 8
	ds_add_u32 v6, v8 offset:12288
	ds_add_u32 v2, v8
	ds_add_u32 v9, v8 offset:4096
	v_xor_b32_e32 v2, 0x200, v10
	v_lshlrev_b32_e32 v6, 4, v4
	v_lshl_or_b32 v5, v5, 4, v1
	v_bfe_u32 v9, v4, 8, 8
	v_bfe_u32 v10, v4, 16, 8
	v_lshl_or_b32 v2, v2, 2, v1
	s_mov_b32 s0, exec_lo
	ds_add_u32 v5, v8 offset:8192
	v_and_or_b32 v5, 0xff0, v6, v1
	v_lshl_or_b32 v6, v9, 4, v1
	ds_add_u32 v2, v8 offset:12288
	v_lshlrev_b32_sdwa v2, v7, v4 dst_sel:DWORD dst_unused:UNUSED_PAD src0_sel:DWORD src1_sel:BYTE_3
	v_lshl_or_b32 v9, v10, 4, v1
	v_lshlrev_b32_sdwa v4, v7, v3 dst_sel:DWORD dst_unused:UNUSED_PAD src0_sel:DWORD src1_sel:BYTE_3
	ds_add_u32 v5, v8
	ds_add_u32 v6, v8 offset:4096
	ds_add_u32 v9, v8 offset:8192
	v_xor_b32_e32 v2, 0x200, v2
	v_lshlrev_b32_e32 v5, 4, v3
	v_bfe_u32 v6, v3, 8, 8
	v_bfe_u32 v3, v3, 16, 8
	v_xor_b32_e32 v4, 0x200, v4
	v_lshl_or_b32 v2, v2, 2, v1
	v_and_or_b32 v5, 0xff0, v5, v1
	v_lshl_or_b32 v6, v6, 4, v1
	v_lshl_or_b32 v3, v3, 4, v1
	;; [unrolled: 1-line block ×3, first 2 shown]
	ds_add_u32 v2, v8 offset:12288
	ds_add_u32 v5, v8
	ds_add_u32 v6, v8 offset:4096
	ds_add_u32 v3, v8 offset:8192
	ds_add_u32 v1, v8 offset:12288
	s_waitcnt lgkmcnt(0)
	s_barrier
	buffer_gl0_inv
	v_cmpx_gt_u32_e32 0x100, v0
	s_cbranch_execz .LBB1225_125
; %bb.124:
	v_lshlrev_b32_e32 v5, 4, v0
	v_lshlrev_b32_e32 v6, 2, v0
	ds_read2_b32 v[1:2], v5 offset1:1
	ds_read2_b32 v[3:4], v5 offset0:2 offset1:3
	s_waitcnt lgkmcnt(1)
	v_add_nc_u32_e32 v1, v2, v1
	v_add_nc_u32_e32 v2, 0x1008, v5
	s_waitcnt lgkmcnt(0)
	v_add3_u32 v0, v1, v3, v4
	v_add_nc_u32_e32 v1, 0x1000, v5
	v_add_co_u32 v4, s0, s10, v6
	global_atomic_add v6, v0, s[10:11]
	ds_read2_b32 v[0:1], v1 offset1:1
	ds_read2_b32 v[2:3], v2 offset1:1
	s_waitcnt lgkmcnt(1)
	v_add_nc_u32_e32 v0, v1, v0
	v_add_nc_u32_e32 v1, 0x2000, v5
	s_waitcnt lgkmcnt(0)
	v_add3_u32 v0, v0, v2, v3
	v_add_nc_u32_e32 v2, 0x2008, v5
	global_atomic_add v6, v0, s[10:11] offset:1024
	ds_read2_b32 v[0:1], v1 offset1:1
	ds_read2_b32 v[2:3], v2 offset1:1
	v_add_co_ci_u32_e64 v6, null, s11, 0, s0
	s_waitcnt lgkmcnt(1)
	v_add_nc_u32_e32 v7, v1, v0
	v_add_co_u32 v0, vcc_lo, 0x800, v4
	v_add_co_ci_u32_e64 v1, null, 0, v6, vcc_lo
	s_waitcnt lgkmcnt(0)
	v_add3_u32 v2, v7, v2, v3
	v_add_nc_u32_e32 v3, 0x3000, v5
	v_add_nc_u32_e32 v4, 0x3008, v5
	global_atomic_add v[0:1], v2, off
	ds_read2_b32 v[2:3], v3 offset1:1
	ds_read2_b32 v[4:5], v4 offset1:1
	s_waitcnt lgkmcnt(1)
	v_add_nc_u32_e32 v2, v3, v2
	s_waitcnt lgkmcnt(0)
	v_add3_u32 v2, v2, v4, v5
	global_atomic_add v[0:1], v2, off offset:1024
.LBB1225_125:
	s_endpgm
	.section	.rodata,"a",@progbits
	.p2align	6, 0x0
	.amdhsa_kernel _ZN7rocprim17ROCPRIM_400000_NS6detail17trampoline_kernelINS0_14default_configENS1_35radix_sort_onesweep_config_selectorIiNS0_10empty_typeEEEZNS1_34radix_sort_onesweep_global_offsetsIS3_Lb0EN6thrust23THRUST_200600_302600_NS10device_ptrIiEEPS5_jNS0_19identity_decomposerEEE10hipError_tT1_T2_PT3_SH_jT4_jjP12ihipStream_tbEUlT_E_NS1_11comp_targetILNS1_3genE8ELNS1_11target_archE1030ELNS1_3gpuE2ELNS1_3repE0EEENS1_52radix_sort_onesweep_histogram_config_static_selectorELNS0_4arch9wavefront6targetE0EEEvSF_
		.amdhsa_group_segment_fixed_size 16384
		.amdhsa_private_segment_fixed_size 0
		.amdhsa_kernarg_size 40
		.amdhsa_user_sgpr_count 6
		.amdhsa_user_sgpr_private_segment_buffer 1
		.amdhsa_user_sgpr_dispatch_ptr 0
		.amdhsa_user_sgpr_queue_ptr 0
		.amdhsa_user_sgpr_kernarg_segment_ptr 1
		.amdhsa_user_sgpr_dispatch_id 0
		.amdhsa_user_sgpr_flat_scratch_init 0
		.amdhsa_user_sgpr_private_segment_size 0
		.amdhsa_wavefront_size32 1
		.amdhsa_uses_dynamic_stack 0
		.amdhsa_system_sgpr_private_segment_wavefront_offset 0
		.amdhsa_system_sgpr_workgroup_id_x 1
		.amdhsa_system_sgpr_workgroup_id_y 0
		.amdhsa_system_sgpr_workgroup_id_z 0
		.amdhsa_system_sgpr_workgroup_info 0
		.amdhsa_system_vgpr_workitem_id 0
		.amdhsa_next_free_vgpr 14
		.amdhsa_next_free_sgpr 14
		.amdhsa_reserve_vcc 1
		.amdhsa_reserve_flat_scratch 0
		.amdhsa_float_round_mode_32 0
		.amdhsa_float_round_mode_16_64 0
		.amdhsa_float_denorm_mode_32 3
		.amdhsa_float_denorm_mode_16_64 3
		.amdhsa_dx10_clamp 1
		.amdhsa_ieee_mode 1
		.amdhsa_fp16_overflow 0
		.amdhsa_workgroup_processor_mode 1
		.amdhsa_memory_ordered 1
		.amdhsa_forward_progress 1
		.amdhsa_shared_vgpr_count 0
		.amdhsa_exception_fp_ieee_invalid_op 0
		.amdhsa_exception_fp_denorm_src 0
		.amdhsa_exception_fp_ieee_div_zero 0
		.amdhsa_exception_fp_ieee_overflow 0
		.amdhsa_exception_fp_ieee_underflow 0
		.amdhsa_exception_fp_ieee_inexact 0
		.amdhsa_exception_int_div_zero 0
	.end_amdhsa_kernel
	.section	.text._ZN7rocprim17ROCPRIM_400000_NS6detail17trampoline_kernelINS0_14default_configENS1_35radix_sort_onesweep_config_selectorIiNS0_10empty_typeEEEZNS1_34radix_sort_onesweep_global_offsetsIS3_Lb0EN6thrust23THRUST_200600_302600_NS10device_ptrIiEEPS5_jNS0_19identity_decomposerEEE10hipError_tT1_T2_PT3_SH_jT4_jjP12ihipStream_tbEUlT_E_NS1_11comp_targetILNS1_3genE8ELNS1_11target_archE1030ELNS1_3gpuE2ELNS1_3repE0EEENS1_52radix_sort_onesweep_histogram_config_static_selectorELNS0_4arch9wavefront6targetE0EEEvSF_,"axG",@progbits,_ZN7rocprim17ROCPRIM_400000_NS6detail17trampoline_kernelINS0_14default_configENS1_35radix_sort_onesweep_config_selectorIiNS0_10empty_typeEEEZNS1_34radix_sort_onesweep_global_offsetsIS3_Lb0EN6thrust23THRUST_200600_302600_NS10device_ptrIiEEPS5_jNS0_19identity_decomposerEEE10hipError_tT1_T2_PT3_SH_jT4_jjP12ihipStream_tbEUlT_E_NS1_11comp_targetILNS1_3genE8ELNS1_11target_archE1030ELNS1_3gpuE2ELNS1_3repE0EEENS1_52radix_sort_onesweep_histogram_config_static_selectorELNS0_4arch9wavefront6targetE0EEEvSF_,comdat
.Lfunc_end1225:
	.size	_ZN7rocprim17ROCPRIM_400000_NS6detail17trampoline_kernelINS0_14default_configENS1_35radix_sort_onesweep_config_selectorIiNS0_10empty_typeEEEZNS1_34radix_sort_onesweep_global_offsetsIS3_Lb0EN6thrust23THRUST_200600_302600_NS10device_ptrIiEEPS5_jNS0_19identity_decomposerEEE10hipError_tT1_T2_PT3_SH_jT4_jjP12ihipStream_tbEUlT_E_NS1_11comp_targetILNS1_3genE8ELNS1_11target_archE1030ELNS1_3gpuE2ELNS1_3repE0EEENS1_52radix_sort_onesweep_histogram_config_static_selectorELNS0_4arch9wavefront6targetE0EEEvSF_, .Lfunc_end1225-_ZN7rocprim17ROCPRIM_400000_NS6detail17trampoline_kernelINS0_14default_configENS1_35radix_sort_onesweep_config_selectorIiNS0_10empty_typeEEEZNS1_34radix_sort_onesweep_global_offsetsIS3_Lb0EN6thrust23THRUST_200600_302600_NS10device_ptrIiEEPS5_jNS0_19identity_decomposerEEE10hipError_tT1_T2_PT3_SH_jT4_jjP12ihipStream_tbEUlT_E_NS1_11comp_targetILNS1_3genE8ELNS1_11target_archE1030ELNS1_3gpuE2ELNS1_3repE0EEENS1_52radix_sort_onesweep_histogram_config_static_selectorELNS0_4arch9wavefront6targetE0EEEvSF_
                                        ; -- End function
	.set _ZN7rocprim17ROCPRIM_400000_NS6detail17trampoline_kernelINS0_14default_configENS1_35radix_sort_onesweep_config_selectorIiNS0_10empty_typeEEEZNS1_34radix_sort_onesweep_global_offsetsIS3_Lb0EN6thrust23THRUST_200600_302600_NS10device_ptrIiEEPS5_jNS0_19identity_decomposerEEE10hipError_tT1_T2_PT3_SH_jT4_jjP12ihipStream_tbEUlT_E_NS1_11comp_targetILNS1_3genE8ELNS1_11target_archE1030ELNS1_3gpuE2ELNS1_3repE0EEENS1_52radix_sort_onesweep_histogram_config_static_selectorELNS0_4arch9wavefront6targetE0EEEvSF_.num_vgpr, 14
	.set _ZN7rocprim17ROCPRIM_400000_NS6detail17trampoline_kernelINS0_14default_configENS1_35radix_sort_onesweep_config_selectorIiNS0_10empty_typeEEEZNS1_34radix_sort_onesweep_global_offsetsIS3_Lb0EN6thrust23THRUST_200600_302600_NS10device_ptrIiEEPS5_jNS0_19identity_decomposerEEE10hipError_tT1_T2_PT3_SH_jT4_jjP12ihipStream_tbEUlT_E_NS1_11comp_targetILNS1_3genE8ELNS1_11target_archE1030ELNS1_3gpuE2ELNS1_3repE0EEENS1_52radix_sort_onesweep_histogram_config_static_selectorELNS0_4arch9wavefront6targetE0EEEvSF_.num_agpr, 0
	.set _ZN7rocprim17ROCPRIM_400000_NS6detail17trampoline_kernelINS0_14default_configENS1_35radix_sort_onesweep_config_selectorIiNS0_10empty_typeEEEZNS1_34radix_sort_onesweep_global_offsetsIS3_Lb0EN6thrust23THRUST_200600_302600_NS10device_ptrIiEEPS5_jNS0_19identity_decomposerEEE10hipError_tT1_T2_PT3_SH_jT4_jjP12ihipStream_tbEUlT_E_NS1_11comp_targetILNS1_3genE8ELNS1_11target_archE1030ELNS1_3gpuE2ELNS1_3repE0EEENS1_52radix_sort_onesweep_histogram_config_static_selectorELNS0_4arch9wavefront6targetE0EEEvSF_.numbered_sgpr, 14
	.set _ZN7rocprim17ROCPRIM_400000_NS6detail17trampoline_kernelINS0_14default_configENS1_35radix_sort_onesweep_config_selectorIiNS0_10empty_typeEEEZNS1_34radix_sort_onesweep_global_offsetsIS3_Lb0EN6thrust23THRUST_200600_302600_NS10device_ptrIiEEPS5_jNS0_19identity_decomposerEEE10hipError_tT1_T2_PT3_SH_jT4_jjP12ihipStream_tbEUlT_E_NS1_11comp_targetILNS1_3genE8ELNS1_11target_archE1030ELNS1_3gpuE2ELNS1_3repE0EEENS1_52radix_sort_onesweep_histogram_config_static_selectorELNS0_4arch9wavefront6targetE0EEEvSF_.num_named_barrier, 0
	.set _ZN7rocprim17ROCPRIM_400000_NS6detail17trampoline_kernelINS0_14default_configENS1_35radix_sort_onesweep_config_selectorIiNS0_10empty_typeEEEZNS1_34radix_sort_onesweep_global_offsetsIS3_Lb0EN6thrust23THRUST_200600_302600_NS10device_ptrIiEEPS5_jNS0_19identity_decomposerEEE10hipError_tT1_T2_PT3_SH_jT4_jjP12ihipStream_tbEUlT_E_NS1_11comp_targetILNS1_3genE8ELNS1_11target_archE1030ELNS1_3gpuE2ELNS1_3repE0EEENS1_52radix_sort_onesweep_histogram_config_static_selectorELNS0_4arch9wavefront6targetE0EEEvSF_.private_seg_size, 0
	.set _ZN7rocprim17ROCPRIM_400000_NS6detail17trampoline_kernelINS0_14default_configENS1_35radix_sort_onesweep_config_selectorIiNS0_10empty_typeEEEZNS1_34radix_sort_onesweep_global_offsetsIS3_Lb0EN6thrust23THRUST_200600_302600_NS10device_ptrIiEEPS5_jNS0_19identity_decomposerEEE10hipError_tT1_T2_PT3_SH_jT4_jjP12ihipStream_tbEUlT_E_NS1_11comp_targetILNS1_3genE8ELNS1_11target_archE1030ELNS1_3gpuE2ELNS1_3repE0EEENS1_52radix_sort_onesweep_histogram_config_static_selectorELNS0_4arch9wavefront6targetE0EEEvSF_.uses_vcc, 1
	.set _ZN7rocprim17ROCPRIM_400000_NS6detail17trampoline_kernelINS0_14default_configENS1_35radix_sort_onesweep_config_selectorIiNS0_10empty_typeEEEZNS1_34radix_sort_onesweep_global_offsetsIS3_Lb0EN6thrust23THRUST_200600_302600_NS10device_ptrIiEEPS5_jNS0_19identity_decomposerEEE10hipError_tT1_T2_PT3_SH_jT4_jjP12ihipStream_tbEUlT_E_NS1_11comp_targetILNS1_3genE8ELNS1_11target_archE1030ELNS1_3gpuE2ELNS1_3repE0EEENS1_52radix_sort_onesweep_histogram_config_static_selectorELNS0_4arch9wavefront6targetE0EEEvSF_.uses_flat_scratch, 0
	.set _ZN7rocprim17ROCPRIM_400000_NS6detail17trampoline_kernelINS0_14default_configENS1_35radix_sort_onesweep_config_selectorIiNS0_10empty_typeEEEZNS1_34radix_sort_onesweep_global_offsetsIS3_Lb0EN6thrust23THRUST_200600_302600_NS10device_ptrIiEEPS5_jNS0_19identity_decomposerEEE10hipError_tT1_T2_PT3_SH_jT4_jjP12ihipStream_tbEUlT_E_NS1_11comp_targetILNS1_3genE8ELNS1_11target_archE1030ELNS1_3gpuE2ELNS1_3repE0EEENS1_52radix_sort_onesweep_histogram_config_static_selectorELNS0_4arch9wavefront6targetE0EEEvSF_.has_dyn_sized_stack, 0
	.set _ZN7rocprim17ROCPRIM_400000_NS6detail17trampoline_kernelINS0_14default_configENS1_35radix_sort_onesweep_config_selectorIiNS0_10empty_typeEEEZNS1_34radix_sort_onesweep_global_offsetsIS3_Lb0EN6thrust23THRUST_200600_302600_NS10device_ptrIiEEPS5_jNS0_19identity_decomposerEEE10hipError_tT1_T2_PT3_SH_jT4_jjP12ihipStream_tbEUlT_E_NS1_11comp_targetILNS1_3genE8ELNS1_11target_archE1030ELNS1_3gpuE2ELNS1_3repE0EEENS1_52radix_sort_onesweep_histogram_config_static_selectorELNS0_4arch9wavefront6targetE0EEEvSF_.has_recursion, 0
	.set _ZN7rocprim17ROCPRIM_400000_NS6detail17trampoline_kernelINS0_14default_configENS1_35radix_sort_onesweep_config_selectorIiNS0_10empty_typeEEEZNS1_34radix_sort_onesweep_global_offsetsIS3_Lb0EN6thrust23THRUST_200600_302600_NS10device_ptrIiEEPS5_jNS0_19identity_decomposerEEE10hipError_tT1_T2_PT3_SH_jT4_jjP12ihipStream_tbEUlT_E_NS1_11comp_targetILNS1_3genE8ELNS1_11target_archE1030ELNS1_3gpuE2ELNS1_3repE0EEENS1_52radix_sort_onesweep_histogram_config_static_selectorELNS0_4arch9wavefront6targetE0EEEvSF_.has_indirect_call, 0
	.section	.AMDGPU.csdata,"",@progbits
; Kernel info:
; codeLenInByte = 4532
; TotalNumSgprs: 16
; NumVgprs: 14
; ScratchSize: 0
; MemoryBound: 0
; FloatMode: 240
; IeeeMode: 1
; LDSByteSize: 16384 bytes/workgroup (compile time only)
; SGPRBlocks: 0
; VGPRBlocks: 1
; NumSGPRsForWavesPerEU: 16
; NumVGPRsForWavesPerEU: 14
; Occupancy: 16
; WaveLimiterHint : 1
; COMPUTE_PGM_RSRC2:SCRATCH_EN: 0
; COMPUTE_PGM_RSRC2:USER_SGPR: 6
; COMPUTE_PGM_RSRC2:TRAP_HANDLER: 0
; COMPUTE_PGM_RSRC2:TGID_X_EN: 1
; COMPUTE_PGM_RSRC2:TGID_Y_EN: 0
; COMPUTE_PGM_RSRC2:TGID_Z_EN: 0
; COMPUTE_PGM_RSRC2:TIDIG_COMP_CNT: 0
	.section	.text._ZN7rocprim17ROCPRIM_400000_NS6detail17trampoline_kernelINS0_14default_configENS1_35radix_sort_onesweep_config_selectorIiNS0_10empty_typeEEEZNS1_34radix_sort_onesweep_global_offsetsIS3_Lb0EN6thrust23THRUST_200600_302600_NS10device_ptrIiEEPS5_jNS0_19identity_decomposerEEE10hipError_tT1_T2_PT3_SH_jT4_jjP12ihipStream_tbEUlT_E0_NS1_11comp_targetILNS1_3genE0ELNS1_11target_archE4294967295ELNS1_3gpuE0ELNS1_3repE0EEENS1_52radix_sort_onesweep_histogram_config_static_selectorELNS0_4arch9wavefront6targetE0EEEvSF_,"axG",@progbits,_ZN7rocprim17ROCPRIM_400000_NS6detail17trampoline_kernelINS0_14default_configENS1_35radix_sort_onesweep_config_selectorIiNS0_10empty_typeEEEZNS1_34radix_sort_onesweep_global_offsetsIS3_Lb0EN6thrust23THRUST_200600_302600_NS10device_ptrIiEEPS5_jNS0_19identity_decomposerEEE10hipError_tT1_T2_PT3_SH_jT4_jjP12ihipStream_tbEUlT_E0_NS1_11comp_targetILNS1_3genE0ELNS1_11target_archE4294967295ELNS1_3gpuE0ELNS1_3repE0EEENS1_52radix_sort_onesweep_histogram_config_static_selectorELNS0_4arch9wavefront6targetE0EEEvSF_,comdat
	.protected	_ZN7rocprim17ROCPRIM_400000_NS6detail17trampoline_kernelINS0_14default_configENS1_35radix_sort_onesweep_config_selectorIiNS0_10empty_typeEEEZNS1_34radix_sort_onesweep_global_offsetsIS3_Lb0EN6thrust23THRUST_200600_302600_NS10device_ptrIiEEPS5_jNS0_19identity_decomposerEEE10hipError_tT1_T2_PT3_SH_jT4_jjP12ihipStream_tbEUlT_E0_NS1_11comp_targetILNS1_3genE0ELNS1_11target_archE4294967295ELNS1_3gpuE0ELNS1_3repE0EEENS1_52radix_sort_onesweep_histogram_config_static_selectorELNS0_4arch9wavefront6targetE0EEEvSF_ ; -- Begin function _ZN7rocprim17ROCPRIM_400000_NS6detail17trampoline_kernelINS0_14default_configENS1_35radix_sort_onesweep_config_selectorIiNS0_10empty_typeEEEZNS1_34radix_sort_onesweep_global_offsetsIS3_Lb0EN6thrust23THRUST_200600_302600_NS10device_ptrIiEEPS5_jNS0_19identity_decomposerEEE10hipError_tT1_T2_PT3_SH_jT4_jjP12ihipStream_tbEUlT_E0_NS1_11comp_targetILNS1_3genE0ELNS1_11target_archE4294967295ELNS1_3gpuE0ELNS1_3repE0EEENS1_52radix_sort_onesweep_histogram_config_static_selectorELNS0_4arch9wavefront6targetE0EEEvSF_
	.globl	_ZN7rocprim17ROCPRIM_400000_NS6detail17trampoline_kernelINS0_14default_configENS1_35radix_sort_onesweep_config_selectorIiNS0_10empty_typeEEEZNS1_34radix_sort_onesweep_global_offsetsIS3_Lb0EN6thrust23THRUST_200600_302600_NS10device_ptrIiEEPS5_jNS0_19identity_decomposerEEE10hipError_tT1_T2_PT3_SH_jT4_jjP12ihipStream_tbEUlT_E0_NS1_11comp_targetILNS1_3genE0ELNS1_11target_archE4294967295ELNS1_3gpuE0ELNS1_3repE0EEENS1_52radix_sort_onesweep_histogram_config_static_selectorELNS0_4arch9wavefront6targetE0EEEvSF_
	.p2align	8
	.type	_ZN7rocprim17ROCPRIM_400000_NS6detail17trampoline_kernelINS0_14default_configENS1_35radix_sort_onesweep_config_selectorIiNS0_10empty_typeEEEZNS1_34radix_sort_onesweep_global_offsetsIS3_Lb0EN6thrust23THRUST_200600_302600_NS10device_ptrIiEEPS5_jNS0_19identity_decomposerEEE10hipError_tT1_T2_PT3_SH_jT4_jjP12ihipStream_tbEUlT_E0_NS1_11comp_targetILNS1_3genE0ELNS1_11target_archE4294967295ELNS1_3gpuE0ELNS1_3repE0EEENS1_52radix_sort_onesweep_histogram_config_static_selectorELNS0_4arch9wavefront6targetE0EEEvSF_,@function
_ZN7rocprim17ROCPRIM_400000_NS6detail17trampoline_kernelINS0_14default_configENS1_35radix_sort_onesweep_config_selectorIiNS0_10empty_typeEEEZNS1_34radix_sort_onesweep_global_offsetsIS3_Lb0EN6thrust23THRUST_200600_302600_NS10device_ptrIiEEPS5_jNS0_19identity_decomposerEEE10hipError_tT1_T2_PT3_SH_jT4_jjP12ihipStream_tbEUlT_E0_NS1_11comp_targetILNS1_3genE0ELNS1_11target_archE4294967295ELNS1_3gpuE0ELNS1_3repE0EEENS1_52radix_sort_onesweep_histogram_config_static_selectorELNS0_4arch9wavefront6targetE0EEEvSF_: ; @_ZN7rocprim17ROCPRIM_400000_NS6detail17trampoline_kernelINS0_14default_configENS1_35radix_sort_onesweep_config_selectorIiNS0_10empty_typeEEEZNS1_34radix_sort_onesweep_global_offsetsIS3_Lb0EN6thrust23THRUST_200600_302600_NS10device_ptrIiEEPS5_jNS0_19identity_decomposerEEE10hipError_tT1_T2_PT3_SH_jT4_jjP12ihipStream_tbEUlT_E0_NS1_11comp_targetILNS1_3genE0ELNS1_11target_archE4294967295ELNS1_3gpuE0ELNS1_3repE0EEENS1_52radix_sort_onesweep_histogram_config_static_selectorELNS0_4arch9wavefront6targetE0EEEvSF_
; %bb.0:
	.section	.rodata,"a",@progbits
	.p2align	6, 0x0
	.amdhsa_kernel _ZN7rocprim17ROCPRIM_400000_NS6detail17trampoline_kernelINS0_14default_configENS1_35radix_sort_onesweep_config_selectorIiNS0_10empty_typeEEEZNS1_34radix_sort_onesweep_global_offsetsIS3_Lb0EN6thrust23THRUST_200600_302600_NS10device_ptrIiEEPS5_jNS0_19identity_decomposerEEE10hipError_tT1_T2_PT3_SH_jT4_jjP12ihipStream_tbEUlT_E0_NS1_11comp_targetILNS1_3genE0ELNS1_11target_archE4294967295ELNS1_3gpuE0ELNS1_3repE0EEENS1_52radix_sort_onesweep_histogram_config_static_selectorELNS0_4arch9wavefront6targetE0EEEvSF_
		.amdhsa_group_segment_fixed_size 0
		.amdhsa_private_segment_fixed_size 0
		.amdhsa_kernarg_size 8
		.amdhsa_user_sgpr_count 6
		.amdhsa_user_sgpr_private_segment_buffer 1
		.amdhsa_user_sgpr_dispatch_ptr 0
		.amdhsa_user_sgpr_queue_ptr 0
		.amdhsa_user_sgpr_kernarg_segment_ptr 1
		.amdhsa_user_sgpr_dispatch_id 0
		.amdhsa_user_sgpr_flat_scratch_init 0
		.amdhsa_user_sgpr_private_segment_size 0
		.amdhsa_wavefront_size32 1
		.amdhsa_uses_dynamic_stack 0
		.amdhsa_system_sgpr_private_segment_wavefront_offset 0
		.amdhsa_system_sgpr_workgroup_id_x 1
		.amdhsa_system_sgpr_workgroup_id_y 0
		.amdhsa_system_sgpr_workgroup_id_z 0
		.amdhsa_system_sgpr_workgroup_info 0
		.amdhsa_system_vgpr_workitem_id 0
		.amdhsa_next_free_vgpr 1
		.amdhsa_next_free_sgpr 1
		.amdhsa_reserve_vcc 0
		.amdhsa_reserve_flat_scratch 0
		.amdhsa_float_round_mode_32 0
		.amdhsa_float_round_mode_16_64 0
		.amdhsa_float_denorm_mode_32 3
		.amdhsa_float_denorm_mode_16_64 3
		.amdhsa_dx10_clamp 1
		.amdhsa_ieee_mode 1
		.amdhsa_fp16_overflow 0
		.amdhsa_workgroup_processor_mode 1
		.amdhsa_memory_ordered 1
		.amdhsa_forward_progress 1
		.amdhsa_shared_vgpr_count 0
		.amdhsa_exception_fp_ieee_invalid_op 0
		.amdhsa_exception_fp_denorm_src 0
		.amdhsa_exception_fp_ieee_div_zero 0
		.amdhsa_exception_fp_ieee_overflow 0
		.amdhsa_exception_fp_ieee_underflow 0
		.amdhsa_exception_fp_ieee_inexact 0
		.amdhsa_exception_int_div_zero 0
	.end_amdhsa_kernel
	.section	.text._ZN7rocprim17ROCPRIM_400000_NS6detail17trampoline_kernelINS0_14default_configENS1_35radix_sort_onesweep_config_selectorIiNS0_10empty_typeEEEZNS1_34radix_sort_onesweep_global_offsetsIS3_Lb0EN6thrust23THRUST_200600_302600_NS10device_ptrIiEEPS5_jNS0_19identity_decomposerEEE10hipError_tT1_T2_PT3_SH_jT4_jjP12ihipStream_tbEUlT_E0_NS1_11comp_targetILNS1_3genE0ELNS1_11target_archE4294967295ELNS1_3gpuE0ELNS1_3repE0EEENS1_52radix_sort_onesweep_histogram_config_static_selectorELNS0_4arch9wavefront6targetE0EEEvSF_,"axG",@progbits,_ZN7rocprim17ROCPRIM_400000_NS6detail17trampoline_kernelINS0_14default_configENS1_35radix_sort_onesweep_config_selectorIiNS0_10empty_typeEEEZNS1_34radix_sort_onesweep_global_offsetsIS3_Lb0EN6thrust23THRUST_200600_302600_NS10device_ptrIiEEPS5_jNS0_19identity_decomposerEEE10hipError_tT1_T2_PT3_SH_jT4_jjP12ihipStream_tbEUlT_E0_NS1_11comp_targetILNS1_3genE0ELNS1_11target_archE4294967295ELNS1_3gpuE0ELNS1_3repE0EEENS1_52radix_sort_onesweep_histogram_config_static_selectorELNS0_4arch9wavefront6targetE0EEEvSF_,comdat
.Lfunc_end1226:
	.size	_ZN7rocprim17ROCPRIM_400000_NS6detail17trampoline_kernelINS0_14default_configENS1_35radix_sort_onesweep_config_selectorIiNS0_10empty_typeEEEZNS1_34radix_sort_onesweep_global_offsetsIS3_Lb0EN6thrust23THRUST_200600_302600_NS10device_ptrIiEEPS5_jNS0_19identity_decomposerEEE10hipError_tT1_T2_PT3_SH_jT4_jjP12ihipStream_tbEUlT_E0_NS1_11comp_targetILNS1_3genE0ELNS1_11target_archE4294967295ELNS1_3gpuE0ELNS1_3repE0EEENS1_52radix_sort_onesweep_histogram_config_static_selectorELNS0_4arch9wavefront6targetE0EEEvSF_, .Lfunc_end1226-_ZN7rocprim17ROCPRIM_400000_NS6detail17trampoline_kernelINS0_14default_configENS1_35radix_sort_onesweep_config_selectorIiNS0_10empty_typeEEEZNS1_34radix_sort_onesweep_global_offsetsIS3_Lb0EN6thrust23THRUST_200600_302600_NS10device_ptrIiEEPS5_jNS0_19identity_decomposerEEE10hipError_tT1_T2_PT3_SH_jT4_jjP12ihipStream_tbEUlT_E0_NS1_11comp_targetILNS1_3genE0ELNS1_11target_archE4294967295ELNS1_3gpuE0ELNS1_3repE0EEENS1_52radix_sort_onesweep_histogram_config_static_selectorELNS0_4arch9wavefront6targetE0EEEvSF_
                                        ; -- End function
	.set _ZN7rocprim17ROCPRIM_400000_NS6detail17trampoline_kernelINS0_14default_configENS1_35radix_sort_onesweep_config_selectorIiNS0_10empty_typeEEEZNS1_34radix_sort_onesweep_global_offsetsIS3_Lb0EN6thrust23THRUST_200600_302600_NS10device_ptrIiEEPS5_jNS0_19identity_decomposerEEE10hipError_tT1_T2_PT3_SH_jT4_jjP12ihipStream_tbEUlT_E0_NS1_11comp_targetILNS1_3genE0ELNS1_11target_archE4294967295ELNS1_3gpuE0ELNS1_3repE0EEENS1_52radix_sort_onesweep_histogram_config_static_selectorELNS0_4arch9wavefront6targetE0EEEvSF_.num_vgpr, 0
	.set _ZN7rocprim17ROCPRIM_400000_NS6detail17trampoline_kernelINS0_14default_configENS1_35radix_sort_onesweep_config_selectorIiNS0_10empty_typeEEEZNS1_34radix_sort_onesweep_global_offsetsIS3_Lb0EN6thrust23THRUST_200600_302600_NS10device_ptrIiEEPS5_jNS0_19identity_decomposerEEE10hipError_tT1_T2_PT3_SH_jT4_jjP12ihipStream_tbEUlT_E0_NS1_11comp_targetILNS1_3genE0ELNS1_11target_archE4294967295ELNS1_3gpuE0ELNS1_3repE0EEENS1_52radix_sort_onesweep_histogram_config_static_selectorELNS0_4arch9wavefront6targetE0EEEvSF_.num_agpr, 0
	.set _ZN7rocprim17ROCPRIM_400000_NS6detail17trampoline_kernelINS0_14default_configENS1_35radix_sort_onesweep_config_selectorIiNS0_10empty_typeEEEZNS1_34radix_sort_onesweep_global_offsetsIS3_Lb0EN6thrust23THRUST_200600_302600_NS10device_ptrIiEEPS5_jNS0_19identity_decomposerEEE10hipError_tT1_T2_PT3_SH_jT4_jjP12ihipStream_tbEUlT_E0_NS1_11comp_targetILNS1_3genE0ELNS1_11target_archE4294967295ELNS1_3gpuE0ELNS1_3repE0EEENS1_52radix_sort_onesweep_histogram_config_static_selectorELNS0_4arch9wavefront6targetE0EEEvSF_.numbered_sgpr, 0
	.set _ZN7rocprim17ROCPRIM_400000_NS6detail17trampoline_kernelINS0_14default_configENS1_35radix_sort_onesweep_config_selectorIiNS0_10empty_typeEEEZNS1_34radix_sort_onesweep_global_offsetsIS3_Lb0EN6thrust23THRUST_200600_302600_NS10device_ptrIiEEPS5_jNS0_19identity_decomposerEEE10hipError_tT1_T2_PT3_SH_jT4_jjP12ihipStream_tbEUlT_E0_NS1_11comp_targetILNS1_3genE0ELNS1_11target_archE4294967295ELNS1_3gpuE0ELNS1_3repE0EEENS1_52radix_sort_onesweep_histogram_config_static_selectorELNS0_4arch9wavefront6targetE0EEEvSF_.num_named_barrier, 0
	.set _ZN7rocprim17ROCPRIM_400000_NS6detail17trampoline_kernelINS0_14default_configENS1_35radix_sort_onesweep_config_selectorIiNS0_10empty_typeEEEZNS1_34radix_sort_onesweep_global_offsetsIS3_Lb0EN6thrust23THRUST_200600_302600_NS10device_ptrIiEEPS5_jNS0_19identity_decomposerEEE10hipError_tT1_T2_PT3_SH_jT4_jjP12ihipStream_tbEUlT_E0_NS1_11comp_targetILNS1_3genE0ELNS1_11target_archE4294967295ELNS1_3gpuE0ELNS1_3repE0EEENS1_52radix_sort_onesweep_histogram_config_static_selectorELNS0_4arch9wavefront6targetE0EEEvSF_.private_seg_size, 0
	.set _ZN7rocprim17ROCPRIM_400000_NS6detail17trampoline_kernelINS0_14default_configENS1_35radix_sort_onesweep_config_selectorIiNS0_10empty_typeEEEZNS1_34radix_sort_onesweep_global_offsetsIS3_Lb0EN6thrust23THRUST_200600_302600_NS10device_ptrIiEEPS5_jNS0_19identity_decomposerEEE10hipError_tT1_T2_PT3_SH_jT4_jjP12ihipStream_tbEUlT_E0_NS1_11comp_targetILNS1_3genE0ELNS1_11target_archE4294967295ELNS1_3gpuE0ELNS1_3repE0EEENS1_52radix_sort_onesweep_histogram_config_static_selectorELNS0_4arch9wavefront6targetE0EEEvSF_.uses_vcc, 0
	.set _ZN7rocprim17ROCPRIM_400000_NS6detail17trampoline_kernelINS0_14default_configENS1_35radix_sort_onesweep_config_selectorIiNS0_10empty_typeEEEZNS1_34radix_sort_onesweep_global_offsetsIS3_Lb0EN6thrust23THRUST_200600_302600_NS10device_ptrIiEEPS5_jNS0_19identity_decomposerEEE10hipError_tT1_T2_PT3_SH_jT4_jjP12ihipStream_tbEUlT_E0_NS1_11comp_targetILNS1_3genE0ELNS1_11target_archE4294967295ELNS1_3gpuE0ELNS1_3repE0EEENS1_52radix_sort_onesweep_histogram_config_static_selectorELNS0_4arch9wavefront6targetE0EEEvSF_.uses_flat_scratch, 0
	.set _ZN7rocprim17ROCPRIM_400000_NS6detail17trampoline_kernelINS0_14default_configENS1_35radix_sort_onesweep_config_selectorIiNS0_10empty_typeEEEZNS1_34radix_sort_onesweep_global_offsetsIS3_Lb0EN6thrust23THRUST_200600_302600_NS10device_ptrIiEEPS5_jNS0_19identity_decomposerEEE10hipError_tT1_T2_PT3_SH_jT4_jjP12ihipStream_tbEUlT_E0_NS1_11comp_targetILNS1_3genE0ELNS1_11target_archE4294967295ELNS1_3gpuE0ELNS1_3repE0EEENS1_52radix_sort_onesweep_histogram_config_static_selectorELNS0_4arch9wavefront6targetE0EEEvSF_.has_dyn_sized_stack, 0
	.set _ZN7rocprim17ROCPRIM_400000_NS6detail17trampoline_kernelINS0_14default_configENS1_35radix_sort_onesweep_config_selectorIiNS0_10empty_typeEEEZNS1_34radix_sort_onesweep_global_offsetsIS3_Lb0EN6thrust23THRUST_200600_302600_NS10device_ptrIiEEPS5_jNS0_19identity_decomposerEEE10hipError_tT1_T2_PT3_SH_jT4_jjP12ihipStream_tbEUlT_E0_NS1_11comp_targetILNS1_3genE0ELNS1_11target_archE4294967295ELNS1_3gpuE0ELNS1_3repE0EEENS1_52radix_sort_onesweep_histogram_config_static_selectorELNS0_4arch9wavefront6targetE0EEEvSF_.has_recursion, 0
	.set _ZN7rocprim17ROCPRIM_400000_NS6detail17trampoline_kernelINS0_14default_configENS1_35radix_sort_onesweep_config_selectorIiNS0_10empty_typeEEEZNS1_34radix_sort_onesweep_global_offsetsIS3_Lb0EN6thrust23THRUST_200600_302600_NS10device_ptrIiEEPS5_jNS0_19identity_decomposerEEE10hipError_tT1_T2_PT3_SH_jT4_jjP12ihipStream_tbEUlT_E0_NS1_11comp_targetILNS1_3genE0ELNS1_11target_archE4294967295ELNS1_3gpuE0ELNS1_3repE0EEENS1_52radix_sort_onesweep_histogram_config_static_selectorELNS0_4arch9wavefront6targetE0EEEvSF_.has_indirect_call, 0
	.section	.AMDGPU.csdata,"",@progbits
; Kernel info:
; codeLenInByte = 0
; TotalNumSgprs: 0
; NumVgprs: 0
; ScratchSize: 0
; MemoryBound: 0
; FloatMode: 240
; IeeeMode: 1
; LDSByteSize: 0 bytes/workgroup (compile time only)
; SGPRBlocks: 0
; VGPRBlocks: 0
; NumSGPRsForWavesPerEU: 1
; NumVGPRsForWavesPerEU: 1
; Occupancy: 16
; WaveLimiterHint : 0
; COMPUTE_PGM_RSRC2:SCRATCH_EN: 0
; COMPUTE_PGM_RSRC2:USER_SGPR: 6
; COMPUTE_PGM_RSRC2:TRAP_HANDLER: 0
; COMPUTE_PGM_RSRC2:TGID_X_EN: 1
; COMPUTE_PGM_RSRC2:TGID_Y_EN: 0
; COMPUTE_PGM_RSRC2:TGID_Z_EN: 0
; COMPUTE_PGM_RSRC2:TIDIG_COMP_CNT: 0
	.section	.text._ZN7rocprim17ROCPRIM_400000_NS6detail17trampoline_kernelINS0_14default_configENS1_35radix_sort_onesweep_config_selectorIiNS0_10empty_typeEEEZNS1_34radix_sort_onesweep_global_offsetsIS3_Lb0EN6thrust23THRUST_200600_302600_NS10device_ptrIiEEPS5_jNS0_19identity_decomposerEEE10hipError_tT1_T2_PT3_SH_jT4_jjP12ihipStream_tbEUlT_E0_NS1_11comp_targetILNS1_3genE6ELNS1_11target_archE950ELNS1_3gpuE13ELNS1_3repE0EEENS1_52radix_sort_onesweep_histogram_config_static_selectorELNS0_4arch9wavefront6targetE0EEEvSF_,"axG",@progbits,_ZN7rocprim17ROCPRIM_400000_NS6detail17trampoline_kernelINS0_14default_configENS1_35radix_sort_onesweep_config_selectorIiNS0_10empty_typeEEEZNS1_34radix_sort_onesweep_global_offsetsIS3_Lb0EN6thrust23THRUST_200600_302600_NS10device_ptrIiEEPS5_jNS0_19identity_decomposerEEE10hipError_tT1_T2_PT3_SH_jT4_jjP12ihipStream_tbEUlT_E0_NS1_11comp_targetILNS1_3genE6ELNS1_11target_archE950ELNS1_3gpuE13ELNS1_3repE0EEENS1_52radix_sort_onesweep_histogram_config_static_selectorELNS0_4arch9wavefront6targetE0EEEvSF_,comdat
	.protected	_ZN7rocprim17ROCPRIM_400000_NS6detail17trampoline_kernelINS0_14default_configENS1_35radix_sort_onesweep_config_selectorIiNS0_10empty_typeEEEZNS1_34radix_sort_onesweep_global_offsetsIS3_Lb0EN6thrust23THRUST_200600_302600_NS10device_ptrIiEEPS5_jNS0_19identity_decomposerEEE10hipError_tT1_T2_PT3_SH_jT4_jjP12ihipStream_tbEUlT_E0_NS1_11comp_targetILNS1_3genE6ELNS1_11target_archE950ELNS1_3gpuE13ELNS1_3repE0EEENS1_52radix_sort_onesweep_histogram_config_static_selectorELNS0_4arch9wavefront6targetE0EEEvSF_ ; -- Begin function _ZN7rocprim17ROCPRIM_400000_NS6detail17trampoline_kernelINS0_14default_configENS1_35radix_sort_onesweep_config_selectorIiNS0_10empty_typeEEEZNS1_34radix_sort_onesweep_global_offsetsIS3_Lb0EN6thrust23THRUST_200600_302600_NS10device_ptrIiEEPS5_jNS0_19identity_decomposerEEE10hipError_tT1_T2_PT3_SH_jT4_jjP12ihipStream_tbEUlT_E0_NS1_11comp_targetILNS1_3genE6ELNS1_11target_archE950ELNS1_3gpuE13ELNS1_3repE0EEENS1_52radix_sort_onesweep_histogram_config_static_selectorELNS0_4arch9wavefront6targetE0EEEvSF_
	.globl	_ZN7rocprim17ROCPRIM_400000_NS6detail17trampoline_kernelINS0_14default_configENS1_35radix_sort_onesweep_config_selectorIiNS0_10empty_typeEEEZNS1_34radix_sort_onesweep_global_offsetsIS3_Lb0EN6thrust23THRUST_200600_302600_NS10device_ptrIiEEPS5_jNS0_19identity_decomposerEEE10hipError_tT1_T2_PT3_SH_jT4_jjP12ihipStream_tbEUlT_E0_NS1_11comp_targetILNS1_3genE6ELNS1_11target_archE950ELNS1_3gpuE13ELNS1_3repE0EEENS1_52radix_sort_onesweep_histogram_config_static_selectorELNS0_4arch9wavefront6targetE0EEEvSF_
	.p2align	8
	.type	_ZN7rocprim17ROCPRIM_400000_NS6detail17trampoline_kernelINS0_14default_configENS1_35radix_sort_onesweep_config_selectorIiNS0_10empty_typeEEEZNS1_34radix_sort_onesweep_global_offsetsIS3_Lb0EN6thrust23THRUST_200600_302600_NS10device_ptrIiEEPS5_jNS0_19identity_decomposerEEE10hipError_tT1_T2_PT3_SH_jT4_jjP12ihipStream_tbEUlT_E0_NS1_11comp_targetILNS1_3genE6ELNS1_11target_archE950ELNS1_3gpuE13ELNS1_3repE0EEENS1_52radix_sort_onesweep_histogram_config_static_selectorELNS0_4arch9wavefront6targetE0EEEvSF_,@function
_ZN7rocprim17ROCPRIM_400000_NS6detail17trampoline_kernelINS0_14default_configENS1_35radix_sort_onesweep_config_selectorIiNS0_10empty_typeEEEZNS1_34radix_sort_onesweep_global_offsetsIS3_Lb0EN6thrust23THRUST_200600_302600_NS10device_ptrIiEEPS5_jNS0_19identity_decomposerEEE10hipError_tT1_T2_PT3_SH_jT4_jjP12ihipStream_tbEUlT_E0_NS1_11comp_targetILNS1_3genE6ELNS1_11target_archE950ELNS1_3gpuE13ELNS1_3repE0EEENS1_52radix_sort_onesweep_histogram_config_static_selectorELNS0_4arch9wavefront6targetE0EEEvSF_: ; @_ZN7rocprim17ROCPRIM_400000_NS6detail17trampoline_kernelINS0_14default_configENS1_35radix_sort_onesweep_config_selectorIiNS0_10empty_typeEEEZNS1_34radix_sort_onesweep_global_offsetsIS3_Lb0EN6thrust23THRUST_200600_302600_NS10device_ptrIiEEPS5_jNS0_19identity_decomposerEEE10hipError_tT1_T2_PT3_SH_jT4_jjP12ihipStream_tbEUlT_E0_NS1_11comp_targetILNS1_3genE6ELNS1_11target_archE950ELNS1_3gpuE13ELNS1_3repE0EEENS1_52radix_sort_onesweep_histogram_config_static_selectorELNS0_4arch9wavefront6targetE0EEEvSF_
; %bb.0:
	.section	.rodata,"a",@progbits
	.p2align	6, 0x0
	.amdhsa_kernel _ZN7rocprim17ROCPRIM_400000_NS6detail17trampoline_kernelINS0_14default_configENS1_35radix_sort_onesweep_config_selectorIiNS0_10empty_typeEEEZNS1_34radix_sort_onesweep_global_offsetsIS3_Lb0EN6thrust23THRUST_200600_302600_NS10device_ptrIiEEPS5_jNS0_19identity_decomposerEEE10hipError_tT1_T2_PT3_SH_jT4_jjP12ihipStream_tbEUlT_E0_NS1_11comp_targetILNS1_3genE6ELNS1_11target_archE950ELNS1_3gpuE13ELNS1_3repE0EEENS1_52radix_sort_onesweep_histogram_config_static_selectorELNS0_4arch9wavefront6targetE0EEEvSF_
		.amdhsa_group_segment_fixed_size 0
		.amdhsa_private_segment_fixed_size 0
		.amdhsa_kernarg_size 8
		.amdhsa_user_sgpr_count 6
		.amdhsa_user_sgpr_private_segment_buffer 1
		.amdhsa_user_sgpr_dispatch_ptr 0
		.amdhsa_user_sgpr_queue_ptr 0
		.amdhsa_user_sgpr_kernarg_segment_ptr 1
		.amdhsa_user_sgpr_dispatch_id 0
		.amdhsa_user_sgpr_flat_scratch_init 0
		.amdhsa_user_sgpr_private_segment_size 0
		.amdhsa_wavefront_size32 1
		.amdhsa_uses_dynamic_stack 0
		.amdhsa_system_sgpr_private_segment_wavefront_offset 0
		.amdhsa_system_sgpr_workgroup_id_x 1
		.amdhsa_system_sgpr_workgroup_id_y 0
		.amdhsa_system_sgpr_workgroup_id_z 0
		.amdhsa_system_sgpr_workgroup_info 0
		.amdhsa_system_vgpr_workitem_id 0
		.amdhsa_next_free_vgpr 1
		.amdhsa_next_free_sgpr 1
		.amdhsa_reserve_vcc 0
		.amdhsa_reserve_flat_scratch 0
		.amdhsa_float_round_mode_32 0
		.amdhsa_float_round_mode_16_64 0
		.amdhsa_float_denorm_mode_32 3
		.amdhsa_float_denorm_mode_16_64 3
		.amdhsa_dx10_clamp 1
		.amdhsa_ieee_mode 1
		.amdhsa_fp16_overflow 0
		.amdhsa_workgroup_processor_mode 1
		.amdhsa_memory_ordered 1
		.amdhsa_forward_progress 1
		.amdhsa_shared_vgpr_count 0
		.amdhsa_exception_fp_ieee_invalid_op 0
		.amdhsa_exception_fp_denorm_src 0
		.amdhsa_exception_fp_ieee_div_zero 0
		.amdhsa_exception_fp_ieee_overflow 0
		.amdhsa_exception_fp_ieee_underflow 0
		.amdhsa_exception_fp_ieee_inexact 0
		.amdhsa_exception_int_div_zero 0
	.end_amdhsa_kernel
	.section	.text._ZN7rocprim17ROCPRIM_400000_NS6detail17trampoline_kernelINS0_14default_configENS1_35radix_sort_onesweep_config_selectorIiNS0_10empty_typeEEEZNS1_34radix_sort_onesweep_global_offsetsIS3_Lb0EN6thrust23THRUST_200600_302600_NS10device_ptrIiEEPS5_jNS0_19identity_decomposerEEE10hipError_tT1_T2_PT3_SH_jT4_jjP12ihipStream_tbEUlT_E0_NS1_11comp_targetILNS1_3genE6ELNS1_11target_archE950ELNS1_3gpuE13ELNS1_3repE0EEENS1_52radix_sort_onesweep_histogram_config_static_selectorELNS0_4arch9wavefront6targetE0EEEvSF_,"axG",@progbits,_ZN7rocprim17ROCPRIM_400000_NS6detail17trampoline_kernelINS0_14default_configENS1_35radix_sort_onesweep_config_selectorIiNS0_10empty_typeEEEZNS1_34radix_sort_onesweep_global_offsetsIS3_Lb0EN6thrust23THRUST_200600_302600_NS10device_ptrIiEEPS5_jNS0_19identity_decomposerEEE10hipError_tT1_T2_PT3_SH_jT4_jjP12ihipStream_tbEUlT_E0_NS1_11comp_targetILNS1_3genE6ELNS1_11target_archE950ELNS1_3gpuE13ELNS1_3repE0EEENS1_52radix_sort_onesweep_histogram_config_static_selectorELNS0_4arch9wavefront6targetE0EEEvSF_,comdat
.Lfunc_end1227:
	.size	_ZN7rocprim17ROCPRIM_400000_NS6detail17trampoline_kernelINS0_14default_configENS1_35radix_sort_onesweep_config_selectorIiNS0_10empty_typeEEEZNS1_34radix_sort_onesweep_global_offsetsIS3_Lb0EN6thrust23THRUST_200600_302600_NS10device_ptrIiEEPS5_jNS0_19identity_decomposerEEE10hipError_tT1_T2_PT3_SH_jT4_jjP12ihipStream_tbEUlT_E0_NS1_11comp_targetILNS1_3genE6ELNS1_11target_archE950ELNS1_3gpuE13ELNS1_3repE0EEENS1_52radix_sort_onesweep_histogram_config_static_selectorELNS0_4arch9wavefront6targetE0EEEvSF_, .Lfunc_end1227-_ZN7rocprim17ROCPRIM_400000_NS6detail17trampoline_kernelINS0_14default_configENS1_35radix_sort_onesweep_config_selectorIiNS0_10empty_typeEEEZNS1_34radix_sort_onesweep_global_offsetsIS3_Lb0EN6thrust23THRUST_200600_302600_NS10device_ptrIiEEPS5_jNS0_19identity_decomposerEEE10hipError_tT1_T2_PT3_SH_jT4_jjP12ihipStream_tbEUlT_E0_NS1_11comp_targetILNS1_3genE6ELNS1_11target_archE950ELNS1_3gpuE13ELNS1_3repE0EEENS1_52radix_sort_onesweep_histogram_config_static_selectorELNS0_4arch9wavefront6targetE0EEEvSF_
                                        ; -- End function
	.set _ZN7rocprim17ROCPRIM_400000_NS6detail17trampoline_kernelINS0_14default_configENS1_35radix_sort_onesweep_config_selectorIiNS0_10empty_typeEEEZNS1_34radix_sort_onesweep_global_offsetsIS3_Lb0EN6thrust23THRUST_200600_302600_NS10device_ptrIiEEPS5_jNS0_19identity_decomposerEEE10hipError_tT1_T2_PT3_SH_jT4_jjP12ihipStream_tbEUlT_E0_NS1_11comp_targetILNS1_3genE6ELNS1_11target_archE950ELNS1_3gpuE13ELNS1_3repE0EEENS1_52radix_sort_onesweep_histogram_config_static_selectorELNS0_4arch9wavefront6targetE0EEEvSF_.num_vgpr, 0
	.set _ZN7rocprim17ROCPRIM_400000_NS6detail17trampoline_kernelINS0_14default_configENS1_35radix_sort_onesweep_config_selectorIiNS0_10empty_typeEEEZNS1_34radix_sort_onesweep_global_offsetsIS3_Lb0EN6thrust23THRUST_200600_302600_NS10device_ptrIiEEPS5_jNS0_19identity_decomposerEEE10hipError_tT1_T2_PT3_SH_jT4_jjP12ihipStream_tbEUlT_E0_NS1_11comp_targetILNS1_3genE6ELNS1_11target_archE950ELNS1_3gpuE13ELNS1_3repE0EEENS1_52radix_sort_onesweep_histogram_config_static_selectorELNS0_4arch9wavefront6targetE0EEEvSF_.num_agpr, 0
	.set _ZN7rocprim17ROCPRIM_400000_NS6detail17trampoline_kernelINS0_14default_configENS1_35radix_sort_onesweep_config_selectorIiNS0_10empty_typeEEEZNS1_34radix_sort_onesweep_global_offsetsIS3_Lb0EN6thrust23THRUST_200600_302600_NS10device_ptrIiEEPS5_jNS0_19identity_decomposerEEE10hipError_tT1_T2_PT3_SH_jT4_jjP12ihipStream_tbEUlT_E0_NS1_11comp_targetILNS1_3genE6ELNS1_11target_archE950ELNS1_3gpuE13ELNS1_3repE0EEENS1_52radix_sort_onesweep_histogram_config_static_selectorELNS0_4arch9wavefront6targetE0EEEvSF_.numbered_sgpr, 0
	.set _ZN7rocprim17ROCPRIM_400000_NS6detail17trampoline_kernelINS0_14default_configENS1_35radix_sort_onesweep_config_selectorIiNS0_10empty_typeEEEZNS1_34radix_sort_onesweep_global_offsetsIS3_Lb0EN6thrust23THRUST_200600_302600_NS10device_ptrIiEEPS5_jNS0_19identity_decomposerEEE10hipError_tT1_T2_PT3_SH_jT4_jjP12ihipStream_tbEUlT_E0_NS1_11comp_targetILNS1_3genE6ELNS1_11target_archE950ELNS1_3gpuE13ELNS1_3repE0EEENS1_52radix_sort_onesweep_histogram_config_static_selectorELNS0_4arch9wavefront6targetE0EEEvSF_.num_named_barrier, 0
	.set _ZN7rocprim17ROCPRIM_400000_NS6detail17trampoline_kernelINS0_14default_configENS1_35radix_sort_onesweep_config_selectorIiNS0_10empty_typeEEEZNS1_34radix_sort_onesweep_global_offsetsIS3_Lb0EN6thrust23THRUST_200600_302600_NS10device_ptrIiEEPS5_jNS0_19identity_decomposerEEE10hipError_tT1_T2_PT3_SH_jT4_jjP12ihipStream_tbEUlT_E0_NS1_11comp_targetILNS1_3genE6ELNS1_11target_archE950ELNS1_3gpuE13ELNS1_3repE0EEENS1_52radix_sort_onesweep_histogram_config_static_selectorELNS0_4arch9wavefront6targetE0EEEvSF_.private_seg_size, 0
	.set _ZN7rocprim17ROCPRIM_400000_NS6detail17trampoline_kernelINS0_14default_configENS1_35radix_sort_onesweep_config_selectorIiNS0_10empty_typeEEEZNS1_34radix_sort_onesweep_global_offsetsIS3_Lb0EN6thrust23THRUST_200600_302600_NS10device_ptrIiEEPS5_jNS0_19identity_decomposerEEE10hipError_tT1_T2_PT3_SH_jT4_jjP12ihipStream_tbEUlT_E0_NS1_11comp_targetILNS1_3genE6ELNS1_11target_archE950ELNS1_3gpuE13ELNS1_3repE0EEENS1_52radix_sort_onesweep_histogram_config_static_selectorELNS0_4arch9wavefront6targetE0EEEvSF_.uses_vcc, 0
	.set _ZN7rocprim17ROCPRIM_400000_NS6detail17trampoline_kernelINS0_14default_configENS1_35radix_sort_onesweep_config_selectorIiNS0_10empty_typeEEEZNS1_34radix_sort_onesweep_global_offsetsIS3_Lb0EN6thrust23THRUST_200600_302600_NS10device_ptrIiEEPS5_jNS0_19identity_decomposerEEE10hipError_tT1_T2_PT3_SH_jT4_jjP12ihipStream_tbEUlT_E0_NS1_11comp_targetILNS1_3genE6ELNS1_11target_archE950ELNS1_3gpuE13ELNS1_3repE0EEENS1_52radix_sort_onesweep_histogram_config_static_selectorELNS0_4arch9wavefront6targetE0EEEvSF_.uses_flat_scratch, 0
	.set _ZN7rocprim17ROCPRIM_400000_NS6detail17trampoline_kernelINS0_14default_configENS1_35radix_sort_onesweep_config_selectorIiNS0_10empty_typeEEEZNS1_34radix_sort_onesweep_global_offsetsIS3_Lb0EN6thrust23THRUST_200600_302600_NS10device_ptrIiEEPS5_jNS0_19identity_decomposerEEE10hipError_tT1_T2_PT3_SH_jT4_jjP12ihipStream_tbEUlT_E0_NS1_11comp_targetILNS1_3genE6ELNS1_11target_archE950ELNS1_3gpuE13ELNS1_3repE0EEENS1_52radix_sort_onesweep_histogram_config_static_selectorELNS0_4arch9wavefront6targetE0EEEvSF_.has_dyn_sized_stack, 0
	.set _ZN7rocprim17ROCPRIM_400000_NS6detail17trampoline_kernelINS0_14default_configENS1_35radix_sort_onesweep_config_selectorIiNS0_10empty_typeEEEZNS1_34radix_sort_onesweep_global_offsetsIS3_Lb0EN6thrust23THRUST_200600_302600_NS10device_ptrIiEEPS5_jNS0_19identity_decomposerEEE10hipError_tT1_T2_PT3_SH_jT4_jjP12ihipStream_tbEUlT_E0_NS1_11comp_targetILNS1_3genE6ELNS1_11target_archE950ELNS1_3gpuE13ELNS1_3repE0EEENS1_52radix_sort_onesweep_histogram_config_static_selectorELNS0_4arch9wavefront6targetE0EEEvSF_.has_recursion, 0
	.set _ZN7rocprim17ROCPRIM_400000_NS6detail17trampoline_kernelINS0_14default_configENS1_35radix_sort_onesweep_config_selectorIiNS0_10empty_typeEEEZNS1_34radix_sort_onesweep_global_offsetsIS3_Lb0EN6thrust23THRUST_200600_302600_NS10device_ptrIiEEPS5_jNS0_19identity_decomposerEEE10hipError_tT1_T2_PT3_SH_jT4_jjP12ihipStream_tbEUlT_E0_NS1_11comp_targetILNS1_3genE6ELNS1_11target_archE950ELNS1_3gpuE13ELNS1_3repE0EEENS1_52radix_sort_onesweep_histogram_config_static_selectorELNS0_4arch9wavefront6targetE0EEEvSF_.has_indirect_call, 0
	.section	.AMDGPU.csdata,"",@progbits
; Kernel info:
; codeLenInByte = 0
; TotalNumSgprs: 0
; NumVgprs: 0
; ScratchSize: 0
; MemoryBound: 0
; FloatMode: 240
; IeeeMode: 1
; LDSByteSize: 0 bytes/workgroup (compile time only)
; SGPRBlocks: 0
; VGPRBlocks: 0
; NumSGPRsForWavesPerEU: 1
; NumVGPRsForWavesPerEU: 1
; Occupancy: 16
; WaveLimiterHint : 0
; COMPUTE_PGM_RSRC2:SCRATCH_EN: 0
; COMPUTE_PGM_RSRC2:USER_SGPR: 6
; COMPUTE_PGM_RSRC2:TRAP_HANDLER: 0
; COMPUTE_PGM_RSRC2:TGID_X_EN: 1
; COMPUTE_PGM_RSRC2:TGID_Y_EN: 0
; COMPUTE_PGM_RSRC2:TGID_Z_EN: 0
; COMPUTE_PGM_RSRC2:TIDIG_COMP_CNT: 0
	.section	.text._ZN7rocprim17ROCPRIM_400000_NS6detail17trampoline_kernelINS0_14default_configENS1_35radix_sort_onesweep_config_selectorIiNS0_10empty_typeEEEZNS1_34radix_sort_onesweep_global_offsetsIS3_Lb0EN6thrust23THRUST_200600_302600_NS10device_ptrIiEEPS5_jNS0_19identity_decomposerEEE10hipError_tT1_T2_PT3_SH_jT4_jjP12ihipStream_tbEUlT_E0_NS1_11comp_targetILNS1_3genE5ELNS1_11target_archE942ELNS1_3gpuE9ELNS1_3repE0EEENS1_52radix_sort_onesweep_histogram_config_static_selectorELNS0_4arch9wavefront6targetE0EEEvSF_,"axG",@progbits,_ZN7rocprim17ROCPRIM_400000_NS6detail17trampoline_kernelINS0_14default_configENS1_35radix_sort_onesweep_config_selectorIiNS0_10empty_typeEEEZNS1_34radix_sort_onesweep_global_offsetsIS3_Lb0EN6thrust23THRUST_200600_302600_NS10device_ptrIiEEPS5_jNS0_19identity_decomposerEEE10hipError_tT1_T2_PT3_SH_jT4_jjP12ihipStream_tbEUlT_E0_NS1_11comp_targetILNS1_3genE5ELNS1_11target_archE942ELNS1_3gpuE9ELNS1_3repE0EEENS1_52radix_sort_onesweep_histogram_config_static_selectorELNS0_4arch9wavefront6targetE0EEEvSF_,comdat
	.protected	_ZN7rocprim17ROCPRIM_400000_NS6detail17trampoline_kernelINS0_14default_configENS1_35radix_sort_onesweep_config_selectorIiNS0_10empty_typeEEEZNS1_34radix_sort_onesweep_global_offsetsIS3_Lb0EN6thrust23THRUST_200600_302600_NS10device_ptrIiEEPS5_jNS0_19identity_decomposerEEE10hipError_tT1_T2_PT3_SH_jT4_jjP12ihipStream_tbEUlT_E0_NS1_11comp_targetILNS1_3genE5ELNS1_11target_archE942ELNS1_3gpuE9ELNS1_3repE0EEENS1_52radix_sort_onesweep_histogram_config_static_selectorELNS0_4arch9wavefront6targetE0EEEvSF_ ; -- Begin function _ZN7rocprim17ROCPRIM_400000_NS6detail17trampoline_kernelINS0_14default_configENS1_35radix_sort_onesweep_config_selectorIiNS0_10empty_typeEEEZNS1_34radix_sort_onesweep_global_offsetsIS3_Lb0EN6thrust23THRUST_200600_302600_NS10device_ptrIiEEPS5_jNS0_19identity_decomposerEEE10hipError_tT1_T2_PT3_SH_jT4_jjP12ihipStream_tbEUlT_E0_NS1_11comp_targetILNS1_3genE5ELNS1_11target_archE942ELNS1_3gpuE9ELNS1_3repE0EEENS1_52radix_sort_onesweep_histogram_config_static_selectorELNS0_4arch9wavefront6targetE0EEEvSF_
	.globl	_ZN7rocprim17ROCPRIM_400000_NS6detail17trampoline_kernelINS0_14default_configENS1_35radix_sort_onesweep_config_selectorIiNS0_10empty_typeEEEZNS1_34radix_sort_onesweep_global_offsetsIS3_Lb0EN6thrust23THRUST_200600_302600_NS10device_ptrIiEEPS5_jNS0_19identity_decomposerEEE10hipError_tT1_T2_PT3_SH_jT4_jjP12ihipStream_tbEUlT_E0_NS1_11comp_targetILNS1_3genE5ELNS1_11target_archE942ELNS1_3gpuE9ELNS1_3repE0EEENS1_52radix_sort_onesweep_histogram_config_static_selectorELNS0_4arch9wavefront6targetE0EEEvSF_
	.p2align	8
	.type	_ZN7rocprim17ROCPRIM_400000_NS6detail17trampoline_kernelINS0_14default_configENS1_35radix_sort_onesweep_config_selectorIiNS0_10empty_typeEEEZNS1_34radix_sort_onesweep_global_offsetsIS3_Lb0EN6thrust23THRUST_200600_302600_NS10device_ptrIiEEPS5_jNS0_19identity_decomposerEEE10hipError_tT1_T2_PT3_SH_jT4_jjP12ihipStream_tbEUlT_E0_NS1_11comp_targetILNS1_3genE5ELNS1_11target_archE942ELNS1_3gpuE9ELNS1_3repE0EEENS1_52radix_sort_onesweep_histogram_config_static_selectorELNS0_4arch9wavefront6targetE0EEEvSF_,@function
_ZN7rocprim17ROCPRIM_400000_NS6detail17trampoline_kernelINS0_14default_configENS1_35radix_sort_onesweep_config_selectorIiNS0_10empty_typeEEEZNS1_34radix_sort_onesweep_global_offsetsIS3_Lb0EN6thrust23THRUST_200600_302600_NS10device_ptrIiEEPS5_jNS0_19identity_decomposerEEE10hipError_tT1_T2_PT3_SH_jT4_jjP12ihipStream_tbEUlT_E0_NS1_11comp_targetILNS1_3genE5ELNS1_11target_archE942ELNS1_3gpuE9ELNS1_3repE0EEENS1_52radix_sort_onesweep_histogram_config_static_selectorELNS0_4arch9wavefront6targetE0EEEvSF_: ; @_ZN7rocprim17ROCPRIM_400000_NS6detail17trampoline_kernelINS0_14default_configENS1_35radix_sort_onesweep_config_selectorIiNS0_10empty_typeEEEZNS1_34radix_sort_onesweep_global_offsetsIS3_Lb0EN6thrust23THRUST_200600_302600_NS10device_ptrIiEEPS5_jNS0_19identity_decomposerEEE10hipError_tT1_T2_PT3_SH_jT4_jjP12ihipStream_tbEUlT_E0_NS1_11comp_targetILNS1_3genE5ELNS1_11target_archE942ELNS1_3gpuE9ELNS1_3repE0EEENS1_52radix_sort_onesweep_histogram_config_static_selectorELNS0_4arch9wavefront6targetE0EEEvSF_
; %bb.0:
	.section	.rodata,"a",@progbits
	.p2align	6, 0x0
	.amdhsa_kernel _ZN7rocprim17ROCPRIM_400000_NS6detail17trampoline_kernelINS0_14default_configENS1_35radix_sort_onesweep_config_selectorIiNS0_10empty_typeEEEZNS1_34radix_sort_onesweep_global_offsetsIS3_Lb0EN6thrust23THRUST_200600_302600_NS10device_ptrIiEEPS5_jNS0_19identity_decomposerEEE10hipError_tT1_T2_PT3_SH_jT4_jjP12ihipStream_tbEUlT_E0_NS1_11comp_targetILNS1_3genE5ELNS1_11target_archE942ELNS1_3gpuE9ELNS1_3repE0EEENS1_52radix_sort_onesweep_histogram_config_static_selectorELNS0_4arch9wavefront6targetE0EEEvSF_
		.amdhsa_group_segment_fixed_size 0
		.amdhsa_private_segment_fixed_size 0
		.amdhsa_kernarg_size 8
		.amdhsa_user_sgpr_count 6
		.amdhsa_user_sgpr_private_segment_buffer 1
		.amdhsa_user_sgpr_dispatch_ptr 0
		.amdhsa_user_sgpr_queue_ptr 0
		.amdhsa_user_sgpr_kernarg_segment_ptr 1
		.amdhsa_user_sgpr_dispatch_id 0
		.amdhsa_user_sgpr_flat_scratch_init 0
		.amdhsa_user_sgpr_private_segment_size 0
		.amdhsa_wavefront_size32 1
		.amdhsa_uses_dynamic_stack 0
		.amdhsa_system_sgpr_private_segment_wavefront_offset 0
		.amdhsa_system_sgpr_workgroup_id_x 1
		.amdhsa_system_sgpr_workgroup_id_y 0
		.amdhsa_system_sgpr_workgroup_id_z 0
		.amdhsa_system_sgpr_workgroup_info 0
		.amdhsa_system_vgpr_workitem_id 0
		.amdhsa_next_free_vgpr 1
		.amdhsa_next_free_sgpr 1
		.amdhsa_reserve_vcc 0
		.amdhsa_reserve_flat_scratch 0
		.amdhsa_float_round_mode_32 0
		.amdhsa_float_round_mode_16_64 0
		.amdhsa_float_denorm_mode_32 3
		.amdhsa_float_denorm_mode_16_64 3
		.amdhsa_dx10_clamp 1
		.amdhsa_ieee_mode 1
		.amdhsa_fp16_overflow 0
		.amdhsa_workgroup_processor_mode 1
		.amdhsa_memory_ordered 1
		.amdhsa_forward_progress 1
		.amdhsa_shared_vgpr_count 0
		.amdhsa_exception_fp_ieee_invalid_op 0
		.amdhsa_exception_fp_denorm_src 0
		.amdhsa_exception_fp_ieee_div_zero 0
		.amdhsa_exception_fp_ieee_overflow 0
		.amdhsa_exception_fp_ieee_underflow 0
		.amdhsa_exception_fp_ieee_inexact 0
		.amdhsa_exception_int_div_zero 0
	.end_amdhsa_kernel
	.section	.text._ZN7rocprim17ROCPRIM_400000_NS6detail17trampoline_kernelINS0_14default_configENS1_35radix_sort_onesweep_config_selectorIiNS0_10empty_typeEEEZNS1_34radix_sort_onesweep_global_offsetsIS3_Lb0EN6thrust23THRUST_200600_302600_NS10device_ptrIiEEPS5_jNS0_19identity_decomposerEEE10hipError_tT1_T2_PT3_SH_jT4_jjP12ihipStream_tbEUlT_E0_NS1_11comp_targetILNS1_3genE5ELNS1_11target_archE942ELNS1_3gpuE9ELNS1_3repE0EEENS1_52radix_sort_onesweep_histogram_config_static_selectorELNS0_4arch9wavefront6targetE0EEEvSF_,"axG",@progbits,_ZN7rocprim17ROCPRIM_400000_NS6detail17trampoline_kernelINS0_14default_configENS1_35radix_sort_onesweep_config_selectorIiNS0_10empty_typeEEEZNS1_34radix_sort_onesweep_global_offsetsIS3_Lb0EN6thrust23THRUST_200600_302600_NS10device_ptrIiEEPS5_jNS0_19identity_decomposerEEE10hipError_tT1_T2_PT3_SH_jT4_jjP12ihipStream_tbEUlT_E0_NS1_11comp_targetILNS1_3genE5ELNS1_11target_archE942ELNS1_3gpuE9ELNS1_3repE0EEENS1_52radix_sort_onesweep_histogram_config_static_selectorELNS0_4arch9wavefront6targetE0EEEvSF_,comdat
.Lfunc_end1228:
	.size	_ZN7rocprim17ROCPRIM_400000_NS6detail17trampoline_kernelINS0_14default_configENS1_35radix_sort_onesweep_config_selectorIiNS0_10empty_typeEEEZNS1_34radix_sort_onesweep_global_offsetsIS3_Lb0EN6thrust23THRUST_200600_302600_NS10device_ptrIiEEPS5_jNS0_19identity_decomposerEEE10hipError_tT1_T2_PT3_SH_jT4_jjP12ihipStream_tbEUlT_E0_NS1_11comp_targetILNS1_3genE5ELNS1_11target_archE942ELNS1_3gpuE9ELNS1_3repE0EEENS1_52radix_sort_onesweep_histogram_config_static_selectorELNS0_4arch9wavefront6targetE0EEEvSF_, .Lfunc_end1228-_ZN7rocprim17ROCPRIM_400000_NS6detail17trampoline_kernelINS0_14default_configENS1_35radix_sort_onesweep_config_selectorIiNS0_10empty_typeEEEZNS1_34radix_sort_onesweep_global_offsetsIS3_Lb0EN6thrust23THRUST_200600_302600_NS10device_ptrIiEEPS5_jNS0_19identity_decomposerEEE10hipError_tT1_T2_PT3_SH_jT4_jjP12ihipStream_tbEUlT_E0_NS1_11comp_targetILNS1_3genE5ELNS1_11target_archE942ELNS1_3gpuE9ELNS1_3repE0EEENS1_52radix_sort_onesweep_histogram_config_static_selectorELNS0_4arch9wavefront6targetE0EEEvSF_
                                        ; -- End function
	.set _ZN7rocprim17ROCPRIM_400000_NS6detail17trampoline_kernelINS0_14default_configENS1_35radix_sort_onesweep_config_selectorIiNS0_10empty_typeEEEZNS1_34radix_sort_onesweep_global_offsetsIS3_Lb0EN6thrust23THRUST_200600_302600_NS10device_ptrIiEEPS5_jNS0_19identity_decomposerEEE10hipError_tT1_T2_PT3_SH_jT4_jjP12ihipStream_tbEUlT_E0_NS1_11comp_targetILNS1_3genE5ELNS1_11target_archE942ELNS1_3gpuE9ELNS1_3repE0EEENS1_52radix_sort_onesweep_histogram_config_static_selectorELNS0_4arch9wavefront6targetE0EEEvSF_.num_vgpr, 0
	.set _ZN7rocprim17ROCPRIM_400000_NS6detail17trampoline_kernelINS0_14default_configENS1_35radix_sort_onesweep_config_selectorIiNS0_10empty_typeEEEZNS1_34radix_sort_onesweep_global_offsetsIS3_Lb0EN6thrust23THRUST_200600_302600_NS10device_ptrIiEEPS5_jNS0_19identity_decomposerEEE10hipError_tT1_T2_PT3_SH_jT4_jjP12ihipStream_tbEUlT_E0_NS1_11comp_targetILNS1_3genE5ELNS1_11target_archE942ELNS1_3gpuE9ELNS1_3repE0EEENS1_52radix_sort_onesweep_histogram_config_static_selectorELNS0_4arch9wavefront6targetE0EEEvSF_.num_agpr, 0
	.set _ZN7rocprim17ROCPRIM_400000_NS6detail17trampoline_kernelINS0_14default_configENS1_35radix_sort_onesweep_config_selectorIiNS0_10empty_typeEEEZNS1_34radix_sort_onesweep_global_offsetsIS3_Lb0EN6thrust23THRUST_200600_302600_NS10device_ptrIiEEPS5_jNS0_19identity_decomposerEEE10hipError_tT1_T2_PT3_SH_jT4_jjP12ihipStream_tbEUlT_E0_NS1_11comp_targetILNS1_3genE5ELNS1_11target_archE942ELNS1_3gpuE9ELNS1_3repE0EEENS1_52radix_sort_onesweep_histogram_config_static_selectorELNS0_4arch9wavefront6targetE0EEEvSF_.numbered_sgpr, 0
	.set _ZN7rocprim17ROCPRIM_400000_NS6detail17trampoline_kernelINS0_14default_configENS1_35radix_sort_onesweep_config_selectorIiNS0_10empty_typeEEEZNS1_34radix_sort_onesweep_global_offsetsIS3_Lb0EN6thrust23THRUST_200600_302600_NS10device_ptrIiEEPS5_jNS0_19identity_decomposerEEE10hipError_tT1_T2_PT3_SH_jT4_jjP12ihipStream_tbEUlT_E0_NS1_11comp_targetILNS1_3genE5ELNS1_11target_archE942ELNS1_3gpuE9ELNS1_3repE0EEENS1_52radix_sort_onesweep_histogram_config_static_selectorELNS0_4arch9wavefront6targetE0EEEvSF_.num_named_barrier, 0
	.set _ZN7rocprim17ROCPRIM_400000_NS6detail17trampoline_kernelINS0_14default_configENS1_35radix_sort_onesweep_config_selectorIiNS0_10empty_typeEEEZNS1_34radix_sort_onesweep_global_offsetsIS3_Lb0EN6thrust23THRUST_200600_302600_NS10device_ptrIiEEPS5_jNS0_19identity_decomposerEEE10hipError_tT1_T2_PT3_SH_jT4_jjP12ihipStream_tbEUlT_E0_NS1_11comp_targetILNS1_3genE5ELNS1_11target_archE942ELNS1_3gpuE9ELNS1_3repE0EEENS1_52radix_sort_onesweep_histogram_config_static_selectorELNS0_4arch9wavefront6targetE0EEEvSF_.private_seg_size, 0
	.set _ZN7rocprim17ROCPRIM_400000_NS6detail17trampoline_kernelINS0_14default_configENS1_35radix_sort_onesweep_config_selectorIiNS0_10empty_typeEEEZNS1_34radix_sort_onesweep_global_offsetsIS3_Lb0EN6thrust23THRUST_200600_302600_NS10device_ptrIiEEPS5_jNS0_19identity_decomposerEEE10hipError_tT1_T2_PT3_SH_jT4_jjP12ihipStream_tbEUlT_E0_NS1_11comp_targetILNS1_3genE5ELNS1_11target_archE942ELNS1_3gpuE9ELNS1_3repE0EEENS1_52radix_sort_onesweep_histogram_config_static_selectorELNS0_4arch9wavefront6targetE0EEEvSF_.uses_vcc, 0
	.set _ZN7rocprim17ROCPRIM_400000_NS6detail17trampoline_kernelINS0_14default_configENS1_35radix_sort_onesweep_config_selectorIiNS0_10empty_typeEEEZNS1_34radix_sort_onesweep_global_offsetsIS3_Lb0EN6thrust23THRUST_200600_302600_NS10device_ptrIiEEPS5_jNS0_19identity_decomposerEEE10hipError_tT1_T2_PT3_SH_jT4_jjP12ihipStream_tbEUlT_E0_NS1_11comp_targetILNS1_3genE5ELNS1_11target_archE942ELNS1_3gpuE9ELNS1_3repE0EEENS1_52radix_sort_onesweep_histogram_config_static_selectorELNS0_4arch9wavefront6targetE0EEEvSF_.uses_flat_scratch, 0
	.set _ZN7rocprim17ROCPRIM_400000_NS6detail17trampoline_kernelINS0_14default_configENS1_35radix_sort_onesweep_config_selectorIiNS0_10empty_typeEEEZNS1_34radix_sort_onesweep_global_offsetsIS3_Lb0EN6thrust23THRUST_200600_302600_NS10device_ptrIiEEPS5_jNS0_19identity_decomposerEEE10hipError_tT1_T2_PT3_SH_jT4_jjP12ihipStream_tbEUlT_E0_NS1_11comp_targetILNS1_3genE5ELNS1_11target_archE942ELNS1_3gpuE9ELNS1_3repE0EEENS1_52radix_sort_onesweep_histogram_config_static_selectorELNS0_4arch9wavefront6targetE0EEEvSF_.has_dyn_sized_stack, 0
	.set _ZN7rocprim17ROCPRIM_400000_NS6detail17trampoline_kernelINS0_14default_configENS1_35radix_sort_onesweep_config_selectorIiNS0_10empty_typeEEEZNS1_34radix_sort_onesweep_global_offsetsIS3_Lb0EN6thrust23THRUST_200600_302600_NS10device_ptrIiEEPS5_jNS0_19identity_decomposerEEE10hipError_tT1_T2_PT3_SH_jT4_jjP12ihipStream_tbEUlT_E0_NS1_11comp_targetILNS1_3genE5ELNS1_11target_archE942ELNS1_3gpuE9ELNS1_3repE0EEENS1_52radix_sort_onesweep_histogram_config_static_selectorELNS0_4arch9wavefront6targetE0EEEvSF_.has_recursion, 0
	.set _ZN7rocprim17ROCPRIM_400000_NS6detail17trampoline_kernelINS0_14default_configENS1_35radix_sort_onesweep_config_selectorIiNS0_10empty_typeEEEZNS1_34radix_sort_onesweep_global_offsetsIS3_Lb0EN6thrust23THRUST_200600_302600_NS10device_ptrIiEEPS5_jNS0_19identity_decomposerEEE10hipError_tT1_T2_PT3_SH_jT4_jjP12ihipStream_tbEUlT_E0_NS1_11comp_targetILNS1_3genE5ELNS1_11target_archE942ELNS1_3gpuE9ELNS1_3repE0EEENS1_52radix_sort_onesweep_histogram_config_static_selectorELNS0_4arch9wavefront6targetE0EEEvSF_.has_indirect_call, 0
	.section	.AMDGPU.csdata,"",@progbits
; Kernel info:
; codeLenInByte = 0
; TotalNumSgprs: 0
; NumVgprs: 0
; ScratchSize: 0
; MemoryBound: 0
; FloatMode: 240
; IeeeMode: 1
; LDSByteSize: 0 bytes/workgroup (compile time only)
; SGPRBlocks: 0
; VGPRBlocks: 0
; NumSGPRsForWavesPerEU: 1
; NumVGPRsForWavesPerEU: 1
; Occupancy: 16
; WaveLimiterHint : 0
; COMPUTE_PGM_RSRC2:SCRATCH_EN: 0
; COMPUTE_PGM_RSRC2:USER_SGPR: 6
; COMPUTE_PGM_RSRC2:TRAP_HANDLER: 0
; COMPUTE_PGM_RSRC2:TGID_X_EN: 1
; COMPUTE_PGM_RSRC2:TGID_Y_EN: 0
; COMPUTE_PGM_RSRC2:TGID_Z_EN: 0
; COMPUTE_PGM_RSRC2:TIDIG_COMP_CNT: 0
	.section	.text._ZN7rocprim17ROCPRIM_400000_NS6detail17trampoline_kernelINS0_14default_configENS1_35radix_sort_onesweep_config_selectorIiNS0_10empty_typeEEEZNS1_34radix_sort_onesweep_global_offsetsIS3_Lb0EN6thrust23THRUST_200600_302600_NS10device_ptrIiEEPS5_jNS0_19identity_decomposerEEE10hipError_tT1_T2_PT3_SH_jT4_jjP12ihipStream_tbEUlT_E0_NS1_11comp_targetILNS1_3genE2ELNS1_11target_archE906ELNS1_3gpuE6ELNS1_3repE0EEENS1_52radix_sort_onesweep_histogram_config_static_selectorELNS0_4arch9wavefront6targetE0EEEvSF_,"axG",@progbits,_ZN7rocprim17ROCPRIM_400000_NS6detail17trampoline_kernelINS0_14default_configENS1_35radix_sort_onesweep_config_selectorIiNS0_10empty_typeEEEZNS1_34radix_sort_onesweep_global_offsetsIS3_Lb0EN6thrust23THRUST_200600_302600_NS10device_ptrIiEEPS5_jNS0_19identity_decomposerEEE10hipError_tT1_T2_PT3_SH_jT4_jjP12ihipStream_tbEUlT_E0_NS1_11comp_targetILNS1_3genE2ELNS1_11target_archE906ELNS1_3gpuE6ELNS1_3repE0EEENS1_52radix_sort_onesweep_histogram_config_static_selectorELNS0_4arch9wavefront6targetE0EEEvSF_,comdat
	.protected	_ZN7rocprim17ROCPRIM_400000_NS6detail17trampoline_kernelINS0_14default_configENS1_35radix_sort_onesweep_config_selectorIiNS0_10empty_typeEEEZNS1_34radix_sort_onesweep_global_offsetsIS3_Lb0EN6thrust23THRUST_200600_302600_NS10device_ptrIiEEPS5_jNS0_19identity_decomposerEEE10hipError_tT1_T2_PT3_SH_jT4_jjP12ihipStream_tbEUlT_E0_NS1_11comp_targetILNS1_3genE2ELNS1_11target_archE906ELNS1_3gpuE6ELNS1_3repE0EEENS1_52radix_sort_onesweep_histogram_config_static_selectorELNS0_4arch9wavefront6targetE0EEEvSF_ ; -- Begin function _ZN7rocprim17ROCPRIM_400000_NS6detail17trampoline_kernelINS0_14default_configENS1_35radix_sort_onesweep_config_selectorIiNS0_10empty_typeEEEZNS1_34radix_sort_onesweep_global_offsetsIS3_Lb0EN6thrust23THRUST_200600_302600_NS10device_ptrIiEEPS5_jNS0_19identity_decomposerEEE10hipError_tT1_T2_PT3_SH_jT4_jjP12ihipStream_tbEUlT_E0_NS1_11comp_targetILNS1_3genE2ELNS1_11target_archE906ELNS1_3gpuE6ELNS1_3repE0EEENS1_52radix_sort_onesweep_histogram_config_static_selectorELNS0_4arch9wavefront6targetE0EEEvSF_
	.globl	_ZN7rocprim17ROCPRIM_400000_NS6detail17trampoline_kernelINS0_14default_configENS1_35radix_sort_onesweep_config_selectorIiNS0_10empty_typeEEEZNS1_34radix_sort_onesweep_global_offsetsIS3_Lb0EN6thrust23THRUST_200600_302600_NS10device_ptrIiEEPS5_jNS0_19identity_decomposerEEE10hipError_tT1_T2_PT3_SH_jT4_jjP12ihipStream_tbEUlT_E0_NS1_11comp_targetILNS1_3genE2ELNS1_11target_archE906ELNS1_3gpuE6ELNS1_3repE0EEENS1_52radix_sort_onesweep_histogram_config_static_selectorELNS0_4arch9wavefront6targetE0EEEvSF_
	.p2align	8
	.type	_ZN7rocprim17ROCPRIM_400000_NS6detail17trampoline_kernelINS0_14default_configENS1_35radix_sort_onesweep_config_selectorIiNS0_10empty_typeEEEZNS1_34radix_sort_onesweep_global_offsetsIS3_Lb0EN6thrust23THRUST_200600_302600_NS10device_ptrIiEEPS5_jNS0_19identity_decomposerEEE10hipError_tT1_T2_PT3_SH_jT4_jjP12ihipStream_tbEUlT_E0_NS1_11comp_targetILNS1_3genE2ELNS1_11target_archE906ELNS1_3gpuE6ELNS1_3repE0EEENS1_52radix_sort_onesweep_histogram_config_static_selectorELNS0_4arch9wavefront6targetE0EEEvSF_,@function
_ZN7rocprim17ROCPRIM_400000_NS6detail17trampoline_kernelINS0_14default_configENS1_35radix_sort_onesweep_config_selectorIiNS0_10empty_typeEEEZNS1_34radix_sort_onesweep_global_offsetsIS3_Lb0EN6thrust23THRUST_200600_302600_NS10device_ptrIiEEPS5_jNS0_19identity_decomposerEEE10hipError_tT1_T2_PT3_SH_jT4_jjP12ihipStream_tbEUlT_E0_NS1_11comp_targetILNS1_3genE2ELNS1_11target_archE906ELNS1_3gpuE6ELNS1_3repE0EEENS1_52radix_sort_onesweep_histogram_config_static_selectorELNS0_4arch9wavefront6targetE0EEEvSF_: ; @_ZN7rocprim17ROCPRIM_400000_NS6detail17trampoline_kernelINS0_14default_configENS1_35radix_sort_onesweep_config_selectorIiNS0_10empty_typeEEEZNS1_34radix_sort_onesweep_global_offsetsIS3_Lb0EN6thrust23THRUST_200600_302600_NS10device_ptrIiEEPS5_jNS0_19identity_decomposerEEE10hipError_tT1_T2_PT3_SH_jT4_jjP12ihipStream_tbEUlT_E0_NS1_11comp_targetILNS1_3genE2ELNS1_11target_archE906ELNS1_3gpuE6ELNS1_3repE0EEENS1_52radix_sort_onesweep_histogram_config_static_selectorELNS0_4arch9wavefront6targetE0EEEvSF_
; %bb.0:
	.section	.rodata,"a",@progbits
	.p2align	6, 0x0
	.amdhsa_kernel _ZN7rocprim17ROCPRIM_400000_NS6detail17trampoline_kernelINS0_14default_configENS1_35radix_sort_onesweep_config_selectorIiNS0_10empty_typeEEEZNS1_34radix_sort_onesweep_global_offsetsIS3_Lb0EN6thrust23THRUST_200600_302600_NS10device_ptrIiEEPS5_jNS0_19identity_decomposerEEE10hipError_tT1_T2_PT3_SH_jT4_jjP12ihipStream_tbEUlT_E0_NS1_11comp_targetILNS1_3genE2ELNS1_11target_archE906ELNS1_3gpuE6ELNS1_3repE0EEENS1_52radix_sort_onesweep_histogram_config_static_selectorELNS0_4arch9wavefront6targetE0EEEvSF_
		.amdhsa_group_segment_fixed_size 0
		.amdhsa_private_segment_fixed_size 0
		.amdhsa_kernarg_size 8
		.amdhsa_user_sgpr_count 6
		.amdhsa_user_sgpr_private_segment_buffer 1
		.amdhsa_user_sgpr_dispatch_ptr 0
		.amdhsa_user_sgpr_queue_ptr 0
		.amdhsa_user_sgpr_kernarg_segment_ptr 1
		.amdhsa_user_sgpr_dispatch_id 0
		.amdhsa_user_sgpr_flat_scratch_init 0
		.amdhsa_user_sgpr_private_segment_size 0
		.amdhsa_wavefront_size32 1
		.amdhsa_uses_dynamic_stack 0
		.amdhsa_system_sgpr_private_segment_wavefront_offset 0
		.amdhsa_system_sgpr_workgroup_id_x 1
		.amdhsa_system_sgpr_workgroup_id_y 0
		.amdhsa_system_sgpr_workgroup_id_z 0
		.amdhsa_system_sgpr_workgroup_info 0
		.amdhsa_system_vgpr_workitem_id 0
		.amdhsa_next_free_vgpr 1
		.amdhsa_next_free_sgpr 1
		.amdhsa_reserve_vcc 0
		.amdhsa_reserve_flat_scratch 0
		.amdhsa_float_round_mode_32 0
		.amdhsa_float_round_mode_16_64 0
		.amdhsa_float_denorm_mode_32 3
		.amdhsa_float_denorm_mode_16_64 3
		.amdhsa_dx10_clamp 1
		.amdhsa_ieee_mode 1
		.amdhsa_fp16_overflow 0
		.amdhsa_workgroup_processor_mode 1
		.amdhsa_memory_ordered 1
		.amdhsa_forward_progress 1
		.amdhsa_shared_vgpr_count 0
		.amdhsa_exception_fp_ieee_invalid_op 0
		.amdhsa_exception_fp_denorm_src 0
		.amdhsa_exception_fp_ieee_div_zero 0
		.amdhsa_exception_fp_ieee_overflow 0
		.amdhsa_exception_fp_ieee_underflow 0
		.amdhsa_exception_fp_ieee_inexact 0
		.amdhsa_exception_int_div_zero 0
	.end_amdhsa_kernel
	.section	.text._ZN7rocprim17ROCPRIM_400000_NS6detail17trampoline_kernelINS0_14default_configENS1_35radix_sort_onesweep_config_selectorIiNS0_10empty_typeEEEZNS1_34radix_sort_onesweep_global_offsetsIS3_Lb0EN6thrust23THRUST_200600_302600_NS10device_ptrIiEEPS5_jNS0_19identity_decomposerEEE10hipError_tT1_T2_PT3_SH_jT4_jjP12ihipStream_tbEUlT_E0_NS1_11comp_targetILNS1_3genE2ELNS1_11target_archE906ELNS1_3gpuE6ELNS1_3repE0EEENS1_52radix_sort_onesweep_histogram_config_static_selectorELNS0_4arch9wavefront6targetE0EEEvSF_,"axG",@progbits,_ZN7rocprim17ROCPRIM_400000_NS6detail17trampoline_kernelINS0_14default_configENS1_35radix_sort_onesweep_config_selectorIiNS0_10empty_typeEEEZNS1_34radix_sort_onesweep_global_offsetsIS3_Lb0EN6thrust23THRUST_200600_302600_NS10device_ptrIiEEPS5_jNS0_19identity_decomposerEEE10hipError_tT1_T2_PT3_SH_jT4_jjP12ihipStream_tbEUlT_E0_NS1_11comp_targetILNS1_3genE2ELNS1_11target_archE906ELNS1_3gpuE6ELNS1_3repE0EEENS1_52radix_sort_onesweep_histogram_config_static_selectorELNS0_4arch9wavefront6targetE0EEEvSF_,comdat
.Lfunc_end1229:
	.size	_ZN7rocprim17ROCPRIM_400000_NS6detail17trampoline_kernelINS0_14default_configENS1_35radix_sort_onesweep_config_selectorIiNS0_10empty_typeEEEZNS1_34radix_sort_onesweep_global_offsetsIS3_Lb0EN6thrust23THRUST_200600_302600_NS10device_ptrIiEEPS5_jNS0_19identity_decomposerEEE10hipError_tT1_T2_PT3_SH_jT4_jjP12ihipStream_tbEUlT_E0_NS1_11comp_targetILNS1_3genE2ELNS1_11target_archE906ELNS1_3gpuE6ELNS1_3repE0EEENS1_52radix_sort_onesweep_histogram_config_static_selectorELNS0_4arch9wavefront6targetE0EEEvSF_, .Lfunc_end1229-_ZN7rocprim17ROCPRIM_400000_NS6detail17trampoline_kernelINS0_14default_configENS1_35radix_sort_onesweep_config_selectorIiNS0_10empty_typeEEEZNS1_34radix_sort_onesweep_global_offsetsIS3_Lb0EN6thrust23THRUST_200600_302600_NS10device_ptrIiEEPS5_jNS0_19identity_decomposerEEE10hipError_tT1_T2_PT3_SH_jT4_jjP12ihipStream_tbEUlT_E0_NS1_11comp_targetILNS1_3genE2ELNS1_11target_archE906ELNS1_3gpuE6ELNS1_3repE0EEENS1_52radix_sort_onesweep_histogram_config_static_selectorELNS0_4arch9wavefront6targetE0EEEvSF_
                                        ; -- End function
	.set _ZN7rocprim17ROCPRIM_400000_NS6detail17trampoline_kernelINS0_14default_configENS1_35radix_sort_onesweep_config_selectorIiNS0_10empty_typeEEEZNS1_34radix_sort_onesweep_global_offsetsIS3_Lb0EN6thrust23THRUST_200600_302600_NS10device_ptrIiEEPS5_jNS0_19identity_decomposerEEE10hipError_tT1_T2_PT3_SH_jT4_jjP12ihipStream_tbEUlT_E0_NS1_11comp_targetILNS1_3genE2ELNS1_11target_archE906ELNS1_3gpuE6ELNS1_3repE0EEENS1_52radix_sort_onesweep_histogram_config_static_selectorELNS0_4arch9wavefront6targetE0EEEvSF_.num_vgpr, 0
	.set _ZN7rocprim17ROCPRIM_400000_NS6detail17trampoline_kernelINS0_14default_configENS1_35radix_sort_onesweep_config_selectorIiNS0_10empty_typeEEEZNS1_34radix_sort_onesweep_global_offsetsIS3_Lb0EN6thrust23THRUST_200600_302600_NS10device_ptrIiEEPS5_jNS0_19identity_decomposerEEE10hipError_tT1_T2_PT3_SH_jT4_jjP12ihipStream_tbEUlT_E0_NS1_11comp_targetILNS1_3genE2ELNS1_11target_archE906ELNS1_3gpuE6ELNS1_3repE0EEENS1_52radix_sort_onesweep_histogram_config_static_selectorELNS0_4arch9wavefront6targetE0EEEvSF_.num_agpr, 0
	.set _ZN7rocprim17ROCPRIM_400000_NS6detail17trampoline_kernelINS0_14default_configENS1_35radix_sort_onesweep_config_selectorIiNS0_10empty_typeEEEZNS1_34radix_sort_onesweep_global_offsetsIS3_Lb0EN6thrust23THRUST_200600_302600_NS10device_ptrIiEEPS5_jNS0_19identity_decomposerEEE10hipError_tT1_T2_PT3_SH_jT4_jjP12ihipStream_tbEUlT_E0_NS1_11comp_targetILNS1_3genE2ELNS1_11target_archE906ELNS1_3gpuE6ELNS1_3repE0EEENS1_52radix_sort_onesweep_histogram_config_static_selectorELNS0_4arch9wavefront6targetE0EEEvSF_.numbered_sgpr, 0
	.set _ZN7rocprim17ROCPRIM_400000_NS6detail17trampoline_kernelINS0_14default_configENS1_35radix_sort_onesweep_config_selectorIiNS0_10empty_typeEEEZNS1_34radix_sort_onesweep_global_offsetsIS3_Lb0EN6thrust23THRUST_200600_302600_NS10device_ptrIiEEPS5_jNS0_19identity_decomposerEEE10hipError_tT1_T2_PT3_SH_jT4_jjP12ihipStream_tbEUlT_E0_NS1_11comp_targetILNS1_3genE2ELNS1_11target_archE906ELNS1_3gpuE6ELNS1_3repE0EEENS1_52radix_sort_onesweep_histogram_config_static_selectorELNS0_4arch9wavefront6targetE0EEEvSF_.num_named_barrier, 0
	.set _ZN7rocprim17ROCPRIM_400000_NS6detail17trampoline_kernelINS0_14default_configENS1_35radix_sort_onesweep_config_selectorIiNS0_10empty_typeEEEZNS1_34radix_sort_onesweep_global_offsetsIS3_Lb0EN6thrust23THRUST_200600_302600_NS10device_ptrIiEEPS5_jNS0_19identity_decomposerEEE10hipError_tT1_T2_PT3_SH_jT4_jjP12ihipStream_tbEUlT_E0_NS1_11comp_targetILNS1_3genE2ELNS1_11target_archE906ELNS1_3gpuE6ELNS1_3repE0EEENS1_52radix_sort_onesweep_histogram_config_static_selectorELNS0_4arch9wavefront6targetE0EEEvSF_.private_seg_size, 0
	.set _ZN7rocprim17ROCPRIM_400000_NS6detail17trampoline_kernelINS0_14default_configENS1_35radix_sort_onesweep_config_selectorIiNS0_10empty_typeEEEZNS1_34radix_sort_onesweep_global_offsetsIS3_Lb0EN6thrust23THRUST_200600_302600_NS10device_ptrIiEEPS5_jNS0_19identity_decomposerEEE10hipError_tT1_T2_PT3_SH_jT4_jjP12ihipStream_tbEUlT_E0_NS1_11comp_targetILNS1_3genE2ELNS1_11target_archE906ELNS1_3gpuE6ELNS1_3repE0EEENS1_52radix_sort_onesweep_histogram_config_static_selectorELNS0_4arch9wavefront6targetE0EEEvSF_.uses_vcc, 0
	.set _ZN7rocprim17ROCPRIM_400000_NS6detail17trampoline_kernelINS0_14default_configENS1_35radix_sort_onesweep_config_selectorIiNS0_10empty_typeEEEZNS1_34radix_sort_onesweep_global_offsetsIS3_Lb0EN6thrust23THRUST_200600_302600_NS10device_ptrIiEEPS5_jNS0_19identity_decomposerEEE10hipError_tT1_T2_PT3_SH_jT4_jjP12ihipStream_tbEUlT_E0_NS1_11comp_targetILNS1_3genE2ELNS1_11target_archE906ELNS1_3gpuE6ELNS1_3repE0EEENS1_52radix_sort_onesweep_histogram_config_static_selectorELNS0_4arch9wavefront6targetE0EEEvSF_.uses_flat_scratch, 0
	.set _ZN7rocprim17ROCPRIM_400000_NS6detail17trampoline_kernelINS0_14default_configENS1_35radix_sort_onesweep_config_selectorIiNS0_10empty_typeEEEZNS1_34radix_sort_onesweep_global_offsetsIS3_Lb0EN6thrust23THRUST_200600_302600_NS10device_ptrIiEEPS5_jNS0_19identity_decomposerEEE10hipError_tT1_T2_PT3_SH_jT4_jjP12ihipStream_tbEUlT_E0_NS1_11comp_targetILNS1_3genE2ELNS1_11target_archE906ELNS1_3gpuE6ELNS1_3repE0EEENS1_52radix_sort_onesweep_histogram_config_static_selectorELNS0_4arch9wavefront6targetE0EEEvSF_.has_dyn_sized_stack, 0
	.set _ZN7rocprim17ROCPRIM_400000_NS6detail17trampoline_kernelINS0_14default_configENS1_35radix_sort_onesweep_config_selectorIiNS0_10empty_typeEEEZNS1_34radix_sort_onesweep_global_offsetsIS3_Lb0EN6thrust23THRUST_200600_302600_NS10device_ptrIiEEPS5_jNS0_19identity_decomposerEEE10hipError_tT1_T2_PT3_SH_jT4_jjP12ihipStream_tbEUlT_E0_NS1_11comp_targetILNS1_3genE2ELNS1_11target_archE906ELNS1_3gpuE6ELNS1_3repE0EEENS1_52radix_sort_onesweep_histogram_config_static_selectorELNS0_4arch9wavefront6targetE0EEEvSF_.has_recursion, 0
	.set _ZN7rocprim17ROCPRIM_400000_NS6detail17trampoline_kernelINS0_14default_configENS1_35radix_sort_onesweep_config_selectorIiNS0_10empty_typeEEEZNS1_34radix_sort_onesweep_global_offsetsIS3_Lb0EN6thrust23THRUST_200600_302600_NS10device_ptrIiEEPS5_jNS0_19identity_decomposerEEE10hipError_tT1_T2_PT3_SH_jT4_jjP12ihipStream_tbEUlT_E0_NS1_11comp_targetILNS1_3genE2ELNS1_11target_archE906ELNS1_3gpuE6ELNS1_3repE0EEENS1_52radix_sort_onesweep_histogram_config_static_selectorELNS0_4arch9wavefront6targetE0EEEvSF_.has_indirect_call, 0
	.section	.AMDGPU.csdata,"",@progbits
; Kernel info:
; codeLenInByte = 0
; TotalNumSgprs: 0
; NumVgprs: 0
; ScratchSize: 0
; MemoryBound: 0
; FloatMode: 240
; IeeeMode: 1
; LDSByteSize: 0 bytes/workgroup (compile time only)
; SGPRBlocks: 0
; VGPRBlocks: 0
; NumSGPRsForWavesPerEU: 1
; NumVGPRsForWavesPerEU: 1
; Occupancy: 16
; WaveLimiterHint : 0
; COMPUTE_PGM_RSRC2:SCRATCH_EN: 0
; COMPUTE_PGM_RSRC2:USER_SGPR: 6
; COMPUTE_PGM_RSRC2:TRAP_HANDLER: 0
; COMPUTE_PGM_RSRC2:TGID_X_EN: 1
; COMPUTE_PGM_RSRC2:TGID_Y_EN: 0
; COMPUTE_PGM_RSRC2:TGID_Z_EN: 0
; COMPUTE_PGM_RSRC2:TIDIG_COMP_CNT: 0
	.section	.text._ZN7rocprim17ROCPRIM_400000_NS6detail17trampoline_kernelINS0_14default_configENS1_35radix_sort_onesweep_config_selectorIiNS0_10empty_typeEEEZNS1_34radix_sort_onesweep_global_offsetsIS3_Lb0EN6thrust23THRUST_200600_302600_NS10device_ptrIiEEPS5_jNS0_19identity_decomposerEEE10hipError_tT1_T2_PT3_SH_jT4_jjP12ihipStream_tbEUlT_E0_NS1_11comp_targetILNS1_3genE4ELNS1_11target_archE910ELNS1_3gpuE8ELNS1_3repE0EEENS1_52radix_sort_onesweep_histogram_config_static_selectorELNS0_4arch9wavefront6targetE0EEEvSF_,"axG",@progbits,_ZN7rocprim17ROCPRIM_400000_NS6detail17trampoline_kernelINS0_14default_configENS1_35radix_sort_onesweep_config_selectorIiNS0_10empty_typeEEEZNS1_34radix_sort_onesweep_global_offsetsIS3_Lb0EN6thrust23THRUST_200600_302600_NS10device_ptrIiEEPS5_jNS0_19identity_decomposerEEE10hipError_tT1_T2_PT3_SH_jT4_jjP12ihipStream_tbEUlT_E0_NS1_11comp_targetILNS1_3genE4ELNS1_11target_archE910ELNS1_3gpuE8ELNS1_3repE0EEENS1_52radix_sort_onesweep_histogram_config_static_selectorELNS0_4arch9wavefront6targetE0EEEvSF_,comdat
	.protected	_ZN7rocprim17ROCPRIM_400000_NS6detail17trampoline_kernelINS0_14default_configENS1_35radix_sort_onesweep_config_selectorIiNS0_10empty_typeEEEZNS1_34radix_sort_onesweep_global_offsetsIS3_Lb0EN6thrust23THRUST_200600_302600_NS10device_ptrIiEEPS5_jNS0_19identity_decomposerEEE10hipError_tT1_T2_PT3_SH_jT4_jjP12ihipStream_tbEUlT_E0_NS1_11comp_targetILNS1_3genE4ELNS1_11target_archE910ELNS1_3gpuE8ELNS1_3repE0EEENS1_52radix_sort_onesweep_histogram_config_static_selectorELNS0_4arch9wavefront6targetE0EEEvSF_ ; -- Begin function _ZN7rocprim17ROCPRIM_400000_NS6detail17trampoline_kernelINS0_14default_configENS1_35radix_sort_onesweep_config_selectorIiNS0_10empty_typeEEEZNS1_34radix_sort_onesweep_global_offsetsIS3_Lb0EN6thrust23THRUST_200600_302600_NS10device_ptrIiEEPS5_jNS0_19identity_decomposerEEE10hipError_tT1_T2_PT3_SH_jT4_jjP12ihipStream_tbEUlT_E0_NS1_11comp_targetILNS1_3genE4ELNS1_11target_archE910ELNS1_3gpuE8ELNS1_3repE0EEENS1_52radix_sort_onesweep_histogram_config_static_selectorELNS0_4arch9wavefront6targetE0EEEvSF_
	.globl	_ZN7rocprim17ROCPRIM_400000_NS6detail17trampoline_kernelINS0_14default_configENS1_35radix_sort_onesweep_config_selectorIiNS0_10empty_typeEEEZNS1_34radix_sort_onesweep_global_offsetsIS3_Lb0EN6thrust23THRUST_200600_302600_NS10device_ptrIiEEPS5_jNS0_19identity_decomposerEEE10hipError_tT1_T2_PT3_SH_jT4_jjP12ihipStream_tbEUlT_E0_NS1_11comp_targetILNS1_3genE4ELNS1_11target_archE910ELNS1_3gpuE8ELNS1_3repE0EEENS1_52radix_sort_onesweep_histogram_config_static_selectorELNS0_4arch9wavefront6targetE0EEEvSF_
	.p2align	8
	.type	_ZN7rocprim17ROCPRIM_400000_NS6detail17trampoline_kernelINS0_14default_configENS1_35radix_sort_onesweep_config_selectorIiNS0_10empty_typeEEEZNS1_34radix_sort_onesweep_global_offsetsIS3_Lb0EN6thrust23THRUST_200600_302600_NS10device_ptrIiEEPS5_jNS0_19identity_decomposerEEE10hipError_tT1_T2_PT3_SH_jT4_jjP12ihipStream_tbEUlT_E0_NS1_11comp_targetILNS1_3genE4ELNS1_11target_archE910ELNS1_3gpuE8ELNS1_3repE0EEENS1_52radix_sort_onesweep_histogram_config_static_selectorELNS0_4arch9wavefront6targetE0EEEvSF_,@function
_ZN7rocprim17ROCPRIM_400000_NS6detail17trampoline_kernelINS0_14default_configENS1_35radix_sort_onesweep_config_selectorIiNS0_10empty_typeEEEZNS1_34radix_sort_onesweep_global_offsetsIS3_Lb0EN6thrust23THRUST_200600_302600_NS10device_ptrIiEEPS5_jNS0_19identity_decomposerEEE10hipError_tT1_T2_PT3_SH_jT4_jjP12ihipStream_tbEUlT_E0_NS1_11comp_targetILNS1_3genE4ELNS1_11target_archE910ELNS1_3gpuE8ELNS1_3repE0EEENS1_52radix_sort_onesweep_histogram_config_static_selectorELNS0_4arch9wavefront6targetE0EEEvSF_: ; @_ZN7rocprim17ROCPRIM_400000_NS6detail17trampoline_kernelINS0_14default_configENS1_35radix_sort_onesweep_config_selectorIiNS0_10empty_typeEEEZNS1_34radix_sort_onesweep_global_offsetsIS3_Lb0EN6thrust23THRUST_200600_302600_NS10device_ptrIiEEPS5_jNS0_19identity_decomposerEEE10hipError_tT1_T2_PT3_SH_jT4_jjP12ihipStream_tbEUlT_E0_NS1_11comp_targetILNS1_3genE4ELNS1_11target_archE910ELNS1_3gpuE8ELNS1_3repE0EEENS1_52radix_sort_onesweep_histogram_config_static_selectorELNS0_4arch9wavefront6targetE0EEEvSF_
; %bb.0:
	.section	.rodata,"a",@progbits
	.p2align	6, 0x0
	.amdhsa_kernel _ZN7rocprim17ROCPRIM_400000_NS6detail17trampoline_kernelINS0_14default_configENS1_35radix_sort_onesweep_config_selectorIiNS0_10empty_typeEEEZNS1_34radix_sort_onesweep_global_offsetsIS3_Lb0EN6thrust23THRUST_200600_302600_NS10device_ptrIiEEPS5_jNS0_19identity_decomposerEEE10hipError_tT1_T2_PT3_SH_jT4_jjP12ihipStream_tbEUlT_E0_NS1_11comp_targetILNS1_3genE4ELNS1_11target_archE910ELNS1_3gpuE8ELNS1_3repE0EEENS1_52radix_sort_onesweep_histogram_config_static_selectorELNS0_4arch9wavefront6targetE0EEEvSF_
		.amdhsa_group_segment_fixed_size 0
		.amdhsa_private_segment_fixed_size 0
		.amdhsa_kernarg_size 8
		.amdhsa_user_sgpr_count 6
		.amdhsa_user_sgpr_private_segment_buffer 1
		.amdhsa_user_sgpr_dispatch_ptr 0
		.amdhsa_user_sgpr_queue_ptr 0
		.amdhsa_user_sgpr_kernarg_segment_ptr 1
		.amdhsa_user_sgpr_dispatch_id 0
		.amdhsa_user_sgpr_flat_scratch_init 0
		.amdhsa_user_sgpr_private_segment_size 0
		.amdhsa_wavefront_size32 1
		.amdhsa_uses_dynamic_stack 0
		.amdhsa_system_sgpr_private_segment_wavefront_offset 0
		.amdhsa_system_sgpr_workgroup_id_x 1
		.amdhsa_system_sgpr_workgroup_id_y 0
		.amdhsa_system_sgpr_workgroup_id_z 0
		.amdhsa_system_sgpr_workgroup_info 0
		.amdhsa_system_vgpr_workitem_id 0
		.amdhsa_next_free_vgpr 1
		.amdhsa_next_free_sgpr 1
		.amdhsa_reserve_vcc 0
		.amdhsa_reserve_flat_scratch 0
		.amdhsa_float_round_mode_32 0
		.amdhsa_float_round_mode_16_64 0
		.amdhsa_float_denorm_mode_32 3
		.amdhsa_float_denorm_mode_16_64 3
		.amdhsa_dx10_clamp 1
		.amdhsa_ieee_mode 1
		.amdhsa_fp16_overflow 0
		.amdhsa_workgroup_processor_mode 1
		.amdhsa_memory_ordered 1
		.amdhsa_forward_progress 1
		.amdhsa_shared_vgpr_count 0
		.amdhsa_exception_fp_ieee_invalid_op 0
		.amdhsa_exception_fp_denorm_src 0
		.amdhsa_exception_fp_ieee_div_zero 0
		.amdhsa_exception_fp_ieee_overflow 0
		.amdhsa_exception_fp_ieee_underflow 0
		.amdhsa_exception_fp_ieee_inexact 0
		.amdhsa_exception_int_div_zero 0
	.end_amdhsa_kernel
	.section	.text._ZN7rocprim17ROCPRIM_400000_NS6detail17trampoline_kernelINS0_14default_configENS1_35radix_sort_onesweep_config_selectorIiNS0_10empty_typeEEEZNS1_34radix_sort_onesweep_global_offsetsIS3_Lb0EN6thrust23THRUST_200600_302600_NS10device_ptrIiEEPS5_jNS0_19identity_decomposerEEE10hipError_tT1_T2_PT3_SH_jT4_jjP12ihipStream_tbEUlT_E0_NS1_11comp_targetILNS1_3genE4ELNS1_11target_archE910ELNS1_3gpuE8ELNS1_3repE0EEENS1_52radix_sort_onesweep_histogram_config_static_selectorELNS0_4arch9wavefront6targetE0EEEvSF_,"axG",@progbits,_ZN7rocprim17ROCPRIM_400000_NS6detail17trampoline_kernelINS0_14default_configENS1_35radix_sort_onesweep_config_selectorIiNS0_10empty_typeEEEZNS1_34radix_sort_onesweep_global_offsetsIS3_Lb0EN6thrust23THRUST_200600_302600_NS10device_ptrIiEEPS5_jNS0_19identity_decomposerEEE10hipError_tT1_T2_PT3_SH_jT4_jjP12ihipStream_tbEUlT_E0_NS1_11comp_targetILNS1_3genE4ELNS1_11target_archE910ELNS1_3gpuE8ELNS1_3repE0EEENS1_52radix_sort_onesweep_histogram_config_static_selectorELNS0_4arch9wavefront6targetE0EEEvSF_,comdat
.Lfunc_end1230:
	.size	_ZN7rocprim17ROCPRIM_400000_NS6detail17trampoline_kernelINS0_14default_configENS1_35radix_sort_onesweep_config_selectorIiNS0_10empty_typeEEEZNS1_34radix_sort_onesweep_global_offsetsIS3_Lb0EN6thrust23THRUST_200600_302600_NS10device_ptrIiEEPS5_jNS0_19identity_decomposerEEE10hipError_tT1_T2_PT3_SH_jT4_jjP12ihipStream_tbEUlT_E0_NS1_11comp_targetILNS1_3genE4ELNS1_11target_archE910ELNS1_3gpuE8ELNS1_3repE0EEENS1_52radix_sort_onesweep_histogram_config_static_selectorELNS0_4arch9wavefront6targetE0EEEvSF_, .Lfunc_end1230-_ZN7rocprim17ROCPRIM_400000_NS6detail17trampoline_kernelINS0_14default_configENS1_35radix_sort_onesweep_config_selectorIiNS0_10empty_typeEEEZNS1_34radix_sort_onesweep_global_offsetsIS3_Lb0EN6thrust23THRUST_200600_302600_NS10device_ptrIiEEPS5_jNS0_19identity_decomposerEEE10hipError_tT1_T2_PT3_SH_jT4_jjP12ihipStream_tbEUlT_E0_NS1_11comp_targetILNS1_3genE4ELNS1_11target_archE910ELNS1_3gpuE8ELNS1_3repE0EEENS1_52radix_sort_onesweep_histogram_config_static_selectorELNS0_4arch9wavefront6targetE0EEEvSF_
                                        ; -- End function
	.set _ZN7rocprim17ROCPRIM_400000_NS6detail17trampoline_kernelINS0_14default_configENS1_35radix_sort_onesweep_config_selectorIiNS0_10empty_typeEEEZNS1_34radix_sort_onesweep_global_offsetsIS3_Lb0EN6thrust23THRUST_200600_302600_NS10device_ptrIiEEPS5_jNS0_19identity_decomposerEEE10hipError_tT1_T2_PT3_SH_jT4_jjP12ihipStream_tbEUlT_E0_NS1_11comp_targetILNS1_3genE4ELNS1_11target_archE910ELNS1_3gpuE8ELNS1_3repE0EEENS1_52radix_sort_onesweep_histogram_config_static_selectorELNS0_4arch9wavefront6targetE0EEEvSF_.num_vgpr, 0
	.set _ZN7rocprim17ROCPRIM_400000_NS6detail17trampoline_kernelINS0_14default_configENS1_35radix_sort_onesweep_config_selectorIiNS0_10empty_typeEEEZNS1_34radix_sort_onesweep_global_offsetsIS3_Lb0EN6thrust23THRUST_200600_302600_NS10device_ptrIiEEPS5_jNS0_19identity_decomposerEEE10hipError_tT1_T2_PT3_SH_jT4_jjP12ihipStream_tbEUlT_E0_NS1_11comp_targetILNS1_3genE4ELNS1_11target_archE910ELNS1_3gpuE8ELNS1_3repE0EEENS1_52radix_sort_onesweep_histogram_config_static_selectorELNS0_4arch9wavefront6targetE0EEEvSF_.num_agpr, 0
	.set _ZN7rocprim17ROCPRIM_400000_NS6detail17trampoline_kernelINS0_14default_configENS1_35radix_sort_onesweep_config_selectorIiNS0_10empty_typeEEEZNS1_34radix_sort_onesweep_global_offsetsIS3_Lb0EN6thrust23THRUST_200600_302600_NS10device_ptrIiEEPS5_jNS0_19identity_decomposerEEE10hipError_tT1_T2_PT3_SH_jT4_jjP12ihipStream_tbEUlT_E0_NS1_11comp_targetILNS1_3genE4ELNS1_11target_archE910ELNS1_3gpuE8ELNS1_3repE0EEENS1_52radix_sort_onesweep_histogram_config_static_selectorELNS0_4arch9wavefront6targetE0EEEvSF_.numbered_sgpr, 0
	.set _ZN7rocprim17ROCPRIM_400000_NS6detail17trampoline_kernelINS0_14default_configENS1_35radix_sort_onesweep_config_selectorIiNS0_10empty_typeEEEZNS1_34radix_sort_onesweep_global_offsetsIS3_Lb0EN6thrust23THRUST_200600_302600_NS10device_ptrIiEEPS5_jNS0_19identity_decomposerEEE10hipError_tT1_T2_PT3_SH_jT4_jjP12ihipStream_tbEUlT_E0_NS1_11comp_targetILNS1_3genE4ELNS1_11target_archE910ELNS1_3gpuE8ELNS1_3repE0EEENS1_52radix_sort_onesweep_histogram_config_static_selectorELNS0_4arch9wavefront6targetE0EEEvSF_.num_named_barrier, 0
	.set _ZN7rocprim17ROCPRIM_400000_NS6detail17trampoline_kernelINS0_14default_configENS1_35radix_sort_onesweep_config_selectorIiNS0_10empty_typeEEEZNS1_34radix_sort_onesweep_global_offsetsIS3_Lb0EN6thrust23THRUST_200600_302600_NS10device_ptrIiEEPS5_jNS0_19identity_decomposerEEE10hipError_tT1_T2_PT3_SH_jT4_jjP12ihipStream_tbEUlT_E0_NS1_11comp_targetILNS1_3genE4ELNS1_11target_archE910ELNS1_3gpuE8ELNS1_3repE0EEENS1_52radix_sort_onesweep_histogram_config_static_selectorELNS0_4arch9wavefront6targetE0EEEvSF_.private_seg_size, 0
	.set _ZN7rocprim17ROCPRIM_400000_NS6detail17trampoline_kernelINS0_14default_configENS1_35radix_sort_onesweep_config_selectorIiNS0_10empty_typeEEEZNS1_34radix_sort_onesweep_global_offsetsIS3_Lb0EN6thrust23THRUST_200600_302600_NS10device_ptrIiEEPS5_jNS0_19identity_decomposerEEE10hipError_tT1_T2_PT3_SH_jT4_jjP12ihipStream_tbEUlT_E0_NS1_11comp_targetILNS1_3genE4ELNS1_11target_archE910ELNS1_3gpuE8ELNS1_3repE0EEENS1_52radix_sort_onesweep_histogram_config_static_selectorELNS0_4arch9wavefront6targetE0EEEvSF_.uses_vcc, 0
	.set _ZN7rocprim17ROCPRIM_400000_NS6detail17trampoline_kernelINS0_14default_configENS1_35radix_sort_onesweep_config_selectorIiNS0_10empty_typeEEEZNS1_34radix_sort_onesweep_global_offsetsIS3_Lb0EN6thrust23THRUST_200600_302600_NS10device_ptrIiEEPS5_jNS0_19identity_decomposerEEE10hipError_tT1_T2_PT3_SH_jT4_jjP12ihipStream_tbEUlT_E0_NS1_11comp_targetILNS1_3genE4ELNS1_11target_archE910ELNS1_3gpuE8ELNS1_3repE0EEENS1_52radix_sort_onesweep_histogram_config_static_selectorELNS0_4arch9wavefront6targetE0EEEvSF_.uses_flat_scratch, 0
	.set _ZN7rocprim17ROCPRIM_400000_NS6detail17trampoline_kernelINS0_14default_configENS1_35radix_sort_onesweep_config_selectorIiNS0_10empty_typeEEEZNS1_34radix_sort_onesweep_global_offsetsIS3_Lb0EN6thrust23THRUST_200600_302600_NS10device_ptrIiEEPS5_jNS0_19identity_decomposerEEE10hipError_tT1_T2_PT3_SH_jT4_jjP12ihipStream_tbEUlT_E0_NS1_11comp_targetILNS1_3genE4ELNS1_11target_archE910ELNS1_3gpuE8ELNS1_3repE0EEENS1_52radix_sort_onesweep_histogram_config_static_selectorELNS0_4arch9wavefront6targetE0EEEvSF_.has_dyn_sized_stack, 0
	.set _ZN7rocprim17ROCPRIM_400000_NS6detail17trampoline_kernelINS0_14default_configENS1_35radix_sort_onesweep_config_selectorIiNS0_10empty_typeEEEZNS1_34radix_sort_onesweep_global_offsetsIS3_Lb0EN6thrust23THRUST_200600_302600_NS10device_ptrIiEEPS5_jNS0_19identity_decomposerEEE10hipError_tT1_T2_PT3_SH_jT4_jjP12ihipStream_tbEUlT_E0_NS1_11comp_targetILNS1_3genE4ELNS1_11target_archE910ELNS1_3gpuE8ELNS1_3repE0EEENS1_52radix_sort_onesweep_histogram_config_static_selectorELNS0_4arch9wavefront6targetE0EEEvSF_.has_recursion, 0
	.set _ZN7rocprim17ROCPRIM_400000_NS6detail17trampoline_kernelINS0_14default_configENS1_35radix_sort_onesweep_config_selectorIiNS0_10empty_typeEEEZNS1_34radix_sort_onesweep_global_offsetsIS3_Lb0EN6thrust23THRUST_200600_302600_NS10device_ptrIiEEPS5_jNS0_19identity_decomposerEEE10hipError_tT1_T2_PT3_SH_jT4_jjP12ihipStream_tbEUlT_E0_NS1_11comp_targetILNS1_3genE4ELNS1_11target_archE910ELNS1_3gpuE8ELNS1_3repE0EEENS1_52radix_sort_onesweep_histogram_config_static_selectorELNS0_4arch9wavefront6targetE0EEEvSF_.has_indirect_call, 0
	.section	.AMDGPU.csdata,"",@progbits
; Kernel info:
; codeLenInByte = 0
; TotalNumSgprs: 0
; NumVgprs: 0
; ScratchSize: 0
; MemoryBound: 0
; FloatMode: 240
; IeeeMode: 1
; LDSByteSize: 0 bytes/workgroup (compile time only)
; SGPRBlocks: 0
; VGPRBlocks: 0
; NumSGPRsForWavesPerEU: 1
; NumVGPRsForWavesPerEU: 1
; Occupancy: 16
; WaveLimiterHint : 0
; COMPUTE_PGM_RSRC2:SCRATCH_EN: 0
; COMPUTE_PGM_RSRC2:USER_SGPR: 6
; COMPUTE_PGM_RSRC2:TRAP_HANDLER: 0
; COMPUTE_PGM_RSRC2:TGID_X_EN: 1
; COMPUTE_PGM_RSRC2:TGID_Y_EN: 0
; COMPUTE_PGM_RSRC2:TGID_Z_EN: 0
; COMPUTE_PGM_RSRC2:TIDIG_COMP_CNT: 0
	.section	.text._ZN7rocprim17ROCPRIM_400000_NS6detail17trampoline_kernelINS0_14default_configENS1_35radix_sort_onesweep_config_selectorIiNS0_10empty_typeEEEZNS1_34radix_sort_onesweep_global_offsetsIS3_Lb0EN6thrust23THRUST_200600_302600_NS10device_ptrIiEEPS5_jNS0_19identity_decomposerEEE10hipError_tT1_T2_PT3_SH_jT4_jjP12ihipStream_tbEUlT_E0_NS1_11comp_targetILNS1_3genE3ELNS1_11target_archE908ELNS1_3gpuE7ELNS1_3repE0EEENS1_52radix_sort_onesweep_histogram_config_static_selectorELNS0_4arch9wavefront6targetE0EEEvSF_,"axG",@progbits,_ZN7rocprim17ROCPRIM_400000_NS6detail17trampoline_kernelINS0_14default_configENS1_35radix_sort_onesweep_config_selectorIiNS0_10empty_typeEEEZNS1_34radix_sort_onesweep_global_offsetsIS3_Lb0EN6thrust23THRUST_200600_302600_NS10device_ptrIiEEPS5_jNS0_19identity_decomposerEEE10hipError_tT1_T2_PT3_SH_jT4_jjP12ihipStream_tbEUlT_E0_NS1_11comp_targetILNS1_3genE3ELNS1_11target_archE908ELNS1_3gpuE7ELNS1_3repE0EEENS1_52radix_sort_onesweep_histogram_config_static_selectorELNS0_4arch9wavefront6targetE0EEEvSF_,comdat
	.protected	_ZN7rocprim17ROCPRIM_400000_NS6detail17trampoline_kernelINS0_14default_configENS1_35radix_sort_onesweep_config_selectorIiNS0_10empty_typeEEEZNS1_34radix_sort_onesweep_global_offsetsIS3_Lb0EN6thrust23THRUST_200600_302600_NS10device_ptrIiEEPS5_jNS0_19identity_decomposerEEE10hipError_tT1_T2_PT3_SH_jT4_jjP12ihipStream_tbEUlT_E0_NS1_11comp_targetILNS1_3genE3ELNS1_11target_archE908ELNS1_3gpuE7ELNS1_3repE0EEENS1_52radix_sort_onesweep_histogram_config_static_selectorELNS0_4arch9wavefront6targetE0EEEvSF_ ; -- Begin function _ZN7rocprim17ROCPRIM_400000_NS6detail17trampoline_kernelINS0_14default_configENS1_35radix_sort_onesweep_config_selectorIiNS0_10empty_typeEEEZNS1_34radix_sort_onesweep_global_offsetsIS3_Lb0EN6thrust23THRUST_200600_302600_NS10device_ptrIiEEPS5_jNS0_19identity_decomposerEEE10hipError_tT1_T2_PT3_SH_jT4_jjP12ihipStream_tbEUlT_E0_NS1_11comp_targetILNS1_3genE3ELNS1_11target_archE908ELNS1_3gpuE7ELNS1_3repE0EEENS1_52radix_sort_onesweep_histogram_config_static_selectorELNS0_4arch9wavefront6targetE0EEEvSF_
	.globl	_ZN7rocprim17ROCPRIM_400000_NS6detail17trampoline_kernelINS0_14default_configENS1_35radix_sort_onesweep_config_selectorIiNS0_10empty_typeEEEZNS1_34radix_sort_onesweep_global_offsetsIS3_Lb0EN6thrust23THRUST_200600_302600_NS10device_ptrIiEEPS5_jNS0_19identity_decomposerEEE10hipError_tT1_T2_PT3_SH_jT4_jjP12ihipStream_tbEUlT_E0_NS1_11comp_targetILNS1_3genE3ELNS1_11target_archE908ELNS1_3gpuE7ELNS1_3repE0EEENS1_52radix_sort_onesweep_histogram_config_static_selectorELNS0_4arch9wavefront6targetE0EEEvSF_
	.p2align	8
	.type	_ZN7rocprim17ROCPRIM_400000_NS6detail17trampoline_kernelINS0_14default_configENS1_35radix_sort_onesweep_config_selectorIiNS0_10empty_typeEEEZNS1_34radix_sort_onesweep_global_offsetsIS3_Lb0EN6thrust23THRUST_200600_302600_NS10device_ptrIiEEPS5_jNS0_19identity_decomposerEEE10hipError_tT1_T2_PT3_SH_jT4_jjP12ihipStream_tbEUlT_E0_NS1_11comp_targetILNS1_3genE3ELNS1_11target_archE908ELNS1_3gpuE7ELNS1_3repE0EEENS1_52radix_sort_onesweep_histogram_config_static_selectorELNS0_4arch9wavefront6targetE0EEEvSF_,@function
_ZN7rocprim17ROCPRIM_400000_NS6detail17trampoline_kernelINS0_14default_configENS1_35radix_sort_onesweep_config_selectorIiNS0_10empty_typeEEEZNS1_34radix_sort_onesweep_global_offsetsIS3_Lb0EN6thrust23THRUST_200600_302600_NS10device_ptrIiEEPS5_jNS0_19identity_decomposerEEE10hipError_tT1_T2_PT3_SH_jT4_jjP12ihipStream_tbEUlT_E0_NS1_11comp_targetILNS1_3genE3ELNS1_11target_archE908ELNS1_3gpuE7ELNS1_3repE0EEENS1_52radix_sort_onesweep_histogram_config_static_selectorELNS0_4arch9wavefront6targetE0EEEvSF_: ; @_ZN7rocprim17ROCPRIM_400000_NS6detail17trampoline_kernelINS0_14default_configENS1_35radix_sort_onesweep_config_selectorIiNS0_10empty_typeEEEZNS1_34radix_sort_onesweep_global_offsetsIS3_Lb0EN6thrust23THRUST_200600_302600_NS10device_ptrIiEEPS5_jNS0_19identity_decomposerEEE10hipError_tT1_T2_PT3_SH_jT4_jjP12ihipStream_tbEUlT_E0_NS1_11comp_targetILNS1_3genE3ELNS1_11target_archE908ELNS1_3gpuE7ELNS1_3repE0EEENS1_52radix_sort_onesweep_histogram_config_static_selectorELNS0_4arch9wavefront6targetE0EEEvSF_
; %bb.0:
	.section	.rodata,"a",@progbits
	.p2align	6, 0x0
	.amdhsa_kernel _ZN7rocprim17ROCPRIM_400000_NS6detail17trampoline_kernelINS0_14default_configENS1_35radix_sort_onesweep_config_selectorIiNS0_10empty_typeEEEZNS1_34radix_sort_onesweep_global_offsetsIS3_Lb0EN6thrust23THRUST_200600_302600_NS10device_ptrIiEEPS5_jNS0_19identity_decomposerEEE10hipError_tT1_T2_PT3_SH_jT4_jjP12ihipStream_tbEUlT_E0_NS1_11comp_targetILNS1_3genE3ELNS1_11target_archE908ELNS1_3gpuE7ELNS1_3repE0EEENS1_52radix_sort_onesweep_histogram_config_static_selectorELNS0_4arch9wavefront6targetE0EEEvSF_
		.amdhsa_group_segment_fixed_size 0
		.amdhsa_private_segment_fixed_size 0
		.amdhsa_kernarg_size 8
		.amdhsa_user_sgpr_count 6
		.amdhsa_user_sgpr_private_segment_buffer 1
		.amdhsa_user_sgpr_dispatch_ptr 0
		.amdhsa_user_sgpr_queue_ptr 0
		.amdhsa_user_sgpr_kernarg_segment_ptr 1
		.amdhsa_user_sgpr_dispatch_id 0
		.amdhsa_user_sgpr_flat_scratch_init 0
		.amdhsa_user_sgpr_private_segment_size 0
		.amdhsa_wavefront_size32 1
		.amdhsa_uses_dynamic_stack 0
		.amdhsa_system_sgpr_private_segment_wavefront_offset 0
		.amdhsa_system_sgpr_workgroup_id_x 1
		.amdhsa_system_sgpr_workgroup_id_y 0
		.amdhsa_system_sgpr_workgroup_id_z 0
		.amdhsa_system_sgpr_workgroup_info 0
		.amdhsa_system_vgpr_workitem_id 0
		.amdhsa_next_free_vgpr 1
		.amdhsa_next_free_sgpr 1
		.amdhsa_reserve_vcc 0
		.amdhsa_reserve_flat_scratch 0
		.amdhsa_float_round_mode_32 0
		.amdhsa_float_round_mode_16_64 0
		.amdhsa_float_denorm_mode_32 3
		.amdhsa_float_denorm_mode_16_64 3
		.amdhsa_dx10_clamp 1
		.amdhsa_ieee_mode 1
		.amdhsa_fp16_overflow 0
		.amdhsa_workgroup_processor_mode 1
		.amdhsa_memory_ordered 1
		.amdhsa_forward_progress 1
		.amdhsa_shared_vgpr_count 0
		.amdhsa_exception_fp_ieee_invalid_op 0
		.amdhsa_exception_fp_denorm_src 0
		.amdhsa_exception_fp_ieee_div_zero 0
		.amdhsa_exception_fp_ieee_overflow 0
		.amdhsa_exception_fp_ieee_underflow 0
		.amdhsa_exception_fp_ieee_inexact 0
		.amdhsa_exception_int_div_zero 0
	.end_amdhsa_kernel
	.section	.text._ZN7rocprim17ROCPRIM_400000_NS6detail17trampoline_kernelINS0_14default_configENS1_35radix_sort_onesweep_config_selectorIiNS0_10empty_typeEEEZNS1_34radix_sort_onesweep_global_offsetsIS3_Lb0EN6thrust23THRUST_200600_302600_NS10device_ptrIiEEPS5_jNS0_19identity_decomposerEEE10hipError_tT1_T2_PT3_SH_jT4_jjP12ihipStream_tbEUlT_E0_NS1_11comp_targetILNS1_3genE3ELNS1_11target_archE908ELNS1_3gpuE7ELNS1_3repE0EEENS1_52radix_sort_onesweep_histogram_config_static_selectorELNS0_4arch9wavefront6targetE0EEEvSF_,"axG",@progbits,_ZN7rocprim17ROCPRIM_400000_NS6detail17trampoline_kernelINS0_14default_configENS1_35radix_sort_onesweep_config_selectorIiNS0_10empty_typeEEEZNS1_34radix_sort_onesweep_global_offsetsIS3_Lb0EN6thrust23THRUST_200600_302600_NS10device_ptrIiEEPS5_jNS0_19identity_decomposerEEE10hipError_tT1_T2_PT3_SH_jT4_jjP12ihipStream_tbEUlT_E0_NS1_11comp_targetILNS1_3genE3ELNS1_11target_archE908ELNS1_3gpuE7ELNS1_3repE0EEENS1_52radix_sort_onesweep_histogram_config_static_selectorELNS0_4arch9wavefront6targetE0EEEvSF_,comdat
.Lfunc_end1231:
	.size	_ZN7rocprim17ROCPRIM_400000_NS6detail17trampoline_kernelINS0_14default_configENS1_35radix_sort_onesweep_config_selectorIiNS0_10empty_typeEEEZNS1_34radix_sort_onesweep_global_offsetsIS3_Lb0EN6thrust23THRUST_200600_302600_NS10device_ptrIiEEPS5_jNS0_19identity_decomposerEEE10hipError_tT1_T2_PT3_SH_jT4_jjP12ihipStream_tbEUlT_E0_NS1_11comp_targetILNS1_3genE3ELNS1_11target_archE908ELNS1_3gpuE7ELNS1_3repE0EEENS1_52radix_sort_onesweep_histogram_config_static_selectorELNS0_4arch9wavefront6targetE0EEEvSF_, .Lfunc_end1231-_ZN7rocprim17ROCPRIM_400000_NS6detail17trampoline_kernelINS0_14default_configENS1_35radix_sort_onesweep_config_selectorIiNS0_10empty_typeEEEZNS1_34radix_sort_onesweep_global_offsetsIS3_Lb0EN6thrust23THRUST_200600_302600_NS10device_ptrIiEEPS5_jNS0_19identity_decomposerEEE10hipError_tT1_T2_PT3_SH_jT4_jjP12ihipStream_tbEUlT_E0_NS1_11comp_targetILNS1_3genE3ELNS1_11target_archE908ELNS1_3gpuE7ELNS1_3repE0EEENS1_52radix_sort_onesweep_histogram_config_static_selectorELNS0_4arch9wavefront6targetE0EEEvSF_
                                        ; -- End function
	.set _ZN7rocprim17ROCPRIM_400000_NS6detail17trampoline_kernelINS0_14default_configENS1_35radix_sort_onesweep_config_selectorIiNS0_10empty_typeEEEZNS1_34radix_sort_onesweep_global_offsetsIS3_Lb0EN6thrust23THRUST_200600_302600_NS10device_ptrIiEEPS5_jNS0_19identity_decomposerEEE10hipError_tT1_T2_PT3_SH_jT4_jjP12ihipStream_tbEUlT_E0_NS1_11comp_targetILNS1_3genE3ELNS1_11target_archE908ELNS1_3gpuE7ELNS1_3repE0EEENS1_52radix_sort_onesweep_histogram_config_static_selectorELNS0_4arch9wavefront6targetE0EEEvSF_.num_vgpr, 0
	.set _ZN7rocprim17ROCPRIM_400000_NS6detail17trampoline_kernelINS0_14default_configENS1_35radix_sort_onesweep_config_selectorIiNS0_10empty_typeEEEZNS1_34radix_sort_onesweep_global_offsetsIS3_Lb0EN6thrust23THRUST_200600_302600_NS10device_ptrIiEEPS5_jNS0_19identity_decomposerEEE10hipError_tT1_T2_PT3_SH_jT4_jjP12ihipStream_tbEUlT_E0_NS1_11comp_targetILNS1_3genE3ELNS1_11target_archE908ELNS1_3gpuE7ELNS1_3repE0EEENS1_52radix_sort_onesweep_histogram_config_static_selectorELNS0_4arch9wavefront6targetE0EEEvSF_.num_agpr, 0
	.set _ZN7rocprim17ROCPRIM_400000_NS6detail17trampoline_kernelINS0_14default_configENS1_35radix_sort_onesweep_config_selectorIiNS0_10empty_typeEEEZNS1_34radix_sort_onesweep_global_offsetsIS3_Lb0EN6thrust23THRUST_200600_302600_NS10device_ptrIiEEPS5_jNS0_19identity_decomposerEEE10hipError_tT1_T2_PT3_SH_jT4_jjP12ihipStream_tbEUlT_E0_NS1_11comp_targetILNS1_3genE3ELNS1_11target_archE908ELNS1_3gpuE7ELNS1_3repE0EEENS1_52radix_sort_onesweep_histogram_config_static_selectorELNS0_4arch9wavefront6targetE0EEEvSF_.numbered_sgpr, 0
	.set _ZN7rocprim17ROCPRIM_400000_NS6detail17trampoline_kernelINS0_14default_configENS1_35radix_sort_onesweep_config_selectorIiNS0_10empty_typeEEEZNS1_34radix_sort_onesweep_global_offsetsIS3_Lb0EN6thrust23THRUST_200600_302600_NS10device_ptrIiEEPS5_jNS0_19identity_decomposerEEE10hipError_tT1_T2_PT3_SH_jT4_jjP12ihipStream_tbEUlT_E0_NS1_11comp_targetILNS1_3genE3ELNS1_11target_archE908ELNS1_3gpuE7ELNS1_3repE0EEENS1_52radix_sort_onesweep_histogram_config_static_selectorELNS0_4arch9wavefront6targetE0EEEvSF_.num_named_barrier, 0
	.set _ZN7rocprim17ROCPRIM_400000_NS6detail17trampoline_kernelINS0_14default_configENS1_35radix_sort_onesweep_config_selectorIiNS0_10empty_typeEEEZNS1_34radix_sort_onesweep_global_offsetsIS3_Lb0EN6thrust23THRUST_200600_302600_NS10device_ptrIiEEPS5_jNS0_19identity_decomposerEEE10hipError_tT1_T2_PT3_SH_jT4_jjP12ihipStream_tbEUlT_E0_NS1_11comp_targetILNS1_3genE3ELNS1_11target_archE908ELNS1_3gpuE7ELNS1_3repE0EEENS1_52radix_sort_onesweep_histogram_config_static_selectorELNS0_4arch9wavefront6targetE0EEEvSF_.private_seg_size, 0
	.set _ZN7rocprim17ROCPRIM_400000_NS6detail17trampoline_kernelINS0_14default_configENS1_35radix_sort_onesweep_config_selectorIiNS0_10empty_typeEEEZNS1_34radix_sort_onesweep_global_offsetsIS3_Lb0EN6thrust23THRUST_200600_302600_NS10device_ptrIiEEPS5_jNS0_19identity_decomposerEEE10hipError_tT1_T2_PT3_SH_jT4_jjP12ihipStream_tbEUlT_E0_NS1_11comp_targetILNS1_3genE3ELNS1_11target_archE908ELNS1_3gpuE7ELNS1_3repE0EEENS1_52radix_sort_onesweep_histogram_config_static_selectorELNS0_4arch9wavefront6targetE0EEEvSF_.uses_vcc, 0
	.set _ZN7rocprim17ROCPRIM_400000_NS6detail17trampoline_kernelINS0_14default_configENS1_35radix_sort_onesweep_config_selectorIiNS0_10empty_typeEEEZNS1_34radix_sort_onesweep_global_offsetsIS3_Lb0EN6thrust23THRUST_200600_302600_NS10device_ptrIiEEPS5_jNS0_19identity_decomposerEEE10hipError_tT1_T2_PT3_SH_jT4_jjP12ihipStream_tbEUlT_E0_NS1_11comp_targetILNS1_3genE3ELNS1_11target_archE908ELNS1_3gpuE7ELNS1_3repE0EEENS1_52radix_sort_onesweep_histogram_config_static_selectorELNS0_4arch9wavefront6targetE0EEEvSF_.uses_flat_scratch, 0
	.set _ZN7rocprim17ROCPRIM_400000_NS6detail17trampoline_kernelINS0_14default_configENS1_35radix_sort_onesweep_config_selectorIiNS0_10empty_typeEEEZNS1_34radix_sort_onesweep_global_offsetsIS3_Lb0EN6thrust23THRUST_200600_302600_NS10device_ptrIiEEPS5_jNS0_19identity_decomposerEEE10hipError_tT1_T2_PT3_SH_jT4_jjP12ihipStream_tbEUlT_E0_NS1_11comp_targetILNS1_3genE3ELNS1_11target_archE908ELNS1_3gpuE7ELNS1_3repE0EEENS1_52radix_sort_onesweep_histogram_config_static_selectorELNS0_4arch9wavefront6targetE0EEEvSF_.has_dyn_sized_stack, 0
	.set _ZN7rocprim17ROCPRIM_400000_NS6detail17trampoline_kernelINS0_14default_configENS1_35radix_sort_onesweep_config_selectorIiNS0_10empty_typeEEEZNS1_34radix_sort_onesweep_global_offsetsIS3_Lb0EN6thrust23THRUST_200600_302600_NS10device_ptrIiEEPS5_jNS0_19identity_decomposerEEE10hipError_tT1_T2_PT3_SH_jT4_jjP12ihipStream_tbEUlT_E0_NS1_11comp_targetILNS1_3genE3ELNS1_11target_archE908ELNS1_3gpuE7ELNS1_3repE0EEENS1_52radix_sort_onesweep_histogram_config_static_selectorELNS0_4arch9wavefront6targetE0EEEvSF_.has_recursion, 0
	.set _ZN7rocprim17ROCPRIM_400000_NS6detail17trampoline_kernelINS0_14default_configENS1_35radix_sort_onesweep_config_selectorIiNS0_10empty_typeEEEZNS1_34radix_sort_onesweep_global_offsetsIS3_Lb0EN6thrust23THRUST_200600_302600_NS10device_ptrIiEEPS5_jNS0_19identity_decomposerEEE10hipError_tT1_T2_PT3_SH_jT4_jjP12ihipStream_tbEUlT_E0_NS1_11comp_targetILNS1_3genE3ELNS1_11target_archE908ELNS1_3gpuE7ELNS1_3repE0EEENS1_52radix_sort_onesweep_histogram_config_static_selectorELNS0_4arch9wavefront6targetE0EEEvSF_.has_indirect_call, 0
	.section	.AMDGPU.csdata,"",@progbits
; Kernel info:
; codeLenInByte = 0
; TotalNumSgprs: 0
; NumVgprs: 0
; ScratchSize: 0
; MemoryBound: 0
; FloatMode: 240
; IeeeMode: 1
; LDSByteSize: 0 bytes/workgroup (compile time only)
; SGPRBlocks: 0
; VGPRBlocks: 0
; NumSGPRsForWavesPerEU: 1
; NumVGPRsForWavesPerEU: 1
; Occupancy: 16
; WaveLimiterHint : 0
; COMPUTE_PGM_RSRC2:SCRATCH_EN: 0
; COMPUTE_PGM_RSRC2:USER_SGPR: 6
; COMPUTE_PGM_RSRC2:TRAP_HANDLER: 0
; COMPUTE_PGM_RSRC2:TGID_X_EN: 1
; COMPUTE_PGM_RSRC2:TGID_Y_EN: 0
; COMPUTE_PGM_RSRC2:TGID_Z_EN: 0
; COMPUTE_PGM_RSRC2:TIDIG_COMP_CNT: 0
	.section	.text._ZN7rocprim17ROCPRIM_400000_NS6detail17trampoline_kernelINS0_14default_configENS1_35radix_sort_onesweep_config_selectorIiNS0_10empty_typeEEEZNS1_34radix_sort_onesweep_global_offsetsIS3_Lb0EN6thrust23THRUST_200600_302600_NS10device_ptrIiEEPS5_jNS0_19identity_decomposerEEE10hipError_tT1_T2_PT3_SH_jT4_jjP12ihipStream_tbEUlT_E0_NS1_11comp_targetILNS1_3genE10ELNS1_11target_archE1201ELNS1_3gpuE5ELNS1_3repE0EEENS1_52radix_sort_onesweep_histogram_config_static_selectorELNS0_4arch9wavefront6targetE0EEEvSF_,"axG",@progbits,_ZN7rocprim17ROCPRIM_400000_NS6detail17trampoline_kernelINS0_14default_configENS1_35radix_sort_onesweep_config_selectorIiNS0_10empty_typeEEEZNS1_34radix_sort_onesweep_global_offsetsIS3_Lb0EN6thrust23THRUST_200600_302600_NS10device_ptrIiEEPS5_jNS0_19identity_decomposerEEE10hipError_tT1_T2_PT3_SH_jT4_jjP12ihipStream_tbEUlT_E0_NS1_11comp_targetILNS1_3genE10ELNS1_11target_archE1201ELNS1_3gpuE5ELNS1_3repE0EEENS1_52radix_sort_onesweep_histogram_config_static_selectorELNS0_4arch9wavefront6targetE0EEEvSF_,comdat
	.protected	_ZN7rocprim17ROCPRIM_400000_NS6detail17trampoline_kernelINS0_14default_configENS1_35radix_sort_onesweep_config_selectorIiNS0_10empty_typeEEEZNS1_34radix_sort_onesweep_global_offsetsIS3_Lb0EN6thrust23THRUST_200600_302600_NS10device_ptrIiEEPS5_jNS0_19identity_decomposerEEE10hipError_tT1_T2_PT3_SH_jT4_jjP12ihipStream_tbEUlT_E0_NS1_11comp_targetILNS1_3genE10ELNS1_11target_archE1201ELNS1_3gpuE5ELNS1_3repE0EEENS1_52radix_sort_onesweep_histogram_config_static_selectorELNS0_4arch9wavefront6targetE0EEEvSF_ ; -- Begin function _ZN7rocprim17ROCPRIM_400000_NS6detail17trampoline_kernelINS0_14default_configENS1_35radix_sort_onesweep_config_selectorIiNS0_10empty_typeEEEZNS1_34radix_sort_onesweep_global_offsetsIS3_Lb0EN6thrust23THRUST_200600_302600_NS10device_ptrIiEEPS5_jNS0_19identity_decomposerEEE10hipError_tT1_T2_PT3_SH_jT4_jjP12ihipStream_tbEUlT_E0_NS1_11comp_targetILNS1_3genE10ELNS1_11target_archE1201ELNS1_3gpuE5ELNS1_3repE0EEENS1_52radix_sort_onesweep_histogram_config_static_selectorELNS0_4arch9wavefront6targetE0EEEvSF_
	.globl	_ZN7rocprim17ROCPRIM_400000_NS6detail17trampoline_kernelINS0_14default_configENS1_35radix_sort_onesweep_config_selectorIiNS0_10empty_typeEEEZNS1_34radix_sort_onesweep_global_offsetsIS3_Lb0EN6thrust23THRUST_200600_302600_NS10device_ptrIiEEPS5_jNS0_19identity_decomposerEEE10hipError_tT1_T2_PT3_SH_jT4_jjP12ihipStream_tbEUlT_E0_NS1_11comp_targetILNS1_3genE10ELNS1_11target_archE1201ELNS1_3gpuE5ELNS1_3repE0EEENS1_52radix_sort_onesweep_histogram_config_static_selectorELNS0_4arch9wavefront6targetE0EEEvSF_
	.p2align	8
	.type	_ZN7rocprim17ROCPRIM_400000_NS6detail17trampoline_kernelINS0_14default_configENS1_35radix_sort_onesweep_config_selectorIiNS0_10empty_typeEEEZNS1_34radix_sort_onesweep_global_offsetsIS3_Lb0EN6thrust23THRUST_200600_302600_NS10device_ptrIiEEPS5_jNS0_19identity_decomposerEEE10hipError_tT1_T2_PT3_SH_jT4_jjP12ihipStream_tbEUlT_E0_NS1_11comp_targetILNS1_3genE10ELNS1_11target_archE1201ELNS1_3gpuE5ELNS1_3repE0EEENS1_52radix_sort_onesweep_histogram_config_static_selectorELNS0_4arch9wavefront6targetE0EEEvSF_,@function
_ZN7rocprim17ROCPRIM_400000_NS6detail17trampoline_kernelINS0_14default_configENS1_35radix_sort_onesweep_config_selectorIiNS0_10empty_typeEEEZNS1_34radix_sort_onesweep_global_offsetsIS3_Lb0EN6thrust23THRUST_200600_302600_NS10device_ptrIiEEPS5_jNS0_19identity_decomposerEEE10hipError_tT1_T2_PT3_SH_jT4_jjP12ihipStream_tbEUlT_E0_NS1_11comp_targetILNS1_3genE10ELNS1_11target_archE1201ELNS1_3gpuE5ELNS1_3repE0EEENS1_52radix_sort_onesweep_histogram_config_static_selectorELNS0_4arch9wavefront6targetE0EEEvSF_: ; @_ZN7rocprim17ROCPRIM_400000_NS6detail17trampoline_kernelINS0_14default_configENS1_35radix_sort_onesweep_config_selectorIiNS0_10empty_typeEEEZNS1_34radix_sort_onesweep_global_offsetsIS3_Lb0EN6thrust23THRUST_200600_302600_NS10device_ptrIiEEPS5_jNS0_19identity_decomposerEEE10hipError_tT1_T2_PT3_SH_jT4_jjP12ihipStream_tbEUlT_E0_NS1_11comp_targetILNS1_3genE10ELNS1_11target_archE1201ELNS1_3gpuE5ELNS1_3repE0EEENS1_52radix_sort_onesweep_histogram_config_static_selectorELNS0_4arch9wavefront6targetE0EEEvSF_
; %bb.0:
	.section	.rodata,"a",@progbits
	.p2align	6, 0x0
	.amdhsa_kernel _ZN7rocprim17ROCPRIM_400000_NS6detail17trampoline_kernelINS0_14default_configENS1_35radix_sort_onesweep_config_selectorIiNS0_10empty_typeEEEZNS1_34radix_sort_onesweep_global_offsetsIS3_Lb0EN6thrust23THRUST_200600_302600_NS10device_ptrIiEEPS5_jNS0_19identity_decomposerEEE10hipError_tT1_T2_PT3_SH_jT4_jjP12ihipStream_tbEUlT_E0_NS1_11comp_targetILNS1_3genE10ELNS1_11target_archE1201ELNS1_3gpuE5ELNS1_3repE0EEENS1_52radix_sort_onesweep_histogram_config_static_selectorELNS0_4arch9wavefront6targetE0EEEvSF_
		.amdhsa_group_segment_fixed_size 0
		.amdhsa_private_segment_fixed_size 0
		.amdhsa_kernarg_size 8
		.amdhsa_user_sgpr_count 6
		.amdhsa_user_sgpr_private_segment_buffer 1
		.amdhsa_user_sgpr_dispatch_ptr 0
		.amdhsa_user_sgpr_queue_ptr 0
		.amdhsa_user_sgpr_kernarg_segment_ptr 1
		.amdhsa_user_sgpr_dispatch_id 0
		.amdhsa_user_sgpr_flat_scratch_init 0
		.amdhsa_user_sgpr_private_segment_size 0
		.amdhsa_wavefront_size32 1
		.amdhsa_uses_dynamic_stack 0
		.amdhsa_system_sgpr_private_segment_wavefront_offset 0
		.amdhsa_system_sgpr_workgroup_id_x 1
		.amdhsa_system_sgpr_workgroup_id_y 0
		.amdhsa_system_sgpr_workgroup_id_z 0
		.amdhsa_system_sgpr_workgroup_info 0
		.amdhsa_system_vgpr_workitem_id 0
		.amdhsa_next_free_vgpr 1
		.amdhsa_next_free_sgpr 1
		.amdhsa_reserve_vcc 0
		.amdhsa_reserve_flat_scratch 0
		.amdhsa_float_round_mode_32 0
		.amdhsa_float_round_mode_16_64 0
		.amdhsa_float_denorm_mode_32 3
		.amdhsa_float_denorm_mode_16_64 3
		.amdhsa_dx10_clamp 1
		.amdhsa_ieee_mode 1
		.amdhsa_fp16_overflow 0
		.amdhsa_workgroup_processor_mode 1
		.amdhsa_memory_ordered 1
		.amdhsa_forward_progress 1
		.amdhsa_shared_vgpr_count 0
		.amdhsa_exception_fp_ieee_invalid_op 0
		.amdhsa_exception_fp_denorm_src 0
		.amdhsa_exception_fp_ieee_div_zero 0
		.amdhsa_exception_fp_ieee_overflow 0
		.amdhsa_exception_fp_ieee_underflow 0
		.amdhsa_exception_fp_ieee_inexact 0
		.amdhsa_exception_int_div_zero 0
	.end_amdhsa_kernel
	.section	.text._ZN7rocprim17ROCPRIM_400000_NS6detail17trampoline_kernelINS0_14default_configENS1_35radix_sort_onesweep_config_selectorIiNS0_10empty_typeEEEZNS1_34radix_sort_onesweep_global_offsetsIS3_Lb0EN6thrust23THRUST_200600_302600_NS10device_ptrIiEEPS5_jNS0_19identity_decomposerEEE10hipError_tT1_T2_PT3_SH_jT4_jjP12ihipStream_tbEUlT_E0_NS1_11comp_targetILNS1_3genE10ELNS1_11target_archE1201ELNS1_3gpuE5ELNS1_3repE0EEENS1_52radix_sort_onesweep_histogram_config_static_selectorELNS0_4arch9wavefront6targetE0EEEvSF_,"axG",@progbits,_ZN7rocprim17ROCPRIM_400000_NS6detail17trampoline_kernelINS0_14default_configENS1_35radix_sort_onesweep_config_selectorIiNS0_10empty_typeEEEZNS1_34radix_sort_onesweep_global_offsetsIS3_Lb0EN6thrust23THRUST_200600_302600_NS10device_ptrIiEEPS5_jNS0_19identity_decomposerEEE10hipError_tT1_T2_PT3_SH_jT4_jjP12ihipStream_tbEUlT_E0_NS1_11comp_targetILNS1_3genE10ELNS1_11target_archE1201ELNS1_3gpuE5ELNS1_3repE0EEENS1_52radix_sort_onesweep_histogram_config_static_selectorELNS0_4arch9wavefront6targetE0EEEvSF_,comdat
.Lfunc_end1232:
	.size	_ZN7rocprim17ROCPRIM_400000_NS6detail17trampoline_kernelINS0_14default_configENS1_35radix_sort_onesweep_config_selectorIiNS0_10empty_typeEEEZNS1_34radix_sort_onesweep_global_offsetsIS3_Lb0EN6thrust23THRUST_200600_302600_NS10device_ptrIiEEPS5_jNS0_19identity_decomposerEEE10hipError_tT1_T2_PT3_SH_jT4_jjP12ihipStream_tbEUlT_E0_NS1_11comp_targetILNS1_3genE10ELNS1_11target_archE1201ELNS1_3gpuE5ELNS1_3repE0EEENS1_52radix_sort_onesweep_histogram_config_static_selectorELNS0_4arch9wavefront6targetE0EEEvSF_, .Lfunc_end1232-_ZN7rocprim17ROCPRIM_400000_NS6detail17trampoline_kernelINS0_14default_configENS1_35radix_sort_onesweep_config_selectorIiNS0_10empty_typeEEEZNS1_34radix_sort_onesweep_global_offsetsIS3_Lb0EN6thrust23THRUST_200600_302600_NS10device_ptrIiEEPS5_jNS0_19identity_decomposerEEE10hipError_tT1_T2_PT3_SH_jT4_jjP12ihipStream_tbEUlT_E0_NS1_11comp_targetILNS1_3genE10ELNS1_11target_archE1201ELNS1_3gpuE5ELNS1_3repE0EEENS1_52radix_sort_onesweep_histogram_config_static_selectorELNS0_4arch9wavefront6targetE0EEEvSF_
                                        ; -- End function
	.set _ZN7rocprim17ROCPRIM_400000_NS6detail17trampoline_kernelINS0_14default_configENS1_35radix_sort_onesweep_config_selectorIiNS0_10empty_typeEEEZNS1_34radix_sort_onesweep_global_offsetsIS3_Lb0EN6thrust23THRUST_200600_302600_NS10device_ptrIiEEPS5_jNS0_19identity_decomposerEEE10hipError_tT1_T2_PT3_SH_jT4_jjP12ihipStream_tbEUlT_E0_NS1_11comp_targetILNS1_3genE10ELNS1_11target_archE1201ELNS1_3gpuE5ELNS1_3repE0EEENS1_52radix_sort_onesweep_histogram_config_static_selectorELNS0_4arch9wavefront6targetE0EEEvSF_.num_vgpr, 0
	.set _ZN7rocprim17ROCPRIM_400000_NS6detail17trampoline_kernelINS0_14default_configENS1_35radix_sort_onesweep_config_selectorIiNS0_10empty_typeEEEZNS1_34radix_sort_onesweep_global_offsetsIS3_Lb0EN6thrust23THRUST_200600_302600_NS10device_ptrIiEEPS5_jNS0_19identity_decomposerEEE10hipError_tT1_T2_PT3_SH_jT4_jjP12ihipStream_tbEUlT_E0_NS1_11comp_targetILNS1_3genE10ELNS1_11target_archE1201ELNS1_3gpuE5ELNS1_3repE0EEENS1_52radix_sort_onesweep_histogram_config_static_selectorELNS0_4arch9wavefront6targetE0EEEvSF_.num_agpr, 0
	.set _ZN7rocprim17ROCPRIM_400000_NS6detail17trampoline_kernelINS0_14default_configENS1_35radix_sort_onesweep_config_selectorIiNS0_10empty_typeEEEZNS1_34radix_sort_onesweep_global_offsetsIS3_Lb0EN6thrust23THRUST_200600_302600_NS10device_ptrIiEEPS5_jNS0_19identity_decomposerEEE10hipError_tT1_T2_PT3_SH_jT4_jjP12ihipStream_tbEUlT_E0_NS1_11comp_targetILNS1_3genE10ELNS1_11target_archE1201ELNS1_3gpuE5ELNS1_3repE0EEENS1_52radix_sort_onesweep_histogram_config_static_selectorELNS0_4arch9wavefront6targetE0EEEvSF_.numbered_sgpr, 0
	.set _ZN7rocprim17ROCPRIM_400000_NS6detail17trampoline_kernelINS0_14default_configENS1_35radix_sort_onesweep_config_selectorIiNS0_10empty_typeEEEZNS1_34radix_sort_onesweep_global_offsetsIS3_Lb0EN6thrust23THRUST_200600_302600_NS10device_ptrIiEEPS5_jNS0_19identity_decomposerEEE10hipError_tT1_T2_PT3_SH_jT4_jjP12ihipStream_tbEUlT_E0_NS1_11comp_targetILNS1_3genE10ELNS1_11target_archE1201ELNS1_3gpuE5ELNS1_3repE0EEENS1_52radix_sort_onesweep_histogram_config_static_selectorELNS0_4arch9wavefront6targetE0EEEvSF_.num_named_barrier, 0
	.set _ZN7rocprim17ROCPRIM_400000_NS6detail17trampoline_kernelINS0_14default_configENS1_35radix_sort_onesweep_config_selectorIiNS0_10empty_typeEEEZNS1_34radix_sort_onesweep_global_offsetsIS3_Lb0EN6thrust23THRUST_200600_302600_NS10device_ptrIiEEPS5_jNS0_19identity_decomposerEEE10hipError_tT1_T2_PT3_SH_jT4_jjP12ihipStream_tbEUlT_E0_NS1_11comp_targetILNS1_3genE10ELNS1_11target_archE1201ELNS1_3gpuE5ELNS1_3repE0EEENS1_52radix_sort_onesweep_histogram_config_static_selectorELNS0_4arch9wavefront6targetE0EEEvSF_.private_seg_size, 0
	.set _ZN7rocprim17ROCPRIM_400000_NS6detail17trampoline_kernelINS0_14default_configENS1_35radix_sort_onesweep_config_selectorIiNS0_10empty_typeEEEZNS1_34radix_sort_onesweep_global_offsetsIS3_Lb0EN6thrust23THRUST_200600_302600_NS10device_ptrIiEEPS5_jNS0_19identity_decomposerEEE10hipError_tT1_T2_PT3_SH_jT4_jjP12ihipStream_tbEUlT_E0_NS1_11comp_targetILNS1_3genE10ELNS1_11target_archE1201ELNS1_3gpuE5ELNS1_3repE0EEENS1_52radix_sort_onesweep_histogram_config_static_selectorELNS0_4arch9wavefront6targetE0EEEvSF_.uses_vcc, 0
	.set _ZN7rocprim17ROCPRIM_400000_NS6detail17trampoline_kernelINS0_14default_configENS1_35radix_sort_onesweep_config_selectorIiNS0_10empty_typeEEEZNS1_34radix_sort_onesweep_global_offsetsIS3_Lb0EN6thrust23THRUST_200600_302600_NS10device_ptrIiEEPS5_jNS0_19identity_decomposerEEE10hipError_tT1_T2_PT3_SH_jT4_jjP12ihipStream_tbEUlT_E0_NS1_11comp_targetILNS1_3genE10ELNS1_11target_archE1201ELNS1_3gpuE5ELNS1_3repE0EEENS1_52radix_sort_onesweep_histogram_config_static_selectorELNS0_4arch9wavefront6targetE0EEEvSF_.uses_flat_scratch, 0
	.set _ZN7rocprim17ROCPRIM_400000_NS6detail17trampoline_kernelINS0_14default_configENS1_35radix_sort_onesweep_config_selectorIiNS0_10empty_typeEEEZNS1_34radix_sort_onesweep_global_offsetsIS3_Lb0EN6thrust23THRUST_200600_302600_NS10device_ptrIiEEPS5_jNS0_19identity_decomposerEEE10hipError_tT1_T2_PT3_SH_jT4_jjP12ihipStream_tbEUlT_E0_NS1_11comp_targetILNS1_3genE10ELNS1_11target_archE1201ELNS1_3gpuE5ELNS1_3repE0EEENS1_52radix_sort_onesweep_histogram_config_static_selectorELNS0_4arch9wavefront6targetE0EEEvSF_.has_dyn_sized_stack, 0
	.set _ZN7rocprim17ROCPRIM_400000_NS6detail17trampoline_kernelINS0_14default_configENS1_35radix_sort_onesweep_config_selectorIiNS0_10empty_typeEEEZNS1_34radix_sort_onesweep_global_offsetsIS3_Lb0EN6thrust23THRUST_200600_302600_NS10device_ptrIiEEPS5_jNS0_19identity_decomposerEEE10hipError_tT1_T2_PT3_SH_jT4_jjP12ihipStream_tbEUlT_E0_NS1_11comp_targetILNS1_3genE10ELNS1_11target_archE1201ELNS1_3gpuE5ELNS1_3repE0EEENS1_52radix_sort_onesweep_histogram_config_static_selectorELNS0_4arch9wavefront6targetE0EEEvSF_.has_recursion, 0
	.set _ZN7rocprim17ROCPRIM_400000_NS6detail17trampoline_kernelINS0_14default_configENS1_35radix_sort_onesweep_config_selectorIiNS0_10empty_typeEEEZNS1_34radix_sort_onesweep_global_offsetsIS3_Lb0EN6thrust23THRUST_200600_302600_NS10device_ptrIiEEPS5_jNS0_19identity_decomposerEEE10hipError_tT1_T2_PT3_SH_jT4_jjP12ihipStream_tbEUlT_E0_NS1_11comp_targetILNS1_3genE10ELNS1_11target_archE1201ELNS1_3gpuE5ELNS1_3repE0EEENS1_52radix_sort_onesweep_histogram_config_static_selectorELNS0_4arch9wavefront6targetE0EEEvSF_.has_indirect_call, 0
	.section	.AMDGPU.csdata,"",@progbits
; Kernel info:
; codeLenInByte = 0
; TotalNumSgprs: 0
; NumVgprs: 0
; ScratchSize: 0
; MemoryBound: 0
; FloatMode: 240
; IeeeMode: 1
; LDSByteSize: 0 bytes/workgroup (compile time only)
; SGPRBlocks: 0
; VGPRBlocks: 0
; NumSGPRsForWavesPerEU: 1
; NumVGPRsForWavesPerEU: 1
; Occupancy: 16
; WaveLimiterHint : 0
; COMPUTE_PGM_RSRC2:SCRATCH_EN: 0
; COMPUTE_PGM_RSRC2:USER_SGPR: 6
; COMPUTE_PGM_RSRC2:TRAP_HANDLER: 0
; COMPUTE_PGM_RSRC2:TGID_X_EN: 1
; COMPUTE_PGM_RSRC2:TGID_Y_EN: 0
; COMPUTE_PGM_RSRC2:TGID_Z_EN: 0
; COMPUTE_PGM_RSRC2:TIDIG_COMP_CNT: 0
	.section	.text._ZN7rocprim17ROCPRIM_400000_NS6detail17trampoline_kernelINS0_14default_configENS1_35radix_sort_onesweep_config_selectorIiNS0_10empty_typeEEEZNS1_34radix_sort_onesweep_global_offsetsIS3_Lb0EN6thrust23THRUST_200600_302600_NS10device_ptrIiEEPS5_jNS0_19identity_decomposerEEE10hipError_tT1_T2_PT3_SH_jT4_jjP12ihipStream_tbEUlT_E0_NS1_11comp_targetILNS1_3genE9ELNS1_11target_archE1100ELNS1_3gpuE3ELNS1_3repE0EEENS1_52radix_sort_onesweep_histogram_config_static_selectorELNS0_4arch9wavefront6targetE0EEEvSF_,"axG",@progbits,_ZN7rocprim17ROCPRIM_400000_NS6detail17trampoline_kernelINS0_14default_configENS1_35radix_sort_onesweep_config_selectorIiNS0_10empty_typeEEEZNS1_34radix_sort_onesweep_global_offsetsIS3_Lb0EN6thrust23THRUST_200600_302600_NS10device_ptrIiEEPS5_jNS0_19identity_decomposerEEE10hipError_tT1_T2_PT3_SH_jT4_jjP12ihipStream_tbEUlT_E0_NS1_11comp_targetILNS1_3genE9ELNS1_11target_archE1100ELNS1_3gpuE3ELNS1_3repE0EEENS1_52radix_sort_onesweep_histogram_config_static_selectorELNS0_4arch9wavefront6targetE0EEEvSF_,comdat
	.protected	_ZN7rocprim17ROCPRIM_400000_NS6detail17trampoline_kernelINS0_14default_configENS1_35radix_sort_onesweep_config_selectorIiNS0_10empty_typeEEEZNS1_34radix_sort_onesweep_global_offsetsIS3_Lb0EN6thrust23THRUST_200600_302600_NS10device_ptrIiEEPS5_jNS0_19identity_decomposerEEE10hipError_tT1_T2_PT3_SH_jT4_jjP12ihipStream_tbEUlT_E0_NS1_11comp_targetILNS1_3genE9ELNS1_11target_archE1100ELNS1_3gpuE3ELNS1_3repE0EEENS1_52radix_sort_onesweep_histogram_config_static_selectorELNS0_4arch9wavefront6targetE0EEEvSF_ ; -- Begin function _ZN7rocprim17ROCPRIM_400000_NS6detail17trampoline_kernelINS0_14default_configENS1_35radix_sort_onesweep_config_selectorIiNS0_10empty_typeEEEZNS1_34radix_sort_onesweep_global_offsetsIS3_Lb0EN6thrust23THRUST_200600_302600_NS10device_ptrIiEEPS5_jNS0_19identity_decomposerEEE10hipError_tT1_T2_PT3_SH_jT4_jjP12ihipStream_tbEUlT_E0_NS1_11comp_targetILNS1_3genE9ELNS1_11target_archE1100ELNS1_3gpuE3ELNS1_3repE0EEENS1_52radix_sort_onesweep_histogram_config_static_selectorELNS0_4arch9wavefront6targetE0EEEvSF_
	.globl	_ZN7rocprim17ROCPRIM_400000_NS6detail17trampoline_kernelINS0_14default_configENS1_35radix_sort_onesweep_config_selectorIiNS0_10empty_typeEEEZNS1_34radix_sort_onesweep_global_offsetsIS3_Lb0EN6thrust23THRUST_200600_302600_NS10device_ptrIiEEPS5_jNS0_19identity_decomposerEEE10hipError_tT1_T2_PT3_SH_jT4_jjP12ihipStream_tbEUlT_E0_NS1_11comp_targetILNS1_3genE9ELNS1_11target_archE1100ELNS1_3gpuE3ELNS1_3repE0EEENS1_52radix_sort_onesweep_histogram_config_static_selectorELNS0_4arch9wavefront6targetE0EEEvSF_
	.p2align	8
	.type	_ZN7rocprim17ROCPRIM_400000_NS6detail17trampoline_kernelINS0_14default_configENS1_35radix_sort_onesweep_config_selectorIiNS0_10empty_typeEEEZNS1_34radix_sort_onesweep_global_offsetsIS3_Lb0EN6thrust23THRUST_200600_302600_NS10device_ptrIiEEPS5_jNS0_19identity_decomposerEEE10hipError_tT1_T2_PT3_SH_jT4_jjP12ihipStream_tbEUlT_E0_NS1_11comp_targetILNS1_3genE9ELNS1_11target_archE1100ELNS1_3gpuE3ELNS1_3repE0EEENS1_52radix_sort_onesweep_histogram_config_static_selectorELNS0_4arch9wavefront6targetE0EEEvSF_,@function
_ZN7rocprim17ROCPRIM_400000_NS6detail17trampoline_kernelINS0_14default_configENS1_35radix_sort_onesweep_config_selectorIiNS0_10empty_typeEEEZNS1_34radix_sort_onesweep_global_offsetsIS3_Lb0EN6thrust23THRUST_200600_302600_NS10device_ptrIiEEPS5_jNS0_19identity_decomposerEEE10hipError_tT1_T2_PT3_SH_jT4_jjP12ihipStream_tbEUlT_E0_NS1_11comp_targetILNS1_3genE9ELNS1_11target_archE1100ELNS1_3gpuE3ELNS1_3repE0EEENS1_52radix_sort_onesweep_histogram_config_static_selectorELNS0_4arch9wavefront6targetE0EEEvSF_: ; @_ZN7rocprim17ROCPRIM_400000_NS6detail17trampoline_kernelINS0_14default_configENS1_35radix_sort_onesweep_config_selectorIiNS0_10empty_typeEEEZNS1_34radix_sort_onesweep_global_offsetsIS3_Lb0EN6thrust23THRUST_200600_302600_NS10device_ptrIiEEPS5_jNS0_19identity_decomposerEEE10hipError_tT1_T2_PT3_SH_jT4_jjP12ihipStream_tbEUlT_E0_NS1_11comp_targetILNS1_3genE9ELNS1_11target_archE1100ELNS1_3gpuE3ELNS1_3repE0EEENS1_52radix_sort_onesweep_histogram_config_static_selectorELNS0_4arch9wavefront6targetE0EEEvSF_
; %bb.0:
	.section	.rodata,"a",@progbits
	.p2align	6, 0x0
	.amdhsa_kernel _ZN7rocprim17ROCPRIM_400000_NS6detail17trampoline_kernelINS0_14default_configENS1_35radix_sort_onesweep_config_selectorIiNS0_10empty_typeEEEZNS1_34radix_sort_onesweep_global_offsetsIS3_Lb0EN6thrust23THRUST_200600_302600_NS10device_ptrIiEEPS5_jNS0_19identity_decomposerEEE10hipError_tT1_T2_PT3_SH_jT4_jjP12ihipStream_tbEUlT_E0_NS1_11comp_targetILNS1_3genE9ELNS1_11target_archE1100ELNS1_3gpuE3ELNS1_3repE0EEENS1_52radix_sort_onesweep_histogram_config_static_selectorELNS0_4arch9wavefront6targetE0EEEvSF_
		.amdhsa_group_segment_fixed_size 0
		.amdhsa_private_segment_fixed_size 0
		.amdhsa_kernarg_size 8
		.amdhsa_user_sgpr_count 6
		.amdhsa_user_sgpr_private_segment_buffer 1
		.amdhsa_user_sgpr_dispatch_ptr 0
		.amdhsa_user_sgpr_queue_ptr 0
		.amdhsa_user_sgpr_kernarg_segment_ptr 1
		.amdhsa_user_sgpr_dispatch_id 0
		.amdhsa_user_sgpr_flat_scratch_init 0
		.amdhsa_user_sgpr_private_segment_size 0
		.amdhsa_wavefront_size32 1
		.amdhsa_uses_dynamic_stack 0
		.amdhsa_system_sgpr_private_segment_wavefront_offset 0
		.amdhsa_system_sgpr_workgroup_id_x 1
		.amdhsa_system_sgpr_workgroup_id_y 0
		.amdhsa_system_sgpr_workgroup_id_z 0
		.amdhsa_system_sgpr_workgroup_info 0
		.amdhsa_system_vgpr_workitem_id 0
		.amdhsa_next_free_vgpr 1
		.amdhsa_next_free_sgpr 1
		.amdhsa_reserve_vcc 0
		.amdhsa_reserve_flat_scratch 0
		.amdhsa_float_round_mode_32 0
		.amdhsa_float_round_mode_16_64 0
		.amdhsa_float_denorm_mode_32 3
		.amdhsa_float_denorm_mode_16_64 3
		.amdhsa_dx10_clamp 1
		.amdhsa_ieee_mode 1
		.amdhsa_fp16_overflow 0
		.amdhsa_workgroup_processor_mode 1
		.amdhsa_memory_ordered 1
		.amdhsa_forward_progress 1
		.amdhsa_shared_vgpr_count 0
		.amdhsa_exception_fp_ieee_invalid_op 0
		.amdhsa_exception_fp_denorm_src 0
		.amdhsa_exception_fp_ieee_div_zero 0
		.amdhsa_exception_fp_ieee_overflow 0
		.amdhsa_exception_fp_ieee_underflow 0
		.amdhsa_exception_fp_ieee_inexact 0
		.amdhsa_exception_int_div_zero 0
	.end_amdhsa_kernel
	.section	.text._ZN7rocprim17ROCPRIM_400000_NS6detail17trampoline_kernelINS0_14default_configENS1_35radix_sort_onesweep_config_selectorIiNS0_10empty_typeEEEZNS1_34radix_sort_onesweep_global_offsetsIS3_Lb0EN6thrust23THRUST_200600_302600_NS10device_ptrIiEEPS5_jNS0_19identity_decomposerEEE10hipError_tT1_T2_PT3_SH_jT4_jjP12ihipStream_tbEUlT_E0_NS1_11comp_targetILNS1_3genE9ELNS1_11target_archE1100ELNS1_3gpuE3ELNS1_3repE0EEENS1_52radix_sort_onesweep_histogram_config_static_selectorELNS0_4arch9wavefront6targetE0EEEvSF_,"axG",@progbits,_ZN7rocprim17ROCPRIM_400000_NS6detail17trampoline_kernelINS0_14default_configENS1_35radix_sort_onesweep_config_selectorIiNS0_10empty_typeEEEZNS1_34radix_sort_onesweep_global_offsetsIS3_Lb0EN6thrust23THRUST_200600_302600_NS10device_ptrIiEEPS5_jNS0_19identity_decomposerEEE10hipError_tT1_T2_PT3_SH_jT4_jjP12ihipStream_tbEUlT_E0_NS1_11comp_targetILNS1_3genE9ELNS1_11target_archE1100ELNS1_3gpuE3ELNS1_3repE0EEENS1_52radix_sort_onesweep_histogram_config_static_selectorELNS0_4arch9wavefront6targetE0EEEvSF_,comdat
.Lfunc_end1233:
	.size	_ZN7rocprim17ROCPRIM_400000_NS6detail17trampoline_kernelINS0_14default_configENS1_35radix_sort_onesweep_config_selectorIiNS0_10empty_typeEEEZNS1_34radix_sort_onesweep_global_offsetsIS3_Lb0EN6thrust23THRUST_200600_302600_NS10device_ptrIiEEPS5_jNS0_19identity_decomposerEEE10hipError_tT1_T2_PT3_SH_jT4_jjP12ihipStream_tbEUlT_E0_NS1_11comp_targetILNS1_3genE9ELNS1_11target_archE1100ELNS1_3gpuE3ELNS1_3repE0EEENS1_52radix_sort_onesweep_histogram_config_static_selectorELNS0_4arch9wavefront6targetE0EEEvSF_, .Lfunc_end1233-_ZN7rocprim17ROCPRIM_400000_NS6detail17trampoline_kernelINS0_14default_configENS1_35radix_sort_onesweep_config_selectorIiNS0_10empty_typeEEEZNS1_34radix_sort_onesweep_global_offsetsIS3_Lb0EN6thrust23THRUST_200600_302600_NS10device_ptrIiEEPS5_jNS0_19identity_decomposerEEE10hipError_tT1_T2_PT3_SH_jT4_jjP12ihipStream_tbEUlT_E0_NS1_11comp_targetILNS1_3genE9ELNS1_11target_archE1100ELNS1_3gpuE3ELNS1_3repE0EEENS1_52radix_sort_onesweep_histogram_config_static_selectorELNS0_4arch9wavefront6targetE0EEEvSF_
                                        ; -- End function
	.set _ZN7rocprim17ROCPRIM_400000_NS6detail17trampoline_kernelINS0_14default_configENS1_35radix_sort_onesweep_config_selectorIiNS0_10empty_typeEEEZNS1_34radix_sort_onesweep_global_offsetsIS3_Lb0EN6thrust23THRUST_200600_302600_NS10device_ptrIiEEPS5_jNS0_19identity_decomposerEEE10hipError_tT1_T2_PT3_SH_jT4_jjP12ihipStream_tbEUlT_E0_NS1_11comp_targetILNS1_3genE9ELNS1_11target_archE1100ELNS1_3gpuE3ELNS1_3repE0EEENS1_52radix_sort_onesweep_histogram_config_static_selectorELNS0_4arch9wavefront6targetE0EEEvSF_.num_vgpr, 0
	.set _ZN7rocprim17ROCPRIM_400000_NS6detail17trampoline_kernelINS0_14default_configENS1_35radix_sort_onesweep_config_selectorIiNS0_10empty_typeEEEZNS1_34radix_sort_onesweep_global_offsetsIS3_Lb0EN6thrust23THRUST_200600_302600_NS10device_ptrIiEEPS5_jNS0_19identity_decomposerEEE10hipError_tT1_T2_PT3_SH_jT4_jjP12ihipStream_tbEUlT_E0_NS1_11comp_targetILNS1_3genE9ELNS1_11target_archE1100ELNS1_3gpuE3ELNS1_3repE0EEENS1_52radix_sort_onesweep_histogram_config_static_selectorELNS0_4arch9wavefront6targetE0EEEvSF_.num_agpr, 0
	.set _ZN7rocprim17ROCPRIM_400000_NS6detail17trampoline_kernelINS0_14default_configENS1_35radix_sort_onesweep_config_selectorIiNS0_10empty_typeEEEZNS1_34radix_sort_onesweep_global_offsetsIS3_Lb0EN6thrust23THRUST_200600_302600_NS10device_ptrIiEEPS5_jNS0_19identity_decomposerEEE10hipError_tT1_T2_PT3_SH_jT4_jjP12ihipStream_tbEUlT_E0_NS1_11comp_targetILNS1_3genE9ELNS1_11target_archE1100ELNS1_3gpuE3ELNS1_3repE0EEENS1_52radix_sort_onesweep_histogram_config_static_selectorELNS0_4arch9wavefront6targetE0EEEvSF_.numbered_sgpr, 0
	.set _ZN7rocprim17ROCPRIM_400000_NS6detail17trampoline_kernelINS0_14default_configENS1_35radix_sort_onesweep_config_selectorIiNS0_10empty_typeEEEZNS1_34radix_sort_onesweep_global_offsetsIS3_Lb0EN6thrust23THRUST_200600_302600_NS10device_ptrIiEEPS5_jNS0_19identity_decomposerEEE10hipError_tT1_T2_PT3_SH_jT4_jjP12ihipStream_tbEUlT_E0_NS1_11comp_targetILNS1_3genE9ELNS1_11target_archE1100ELNS1_3gpuE3ELNS1_3repE0EEENS1_52radix_sort_onesweep_histogram_config_static_selectorELNS0_4arch9wavefront6targetE0EEEvSF_.num_named_barrier, 0
	.set _ZN7rocprim17ROCPRIM_400000_NS6detail17trampoline_kernelINS0_14default_configENS1_35radix_sort_onesweep_config_selectorIiNS0_10empty_typeEEEZNS1_34radix_sort_onesweep_global_offsetsIS3_Lb0EN6thrust23THRUST_200600_302600_NS10device_ptrIiEEPS5_jNS0_19identity_decomposerEEE10hipError_tT1_T2_PT3_SH_jT4_jjP12ihipStream_tbEUlT_E0_NS1_11comp_targetILNS1_3genE9ELNS1_11target_archE1100ELNS1_3gpuE3ELNS1_3repE0EEENS1_52radix_sort_onesweep_histogram_config_static_selectorELNS0_4arch9wavefront6targetE0EEEvSF_.private_seg_size, 0
	.set _ZN7rocprim17ROCPRIM_400000_NS6detail17trampoline_kernelINS0_14default_configENS1_35radix_sort_onesweep_config_selectorIiNS0_10empty_typeEEEZNS1_34radix_sort_onesweep_global_offsetsIS3_Lb0EN6thrust23THRUST_200600_302600_NS10device_ptrIiEEPS5_jNS0_19identity_decomposerEEE10hipError_tT1_T2_PT3_SH_jT4_jjP12ihipStream_tbEUlT_E0_NS1_11comp_targetILNS1_3genE9ELNS1_11target_archE1100ELNS1_3gpuE3ELNS1_3repE0EEENS1_52radix_sort_onesweep_histogram_config_static_selectorELNS0_4arch9wavefront6targetE0EEEvSF_.uses_vcc, 0
	.set _ZN7rocprim17ROCPRIM_400000_NS6detail17trampoline_kernelINS0_14default_configENS1_35radix_sort_onesweep_config_selectorIiNS0_10empty_typeEEEZNS1_34radix_sort_onesweep_global_offsetsIS3_Lb0EN6thrust23THRUST_200600_302600_NS10device_ptrIiEEPS5_jNS0_19identity_decomposerEEE10hipError_tT1_T2_PT3_SH_jT4_jjP12ihipStream_tbEUlT_E0_NS1_11comp_targetILNS1_3genE9ELNS1_11target_archE1100ELNS1_3gpuE3ELNS1_3repE0EEENS1_52radix_sort_onesweep_histogram_config_static_selectorELNS0_4arch9wavefront6targetE0EEEvSF_.uses_flat_scratch, 0
	.set _ZN7rocprim17ROCPRIM_400000_NS6detail17trampoline_kernelINS0_14default_configENS1_35radix_sort_onesweep_config_selectorIiNS0_10empty_typeEEEZNS1_34radix_sort_onesweep_global_offsetsIS3_Lb0EN6thrust23THRUST_200600_302600_NS10device_ptrIiEEPS5_jNS0_19identity_decomposerEEE10hipError_tT1_T2_PT3_SH_jT4_jjP12ihipStream_tbEUlT_E0_NS1_11comp_targetILNS1_3genE9ELNS1_11target_archE1100ELNS1_3gpuE3ELNS1_3repE0EEENS1_52radix_sort_onesweep_histogram_config_static_selectorELNS0_4arch9wavefront6targetE0EEEvSF_.has_dyn_sized_stack, 0
	.set _ZN7rocprim17ROCPRIM_400000_NS6detail17trampoline_kernelINS0_14default_configENS1_35radix_sort_onesweep_config_selectorIiNS0_10empty_typeEEEZNS1_34radix_sort_onesweep_global_offsetsIS3_Lb0EN6thrust23THRUST_200600_302600_NS10device_ptrIiEEPS5_jNS0_19identity_decomposerEEE10hipError_tT1_T2_PT3_SH_jT4_jjP12ihipStream_tbEUlT_E0_NS1_11comp_targetILNS1_3genE9ELNS1_11target_archE1100ELNS1_3gpuE3ELNS1_3repE0EEENS1_52radix_sort_onesweep_histogram_config_static_selectorELNS0_4arch9wavefront6targetE0EEEvSF_.has_recursion, 0
	.set _ZN7rocprim17ROCPRIM_400000_NS6detail17trampoline_kernelINS0_14default_configENS1_35radix_sort_onesweep_config_selectorIiNS0_10empty_typeEEEZNS1_34radix_sort_onesweep_global_offsetsIS3_Lb0EN6thrust23THRUST_200600_302600_NS10device_ptrIiEEPS5_jNS0_19identity_decomposerEEE10hipError_tT1_T2_PT3_SH_jT4_jjP12ihipStream_tbEUlT_E0_NS1_11comp_targetILNS1_3genE9ELNS1_11target_archE1100ELNS1_3gpuE3ELNS1_3repE0EEENS1_52radix_sort_onesweep_histogram_config_static_selectorELNS0_4arch9wavefront6targetE0EEEvSF_.has_indirect_call, 0
	.section	.AMDGPU.csdata,"",@progbits
; Kernel info:
; codeLenInByte = 0
; TotalNumSgprs: 0
; NumVgprs: 0
; ScratchSize: 0
; MemoryBound: 0
; FloatMode: 240
; IeeeMode: 1
; LDSByteSize: 0 bytes/workgroup (compile time only)
; SGPRBlocks: 0
; VGPRBlocks: 0
; NumSGPRsForWavesPerEU: 1
; NumVGPRsForWavesPerEU: 1
; Occupancy: 16
; WaveLimiterHint : 0
; COMPUTE_PGM_RSRC2:SCRATCH_EN: 0
; COMPUTE_PGM_RSRC2:USER_SGPR: 6
; COMPUTE_PGM_RSRC2:TRAP_HANDLER: 0
; COMPUTE_PGM_RSRC2:TGID_X_EN: 1
; COMPUTE_PGM_RSRC2:TGID_Y_EN: 0
; COMPUTE_PGM_RSRC2:TGID_Z_EN: 0
; COMPUTE_PGM_RSRC2:TIDIG_COMP_CNT: 0
	.section	.text._ZN7rocprim17ROCPRIM_400000_NS6detail17trampoline_kernelINS0_14default_configENS1_35radix_sort_onesweep_config_selectorIiNS0_10empty_typeEEEZNS1_34radix_sort_onesweep_global_offsetsIS3_Lb0EN6thrust23THRUST_200600_302600_NS10device_ptrIiEEPS5_jNS0_19identity_decomposerEEE10hipError_tT1_T2_PT3_SH_jT4_jjP12ihipStream_tbEUlT_E0_NS1_11comp_targetILNS1_3genE8ELNS1_11target_archE1030ELNS1_3gpuE2ELNS1_3repE0EEENS1_52radix_sort_onesweep_histogram_config_static_selectorELNS0_4arch9wavefront6targetE0EEEvSF_,"axG",@progbits,_ZN7rocprim17ROCPRIM_400000_NS6detail17trampoline_kernelINS0_14default_configENS1_35radix_sort_onesweep_config_selectorIiNS0_10empty_typeEEEZNS1_34radix_sort_onesweep_global_offsetsIS3_Lb0EN6thrust23THRUST_200600_302600_NS10device_ptrIiEEPS5_jNS0_19identity_decomposerEEE10hipError_tT1_T2_PT3_SH_jT4_jjP12ihipStream_tbEUlT_E0_NS1_11comp_targetILNS1_3genE8ELNS1_11target_archE1030ELNS1_3gpuE2ELNS1_3repE0EEENS1_52radix_sort_onesweep_histogram_config_static_selectorELNS0_4arch9wavefront6targetE0EEEvSF_,comdat
	.protected	_ZN7rocprim17ROCPRIM_400000_NS6detail17trampoline_kernelINS0_14default_configENS1_35radix_sort_onesweep_config_selectorIiNS0_10empty_typeEEEZNS1_34radix_sort_onesweep_global_offsetsIS3_Lb0EN6thrust23THRUST_200600_302600_NS10device_ptrIiEEPS5_jNS0_19identity_decomposerEEE10hipError_tT1_T2_PT3_SH_jT4_jjP12ihipStream_tbEUlT_E0_NS1_11comp_targetILNS1_3genE8ELNS1_11target_archE1030ELNS1_3gpuE2ELNS1_3repE0EEENS1_52radix_sort_onesweep_histogram_config_static_selectorELNS0_4arch9wavefront6targetE0EEEvSF_ ; -- Begin function _ZN7rocprim17ROCPRIM_400000_NS6detail17trampoline_kernelINS0_14default_configENS1_35radix_sort_onesweep_config_selectorIiNS0_10empty_typeEEEZNS1_34radix_sort_onesweep_global_offsetsIS3_Lb0EN6thrust23THRUST_200600_302600_NS10device_ptrIiEEPS5_jNS0_19identity_decomposerEEE10hipError_tT1_T2_PT3_SH_jT4_jjP12ihipStream_tbEUlT_E0_NS1_11comp_targetILNS1_3genE8ELNS1_11target_archE1030ELNS1_3gpuE2ELNS1_3repE0EEENS1_52radix_sort_onesweep_histogram_config_static_selectorELNS0_4arch9wavefront6targetE0EEEvSF_
	.globl	_ZN7rocprim17ROCPRIM_400000_NS6detail17trampoline_kernelINS0_14default_configENS1_35radix_sort_onesweep_config_selectorIiNS0_10empty_typeEEEZNS1_34radix_sort_onesweep_global_offsetsIS3_Lb0EN6thrust23THRUST_200600_302600_NS10device_ptrIiEEPS5_jNS0_19identity_decomposerEEE10hipError_tT1_T2_PT3_SH_jT4_jjP12ihipStream_tbEUlT_E0_NS1_11comp_targetILNS1_3genE8ELNS1_11target_archE1030ELNS1_3gpuE2ELNS1_3repE0EEENS1_52radix_sort_onesweep_histogram_config_static_selectorELNS0_4arch9wavefront6targetE0EEEvSF_
	.p2align	8
	.type	_ZN7rocprim17ROCPRIM_400000_NS6detail17trampoline_kernelINS0_14default_configENS1_35radix_sort_onesweep_config_selectorIiNS0_10empty_typeEEEZNS1_34radix_sort_onesweep_global_offsetsIS3_Lb0EN6thrust23THRUST_200600_302600_NS10device_ptrIiEEPS5_jNS0_19identity_decomposerEEE10hipError_tT1_T2_PT3_SH_jT4_jjP12ihipStream_tbEUlT_E0_NS1_11comp_targetILNS1_3genE8ELNS1_11target_archE1030ELNS1_3gpuE2ELNS1_3repE0EEENS1_52radix_sort_onesweep_histogram_config_static_selectorELNS0_4arch9wavefront6targetE0EEEvSF_,@function
_ZN7rocprim17ROCPRIM_400000_NS6detail17trampoline_kernelINS0_14default_configENS1_35radix_sort_onesweep_config_selectorIiNS0_10empty_typeEEEZNS1_34radix_sort_onesweep_global_offsetsIS3_Lb0EN6thrust23THRUST_200600_302600_NS10device_ptrIiEEPS5_jNS0_19identity_decomposerEEE10hipError_tT1_T2_PT3_SH_jT4_jjP12ihipStream_tbEUlT_E0_NS1_11comp_targetILNS1_3genE8ELNS1_11target_archE1030ELNS1_3gpuE2ELNS1_3repE0EEENS1_52radix_sort_onesweep_histogram_config_static_selectorELNS0_4arch9wavefront6targetE0EEEvSF_: ; @_ZN7rocprim17ROCPRIM_400000_NS6detail17trampoline_kernelINS0_14default_configENS1_35radix_sort_onesweep_config_selectorIiNS0_10empty_typeEEEZNS1_34radix_sort_onesweep_global_offsetsIS3_Lb0EN6thrust23THRUST_200600_302600_NS10device_ptrIiEEPS5_jNS0_19identity_decomposerEEE10hipError_tT1_T2_PT3_SH_jT4_jjP12ihipStream_tbEUlT_E0_NS1_11comp_targetILNS1_3genE8ELNS1_11target_archE1030ELNS1_3gpuE2ELNS1_3repE0EEENS1_52radix_sort_onesweep_histogram_config_static_selectorELNS0_4arch9wavefront6targetE0EEEvSF_
; %bb.0:
	s_load_dwordx2 s[0:1], s[4:5], 0x0
	s_lshl_b32 s2, s6, 8
	s_mov_b32 s3, 0
	v_cmp_gt_u32_e32 vcc_lo, 0x100, v0
	s_lshl_b64 s[2:3], s[2:3], 2
	v_lshlrev_b32_e32 v1, 2, v0
                                        ; implicit-def: $vgpr3
	s_waitcnt lgkmcnt(0)
	s_add_u32 s8, s0, s2
	s_addc_u32 s9, s1, s3
	s_and_saveexec_b32 s0, vcc_lo
	s_cbranch_execz .LBB1234_2
; %bb.1:
	global_load_dword v3, v1, s[8:9]
.LBB1234_2:
	s_or_b32 exec_lo, exec_lo, s0
	v_mbcnt_lo_u32_b32 v2, -1, 0
	s_waitcnt vmcnt(0)
	v_mov_b32_dpp v5, v3 row_shr:1 row_mask:0xf bank_mask:0xf
	v_and_b32_e32 v7, 31, v0
	s_mov_b32 s6, exec_lo
	v_and_b32_e32 v4, 15, v2
	v_and_b32_e32 v6, 16, v2
	v_cmp_eq_u32_e64 s0, 0, v4
	v_cmp_lt_u32_e64 s1, 1, v4
	v_cmp_lt_u32_e64 s2, 3, v4
	v_cmp_lt_u32_e64 s3, 7, v4
	v_cmp_eq_u32_e64 s4, 0, v6
	v_cndmask_b32_e64 v5, v5, 0, s0
	v_add_nc_u32_e32 v3, v5, v3
	v_mov_b32_dpp v5, v3 row_shr:2 row_mask:0xf bank_mask:0xf
	v_cndmask_b32_e64 v5, 0, v5, s1
	v_add_nc_u32_e32 v3, v3, v5
	v_mov_b32_dpp v5, v3 row_shr:4 row_mask:0xf bank_mask:0xf
	;; [unrolled: 3-line block ×3, first 2 shown]
	v_cndmask_b32_e64 v4, 0, v5, s3
	v_bfe_i32 v5, v2, 4, 1
	v_add_nc_u32_e32 v3, v3, v4
	ds_swizzle_b32 v4, v3 offset:swizzle(BROADCAST,32,15)
	s_waitcnt lgkmcnt(0)
	v_and_b32_e32 v5, v5, v4
	v_lshrrev_b32_e32 v4, 5, v0
	v_add_nc_u32_e32 v3, v3, v5
	v_cmpx_eq_u32_e32 31, v7
; %bb.3:
	v_lshlrev_b32_e32 v5, 2, v4
	ds_write_b32 v5, v3
; %bb.4:
	s_or_b32 exec_lo, exec_lo, s6
	v_cmp_lt_u32_e64 s5, 31, v0
	s_mov_b32 s7, exec_lo
	s_waitcnt lgkmcnt(0)
	s_barrier
	buffer_gl0_inv
	v_cmpx_gt_u32_e32 32, v0
	s_cbranch_execz .LBB1234_6
; %bb.5:
	ds_read_b32 v0, v1
	s_waitcnt lgkmcnt(0)
	v_mov_b32_dpp v5, v0 row_shr:1 row_mask:0xf bank_mask:0xf
	v_cndmask_b32_e64 v5, v5, 0, s0
	v_add_nc_u32_e32 v0, v5, v0
	v_mov_b32_dpp v5, v0 row_shr:2 row_mask:0xf bank_mask:0xf
	v_cndmask_b32_e64 v5, 0, v5, s1
	v_add_nc_u32_e32 v0, v0, v5
	;; [unrolled: 3-line block ×4, first 2 shown]
	ds_swizzle_b32 v5, v0 offset:swizzle(BROADCAST,32,15)
	s_waitcnt lgkmcnt(0)
	v_cndmask_b32_e64 v5, v5, 0, s4
	v_add_nc_u32_e32 v0, v0, v5
	ds_write_b32 v1, v0
.LBB1234_6:
	s_or_b32 exec_lo, exec_lo, s7
	v_mov_b32_e32 v0, 0
	s_waitcnt lgkmcnt(0)
	s_barrier
	buffer_gl0_inv
	s_and_saveexec_b32 s0, s5
; %bb.7:
	v_lshl_add_u32 v0, v4, 2, -4
	ds_read_b32 v0, v0
; %bb.8:
	s_or_b32 exec_lo, exec_lo, s0
	v_add_nc_u32_e32 v4, -1, v2
	s_waitcnt lgkmcnt(0)
	v_add_nc_u32_e32 v3, v0, v3
	v_cmp_gt_i32_e64 s0, 0, v4
	v_cndmask_b32_e64 v4, v4, v2, s0
	v_lshlrev_b32_e32 v4, 2, v4
	ds_bpermute_b32 v3, v4, v3
	s_and_saveexec_b32 s0, vcc_lo
	s_cbranch_execz .LBB1234_10
; %bb.9:
	v_cmp_eq_u32_e32 vcc_lo, 0, v2
	s_waitcnt lgkmcnt(0)
	v_cndmask_b32_e32 v0, v3, v0, vcc_lo
	global_store_dword v1, v0, s[8:9]
.LBB1234_10:
	s_endpgm
	.section	.rodata,"a",@progbits
	.p2align	6, 0x0
	.amdhsa_kernel _ZN7rocprim17ROCPRIM_400000_NS6detail17trampoline_kernelINS0_14default_configENS1_35radix_sort_onesweep_config_selectorIiNS0_10empty_typeEEEZNS1_34radix_sort_onesweep_global_offsetsIS3_Lb0EN6thrust23THRUST_200600_302600_NS10device_ptrIiEEPS5_jNS0_19identity_decomposerEEE10hipError_tT1_T2_PT3_SH_jT4_jjP12ihipStream_tbEUlT_E0_NS1_11comp_targetILNS1_3genE8ELNS1_11target_archE1030ELNS1_3gpuE2ELNS1_3repE0EEENS1_52radix_sort_onesweep_histogram_config_static_selectorELNS0_4arch9wavefront6targetE0EEEvSF_
		.amdhsa_group_segment_fixed_size 128
		.amdhsa_private_segment_fixed_size 0
		.amdhsa_kernarg_size 8
		.amdhsa_user_sgpr_count 6
		.amdhsa_user_sgpr_private_segment_buffer 1
		.amdhsa_user_sgpr_dispatch_ptr 0
		.amdhsa_user_sgpr_queue_ptr 0
		.amdhsa_user_sgpr_kernarg_segment_ptr 1
		.amdhsa_user_sgpr_dispatch_id 0
		.amdhsa_user_sgpr_flat_scratch_init 0
		.amdhsa_user_sgpr_private_segment_size 0
		.amdhsa_wavefront_size32 1
		.amdhsa_uses_dynamic_stack 0
		.amdhsa_system_sgpr_private_segment_wavefront_offset 0
		.amdhsa_system_sgpr_workgroup_id_x 1
		.amdhsa_system_sgpr_workgroup_id_y 0
		.amdhsa_system_sgpr_workgroup_id_z 0
		.amdhsa_system_sgpr_workgroup_info 0
		.amdhsa_system_vgpr_workitem_id 0
		.amdhsa_next_free_vgpr 8
		.amdhsa_next_free_sgpr 10
		.amdhsa_reserve_vcc 1
		.amdhsa_reserve_flat_scratch 0
		.amdhsa_float_round_mode_32 0
		.amdhsa_float_round_mode_16_64 0
		.amdhsa_float_denorm_mode_32 3
		.amdhsa_float_denorm_mode_16_64 3
		.amdhsa_dx10_clamp 1
		.amdhsa_ieee_mode 1
		.amdhsa_fp16_overflow 0
		.amdhsa_workgroup_processor_mode 1
		.amdhsa_memory_ordered 1
		.amdhsa_forward_progress 1
		.amdhsa_shared_vgpr_count 0
		.amdhsa_exception_fp_ieee_invalid_op 0
		.amdhsa_exception_fp_denorm_src 0
		.amdhsa_exception_fp_ieee_div_zero 0
		.amdhsa_exception_fp_ieee_overflow 0
		.amdhsa_exception_fp_ieee_underflow 0
		.amdhsa_exception_fp_ieee_inexact 0
		.amdhsa_exception_int_div_zero 0
	.end_amdhsa_kernel
	.section	.text._ZN7rocprim17ROCPRIM_400000_NS6detail17trampoline_kernelINS0_14default_configENS1_35radix_sort_onesweep_config_selectorIiNS0_10empty_typeEEEZNS1_34radix_sort_onesweep_global_offsetsIS3_Lb0EN6thrust23THRUST_200600_302600_NS10device_ptrIiEEPS5_jNS0_19identity_decomposerEEE10hipError_tT1_T2_PT3_SH_jT4_jjP12ihipStream_tbEUlT_E0_NS1_11comp_targetILNS1_3genE8ELNS1_11target_archE1030ELNS1_3gpuE2ELNS1_3repE0EEENS1_52radix_sort_onesweep_histogram_config_static_selectorELNS0_4arch9wavefront6targetE0EEEvSF_,"axG",@progbits,_ZN7rocprim17ROCPRIM_400000_NS6detail17trampoline_kernelINS0_14default_configENS1_35radix_sort_onesweep_config_selectorIiNS0_10empty_typeEEEZNS1_34radix_sort_onesweep_global_offsetsIS3_Lb0EN6thrust23THRUST_200600_302600_NS10device_ptrIiEEPS5_jNS0_19identity_decomposerEEE10hipError_tT1_T2_PT3_SH_jT4_jjP12ihipStream_tbEUlT_E0_NS1_11comp_targetILNS1_3genE8ELNS1_11target_archE1030ELNS1_3gpuE2ELNS1_3repE0EEENS1_52radix_sort_onesweep_histogram_config_static_selectorELNS0_4arch9wavefront6targetE0EEEvSF_,comdat
.Lfunc_end1234:
	.size	_ZN7rocprim17ROCPRIM_400000_NS6detail17trampoline_kernelINS0_14default_configENS1_35radix_sort_onesweep_config_selectorIiNS0_10empty_typeEEEZNS1_34radix_sort_onesweep_global_offsetsIS3_Lb0EN6thrust23THRUST_200600_302600_NS10device_ptrIiEEPS5_jNS0_19identity_decomposerEEE10hipError_tT1_T2_PT3_SH_jT4_jjP12ihipStream_tbEUlT_E0_NS1_11comp_targetILNS1_3genE8ELNS1_11target_archE1030ELNS1_3gpuE2ELNS1_3repE0EEENS1_52radix_sort_onesweep_histogram_config_static_selectorELNS0_4arch9wavefront6targetE0EEEvSF_, .Lfunc_end1234-_ZN7rocprim17ROCPRIM_400000_NS6detail17trampoline_kernelINS0_14default_configENS1_35radix_sort_onesweep_config_selectorIiNS0_10empty_typeEEEZNS1_34radix_sort_onesweep_global_offsetsIS3_Lb0EN6thrust23THRUST_200600_302600_NS10device_ptrIiEEPS5_jNS0_19identity_decomposerEEE10hipError_tT1_T2_PT3_SH_jT4_jjP12ihipStream_tbEUlT_E0_NS1_11comp_targetILNS1_3genE8ELNS1_11target_archE1030ELNS1_3gpuE2ELNS1_3repE0EEENS1_52radix_sort_onesweep_histogram_config_static_selectorELNS0_4arch9wavefront6targetE0EEEvSF_
                                        ; -- End function
	.set _ZN7rocprim17ROCPRIM_400000_NS6detail17trampoline_kernelINS0_14default_configENS1_35radix_sort_onesweep_config_selectorIiNS0_10empty_typeEEEZNS1_34radix_sort_onesweep_global_offsetsIS3_Lb0EN6thrust23THRUST_200600_302600_NS10device_ptrIiEEPS5_jNS0_19identity_decomposerEEE10hipError_tT1_T2_PT3_SH_jT4_jjP12ihipStream_tbEUlT_E0_NS1_11comp_targetILNS1_3genE8ELNS1_11target_archE1030ELNS1_3gpuE2ELNS1_3repE0EEENS1_52radix_sort_onesweep_histogram_config_static_selectorELNS0_4arch9wavefront6targetE0EEEvSF_.num_vgpr, 8
	.set _ZN7rocprim17ROCPRIM_400000_NS6detail17trampoline_kernelINS0_14default_configENS1_35radix_sort_onesweep_config_selectorIiNS0_10empty_typeEEEZNS1_34radix_sort_onesweep_global_offsetsIS3_Lb0EN6thrust23THRUST_200600_302600_NS10device_ptrIiEEPS5_jNS0_19identity_decomposerEEE10hipError_tT1_T2_PT3_SH_jT4_jjP12ihipStream_tbEUlT_E0_NS1_11comp_targetILNS1_3genE8ELNS1_11target_archE1030ELNS1_3gpuE2ELNS1_3repE0EEENS1_52radix_sort_onesweep_histogram_config_static_selectorELNS0_4arch9wavefront6targetE0EEEvSF_.num_agpr, 0
	.set _ZN7rocprim17ROCPRIM_400000_NS6detail17trampoline_kernelINS0_14default_configENS1_35radix_sort_onesweep_config_selectorIiNS0_10empty_typeEEEZNS1_34radix_sort_onesweep_global_offsetsIS3_Lb0EN6thrust23THRUST_200600_302600_NS10device_ptrIiEEPS5_jNS0_19identity_decomposerEEE10hipError_tT1_T2_PT3_SH_jT4_jjP12ihipStream_tbEUlT_E0_NS1_11comp_targetILNS1_3genE8ELNS1_11target_archE1030ELNS1_3gpuE2ELNS1_3repE0EEENS1_52radix_sort_onesweep_histogram_config_static_selectorELNS0_4arch9wavefront6targetE0EEEvSF_.numbered_sgpr, 10
	.set _ZN7rocprim17ROCPRIM_400000_NS6detail17trampoline_kernelINS0_14default_configENS1_35radix_sort_onesweep_config_selectorIiNS0_10empty_typeEEEZNS1_34radix_sort_onesweep_global_offsetsIS3_Lb0EN6thrust23THRUST_200600_302600_NS10device_ptrIiEEPS5_jNS0_19identity_decomposerEEE10hipError_tT1_T2_PT3_SH_jT4_jjP12ihipStream_tbEUlT_E0_NS1_11comp_targetILNS1_3genE8ELNS1_11target_archE1030ELNS1_3gpuE2ELNS1_3repE0EEENS1_52radix_sort_onesweep_histogram_config_static_selectorELNS0_4arch9wavefront6targetE0EEEvSF_.num_named_barrier, 0
	.set _ZN7rocprim17ROCPRIM_400000_NS6detail17trampoline_kernelINS0_14default_configENS1_35radix_sort_onesweep_config_selectorIiNS0_10empty_typeEEEZNS1_34radix_sort_onesweep_global_offsetsIS3_Lb0EN6thrust23THRUST_200600_302600_NS10device_ptrIiEEPS5_jNS0_19identity_decomposerEEE10hipError_tT1_T2_PT3_SH_jT4_jjP12ihipStream_tbEUlT_E0_NS1_11comp_targetILNS1_3genE8ELNS1_11target_archE1030ELNS1_3gpuE2ELNS1_3repE0EEENS1_52radix_sort_onesweep_histogram_config_static_selectorELNS0_4arch9wavefront6targetE0EEEvSF_.private_seg_size, 0
	.set _ZN7rocprim17ROCPRIM_400000_NS6detail17trampoline_kernelINS0_14default_configENS1_35radix_sort_onesweep_config_selectorIiNS0_10empty_typeEEEZNS1_34radix_sort_onesweep_global_offsetsIS3_Lb0EN6thrust23THRUST_200600_302600_NS10device_ptrIiEEPS5_jNS0_19identity_decomposerEEE10hipError_tT1_T2_PT3_SH_jT4_jjP12ihipStream_tbEUlT_E0_NS1_11comp_targetILNS1_3genE8ELNS1_11target_archE1030ELNS1_3gpuE2ELNS1_3repE0EEENS1_52radix_sort_onesweep_histogram_config_static_selectorELNS0_4arch9wavefront6targetE0EEEvSF_.uses_vcc, 1
	.set _ZN7rocprim17ROCPRIM_400000_NS6detail17trampoline_kernelINS0_14default_configENS1_35radix_sort_onesweep_config_selectorIiNS0_10empty_typeEEEZNS1_34radix_sort_onesweep_global_offsetsIS3_Lb0EN6thrust23THRUST_200600_302600_NS10device_ptrIiEEPS5_jNS0_19identity_decomposerEEE10hipError_tT1_T2_PT3_SH_jT4_jjP12ihipStream_tbEUlT_E0_NS1_11comp_targetILNS1_3genE8ELNS1_11target_archE1030ELNS1_3gpuE2ELNS1_3repE0EEENS1_52radix_sort_onesweep_histogram_config_static_selectorELNS0_4arch9wavefront6targetE0EEEvSF_.uses_flat_scratch, 0
	.set _ZN7rocprim17ROCPRIM_400000_NS6detail17trampoline_kernelINS0_14default_configENS1_35radix_sort_onesweep_config_selectorIiNS0_10empty_typeEEEZNS1_34radix_sort_onesweep_global_offsetsIS3_Lb0EN6thrust23THRUST_200600_302600_NS10device_ptrIiEEPS5_jNS0_19identity_decomposerEEE10hipError_tT1_T2_PT3_SH_jT4_jjP12ihipStream_tbEUlT_E0_NS1_11comp_targetILNS1_3genE8ELNS1_11target_archE1030ELNS1_3gpuE2ELNS1_3repE0EEENS1_52radix_sort_onesweep_histogram_config_static_selectorELNS0_4arch9wavefront6targetE0EEEvSF_.has_dyn_sized_stack, 0
	.set _ZN7rocprim17ROCPRIM_400000_NS6detail17trampoline_kernelINS0_14default_configENS1_35radix_sort_onesweep_config_selectorIiNS0_10empty_typeEEEZNS1_34radix_sort_onesweep_global_offsetsIS3_Lb0EN6thrust23THRUST_200600_302600_NS10device_ptrIiEEPS5_jNS0_19identity_decomposerEEE10hipError_tT1_T2_PT3_SH_jT4_jjP12ihipStream_tbEUlT_E0_NS1_11comp_targetILNS1_3genE8ELNS1_11target_archE1030ELNS1_3gpuE2ELNS1_3repE0EEENS1_52radix_sort_onesweep_histogram_config_static_selectorELNS0_4arch9wavefront6targetE0EEEvSF_.has_recursion, 0
	.set _ZN7rocprim17ROCPRIM_400000_NS6detail17trampoline_kernelINS0_14default_configENS1_35radix_sort_onesweep_config_selectorIiNS0_10empty_typeEEEZNS1_34radix_sort_onesweep_global_offsetsIS3_Lb0EN6thrust23THRUST_200600_302600_NS10device_ptrIiEEPS5_jNS0_19identity_decomposerEEE10hipError_tT1_T2_PT3_SH_jT4_jjP12ihipStream_tbEUlT_E0_NS1_11comp_targetILNS1_3genE8ELNS1_11target_archE1030ELNS1_3gpuE2ELNS1_3repE0EEENS1_52radix_sort_onesweep_histogram_config_static_selectorELNS0_4arch9wavefront6targetE0EEEvSF_.has_indirect_call, 0
	.section	.AMDGPU.csdata,"",@progbits
; Kernel info:
; codeLenInByte = 544
; TotalNumSgprs: 12
; NumVgprs: 8
; ScratchSize: 0
; MemoryBound: 0
; FloatMode: 240
; IeeeMode: 1
; LDSByteSize: 128 bytes/workgroup (compile time only)
; SGPRBlocks: 0
; VGPRBlocks: 0
; NumSGPRsForWavesPerEU: 12
; NumVGPRsForWavesPerEU: 8
; Occupancy: 16
; WaveLimiterHint : 0
; COMPUTE_PGM_RSRC2:SCRATCH_EN: 0
; COMPUTE_PGM_RSRC2:USER_SGPR: 6
; COMPUTE_PGM_RSRC2:TRAP_HANDLER: 0
; COMPUTE_PGM_RSRC2:TGID_X_EN: 1
; COMPUTE_PGM_RSRC2:TGID_Y_EN: 0
; COMPUTE_PGM_RSRC2:TGID_Z_EN: 0
; COMPUTE_PGM_RSRC2:TIDIG_COMP_CNT: 0
	.section	.text._ZN7rocprim17ROCPRIM_400000_NS6detail17trampoline_kernelINS0_14default_configENS1_25transform_config_selectorIiLb0EEEZNS1_14transform_implILb0ES3_S5_N6thrust23THRUST_200600_302600_NS10device_ptrIiEEPiNS0_8identityIiEEEE10hipError_tT2_T3_mT4_P12ihipStream_tbEUlT_E_NS1_11comp_targetILNS1_3genE0ELNS1_11target_archE4294967295ELNS1_3gpuE0ELNS1_3repE0EEENS1_30default_config_static_selectorELNS0_4arch9wavefront6targetE0EEEvT1_,"axG",@progbits,_ZN7rocprim17ROCPRIM_400000_NS6detail17trampoline_kernelINS0_14default_configENS1_25transform_config_selectorIiLb0EEEZNS1_14transform_implILb0ES3_S5_N6thrust23THRUST_200600_302600_NS10device_ptrIiEEPiNS0_8identityIiEEEE10hipError_tT2_T3_mT4_P12ihipStream_tbEUlT_E_NS1_11comp_targetILNS1_3genE0ELNS1_11target_archE4294967295ELNS1_3gpuE0ELNS1_3repE0EEENS1_30default_config_static_selectorELNS0_4arch9wavefront6targetE0EEEvT1_,comdat
	.protected	_ZN7rocprim17ROCPRIM_400000_NS6detail17trampoline_kernelINS0_14default_configENS1_25transform_config_selectorIiLb0EEEZNS1_14transform_implILb0ES3_S5_N6thrust23THRUST_200600_302600_NS10device_ptrIiEEPiNS0_8identityIiEEEE10hipError_tT2_T3_mT4_P12ihipStream_tbEUlT_E_NS1_11comp_targetILNS1_3genE0ELNS1_11target_archE4294967295ELNS1_3gpuE0ELNS1_3repE0EEENS1_30default_config_static_selectorELNS0_4arch9wavefront6targetE0EEEvT1_ ; -- Begin function _ZN7rocprim17ROCPRIM_400000_NS6detail17trampoline_kernelINS0_14default_configENS1_25transform_config_selectorIiLb0EEEZNS1_14transform_implILb0ES3_S5_N6thrust23THRUST_200600_302600_NS10device_ptrIiEEPiNS0_8identityIiEEEE10hipError_tT2_T3_mT4_P12ihipStream_tbEUlT_E_NS1_11comp_targetILNS1_3genE0ELNS1_11target_archE4294967295ELNS1_3gpuE0ELNS1_3repE0EEENS1_30default_config_static_selectorELNS0_4arch9wavefront6targetE0EEEvT1_
	.globl	_ZN7rocprim17ROCPRIM_400000_NS6detail17trampoline_kernelINS0_14default_configENS1_25transform_config_selectorIiLb0EEEZNS1_14transform_implILb0ES3_S5_N6thrust23THRUST_200600_302600_NS10device_ptrIiEEPiNS0_8identityIiEEEE10hipError_tT2_T3_mT4_P12ihipStream_tbEUlT_E_NS1_11comp_targetILNS1_3genE0ELNS1_11target_archE4294967295ELNS1_3gpuE0ELNS1_3repE0EEENS1_30default_config_static_selectorELNS0_4arch9wavefront6targetE0EEEvT1_
	.p2align	8
	.type	_ZN7rocprim17ROCPRIM_400000_NS6detail17trampoline_kernelINS0_14default_configENS1_25transform_config_selectorIiLb0EEEZNS1_14transform_implILb0ES3_S5_N6thrust23THRUST_200600_302600_NS10device_ptrIiEEPiNS0_8identityIiEEEE10hipError_tT2_T3_mT4_P12ihipStream_tbEUlT_E_NS1_11comp_targetILNS1_3genE0ELNS1_11target_archE4294967295ELNS1_3gpuE0ELNS1_3repE0EEENS1_30default_config_static_selectorELNS0_4arch9wavefront6targetE0EEEvT1_,@function
_ZN7rocprim17ROCPRIM_400000_NS6detail17trampoline_kernelINS0_14default_configENS1_25transform_config_selectorIiLb0EEEZNS1_14transform_implILb0ES3_S5_N6thrust23THRUST_200600_302600_NS10device_ptrIiEEPiNS0_8identityIiEEEE10hipError_tT2_T3_mT4_P12ihipStream_tbEUlT_E_NS1_11comp_targetILNS1_3genE0ELNS1_11target_archE4294967295ELNS1_3gpuE0ELNS1_3repE0EEENS1_30default_config_static_selectorELNS0_4arch9wavefront6targetE0EEEvT1_: ; @_ZN7rocprim17ROCPRIM_400000_NS6detail17trampoline_kernelINS0_14default_configENS1_25transform_config_selectorIiLb0EEEZNS1_14transform_implILb0ES3_S5_N6thrust23THRUST_200600_302600_NS10device_ptrIiEEPiNS0_8identityIiEEEE10hipError_tT2_T3_mT4_P12ihipStream_tbEUlT_E_NS1_11comp_targetILNS1_3genE0ELNS1_11target_archE4294967295ELNS1_3gpuE0ELNS1_3repE0EEENS1_30default_config_static_selectorELNS0_4arch9wavefront6targetE0EEEvT1_
; %bb.0:
	.section	.rodata,"a",@progbits
	.p2align	6, 0x0
	.amdhsa_kernel _ZN7rocprim17ROCPRIM_400000_NS6detail17trampoline_kernelINS0_14default_configENS1_25transform_config_selectorIiLb0EEEZNS1_14transform_implILb0ES3_S5_N6thrust23THRUST_200600_302600_NS10device_ptrIiEEPiNS0_8identityIiEEEE10hipError_tT2_T3_mT4_P12ihipStream_tbEUlT_E_NS1_11comp_targetILNS1_3genE0ELNS1_11target_archE4294967295ELNS1_3gpuE0ELNS1_3repE0EEENS1_30default_config_static_selectorELNS0_4arch9wavefront6targetE0EEEvT1_
		.amdhsa_group_segment_fixed_size 0
		.amdhsa_private_segment_fixed_size 0
		.amdhsa_kernarg_size 40
		.amdhsa_user_sgpr_count 6
		.amdhsa_user_sgpr_private_segment_buffer 1
		.amdhsa_user_sgpr_dispatch_ptr 0
		.amdhsa_user_sgpr_queue_ptr 0
		.amdhsa_user_sgpr_kernarg_segment_ptr 1
		.amdhsa_user_sgpr_dispatch_id 0
		.amdhsa_user_sgpr_flat_scratch_init 0
		.amdhsa_user_sgpr_private_segment_size 0
		.amdhsa_wavefront_size32 1
		.amdhsa_uses_dynamic_stack 0
		.amdhsa_system_sgpr_private_segment_wavefront_offset 0
		.amdhsa_system_sgpr_workgroup_id_x 1
		.amdhsa_system_sgpr_workgroup_id_y 0
		.amdhsa_system_sgpr_workgroup_id_z 0
		.amdhsa_system_sgpr_workgroup_info 0
		.amdhsa_system_vgpr_workitem_id 0
		.amdhsa_next_free_vgpr 1
		.amdhsa_next_free_sgpr 1
		.amdhsa_reserve_vcc 0
		.amdhsa_reserve_flat_scratch 0
		.amdhsa_float_round_mode_32 0
		.amdhsa_float_round_mode_16_64 0
		.amdhsa_float_denorm_mode_32 3
		.amdhsa_float_denorm_mode_16_64 3
		.amdhsa_dx10_clamp 1
		.amdhsa_ieee_mode 1
		.amdhsa_fp16_overflow 0
		.amdhsa_workgroup_processor_mode 1
		.amdhsa_memory_ordered 1
		.amdhsa_forward_progress 1
		.amdhsa_shared_vgpr_count 0
		.amdhsa_exception_fp_ieee_invalid_op 0
		.amdhsa_exception_fp_denorm_src 0
		.amdhsa_exception_fp_ieee_div_zero 0
		.amdhsa_exception_fp_ieee_overflow 0
		.amdhsa_exception_fp_ieee_underflow 0
		.amdhsa_exception_fp_ieee_inexact 0
		.amdhsa_exception_int_div_zero 0
	.end_amdhsa_kernel
	.section	.text._ZN7rocprim17ROCPRIM_400000_NS6detail17trampoline_kernelINS0_14default_configENS1_25transform_config_selectorIiLb0EEEZNS1_14transform_implILb0ES3_S5_N6thrust23THRUST_200600_302600_NS10device_ptrIiEEPiNS0_8identityIiEEEE10hipError_tT2_T3_mT4_P12ihipStream_tbEUlT_E_NS1_11comp_targetILNS1_3genE0ELNS1_11target_archE4294967295ELNS1_3gpuE0ELNS1_3repE0EEENS1_30default_config_static_selectorELNS0_4arch9wavefront6targetE0EEEvT1_,"axG",@progbits,_ZN7rocprim17ROCPRIM_400000_NS6detail17trampoline_kernelINS0_14default_configENS1_25transform_config_selectorIiLb0EEEZNS1_14transform_implILb0ES3_S5_N6thrust23THRUST_200600_302600_NS10device_ptrIiEEPiNS0_8identityIiEEEE10hipError_tT2_T3_mT4_P12ihipStream_tbEUlT_E_NS1_11comp_targetILNS1_3genE0ELNS1_11target_archE4294967295ELNS1_3gpuE0ELNS1_3repE0EEENS1_30default_config_static_selectorELNS0_4arch9wavefront6targetE0EEEvT1_,comdat
.Lfunc_end1235:
	.size	_ZN7rocprim17ROCPRIM_400000_NS6detail17trampoline_kernelINS0_14default_configENS1_25transform_config_selectorIiLb0EEEZNS1_14transform_implILb0ES3_S5_N6thrust23THRUST_200600_302600_NS10device_ptrIiEEPiNS0_8identityIiEEEE10hipError_tT2_T3_mT4_P12ihipStream_tbEUlT_E_NS1_11comp_targetILNS1_3genE0ELNS1_11target_archE4294967295ELNS1_3gpuE0ELNS1_3repE0EEENS1_30default_config_static_selectorELNS0_4arch9wavefront6targetE0EEEvT1_, .Lfunc_end1235-_ZN7rocprim17ROCPRIM_400000_NS6detail17trampoline_kernelINS0_14default_configENS1_25transform_config_selectorIiLb0EEEZNS1_14transform_implILb0ES3_S5_N6thrust23THRUST_200600_302600_NS10device_ptrIiEEPiNS0_8identityIiEEEE10hipError_tT2_T3_mT4_P12ihipStream_tbEUlT_E_NS1_11comp_targetILNS1_3genE0ELNS1_11target_archE4294967295ELNS1_3gpuE0ELNS1_3repE0EEENS1_30default_config_static_selectorELNS0_4arch9wavefront6targetE0EEEvT1_
                                        ; -- End function
	.set _ZN7rocprim17ROCPRIM_400000_NS6detail17trampoline_kernelINS0_14default_configENS1_25transform_config_selectorIiLb0EEEZNS1_14transform_implILb0ES3_S5_N6thrust23THRUST_200600_302600_NS10device_ptrIiEEPiNS0_8identityIiEEEE10hipError_tT2_T3_mT4_P12ihipStream_tbEUlT_E_NS1_11comp_targetILNS1_3genE0ELNS1_11target_archE4294967295ELNS1_3gpuE0ELNS1_3repE0EEENS1_30default_config_static_selectorELNS0_4arch9wavefront6targetE0EEEvT1_.num_vgpr, 0
	.set _ZN7rocprim17ROCPRIM_400000_NS6detail17trampoline_kernelINS0_14default_configENS1_25transform_config_selectorIiLb0EEEZNS1_14transform_implILb0ES3_S5_N6thrust23THRUST_200600_302600_NS10device_ptrIiEEPiNS0_8identityIiEEEE10hipError_tT2_T3_mT4_P12ihipStream_tbEUlT_E_NS1_11comp_targetILNS1_3genE0ELNS1_11target_archE4294967295ELNS1_3gpuE0ELNS1_3repE0EEENS1_30default_config_static_selectorELNS0_4arch9wavefront6targetE0EEEvT1_.num_agpr, 0
	.set _ZN7rocprim17ROCPRIM_400000_NS6detail17trampoline_kernelINS0_14default_configENS1_25transform_config_selectorIiLb0EEEZNS1_14transform_implILb0ES3_S5_N6thrust23THRUST_200600_302600_NS10device_ptrIiEEPiNS0_8identityIiEEEE10hipError_tT2_T3_mT4_P12ihipStream_tbEUlT_E_NS1_11comp_targetILNS1_3genE0ELNS1_11target_archE4294967295ELNS1_3gpuE0ELNS1_3repE0EEENS1_30default_config_static_selectorELNS0_4arch9wavefront6targetE0EEEvT1_.numbered_sgpr, 0
	.set _ZN7rocprim17ROCPRIM_400000_NS6detail17trampoline_kernelINS0_14default_configENS1_25transform_config_selectorIiLb0EEEZNS1_14transform_implILb0ES3_S5_N6thrust23THRUST_200600_302600_NS10device_ptrIiEEPiNS0_8identityIiEEEE10hipError_tT2_T3_mT4_P12ihipStream_tbEUlT_E_NS1_11comp_targetILNS1_3genE0ELNS1_11target_archE4294967295ELNS1_3gpuE0ELNS1_3repE0EEENS1_30default_config_static_selectorELNS0_4arch9wavefront6targetE0EEEvT1_.num_named_barrier, 0
	.set _ZN7rocprim17ROCPRIM_400000_NS6detail17trampoline_kernelINS0_14default_configENS1_25transform_config_selectorIiLb0EEEZNS1_14transform_implILb0ES3_S5_N6thrust23THRUST_200600_302600_NS10device_ptrIiEEPiNS0_8identityIiEEEE10hipError_tT2_T3_mT4_P12ihipStream_tbEUlT_E_NS1_11comp_targetILNS1_3genE0ELNS1_11target_archE4294967295ELNS1_3gpuE0ELNS1_3repE0EEENS1_30default_config_static_selectorELNS0_4arch9wavefront6targetE0EEEvT1_.private_seg_size, 0
	.set _ZN7rocprim17ROCPRIM_400000_NS6detail17trampoline_kernelINS0_14default_configENS1_25transform_config_selectorIiLb0EEEZNS1_14transform_implILb0ES3_S5_N6thrust23THRUST_200600_302600_NS10device_ptrIiEEPiNS0_8identityIiEEEE10hipError_tT2_T3_mT4_P12ihipStream_tbEUlT_E_NS1_11comp_targetILNS1_3genE0ELNS1_11target_archE4294967295ELNS1_3gpuE0ELNS1_3repE0EEENS1_30default_config_static_selectorELNS0_4arch9wavefront6targetE0EEEvT1_.uses_vcc, 0
	.set _ZN7rocprim17ROCPRIM_400000_NS6detail17trampoline_kernelINS0_14default_configENS1_25transform_config_selectorIiLb0EEEZNS1_14transform_implILb0ES3_S5_N6thrust23THRUST_200600_302600_NS10device_ptrIiEEPiNS0_8identityIiEEEE10hipError_tT2_T3_mT4_P12ihipStream_tbEUlT_E_NS1_11comp_targetILNS1_3genE0ELNS1_11target_archE4294967295ELNS1_3gpuE0ELNS1_3repE0EEENS1_30default_config_static_selectorELNS0_4arch9wavefront6targetE0EEEvT1_.uses_flat_scratch, 0
	.set _ZN7rocprim17ROCPRIM_400000_NS6detail17trampoline_kernelINS0_14default_configENS1_25transform_config_selectorIiLb0EEEZNS1_14transform_implILb0ES3_S5_N6thrust23THRUST_200600_302600_NS10device_ptrIiEEPiNS0_8identityIiEEEE10hipError_tT2_T3_mT4_P12ihipStream_tbEUlT_E_NS1_11comp_targetILNS1_3genE0ELNS1_11target_archE4294967295ELNS1_3gpuE0ELNS1_3repE0EEENS1_30default_config_static_selectorELNS0_4arch9wavefront6targetE0EEEvT1_.has_dyn_sized_stack, 0
	.set _ZN7rocprim17ROCPRIM_400000_NS6detail17trampoline_kernelINS0_14default_configENS1_25transform_config_selectorIiLb0EEEZNS1_14transform_implILb0ES3_S5_N6thrust23THRUST_200600_302600_NS10device_ptrIiEEPiNS0_8identityIiEEEE10hipError_tT2_T3_mT4_P12ihipStream_tbEUlT_E_NS1_11comp_targetILNS1_3genE0ELNS1_11target_archE4294967295ELNS1_3gpuE0ELNS1_3repE0EEENS1_30default_config_static_selectorELNS0_4arch9wavefront6targetE0EEEvT1_.has_recursion, 0
	.set _ZN7rocprim17ROCPRIM_400000_NS6detail17trampoline_kernelINS0_14default_configENS1_25transform_config_selectorIiLb0EEEZNS1_14transform_implILb0ES3_S5_N6thrust23THRUST_200600_302600_NS10device_ptrIiEEPiNS0_8identityIiEEEE10hipError_tT2_T3_mT4_P12ihipStream_tbEUlT_E_NS1_11comp_targetILNS1_3genE0ELNS1_11target_archE4294967295ELNS1_3gpuE0ELNS1_3repE0EEENS1_30default_config_static_selectorELNS0_4arch9wavefront6targetE0EEEvT1_.has_indirect_call, 0
	.section	.AMDGPU.csdata,"",@progbits
; Kernel info:
; codeLenInByte = 0
; TotalNumSgprs: 0
; NumVgprs: 0
; ScratchSize: 0
; MemoryBound: 0
; FloatMode: 240
; IeeeMode: 1
; LDSByteSize: 0 bytes/workgroup (compile time only)
; SGPRBlocks: 0
; VGPRBlocks: 0
; NumSGPRsForWavesPerEU: 1
; NumVGPRsForWavesPerEU: 1
; Occupancy: 16
; WaveLimiterHint : 0
; COMPUTE_PGM_RSRC2:SCRATCH_EN: 0
; COMPUTE_PGM_RSRC2:USER_SGPR: 6
; COMPUTE_PGM_RSRC2:TRAP_HANDLER: 0
; COMPUTE_PGM_RSRC2:TGID_X_EN: 1
; COMPUTE_PGM_RSRC2:TGID_Y_EN: 0
; COMPUTE_PGM_RSRC2:TGID_Z_EN: 0
; COMPUTE_PGM_RSRC2:TIDIG_COMP_CNT: 0
	.section	.text._ZN7rocprim17ROCPRIM_400000_NS6detail17trampoline_kernelINS0_14default_configENS1_25transform_config_selectorIiLb0EEEZNS1_14transform_implILb0ES3_S5_N6thrust23THRUST_200600_302600_NS10device_ptrIiEEPiNS0_8identityIiEEEE10hipError_tT2_T3_mT4_P12ihipStream_tbEUlT_E_NS1_11comp_targetILNS1_3genE5ELNS1_11target_archE942ELNS1_3gpuE9ELNS1_3repE0EEENS1_30default_config_static_selectorELNS0_4arch9wavefront6targetE0EEEvT1_,"axG",@progbits,_ZN7rocprim17ROCPRIM_400000_NS6detail17trampoline_kernelINS0_14default_configENS1_25transform_config_selectorIiLb0EEEZNS1_14transform_implILb0ES3_S5_N6thrust23THRUST_200600_302600_NS10device_ptrIiEEPiNS0_8identityIiEEEE10hipError_tT2_T3_mT4_P12ihipStream_tbEUlT_E_NS1_11comp_targetILNS1_3genE5ELNS1_11target_archE942ELNS1_3gpuE9ELNS1_3repE0EEENS1_30default_config_static_selectorELNS0_4arch9wavefront6targetE0EEEvT1_,comdat
	.protected	_ZN7rocprim17ROCPRIM_400000_NS6detail17trampoline_kernelINS0_14default_configENS1_25transform_config_selectorIiLb0EEEZNS1_14transform_implILb0ES3_S5_N6thrust23THRUST_200600_302600_NS10device_ptrIiEEPiNS0_8identityIiEEEE10hipError_tT2_T3_mT4_P12ihipStream_tbEUlT_E_NS1_11comp_targetILNS1_3genE5ELNS1_11target_archE942ELNS1_3gpuE9ELNS1_3repE0EEENS1_30default_config_static_selectorELNS0_4arch9wavefront6targetE0EEEvT1_ ; -- Begin function _ZN7rocprim17ROCPRIM_400000_NS6detail17trampoline_kernelINS0_14default_configENS1_25transform_config_selectorIiLb0EEEZNS1_14transform_implILb0ES3_S5_N6thrust23THRUST_200600_302600_NS10device_ptrIiEEPiNS0_8identityIiEEEE10hipError_tT2_T3_mT4_P12ihipStream_tbEUlT_E_NS1_11comp_targetILNS1_3genE5ELNS1_11target_archE942ELNS1_3gpuE9ELNS1_3repE0EEENS1_30default_config_static_selectorELNS0_4arch9wavefront6targetE0EEEvT1_
	.globl	_ZN7rocprim17ROCPRIM_400000_NS6detail17trampoline_kernelINS0_14default_configENS1_25transform_config_selectorIiLb0EEEZNS1_14transform_implILb0ES3_S5_N6thrust23THRUST_200600_302600_NS10device_ptrIiEEPiNS0_8identityIiEEEE10hipError_tT2_T3_mT4_P12ihipStream_tbEUlT_E_NS1_11comp_targetILNS1_3genE5ELNS1_11target_archE942ELNS1_3gpuE9ELNS1_3repE0EEENS1_30default_config_static_selectorELNS0_4arch9wavefront6targetE0EEEvT1_
	.p2align	8
	.type	_ZN7rocprim17ROCPRIM_400000_NS6detail17trampoline_kernelINS0_14default_configENS1_25transform_config_selectorIiLb0EEEZNS1_14transform_implILb0ES3_S5_N6thrust23THRUST_200600_302600_NS10device_ptrIiEEPiNS0_8identityIiEEEE10hipError_tT2_T3_mT4_P12ihipStream_tbEUlT_E_NS1_11comp_targetILNS1_3genE5ELNS1_11target_archE942ELNS1_3gpuE9ELNS1_3repE0EEENS1_30default_config_static_selectorELNS0_4arch9wavefront6targetE0EEEvT1_,@function
_ZN7rocprim17ROCPRIM_400000_NS6detail17trampoline_kernelINS0_14default_configENS1_25transform_config_selectorIiLb0EEEZNS1_14transform_implILb0ES3_S5_N6thrust23THRUST_200600_302600_NS10device_ptrIiEEPiNS0_8identityIiEEEE10hipError_tT2_T3_mT4_P12ihipStream_tbEUlT_E_NS1_11comp_targetILNS1_3genE5ELNS1_11target_archE942ELNS1_3gpuE9ELNS1_3repE0EEENS1_30default_config_static_selectorELNS0_4arch9wavefront6targetE0EEEvT1_: ; @_ZN7rocprim17ROCPRIM_400000_NS6detail17trampoline_kernelINS0_14default_configENS1_25transform_config_selectorIiLb0EEEZNS1_14transform_implILb0ES3_S5_N6thrust23THRUST_200600_302600_NS10device_ptrIiEEPiNS0_8identityIiEEEE10hipError_tT2_T3_mT4_P12ihipStream_tbEUlT_E_NS1_11comp_targetILNS1_3genE5ELNS1_11target_archE942ELNS1_3gpuE9ELNS1_3repE0EEENS1_30default_config_static_selectorELNS0_4arch9wavefront6targetE0EEEvT1_
; %bb.0:
	.section	.rodata,"a",@progbits
	.p2align	6, 0x0
	.amdhsa_kernel _ZN7rocprim17ROCPRIM_400000_NS6detail17trampoline_kernelINS0_14default_configENS1_25transform_config_selectorIiLb0EEEZNS1_14transform_implILb0ES3_S5_N6thrust23THRUST_200600_302600_NS10device_ptrIiEEPiNS0_8identityIiEEEE10hipError_tT2_T3_mT4_P12ihipStream_tbEUlT_E_NS1_11comp_targetILNS1_3genE5ELNS1_11target_archE942ELNS1_3gpuE9ELNS1_3repE0EEENS1_30default_config_static_selectorELNS0_4arch9wavefront6targetE0EEEvT1_
		.amdhsa_group_segment_fixed_size 0
		.amdhsa_private_segment_fixed_size 0
		.amdhsa_kernarg_size 40
		.amdhsa_user_sgpr_count 6
		.amdhsa_user_sgpr_private_segment_buffer 1
		.amdhsa_user_sgpr_dispatch_ptr 0
		.amdhsa_user_sgpr_queue_ptr 0
		.amdhsa_user_sgpr_kernarg_segment_ptr 1
		.amdhsa_user_sgpr_dispatch_id 0
		.amdhsa_user_sgpr_flat_scratch_init 0
		.amdhsa_user_sgpr_private_segment_size 0
		.amdhsa_wavefront_size32 1
		.amdhsa_uses_dynamic_stack 0
		.amdhsa_system_sgpr_private_segment_wavefront_offset 0
		.amdhsa_system_sgpr_workgroup_id_x 1
		.amdhsa_system_sgpr_workgroup_id_y 0
		.amdhsa_system_sgpr_workgroup_id_z 0
		.amdhsa_system_sgpr_workgroup_info 0
		.amdhsa_system_vgpr_workitem_id 0
		.amdhsa_next_free_vgpr 1
		.amdhsa_next_free_sgpr 1
		.amdhsa_reserve_vcc 0
		.amdhsa_reserve_flat_scratch 0
		.amdhsa_float_round_mode_32 0
		.amdhsa_float_round_mode_16_64 0
		.amdhsa_float_denorm_mode_32 3
		.amdhsa_float_denorm_mode_16_64 3
		.amdhsa_dx10_clamp 1
		.amdhsa_ieee_mode 1
		.amdhsa_fp16_overflow 0
		.amdhsa_workgroup_processor_mode 1
		.amdhsa_memory_ordered 1
		.amdhsa_forward_progress 1
		.amdhsa_shared_vgpr_count 0
		.amdhsa_exception_fp_ieee_invalid_op 0
		.amdhsa_exception_fp_denorm_src 0
		.amdhsa_exception_fp_ieee_div_zero 0
		.amdhsa_exception_fp_ieee_overflow 0
		.amdhsa_exception_fp_ieee_underflow 0
		.amdhsa_exception_fp_ieee_inexact 0
		.amdhsa_exception_int_div_zero 0
	.end_amdhsa_kernel
	.section	.text._ZN7rocprim17ROCPRIM_400000_NS6detail17trampoline_kernelINS0_14default_configENS1_25transform_config_selectorIiLb0EEEZNS1_14transform_implILb0ES3_S5_N6thrust23THRUST_200600_302600_NS10device_ptrIiEEPiNS0_8identityIiEEEE10hipError_tT2_T3_mT4_P12ihipStream_tbEUlT_E_NS1_11comp_targetILNS1_3genE5ELNS1_11target_archE942ELNS1_3gpuE9ELNS1_3repE0EEENS1_30default_config_static_selectorELNS0_4arch9wavefront6targetE0EEEvT1_,"axG",@progbits,_ZN7rocprim17ROCPRIM_400000_NS6detail17trampoline_kernelINS0_14default_configENS1_25transform_config_selectorIiLb0EEEZNS1_14transform_implILb0ES3_S5_N6thrust23THRUST_200600_302600_NS10device_ptrIiEEPiNS0_8identityIiEEEE10hipError_tT2_T3_mT4_P12ihipStream_tbEUlT_E_NS1_11comp_targetILNS1_3genE5ELNS1_11target_archE942ELNS1_3gpuE9ELNS1_3repE0EEENS1_30default_config_static_selectorELNS0_4arch9wavefront6targetE0EEEvT1_,comdat
.Lfunc_end1236:
	.size	_ZN7rocprim17ROCPRIM_400000_NS6detail17trampoline_kernelINS0_14default_configENS1_25transform_config_selectorIiLb0EEEZNS1_14transform_implILb0ES3_S5_N6thrust23THRUST_200600_302600_NS10device_ptrIiEEPiNS0_8identityIiEEEE10hipError_tT2_T3_mT4_P12ihipStream_tbEUlT_E_NS1_11comp_targetILNS1_3genE5ELNS1_11target_archE942ELNS1_3gpuE9ELNS1_3repE0EEENS1_30default_config_static_selectorELNS0_4arch9wavefront6targetE0EEEvT1_, .Lfunc_end1236-_ZN7rocprim17ROCPRIM_400000_NS6detail17trampoline_kernelINS0_14default_configENS1_25transform_config_selectorIiLb0EEEZNS1_14transform_implILb0ES3_S5_N6thrust23THRUST_200600_302600_NS10device_ptrIiEEPiNS0_8identityIiEEEE10hipError_tT2_T3_mT4_P12ihipStream_tbEUlT_E_NS1_11comp_targetILNS1_3genE5ELNS1_11target_archE942ELNS1_3gpuE9ELNS1_3repE0EEENS1_30default_config_static_selectorELNS0_4arch9wavefront6targetE0EEEvT1_
                                        ; -- End function
	.set _ZN7rocprim17ROCPRIM_400000_NS6detail17trampoline_kernelINS0_14default_configENS1_25transform_config_selectorIiLb0EEEZNS1_14transform_implILb0ES3_S5_N6thrust23THRUST_200600_302600_NS10device_ptrIiEEPiNS0_8identityIiEEEE10hipError_tT2_T3_mT4_P12ihipStream_tbEUlT_E_NS1_11comp_targetILNS1_3genE5ELNS1_11target_archE942ELNS1_3gpuE9ELNS1_3repE0EEENS1_30default_config_static_selectorELNS0_4arch9wavefront6targetE0EEEvT1_.num_vgpr, 0
	.set _ZN7rocprim17ROCPRIM_400000_NS6detail17trampoline_kernelINS0_14default_configENS1_25transform_config_selectorIiLb0EEEZNS1_14transform_implILb0ES3_S5_N6thrust23THRUST_200600_302600_NS10device_ptrIiEEPiNS0_8identityIiEEEE10hipError_tT2_T3_mT4_P12ihipStream_tbEUlT_E_NS1_11comp_targetILNS1_3genE5ELNS1_11target_archE942ELNS1_3gpuE9ELNS1_3repE0EEENS1_30default_config_static_selectorELNS0_4arch9wavefront6targetE0EEEvT1_.num_agpr, 0
	.set _ZN7rocprim17ROCPRIM_400000_NS6detail17trampoline_kernelINS0_14default_configENS1_25transform_config_selectorIiLb0EEEZNS1_14transform_implILb0ES3_S5_N6thrust23THRUST_200600_302600_NS10device_ptrIiEEPiNS0_8identityIiEEEE10hipError_tT2_T3_mT4_P12ihipStream_tbEUlT_E_NS1_11comp_targetILNS1_3genE5ELNS1_11target_archE942ELNS1_3gpuE9ELNS1_3repE0EEENS1_30default_config_static_selectorELNS0_4arch9wavefront6targetE0EEEvT1_.numbered_sgpr, 0
	.set _ZN7rocprim17ROCPRIM_400000_NS6detail17trampoline_kernelINS0_14default_configENS1_25transform_config_selectorIiLb0EEEZNS1_14transform_implILb0ES3_S5_N6thrust23THRUST_200600_302600_NS10device_ptrIiEEPiNS0_8identityIiEEEE10hipError_tT2_T3_mT4_P12ihipStream_tbEUlT_E_NS1_11comp_targetILNS1_3genE5ELNS1_11target_archE942ELNS1_3gpuE9ELNS1_3repE0EEENS1_30default_config_static_selectorELNS0_4arch9wavefront6targetE0EEEvT1_.num_named_barrier, 0
	.set _ZN7rocprim17ROCPRIM_400000_NS6detail17trampoline_kernelINS0_14default_configENS1_25transform_config_selectorIiLb0EEEZNS1_14transform_implILb0ES3_S5_N6thrust23THRUST_200600_302600_NS10device_ptrIiEEPiNS0_8identityIiEEEE10hipError_tT2_T3_mT4_P12ihipStream_tbEUlT_E_NS1_11comp_targetILNS1_3genE5ELNS1_11target_archE942ELNS1_3gpuE9ELNS1_3repE0EEENS1_30default_config_static_selectorELNS0_4arch9wavefront6targetE0EEEvT1_.private_seg_size, 0
	.set _ZN7rocprim17ROCPRIM_400000_NS6detail17trampoline_kernelINS0_14default_configENS1_25transform_config_selectorIiLb0EEEZNS1_14transform_implILb0ES3_S5_N6thrust23THRUST_200600_302600_NS10device_ptrIiEEPiNS0_8identityIiEEEE10hipError_tT2_T3_mT4_P12ihipStream_tbEUlT_E_NS1_11comp_targetILNS1_3genE5ELNS1_11target_archE942ELNS1_3gpuE9ELNS1_3repE0EEENS1_30default_config_static_selectorELNS0_4arch9wavefront6targetE0EEEvT1_.uses_vcc, 0
	.set _ZN7rocprim17ROCPRIM_400000_NS6detail17trampoline_kernelINS0_14default_configENS1_25transform_config_selectorIiLb0EEEZNS1_14transform_implILb0ES3_S5_N6thrust23THRUST_200600_302600_NS10device_ptrIiEEPiNS0_8identityIiEEEE10hipError_tT2_T3_mT4_P12ihipStream_tbEUlT_E_NS1_11comp_targetILNS1_3genE5ELNS1_11target_archE942ELNS1_3gpuE9ELNS1_3repE0EEENS1_30default_config_static_selectorELNS0_4arch9wavefront6targetE0EEEvT1_.uses_flat_scratch, 0
	.set _ZN7rocprim17ROCPRIM_400000_NS6detail17trampoline_kernelINS0_14default_configENS1_25transform_config_selectorIiLb0EEEZNS1_14transform_implILb0ES3_S5_N6thrust23THRUST_200600_302600_NS10device_ptrIiEEPiNS0_8identityIiEEEE10hipError_tT2_T3_mT4_P12ihipStream_tbEUlT_E_NS1_11comp_targetILNS1_3genE5ELNS1_11target_archE942ELNS1_3gpuE9ELNS1_3repE0EEENS1_30default_config_static_selectorELNS0_4arch9wavefront6targetE0EEEvT1_.has_dyn_sized_stack, 0
	.set _ZN7rocprim17ROCPRIM_400000_NS6detail17trampoline_kernelINS0_14default_configENS1_25transform_config_selectorIiLb0EEEZNS1_14transform_implILb0ES3_S5_N6thrust23THRUST_200600_302600_NS10device_ptrIiEEPiNS0_8identityIiEEEE10hipError_tT2_T3_mT4_P12ihipStream_tbEUlT_E_NS1_11comp_targetILNS1_3genE5ELNS1_11target_archE942ELNS1_3gpuE9ELNS1_3repE0EEENS1_30default_config_static_selectorELNS0_4arch9wavefront6targetE0EEEvT1_.has_recursion, 0
	.set _ZN7rocprim17ROCPRIM_400000_NS6detail17trampoline_kernelINS0_14default_configENS1_25transform_config_selectorIiLb0EEEZNS1_14transform_implILb0ES3_S5_N6thrust23THRUST_200600_302600_NS10device_ptrIiEEPiNS0_8identityIiEEEE10hipError_tT2_T3_mT4_P12ihipStream_tbEUlT_E_NS1_11comp_targetILNS1_3genE5ELNS1_11target_archE942ELNS1_3gpuE9ELNS1_3repE0EEENS1_30default_config_static_selectorELNS0_4arch9wavefront6targetE0EEEvT1_.has_indirect_call, 0
	.section	.AMDGPU.csdata,"",@progbits
; Kernel info:
; codeLenInByte = 0
; TotalNumSgprs: 0
; NumVgprs: 0
; ScratchSize: 0
; MemoryBound: 0
; FloatMode: 240
; IeeeMode: 1
; LDSByteSize: 0 bytes/workgroup (compile time only)
; SGPRBlocks: 0
; VGPRBlocks: 0
; NumSGPRsForWavesPerEU: 1
; NumVGPRsForWavesPerEU: 1
; Occupancy: 16
; WaveLimiterHint : 0
; COMPUTE_PGM_RSRC2:SCRATCH_EN: 0
; COMPUTE_PGM_RSRC2:USER_SGPR: 6
; COMPUTE_PGM_RSRC2:TRAP_HANDLER: 0
; COMPUTE_PGM_RSRC2:TGID_X_EN: 1
; COMPUTE_PGM_RSRC2:TGID_Y_EN: 0
; COMPUTE_PGM_RSRC2:TGID_Z_EN: 0
; COMPUTE_PGM_RSRC2:TIDIG_COMP_CNT: 0
	.section	.text._ZN7rocprim17ROCPRIM_400000_NS6detail17trampoline_kernelINS0_14default_configENS1_25transform_config_selectorIiLb0EEEZNS1_14transform_implILb0ES3_S5_N6thrust23THRUST_200600_302600_NS10device_ptrIiEEPiNS0_8identityIiEEEE10hipError_tT2_T3_mT4_P12ihipStream_tbEUlT_E_NS1_11comp_targetILNS1_3genE4ELNS1_11target_archE910ELNS1_3gpuE8ELNS1_3repE0EEENS1_30default_config_static_selectorELNS0_4arch9wavefront6targetE0EEEvT1_,"axG",@progbits,_ZN7rocprim17ROCPRIM_400000_NS6detail17trampoline_kernelINS0_14default_configENS1_25transform_config_selectorIiLb0EEEZNS1_14transform_implILb0ES3_S5_N6thrust23THRUST_200600_302600_NS10device_ptrIiEEPiNS0_8identityIiEEEE10hipError_tT2_T3_mT4_P12ihipStream_tbEUlT_E_NS1_11comp_targetILNS1_3genE4ELNS1_11target_archE910ELNS1_3gpuE8ELNS1_3repE0EEENS1_30default_config_static_selectorELNS0_4arch9wavefront6targetE0EEEvT1_,comdat
	.protected	_ZN7rocprim17ROCPRIM_400000_NS6detail17trampoline_kernelINS0_14default_configENS1_25transform_config_selectorIiLb0EEEZNS1_14transform_implILb0ES3_S5_N6thrust23THRUST_200600_302600_NS10device_ptrIiEEPiNS0_8identityIiEEEE10hipError_tT2_T3_mT4_P12ihipStream_tbEUlT_E_NS1_11comp_targetILNS1_3genE4ELNS1_11target_archE910ELNS1_3gpuE8ELNS1_3repE0EEENS1_30default_config_static_selectorELNS0_4arch9wavefront6targetE0EEEvT1_ ; -- Begin function _ZN7rocprim17ROCPRIM_400000_NS6detail17trampoline_kernelINS0_14default_configENS1_25transform_config_selectorIiLb0EEEZNS1_14transform_implILb0ES3_S5_N6thrust23THRUST_200600_302600_NS10device_ptrIiEEPiNS0_8identityIiEEEE10hipError_tT2_T3_mT4_P12ihipStream_tbEUlT_E_NS1_11comp_targetILNS1_3genE4ELNS1_11target_archE910ELNS1_3gpuE8ELNS1_3repE0EEENS1_30default_config_static_selectorELNS0_4arch9wavefront6targetE0EEEvT1_
	.globl	_ZN7rocprim17ROCPRIM_400000_NS6detail17trampoline_kernelINS0_14default_configENS1_25transform_config_selectorIiLb0EEEZNS1_14transform_implILb0ES3_S5_N6thrust23THRUST_200600_302600_NS10device_ptrIiEEPiNS0_8identityIiEEEE10hipError_tT2_T3_mT4_P12ihipStream_tbEUlT_E_NS1_11comp_targetILNS1_3genE4ELNS1_11target_archE910ELNS1_3gpuE8ELNS1_3repE0EEENS1_30default_config_static_selectorELNS0_4arch9wavefront6targetE0EEEvT1_
	.p2align	8
	.type	_ZN7rocprim17ROCPRIM_400000_NS6detail17trampoline_kernelINS0_14default_configENS1_25transform_config_selectorIiLb0EEEZNS1_14transform_implILb0ES3_S5_N6thrust23THRUST_200600_302600_NS10device_ptrIiEEPiNS0_8identityIiEEEE10hipError_tT2_T3_mT4_P12ihipStream_tbEUlT_E_NS1_11comp_targetILNS1_3genE4ELNS1_11target_archE910ELNS1_3gpuE8ELNS1_3repE0EEENS1_30default_config_static_selectorELNS0_4arch9wavefront6targetE0EEEvT1_,@function
_ZN7rocprim17ROCPRIM_400000_NS6detail17trampoline_kernelINS0_14default_configENS1_25transform_config_selectorIiLb0EEEZNS1_14transform_implILb0ES3_S5_N6thrust23THRUST_200600_302600_NS10device_ptrIiEEPiNS0_8identityIiEEEE10hipError_tT2_T3_mT4_P12ihipStream_tbEUlT_E_NS1_11comp_targetILNS1_3genE4ELNS1_11target_archE910ELNS1_3gpuE8ELNS1_3repE0EEENS1_30default_config_static_selectorELNS0_4arch9wavefront6targetE0EEEvT1_: ; @_ZN7rocprim17ROCPRIM_400000_NS6detail17trampoline_kernelINS0_14default_configENS1_25transform_config_selectorIiLb0EEEZNS1_14transform_implILb0ES3_S5_N6thrust23THRUST_200600_302600_NS10device_ptrIiEEPiNS0_8identityIiEEEE10hipError_tT2_T3_mT4_P12ihipStream_tbEUlT_E_NS1_11comp_targetILNS1_3genE4ELNS1_11target_archE910ELNS1_3gpuE8ELNS1_3repE0EEENS1_30default_config_static_selectorELNS0_4arch9wavefront6targetE0EEEvT1_
; %bb.0:
	.section	.rodata,"a",@progbits
	.p2align	6, 0x0
	.amdhsa_kernel _ZN7rocprim17ROCPRIM_400000_NS6detail17trampoline_kernelINS0_14default_configENS1_25transform_config_selectorIiLb0EEEZNS1_14transform_implILb0ES3_S5_N6thrust23THRUST_200600_302600_NS10device_ptrIiEEPiNS0_8identityIiEEEE10hipError_tT2_T3_mT4_P12ihipStream_tbEUlT_E_NS1_11comp_targetILNS1_3genE4ELNS1_11target_archE910ELNS1_3gpuE8ELNS1_3repE0EEENS1_30default_config_static_selectorELNS0_4arch9wavefront6targetE0EEEvT1_
		.amdhsa_group_segment_fixed_size 0
		.amdhsa_private_segment_fixed_size 0
		.amdhsa_kernarg_size 40
		.amdhsa_user_sgpr_count 6
		.amdhsa_user_sgpr_private_segment_buffer 1
		.amdhsa_user_sgpr_dispatch_ptr 0
		.amdhsa_user_sgpr_queue_ptr 0
		.amdhsa_user_sgpr_kernarg_segment_ptr 1
		.amdhsa_user_sgpr_dispatch_id 0
		.amdhsa_user_sgpr_flat_scratch_init 0
		.amdhsa_user_sgpr_private_segment_size 0
		.amdhsa_wavefront_size32 1
		.amdhsa_uses_dynamic_stack 0
		.amdhsa_system_sgpr_private_segment_wavefront_offset 0
		.amdhsa_system_sgpr_workgroup_id_x 1
		.amdhsa_system_sgpr_workgroup_id_y 0
		.amdhsa_system_sgpr_workgroup_id_z 0
		.amdhsa_system_sgpr_workgroup_info 0
		.amdhsa_system_vgpr_workitem_id 0
		.amdhsa_next_free_vgpr 1
		.amdhsa_next_free_sgpr 1
		.amdhsa_reserve_vcc 0
		.amdhsa_reserve_flat_scratch 0
		.amdhsa_float_round_mode_32 0
		.amdhsa_float_round_mode_16_64 0
		.amdhsa_float_denorm_mode_32 3
		.amdhsa_float_denorm_mode_16_64 3
		.amdhsa_dx10_clamp 1
		.amdhsa_ieee_mode 1
		.amdhsa_fp16_overflow 0
		.amdhsa_workgroup_processor_mode 1
		.amdhsa_memory_ordered 1
		.amdhsa_forward_progress 1
		.amdhsa_shared_vgpr_count 0
		.amdhsa_exception_fp_ieee_invalid_op 0
		.amdhsa_exception_fp_denorm_src 0
		.amdhsa_exception_fp_ieee_div_zero 0
		.amdhsa_exception_fp_ieee_overflow 0
		.amdhsa_exception_fp_ieee_underflow 0
		.amdhsa_exception_fp_ieee_inexact 0
		.amdhsa_exception_int_div_zero 0
	.end_amdhsa_kernel
	.section	.text._ZN7rocprim17ROCPRIM_400000_NS6detail17trampoline_kernelINS0_14default_configENS1_25transform_config_selectorIiLb0EEEZNS1_14transform_implILb0ES3_S5_N6thrust23THRUST_200600_302600_NS10device_ptrIiEEPiNS0_8identityIiEEEE10hipError_tT2_T3_mT4_P12ihipStream_tbEUlT_E_NS1_11comp_targetILNS1_3genE4ELNS1_11target_archE910ELNS1_3gpuE8ELNS1_3repE0EEENS1_30default_config_static_selectorELNS0_4arch9wavefront6targetE0EEEvT1_,"axG",@progbits,_ZN7rocprim17ROCPRIM_400000_NS6detail17trampoline_kernelINS0_14default_configENS1_25transform_config_selectorIiLb0EEEZNS1_14transform_implILb0ES3_S5_N6thrust23THRUST_200600_302600_NS10device_ptrIiEEPiNS0_8identityIiEEEE10hipError_tT2_T3_mT4_P12ihipStream_tbEUlT_E_NS1_11comp_targetILNS1_3genE4ELNS1_11target_archE910ELNS1_3gpuE8ELNS1_3repE0EEENS1_30default_config_static_selectorELNS0_4arch9wavefront6targetE0EEEvT1_,comdat
.Lfunc_end1237:
	.size	_ZN7rocprim17ROCPRIM_400000_NS6detail17trampoline_kernelINS0_14default_configENS1_25transform_config_selectorIiLb0EEEZNS1_14transform_implILb0ES3_S5_N6thrust23THRUST_200600_302600_NS10device_ptrIiEEPiNS0_8identityIiEEEE10hipError_tT2_T3_mT4_P12ihipStream_tbEUlT_E_NS1_11comp_targetILNS1_3genE4ELNS1_11target_archE910ELNS1_3gpuE8ELNS1_3repE0EEENS1_30default_config_static_selectorELNS0_4arch9wavefront6targetE0EEEvT1_, .Lfunc_end1237-_ZN7rocprim17ROCPRIM_400000_NS6detail17trampoline_kernelINS0_14default_configENS1_25transform_config_selectorIiLb0EEEZNS1_14transform_implILb0ES3_S5_N6thrust23THRUST_200600_302600_NS10device_ptrIiEEPiNS0_8identityIiEEEE10hipError_tT2_T3_mT4_P12ihipStream_tbEUlT_E_NS1_11comp_targetILNS1_3genE4ELNS1_11target_archE910ELNS1_3gpuE8ELNS1_3repE0EEENS1_30default_config_static_selectorELNS0_4arch9wavefront6targetE0EEEvT1_
                                        ; -- End function
	.set _ZN7rocprim17ROCPRIM_400000_NS6detail17trampoline_kernelINS0_14default_configENS1_25transform_config_selectorIiLb0EEEZNS1_14transform_implILb0ES3_S5_N6thrust23THRUST_200600_302600_NS10device_ptrIiEEPiNS0_8identityIiEEEE10hipError_tT2_T3_mT4_P12ihipStream_tbEUlT_E_NS1_11comp_targetILNS1_3genE4ELNS1_11target_archE910ELNS1_3gpuE8ELNS1_3repE0EEENS1_30default_config_static_selectorELNS0_4arch9wavefront6targetE0EEEvT1_.num_vgpr, 0
	.set _ZN7rocprim17ROCPRIM_400000_NS6detail17trampoline_kernelINS0_14default_configENS1_25transform_config_selectorIiLb0EEEZNS1_14transform_implILb0ES3_S5_N6thrust23THRUST_200600_302600_NS10device_ptrIiEEPiNS0_8identityIiEEEE10hipError_tT2_T3_mT4_P12ihipStream_tbEUlT_E_NS1_11comp_targetILNS1_3genE4ELNS1_11target_archE910ELNS1_3gpuE8ELNS1_3repE0EEENS1_30default_config_static_selectorELNS0_4arch9wavefront6targetE0EEEvT1_.num_agpr, 0
	.set _ZN7rocprim17ROCPRIM_400000_NS6detail17trampoline_kernelINS0_14default_configENS1_25transform_config_selectorIiLb0EEEZNS1_14transform_implILb0ES3_S5_N6thrust23THRUST_200600_302600_NS10device_ptrIiEEPiNS0_8identityIiEEEE10hipError_tT2_T3_mT4_P12ihipStream_tbEUlT_E_NS1_11comp_targetILNS1_3genE4ELNS1_11target_archE910ELNS1_3gpuE8ELNS1_3repE0EEENS1_30default_config_static_selectorELNS0_4arch9wavefront6targetE0EEEvT1_.numbered_sgpr, 0
	.set _ZN7rocprim17ROCPRIM_400000_NS6detail17trampoline_kernelINS0_14default_configENS1_25transform_config_selectorIiLb0EEEZNS1_14transform_implILb0ES3_S5_N6thrust23THRUST_200600_302600_NS10device_ptrIiEEPiNS0_8identityIiEEEE10hipError_tT2_T3_mT4_P12ihipStream_tbEUlT_E_NS1_11comp_targetILNS1_3genE4ELNS1_11target_archE910ELNS1_3gpuE8ELNS1_3repE0EEENS1_30default_config_static_selectorELNS0_4arch9wavefront6targetE0EEEvT1_.num_named_barrier, 0
	.set _ZN7rocprim17ROCPRIM_400000_NS6detail17trampoline_kernelINS0_14default_configENS1_25transform_config_selectorIiLb0EEEZNS1_14transform_implILb0ES3_S5_N6thrust23THRUST_200600_302600_NS10device_ptrIiEEPiNS0_8identityIiEEEE10hipError_tT2_T3_mT4_P12ihipStream_tbEUlT_E_NS1_11comp_targetILNS1_3genE4ELNS1_11target_archE910ELNS1_3gpuE8ELNS1_3repE0EEENS1_30default_config_static_selectorELNS0_4arch9wavefront6targetE0EEEvT1_.private_seg_size, 0
	.set _ZN7rocprim17ROCPRIM_400000_NS6detail17trampoline_kernelINS0_14default_configENS1_25transform_config_selectorIiLb0EEEZNS1_14transform_implILb0ES3_S5_N6thrust23THRUST_200600_302600_NS10device_ptrIiEEPiNS0_8identityIiEEEE10hipError_tT2_T3_mT4_P12ihipStream_tbEUlT_E_NS1_11comp_targetILNS1_3genE4ELNS1_11target_archE910ELNS1_3gpuE8ELNS1_3repE0EEENS1_30default_config_static_selectorELNS0_4arch9wavefront6targetE0EEEvT1_.uses_vcc, 0
	.set _ZN7rocprim17ROCPRIM_400000_NS6detail17trampoline_kernelINS0_14default_configENS1_25transform_config_selectorIiLb0EEEZNS1_14transform_implILb0ES3_S5_N6thrust23THRUST_200600_302600_NS10device_ptrIiEEPiNS0_8identityIiEEEE10hipError_tT2_T3_mT4_P12ihipStream_tbEUlT_E_NS1_11comp_targetILNS1_3genE4ELNS1_11target_archE910ELNS1_3gpuE8ELNS1_3repE0EEENS1_30default_config_static_selectorELNS0_4arch9wavefront6targetE0EEEvT1_.uses_flat_scratch, 0
	.set _ZN7rocprim17ROCPRIM_400000_NS6detail17trampoline_kernelINS0_14default_configENS1_25transform_config_selectorIiLb0EEEZNS1_14transform_implILb0ES3_S5_N6thrust23THRUST_200600_302600_NS10device_ptrIiEEPiNS0_8identityIiEEEE10hipError_tT2_T3_mT4_P12ihipStream_tbEUlT_E_NS1_11comp_targetILNS1_3genE4ELNS1_11target_archE910ELNS1_3gpuE8ELNS1_3repE0EEENS1_30default_config_static_selectorELNS0_4arch9wavefront6targetE0EEEvT1_.has_dyn_sized_stack, 0
	.set _ZN7rocprim17ROCPRIM_400000_NS6detail17trampoline_kernelINS0_14default_configENS1_25transform_config_selectorIiLb0EEEZNS1_14transform_implILb0ES3_S5_N6thrust23THRUST_200600_302600_NS10device_ptrIiEEPiNS0_8identityIiEEEE10hipError_tT2_T3_mT4_P12ihipStream_tbEUlT_E_NS1_11comp_targetILNS1_3genE4ELNS1_11target_archE910ELNS1_3gpuE8ELNS1_3repE0EEENS1_30default_config_static_selectorELNS0_4arch9wavefront6targetE0EEEvT1_.has_recursion, 0
	.set _ZN7rocprim17ROCPRIM_400000_NS6detail17trampoline_kernelINS0_14default_configENS1_25transform_config_selectorIiLb0EEEZNS1_14transform_implILb0ES3_S5_N6thrust23THRUST_200600_302600_NS10device_ptrIiEEPiNS0_8identityIiEEEE10hipError_tT2_T3_mT4_P12ihipStream_tbEUlT_E_NS1_11comp_targetILNS1_3genE4ELNS1_11target_archE910ELNS1_3gpuE8ELNS1_3repE0EEENS1_30default_config_static_selectorELNS0_4arch9wavefront6targetE0EEEvT1_.has_indirect_call, 0
	.section	.AMDGPU.csdata,"",@progbits
; Kernel info:
; codeLenInByte = 0
; TotalNumSgprs: 0
; NumVgprs: 0
; ScratchSize: 0
; MemoryBound: 0
; FloatMode: 240
; IeeeMode: 1
; LDSByteSize: 0 bytes/workgroup (compile time only)
; SGPRBlocks: 0
; VGPRBlocks: 0
; NumSGPRsForWavesPerEU: 1
; NumVGPRsForWavesPerEU: 1
; Occupancy: 16
; WaveLimiterHint : 0
; COMPUTE_PGM_RSRC2:SCRATCH_EN: 0
; COMPUTE_PGM_RSRC2:USER_SGPR: 6
; COMPUTE_PGM_RSRC2:TRAP_HANDLER: 0
; COMPUTE_PGM_RSRC2:TGID_X_EN: 1
; COMPUTE_PGM_RSRC2:TGID_Y_EN: 0
; COMPUTE_PGM_RSRC2:TGID_Z_EN: 0
; COMPUTE_PGM_RSRC2:TIDIG_COMP_CNT: 0
	.section	.text._ZN7rocprim17ROCPRIM_400000_NS6detail17trampoline_kernelINS0_14default_configENS1_25transform_config_selectorIiLb0EEEZNS1_14transform_implILb0ES3_S5_N6thrust23THRUST_200600_302600_NS10device_ptrIiEEPiNS0_8identityIiEEEE10hipError_tT2_T3_mT4_P12ihipStream_tbEUlT_E_NS1_11comp_targetILNS1_3genE3ELNS1_11target_archE908ELNS1_3gpuE7ELNS1_3repE0EEENS1_30default_config_static_selectorELNS0_4arch9wavefront6targetE0EEEvT1_,"axG",@progbits,_ZN7rocprim17ROCPRIM_400000_NS6detail17trampoline_kernelINS0_14default_configENS1_25transform_config_selectorIiLb0EEEZNS1_14transform_implILb0ES3_S5_N6thrust23THRUST_200600_302600_NS10device_ptrIiEEPiNS0_8identityIiEEEE10hipError_tT2_T3_mT4_P12ihipStream_tbEUlT_E_NS1_11comp_targetILNS1_3genE3ELNS1_11target_archE908ELNS1_3gpuE7ELNS1_3repE0EEENS1_30default_config_static_selectorELNS0_4arch9wavefront6targetE0EEEvT1_,comdat
	.protected	_ZN7rocprim17ROCPRIM_400000_NS6detail17trampoline_kernelINS0_14default_configENS1_25transform_config_selectorIiLb0EEEZNS1_14transform_implILb0ES3_S5_N6thrust23THRUST_200600_302600_NS10device_ptrIiEEPiNS0_8identityIiEEEE10hipError_tT2_T3_mT4_P12ihipStream_tbEUlT_E_NS1_11comp_targetILNS1_3genE3ELNS1_11target_archE908ELNS1_3gpuE7ELNS1_3repE0EEENS1_30default_config_static_selectorELNS0_4arch9wavefront6targetE0EEEvT1_ ; -- Begin function _ZN7rocprim17ROCPRIM_400000_NS6detail17trampoline_kernelINS0_14default_configENS1_25transform_config_selectorIiLb0EEEZNS1_14transform_implILb0ES3_S5_N6thrust23THRUST_200600_302600_NS10device_ptrIiEEPiNS0_8identityIiEEEE10hipError_tT2_T3_mT4_P12ihipStream_tbEUlT_E_NS1_11comp_targetILNS1_3genE3ELNS1_11target_archE908ELNS1_3gpuE7ELNS1_3repE0EEENS1_30default_config_static_selectorELNS0_4arch9wavefront6targetE0EEEvT1_
	.globl	_ZN7rocprim17ROCPRIM_400000_NS6detail17trampoline_kernelINS0_14default_configENS1_25transform_config_selectorIiLb0EEEZNS1_14transform_implILb0ES3_S5_N6thrust23THRUST_200600_302600_NS10device_ptrIiEEPiNS0_8identityIiEEEE10hipError_tT2_T3_mT4_P12ihipStream_tbEUlT_E_NS1_11comp_targetILNS1_3genE3ELNS1_11target_archE908ELNS1_3gpuE7ELNS1_3repE0EEENS1_30default_config_static_selectorELNS0_4arch9wavefront6targetE0EEEvT1_
	.p2align	8
	.type	_ZN7rocprim17ROCPRIM_400000_NS6detail17trampoline_kernelINS0_14default_configENS1_25transform_config_selectorIiLb0EEEZNS1_14transform_implILb0ES3_S5_N6thrust23THRUST_200600_302600_NS10device_ptrIiEEPiNS0_8identityIiEEEE10hipError_tT2_T3_mT4_P12ihipStream_tbEUlT_E_NS1_11comp_targetILNS1_3genE3ELNS1_11target_archE908ELNS1_3gpuE7ELNS1_3repE0EEENS1_30default_config_static_selectorELNS0_4arch9wavefront6targetE0EEEvT1_,@function
_ZN7rocprim17ROCPRIM_400000_NS6detail17trampoline_kernelINS0_14default_configENS1_25transform_config_selectorIiLb0EEEZNS1_14transform_implILb0ES3_S5_N6thrust23THRUST_200600_302600_NS10device_ptrIiEEPiNS0_8identityIiEEEE10hipError_tT2_T3_mT4_P12ihipStream_tbEUlT_E_NS1_11comp_targetILNS1_3genE3ELNS1_11target_archE908ELNS1_3gpuE7ELNS1_3repE0EEENS1_30default_config_static_selectorELNS0_4arch9wavefront6targetE0EEEvT1_: ; @_ZN7rocprim17ROCPRIM_400000_NS6detail17trampoline_kernelINS0_14default_configENS1_25transform_config_selectorIiLb0EEEZNS1_14transform_implILb0ES3_S5_N6thrust23THRUST_200600_302600_NS10device_ptrIiEEPiNS0_8identityIiEEEE10hipError_tT2_T3_mT4_P12ihipStream_tbEUlT_E_NS1_11comp_targetILNS1_3genE3ELNS1_11target_archE908ELNS1_3gpuE7ELNS1_3repE0EEENS1_30default_config_static_selectorELNS0_4arch9wavefront6targetE0EEEvT1_
; %bb.0:
	.section	.rodata,"a",@progbits
	.p2align	6, 0x0
	.amdhsa_kernel _ZN7rocprim17ROCPRIM_400000_NS6detail17trampoline_kernelINS0_14default_configENS1_25transform_config_selectorIiLb0EEEZNS1_14transform_implILb0ES3_S5_N6thrust23THRUST_200600_302600_NS10device_ptrIiEEPiNS0_8identityIiEEEE10hipError_tT2_T3_mT4_P12ihipStream_tbEUlT_E_NS1_11comp_targetILNS1_3genE3ELNS1_11target_archE908ELNS1_3gpuE7ELNS1_3repE0EEENS1_30default_config_static_selectorELNS0_4arch9wavefront6targetE0EEEvT1_
		.amdhsa_group_segment_fixed_size 0
		.amdhsa_private_segment_fixed_size 0
		.amdhsa_kernarg_size 40
		.amdhsa_user_sgpr_count 6
		.amdhsa_user_sgpr_private_segment_buffer 1
		.amdhsa_user_sgpr_dispatch_ptr 0
		.amdhsa_user_sgpr_queue_ptr 0
		.amdhsa_user_sgpr_kernarg_segment_ptr 1
		.amdhsa_user_sgpr_dispatch_id 0
		.amdhsa_user_sgpr_flat_scratch_init 0
		.amdhsa_user_sgpr_private_segment_size 0
		.amdhsa_wavefront_size32 1
		.amdhsa_uses_dynamic_stack 0
		.amdhsa_system_sgpr_private_segment_wavefront_offset 0
		.amdhsa_system_sgpr_workgroup_id_x 1
		.amdhsa_system_sgpr_workgroup_id_y 0
		.amdhsa_system_sgpr_workgroup_id_z 0
		.amdhsa_system_sgpr_workgroup_info 0
		.amdhsa_system_vgpr_workitem_id 0
		.amdhsa_next_free_vgpr 1
		.amdhsa_next_free_sgpr 1
		.amdhsa_reserve_vcc 0
		.amdhsa_reserve_flat_scratch 0
		.amdhsa_float_round_mode_32 0
		.amdhsa_float_round_mode_16_64 0
		.amdhsa_float_denorm_mode_32 3
		.amdhsa_float_denorm_mode_16_64 3
		.amdhsa_dx10_clamp 1
		.amdhsa_ieee_mode 1
		.amdhsa_fp16_overflow 0
		.amdhsa_workgroup_processor_mode 1
		.amdhsa_memory_ordered 1
		.amdhsa_forward_progress 1
		.amdhsa_shared_vgpr_count 0
		.amdhsa_exception_fp_ieee_invalid_op 0
		.amdhsa_exception_fp_denorm_src 0
		.amdhsa_exception_fp_ieee_div_zero 0
		.amdhsa_exception_fp_ieee_overflow 0
		.amdhsa_exception_fp_ieee_underflow 0
		.amdhsa_exception_fp_ieee_inexact 0
		.amdhsa_exception_int_div_zero 0
	.end_amdhsa_kernel
	.section	.text._ZN7rocprim17ROCPRIM_400000_NS6detail17trampoline_kernelINS0_14default_configENS1_25transform_config_selectorIiLb0EEEZNS1_14transform_implILb0ES3_S5_N6thrust23THRUST_200600_302600_NS10device_ptrIiEEPiNS0_8identityIiEEEE10hipError_tT2_T3_mT4_P12ihipStream_tbEUlT_E_NS1_11comp_targetILNS1_3genE3ELNS1_11target_archE908ELNS1_3gpuE7ELNS1_3repE0EEENS1_30default_config_static_selectorELNS0_4arch9wavefront6targetE0EEEvT1_,"axG",@progbits,_ZN7rocprim17ROCPRIM_400000_NS6detail17trampoline_kernelINS0_14default_configENS1_25transform_config_selectorIiLb0EEEZNS1_14transform_implILb0ES3_S5_N6thrust23THRUST_200600_302600_NS10device_ptrIiEEPiNS0_8identityIiEEEE10hipError_tT2_T3_mT4_P12ihipStream_tbEUlT_E_NS1_11comp_targetILNS1_3genE3ELNS1_11target_archE908ELNS1_3gpuE7ELNS1_3repE0EEENS1_30default_config_static_selectorELNS0_4arch9wavefront6targetE0EEEvT1_,comdat
.Lfunc_end1238:
	.size	_ZN7rocprim17ROCPRIM_400000_NS6detail17trampoline_kernelINS0_14default_configENS1_25transform_config_selectorIiLb0EEEZNS1_14transform_implILb0ES3_S5_N6thrust23THRUST_200600_302600_NS10device_ptrIiEEPiNS0_8identityIiEEEE10hipError_tT2_T3_mT4_P12ihipStream_tbEUlT_E_NS1_11comp_targetILNS1_3genE3ELNS1_11target_archE908ELNS1_3gpuE7ELNS1_3repE0EEENS1_30default_config_static_selectorELNS0_4arch9wavefront6targetE0EEEvT1_, .Lfunc_end1238-_ZN7rocprim17ROCPRIM_400000_NS6detail17trampoline_kernelINS0_14default_configENS1_25transform_config_selectorIiLb0EEEZNS1_14transform_implILb0ES3_S5_N6thrust23THRUST_200600_302600_NS10device_ptrIiEEPiNS0_8identityIiEEEE10hipError_tT2_T3_mT4_P12ihipStream_tbEUlT_E_NS1_11comp_targetILNS1_3genE3ELNS1_11target_archE908ELNS1_3gpuE7ELNS1_3repE0EEENS1_30default_config_static_selectorELNS0_4arch9wavefront6targetE0EEEvT1_
                                        ; -- End function
	.set _ZN7rocprim17ROCPRIM_400000_NS6detail17trampoline_kernelINS0_14default_configENS1_25transform_config_selectorIiLb0EEEZNS1_14transform_implILb0ES3_S5_N6thrust23THRUST_200600_302600_NS10device_ptrIiEEPiNS0_8identityIiEEEE10hipError_tT2_T3_mT4_P12ihipStream_tbEUlT_E_NS1_11comp_targetILNS1_3genE3ELNS1_11target_archE908ELNS1_3gpuE7ELNS1_3repE0EEENS1_30default_config_static_selectorELNS0_4arch9wavefront6targetE0EEEvT1_.num_vgpr, 0
	.set _ZN7rocprim17ROCPRIM_400000_NS6detail17trampoline_kernelINS0_14default_configENS1_25transform_config_selectorIiLb0EEEZNS1_14transform_implILb0ES3_S5_N6thrust23THRUST_200600_302600_NS10device_ptrIiEEPiNS0_8identityIiEEEE10hipError_tT2_T3_mT4_P12ihipStream_tbEUlT_E_NS1_11comp_targetILNS1_3genE3ELNS1_11target_archE908ELNS1_3gpuE7ELNS1_3repE0EEENS1_30default_config_static_selectorELNS0_4arch9wavefront6targetE0EEEvT1_.num_agpr, 0
	.set _ZN7rocprim17ROCPRIM_400000_NS6detail17trampoline_kernelINS0_14default_configENS1_25transform_config_selectorIiLb0EEEZNS1_14transform_implILb0ES3_S5_N6thrust23THRUST_200600_302600_NS10device_ptrIiEEPiNS0_8identityIiEEEE10hipError_tT2_T3_mT4_P12ihipStream_tbEUlT_E_NS1_11comp_targetILNS1_3genE3ELNS1_11target_archE908ELNS1_3gpuE7ELNS1_3repE0EEENS1_30default_config_static_selectorELNS0_4arch9wavefront6targetE0EEEvT1_.numbered_sgpr, 0
	.set _ZN7rocprim17ROCPRIM_400000_NS6detail17trampoline_kernelINS0_14default_configENS1_25transform_config_selectorIiLb0EEEZNS1_14transform_implILb0ES3_S5_N6thrust23THRUST_200600_302600_NS10device_ptrIiEEPiNS0_8identityIiEEEE10hipError_tT2_T3_mT4_P12ihipStream_tbEUlT_E_NS1_11comp_targetILNS1_3genE3ELNS1_11target_archE908ELNS1_3gpuE7ELNS1_3repE0EEENS1_30default_config_static_selectorELNS0_4arch9wavefront6targetE0EEEvT1_.num_named_barrier, 0
	.set _ZN7rocprim17ROCPRIM_400000_NS6detail17trampoline_kernelINS0_14default_configENS1_25transform_config_selectorIiLb0EEEZNS1_14transform_implILb0ES3_S5_N6thrust23THRUST_200600_302600_NS10device_ptrIiEEPiNS0_8identityIiEEEE10hipError_tT2_T3_mT4_P12ihipStream_tbEUlT_E_NS1_11comp_targetILNS1_3genE3ELNS1_11target_archE908ELNS1_3gpuE7ELNS1_3repE0EEENS1_30default_config_static_selectorELNS0_4arch9wavefront6targetE0EEEvT1_.private_seg_size, 0
	.set _ZN7rocprim17ROCPRIM_400000_NS6detail17trampoline_kernelINS0_14default_configENS1_25transform_config_selectorIiLb0EEEZNS1_14transform_implILb0ES3_S5_N6thrust23THRUST_200600_302600_NS10device_ptrIiEEPiNS0_8identityIiEEEE10hipError_tT2_T3_mT4_P12ihipStream_tbEUlT_E_NS1_11comp_targetILNS1_3genE3ELNS1_11target_archE908ELNS1_3gpuE7ELNS1_3repE0EEENS1_30default_config_static_selectorELNS0_4arch9wavefront6targetE0EEEvT1_.uses_vcc, 0
	.set _ZN7rocprim17ROCPRIM_400000_NS6detail17trampoline_kernelINS0_14default_configENS1_25transform_config_selectorIiLb0EEEZNS1_14transform_implILb0ES3_S5_N6thrust23THRUST_200600_302600_NS10device_ptrIiEEPiNS0_8identityIiEEEE10hipError_tT2_T3_mT4_P12ihipStream_tbEUlT_E_NS1_11comp_targetILNS1_3genE3ELNS1_11target_archE908ELNS1_3gpuE7ELNS1_3repE0EEENS1_30default_config_static_selectorELNS0_4arch9wavefront6targetE0EEEvT1_.uses_flat_scratch, 0
	.set _ZN7rocprim17ROCPRIM_400000_NS6detail17trampoline_kernelINS0_14default_configENS1_25transform_config_selectorIiLb0EEEZNS1_14transform_implILb0ES3_S5_N6thrust23THRUST_200600_302600_NS10device_ptrIiEEPiNS0_8identityIiEEEE10hipError_tT2_T3_mT4_P12ihipStream_tbEUlT_E_NS1_11comp_targetILNS1_3genE3ELNS1_11target_archE908ELNS1_3gpuE7ELNS1_3repE0EEENS1_30default_config_static_selectorELNS0_4arch9wavefront6targetE0EEEvT1_.has_dyn_sized_stack, 0
	.set _ZN7rocprim17ROCPRIM_400000_NS6detail17trampoline_kernelINS0_14default_configENS1_25transform_config_selectorIiLb0EEEZNS1_14transform_implILb0ES3_S5_N6thrust23THRUST_200600_302600_NS10device_ptrIiEEPiNS0_8identityIiEEEE10hipError_tT2_T3_mT4_P12ihipStream_tbEUlT_E_NS1_11comp_targetILNS1_3genE3ELNS1_11target_archE908ELNS1_3gpuE7ELNS1_3repE0EEENS1_30default_config_static_selectorELNS0_4arch9wavefront6targetE0EEEvT1_.has_recursion, 0
	.set _ZN7rocprim17ROCPRIM_400000_NS6detail17trampoline_kernelINS0_14default_configENS1_25transform_config_selectorIiLb0EEEZNS1_14transform_implILb0ES3_S5_N6thrust23THRUST_200600_302600_NS10device_ptrIiEEPiNS0_8identityIiEEEE10hipError_tT2_T3_mT4_P12ihipStream_tbEUlT_E_NS1_11comp_targetILNS1_3genE3ELNS1_11target_archE908ELNS1_3gpuE7ELNS1_3repE0EEENS1_30default_config_static_selectorELNS0_4arch9wavefront6targetE0EEEvT1_.has_indirect_call, 0
	.section	.AMDGPU.csdata,"",@progbits
; Kernel info:
; codeLenInByte = 0
; TotalNumSgprs: 0
; NumVgprs: 0
; ScratchSize: 0
; MemoryBound: 0
; FloatMode: 240
; IeeeMode: 1
; LDSByteSize: 0 bytes/workgroup (compile time only)
; SGPRBlocks: 0
; VGPRBlocks: 0
; NumSGPRsForWavesPerEU: 1
; NumVGPRsForWavesPerEU: 1
; Occupancy: 16
; WaveLimiterHint : 0
; COMPUTE_PGM_RSRC2:SCRATCH_EN: 0
; COMPUTE_PGM_RSRC2:USER_SGPR: 6
; COMPUTE_PGM_RSRC2:TRAP_HANDLER: 0
; COMPUTE_PGM_RSRC2:TGID_X_EN: 1
; COMPUTE_PGM_RSRC2:TGID_Y_EN: 0
; COMPUTE_PGM_RSRC2:TGID_Z_EN: 0
; COMPUTE_PGM_RSRC2:TIDIG_COMP_CNT: 0
	.section	.text._ZN7rocprim17ROCPRIM_400000_NS6detail17trampoline_kernelINS0_14default_configENS1_25transform_config_selectorIiLb0EEEZNS1_14transform_implILb0ES3_S5_N6thrust23THRUST_200600_302600_NS10device_ptrIiEEPiNS0_8identityIiEEEE10hipError_tT2_T3_mT4_P12ihipStream_tbEUlT_E_NS1_11comp_targetILNS1_3genE2ELNS1_11target_archE906ELNS1_3gpuE6ELNS1_3repE0EEENS1_30default_config_static_selectorELNS0_4arch9wavefront6targetE0EEEvT1_,"axG",@progbits,_ZN7rocprim17ROCPRIM_400000_NS6detail17trampoline_kernelINS0_14default_configENS1_25transform_config_selectorIiLb0EEEZNS1_14transform_implILb0ES3_S5_N6thrust23THRUST_200600_302600_NS10device_ptrIiEEPiNS0_8identityIiEEEE10hipError_tT2_T3_mT4_P12ihipStream_tbEUlT_E_NS1_11comp_targetILNS1_3genE2ELNS1_11target_archE906ELNS1_3gpuE6ELNS1_3repE0EEENS1_30default_config_static_selectorELNS0_4arch9wavefront6targetE0EEEvT1_,comdat
	.protected	_ZN7rocprim17ROCPRIM_400000_NS6detail17trampoline_kernelINS0_14default_configENS1_25transform_config_selectorIiLb0EEEZNS1_14transform_implILb0ES3_S5_N6thrust23THRUST_200600_302600_NS10device_ptrIiEEPiNS0_8identityIiEEEE10hipError_tT2_T3_mT4_P12ihipStream_tbEUlT_E_NS1_11comp_targetILNS1_3genE2ELNS1_11target_archE906ELNS1_3gpuE6ELNS1_3repE0EEENS1_30default_config_static_selectorELNS0_4arch9wavefront6targetE0EEEvT1_ ; -- Begin function _ZN7rocprim17ROCPRIM_400000_NS6detail17trampoline_kernelINS0_14default_configENS1_25transform_config_selectorIiLb0EEEZNS1_14transform_implILb0ES3_S5_N6thrust23THRUST_200600_302600_NS10device_ptrIiEEPiNS0_8identityIiEEEE10hipError_tT2_T3_mT4_P12ihipStream_tbEUlT_E_NS1_11comp_targetILNS1_3genE2ELNS1_11target_archE906ELNS1_3gpuE6ELNS1_3repE0EEENS1_30default_config_static_selectorELNS0_4arch9wavefront6targetE0EEEvT1_
	.globl	_ZN7rocprim17ROCPRIM_400000_NS6detail17trampoline_kernelINS0_14default_configENS1_25transform_config_selectorIiLb0EEEZNS1_14transform_implILb0ES3_S5_N6thrust23THRUST_200600_302600_NS10device_ptrIiEEPiNS0_8identityIiEEEE10hipError_tT2_T3_mT4_P12ihipStream_tbEUlT_E_NS1_11comp_targetILNS1_3genE2ELNS1_11target_archE906ELNS1_3gpuE6ELNS1_3repE0EEENS1_30default_config_static_selectorELNS0_4arch9wavefront6targetE0EEEvT1_
	.p2align	8
	.type	_ZN7rocprim17ROCPRIM_400000_NS6detail17trampoline_kernelINS0_14default_configENS1_25transform_config_selectorIiLb0EEEZNS1_14transform_implILb0ES3_S5_N6thrust23THRUST_200600_302600_NS10device_ptrIiEEPiNS0_8identityIiEEEE10hipError_tT2_T3_mT4_P12ihipStream_tbEUlT_E_NS1_11comp_targetILNS1_3genE2ELNS1_11target_archE906ELNS1_3gpuE6ELNS1_3repE0EEENS1_30default_config_static_selectorELNS0_4arch9wavefront6targetE0EEEvT1_,@function
_ZN7rocprim17ROCPRIM_400000_NS6detail17trampoline_kernelINS0_14default_configENS1_25transform_config_selectorIiLb0EEEZNS1_14transform_implILb0ES3_S5_N6thrust23THRUST_200600_302600_NS10device_ptrIiEEPiNS0_8identityIiEEEE10hipError_tT2_T3_mT4_P12ihipStream_tbEUlT_E_NS1_11comp_targetILNS1_3genE2ELNS1_11target_archE906ELNS1_3gpuE6ELNS1_3repE0EEENS1_30default_config_static_selectorELNS0_4arch9wavefront6targetE0EEEvT1_: ; @_ZN7rocprim17ROCPRIM_400000_NS6detail17trampoline_kernelINS0_14default_configENS1_25transform_config_selectorIiLb0EEEZNS1_14transform_implILb0ES3_S5_N6thrust23THRUST_200600_302600_NS10device_ptrIiEEPiNS0_8identityIiEEEE10hipError_tT2_T3_mT4_P12ihipStream_tbEUlT_E_NS1_11comp_targetILNS1_3genE2ELNS1_11target_archE906ELNS1_3gpuE6ELNS1_3repE0EEENS1_30default_config_static_selectorELNS0_4arch9wavefront6targetE0EEEvT1_
; %bb.0:
	.section	.rodata,"a",@progbits
	.p2align	6, 0x0
	.amdhsa_kernel _ZN7rocprim17ROCPRIM_400000_NS6detail17trampoline_kernelINS0_14default_configENS1_25transform_config_selectorIiLb0EEEZNS1_14transform_implILb0ES3_S5_N6thrust23THRUST_200600_302600_NS10device_ptrIiEEPiNS0_8identityIiEEEE10hipError_tT2_T3_mT4_P12ihipStream_tbEUlT_E_NS1_11comp_targetILNS1_3genE2ELNS1_11target_archE906ELNS1_3gpuE6ELNS1_3repE0EEENS1_30default_config_static_selectorELNS0_4arch9wavefront6targetE0EEEvT1_
		.amdhsa_group_segment_fixed_size 0
		.amdhsa_private_segment_fixed_size 0
		.amdhsa_kernarg_size 40
		.amdhsa_user_sgpr_count 6
		.amdhsa_user_sgpr_private_segment_buffer 1
		.amdhsa_user_sgpr_dispatch_ptr 0
		.amdhsa_user_sgpr_queue_ptr 0
		.amdhsa_user_sgpr_kernarg_segment_ptr 1
		.amdhsa_user_sgpr_dispatch_id 0
		.amdhsa_user_sgpr_flat_scratch_init 0
		.amdhsa_user_sgpr_private_segment_size 0
		.amdhsa_wavefront_size32 1
		.amdhsa_uses_dynamic_stack 0
		.amdhsa_system_sgpr_private_segment_wavefront_offset 0
		.amdhsa_system_sgpr_workgroup_id_x 1
		.amdhsa_system_sgpr_workgroup_id_y 0
		.amdhsa_system_sgpr_workgroup_id_z 0
		.amdhsa_system_sgpr_workgroup_info 0
		.amdhsa_system_vgpr_workitem_id 0
		.amdhsa_next_free_vgpr 1
		.amdhsa_next_free_sgpr 1
		.amdhsa_reserve_vcc 0
		.amdhsa_reserve_flat_scratch 0
		.amdhsa_float_round_mode_32 0
		.amdhsa_float_round_mode_16_64 0
		.amdhsa_float_denorm_mode_32 3
		.amdhsa_float_denorm_mode_16_64 3
		.amdhsa_dx10_clamp 1
		.amdhsa_ieee_mode 1
		.amdhsa_fp16_overflow 0
		.amdhsa_workgroup_processor_mode 1
		.amdhsa_memory_ordered 1
		.amdhsa_forward_progress 1
		.amdhsa_shared_vgpr_count 0
		.amdhsa_exception_fp_ieee_invalid_op 0
		.amdhsa_exception_fp_denorm_src 0
		.amdhsa_exception_fp_ieee_div_zero 0
		.amdhsa_exception_fp_ieee_overflow 0
		.amdhsa_exception_fp_ieee_underflow 0
		.amdhsa_exception_fp_ieee_inexact 0
		.amdhsa_exception_int_div_zero 0
	.end_amdhsa_kernel
	.section	.text._ZN7rocprim17ROCPRIM_400000_NS6detail17trampoline_kernelINS0_14default_configENS1_25transform_config_selectorIiLb0EEEZNS1_14transform_implILb0ES3_S5_N6thrust23THRUST_200600_302600_NS10device_ptrIiEEPiNS0_8identityIiEEEE10hipError_tT2_T3_mT4_P12ihipStream_tbEUlT_E_NS1_11comp_targetILNS1_3genE2ELNS1_11target_archE906ELNS1_3gpuE6ELNS1_3repE0EEENS1_30default_config_static_selectorELNS0_4arch9wavefront6targetE0EEEvT1_,"axG",@progbits,_ZN7rocprim17ROCPRIM_400000_NS6detail17trampoline_kernelINS0_14default_configENS1_25transform_config_selectorIiLb0EEEZNS1_14transform_implILb0ES3_S5_N6thrust23THRUST_200600_302600_NS10device_ptrIiEEPiNS0_8identityIiEEEE10hipError_tT2_T3_mT4_P12ihipStream_tbEUlT_E_NS1_11comp_targetILNS1_3genE2ELNS1_11target_archE906ELNS1_3gpuE6ELNS1_3repE0EEENS1_30default_config_static_selectorELNS0_4arch9wavefront6targetE0EEEvT1_,comdat
.Lfunc_end1239:
	.size	_ZN7rocprim17ROCPRIM_400000_NS6detail17trampoline_kernelINS0_14default_configENS1_25transform_config_selectorIiLb0EEEZNS1_14transform_implILb0ES3_S5_N6thrust23THRUST_200600_302600_NS10device_ptrIiEEPiNS0_8identityIiEEEE10hipError_tT2_T3_mT4_P12ihipStream_tbEUlT_E_NS1_11comp_targetILNS1_3genE2ELNS1_11target_archE906ELNS1_3gpuE6ELNS1_3repE0EEENS1_30default_config_static_selectorELNS0_4arch9wavefront6targetE0EEEvT1_, .Lfunc_end1239-_ZN7rocprim17ROCPRIM_400000_NS6detail17trampoline_kernelINS0_14default_configENS1_25transform_config_selectorIiLb0EEEZNS1_14transform_implILb0ES3_S5_N6thrust23THRUST_200600_302600_NS10device_ptrIiEEPiNS0_8identityIiEEEE10hipError_tT2_T3_mT4_P12ihipStream_tbEUlT_E_NS1_11comp_targetILNS1_3genE2ELNS1_11target_archE906ELNS1_3gpuE6ELNS1_3repE0EEENS1_30default_config_static_selectorELNS0_4arch9wavefront6targetE0EEEvT1_
                                        ; -- End function
	.set _ZN7rocprim17ROCPRIM_400000_NS6detail17trampoline_kernelINS0_14default_configENS1_25transform_config_selectorIiLb0EEEZNS1_14transform_implILb0ES3_S5_N6thrust23THRUST_200600_302600_NS10device_ptrIiEEPiNS0_8identityIiEEEE10hipError_tT2_T3_mT4_P12ihipStream_tbEUlT_E_NS1_11comp_targetILNS1_3genE2ELNS1_11target_archE906ELNS1_3gpuE6ELNS1_3repE0EEENS1_30default_config_static_selectorELNS0_4arch9wavefront6targetE0EEEvT1_.num_vgpr, 0
	.set _ZN7rocprim17ROCPRIM_400000_NS6detail17trampoline_kernelINS0_14default_configENS1_25transform_config_selectorIiLb0EEEZNS1_14transform_implILb0ES3_S5_N6thrust23THRUST_200600_302600_NS10device_ptrIiEEPiNS0_8identityIiEEEE10hipError_tT2_T3_mT4_P12ihipStream_tbEUlT_E_NS1_11comp_targetILNS1_3genE2ELNS1_11target_archE906ELNS1_3gpuE6ELNS1_3repE0EEENS1_30default_config_static_selectorELNS0_4arch9wavefront6targetE0EEEvT1_.num_agpr, 0
	.set _ZN7rocprim17ROCPRIM_400000_NS6detail17trampoline_kernelINS0_14default_configENS1_25transform_config_selectorIiLb0EEEZNS1_14transform_implILb0ES3_S5_N6thrust23THRUST_200600_302600_NS10device_ptrIiEEPiNS0_8identityIiEEEE10hipError_tT2_T3_mT4_P12ihipStream_tbEUlT_E_NS1_11comp_targetILNS1_3genE2ELNS1_11target_archE906ELNS1_3gpuE6ELNS1_3repE0EEENS1_30default_config_static_selectorELNS0_4arch9wavefront6targetE0EEEvT1_.numbered_sgpr, 0
	.set _ZN7rocprim17ROCPRIM_400000_NS6detail17trampoline_kernelINS0_14default_configENS1_25transform_config_selectorIiLb0EEEZNS1_14transform_implILb0ES3_S5_N6thrust23THRUST_200600_302600_NS10device_ptrIiEEPiNS0_8identityIiEEEE10hipError_tT2_T3_mT4_P12ihipStream_tbEUlT_E_NS1_11comp_targetILNS1_3genE2ELNS1_11target_archE906ELNS1_3gpuE6ELNS1_3repE0EEENS1_30default_config_static_selectorELNS0_4arch9wavefront6targetE0EEEvT1_.num_named_barrier, 0
	.set _ZN7rocprim17ROCPRIM_400000_NS6detail17trampoline_kernelINS0_14default_configENS1_25transform_config_selectorIiLb0EEEZNS1_14transform_implILb0ES3_S5_N6thrust23THRUST_200600_302600_NS10device_ptrIiEEPiNS0_8identityIiEEEE10hipError_tT2_T3_mT4_P12ihipStream_tbEUlT_E_NS1_11comp_targetILNS1_3genE2ELNS1_11target_archE906ELNS1_3gpuE6ELNS1_3repE0EEENS1_30default_config_static_selectorELNS0_4arch9wavefront6targetE0EEEvT1_.private_seg_size, 0
	.set _ZN7rocprim17ROCPRIM_400000_NS6detail17trampoline_kernelINS0_14default_configENS1_25transform_config_selectorIiLb0EEEZNS1_14transform_implILb0ES3_S5_N6thrust23THRUST_200600_302600_NS10device_ptrIiEEPiNS0_8identityIiEEEE10hipError_tT2_T3_mT4_P12ihipStream_tbEUlT_E_NS1_11comp_targetILNS1_3genE2ELNS1_11target_archE906ELNS1_3gpuE6ELNS1_3repE0EEENS1_30default_config_static_selectorELNS0_4arch9wavefront6targetE0EEEvT1_.uses_vcc, 0
	.set _ZN7rocprim17ROCPRIM_400000_NS6detail17trampoline_kernelINS0_14default_configENS1_25transform_config_selectorIiLb0EEEZNS1_14transform_implILb0ES3_S5_N6thrust23THRUST_200600_302600_NS10device_ptrIiEEPiNS0_8identityIiEEEE10hipError_tT2_T3_mT4_P12ihipStream_tbEUlT_E_NS1_11comp_targetILNS1_3genE2ELNS1_11target_archE906ELNS1_3gpuE6ELNS1_3repE0EEENS1_30default_config_static_selectorELNS0_4arch9wavefront6targetE0EEEvT1_.uses_flat_scratch, 0
	.set _ZN7rocprim17ROCPRIM_400000_NS6detail17trampoline_kernelINS0_14default_configENS1_25transform_config_selectorIiLb0EEEZNS1_14transform_implILb0ES3_S5_N6thrust23THRUST_200600_302600_NS10device_ptrIiEEPiNS0_8identityIiEEEE10hipError_tT2_T3_mT4_P12ihipStream_tbEUlT_E_NS1_11comp_targetILNS1_3genE2ELNS1_11target_archE906ELNS1_3gpuE6ELNS1_3repE0EEENS1_30default_config_static_selectorELNS0_4arch9wavefront6targetE0EEEvT1_.has_dyn_sized_stack, 0
	.set _ZN7rocprim17ROCPRIM_400000_NS6detail17trampoline_kernelINS0_14default_configENS1_25transform_config_selectorIiLb0EEEZNS1_14transform_implILb0ES3_S5_N6thrust23THRUST_200600_302600_NS10device_ptrIiEEPiNS0_8identityIiEEEE10hipError_tT2_T3_mT4_P12ihipStream_tbEUlT_E_NS1_11comp_targetILNS1_3genE2ELNS1_11target_archE906ELNS1_3gpuE6ELNS1_3repE0EEENS1_30default_config_static_selectorELNS0_4arch9wavefront6targetE0EEEvT1_.has_recursion, 0
	.set _ZN7rocprim17ROCPRIM_400000_NS6detail17trampoline_kernelINS0_14default_configENS1_25transform_config_selectorIiLb0EEEZNS1_14transform_implILb0ES3_S5_N6thrust23THRUST_200600_302600_NS10device_ptrIiEEPiNS0_8identityIiEEEE10hipError_tT2_T3_mT4_P12ihipStream_tbEUlT_E_NS1_11comp_targetILNS1_3genE2ELNS1_11target_archE906ELNS1_3gpuE6ELNS1_3repE0EEENS1_30default_config_static_selectorELNS0_4arch9wavefront6targetE0EEEvT1_.has_indirect_call, 0
	.section	.AMDGPU.csdata,"",@progbits
; Kernel info:
; codeLenInByte = 0
; TotalNumSgprs: 0
; NumVgprs: 0
; ScratchSize: 0
; MemoryBound: 0
; FloatMode: 240
; IeeeMode: 1
; LDSByteSize: 0 bytes/workgroup (compile time only)
; SGPRBlocks: 0
; VGPRBlocks: 0
; NumSGPRsForWavesPerEU: 1
; NumVGPRsForWavesPerEU: 1
; Occupancy: 16
; WaveLimiterHint : 0
; COMPUTE_PGM_RSRC2:SCRATCH_EN: 0
; COMPUTE_PGM_RSRC2:USER_SGPR: 6
; COMPUTE_PGM_RSRC2:TRAP_HANDLER: 0
; COMPUTE_PGM_RSRC2:TGID_X_EN: 1
; COMPUTE_PGM_RSRC2:TGID_Y_EN: 0
; COMPUTE_PGM_RSRC2:TGID_Z_EN: 0
; COMPUTE_PGM_RSRC2:TIDIG_COMP_CNT: 0
	.section	.text._ZN7rocprim17ROCPRIM_400000_NS6detail17trampoline_kernelINS0_14default_configENS1_25transform_config_selectorIiLb0EEEZNS1_14transform_implILb0ES3_S5_N6thrust23THRUST_200600_302600_NS10device_ptrIiEEPiNS0_8identityIiEEEE10hipError_tT2_T3_mT4_P12ihipStream_tbEUlT_E_NS1_11comp_targetILNS1_3genE10ELNS1_11target_archE1201ELNS1_3gpuE5ELNS1_3repE0EEENS1_30default_config_static_selectorELNS0_4arch9wavefront6targetE0EEEvT1_,"axG",@progbits,_ZN7rocprim17ROCPRIM_400000_NS6detail17trampoline_kernelINS0_14default_configENS1_25transform_config_selectorIiLb0EEEZNS1_14transform_implILb0ES3_S5_N6thrust23THRUST_200600_302600_NS10device_ptrIiEEPiNS0_8identityIiEEEE10hipError_tT2_T3_mT4_P12ihipStream_tbEUlT_E_NS1_11comp_targetILNS1_3genE10ELNS1_11target_archE1201ELNS1_3gpuE5ELNS1_3repE0EEENS1_30default_config_static_selectorELNS0_4arch9wavefront6targetE0EEEvT1_,comdat
	.protected	_ZN7rocprim17ROCPRIM_400000_NS6detail17trampoline_kernelINS0_14default_configENS1_25transform_config_selectorIiLb0EEEZNS1_14transform_implILb0ES3_S5_N6thrust23THRUST_200600_302600_NS10device_ptrIiEEPiNS0_8identityIiEEEE10hipError_tT2_T3_mT4_P12ihipStream_tbEUlT_E_NS1_11comp_targetILNS1_3genE10ELNS1_11target_archE1201ELNS1_3gpuE5ELNS1_3repE0EEENS1_30default_config_static_selectorELNS0_4arch9wavefront6targetE0EEEvT1_ ; -- Begin function _ZN7rocprim17ROCPRIM_400000_NS6detail17trampoline_kernelINS0_14default_configENS1_25transform_config_selectorIiLb0EEEZNS1_14transform_implILb0ES3_S5_N6thrust23THRUST_200600_302600_NS10device_ptrIiEEPiNS0_8identityIiEEEE10hipError_tT2_T3_mT4_P12ihipStream_tbEUlT_E_NS1_11comp_targetILNS1_3genE10ELNS1_11target_archE1201ELNS1_3gpuE5ELNS1_3repE0EEENS1_30default_config_static_selectorELNS0_4arch9wavefront6targetE0EEEvT1_
	.globl	_ZN7rocprim17ROCPRIM_400000_NS6detail17trampoline_kernelINS0_14default_configENS1_25transform_config_selectorIiLb0EEEZNS1_14transform_implILb0ES3_S5_N6thrust23THRUST_200600_302600_NS10device_ptrIiEEPiNS0_8identityIiEEEE10hipError_tT2_T3_mT4_P12ihipStream_tbEUlT_E_NS1_11comp_targetILNS1_3genE10ELNS1_11target_archE1201ELNS1_3gpuE5ELNS1_3repE0EEENS1_30default_config_static_selectorELNS0_4arch9wavefront6targetE0EEEvT1_
	.p2align	8
	.type	_ZN7rocprim17ROCPRIM_400000_NS6detail17trampoline_kernelINS0_14default_configENS1_25transform_config_selectorIiLb0EEEZNS1_14transform_implILb0ES3_S5_N6thrust23THRUST_200600_302600_NS10device_ptrIiEEPiNS0_8identityIiEEEE10hipError_tT2_T3_mT4_P12ihipStream_tbEUlT_E_NS1_11comp_targetILNS1_3genE10ELNS1_11target_archE1201ELNS1_3gpuE5ELNS1_3repE0EEENS1_30default_config_static_selectorELNS0_4arch9wavefront6targetE0EEEvT1_,@function
_ZN7rocprim17ROCPRIM_400000_NS6detail17trampoline_kernelINS0_14default_configENS1_25transform_config_selectorIiLb0EEEZNS1_14transform_implILb0ES3_S5_N6thrust23THRUST_200600_302600_NS10device_ptrIiEEPiNS0_8identityIiEEEE10hipError_tT2_T3_mT4_P12ihipStream_tbEUlT_E_NS1_11comp_targetILNS1_3genE10ELNS1_11target_archE1201ELNS1_3gpuE5ELNS1_3repE0EEENS1_30default_config_static_selectorELNS0_4arch9wavefront6targetE0EEEvT1_: ; @_ZN7rocprim17ROCPRIM_400000_NS6detail17trampoline_kernelINS0_14default_configENS1_25transform_config_selectorIiLb0EEEZNS1_14transform_implILb0ES3_S5_N6thrust23THRUST_200600_302600_NS10device_ptrIiEEPiNS0_8identityIiEEEE10hipError_tT2_T3_mT4_P12ihipStream_tbEUlT_E_NS1_11comp_targetILNS1_3genE10ELNS1_11target_archE1201ELNS1_3gpuE5ELNS1_3repE0EEENS1_30default_config_static_selectorELNS0_4arch9wavefront6targetE0EEEvT1_
; %bb.0:
	.section	.rodata,"a",@progbits
	.p2align	6, 0x0
	.amdhsa_kernel _ZN7rocprim17ROCPRIM_400000_NS6detail17trampoline_kernelINS0_14default_configENS1_25transform_config_selectorIiLb0EEEZNS1_14transform_implILb0ES3_S5_N6thrust23THRUST_200600_302600_NS10device_ptrIiEEPiNS0_8identityIiEEEE10hipError_tT2_T3_mT4_P12ihipStream_tbEUlT_E_NS1_11comp_targetILNS1_3genE10ELNS1_11target_archE1201ELNS1_3gpuE5ELNS1_3repE0EEENS1_30default_config_static_selectorELNS0_4arch9wavefront6targetE0EEEvT1_
		.amdhsa_group_segment_fixed_size 0
		.amdhsa_private_segment_fixed_size 0
		.amdhsa_kernarg_size 40
		.amdhsa_user_sgpr_count 6
		.amdhsa_user_sgpr_private_segment_buffer 1
		.amdhsa_user_sgpr_dispatch_ptr 0
		.amdhsa_user_sgpr_queue_ptr 0
		.amdhsa_user_sgpr_kernarg_segment_ptr 1
		.amdhsa_user_sgpr_dispatch_id 0
		.amdhsa_user_sgpr_flat_scratch_init 0
		.amdhsa_user_sgpr_private_segment_size 0
		.amdhsa_wavefront_size32 1
		.amdhsa_uses_dynamic_stack 0
		.amdhsa_system_sgpr_private_segment_wavefront_offset 0
		.amdhsa_system_sgpr_workgroup_id_x 1
		.amdhsa_system_sgpr_workgroup_id_y 0
		.amdhsa_system_sgpr_workgroup_id_z 0
		.amdhsa_system_sgpr_workgroup_info 0
		.amdhsa_system_vgpr_workitem_id 0
		.amdhsa_next_free_vgpr 1
		.amdhsa_next_free_sgpr 1
		.amdhsa_reserve_vcc 0
		.amdhsa_reserve_flat_scratch 0
		.amdhsa_float_round_mode_32 0
		.amdhsa_float_round_mode_16_64 0
		.amdhsa_float_denorm_mode_32 3
		.amdhsa_float_denorm_mode_16_64 3
		.amdhsa_dx10_clamp 1
		.amdhsa_ieee_mode 1
		.amdhsa_fp16_overflow 0
		.amdhsa_workgroup_processor_mode 1
		.amdhsa_memory_ordered 1
		.amdhsa_forward_progress 1
		.amdhsa_shared_vgpr_count 0
		.amdhsa_exception_fp_ieee_invalid_op 0
		.amdhsa_exception_fp_denorm_src 0
		.amdhsa_exception_fp_ieee_div_zero 0
		.amdhsa_exception_fp_ieee_overflow 0
		.amdhsa_exception_fp_ieee_underflow 0
		.amdhsa_exception_fp_ieee_inexact 0
		.amdhsa_exception_int_div_zero 0
	.end_amdhsa_kernel
	.section	.text._ZN7rocprim17ROCPRIM_400000_NS6detail17trampoline_kernelINS0_14default_configENS1_25transform_config_selectorIiLb0EEEZNS1_14transform_implILb0ES3_S5_N6thrust23THRUST_200600_302600_NS10device_ptrIiEEPiNS0_8identityIiEEEE10hipError_tT2_T3_mT4_P12ihipStream_tbEUlT_E_NS1_11comp_targetILNS1_3genE10ELNS1_11target_archE1201ELNS1_3gpuE5ELNS1_3repE0EEENS1_30default_config_static_selectorELNS0_4arch9wavefront6targetE0EEEvT1_,"axG",@progbits,_ZN7rocprim17ROCPRIM_400000_NS6detail17trampoline_kernelINS0_14default_configENS1_25transform_config_selectorIiLb0EEEZNS1_14transform_implILb0ES3_S5_N6thrust23THRUST_200600_302600_NS10device_ptrIiEEPiNS0_8identityIiEEEE10hipError_tT2_T3_mT4_P12ihipStream_tbEUlT_E_NS1_11comp_targetILNS1_3genE10ELNS1_11target_archE1201ELNS1_3gpuE5ELNS1_3repE0EEENS1_30default_config_static_selectorELNS0_4arch9wavefront6targetE0EEEvT1_,comdat
.Lfunc_end1240:
	.size	_ZN7rocprim17ROCPRIM_400000_NS6detail17trampoline_kernelINS0_14default_configENS1_25transform_config_selectorIiLb0EEEZNS1_14transform_implILb0ES3_S5_N6thrust23THRUST_200600_302600_NS10device_ptrIiEEPiNS0_8identityIiEEEE10hipError_tT2_T3_mT4_P12ihipStream_tbEUlT_E_NS1_11comp_targetILNS1_3genE10ELNS1_11target_archE1201ELNS1_3gpuE5ELNS1_3repE0EEENS1_30default_config_static_selectorELNS0_4arch9wavefront6targetE0EEEvT1_, .Lfunc_end1240-_ZN7rocprim17ROCPRIM_400000_NS6detail17trampoline_kernelINS0_14default_configENS1_25transform_config_selectorIiLb0EEEZNS1_14transform_implILb0ES3_S5_N6thrust23THRUST_200600_302600_NS10device_ptrIiEEPiNS0_8identityIiEEEE10hipError_tT2_T3_mT4_P12ihipStream_tbEUlT_E_NS1_11comp_targetILNS1_3genE10ELNS1_11target_archE1201ELNS1_3gpuE5ELNS1_3repE0EEENS1_30default_config_static_selectorELNS0_4arch9wavefront6targetE0EEEvT1_
                                        ; -- End function
	.set _ZN7rocprim17ROCPRIM_400000_NS6detail17trampoline_kernelINS0_14default_configENS1_25transform_config_selectorIiLb0EEEZNS1_14transform_implILb0ES3_S5_N6thrust23THRUST_200600_302600_NS10device_ptrIiEEPiNS0_8identityIiEEEE10hipError_tT2_T3_mT4_P12ihipStream_tbEUlT_E_NS1_11comp_targetILNS1_3genE10ELNS1_11target_archE1201ELNS1_3gpuE5ELNS1_3repE0EEENS1_30default_config_static_selectorELNS0_4arch9wavefront6targetE0EEEvT1_.num_vgpr, 0
	.set _ZN7rocprim17ROCPRIM_400000_NS6detail17trampoline_kernelINS0_14default_configENS1_25transform_config_selectorIiLb0EEEZNS1_14transform_implILb0ES3_S5_N6thrust23THRUST_200600_302600_NS10device_ptrIiEEPiNS0_8identityIiEEEE10hipError_tT2_T3_mT4_P12ihipStream_tbEUlT_E_NS1_11comp_targetILNS1_3genE10ELNS1_11target_archE1201ELNS1_3gpuE5ELNS1_3repE0EEENS1_30default_config_static_selectorELNS0_4arch9wavefront6targetE0EEEvT1_.num_agpr, 0
	.set _ZN7rocprim17ROCPRIM_400000_NS6detail17trampoline_kernelINS0_14default_configENS1_25transform_config_selectorIiLb0EEEZNS1_14transform_implILb0ES3_S5_N6thrust23THRUST_200600_302600_NS10device_ptrIiEEPiNS0_8identityIiEEEE10hipError_tT2_T3_mT4_P12ihipStream_tbEUlT_E_NS1_11comp_targetILNS1_3genE10ELNS1_11target_archE1201ELNS1_3gpuE5ELNS1_3repE0EEENS1_30default_config_static_selectorELNS0_4arch9wavefront6targetE0EEEvT1_.numbered_sgpr, 0
	.set _ZN7rocprim17ROCPRIM_400000_NS6detail17trampoline_kernelINS0_14default_configENS1_25transform_config_selectorIiLb0EEEZNS1_14transform_implILb0ES3_S5_N6thrust23THRUST_200600_302600_NS10device_ptrIiEEPiNS0_8identityIiEEEE10hipError_tT2_T3_mT4_P12ihipStream_tbEUlT_E_NS1_11comp_targetILNS1_3genE10ELNS1_11target_archE1201ELNS1_3gpuE5ELNS1_3repE0EEENS1_30default_config_static_selectorELNS0_4arch9wavefront6targetE0EEEvT1_.num_named_barrier, 0
	.set _ZN7rocprim17ROCPRIM_400000_NS6detail17trampoline_kernelINS0_14default_configENS1_25transform_config_selectorIiLb0EEEZNS1_14transform_implILb0ES3_S5_N6thrust23THRUST_200600_302600_NS10device_ptrIiEEPiNS0_8identityIiEEEE10hipError_tT2_T3_mT4_P12ihipStream_tbEUlT_E_NS1_11comp_targetILNS1_3genE10ELNS1_11target_archE1201ELNS1_3gpuE5ELNS1_3repE0EEENS1_30default_config_static_selectorELNS0_4arch9wavefront6targetE0EEEvT1_.private_seg_size, 0
	.set _ZN7rocprim17ROCPRIM_400000_NS6detail17trampoline_kernelINS0_14default_configENS1_25transform_config_selectorIiLb0EEEZNS1_14transform_implILb0ES3_S5_N6thrust23THRUST_200600_302600_NS10device_ptrIiEEPiNS0_8identityIiEEEE10hipError_tT2_T3_mT4_P12ihipStream_tbEUlT_E_NS1_11comp_targetILNS1_3genE10ELNS1_11target_archE1201ELNS1_3gpuE5ELNS1_3repE0EEENS1_30default_config_static_selectorELNS0_4arch9wavefront6targetE0EEEvT1_.uses_vcc, 0
	.set _ZN7rocprim17ROCPRIM_400000_NS6detail17trampoline_kernelINS0_14default_configENS1_25transform_config_selectorIiLb0EEEZNS1_14transform_implILb0ES3_S5_N6thrust23THRUST_200600_302600_NS10device_ptrIiEEPiNS0_8identityIiEEEE10hipError_tT2_T3_mT4_P12ihipStream_tbEUlT_E_NS1_11comp_targetILNS1_3genE10ELNS1_11target_archE1201ELNS1_3gpuE5ELNS1_3repE0EEENS1_30default_config_static_selectorELNS0_4arch9wavefront6targetE0EEEvT1_.uses_flat_scratch, 0
	.set _ZN7rocprim17ROCPRIM_400000_NS6detail17trampoline_kernelINS0_14default_configENS1_25transform_config_selectorIiLb0EEEZNS1_14transform_implILb0ES3_S5_N6thrust23THRUST_200600_302600_NS10device_ptrIiEEPiNS0_8identityIiEEEE10hipError_tT2_T3_mT4_P12ihipStream_tbEUlT_E_NS1_11comp_targetILNS1_3genE10ELNS1_11target_archE1201ELNS1_3gpuE5ELNS1_3repE0EEENS1_30default_config_static_selectorELNS0_4arch9wavefront6targetE0EEEvT1_.has_dyn_sized_stack, 0
	.set _ZN7rocprim17ROCPRIM_400000_NS6detail17trampoline_kernelINS0_14default_configENS1_25transform_config_selectorIiLb0EEEZNS1_14transform_implILb0ES3_S5_N6thrust23THRUST_200600_302600_NS10device_ptrIiEEPiNS0_8identityIiEEEE10hipError_tT2_T3_mT4_P12ihipStream_tbEUlT_E_NS1_11comp_targetILNS1_3genE10ELNS1_11target_archE1201ELNS1_3gpuE5ELNS1_3repE0EEENS1_30default_config_static_selectorELNS0_4arch9wavefront6targetE0EEEvT1_.has_recursion, 0
	.set _ZN7rocprim17ROCPRIM_400000_NS6detail17trampoline_kernelINS0_14default_configENS1_25transform_config_selectorIiLb0EEEZNS1_14transform_implILb0ES3_S5_N6thrust23THRUST_200600_302600_NS10device_ptrIiEEPiNS0_8identityIiEEEE10hipError_tT2_T3_mT4_P12ihipStream_tbEUlT_E_NS1_11comp_targetILNS1_3genE10ELNS1_11target_archE1201ELNS1_3gpuE5ELNS1_3repE0EEENS1_30default_config_static_selectorELNS0_4arch9wavefront6targetE0EEEvT1_.has_indirect_call, 0
	.section	.AMDGPU.csdata,"",@progbits
; Kernel info:
; codeLenInByte = 0
; TotalNumSgprs: 0
; NumVgprs: 0
; ScratchSize: 0
; MemoryBound: 0
; FloatMode: 240
; IeeeMode: 1
; LDSByteSize: 0 bytes/workgroup (compile time only)
; SGPRBlocks: 0
; VGPRBlocks: 0
; NumSGPRsForWavesPerEU: 1
; NumVGPRsForWavesPerEU: 1
; Occupancy: 16
; WaveLimiterHint : 0
; COMPUTE_PGM_RSRC2:SCRATCH_EN: 0
; COMPUTE_PGM_RSRC2:USER_SGPR: 6
; COMPUTE_PGM_RSRC2:TRAP_HANDLER: 0
; COMPUTE_PGM_RSRC2:TGID_X_EN: 1
; COMPUTE_PGM_RSRC2:TGID_Y_EN: 0
; COMPUTE_PGM_RSRC2:TGID_Z_EN: 0
; COMPUTE_PGM_RSRC2:TIDIG_COMP_CNT: 0
	.section	.text._ZN7rocprim17ROCPRIM_400000_NS6detail17trampoline_kernelINS0_14default_configENS1_25transform_config_selectorIiLb0EEEZNS1_14transform_implILb0ES3_S5_N6thrust23THRUST_200600_302600_NS10device_ptrIiEEPiNS0_8identityIiEEEE10hipError_tT2_T3_mT4_P12ihipStream_tbEUlT_E_NS1_11comp_targetILNS1_3genE10ELNS1_11target_archE1200ELNS1_3gpuE4ELNS1_3repE0EEENS1_30default_config_static_selectorELNS0_4arch9wavefront6targetE0EEEvT1_,"axG",@progbits,_ZN7rocprim17ROCPRIM_400000_NS6detail17trampoline_kernelINS0_14default_configENS1_25transform_config_selectorIiLb0EEEZNS1_14transform_implILb0ES3_S5_N6thrust23THRUST_200600_302600_NS10device_ptrIiEEPiNS0_8identityIiEEEE10hipError_tT2_T3_mT4_P12ihipStream_tbEUlT_E_NS1_11comp_targetILNS1_3genE10ELNS1_11target_archE1200ELNS1_3gpuE4ELNS1_3repE0EEENS1_30default_config_static_selectorELNS0_4arch9wavefront6targetE0EEEvT1_,comdat
	.protected	_ZN7rocprim17ROCPRIM_400000_NS6detail17trampoline_kernelINS0_14default_configENS1_25transform_config_selectorIiLb0EEEZNS1_14transform_implILb0ES3_S5_N6thrust23THRUST_200600_302600_NS10device_ptrIiEEPiNS0_8identityIiEEEE10hipError_tT2_T3_mT4_P12ihipStream_tbEUlT_E_NS1_11comp_targetILNS1_3genE10ELNS1_11target_archE1200ELNS1_3gpuE4ELNS1_3repE0EEENS1_30default_config_static_selectorELNS0_4arch9wavefront6targetE0EEEvT1_ ; -- Begin function _ZN7rocprim17ROCPRIM_400000_NS6detail17trampoline_kernelINS0_14default_configENS1_25transform_config_selectorIiLb0EEEZNS1_14transform_implILb0ES3_S5_N6thrust23THRUST_200600_302600_NS10device_ptrIiEEPiNS0_8identityIiEEEE10hipError_tT2_T3_mT4_P12ihipStream_tbEUlT_E_NS1_11comp_targetILNS1_3genE10ELNS1_11target_archE1200ELNS1_3gpuE4ELNS1_3repE0EEENS1_30default_config_static_selectorELNS0_4arch9wavefront6targetE0EEEvT1_
	.globl	_ZN7rocprim17ROCPRIM_400000_NS6detail17trampoline_kernelINS0_14default_configENS1_25transform_config_selectorIiLb0EEEZNS1_14transform_implILb0ES3_S5_N6thrust23THRUST_200600_302600_NS10device_ptrIiEEPiNS0_8identityIiEEEE10hipError_tT2_T3_mT4_P12ihipStream_tbEUlT_E_NS1_11comp_targetILNS1_3genE10ELNS1_11target_archE1200ELNS1_3gpuE4ELNS1_3repE0EEENS1_30default_config_static_selectorELNS0_4arch9wavefront6targetE0EEEvT1_
	.p2align	8
	.type	_ZN7rocprim17ROCPRIM_400000_NS6detail17trampoline_kernelINS0_14default_configENS1_25transform_config_selectorIiLb0EEEZNS1_14transform_implILb0ES3_S5_N6thrust23THRUST_200600_302600_NS10device_ptrIiEEPiNS0_8identityIiEEEE10hipError_tT2_T3_mT4_P12ihipStream_tbEUlT_E_NS1_11comp_targetILNS1_3genE10ELNS1_11target_archE1200ELNS1_3gpuE4ELNS1_3repE0EEENS1_30default_config_static_selectorELNS0_4arch9wavefront6targetE0EEEvT1_,@function
_ZN7rocprim17ROCPRIM_400000_NS6detail17trampoline_kernelINS0_14default_configENS1_25transform_config_selectorIiLb0EEEZNS1_14transform_implILb0ES3_S5_N6thrust23THRUST_200600_302600_NS10device_ptrIiEEPiNS0_8identityIiEEEE10hipError_tT2_T3_mT4_P12ihipStream_tbEUlT_E_NS1_11comp_targetILNS1_3genE10ELNS1_11target_archE1200ELNS1_3gpuE4ELNS1_3repE0EEENS1_30default_config_static_selectorELNS0_4arch9wavefront6targetE0EEEvT1_: ; @_ZN7rocprim17ROCPRIM_400000_NS6detail17trampoline_kernelINS0_14default_configENS1_25transform_config_selectorIiLb0EEEZNS1_14transform_implILb0ES3_S5_N6thrust23THRUST_200600_302600_NS10device_ptrIiEEPiNS0_8identityIiEEEE10hipError_tT2_T3_mT4_P12ihipStream_tbEUlT_E_NS1_11comp_targetILNS1_3genE10ELNS1_11target_archE1200ELNS1_3gpuE4ELNS1_3repE0EEENS1_30default_config_static_selectorELNS0_4arch9wavefront6targetE0EEEvT1_
; %bb.0:
	.section	.rodata,"a",@progbits
	.p2align	6, 0x0
	.amdhsa_kernel _ZN7rocprim17ROCPRIM_400000_NS6detail17trampoline_kernelINS0_14default_configENS1_25transform_config_selectorIiLb0EEEZNS1_14transform_implILb0ES3_S5_N6thrust23THRUST_200600_302600_NS10device_ptrIiEEPiNS0_8identityIiEEEE10hipError_tT2_T3_mT4_P12ihipStream_tbEUlT_E_NS1_11comp_targetILNS1_3genE10ELNS1_11target_archE1200ELNS1_3gpuE4ELNS1_3repE0EEENS1_30default_config_static_selectorELNS0_4arch9wavefront6targetE0EEEvT1_
		.amdhsa_group_segment_fixed_size 0
		.amdhsa_private_segment_fixed_size 0
		.amdhsa_kernarg_size 40
		.amdhsa_user_sgpr_count 6
		.amdhsa_user_sgpr_private_segment_buffer 1
		.amdhsa_user_sgpr_dispatch_ptr 0
		.amdhsa_user_sgpr_queue_ptr 0
		.amdhsa_user_sgpr_kernarg_segment_ptr 1
		.amdhsa_user_sgpr_dispatch_id 0
		.amdhsa_user_sgpr_flat_scratch_init 0
		.amdhsa_user_sgpr_private_segment_size 0
		.amdhsa_wavefront_size32 1
		.amdhsa_uses_dynamic_stack 0
		.amdhsa_system_sgpr_private_segment_wavefront_offset 0
		.amdhsa_system_sgpr_workgroup_id_x 1
		.amdhsa_system_sgpr_workgroup_id_y 0
		.amdhsa_system_sgpr_workgroup_id_z 0
		.amdhsa_system_sgpr_workgroup_info 0
		.amdhsa_system_vgpr_workitem_id 0
		.amdhsa_next_free_vgpr 1
		.amdhsa_next_free_sgpr 1
		.amdhsa_reserve_vcc 0
		.amdhsa_reserve_flat_scratch 0
		.amdhsa_float_round_mode_32 0
		.amdhsa_float_round_mode_16_64 0
		.amdhsa_float_denorm_mode_32 3
		.amdhsa_float_denorm_mode_16_64 3
		.amdhsa_dx10_clamp 1
		.amdhsa_ieee_mode 1
		.amdhsa_fp16_overflow 0
		.amdhsa_workgroup_processor_mode 1
		.amdhsa_memory_ordered 1
		.amdhsa_forward_progress 1
		.amdhsa_shared_vgpr_count 0
		.amdhsa_exception_fp_ieee_invalid_op 0
		.amdhsa_exception_fp_denorm_src 0
		.amdhsa_exception_fp_ieee_div_zero 0
		.amdhsa_exception_fp_ieee_overflow 0
		.amdhsa_exception_fp_ieee_underflow 0
		.amdhsa_exception_fp_ieee_inexact 0
		.amdhsa_exception_int_div_zero 0
	.end_amdhsa_kernel
	.section	.text._ZN7rocprim17ROCPRIM_400000_NS6detail17trampoline_kernelINS0_14default_configENS1_25transform_config_selectorIiLb0EEEZNS1_14transform_implILb0ES3_S5_N6thrust23THRUST_200600_302600_NS10device_ptrIiEEPiNS0_8identityIiEEEE10hipError_tT2_T3_mT4_P12ihipStream_tbEUlT_E_NS1_11comp_targetILNS1_3genE10ELNS1_11target_archE1200ELNS1_3gpuE4ELNS1_3repE0EEENS1_30default_config_static_selectorELNS0_4arch9wavefront6targetE0EEEvT1_,"axG",@progbits,_ZN7rocprim17ROCPRIM_400000_NS6detail17trampoline_kernelINS0_14default_configENS1_25transform_config_selectorIiLb0EEEZNS1_14transform_implILb0ES3_S5_N6thrust23THRUST_200600_302600_NS10device_ptrIiEEPiNS0_8identityIiEEEE10hipError_tT2_T3_mT4_P12ihipStream_tbEUlT_E_NS1_11comp_targetILNS1_3genE10ELNS1_11target_archE1200ELNS1_3gpuE4ELNS1_3repE0EEENS1_30default_config_static_selectorELNS0_4arch9wavefront6targetE0EEEvT1_,comdat
.Lfunc_end1241:
	.size	_ZN7rocprim17ROCPRIM_400000_NS6detail17trampoline_kernelINS0_14default_configENS1_25transform_config_selectorIiLb0EEEZNS1_14transform_implILb0ES3_S5_N6thrust23THRUST_200600_302600_NS10device_ptrIiEEPiNS0_8identityIiEEEE10hipError_tT2_T3_mT4_P12ihipStream_tbEUlT_E_NS1_11comp_targetILNS1_3genE10ELNS1_11target_archE1200ELNS1_3gpuE4ELNS1_3repE0EEENS1_30default_config_static_selectorELNS0_4arch9wavefront6targetE0EEEvT1_, .Lfunc_end1241-_ZN7rocprim17ROCPRIM_400000_NS6detail17trampoline_kernelINS0_14default_configENS1_25transform_config_selectorIiLb0EEEZNS1_14transform_implILb0ES3_S5_N6thrust23THRUST_200600_302600_NS10device_ptrIiEEPiNS0_8identityIiEEEE10hipError_tT2_T3_mT4_P12ihipStream_tbEUlT_E_NS1_11comp_targetILNS1_3genE10ELNS1_11target_archE1200ELNS1_3gpuE4ELNS1_3repE0EEENS1_30default_config_static_selectorELNS0_4arch9wavefront6targetE0EEEvT1_
                                        ; -- End function
	.set _ZN7rocprim17ROCPRIM_400000_NS6detail17trampoline_kernelINS0_14default_configENS1_25transform_config_selectorIiLb0EEEZNS1_14transform_implILb0ES3_S5_N6thrust23THRUST_200600_302600_NS10device_ptrIiEEPiNS0_8identityIiEEEE10hipError_tT2_T3_mT4_P12ihipStream_tbEUlT_E_NS1_11comp_targetILNS1_3genE10ELNS1_11target_archE1200ELNS1_3gpuE4ELNS1_3repE0EEENS1_30default_config_static_selectorELNS0_4arch9wavefront6targetE0EEEvT1_.num_vgpr, 0
	.set _ZN7rocprim17ROCPRIM_400000_NS6detail17trampoline_kernelINS0_14default_configENS1_25transform_config_selectorIiLb0EEEZNS1_14transform_implILb0ES3_S5_N6thrust23THRUST_200600_302600_NS10device_ptrIiEEPiNS0_8identityIiEEEE10hipError_tT2_T3_mT4_P12ihipStream_tbEUlT_E_NS1_11comp_targetILNS1_3genE10ELNS1_11target_archE1200ELNS1_3gpuE4ELNS1_3repE0EEENS1_30default_config_static_selectorELNS0_4arch9wavefront6targetE0EEEvT1_.num_agpr, 0
	.set _ZN7rocprim17ROCPRIM_400000_NS6detail17trampoline_kernelINS0_14default_configENS1_25transform_config_selectorIiLb0EEEZNS1_14transform_implILb0ES3_S5_N6thrust23THRUST_200600_302600_NS10device_ptrIiEEPiNS0_8identityIiEEEE10hipError_tT2_T3_mT4_P12ihipStream_tbEUlT_E_NS1_11comp_targetILNS1_3genE10ELNS1_11target_archE1200ELNS1_3gpuE4ELNS1_3repE0EEENS1_30default_config_static_selectorELNS0_4arch9wavefront6targetE0EEEvT1_.numbered_sgpr, 0
	.set _ZN7rocprim17ROCPRIM_400000_NS6detail17trampoline_kernelINS0_14default_configENS1_25transform_config_selectorIiLb0EEEZNS1_14transform_implILb0ES3_S5_N6thrust23THRUST_200600_302600_NS10device_ptrIiEEPiNS0_8identityIiEEEE10hipError_tT2_T3_mT4_P12ihipStream_tbEUlT_E_NS1_11comp_targetILNS1_3genE10ELNS1_11target_archE1200ELNS1_3gpuE4ELNS1_3repE0EEENS1_30default_config_static_selectorELNS0_4arch9wavefront6targetE0EEEvT1_.num_named_barrier, 0
	.set _ZN7rocprim17ROCPRIM_400000_NS6detail17trampoline_kernelINS0_14default_configENS1_25transform_config_selectorIiLb0EEEZNS1_14transform_implILb0ES3_S5_N6thrust23THRUST_200600_302600_NS10device_ptrIiEEPiNS0_8identityIiEEEE10hipError_tT2_T3_mT4_P12ihipStream_tbEUlT_E_NS1_11comp_targetILNS1_3genE10ELNS1_11target_archE1200ELNS1_3gpuE4ELNS1_3repE0EEENS1_30default_config_static_selectorELNS0_4arch9wavefront6targetE0EEEvT1_.private_seg_size, 0
	.set _ZN7rocprim17ROCPRIM_400000_NS6detail17trampoline_kernelINS0_14default_configENS1_25transform_config_selectorIiLb0EEEZNS1_14transform_implILb0ES3_S5_N6thrust23THRUST_200600_302600_NS10device_ptrIiEEPiNS0_8identityIiEEEE10hipError_tT2_T3_mT4_P12ihipStream_tbEUlT_E_NS1_11comp_targetILNS1_3genE10ELNS1_11target_archE1200ELNS1_3gpuE4ELNS1_3repE0EEENS1_30default_config_static_selectorELNS0_4arch9wavefront6targetE0EEEvT1_.uses_vcc, 0
	.set _ZN7rocprim17ROCPRIM_400000_NS6detail17trampoline_kernelINS0_14default_configENS1_25transform_config_selectorIiLb0EEEZNS1_14transform_implILb0ES3_S5_N6thrust23THRUST_200600_302600_NS10device_ptrIiEEPiNS0_8identityIiEEEE10hipError_tT2_T3_mT4_P12ihipStream_tbEUlT_E_NS1_11comp_targetILNS1_3genE10ELNS1_11target_archE1200ELNS1_3gpuE4ELNS1_3repE0EEENS1_30default_config_static_selectorELNS0_4arch9wavefront6targetE0EEEvT1_.uses_flat_scratch, 0
	.set _ZN7rocprim17ROCPRIM_400000_NS6detail17trampoline_kernelINS0_14default_configENS1_25transform_config_selectorIiLb0EEEZNS1_14transform_implILb0ES3_S5_N6thrust23THRUST_200600_302600_NS10device_ptrIiEEPiNS0_8identityIiEEEE10hipError_tT2_T3_mT4_P12ihipStream_tbEUlT_E_NS1_11comp_targetILNS1_3genE10ELNS1_11target_archE1200ELNS1_3gpuE4ELNS1_3repE0EEENS1_30default_config_static_selectorELNS0_4arch9wavefront6targetE0EEEvT1_.has_dyn_sized_stack, 0
	.set _ZN7rocprim17ROCPRIM_400000_NS6detail17trampoline_kernelINS0_14default_configENS1_25transform_config_selectorIiLb0EEEZNS1_14transform_implILb0ES3_S5_N6thrust23THRUST_200600_302600_NS10device_ptrIiEEPiNS0_8identityIiEEEE10hipError_tT2_T3_mT4_P12ihipStream_tbEUlT_E_NS1_11comp_targetILNS1_3genE10ELNS1_11target_archE1200ELNS1_3gpuE4ELNS1_3repE0EEENS1_30default_config_static_selectorELNS0_4arch9wavefront6targetE0EEEvT1_.has_recursion, 0
	.set _ZN7rocprim17ROCPRIM_400000_NS6detail17trampoline_kernelINS0_14default_configENS1_25transform_config_selectorIiLb0EEEZNS1_14transform_implILb0ES3_S5_N6thrust23THRUST_200600_302600_NS10device_ptrIiEEPiNS0_8identityIiEEEE10hipError_tT2_T3_mT4_P12ihipStream_tbEUlT_E_NS1_11comp_targetILNS1_3genE10ELNS1_11target_archE1200ELNS1_3gpuE4ELNS1_3repE0EEENS1_30default_config_static_selectorELNS0_4arch9wavefront6targetE0EEEvT1_.has_indirect_call, 0
	.section	.AMDGPU.csdata,"",@progbits
; Kernel info:
; codeLenInByte = 0
; TotalNumSgprs: 0
; NumVgprs: 0
; ScratchSize: 0
; MemoryBound: 0
; FloatMode: 240
; IeeeMode: 1
; LDSByteSize: 0 bytes/workgroup (compile time only)
; SGPRBlocks: 0
; VGPRBlocks: 0
; NumSGPRsForWavesPerEU: 1
; NumVGPRsForWavesPerEU: 1
; Occupancy: 16
; WaveLimiterHint : 0
; COMPUTE_PGM_RSRC2:SCRATCH_EN: 0
; COMPUTE_PGM_RSRC2:USER_SGPR: 6
; COMPUTE_PGM_RSRC2:TRAP_HANDLER: 0
; COMPUTE_PGM_RSRC2:TGID_X_EN: 1
; COMPUTE_PGM_RSRC2:TGID_Y_EN: 0
; COMPUTE_PGM_RSRC2:TGID_Z_EN: 0
; COMPUTE_PGM_RSRC2:TIDIG_COMP_CNT: 0
	.section	.text._ZN7rocprim17ROCPRIM_400000_NS6detail17trampoline_kernelINS0_14default_configENS1_25transform_config_selectorIiLb0EEEZNS1_14transform_implILb0ES3_S5_N6thrust23THRUST_200600_302600_NS10device_ptrIiEEPiNS0_8identityIiEEEE10hipError_tT2_T3_mT4_P12ihipStream_tbEUlT_E_NS1_11comp_targetILNS1_3genE9ELNS1_11target_archE1100ELNS1_3gpuE3ELNS1_3repE0EEENS1_30default_config_static_selectorELNS0_4arch9wavefront6targetE0EEEvT1_,"axG",@progbits,_ZN7rocprim17ROCPRIM_400000_NS6detail17trampoline_kernelINS0_14default_configENS1_25transform_config_selectorIiLb0EEEZNS1_14transform_implILb0ES3_S5_N6thrust23THRUST_200600_302600_NS10device_ptrIiEEPiNS0_8identityIiEEEE10hipError_tT2_T3_mT4_P12ihipStream_tbEUlT_E_NS1_11comp_targetILNS1_3genE9ELNS1_11target_archE1100ELNS1_3gpuE3ELNS1_3repE0EEENS1_30default_config_static_selectorELNS0_4arch9wavefront6targetE0EEEvT1_,comdat
	.protected	_ZN7rocprim17ROCPRIM_400000_NS6detail17trampoline_kernelINS0_14default_configENS1_25transform_config_selectorIiLb0EEEZNS1_14transform_implILb0ES3_S5_N6thrust23THRUST_200600_302600_NS10device_ptrIiEEPiNS0_8identityIiEEEE10hipError_tT2_T3_mT4_P12ihipStream_tbEUlT_E_NS1_11comp_targetILNS1_3genE9ELNS1_11target_archE1100ELNS1_3gpuE3ELNS1_3repE0EEENS1_30default_config_static_selectorELNS0_4arch9wavefront6targetE0EEEvT1_ ; -- Begin function _ZN7rocprim17ROCPRIM_400000_NS6detail17trampoline_kernelINS0_14default_configENS1_25transform_config_selectorIiLb0EEEZNS1_14transform_implILb0ES3_S5_N6thrust23THRUST_200600_302600_NS10device_ptrIiEEPiNS0_8identityIiEEEE10hipError_tT2_T3_mT4_P12ihipStream_tbEUlT_E_NS1_11comp_targetILNS1_3genE9ELNS1_11target_archE1100ELNS1_3gpuE3ELNS1_3repE0EEENS1_30default_config_static_selectorELNS0_4arch9wavefront6targetE0EEEvT1_
	.globl	_ZN7rocprim17ROCPRIM_400000_NS6detail17trampoline_kernelINS0_14default_configENS1_25transform_config_selectorIiLb0EEEZNS1_14transform_implILb0ES3_S5_N6thrust23THRUST_200600_302600_NS10device_ptrIiEEPiNS0_8identityIiEEEE10hipError_tT2_T3_mT4_P12ihipStream_tbEUlT_E_NS1_11comp_targetILNS1_3genE9ELNS1_11target_archE1100ELNS1_3gpuE3ELNS1_3repE0EEENS1_30default_config_static_selectorELNS0_4arch9wavefront6targetE0EEEvT1_
	.p2align	8
	.type	_ZN7rocprim17ROCPRIM_400000_NS6detail17trampoline_kernelINS0_14default_configENS1_25transform_config_selectorIiLb0EEEZNS1_14transform_implILb0ES3_S5_N6thrust23THRUST_200600_302600_NS10device_ptrIiEEPiNS0_8identityIiEEEE10hipError_tT2_T3_mT4_P12ihipStream_tbEUlT_E_NS1_11comp_targetILNS1_3genE9ELNS1_11target_archE1100ELNS1_3gpuE3ELNS1_3repE0EEENS1_30default_config_static_selectorELNS0_4arch9wavefront6targetE0EEEvT1_,@function
_ZN7rocprim17ROCPRIM_400000_NS6detail17trampoline_kernelINS0_14default_configENS1_25transform_config_selectorIiLb0EEEZNS1_14transform_implILb0ES3_S5_N6thrust23THRUST_200600_302600_NS10device_ptrIiEEPiNS0_8identityIiEEEE10hipError_tT2_T3_mT4_P12ihipStream_tbEUlT_E_NS1_11comp_targetILNS1_3genE9ELNS1_11target_archE1100ELNS1_3gpuE3ELNS1_3repE0EEENS1_30default_config_static_selectorELNS0_4arch9wavefront6targetE0EEEvT1_: ; @_ZN7rocprim17ROCPRIM_400000_NS6detail17trampoline_kernelINS0_14default_configENS1_25transform_config_selectorIiLb0EEEZNS1_14transform_implILb0ES3_S5_N6thrust23THRUST_200600_302600_NS10device_ptrIiEEPiNS0_8identityIiEEEE10hipError_tT2_T3_mT4_P12ihipStream_tbEUlT_E_NS1_11comp_targetILNS1_3genE9ELNS1_11target_archE1100ELNS1_3gpuE3ELNS1_3repE0EEENS1_30default_config_static_selectorELNS0_4arch9wavefront6targetE0EEEvT1_
; %bb.0:
	.section	.rodata,"a",@progbits
	.p2align	6, 0x0
	.amdhsa_kernel _ZN7rocprim17ROCPRIM_400000_NS6detail17trampoline_kernelINS0_14default_configENS1_25transform_config_selectorIiLb0EEEZNS1_14transform_implILb0ES3_S5_N6thrust23THRUST_200600_302600_NS10device_ptrIiEEPiNS0_8identityIiEEEE10hipError_tT2_T3_mT4_P12ihipStream_tbEUlT_E_NS1_11comp_targetILNS1_3genE9ELNS1_11target_archE1100ELNS1_3gpuE3ELNS1_3repE0EEENS1_30default_config_static_selectorELNS0_4arch9wavefront6targetE0EEEvT1_
		.amdhsa_group_segment_fixed_size 0
		.amdhsa_private_segment_fixed_size 0
		.amdhsa_kernarg_size 40
		.amdhsa_user_sgpr_count 6
		.amdhsa_user_sgpr_private_segment_buffer 1
		.amdhsa_user_sgpr_dispatch_ptr 0
		.amdhsa_user_sgpr_queue_ptr 0
		.amdhsa_user_sgpr_kernarg_segment_ptr 1
		.amdhsa_user_sgpr_dispatch_id 0
		.amdhsa_user_sgpr_flat_scratch_init 0
		.amdhsa_user_sgpr_private_segment_size 0
		.amdhsa_wavefront_size32 1
		.amdhsa_uses_dynamic_stack 0
		.amdhsa_system_sgpr_private_segment_wavefront_offset 0
		.amdhsa_system_sgpr_workgroup_id_x 1
		.amdhsa_system_sgpr_workgroup_id_y 0
		.amdhsa_system_sgpr_workgroup_id_z 0
		.amdhsa_system_sgpr_workgroup_info 0
		.amdhsa_system_vgpr_workitem_id 0
		.amdhsa_next_free_vgpr 1
		.amdhsa_next_free_sgpr 1
		.amdhsa_reserve_vcc 0
		.amdhsa_reserve_flat_scratch 0
		.amdhsa_float_round_mode_32 0
		.amdhsa_float_round_mode_16_64 0
		.amdhsa_float_denorm_mode_32 3
		.amdhsa_float_denorm_mode_16_64 3
		.amdhsa_dx10_clamp 1
		.amdhsa_ieee_mode 1
		.amdhsa_fp16_overflow 0
		.amdhsa_workgroup_processor_mode 1
		.amdhsa_memory_ordered 1
		.amdhsa_forward_progress 1
		.amdhsa_shared_vgpr_count 0
		.amdhsa_exception_fp_ieee_invalid_op 0
		.amdhsa_exception_fp_denorm_src 0
		.amdhsa_exception_fp_ieee_div_zero 0
		.amdhsa_exception_fp_ieee_overflow 0
		.amdhsa_exception_fp_ieee_underflow 0
		.amdhsa_exception_fp_ieee_inexact 0
		.amdhsa_exception_int_div_zero 0
	.end_amdhsa_kernel
	.section	.text._ZN7rocprim17ROCPRIM_400000_NS6detail17trampoline_kernelINS0_14default_configENS1_25transform_config_selectorIiLb0EEEZNS1_14transform_implILb0ES3_S5_N6thrust23THRUST_200600_302600_NS10device_ptrIiEEPiNS0_8identityIiEEEE10hipError_tT2_T3_mT4_P12ihipStream_tbEUlT_E_NS1_11comp_targetILNS1_3genE9ELNS1_11target_archE1100ELNS1_3gpuE3ELNS1_3repE0EEENS1_30default_config_static_selectorELNS0_4arch9wavefront6targetE0EEEvT1_,"axG",@progbits,_ZN7rocprim17ROCPRIM_400000_NS6detail17trampoline_kernelINS0_14default_configENS1_25transform_config_selectorIiLb0EEEZNS1_14transform_implILb0ES3_S5_N6thrust23THRUST_200600_302600_NS10device_ptrIiEEPiNS0_8identityIiEEEE10hipError_tT2_T3_mT4_P12ihipStream_tbEUlT_E_NS1_11comp_targetILNS1_3genE9ELNS1_11target_archE1100ELNS1_3gpuE3ELNS1_3repE0EEENS1_30default_config_static_selectorELNS0_4arch9wavefront6targetE0EEEvT1_,comdat
.Lfunc_end1242:
	.size	_ZN7rocprim17ROCPRIM_400000_NS6detail17trampoline_kernelINS0_14default_configENS1_25transform_config_selectorIiLb0EEEZNS1_14transform_implILb0ES3_S5_N6thrust23THRUST_200600_302600_NS10device_ptrIiEEPiNS0_8identityIiEEEE10hipError_tT2_T3_mT4_P12ihipStream_tbEUlT_E_NS1_11comp_targetILNS1_3genE9ELNS1_11target_archE1100ELNS1_3gpuE3ELNS1_3repE0EEENS1_30default_config_static_selectorELNS0_4arch9wavefront6targetE0EEEvT1_, .Lfunc_end1242-_ZN7rocprim17ROCPRIM_400000_NS6detail17trampoline_kernelINS0_14default_configENS1_25transform_config_selectorIiLb0EEEZNS1_14transform_implILb0ES3_S5_N6thrust23THRUST_200600_302600_NS10device_ptrIiEEPiNS0_8identityIiEEEE10hipError_tT2_T3_mT4_P12ihipStream_tbEUlT_E_NS1_11comp_targetILNS1_3genE9ELNS1_11target_archE1100ELNS1_3gpuE3ELNS1_3repE0EEENS1_30default_config_static_selectorELNS0_4arch9wavefront6targetE0EEEvT1_
                                        ; -- End function
	.set _ZN7rocprim17ROCPRIM_400000_NS6detail17trampoline_kernelINS0_14default_configENS1_25transform_config_selectorIiLb0EEEZNS1_14transform_implILb0ES3_S5_N6thrust23THRUST_200600_302600_NS10device_ptrIiEEPiNS0_8identityIiEEEE10hipError_tT2_T3_mT4_P12ihipStream_tbEUlT_E_NS1_11comp_targetILNS1_3genE9ELNS1_11target_archE1100ELNS1_3gpuE3ELNS1_3repE0EEENS1_30default_config_static_selectorELNS0_4arch9wavefront6targetE0EEEvT1_.num_vgpr, 0
	.set _ZN7rocprim17ROCPRIM_400000_NS6detail17trampoline_kernelINS0_14default_configENS1_25transform_config_selectorIiLb0EEEZNS1_14transform_implILb0ES3_S5_N6thrust23THRUST_200600_302600_NS10device_ptrIiEEPiNS0_8identityIiEEEE10hipError_tT2_T3_mT4_P12ihipStream_tbEUlT_E_NS1_11comp_targetILNS1_3genE9ELNS1_11target_archE1100ELNS1_3gpuE3ELNS1_3repE0EEENS1_30default_config_static_selectorELNS0_4arch9wavefront6targetE0EEEvT1_.num_agpr, 0
	.set _ZN7rocprim17ROCPRIM_400000_NS6detail17trampoline_kernelINS0_14default_configENS1_25transform_config_selectorIiLb0EEEZNS1_14transform_implILb0ES3_S5_N6thrust23THRUST_200600_302600_NS10device_ptrIiEEPiNS0_8identityIiEEEE10hipError_tT2_T3_mT4_P12ihipStream_tbEUlT_E_NS1_11comp_targetILNS1_3genE9ELNS1_11target_archE1100ELNS1_3gpuE3ELNS1_3repE0EEENS1_30default_config_static_selectorELNS0_4arch9wavefront6targetE0EEEvT1_.numbered_sgpr, 0
	.set _ZN7rocprim17ROCPRIM_400000_NS6detail17trampoline_kernelINS0_14default_configENS1_25transform_config_selectorIiLb0EEEZNS1_14transform_implILb0ES3_S5_N6thrust23THRUST_200600_302600_NS10device_ptrIiEEPiNS0_8identityIiEEEE10hipError_tT2_T3_mT4_P12ihipStream_tbEUlT_E_NS1_11comp_targetILNS1_3genE9ELNS1_11target_archE1100ELNS1_3gpuE3ELNS1_3repE0EEENS1_30default_config_static_selectorELNS0_4arch9wavefront6targetE0EEEvT1_.num_named_barrier, 0
	.set _ZN7rocprim17ROCPRIM_400000_NS6detail17trampoline_kernelINS0_14default_configENS1_25transform_config_selectorIiLb0EEEZNS1_14transform_implILb0ES3_S5_N6thrust23THRUST_200600_302600_NS10device_ptrIiEEPiNS0_8identityIiEEEE10hipError_tT2_T3_mT4_P12ihipStream_tbEUlT_E_NS1_11comp_targetILNS1_3genE9ELNS1_11target_archE1100ELNS1_3gpuE3ELNS1_3repE0EEENS1_30default_config_static_selectorELNS0_4arch9wavefront6targetE0EEEvT1_.private_seg_size, 0
	.set _ZN7rocprim17ROCPRIM_400000_NS6detail17trampoline_kernelINS0_14default_configENS1_25transform_config_selectorIiLb0EEEZNS1_14transform_implILb0ES3_S5_N6thrust23THRUST_200600_302600_NS10device_ptrIiEEPiNS0_8identityIiEEEE10hipError_tT2_T3_mT4_P12ihipStream_tbEUlT_E_NS1_11comp_targetILNS1_3genE9ELNS1_11target_archE1100ELNS1_3gpuE3ELNS1_3repE0EEENS1_30default_config_static_selectorELNS0_4arch9wavefront6targetE0EEEvT1_.uses_vcc, 0
	.set _ZN7rocprim17ROCPRIM_400000_NS6detail17trampoline_kernelINS0_14default_configENS1_25transform_config_selectorIiLb0EEEZNS1_14transform_implILb0ES3_S5_N6thrust23THRUST_200600_302600_NS10device_ptrIiEEPiNS0_8identityIiEEEE10hipError_tT2_T3_mT4_P12ihipStream_tbEUlT_E_NS1_11comp_targetILNS1_3genE9ELNS1_11target_archE1100ELNS1_3gpuE3ELNS1_3repE0EEENS1_30default_config_static_selectorELNS0_4arch9wavefront6targetE0EEEvT1_.uses_flat_scratch, 0
	.set _ZN7rocprim17ROCPRIM_400000_NS6detail17trampoline_kernelINS0_14default_configENS1_25transform_config_selectorIiLb0EEEZNS1_14transform_implILb0ES3_S5_N6thrust23THRUST_200600_302600_NS10device_ptrIiEEPiNS0_8identityIiEEEE10hipError_tT2_T3_mT4_P12ihipStream_tbEUlT_E_NS1_11comp_targetILNS1_3genE9ELNS1_11target_archE1100ELNS1_3gpuE3ELNS1_3repE0EEENS1_30default_config_static_selectorELNS0_4arch9wavefront6targetE0EEEvT1_.has_dyn_sized_stack, 0
	.set _ZN7rocprim17ROCPRIM_400000_NS6detail17trampoline_kernelINS0_14default_configENS1_25transform_config_selectorIiLb0EEEZNS1_14transform_implILb0ES3_S5_N6thrust23THRUST_200600_302600_NS10device_ptrIiEEPiNS0_8identityIiEEEE10hipError_tT2_T3_mT4_P12ihipStream_tbEUlT_E_NS1_11comp_targetILNS1_3genE9ELNS1_11target_archE1100ELNS1_3gpuE3ELNS1_3repE0EEENS1_30default_config_static_selectorELNS0_4arch9wavefront6targetE0EEEvT1_.has_recursion, 0
	.set _ZN7rocprim17ROCPRIM_400000_NS6detail17trampoline_kernelINS0_14default_configENS1_25transform_config_selectorIiLb0EEEZNS1_14transform_implILb0ES3_S5_N6thrust23THRUST_200600_302600_NS10device_ptrIiEEPiNS0_8identityIiEEEE10hipError_tT2_T3_mT4_P12ihipStream_tbEUlT_E_NS1_11comp_targetILNS1_3genE9ELNS1_11target_archE1100ELNS1_3gpuE3ELNS1_3repE0EEENS1_30default_config_static_selectorELNS0_4arch9wavefront6targetE0EEEvT1_.has_indirect_call, 0
	.section	.AMDGPU.csdata,"",@progbits
; Kernel info:
; codeLenInByte = 0
; TotalNumSgprs: 0
; NumVgprs: 0
; ScratchSize: 0
; MemoryBound: 0
; FloatMode: 240
; IeeeMode: 1
; LDSByteSize: 0 bytes/workgroup (compile time only)
; SGPRBlocks: 0
; VGPRBlocks: 0
; NumSGPRsForWavesPerEU: 1
; NumVGPRsForWavesPerEU: 1
; Occupancy: 16
; WaveLimiterHint : 0
; COMPUTE_PGM_RSRC2:SCRATCH_EN: 0
; COMPUTE_PGM_RSRC2:USER_SGPR: 6
; COMPUTE_PGM_RSRC2:TRAP_HANDLER: 0
; COMPUTE_PGM_RSRC2:TGID_X_EN: 1
; COMPUTE_PGM_RSRC2:TGID_Y_EN: 0
; COMPUTE_PGM_RSRC2:TGID_Z_EN: 0
; COMPUTE_PGM_RSRC2:TIDIG_COMP_CNT: 0
	.section	.text._ZN7rocprim17ROCPRIM_400000_NS6detail17trampoline_kernelINS0_14default_configENS1_25transform_config_selectorIiLb0EEEZNS1_14transform_implILb0ES3_S5_N6thrust23THRUST_200600_302600_NS10device_ptrIiEEPiNS0_8identityIiEEEE10hipError_tT2_T3_mT4_P12ihipStream_tbEUlT_E_NS1_11comp_targetILNS1_3genE8ELNS1_11target_archE1030ELNS1_3gpuE2ELNS1_3repE0EEENS1_30default_config_static_selectorELNS0_4arch9wavefront6targetE0EEEvT1_,"axG",@progbits,_ZN7rocprim17ROCPRIM_400000_NS6detail17trampoline_kernelINS0_14default_configENS1_25transform_config_selectorIiLb0EEEZNS1_14transform_implILb0ES3_S5_N6thrust23THRUST_200600_302600_NS10device_ptrIiEEPiNS0_8identityIiEEEE10hipError_tT2_T3_mT4_P12ihipStream_tbEUlT_E_NS1_11comp_targetILNS1_3genE8ELNS1_11target_archE1030ELNS1_3gpuE2ELNS1_3repE0EEENS1_30default_config_static_selectorELNS0_4arch9wavefront6targetE0EEEvT1_,comdat
	.protected	_ZN7rocprim17ROCPRIM_400000_NS6detail17trampoline_kernelINS0_14default_configENS1_25transform_config_selectorIiLb0EEEZNS1_14transform_implILb0ES3_S5_N6thrust23THRUST_200600_302600_NS10device_ptrIiEEPiNS0_8identityIiEEEE10hipError_tT2_T3_mT4_P12ihipStream_tbEUlT_E_NS1_11comp_targetILNS1_3genE8ELNS1_11target_archE1030ELNS1_3gpuE2ELNS1_3repE0EEENS1_30default_config_static_selectorELNS0_4arch9wavefront6targetE0EEEvT1_ ; -- Begin function _ZN7rocprim17ROCPRIM_400000_NS6detail17trampoline_kernelINS0_14default_configENS1_25transform_config_selectorIiLb0EEEZNS1_14transform_implILb0ES3_S5_N6thrust23THRUST_200600_302600_NS10device_ptrIiEEPiNS0_8identityIiEEEE10hipError_tT2_T3_mT4_P12ihipStream_tbEUlT_E_NS1_11comp_targetILNS1_3genE8ELNS1_11target_archE1030ELNS1_3gpuE2ELNS1_3repE0EEENS1_30default_config_static_selectorELNS0_4arch9wavefront6targetE0EEEvT1_
	.globl	_ZN7rocprim17ROCPRIM_400000_NS6detail17trampoline_kernelINS0_14default_configENS1_25transform_config_selectorIiLb0EEEZNS1_14transform_implILb0ES3_S5_N6thrust23THRUST_200600_302600_NS10device_ptrIiEEPiNS0_8identityIiEEEE10hipError_tT2_T3_mT4_P12ihipStream_tbEUlT_E_NS1_11comp_targetILNS1_3genE8ELNS1_11target_archE1030ELNS1_3gpuE2ELNS1_3repE0EEENS1_30default_config_static_selectorELNS0_4arch9wavefront6targetE0EEEvT1_
	.p2align	8
	.type	_ZN7rocprim17ROCPRIM_400000_NS6detail17trampoline_kernelINS0_14default_configENS1_25transform_config_selectorIiLb0EEEZNS1_14transform_implILb0ES3_S5_N6thrust23THRUST_200600_302600_NS10device_ptrIiEEPiNS0_8identityIiEEEE10hipError_tT2_T3_mT4_P12ihipStream_tbEUlT_E_NS1_11comp_targetILNS1_3genE8ELNS1_11target_archE1030ELNS1_3gpuE2ELNS1_3repE0EEENS1_30default_config_static_selectorELNS0_4arch9wavefront6targetE0EEEvT1_,@function
_ZN7rocprim17ROCPRIM_400000_NS6detail17trampoline_kernelINS0_14default_configENS1_25transform_config_selectorIiLb0EEEZNS1_14transform_implILb0ES3_S5_N6thrust23THRUST_200600_302600_NS10device_ptrIiEEPiNS0_8identityIiEEEE10hipError_tT2_T3_mT4_P12ihipStream_tbEUlT_E_NS1_11comp_targetILNS1_3genE8ELNS1_11target_archE1030ELNS1_3gpuE2ELNS1_3repE0EEENS1_30default_config_static_selectorELNS0_4arch9wavefront6targetE0EEEvT1_: ; @_ZN7rocprim17ROCPRIM_400000_NS6detail17trampoline_kernelINS0_14default_configENS1_25transform_config_selectorIiLb0EEEZNS1_14transform_implILb0ES3_S5_N6thrust23THRUST_200600_302600_NS10device_ptrIiEEPiNS0_8identityIiEEEE10hipError_tT2_T3_mT4_P12ihipStream_tbEUlT_E_NS1_11comp_targetILNS1_3genE8ELNS1_11target_archE1030ELNS1_3gpuE2ELNS1_3repE0EEENS1_30default_config_static_selectorELNS0_4arch9wavefront6targetE0EEEvT1_
; %bb.0:
	s_clause 0x1
	s_load_dword s0, s[4:5], 0x28
	s_load_dword s1, s[4:5], 0x10
	s_waitcnt lgkmcnt(0)
	s_add_i32 s2, s0, -1
	s_lshl_b32 s0, s6, 8
	s_cmp_lg_u32 s6, s2
	s_cselect_b32 s2, -1, 0
	s_sub_i32 s1, s1, s0
	v_cmp_gt_u32_e32 vcc_lo, s1, v0
	s_or_b32 s1, vcc_lo, s2
	s_and_saveexec_b32 s2, s1
	s_cbranch_execz .LBB1243_2
; %bb.1:
	s_clause 0x1
	s_load_dwordx4 s[8:11], s[4:5], 0x0
	s_load_dwordx2 s[2:3], s[4:5], 0x18
	s_mov_b32 s1, 0
	v_lshlrev_b32_e32 v2, 2, v0
	s_waitcnt lgkmcnt(0)
	s_lshl_b64 s[4:5], s[10:11], 2
	s_add_u32 s6, s8, s4
	s_addc_u32 s7, s9, s5
	s_lshl_b64 s[0:1], s[0:1], 2
	s_add_u32 s6, s6, s0
	s_addc_u32 s7, s7, s1
	v_add_co_u32 v0, s6, s6, v2
	v_add_co_ci_u32_e64 v1, null, s7, 0, s6
	s_add_u32 s2, s2, s4
	s_addc_u32 s3, s3, s5
	s_add_u32 s0, s2, s0
	flat_load_dword v0, v[0:1]
	s_addc_u32 s1, s3, s1
	s_waitcnt vmcnt(0) lgkmcnt(0)
	global_store_dword v2, v0, s[0:1]
.LBB1243_2:
	s_endpgm
	.section	.rodata,"a",@progbits
	.p2align	6, 0x0
	.amdhsa_kernel _ZN7rocprim17ROCPRIM_400000_NS6detail17trampoline_kernelINS0_14default_configENS1_25transform_config_selectorIiLb0EEEZNS1_14transform_implILb0ES3_S5_N6thrust23THRUST_200600_302600_NS10device_ptrIiEEPiNS0_8identityIiEEEE10hipError_tT2_T3_mT4_P12ihipStream_tbEUlT_E_NS1_11comp_targetILNS1_3genE8ELNS1_11target_archE1030ELNS1_3gpuE2ELNS1_3repE0EEENS1_30default_config_static_selectorELNS0_4arch9wavefront6targetE0EEEvT1_
		.amdhsa_group_segment_fixed_size 0
		.amdhsa_private_segment_fixed_size 0
		.amdhsa_kernarg_size 296
		.amdhsa_user_sgpr_count 6
		.amdhsa_user_sgpr_private_segment_buffer 1
		.amdhsa_user_sgpr_dispatch_ptr 0
		.amdhsa_user_sgpr_queue_ptr 0
		.amdhsa_user_sgpr_kernarg_segment_ptr 1
		.amdhsa_user_sgpr_dispatch_id 0
		.amdhsa_user_sgpr_flat_scratch_init 0
		.amdhsa_user_sgpr_private_segment_size 0
		.amdhsa_wavefront_size32 1
		.amdhsa_uses_dynamic_stack 0
		.amdhsa_system_sgpr_private_segment_wavefront_offset 0
		.amdhsa_system_sgpr_workgroup_id_x 1
		.amdhsa_system_sgpr_workgroup_id_y 0
		.amdhsa_system_sgpr_workgroup_id_z 0
		.amdhsa_system_sgpr_workgroup_info 0
		.amdhsa_system_vgpr_workitem_id 0
		.amdhsa_next_free_vgpr 3
		.amdhsa_next_free_sgpr 12
		.amdhsa_reserve_vcc 1
		.amdhsa_reserve_flat_scratch 0
		.amdhsa_float_round_mode_32 0
		.amdhsa_float_round_mode_16_64 0
		.amdhsa_float_denorm_mode_32 3
		.amdhsa_float_denorm_mode_16_64 3
		.amdhsa_dx10_clamp 1
		.amdhsa_ieee_mode 1
		.amdhsa_fp16_overflow 0
		.amdhsa_workgroup_processor_mode 1
		.amdhsa_memory_ordered 1
		.amdhsa_forward_progress 1
		.amdhsa_shared_vgpr_count 0
		.amdhsa_exception_fp_ieee_invalid_op 0
		.amdhsa_exception_fp_denorm_src 0
		.amdhsa_exception_fp_ieee_div_zero 0
		.amdhsa_exception_fp_ieee_overflow 0
		.amdhsa_exception_fp_ieee_underflow 0
		.amdhsa_exception_fp_ieee_inexact 0
		.amdhsa_exception_int_div_zero 0
	.end_amdhsa_kernel
	.section	.text._ZN7rocprim17ROCPRIM_400000_NS6detail17trampoline_kernelINS0_14default_configENS1_25transform_config_selectorIiLb0EEEZNS1_14transform_implILb0ES3_S5_N6thrust23THRUST_200600_302600_NS10device_ptrIiEEPiNS0_8identityIiEEEE10hipError_tT2_T3_mT4_P12ihipStream_tbEUlT_E_NS1_11comp_targetILNS1_3genE8ELNS1_11target_archE1030ELNS1_3gpuE2ELNS1_3repE0EEENS1_30default_config_static_selectorELNS0_4arch9wavefront6targetE0EEEvT1_,"axG",@progbits,_ZN7rocprim17ROCPRIM_400000_NS6detail17trampoline_kernelINS0_14default_configENS1_25transform_config_selectorIiLb0EEEZNS1_14transform_implILb0ES3_S5_N6thrust23THRUST_200600_302600_NS10device_ptrIiEEPiNS0_8identityIiEEEE10hipError_tT2_T3_mT4_P12ihipStream_tbEUlT_E_NS1_11comp_targetILNS1_3genE8ELNS1_11target_archE1030ELNS1_3gpuE2ELNS1_3repE0EEENS1_30default_config_static_selectorELNS0_4arch9wavefront6targetE0EEEvT1_,comdat
.Lfunc_end1243:
	.size	_ZN7rocprim17ROCPRIM_400000_NS6detail17trampoline_kernelINS0_14default_configENS1_25transform_config_selectorIiLb0EEEZNS1_14transform_implILb0ES3_S5_N6thrust23THRUST_200600_302600_NS10device_ptrIiEEPiNS0_8identityIiEEEE10hipError_tT2_T3_mT4_P12ihipStream_tbEUlT_E_NS1_11comp_targetILNS1_3genE8ELNS1_11target_archE1030ELNS1_3gpuE2ELNS1_3repE0EEENS1_30default_config_static_selectorELNS0_4arch9wavefront6targetE0EEEvT1_, .Lfunc_end1243-_ZN7rocprim17ROCPRIM_400000_NS6detail17trampoline_kernelINS0_14default_configENS1_25transform_config_selectorIiLb0EEEZNS1_14transform_implILb0ES3_S5_N6thrust23THRUST_200600_302600_NS10device_ptrIiEEPiNS0_8identityIiEEEE10hipError_tT2_T3_mT4_P12ihipStream_tbEUlT_E_NS1_11comp_targetILNS1_3genE8ELNS1_11target_archE1030ELNS1_3gpuE2ELNS1_3repE0EEENS1_30default_config_static_selectorELNS0_4arch9wavefront6targetE0EEEvT1_
                                        ; -- End function
	.set _ZN7rocprim17ROCPRIM_400000_NS6detail17trampoline_kernelINS0_14default_configENS1_25transform_config_selectorIiLb0EEEZNS1_14transform_implILb0ES3_S5_N6thrust23THRUST_200600_302600_NS10device_ptrIiEEPiNS0_8identityIiEEEE10hipError_tT2_T3_mT4_P12ihipStream_tbEUlT_E_NS1_11comp_targetILNS1_3genE8ELNS1_11target_archE1030ELNS1_3gpuE2ELNS1_3repE0EEENS1_30default_config_static_selectorELNS0_4arch9wavefront6targetE0EEEvT1_.num_vgpr, 3
	.set _ZN7rocprim17ROCPRIM_400000_NS6detail17trampoline_kernelINS0_14default_configENS1_25transform_config_selectorIiLb0EEEZNS1_14transform_implILb0ES3_S5_N6thrust23THRUST_200600_302600_NS10device_ptrIiEEPiNS0_8identityIiEEEE10hipError_tT2_T3_mT4_P12ihipStream_tbEUlT_E_NS1_11comp_targetILNS1_3genE8ELNS1_11target_archE1030ELNS1_3gpuE2ELNS1_3repE0EEENS1_30default_config_static_selectorELNS0_4arch9wavefront6targetE0EEEvT1_.num_agpr, 0
	.set _ZN7rocprim17ROCPRIM_400000_NS6detail17trampoline_kernelINS0_14default_configENS1_25transform_config_selectorIiLb0EEEZNS1_14transform_implILb0ES3_S5_N6thrust23THRUST_200600_302600_NS10device_ptrIiEEPiNS0_8identityIiEEEE10hipError_tT2_T3_mT4_P12ihipStream_tbEUlT_E_NS1_11comp_targetILNS1_3genE8ELNS1_11target_archE1030ELNS1_3gpuE2ELNS1_3repE0EEENS1_30default_config_static_selectorELNS0_4arch9wavefront6targetE0EEEvT1_.numbered_sgpr, 12
	.set _ZN7rocprim17ROCPRIM_400000_NS6detail17trampoline_kernelINS0_14default_configENS1_25transform_config_selectorIiLb0EEEZNS1_14transform_implILb0ES3_S5_N6thrust23THRUST_200600_302600_NS10device_ptrIiEEPiNS0_8identityIiEEEE10hipError_tT2_T3_mT4_P12ihipStream_tbEUlT_E_NS1_11comp_targetILNS1_3genE8ELNS1_11target_archE1030ELNS1_3gpuE2ELNS1_3repE0EEENS1_30default_config_static_selectorELNS0_4arch9wavefront6targetE0EEEvT1_.num_named_barrier, 0
	.set _ZN7rocprim17ROCPRIM_400000_NS6detail17trampoline_kernelINS0_14default_configENS1_25transform_config_selectorIiLb0EEEZNS1_14transform_implILb0ES3_S5_N6thrust23THRUST_200600_302600_NS10device_ptrIiEEPiNS0_8identityIiEEEE10hipError_tT2_T3_mT4_P12ihipStream_tbEUlT_E_NS1_11comp_targetILNS1_3genE8ELNS1_11target_archE1030ELNS1_3gpuE2ELNS1_3repE0EEENS1_30default_config_static_selectorELNS0_4arch9wavefront6targetE0EEEvT1_.private_seg_size, 0
	.set _ZN7rocprim17ROCPRIM_400000_NS6detail17trampoline_kernelINS0_14default_configENS1_25transform_config_selectorIiLb0EEEZNS1_14transform_implILb0ES3_S5_N6thrust23THRUST_200600_302600_NS10device_ptrIiEEPiNS0_8identityIiEEEE10hipError_tT2_T3_mT4_P12ihipStream_tbEUlT_E_NS1_11comp_targetILNS1_3genE8ELNS1_11target_archE1030ELNS1_3gpuE2ELNS1_3repE0EEENS1_30default_config_static_selectorELNS0_4arch9wavefront6targetE0EEEvT1_.uses_vcc, 1
	.set _ZN7rocprim17ROCPRIM_400000_NS6detail17trampoline_kernelINS0_14default_configENS1_25transform_config_selectorIiLb0EEEZNS1_14transform_implILb0ES3_S5_N6thrust23THRUST_200600_302600_NS10device_ptrIiEEPiNS0_8identityIiEEEE10hipError_tT2_T3_mT4_P12ihipStream_tbEUlT_E_NS1_11comp_targetILNS1_3genE8ELNS1_11target_archE1030ELNS1_3gpuE2ELNS1_3repE0EEENS1_30default_config_static_selectorELNS0_4arch9wavefront6targetE0EEEvT1_.uses_flat_scratch, 0
	.set _ZN7rocprim17ROCPRIM_400000_NS6detail17trampoline_kernelINS0_14default_configENS1_25transform_config_selectorIiLb0EEEZNS1_14transform_implILb0ES3_S5_N6thrust23THRUST_200600_302600_NS10device_ptrIiEEPiNS0_8identityIiEEEE10hipError_tT2_T3_mT4_P12ihipStream_tbEUlT_E_NS1_11comp_targetILNS1_3genE8ELNS1_11target_archE1030ELNS1_3gpuE2ELNS1_3repE0EEENS1_30default_config_static_selectorELNS0_4arch9wavefront6targetE0EEEvT1_.has_dyn_sized_stack, 0
	.set _ZN7rocprim17ROCPRIM_400000_NS6detail17trampoline_kernelINS0_14default_configENS1_25transform_config_selectorIiLb0EEEZNS1_14transform_implILb0ES3_S5_N6thrust23THRUST_200600_302600_NS10device_ptrIiEEPiNS0_8identityIiEEEE10hipError_tT2_T3_mT4_P12ihipStream_tbEUlT_E_NS1_11comp_targetILNS1_3genE8ELNS1_11target_archE1030ELNS1_3gpuE2ELNS1_3repE0EEENS1_30default_config_static_selectorELNS0_4arch9wavefront6targetE0EEEvT1_.has_recursion, 0
	.set _ZN7rocprim17ROCPRIM_400000_NS6detail17trampoline_kernelINS0_14default_configENS1_25transform_config_selectorIiLb0EEEZNS1_14transform_implILb0ES3_S5_N6thrust23THRUST_200600_302600_NS10device_ptrIiEEPiNS0_8identityIiEEEE10hipError_tT2_T3_mT4_P12ihipStream_tbEUlT_E_NS1_11comp_targetILNS1_3genE8ELNS1_11target_archE1030ELNS1_3gpuE2ELNS1_3repE0EEENS1_30default_config_static_selectorELNS0_4arch9wavefront6targetE0EEEvT1_.has_indirect_call, 0
	.section	.AMDGPU.csdata,"",@progbits
; Kernel info:
; codeLenInByte = 172
; TotalNumSgprs: 14
; NumVgprs: 3
; ScratchSize: 0
; MemoryBound: 0
; FloatMode: 240
; IeeeMode: 1
; LDSByteSize: 0 bytes/workgroup (compile time only)
; SGPRBlocks: 0
; VGPRBlocks: 0
; NumSGPRsForWavesPerEU: 14
; NumVGPRsForWavesPerEU: 3
; Occupancy: 16
; WaveLimiterHint : 0
; COMPUTE_PGM_RSRC2:SCRATCH_EN: 0
; COMPUTE_PGM_RSRC2:USER_SGPR: 6
; COMPUTE_PGM_RSRC2:TRAP_HANDLER: 0
; COMPUTE_PGM_RSRC2:TGID_X_EN: 1
; COMPUTE_PGM_RSRC2:TGID_Y_EN: 0
; COMPUTE_PGM_RSRC2:TGID_Z_EN: 0
; COMPUTE_PGM_RSRC2:TIDIG_COMP_CNT: 0
	.section	.text._ZN7rocprim17ROCPRIM_400000_NS6detail17trampoline_kernelINS0_14default_configENS1_35radix_sort_onesweep_config_selectorIiNS0_10empty_typeEEEZZNS1_29radix_sort_onesweep_iterationIS3_Lb0EN6thrust23THRUST_200600_302600_NS10device_ptrIiEESB_PS5_SC_jNS0_19identity_decomposerENS1_16block_id_wrapperIjLb1EEEEE10hipError_tT1_PNSt15iterator_traitsISH_E10value_typeET2_T3_PNSI_ISN_E10value_typeET4_T5_PSS_ST_PNS1_23onesweep_lookback_stateEbbT6_jjT7_P12ihipStream_tbENKUlT_T0_SH_SM_E_clISB_SB_SC_SC_EEDaS10_S11_SH_SM_EUlS10_E_NS1_11comp_targetILNS1_3genE0ELNS1_11target_archE4294967295ELNS1_3gpuE0ELNS1_3repE0EEENS1_47radix_sort_onesweep_sort_config_static_selectorELNS0_4arch9wavefront6targetE0EEEvSH_,"axG",@progbits,_ZN7rocprim17ROCPRIM_400000_NS6detail17trampoline_kernelINS0_14default_configENS1_35radix_sort_onesweep_config_selectorIiNS0_10empty_typeEEEZZNS1_29radix_sort_onesweep_iterationIS3_Lb0EN6thrust23THRUST_200600_302600_NS10device_ptrIiEESB_PS5_SC_jNS0_19identity_decomposerENS1_16block_id_wrapperIjLb1EEEEE10hipError_tT1_PNSt15iterator_traitsISH_E10value_typeET2_T3_PNSI_ISN_E10value_typeET4_T5_PSS_ST_PNS1_23onesweep_lookback_stateEbbT6_jjT7_P12ihipStream_tbENKUlT_T0_SH_SM_E_clISB_SB_SC_SC_EEDaS10_S11_SH_SM_EUlS10_E_NS1_11comp_targetILNS1_3genE0ELNS1_11target_archE4294967295ELNS1_3gpuE0ELNS1_3repE0EEENS1_47radix_sort_onesweep_sort_config_static_selectorELNS0_4arch9wavefront6targetE0EEEvSH_,comdat
	.protected	_ZN7rocprim17ROCPRIM_400000_NS6detail17trampoline_kernelINS0_14default_configENS1_35radix_sort_onesweep_config_selectorIiNS0_10empty_typeEEEZZNS1_29radix_sort_onesweep_iterationIS3_Lb0EN6thrust23THRUST_200600_302600_NS10device_ptrIiEESB_PS5_SC_jNS0_19identity_decomposerENS1_16block_id_wrapperIjLb1EEEEE10hipError_tT1_PNSt15iterator_traitsISH_E10value_typeET2_T3_PNSI_ISN_E10value_typeET4_T5_PSS_ST_PNS1_23onesweep_lookback_stateEbbT6_jjT7_P12ihipStream_tbENKUlT_T0_SH_SM_E_clISB_SB_SC_SC_EEDaS10_S11_SH_SM_EUlS10_E_NS1_11comp_targetILNS1_3genE0ELNS1_11target_archE4294967295ELNS1_3gpuE0ELNS1_3repE0EEENS1_47radix_sort_onesweep_sort_config_static_selectorELNS0_4arch9wavefront6targetE0EEEvSH_ ; -- Begin function _ZN7rocprim17ROCPRIM_400000_NS6detail17trampoline_kernelINS0_14default_configENS1_35radix_sort_onesweep_config_selectorIiNS0_10empty_typeEEEZZNS1_29radix_sort_onesweep_iterationIS3_Lb0EN6thrust23THRUST_200600_302600_NS10device_ptrIiEESB_PS5_SC_jNS0_19identity_decomposerENS1_16block_id_wrapperIjLb1EEEEE10hipError_tT1_PNSt15iterator_traitsISH_E10value_typeET2_T3_PNSI_ISN_E10value_typeET4_T5_PSS_ST_PNS1_23onesweep_lookback_stateEbbT6_jjT7_P12ihipStream_tbENKUlT_T0_SH_SM_E_clISB_SB_SC_SC_EEDaS10_S11_SH_SM_EUlS10_E_NS1_11comp_targetILNS1_3genE0ELNS1_11target_archE4294967295ELNS1_3gpuE0ELNS1_3repE0EEENS1_47radix_sort_onesweep_sort_config_static_selectorELNS0_4arch9wavefront6targetE0EEEvSH_
	.globl	_ZN7rocprim17ROCPRIM_400000_NS6detail17trampoline_kernelINS0_14default_configENS1_35radix_sort_onesweep_config_selectorIiNS0_10empty_typeEEEZZNS1_29radix_sort_onesweep_iterationIS3_Lb0EN6thrust23THRUST_200600_302600_NS10device_ptrIiEESB_PS5_SC_jNS0_19identity_decomposerENS1_16block_id_wrapperIjLb1EEEEE10hipError_tT1_PNSt15iterator_traitsISH_E10value_typeET2_T3_PNSI_ISN_E10value_typeET4_T5_PSS_ST_PNS1_23onesweep_lookback_stateEbbT6_jjT7_P12ihipStream_tbENKUlT_T0_SH_SM_E_clISB_SB_SC_SC_EEDaS10_S11_SH_SM_EUlS10_E_NS1_11comp_targetILNS1_3genE0ELNS1_11target_archE4294967295ELNS1_3gpuE0ELNS1_3repE0EEENS1_47radix_sort_onesweep_sort_config_static_selectorELNS0_4arch9wavefront6targetE0EEEvSH_
	.p2align	8
	.type	_ZN7rocprim17ROCPRIM_400000_NS6detail17trampoline_kernelINS0_14default_configENS1_35radix_sort_onesweep_config_selectorIiNS0_10empty_typeEEEZZNS1_29radix_sort_onesweep_iterationIS3_Lb0EN6thrust23THRUST_200600_302600_NS10device_ptrIiEESB_PS5_SC_jNS0_19identity_decomposerENS1_16block_id_wrapperIjLb1EEEEE10hipError_tT1_PNSt15iterator_traitsISH_E10value_typeET2_T3_PNSI_ISN_E10value_typeET4_T5_PSS_ST_PNS1_23onesweep_lookback_stateEbbT6_jjT7_P12ihipStream_tbENKUlT_T0_SH_SM_E_clISB_SB_SC_SC_EEDaS10_S11_SH_SM_EUlS10_E_NS1_11comp_targetILNS1_3genE0ELNS1_11target_archE4294967295ELNS1_3gpuE0ELNS1_3repE0EEENS1_47radix_sort_onesweep_sort_config_static_selectorELNS0_4arch9wavefront6targetE0EEEvSH_,@function
_ZN7rocprim17ROCPRIM_400000_NS6detail17trampoline_kernelINS0_14default_configENS1_35radix_sort_onesweep_config_selectorIiNS0_10empty_typeEEEZZNS1_29radix_sort_onesweep_iterationIS3_Lb0EN6thrust23THRUST_200600_302600_NS10device_ptrIiEESB_PS5_SC_jNS0_19identity_decomposerENS1_16block_id_wrapperIjLb1EEEEE10hipError_tT1_PNSt15iterator_traitsISH_E10value_typeET2_T3_PNSI_ISN_E10value_typeET4_T5_PSS_ST_PNS1_23onesweep_lookback_stateEbbT6_jjT7_P12ihipStream_tbENKUlT_T0_SH_SM_E_clISB_SB_SC_SC_EEDaS10_S11_SH_SM_EUlS10_E_NS1_11comp_targetILNS1_3genE0ELNS1_11target_archE4294967295ELNS1_3gpuE0ELNS1_3repE0EEENS1_47radix_sort_onesweep_sort_config_static_selectorELNS0_4arch9wavefront6targetE0EEEvSH_: ; @_ZN7rocprim17ROCPRIM_400000_NS6detail17trampoline_kernelINS0_14default_configENS1_35radix_sort_onesweep_config_selectorIiNS0_10empty_typeEEEZZNS1_29radix_sort_onesweep_iterationIS3_Lb0EN6thrust23THRUST_200600_302600_NS10device_ptrIiEESB_PS5_SC_jNS0_19identity_decomposerENS1_16block_id_wrapperIjLb1EEEEE10hipError_tT1_PNSt15iterator_traitsISH_E10value_typeET2_T3_PNSI_ISN_E10value_typeET4_T5_PSS_ST_PNS1_23onesweep_lookback_stateEbbT6_jjT7_P12ihipStream_tbENKUlT_T0_SH_SM_E_clISB_SB_SC_SC_EEDaS10_S11_SH_SM_EUlS10_E_NS1_11comp_targetILNS1_3genE0ELNS1_11target_archE4294967295ELNS1_3gpuE0ELNS1_3repE0EEENS1_47radix_sort_onesweep_sort_config_static_selectorELNS0_4arch9wavefront6targetE0EEEvSH_
; %bb.0:
	.section	.rodata,"a",@progbits
	.p2align	6, 0x0
	.amdhsa_kernel _ZN7rocprim17ROCPRIM_400000_NS6detail17trampoline_kernelINS0_14default_configENS1_35radix_sort_onesweep_config_selectorIiNS0_10empty_typeEEEZZNS1_29radix_sort_onesweep_iterationIS3_Lb0EN6thrust23THRUST_200600_302600_NS10device_ptrIiEESB_PS5_SC_jNS0_19identity_decomposerENS1_16block_id_wrapperIjLb1EEEEE10hipError_tT1_PNSt15iterator_traitsISH_E10value_typeET2_T3_PNSI_ISN_E10value_typeET4_T5_PSS_ST_PNS1_23onesweep_lookback_stateEbbT6_jjT7_P12ihipStream_tbENKUlT_T0_SH_SM_E_clISB_SB_SC_SC_EEDaS10_S11_SH_SM_EUlS10_E_NS1_11comp_targetILNS1_3genE0ELNS1_11target_archE4294967295ELNS1_3gpuE0ELNS1_3repE0EEENS1_47radix_sort_onesweep_sort_config_static_selectorELNS0_4arch9wavefront6targetE0EEEvSH_
		.amdhsa_group_segment_fixed_size 0
		.amdhsa_private_segment_fixed_size 0
		.amdhsa_kernarg_size 88
		.amdhsa_user_sgpr_count 6
		.amdhsa_user_sgpr_private_segment_buffer 1
		.amdhsa_user_sgpr_dispatch_ptr 0
		.amdhsa_user_sgpr_queue_ptr 0
		.amdhsa_user_sgpr_kernarg_segment_ptr 1
		.amdhsa_user_sgpr_dispatch_id 0
		.amdhsa_user_sgpr_flat_scratch_init 0
		.amdhsa_user_sgpr_private_segment_size 0
		.amdhsa_wavefront_size32 1
		.amdhsa_uses_dynamic_stack 0
		.amdhsa_system_sgpr_private_segment_wavefront_offset 0
		.amdhsa_system_sgpr_workgroup_id_x 1
		.amdhsa_system_sgpr_workgroup_id_y 0
		.amdhsa_system_sgpr_workgroup_id_z 0
		.amdhsa_system_sgpr_workgroup_info 0
		.amdhsa_system_vgpr_workitem_id 0
		.amdhsa_next_free_vgpr 1
		.amdhsa_next_free_sgpr 1
		.amdhsa_reserve_vcc 0
		.amdhsa_reserve_flat_scratch 0
		.amdhsa_float_round_mode_32 0
		.amdhsa_float_round_mode_16_64 0
		.amdhsa_float_denorm_mode_32 3
		.amdhsa_float_denorm_mode_16_64 3
		.amdhsa_dx10_clamp 1
		.amdhsa_ieee_mode 1
		.amdhsa_fp16_overflow 0
		.amdhsa_workgroup_processor_mode 1
		.amdhsa_memory_ordered 1
		.amdhsa_forward_progress 1
		.amdhsa_shared_vgpr_count 0
		.amdhsa_exception_fp_ieee_invalid_op 0
		.amdhsa_exception_fp_denorm_src 0
		.amdhsa_exception_fp_ieee_div_zero 0
		.amdhsa_exception_fp_ieee_overflow 0
		.amdhsa_exception_fp_ieee_underflow 0
		.amdhsa_exception_fp_ieee_inexact 0
		.amdhsa_exception_int_div_zero 0
	.end_amdhsa_kernel
	.section	.text._ZN7rocprim17ROCPRIM_400000_NS6detail17trampoline_kernelINS0_14default_configENS1_35radix_sort_onesweep_config_selectorIiNS0_10empty_typeEEEZZNS1_29radix_sort_onesweep_iterationIS3_Lb0EN6thrust23THRUST_200600_302600_NS10device_ptrIiEESB_PS5_SC_jNS0_19identity_decomposerENS1_16block_id_wrapperIjLb1EEEEE10hipError_tT1_PNSt15iterator_traitsISH_E10value_typeET2_T3_PNSI_ISN_E10value_typeET4_T5_PSS_ST_PNS1_23onesweep_lookback_stateEbbT6_jjT7_P12ihipStream_tbENKUlT_T0_SH_SM_E_clISB_SB_SC_SC_EEDaS10_S11_SH_SM_EUlS10_E_NS1_11comp_targetILNS1_3genE0ELNS1_11target_archE4294967295ELNS1_3gpuE0ELNS1_3repE0EEENS1_47radix_sort_onesweep_sort_config_static_selectorELNS0_4arch9wavefront6targetE0EEEvSH_,"axG",@progbits,_ZN7rocprim17ROCPRIM_400000_NS6detail17trampoline_kernelINS0_14default_configENS1_35radix_sort_onesweep_config_selectorIiNS0_10empty_typeEEEZZNS1_29radix_sort_onesweep_iterationIS3_Lb0EN6thrust23THRUST_200600_302600_NS10device_ptrIiEESB_PS5_SC_jNS0_19identity_decomposerENS1_16block_id_wrapperIjLb1EEEEE10hipError_tT1_PNSt15iterator_traitsISH_E10value_typeET2_T3_PNSI_ISN_E10value_typeET4_T5_PSS_ST_PNS1_23onesweep_lookback_stateEbbT6_jjT7_P12ihipStream_tbENKUlT_T0_SH_SM_E_clISB_SB_SC_SC_EEDaS10_S11_SH_SM_EUlS10_E_NS1_11comp_targetILNS1_3genE0ELNS1_11target_archE4294967295ELNS1_3gpuE0ELNS1_3repE0EEENS1_47radix_sort_onesweep_sort_config_static_selectorELNS0_4arch9wavefront6targetE0EEEvSH_,comdat
.Lfunc_end1244:
	.size	_ZN7rocprim17ROCPRIM_400000_NS6detail17trampoline_kernelINS0_14default_configENS1_35radix_sort_onesweep_config_selectorIiNS0_10empty_typeEEEZZNS1_29radix_sort_onesweep_iterationIS3_Lb0EN6thrust23THRUST_200600_302600_NS10device_ptrIiEESB_PS5_SC_jNS0_19identity_decomposerENS1_16block_id_wrapperIjLb1EEEEE10hipError_tT1_PNSt15iterator_traitsISH_E10value_typeET2_T3_PNSI_ISN_E10value_typeET4_T5_PSS_ST_PNS1_23onesweep_lookback_stateEbbT6_jjT7_P12ihipStream_tbENKUlT_T0_SH_SM_E_clISB_SB_SC_SC_EEDaS10_S11_SH_SM_EUlS10_E_NS1_11comp_targetILNS1_3genE0ELNS1_11target_archE4294967295ELNS1_3gpuE0ELNS1_3repE0EEENS1_47radix_sort_onesweep_sort_config_static_selectorELNS0_4arch9wavefront6targetE0EEEvSH_, .Lfunc_end1244-_ZN7rocprim17ROCPRIM_400000_NS6detail17trampoline_kernelINS0_14default_configENS1_35radix_sort_onesweep_config_selectorIiNS0_10empty_typeEEEZZNS1_29radix_sort_onesweep_iterationIS3_Lb0EN6thrust23THRUST_200600_302600_NS10device_ptrIiEESB_PS5_SC_jNS0_19identity_decomposerENS1_16block_id_wrapperIjLb1EEEEE10hipError_tT1_PNSt15iterator_traitsISH_E10value_typeET2_T3_PNSI_ISN_E10value_typeET4_T5_PSS_ST_PNS1_23onesweep_lookback_stateEbbT6_jjT7_P12ihipStream_tbENKUlT_T0_SH_SM_E_clISB_SB_SC_SC_EEDaS10_S11_SH_SM_EUlS10_E_NS1_11comp_targetILNS1_3genE0ELNS1_11target_archE4294967295ELNS1_3gpuE0ELNS1_3repE0EEENS1_47radix_sort_onesweep_sort_config_static_selectorELNS0_4arch9wavefront6targetE0EEEvSH_
                                        ; -- End function
	.set _ZN7rocprim17ROCPRIM_400000_NS6detail17trampoline_kernelINS0_14default_configENS1_35radix_sort_onesweep_config_selectorIiNS0_10empty_typeEEEZZNS1_29radix_sort_onesweep_iterationIS3_Lb0EN6thrust23THRUST_200600_302600_NS10device_ptrIiEESB_PS5_SC_jNS0_19identity_decomposerENS1_16block_id_wrapperIjLb1EEEEE10hipError_tT1_PNSt15iterator_traitsISH_E10value_typeET2_T3_PNSI_ISN_E10value_typeET4_T5_PSS_ST_PNS1_23onesweep_lookback_stateEbbT6_jjT7_P12ihipStream_tbENKUlT_T0_SH_SM_E_clISB_SB_SC_SC_EEDaS10_S11_SH_SM_EUlS10_E_NS1_11comp_targetILNS1_3genE0ELNS1_11target_archE4294967295ELNS1_3gpuE0ELNS1_3repE0EEENS1_47radix_sort_onesweep_sort_config_static_selectorELNS0_4arch9wavefront6targetE0EEEvSH_.num_vgpr, 0
	.set _ZN7rocprim17ROCPRIM_400000_NS6detail17trampoline_kernelINS0_14default_configENS1_35radix_sort_onesweep_config_selectorIiNS0_10empty_typeEEEZZNS1_29radix_sort_onesweep_iterationIS3_Lb0EN6thrust23THRUST_200600_302600_NS10device_ptrIiEESB_PS5_SC_jNS0_19identity_decomposerENS1_16block_id_wrapperIjLb1EEEEE10hipError_tT1_PNSt15iterator_traitsISH_E10value_typeET2_T3_PNSI_ISN_E10value_typeET4_T5_PSS_ST_PNS1_23onesweep_lookback_stateEbbT6_jjT7_P12ihipStream_tbENKUlT_T0_SH_SM_E_clISB_SB_SC_SC_EEDaS10_S11_SH_SM_EUlS10_E_NS1_11comp_targetILNS1_3genE0ELNS1_11target_archE4294967295ELNS1_3gpuE0ELNS1_3repE0EEENS1_47radix_sort_onesweep_sort_config_static_selectorELNS0_4arch9wavefront6targetE0EEEvSH_.num_agpr, 0
	.set _ZN7rocprim17ROCPRIM_400000_NS6detail17trampoline_kernelINS0_14default_configENS1_35radix_sort_onesweep_config_selectorIiNS0_10empty_typeEEEZZNS1_29radix_sort_onesweep_iterationIS3_Lb0EN6thrust23THRUST_200600_302600_NS10device_ptrIiEESB_PS5_SC_jNS0_19identity_decomposerENS1_16block_id_wrapperIjLb1EEEEE10hipError_tT1_PNSt15iterator_traitsISH_E10value_typeET2_T3_PNSI_ISN_E10value_typeET4_T5_PSS_ST_PNS1_23onesweep_lookback_stateEbbT6_jjT7_P12ihipStream_tbENKUlT_T0_SH_SM_E_clISB_SB_SC_SC_EEDaS10_S11_SH_SM_EUlS10_E_NS1_11comp_targetILNS1_3genE0ELNS1_11target_archE4294967295ELNS1_3gpuE0ELNS1_3repE0EEENS1_47radix_sort_onesweep_sort_config_static_selectorELNS0_4arch9wavefront6targetE0EEEvSH_.numbered_sgpr, 0
	.set _ZN7rocprim17ROCPRIM_400000_NS6detail17trampoline_kernelINS0_14default_configENS1_35radix_sort_onesweep_config_selectorIiNS0_10empty_typeEEEZZNS1_29radix_sort_onesweep_iterationIS3_Lb0EN6thrust23THRUST_200600_302600_NS10device_ptrIiEESB_PS5_SC_jNS0_19identity_decomposerENS1_16block_id_wrapperIjLb1EEEEE10hipError_tT1_PNSt15iterator_traitsISH_E10value_typeET2_T3_PNSI_ISN_E10value_typeET4_T5_PSS_ST_PNS1_23onesweep_lookback_stateEbbT6_jjT7_P12ihipStream_tbENKUlT_T0_SH_SM_E_clISB_SB_SC_SC_EEDaS10_S11_SH_SM_EUlS10_E_NS1_11comp_targetILNS1_3genE0ELNS1_11target_archE4294967295ELNS1_3gpuE0ELNS1_3repE0EEENS1_47radix_sort_onesweep_sort_config_static_selectorELNS0_4arch9wavefront6targetE0EEEvSH_.num_named_barrier, 0
	.set _ZN7rocprim17ROCPRIM_400000_NS6detail17trampoline_kernelINS0_14default_configENS1_35radix_sort_onesweep_config_selectorIiNS0_10empty_typeEEEZZNS1_29radix_sort_onesweep_iterationIS3_Lb0EN6thrust23THRUST_200600_302600_NS10device_ptrIiEESB_PS5_SC_jNS0_19identity_decomposerENS1_16block_id_wrapperIjLb1EEEEE10hipError_tT1_PNSt15iterator_traitsISH_E10value_typeET2_T3_PNSI_ISN_E10value_typeET4_T5_PSS_ST_PNS1_23onesweep_lookback_stateEbbT6_jjT7_P12ihipStream_tbENKUlT_T0_SH_SM_E_clISB_SB_SC_SC_EEDaS10_S11_SH_SM_EUlS10_E_NS1_11comp_targetILNS1_3genE0ELNS1_11target_archE4294967295ELNS1_3gpuE0ELNS1_3repE0EEENS1_47radix_sort_onesweep_sort_config_static_selectorELNS0_4arch9wavefront6targetE0EEEvSH_.private_seg_size, 0
	.set _ZN7rocprim17ROCPRIM_400000_NS6detail17trampoline_kernelINS0_14default_configENS1_35radix_sort_onesweep_config_selectorIiNS0_10empty_typeEEEZZNS1_29radix_sort_onesweep_iterationIS3_Lb0EN6thrust23THRUST_200600_302600_NS10device_ptrIiEESB_PS5_SC_jNS0_19identity_decomposerENS1_16block_id_wrapperIjLb1EEEEE10hipError_tT1_PNSt15iterator_traitsISH_E10value_typeET2_T3_PNSI_ISN_E10value_typeET4_T5_PSS_ST_PNS1_23onesweep_lookback_stateEbbT6_jjT7_P12ihipStream_tbENKUlT_T0_SH_SM_E_clISB_SB_SC_SC_EEDaS10_S11_SH_SM_EUlS10_E_NS1_11comp_targetILNS1_3genE0ELNS1_11target_archE4294967295ELNS1_3gpuE0ELNS1_3repE0EEENS1_47radix_sort_onesweep_sort_config_static_selectorELNS0_4arch9wavefront6targetE0EEEvSH_.uses_vcc, 0
	.set _ZN7rocprim17ROCPRIM_400000_NS6detail17trampoline_kernelINS0_14default_configENS1_35radix_sort_onesweep_config_selectorIiNS0_10empty_typeEEEZZNS1_29radix_sort_onesweep_iterationIS3_Lb0EN6thrust23THRUST_200600_302600_NS10device_ptrIiEESB_PS5_SC_jNS0_19identity_decomposerENS1_16block_id_wrapperIjLb1EEEEE10hipError_tT1_PNSt15iterator_traitsISH_E10value_typeET2_T3_PNSI_ISN_E10value_typeET4_T5_PSS_ST_PNS1_23onesweep_lookback_stateEbbT6_jjT7_P12ihipStream_tbENKUlT_T0_SH_SM_E_clISB_SB_SC_SC_EEDaS10_S11_SH_SM_EUlS10_E_NS1_11comp_targetILNS1_3genE0ELNS1_11target_archE4294967295ELNS1_3gpuE0ELNS1_3repE0EEENS1_47radix_sort_onesweep_sort_config_static_selectorELNS0_4arch9wavefront6targetE0EEEvSH_.uses_flat_scratch, 0
	.set _ZN7rocprim17ROCPRIM_400000_NS6detail17trampoline_kernelINS0_14default_configENS1_35radix_sort_onesweep_config_selectorIiNS0_10empty_typeEEEZZNS1_29radix_sort_onesweep_iterationIS3_Lb0EN6thrust23THRUST_200600_302600_NS10device_ptrIiEESB_PS5_SC_jNS0_19identity_decomposerENS1_16block_id_wrapperIjLb1EEEEE10hipError_tT1_PNSt15iterator_traitsISH_E10value_typeET2_T3_PNSI_ISN_E10value_typeET4_T5_PSS_ST_PNS1_23onesweep_lookback_stateEbbT6_jjT7_P12ihipStream_tbENKUlT_T0_SH_SM_E_clISB_SB_SC_SC_EEDaS10_S11_SH_SM_EUlS10_E_NS1_11comp_targetILNS1_3genE0ELNS1_11target_archE4294967295ELNS1_3gpuE0ELNS1_3repE0EEENS1_47radix_sort_onesweep_sort_config_static_selectorELNS0_4arch9wavefront6targetE0EEEvSH_.has_dyn_sized_stack, 0
	.set _ZN7rocprim17ROCPRIM_400000_NS6detail17trampoline_kernelINS0_14default_configENS1_35radix_sort_onesweep_config_selectorIiNS0_10empty_typeEEEZZNS1_29radix_sort_onesweep_iterationIS3_Lb0EN6thrust23THRUST_200600_302600_NS10device_ptrIiEESB_PS5_SC_jNS0_19identity_decomposerENS1_16block_id_wrapperIjLb1EEEEE10hipError_tT1_PNSt15iterator_traitsISH_E10value_typeET2_T3_PNSI_ISN_E10value_typeET4_T5_PSS_ST_PNS1_23onesweep_lookback_stateEbbT6_jjT7_P12ihipStream_tbENKUlT_T0_SH_SM_E_clISB_SB_SC_SC_EEDaS10_S11_SH_SM_EUlS10_E_NS1_11comp_targetILNS1_3genE0ELNS1_11target_archE4294967295ELNS1_3gpuE0ELNS1_3repE0EEENS1_47radix_sort_onesweep_sort_config_static_selectorELNS0_4arch9wavefront6targetE0EEEvSH_.has_recursion, 0
	.set _ZN7rocprim17ROCPRIM_400000_NS6detail17trampoline_kernelINS0_14default_configENS1_35radix_sort_onesweep_config_selectorIiNS0_10empty_typeEEEZZNS1_29radix_sort_onesweep_iterationIS3_Lb0EN6thrust23THRUST_200600_302600_NS10device_ptrIiEESB_PS5_SC_jNS0_19identity_decomposerENS1_16block_id_wrapperIjLb1EEEEE10hipError_tT1_PNSt15iterator_traitsISH_E10value_typeET2_T3_PNSI_ISN_E10value_typeET4_T5_PSS_ST_PNS1_23onesweep_lookback_stateEbbT6_jjT7_P12ihipStream_tbENKUlT_T0_SH_SM_E_clISB_SB_SC_SC_EEDaS10_S11_SH_SM_EUlS10_E_NS1_11comp_targetILNS1_3genE0ELNS1_11target_archE4294967295ELNS1_3gpuE0ELNS1_3repE0EEENS1_47radix_sort_onesweep_sort_config_static_selectorELNS0_4arch9wavefront6targetE0EEEvSH_.has_indirect_call, 0
	.section	.AMDGPU.csdata,"",@progbits
; Kernel info:
; codeLenInByte = 0
; TotalNumSgprs: 0
; NumVgprs: 0
; ScratchSize: 0
; MemoryBound: 0
; FloatMode: 240
; IeeeMode: 1
; LDSByteSize: 0 bytes/workgroup (compile time only)
; SGPRBlocks: 0
; VGPRBlocks: 0
; NumSGPRsForWavesPerEU: 1
; NumVGPRsForWavesPerEU: 1
; Occupancy: 16
; WaveLimiterHint : 0
; COMPUTE_PGM_RSRC2:SCRATCH_EN: 0
; COMPUTE_PGM_RSRC2:USER_SGPR: 6
; COMPUTE_PGM_RSRC2:TRAP_HANDLER: 0
; COMPUTE_PGM_RSRC2:TGID_X_EN: 1
; COMPUTE_PGM_RSRC2:TGID_Y_EN: 0
; COMPUTE_PGM_RSRC2:TGID_Z_EN: 0
; COMPUTE_PGM_RSRC2:TIDIG_COMP_CNT: 0
	.section	.text._ZN7rocprim17ROCPRIM_400000_NS6detail17trampoline_kernelINS0_14default_configENS1_35radix_sort_onesweep_config_selectorIiNS0_10empty_typeEEEZZNS1_29radix_sort_onesweep_iterationIS3_Lb0EN6thrust23THRUST_200600_302600_NS10device_ptrIiEESB_PS5_SC_jNS0_19identity_decomposerENS1_16block_id_wrapperIjLb1EEEEE10hipError_tT1_PNSt15iterator_traitsISH_E10value_typeET2_T3_PNSI_ISN_E10value_typeET4_T5_PSS_ST_PNS1_23onesweep_lookback_stateEbbT6_jjT7_P12ihipStream_tbENKUlT_T0_SH_SM_E_clISB_SB_SC_SC_EEDaS10_S11_SH_SM_EUlS10_E_NS1_11comp_targetILNS1_3genE6ELNS1_11target_archE950ELNS1_3gpuE13ELNS1_3repE0EEENS1_47radix_sort_onesweep_sort_config_static_selectorELNS0_4arch9wavefront6targetE0EEEvSH_,"axG",@progbits,_ZN7rocprim17ROCPRIM_400000_NS6detail17trampoline_kernelINS0_14default_configENS1_35radix_sort_onesweep_config_selectorIiNS0_10empty_typeEEEZZNS1_29radix_sort_onesweep_iterationIS3_Lb0EN6thrust23THRUST_200600_302600_NS10device_ptrIiEESB_PS5_SC_jNS0_19identity_decomposerENS1_16block_id_wrapperIjLb1EEEEE10hipError_tT1_PNSt15iterator_traitsISH_E10value_typeET2_T3_PNSI_ISN_E10value_typeET4_T5_PSS_ST_PNS1_23onesweep_lookback_stateEbbT6_jjT7_P12ihipStream_tbENKUlT_T0_SH_SM_E_clISB_SB_SC_SC_EEDaS10_S11_SH_SM_EUlS10_E_NS1_11comp_targetILNS1_3genE6ELNS1_11target_archE950ELNS1_3gpuE13ELNS1_3repE0EEENS1_47radix_sort_onesweep_sort_config_static_selectorELNS0_4arch9wavefront6targetE0EEEvSH_,comdat
	.protected	_ZN7rocprim17ROCPRIM_400000_NS6detail17trampoline_kernelINS0_14default_configENS1_35radix_sort_onesweep_config_selectorIiNS0_10empty_typeEEEZZNS1_29radix_sort_onesweep_iterationIS3_Lb0EN6thrust23THRUST_200600_302600_NS10device_ptrIiEESB_PS5_SC_jNS0_19identity_decomposerENS1_16block_id_wrapperIjLb1EEEEE10hipError_tT1_PNSt15iterator_traitsISH_E10value_typeET2_T3_PNSI_ISN_E10value_typeET4_T5_PSS_ST_PNS1_23onesweep_lookback_stateEbbT6_jjT7_P12ihipStream_tbENKUlT_T0_SH_SM_E_clISB_SB_SC_SC_EEDaS10_S11_SH_SM_EUlS10_E_NS1_11comp_targetILNS1_3genE6ELNS1_11target_archE950ELNS1_3gpuE13ELNS1_3repE0EEENS1_47radix_sort_onesweep_sort_config_static_selectorELNS0_4arch9wavefront6targetE0EEEvSH_ ; -- Begin function _ZN7rocprim17ROCPRIM_400000_NS6detail17trampoline_kernelINS0_14default_configENS1_35radix_sort_onesweep_config_selectorIiNS0_10empty_typeEEEZZNS1_29radix_sort_onesweep_iterationIS3_Lb0EN6thrust23THRUST_200600_302600_NS10device_ptrIiEESB_PS5_SC_jNS0_19identity_decomposerENS1_16block_id_wrapperIjLb1EEEEE10hipError_tT1_PNSt15iterator_traitsISH_E10value_typeET2_T3_PNSI_ISN_E10value_typeET4_T5_PSS_ST_PNS1_23onesweep_lookback_stateEbbT6_jjT7_P12ihipStream_tbENKUlT_T0_SH_SM_E_clISB_SB_SC_SC_EEDaS10_S11_SH_SM_EUlS10_E_NS1_11comp_targetILNS1_3genE6ELNS1_11target_archE950ELNS1_3gpuE13ELNS1_3repE0EEENS1_47radix_sort_onesweep_sort_config_static_selectorELNS0_4arch9wavefront6targetE0EEEvSH_
	.globl	_ZN7rocprim17ROCPRIM_400000_NS6detail17trampoline_kernelINS0_14default_configENS1_35radix_sort_onesweep_config_selectorIiNS0_10empty_typeEEEZZNS1_29radix_sort_onesweep_iterationIS3_Lb0EN6thrust23THRUST_200600_302600_NS10device_ptrIiEESB_PS5_SC_jNS0_19identity_decomposerENS1_16block_id_wrapperIjLb1EEEEE10hipError_tT1_PNSt15iterator_traitsISH_E10value_typeET2_T3_PNSI_ISN_E10value_typeET4_T5_PSS_ST_PNS1_23onesweep_lookback_stateEbbT6_jjT7_P12ihipStream_tbENKUlT_T0_SH_SM_E_clISB_SB_SC_SC_EEDaS10_S11_SH_SM_EUlS10_E_NS1_11comp_targetILNS1_3genE6ELNS1_11target_archE950ELNS1_3gpuE13ELNS1_3repE0EEENS1_47radix_sort_onesweep_sort_config_static_selectorELNS0_4arch9wavefront6targetE0EEEvSH_
	.p2align	8
	.type	_ZN7rocprim17ROCPRIM_400000_NS6detail17trampoline_kernelINS0_14default_configENS1_35radix_sort_onesweep_config_selectorIiNS0_10empty_typeEEEZZNS1_29radix_sort_onesweep_iterationIS3_Lb0EN6thrust23THRUST_200600_302600_NS10device_ptrIiEESB_PS5_SC_jNS0_19identity_decomposerENS1_16block_id_wrapperIjLb1EEEEE10hipError_tT1_PNSt15iterator_traitsISH_E10value_typeET2_T3_PNSI_ISN_E10value_typeET4_T5_PSS_ST_PNS1_23onesweep_lookback_stateEbbT6_jjT7_P12ihipStream_tbENKUlT_T0_SH_SM_E_clISB_SB_SC_SC_EEDaS10_S11_SH_SM_EUlS10_E_NS1_11comp_targetILNS1_3genE6ELNS1_11target_archE950ELNS1_3gpuE13ELNS1_3repE0EEENS1_47radix_sort_onesweep_sort_config_static_selectorELNS0_4arch9wavefront6targetE0EEEvSH_,@function
_ZN7rocprim17ROCPRIM_400000_NS6detail17trampoline_kernelINS0_14default_configENS1_35radix_sort_onesweep_config_selectorIiNS0_10empty_typeEEEZZNS1_29radix_sort_onesweep_iterationIS3_Lb0EN6thrust23THRUST_200600_302600_NS10device_ptrIiEESB_PS5_SC_jNS0_19identity_decomposerENS1_16block_id_wrapperIjLb1EEEEE10hipError_tT1_PNSt15iterator_traitsISH_E10value_typeET2_T3_PNSI_ISN_E10value_typeET4_T5_PSS_ST_PNS1_23onesweep_lookback_stateEbbT6_jjT7_P12ihipStream_tbENKUlT_T0_SH_SM_E_clISB_SB_SC_SC_EEDaS10_S11_SH_SM_EUlS10_E_NS1_11comp_targetILNS1_3genE6ELNS1_11target_archE950ELNS1_3gpuE13ELNS1_3repE0EEENS1_47radix_sort_onesweep_sort_config_static_selectorELNS0_4arch9wavefront6targetE0EEEvSH_: ; @_ZN7rocprim17ROCPRIM_400000_NS6detail17trampoline_kernelINS0_14default_configENS1_35radix_sort_onesweep_config_selectorIiNS0_10empty_typeEEEZZNS1_29radix_sort_onesweep_iterationIS3_Lb0EN6thrust23THRUST_200600_302600_NS10device_ptrIiEESB_PS5_SC_jNS0_19identity_decomposerENS1_16block_id_wrapperIjLb1EEEEE10hipError_tT1_PNSt15iterator_traitsISH_E10value_typeET2_T3_PNSI_ISN_E10value_typeET4_T5_PSS_ST_PNS1_23onesweep_lookback_stateEbbT6_jjT7_P12ihipStream_tbENKUlT_T0_SH_SM_E_clISB_SB_SC_SC_EEDaS10_S11_SH_SM_EUlS10_E_NS1_11comp_targetILNS1_3genE6ELNS1_11target_archE950ELNS1_3gpuE13ELNS1_3repE0EEENS1_47radix_sort_onesweep_sort_config_static_selectorELNS0_4arch9wavefront6targetE0EEEvSH_
; %bb.0:
	.section	.rodata,"a",@progbits
	.p2align	6, 0x0
	.amdhsa_kernel _ZN7rocprim17ROCPRIM_400000_NS6detail17trampoline_kernelINS0_14default_configENS1_35radix_sort_onesweep_config_selectorIiNS0_10empty_typeEEEZZNS1_29radix_sort_onesweep_iterationIS3_Lb0EN6thrust23THRUST_200600_302600_NS10device_ptrIiEESB_PS5_SC_jNS0_19identity_decomposerENS1_16block_id_wrapperIjLb1EEEEE10hipError_tT1_PNSt15iterator_traitsISH_E10value_typeET2_T3_PNSI_ISN_E10value_typeET4_T5_PSS_ST_PNS1_23onesweep_lookback_stateEbbT6_jjT7_P12ihipStream_tbENKUlT_T0_SH_SM_E_clISB_SB_SC_SC_EEDaS10_S11_SH_SM_EUlS10_E_NS1_11comp_targetILNS1_3genE6ELNS1_11target_archE950ELNS1_3gpuE13ELNS1_3repE0EEENS1_47radix_sort_onesweep_sort_config_static_selectorELNS0_4arch9wavefront6targetE0EEEvSH_
		.amdhsa_group_segment_fixed_size 0
		.amdhsa_private_segment_fixed_size 0
		.amdhsa_kernarg_size 88
		.amdhsa_user_sgpr_count 6
		.amdhsa_user_sgpr_private_segment_buffer 1
		.amdhsa_user_sgpr_dispatch_ptr 0
		.amdhsa_user_sgpr_queue_ptr 0
		.amdhsa_user_sgpr_kernarg_segment_ptr 1
		.amdhsa_user_sgpr_dispatch_id 0
		.amdhsa_user_sgpr_flat_scratch_init 0
		.amdhsa_user_sgpr_private_segment_size 0
		.amdhsa_wavefront_size32 1
		.amdhsa_uses_dynamic_stack 0
		.amdhsa_system_sgpr_private_segment_wavefront_offset 0
		.amdhsa_system_sgpr_workgroup_id_x 1
		.amdhsa_system_sgpr_workgroup_id_y 0
		.amdhsa_system_sgpr_workgroup_id_z 0
		.amdhsa_system_sgpr_workgroup_info 0
		.amdhsa_system_vgpr_workitem_id 0
		.amdhsa_next_free_vgpr 1
		.amdhsa_next_free_sgpr 1
		.amdhsa_reserve_vcc 0
		.amdhsa_reserve_flat_scratch 0
		.amdhsa_float_round_mode_32 0
		.amdhsa_float_round_mode_16_64 0
		.amdhsa_float_denorm_mode_32 3
		.amdhsa_float_denorm_mode_16_64 3
		.amdhsa_dx10_clamp 1
		.amdhsa_ieee_mode 1
		.amdhsa_fp16_overflow 0
		.amdhsa_workgroup_processor_mode 1
		.amdhsa_memory_ordered 1
		.amdhsa_forward_progress 1
		.amdhsa_shared_vgpr_count 0
		.amdhsa_exception_fp_ieee_invalid_op 0
		.amdhsa_exception_fp_denorm_src 0
		.amdhsa_exception_fp_ieee_div_zero 0
		.amdhsa_exception_fp_ieee_overflow 0
		.amdhsa_exception_fp_ieee_underflow 0
		.amdhsa_exception_fp_ieee_inexact 0
		.amdhsa_exception_int_div_zero 0
	.end_amdhsa_kernel
	.section	.text._ZN7rocprim17ROCPRIM_400000_NS6detail17trampoline_kernelINS0_14default_configENS1_35radix_sort_onesweep_config_selectorIiNS0_10empty_typeEEEZZNS1_29radix_sort_onesweep_iterationIS3_Lb0EN6thrust23THRUST_200600_302600_NS10device_ptrIiEESB_PS5_SC_jNS0_19identity_decomposerENS1_16block_id_wrapperIjLb1EEEEE10hipError_tT1_PNSt15iterator_traitsISH_E10value_typeET2_T3_PNSI_ISN_E10value_typeET4_T5_PSS_ST_PNS1_23onesweep_lookback_stateEbbT6_jjT7_P12ihipStream_tbENKUlT_T0_SH_SM_E_clISB_SB_SC_SC_EEDaS10_S11_SH_SM_EUlS10_E_NS1_11comp_targetILNS1_3genE6ELNS1_11target_archE950ELNS1_3gpuE13ELNS1_3repE0EEENS1_47radix_sort_onesweep_sort_config_static_selectorELNS0_4arch9wavefront6targetE0EEEvSH_,"axG",@progbits,_ZN7rocprim17ROCPRIM_400000_NS6detail17trampoline_kernelINS0_14default_configENS1_35radix_sort_onesweep_config_selectorIiNS0_10empty_typeEEEZZNS1_29radix_sort_onesweep_iterationIS3_Lb0EN6thrust23THRUST_200600_302600_NS10device_ptrIiEESB_PS5_SC_jNS0_19identity_decomposerENS1_16block_id_wrapperIjLb1EEEEE10hipError_tT1_PNSt15iterator_traitsISH_E10value_typeET2_T3_PNSI_ISN_E10value_typeET4_T5_PSS_ST_PNS1_23onesweep_lookback_stateEbbT6_jjT7_P12ihipStream_tbENKUlT_T0_SH_SM_E_clISB_SB_SC_SC_EEDaS10_S11_SH_SM_EUlS10_E_NS1_11comp_targetILNS1_3genE6ELNS1_11target_archE950ELNS1_3gpuE13ELNS1_3repE0EEENS1_47radix_sort_onesweep_sort_config_static_selectorELNS0_4arch9wavefront6targetE0EEEvSH_,comdat
.Lfunc_end1245:
	.size	_ZN7rocprim17ROCPRIM_400000_NS6detail17trampoline_kernelINS0_14default_configENS1_35radix_sort_onesweep_config_selectorIiNS0_10empty_typeEEEZZNS1_29radix_sort_onesweep_iterationIS3_Lb0EN6thrust23THRUST_200600_302600_NS10device_ptrIiEESB_PS5_SC_jNS0_19identity_decomposerENS1_16block_id_wrapperIjLb1EEEEE10hipError_tT1_PNSt15iterator_traitsISH_E10value_typeET2_T3_PNSI_ISN_E10value_typeET4_T5_PSS_ST_PNS1_23onesweep_lookback_stateEbbT6_jjT7_P12ihipStream_tbENKUlT_T0_SH_SM_E_clISB_SB_SC_SC_EEDaS10_S11_SH_SM_EUlS10_E_NS1_11comp_targetILNS1_3genE6ELNS1_11target_archE950ELNS1_3gpuE13ELNS1_3repE0EEENS1_47radix_sort_onesweep_sort_config_static_selectorELNS0_4arch9wavefront6targetE0EEEvSH_, .Lfunc_end1245-_ZN7rocprim17ROCPRIM_400000_NS6detail17trampoline_kernelINS0_14default_configENS1_35radix_sort_onesweep_config_selectorIiNS0_10empty_typeEEEZZNS1_29radix_sort_onesweep_iterationIS3_Lb0EN6thrust23THRUST_200600_302600_NS10device_ptrIiEESB_PS5_SC_jNS0_19identity_decomposerENS1_16block_id_wrapperIjLb1EEEEE10hipError_tT1_PNSt15iterator_traitsISH_E10value_typeET2_T3_PNSI_ISN_E10value_typeET4_T5_PSS_ST_PNS1_23onesweep_lookback_stateEbbT6_jjT7_P12ihipStream_tbENKUlT_T0_SH_SM_E_clISB_SB_SC_SC_EEDaS10_S11_SH_SM_EUlS10_E_NS1_11comp_targetILNS1_3genE6ELNS1_11target_archE950ELNS1_3gpuE13ELNS1_3repE0EEENS1_47radix_sort_onesweep_sort_config_static_selectorELNS0_4arch9wavefront6targetE0EEEvSH_
                                        ; -- End function
	.set _ZN7rocprim17ROCPRIM_400000_NS6detail17trampoline_kernelINS0_14default_configENS1_35radix_sort_onesweep_config_selectorIiNS0_10empty_typeEEEZZNS1_29radix_sort_onesweep_iterationIS3_Lb0EN6thrust23THRUST_200600_302600_NS10device_ptrIiEESB_PS5_SC_jNS0_19identity_decomposerENS1_16block_id_wrapperIjLb1EEEEE10hipError_tT1_PNSt15iterator_traitsISH_E10value_typeET2_T3_PNSI_ISN_E10value_typeET4_T5_PSS_ST_PNS1_23onesweep_lookback_stateEbbT6_jjT7_P12ihipStream_tbENKUlT_T0_SH_SM_E_clISB_SB_SC_SC_EEDaS10_S11_SH_SM_EUlS10_E_NS1_11comp_targetILNS1_3genE6ELNS1_11target_archE950ELNS1_3gpuE13ELNS1_3repE0EEENS1_47radix_sort_onesweep_sort_config_static_selectorELNS0_4arch9wavefront6targetE0EEEvSH_.num_vgpr, 0
	.set _ZN7rocprim17ROCPRIM_400000_NS6detail17trampoline_kernelINS0_14default_configENS1_35radix_sort_onesweep_config_selectorIiNS0_10empty_typeEEEZZNS1_29radix_sort_onesweep_iterationIS3_Lb0EN6thrust23THRUST_200600_302600_NS10device_ptrIiEESB_PS5_SC_jNS0_19identity_decomposerENS1_16block_id_wrapperIjLb1EEEEE10hipError_tT1_PNSt15iterator_traitsISH_E10value_typeET2_T3_PNSI_ISN_E10value_typeET4_T5_PSS_ST_PNS1_23onesweep_lookback_stateEbbT6_jjT7_P12ihipStream_tbENKUlT_T0_SH_SM_E_clISB_SB_SC_SC_EEDaS10_S11_SH_SM_EUlS10_E_NS1_11comp_targetILNS1_3genE6ELNS1_11target_archE950ELNS1_3gpuE13ELNS1_3repE0EEENS1_47radix_sort_onesweep_sort_config_static_selectorELNS0_4arch9wavefront6targetE0EEEvSH_.num_agpr, 0
	.set _ZN7rocprim17ROCPRIM_400000_NS6detail17trampoline_kernelINS0_14default_configENS1_35radix_sort_onesweep_config_selectorIiNS0_10empty_typeEEEZZNS1_29radix_sort_onesweep_iterationIS3_Lb0EN6thrust23THRUST_200600_302600_NS10device_ptrIiEESB_PS5_SC_jNS0_19identity_decomposerENS1_16block_id_wrapperIjLb1EEEEE10hipError_tT1_PNSt15iterator_traitsISH_E10value_typeET2_T3_PNSI_ISN_E10value_typeET4_T5_PSS_ST_PNS1_23onesweep_lookback_stateEbbT6_jjT7_P12ihipStream_tbENKUlT_T0_SH_SM_E_clISB_SB_SC_SC_EEDaS10_S11_SH_SM_EUlS10_E_NS1_11comp_targetILNS1_3genE6ELNS1_11target_archE950ELNS1_3gpuE13ELNS1_3repE0EEENS1_47radix_sort_onesweep_sort_config_static_selectorELNS0_4arch9wavefront6targetE0EEEvSH_.numbered_sgpr, 0
	.set _ZN7rocprim17ROCPRIM_400000_NS6detail17trampoline_kernelINS0_14default_configENS1_35radix_sort_onesweep_config_selectorIiNS0_10empty_typeEEEZZNS1_29radix_sort_onesweep_iterationIS3_Lb0EN6thrust23THRUST_200600_302600_NS10device_ptrIiEESB_PS5_SC_jNS0_19identity_decomposerENS1_16block_id_wrapperIjLb1EEEEE10hipError_tT1_PNSt15iterator_traitsISH_E10value_typeET2_T3_PNSI_ISN_E10value_typeET4_T5_PSS_ST_PNS1_23onesweep_lookback_stateEbbT6_jjT7_P12ihipStream_tbENKUlT_T0_SH_SM_E_clISB_SB_SC_SC_EEDaS10_S11_SH_SM_EUlS10_E_NS1_11comp_targetILNS1_3genE6ELNS1_11target_archE950ELNS1_3gpuE13ELNS1_3repE0EEENS1_47radix_sort_onesweep_sort_config_static_selectorELNS0_4arch9wavefront6targetE0EEEvSH_.num_named_barrier, 0
	.set _ZN7rocprim17ROCPRIM_400000_NS6detail17trampoline_kernelINS0_14default_configENS1_35radix_sort_onesweep_config_selectorIiNS0_10empty_typeEEEZZNS1_29radix_sort_onesweep_iterationIS3_Lb0EN6thrust23THRUST_200600_302600_NS10device_ptrIiEESB_PS5_SC_jNS0_19identity_decomposerENS1_16block_id_wrapperIjLb1EEEEE10hipError_tT1_PNSt15iterator_traitsISH_E10value_typeET2_T3_PNSI_ISN_E10value_typeET4_T5_PSS_ST_PNS1_23onesweep_lookback_stateEbbT6_jjT7_P12ihipStream_tbENKUlT_T0_SH_SM_E_clISB_SB_SC_SC_EEDaS10_S11_SH_SM_EUlS10_E_NS1_11comp_targetILNS1_3genE6ELNS1_11target_archE950ELNS1_3gpuE13ELNS1_3repE0EEENS1_47radix_sort_onesweep_sort_config_static_selectorELNS0_4arch9wavefront6targetE0EEEvSH_.private_seg_size, 0
	.set _ZN7rocprim17ROCPRIM_400000_NS6detail17trampoline_kernelINS0_14default_configENS1_35radix_sort_onesweep_config_selectorIiNS0_10empty_typeEEEZZNS1_29radix_sort_onesweep_iterationIS3_Lb0EN6thrust23THRUST_200600_302600_NS10device_ptrIiEESB_PS5_SC_jNS0_19identity_decomposerENS1_16block_id_wrapperIjLb1EEEEE10hipError_tT1_PNSt15iterator_traitsISH_E10value_typeET2_T3_PNSI_ISN_E10value_typeET4_T5_PSS_ST_PNS1_23onesweep_lookback_stateEbbT6_jjT7_P12ihipStream_tbENKUlT_T0_SH_SM_E_clISB_SB_SC_SC_EEDaS10_S11_SH_SM_EUlS10_E_NS1_11comp_targetILNS1_3genE6ELNS1_11target_archE950ELNS1_3gpuE13ELNS1_3repE0EEENS1_47radix_sort_onesweep_sort_config_static_selectorELNS0_4arch9wavefront6targetE0EEEvSH_.uses_vcc, 0
	.set _ZN7rocprim17ROCPRIM_400000_NS6detail17trampoline_kernelINS0_14default_configENS1_35radix_sort_onesweep_config_selectorIiNS0_10empty_typeEEEZZNS1_29radix_sort_onesweep_iterationIS3_Lb0EN6thrust23THRUST_200600_302600_NS10device_ptrIiEESB_PS5_SC_jNS0_19identity_decomposerENS1_16block_id_wrapperIjLb1EEEEE10hipError_tT1_PNSt15iterator_traitsISH_E10value_typeET2_T3_PNSI_ISN_E10value_typeET4_T5_PSS_ST_PNS1_23onesweep_lookback_stateEbbT6_jjT7_P12ihipStream_tbENKUlT_T0_SH_SM_E_clISB_SB_SC_SC_EEDaS10_S11_SH_SM_EUlS10_E_NS1_11comp_targetILNS1_3genE6ELNS1_11target_archE950ELNS1_3gpuE13ELNS1_3repE0EEENS1_47radix_sort_onesweep_sort_config_static_selectorELNS0_4arch9wavefront6targetE0EEEvSH_.uses_flat_scratch, 0
	.set _ZN7rocprim17ROCPRIM_400000_NS6detail17trampoline_kernelINS0_14default_configENS1_35radix_sort_onesweep_config_selectorIiNS0_10empty_typeEEEZZNS1_29radix_sort_onesweep_iterationIS3_Lb0EN6thrust23THRUST_200600_302600_NS10device_ptrIiEESB_PS5_SC_jNS0_19identity_decomposerENS1_16block_id_wrapperIjLb1EEEEE10hipError_tT1_PNSt15iterator_traitsISH_E10value_typeET2_T3_PNSI_ISN_E10value_typeET4_T5_PSS_ST_PNS1_23onesweep_lookback_stateEbbT6_jjT7_P12ihipStream_tbENKUlT_T0_SH_SM_E_clISB_SB_SC_SC_EEDaS10_S11_SH_SM_EUlS10_E_NS1_11comp_targetILNS1_3genE6ELNS1_11target_archE950ELNS1_3gpuE13ELNS1_3repE0EEENS1_47radix_sort_onesweep_sort_config_static_selectorELNS0_4arch9wavefront6targetE0EEEvSH_.has_dyn_sized_stack, 0
	.set _ZN7rocprim17ROCPRIM_400000_NS6detail17trampoline_kernelINS0_14default_configENS1_35radix_sort_onesweep_config_selectorIiNS0_10empty_typeEEEZZNS1_29radix_sort_onesweep_iterationIS3_Lb0EN6thrust23THRUST_200600_302600_NS10device_ptrIiEESB_PS5_SC_jNS0_19identity_decomposerENS1_16block_id_wrapperIjLb1EEEEE10hipError_tT1_PNSt15iterator_traitsISH_E10value_typeET2_T3_PNSI_ISN_E10value_typeET4_T5_PSS_ST_PNS1_23onesweep_lookback_stateEbbT6_jjT7_P12ihipStream_tbENKUlT_T0_SH_SM_E_clISB_SB_SC_SC_EEDaS10_S11_SH_SM_EUlS10_E_NS1_11comp_targetILNS1_3genE6ELNS1_11target_archE950ELNS1_3gpuE13ELNS1_3repE0EEENS1_47radix_sort_onesweep_sort_config_static_selectorELNS0_4arch9wavefront6targetE0EEEvSH_.has_recursion, 0
	.set _ZN7rocprim17ROCPRIM_400000_NS6detail17trampoline_kernelINS0_14default_configENS1_35radix_sort_onesweep_config_selectorIiNS0_10empty_typeEEEZZNS1_29radix_sort_onesweep_iterationIS3_Lb0EN6thrust23THRUST_200600_302600_NS10device_ptrIiEESB_PS5_SC_jNS0_19identity_decomposerENS1_16block_id_wrapperIjLb1EEEEE10hipError_tT1_PNSt15iterator_traitsISH_E10value_typeET2_T3_PNSI_ISN_E10value_typeET4_T5_PSS_ST_PNS1_23onesweep_lookback_stateEbbT6_jjT7_P12ihipStream_tbENKUlT_T0_SH_SM_E_clISB_SB_SC_SC_EEDaS10_S11_SH_SM_EUlS10_E_NS1_11comp_targetILNS1_3genE6ELNS1_11target_archE950ELNS1_3gpuE13ELNS1_3repE0EEENS1_47radix_sort_onesweep_sort_config_static_selectorELNS0_4arch9wavefront6targetE0EEEvSH_.has_indirect_call, 0
	.section	.AMDGPU.csdata,"",@progbits
; Kernel info:
; codeLenInByte = 0
; TotalNumSgprs: 0
; NumVgprs: 0
; ScratchSize: 0
; MemoryBound: 0
; FloatMode: 240
; IeeeMode: 1
; LDSByteSize: 0 bytes/workgroup (compile time only)
; SGPRBlocks: 0
; VGPRBlocks: 0
; NumSGPRsForWavesPerEU: 1
; NumVGPRsForWavesPerEU: 1
; Occupancy: 16
; WaveLimiterHint : 0
; COMPUTE_PGM_RSRC2:SCRATCH_EN: 0
; COMPUTE_PGM_RSRC2:USER_SGPR: 6
; COMPUTE_PGM_RSRC2:TRAP_HANDLER: 0
; COMPUTE_PGM_RSRC2:TGID_X_EN: 1
; COMPUTE_PGM_RSRC2:TGID_Y_EN: 0
; COMPUTE_PGM_RSRC2:TGID_Z_EN: 0
; COMPUTE_PGM_RSRC2:TIDIG_COMP_CNT: 0
	.section	.text._ZN7rocprim17ROCPRIM_400000_NS6detail17trampoline_kernelINS0_14default_configENS1_35radix_sort_onesweep_config_selectorIiNS0_10empty_typeEEEZZNS1_29radix_sort_onesweep_iterationIS3_Lb0EN6thrust23THRUST_200600_302600_NS10device_ptrIiEESB_PS5_SC_jNS0_19identity_decomposerENS1_16block_id_wrapperIjLb1EEEEE10hipError_tT1_PNSt15iterator_traitsISH_E10value_typeET2_T3_PNSI_ISN_E10value_typeET4_T5_PSS_ST_PNS1_23onesweep_lookback_stateEbbT6_jjT7_P12ihipStream_tbENKUlT_T0_SH_SM_E_clISB_SB_SC_SC_EEDaS10_S11_SH_SM_EUlS10_E_NS1_11comp_targetILNS1_3genE5ELNS1_11target_archE942ELNS1_3gpuE9ELNS1_3repE0EEENS1_47radix_sort_onesweep_sort_config_static_selectorELNS0_4arch9wavefront6targetE0EEEvSH_,"axG",@progbits,_ZN7rocprim17ROCPRIM_400000_NS6detail17trampoline_kernelINS0_14default_configENS1_35radix_sort_onesweep_config_selectorIiNS0_10empty_typeEEEZZNS1_29radix_sort_onesweep_iterationIS3_Lb0EN6thrust23THRUST_200600_302600_NS10device_ptrIiEESB_PS5_SC_jNS0_19identity_decomposerENS1_16block_id_wrapperIjLb1EEEEE10hipError_tT1_PNSt15iterator_traitsISH_E10value_typeET2_T3_PNSI_ISN_E10value_typeET4_T5_PSS_ST_PNS1_23onesweep_lookback_stateEbbT6_jjT7_P12ihipStream_tbENKUlT_T0_SH_SM_E_clISB_SB_SC_SC_EEDaS10_S11_SH_SM_EUlS10_E_NS1_11comp_targetILNS1_3genE5ELNS1_11target_archE942ELNS1_3gpuE9ELNS1_3repE0EEENS1_47radix_sort_onesweep_sort_config_static_selectorELNS0_4arch9wavefront6targetE0EEEvSH_,comdat
	.protected	_ZN7rocprim17ROCPRIM_400000_NS6detail17trampoline_kernelINS0_14default_configENS1_35radix_sort_onesweep_config_selectorIiNS0_10empty_typeEEEZZNS1_29radix_sort_onesweep_iterationIS3_Lb0EN6thrust23THRUST_200600_302600_NS10device_ptrIiEESB_PS5_SC_jNS0_19identity_decomposerENS1_16block_id_wrapperIjLb1EEEEE10hipError_tT1_PNSt15iterator_traitsISH_E10value_typeET2_T3_PNSI_ISN_E10value_typeET4_T5_PSS_ST_PNS1_23onesweep_lookback_stateEbbT6_jjT7_P12ihipStream_tbENKUlT_T0_SH_SM_E_clISB_SB_SC_SC_EEDaS10_S11_SH_SM_EUlS10_E_NS1_11comp_targetILNS1_3genE5ELNS1_11target_archE942ELNS1_3gpuE9ELNS1_3repE0EEENS1_47radix_sort_onesweep_sort_config_static_selectorELNS0_4arch9wavefront6targetE0EEEvSH_ ; -- Begin function _ZN7rocprim17ROCPRIM_400000_NS6detail17trampoline_kernelINS0_14default_configENS1_35radix_sort_onesweep_config_selectorIiNS0_10empty_typeEEEZZNS1_29radix_sort_onesweep_iterationIS3_Lb0EN6thrust23THRUST_200600_302600_NS10device_ptrIiEESB_PS5_SC_jNS0_19identity_decomposerENS1_16block_id_wrapperIjLb1EEEEE10hipError_tT1_PNSt15iterator_traitsISH_E10value_typeET2_T3_PNSI_ISN_E10value_typeET4_T5_PSS_ST_PNS1_23onesweep_lookback_stateEbbT6_jjT7_P12ihipStream_tbENKUlT_T0_SH_SM_E_clISB_SB_SC_SC_EEDaS10_S11_SH_SM_EUlS10_E_NS1_11comp_targetILNS1_3genE5ELNS1_11target_archE942ELNS1_3gpuE9ELNS1_3repE0EEENS1_47radix_sort_onesweep_sort_config_static_selectorELNS0_4arch9wavefront6targetE0EEEvSH_
	.globl	_ZN7rocprim17ROCPRIM_400000_NS6detail17trampoline_kernelINS0_14default_configENS1_35radix_sort_onesweep_config_selectorIiNS0_10empty_typeEEEZZNS1_29radix_sort_onesweep_iterationIS3_Lb0EN6thrust23THRUST_200600_302600_NS10device_ptrIiEESB_PS5_SC_jNS0_19identity_decomposerENS1_16block_id_wrapperIjLb1EEEEE10hipError_tT1_PNSt15iterator_traitsISH_E10value_typeET2_T3_PNSI_ISN_E10value_typeET4_T5_PSS_ST_PNS1_23onesweep_lookback_stateEbbT6_jjT7_P12ihipStream_tbENKUlT_T0_SH_SM_E_clISB_SB_SC_SC_EEDaS10_S11_SH_SM_EUlS10_E_NS1_11comp_targetILNS1_3genE5ELNS1_11target_archE942ELNS1_3gpuE9ELNS1_3repE0EEENS1_47radix_sort_onesweep_sort_config_static_selectorELNS0_4arch9wavefront6targetE0EEEvSH_
	.p2align	8
	.type	_ZN7rocprim17ROCPRIM_400000_NS6detail17trampoline_kernelINS0_14default_configENS1_35radix_sort_onesweep_config_selectorIiNS0_10empty_typeEEEZZNS1_29radix_sort_onesweep_iterationIS3_Lb0EN6thrust23THRUST_200600_302600_NS10device_ptrIiEESB_PS5_SC_jNS0_19identity_decomposerENS1_16block_id_wrapperIjLb1EEEEE10hipError_tT1_PNSt15iterator_traitsISH_E10value_typeET2_T3_PNSI_ISN_E10value_typeET4_T5_PSS_ST_PNS1_23onesweep_lookback_stateEbbT6_jjT7_P12ihipStream_tbENKUlT_T0_SH_SM_E_clISB_SB_SC_SC_EEDaS10_S11_SH_SM_EUlS10_E_NS1_11comp_targetILNS1_3genE5ELNS1_11target_archE942ELNS1_3gpuE9ELNS1_3repE0EEENS1_47radix_sort_onesweep_sort_config_static_selectorELNS0_4arch9wavefront6targetE0EEEvSH_,@function
_ZN7rocprim17ROCPRIM_400000_NS6detail17trampoline_kernelINS0_14default_configENS1_35radix_sort_onesweep_config_selectorIiNS0_10empty_typeEEEZZNS1_29radix_sort_onesweep_iterationIS3_Lb0EN6thrust23THRUST_200600_302600_NS10device_ptrIiEESB_PS5_SC_jNS0_19identity_decomposerENS1_16block_id_wrapperIjLb1EEEEE10hipError_tT1_PNSt15iterator_traitsISH_E10value_typeET2_T3_PNSI_ISN_E10value_typeET4_T5_PSS_ST_PNS1_23onesweep_lookback_stateEbbT6_jjT7_P12ihipStream_tbENKUlT_T0_SH_SM_E_clISB_SB_SC_SC_EEDaS10_S11_SH_SM_EUlS10_E_NS1_11comp_targetILNS1_3genE5ELNS1_11target_archE942ELNS1_3gpuE9ELNS1_3repE0EEENS1_47radix_sort_onesweep_sort_config_static_selectorELNS0_4arch9wavefront6targetE0EEEvSH_: ; @_ZN7rocprim17ROCPRIM_400000_NS6detail17trampoline_kernelINS0_14default_configENS1_35radix_sort_onesweep_config_selectorIiNS0_10empty_typeEEEZZNS1_29radix_sort_onesweep_iterationIS3_Lb0EN6thrust23THRUST_200600_302600_NS10device_ptrIiEESB_PS5_SC_jNS0_19identity_decomposerENS1_16block_id_wrapperIjLb1EEEEE10hipError_tT1_PNSt15iterator_traitsISH_E10value_typeET2_T3_PNSI_ISN_E10value_typeET4_T5_PSS_ST_PNS1_23onesweep_lookback_stateEbbT6_jjT7_P12ihipStream_tbENKUlT_T0_SH_SM_E_clISB_SB_SC_SC_EEDaS10_S11_SH_SM_EUlS10_E_NS1_11comp_targetILNS1_3genE5ELNS1_11target_archE942ELNS1_3gpuE9ELNS1_3repE0EEENS1_47radix_sort_onesweep_sort_config_static_selectorELNS0_4arch9wavefront6targetE0EEEvSH_
; %bb.0:
	.section	.rodata,"a",@progbits
	.p2align	6, 0x0
	.amdhsa_kernel _ZN7rocprim17ROCPRIM_400000_NS6detail17trampoline_kernelINS0_14default_configENS1_35radix_sort_onesweep_config_selectorIiNS0_10empty_typeEEEZZNS1_29radix_sort_onesweep_iterationIS3_Lb0EN6thrust23THRUST_200600_302600_NS10device_ptrIiEESB_PS5_SC_jNS0_19identity_decomposerENS1_16block_id_wrapperIjLb1EEEEE10hipError_tT1_PNSt15iterator_traitsISH_E10value_typeET2_T3_PNSI_ISN_E10value_typeET4_T5_PSS_ST_PNS1_23onesweep_lookback_stateEbbT6_jjT7_P12ihipStream_tbENKUlT_T0_SH_SM_E_clISB_SB_SC_SC_EEDaS10_S11_SH_SM_EUlS10_E_NS1_11comp_targetILNS1_3genE5ELNS1_11target_archE942ELNS1_3gpuE9ELNS1_3repE0EEENS1_47radix_sort_onesweep_sort_config_static_selectorELNS0_4arch9wavefront6targetE0EEEvSH_
		.amdhsa_group_segment_fixed_size 0
		.amdhsa_private_segment_fixed_size 0
		.amdhsa_kernarg_size 88
		.amdhsa_user_sgpr_count 6
		.amdhsa_user_sgpr_private_segment_buffer 1
		.amdhsa_user_sgpr_dispatch_ptr 0
		.amdhsa_user_sgpr_queue_ptr 0
		.amdhsa_user_sgpr_kernarg_segment_ptr 1
		.amdhsa_user_sgpr_dispatch_id 0
		.amdhsa_user_sgpr_flat_scratch_init 0
		.amdhsa_user_sgpr_private_segment_size 0
		.amdhsa_wavefront_size32 1
		.amdhsa_uses_dynamic_stack 0
		.amdhsa_system_sgpr_private_segment_wavefront_offset 0
		.amdhsa_system_sgpr_workgroup_id_x 1
		.amdhsa_system_sgpr_workgroup_id_y 0
		.amdhsa_system_sgpr_workgroup_id_z 0
		.amdhsa_system_sgpr_workgroup_info 0
		.amdhsa_system_vgpr_workitem_id 0
		.amdhsa_next_free_vgpr 1
		.amdhsa_next_free_sgpr 1
		.amdhsa_reserve_vcc 0
		.amdhsa_reserve_flat_scratch 0
		.amdhsa_float_round_mode_32 0
		.amdhsa_float_round_mode_16_64 0
		.amdhsa_float_denorm_mode_32 3
		.amdhsa_float_denorm_mode_16_64 3
		.amdhsa_dx10_clamp 1
		.amdhsa_ieee_mode 1
		.amdhsa_fp16_overflow 0
		.amdhsa_workgroup_processor_mode 1
		.amdhsa_memory_ordered 1
		.amdhsa_forward_progress 1
		.amdhsa_shared_vgpr_count 0
		.amdhsa_exception_fp_ieee_invalid_op 0
		.amdhsa_exception_fp_denorm_src 0
		.amdhsa_exception_fp_ieee_div_zero 0
		.amdhsa_exception_fp_ieee_overflow 0
		.amdhsa_exception_fp_ieee_underflow 0
		.amdhsa_exception_fp_ieee_inexact 0
		.amdhsa_exception_int_div_zero 0
	.end_amdhsa_kernel
	.section	.text._ZN7rocprim17ROCPRIM_400000_NS6detail17trampoline_kernelINS0_14default_configENS1_35radix_sort_onesweep_config_selectorIiNS0_10empty_typeEEEZZNS1_29radix_sort_onesweep_iterationIS3_Lb0EN6thrust23THRUST_200600_302600_NS10device_ptrIiEESB_PS5_SC_jNS0_19identity_decomposerENS1_16block_id_wrapperIjLb1EEEEE10hipError_tT1_PNSt15iterator_traitsISH_E10value_typeET2_T3_PNSI_ISN_E10value_typeET4_T5_PSS_ST_PNS1_23onesweep_lookback_stateEbbT6_jjT7_P12ihipStream_tbENKUlT_T0_SH_SM_E_clISB_SB_SC_SC_EEDaS10_S11_SH_SM_EUlS10_E_NS1_11comp_targetILNS1_3genE5ELNS1_11target_archE942ELNS1_3gpuE9ELNS1_3repE0EEENS1_47radix_sort_onesweep_sort_config_static_selectorELNS0_4arch9wavefront6targetE0EEEvSH_,"axG",@progbits,_ZN7rocprim17ROCPRIM_400000_NS6detail17trampoline_kernelINS0_14default_configENS1_35radix_sort_onesweep_config_selectorIiNS0_10empty_typeEEEZZNS1_29radix_sort_onesweep_iterationIS3_Lb0EN6thrust23THRUST_200600_302600_NS10device_ptrIiEESB_PS5_SC_jNS0_19identity_decomposerENS1_16block_id_wrapperIjLb1EEEEE10hipError_tT1_PNSt15iterator_traitsISH_E10value_typeET2_T3_PNSI_ISN_E10value_typeET4_T5_PSS_ST_PNS1_23onesweep_lookback_stateEbbT6_jjT7_P12ihipStream_tbENKUlT_T0_SH_SM_E_clISB_SB_SC_SC_EEDaS10_S11_SH_SM_EUlS10_E_NS1_11comp_targetILNS1_3genE5ELNS1_11target_archE942ELNS1_3gpuE9ELNS1_3repE0EEENS1_47radix_sort_onesweep_sort_config_static_selectorELNS0_4arch9wavefront6targetE0EEEvSH_,comdat
.Lfunc_end1246:
	.size	_ZN7rocprim17ROCPRIM_400000_NS6detail17trampoline_kernelINS0_14default_configENS1_35radix_sort_onesweep_config_selectorIiNS0_10empty_typeEEEZZNS1_29radix_sort_onesweep_iterationIS3_Lb0EN6thrust23THRUST_200600_302600_NS10device_ptrIiEESB_PS5_SC_jNS0_19identity_decomposerENS1_16block_id_wrapperIjLb1EEEEE10hipError_tT1_PNSt15iterator_traitsISH_E10value_typeET2_T3_PNSI_ISN_E10value_typeET4_T5_PSS_ST_PNS1_23onesweep_lookback_stateEbbT6_jjT7_P12ihipStream_tbENKUlT_T0_SH_SM_E_clISB_SB_SC_SC_EEDaS10_S11_SH_SM_EUlS10_E_NS1_11comp_targetILNS1_3genE5ELNS1_11target_archE942ELNS1_3gpuE9ELNS1_3repE0EEENS1_47radix_sort_onesweep_sort_config_static_selectorELNS0_4arch9wavefront6targetE0EEEvSH_, .Lfunc_end1246-_ZN7rocprim17ROCPRIM_400000_NS6detail17trampoline_kernelINS0_14default_configENS1_35radix_sort_onesweep_config_selectorIiNS0_10empty_typeEEEZZNS1_29radix_sort_onesweep_iterationIS3_Lb0EN6thrust23THRUST_200600_302600_NS10device_ptrIiEESB_PS5_SC_jNS0_19identity_decomposerENS1_16block_id_wrapperIjLb1EEEEE10hipError_tT1_PNSt15iterator_traitsISH_E10value_typeET2_T3_PNSI_ISN_E10value_typeET4_T5_PSS_ST_PNS1_23onesweep_lookback_stateEbbT6_jjT7_P12ihipStream_tbENKUlT_T0_SH_SM_E_clISB_SB_SC_SC_EEDaS10_S11_SH_SM_EUlS10_E_NS1_11comp_targetILNS1_3genE5ELNS1_11target_archE942ELNS1_3gpuE9ELNS1_3repE0EEENS1_47radix_sort_onesweep_sort_config_static_selectorELNS0_4arch9wavefront6targetE0EEEvSH_
                                        ; -- End function
	.set _ZN7rocprim17ROCPRIM_400000_NS6detail17trampoline_kernelINS0_14default_configENS1_35radix_sort_onesweep_config_selectorIiNS0_10empty_typeEEEZZNS1_29radix_sort_onesweep_iterationIS3_Lb0EN6thrust23THRUST_200600_302600_NS10device_ptrIiEESB_PS5_SC_jNS0_19identity_decomposerENS1_16block_id_wrapperIjLb1EEEEE10hipError_tT1_PNSt15iterator_traitsISH_E10value_typeET2_T3_PNSI_ISN_E10value_typeET4_T5_PSS_ST_PNS1_23onesweep_lookback_stateEbbT6_jjT7_P12ihipStream_tbENKUlT_T0_SH_SM_E_clISB_SB_SC_SC_EEDaS10_S11_SH_SM_EUlS10_E_NS1_11comp_targetILNS1_3genE5ELNS1_11target_archE942ELNS1_3gpuE9ELNS1_3repE0EEENS1_47radix_sort_onesweep_sort_config_static_selectorELNS0_4arch9wavefront6targetE0EEEvSH_.num_vgpr, 0
	.set _ZN7rocprim17ROCPRIM_400000_NS6detail17trampoline_kernelINS0_14default_configENS1_35radix_sort_onesweep_config_selectorIiNS0_10empty_typeEEEZZNS1_29radix_sort_onesweep_iterationIS3_Lb0EN6thrust23THRUST_200600_302600_NS10device_ptrIiEESB_PS5_SC_jNS0_19identity_decomposerENS1_16block_id_wrapperIjLb1EEEEE10hipError_tT1_PNSt15iterator_traitsISH_E10value_typeET2_T3_PNSI_ISN_E10value_typeET4_T5_PSS_ST_PNS1_23onesweep_lookback_stateEbbT6_jjT7_P12ihipStream_tbENKUlT_T0_SH_SM_E_clISB_SB_SC_SC_EEDaS10_S11_SH_SM_EUlS10_E_NS1_11comp_targetILNS1_3genE5ELNS1_11target_archE942ELNS1_3gpuE9ELNS1_3repE0EEENS1_47radix_sort_onesweep_sort_config_static_selectorELNS0_4arch9wavefront6targetE0EEEvSH_.num_agpr, 0
	.set _ZN7rocprim17ROCPRIM_400000_NS6detail17trampoline_kernelINS0_14default_configENS1_35radix_sort_onesweep_config_selectorIiNS0_10empty_typeEEEZZNS1_29radix_sort_onesweep_iterationIS3_Lb0EN6thrust23THRUST_200600_302600_NS10device_ptrIiEESB_PS5_SC_jNS0_19identity_decomposerENS1_16block_id_wrapperIjLb1EEEEE10hipError_tT1_PNSt15iterator_traitsISH_E10value_typeET2_T3_PNSI_ISN_E10value_typeET4_T5_PSS_ST_PNS1_23onesweep_lookback_stateEbbT6_jjT7_P12ihipStream_tbENKUlT_T0_SH_SM_E_clISB_SB_SC_SC_EEDaS10_S11_SH_SM_EUlS10_E_NS1_11comp_targetILNS1_3genE5ELNS1_11target_archE942ELNS1_3gpuE9ELNS1_3repE0EEENS1_47radix_sort_onesweep_sort_config_static_selectorELNS0_4arch9wavefront6targetE0EEEvSH_.numbered_sgpr, 0
	.set _ZN7rocprim17ROCPRIM_400000_NS6detail17trampoline_kernelINS0_14default_configENS1_35radix_sort_onesweep_config_selectorIiNS0_10empty_typeEEEZZNS1_29radix_sort_onesweep_iterationIS3_Lb0EN6thrust23THRUST_200600_302600_NS10device_ptrIiEESB_PS5_SC_jNS0_19identity_decomposerENS1_16block_id_wrapperIjLb1EEEEE10hipError_tT1_PNSt15iterator_traitsISH_E10value_typeET2_T3_PNSI_ISN_E10value_typeET4_T5_PSS_ST_PNS1_23onesweep_lookback_stateEbbT6_jjT7_P12ihipStream_tbENKUlT_T0_SH_SM_E_clISB_SB_SC_SC_EEDaS10_S11_SH_SM_EUlS10_E_NS1_11comp_targetILNS1_3genE5ELNS1_11target_archE942ELNS1_3gpuE9ELNS1_3repE0EEENS1_47radix_sort_onesweep_sort_config_static_selectorELNS0_4arch9wavefront6targetE0EEEvSH_.num_named_barrier, 0
	.set _ZN7rocprim17ROCPRIM_400000_NS6detail17trampoline_kernelINS0_14default_configENS1_35radix_sort_onesweep_config_selectorIiNS0_10empty_typeEEEZZNS1_29radix_sort_onesweep_iterationIS3_Lb0EN6thrust23THRUST_200600_302600_NS10device_ptrIiEESB_PS5_SC_jNS0_19identity_decomposerENS1_16block_id_wrapperIjLb1EEEEE10hipError_tT1_PNSt15iterator_traitsISH_E10value_typeET2_T3_PNSI_ISN_E10value_typeET4_T5_PSS_ST_PNS1_23onesweep_lookback_stateEbbT6_jjT7_P12ihipStream_tbENKUlT_T0_SH_SM_E_clISB_SB_SC_SC_EEDaS10_S11_SH_SM_EUlS10_E_NS1_11comp_targetILNS1_3genE5ELNS1_11target_archE942ELNS1_3gpuE9ELNS1_3repE0EEENS1_47radix_sort_onesweep_sort_config_static_selectorELNS0_4arch9wavefront6targetE0EEEvSH_.private_seg_size, 0
	.set _ZN7rocprim17ROCPRIM_400000_NS6detail17trampoline_kernelINS0_14default_configENS1_35radix_sort_onesweep_config_selectorIiNS0_10empty_typeEEEZZNS1_29radix_sort_onesweep_iterationIS3_Lb0EN6thrust23THRUST_200600_302600_NS10device_ptrIiEESB_PS5_SC_jNS0_19identity_decomposerENS1_16block_id_wrapperIjLb1EEEEE10hipError_tT1_PNSt15iterator_traitsISH_E10value_typeET2_T3_PNSI_ISN_E10value_typeET4_T5_PSS_ST_PNS1_23onesweep_lookback_stateEbbT6_jjT7_P12ihipStream_tbENKUlT_T0_SH_SM_E_clISB_SB_SC_SC_EEDaS10_S11_SH_SM_EUlS10_E_NS1_11comp_targetILNS1_3genE5ELNS1_11target_archE942ELNS1_3gpuE9ELNS1_3repE0EEENS1_47radix_sort_onesweep_sort_config_static_selectorELNS0_4arch9wavefront6targetE0EEEvSH_.uses_vcc, 0
	.set _ZN7rocprim17ROCPRIM_400000_NS6detail17trampoline_kernelINS0_14default_configENS1_35radix_sort_onesweep_config_selectorIiNS0_10empty_typeEEEZZNS1_29radix_sort_onesweep_iterationIS3_Lb0EN6thrust23THRUST_200600_302600_NS10device_ptrIiEESB_PS5_SC_jNS0_19identity_decomposerENS1_16block_id_wrapperIjLb1EEEEE10hipError_tT1_PNSt15iterator_traitsISH_E10value_typeET2_T3_PNSI_ISN_E10value_typeET4_T5_PSS_ST_PNS1_23onesweep_lookback_stateEbbT6_jjT7_P12ihipStream_tbENKUlT_T0_SH_SM_E_clISB_SB_SC_SC_EEDaS10_S11_SH_SM_EUlS10_E_NS1_11comp_targetILNS1_3genE5ELNS1_11target_archE942ELNS1_3gpuE9ELNS1_3repE0EEENS1_47radix_sort_onesweep_sort_config_static_selectorELNS0_4arch9wavefront6targetE0EEEvSH_.uses_flat_scratch, 0
	.set _ZN7rocprim17ROCPRIM_400000_NS6detail17trampoline_kernelINS0_14default_configENS1_35radix_sort_onesweep_config_selectorIiNS0_10empty_typeEEEZZNS1_29radix_sort_onesweep_iterationIS3_Lb0EN6thrust23THRUST_200600_302600_NS10device_ptrIiEESB_PS5_SC_jNS0_19identity_decomposerENS1_16block_id_wrapperIjLb1EEEEE10hipError_tT1_PNSt15iterator_traitsISH_E10value_typeET2_T3_PNSI_ISN_E10value_typeET4_T5_PSS_ST_PNS1_23onesweep_lookback_stateEbbT6_jjT7_P12ihipStream_tbENKUlT_T0_SH_SM_E_clISB_SB_SC_SC_EEDaS10_S11_SH_SM_EUlS10_E_NS1_11comp_targetILNS1_3genE5ELNS1_11target_archE942ELNS1_3gpuE9ELNS1_3repE0EEENS1_47radix_sort_onesweep_sort_config_static_selectorELNS0_4arch9wavefront6targetE0EEEvSH_.has_dyn_sized_stack, 0
	.set _ZN7rocprim17ROCPRIM_400000_NS6detail17trampoline_kernelINS0_14default_configENS1_35radix_sort_onesweep_config_selectorIiNS0_10empty_typeEEEZZNS1_29radix_sort_onesweep_iterationIS3_Lb0EN6thrust23THRUST_200600_302600_NS10device_ptrIiEESB_PS5_SC_jNS0_19identity_decomposerENS1_16block_id_wrapperIjLb1EEEEE10hipError_tT1_PNSt15iterator_traitsISH_E10value_typeET2_T3_PNSI_ISN_E10value_typeET4_T5_PSS_ST_PNS1_23onesweep_lookback_stateEbbT6_jjT7_P12ihipStream_tbENKUlT_T0_SH_SM_E_clISB_SB_SC_SC_EEDaS10_S11_SH_SM_EUlS10_E_NS1_11comp_targetILNS1_3genE5ELNS1_11target_archE942ELNS1_3gpuE9ELNS1_3repE0EEENS1_47radix_sort_onesweep_sort_config_static_selectorELNS0_4arch9wavefront6targetE0EEEvSH_.has_recursion, 0
	.set _ZN7rocprim17ROCPRIM_400000_NS6detail17trampoline_kernelINS0_14default_configENS1_35radix_sort_onesweep_config_selectorIiNS0_10empty_typeEEEZZNS1_29radix_sort_onesweep_iterationIS3_Lb0EN6thrust23THRUST_200600_302600_NS10device_ptrIiEESB_PS5_SC_jNS0_19identity_decomposerENS1_16block_id_wrapperIjLb1EEEEE10hipError_tT1_PNSt15iterator_traitsISH_E10value_typeET2_T3_PNSI_ISN_E10value_typeET4_T5_PSS_ST_PNS1_23onesweep_lookback_stateEbbT6_jjT7_P12ihipStream_tbENKUlT_T0_SH_SM_E_clISB_SB_SC_SC_EEDaS10_S11_SH_SM_EUlS10_E_NS1_11comp_targetILNS1_3genE5ELNS1_11target_archE942ELNS1_3gpuE9ELNS1_3repE0EEENS1_47radix_sort_onesweep_sort_config_static_selectorELNS0_4arch9wavefront6targetE0EEEvSH_.has_indirect_call, 0
	.section	.AMDGPU.csdata,"",@progbits
; Kernel info:
; codeLenInByte = 0
; TotalNumSgprs: 0
; NumVgprs: 0
; ScratchSize: 0
; MemoryBound: 0
; FloatMode: 240
; IeeeMode: 1
; LDSByteSize: 0 bytes/workgroup (compile time only)
; SGPRBlocks: 0
; VGPRBlocks: 0
; NumSGPRsForWavesPerEU: 1
; NumVGPRsForWavesPerEU: 1
; Occupancy: 16
; WaveLimiterHint : 0
; COMPUTE_PGM_RSRC2:SCRATCH_EN: 0
; COMPUTE_PGM_RSRC2:USER_SGPR: 6
; COMPUTE_PGM_RSRC2:TRAP_HANDLER: 0
; COMPUTE_PGM_RSRC2:TGID_X_EN: 1
; COMPUTE_PGM_RSRC2:TGID_Y_EN: 0
; COMPUTE_PGM_RSRC2:TGID_Z_EN: 0
; COMPUTE_PGM_RSRC2:TIDIG_COMP_CNT: 0
	.section	.text._ZN7rocprim17ROCPRIM_400000_NS6detail17trampoline_kernelINS0_14default_configENS1_35radix_sort_onesweep_config_selectorIiNS0_10empty_typeEEEZZNS1_29radix_sort_onesweep_iterationIS3_Lb0EN6thrust23THRUST_200600_302600_NS10device_ptrIiEESB_PS5_SC_jNS0_19identity_decomposerENS1_16block_id_wrapperIjLb1EEEEE10hipError_tT1_PNSt15iterator_traitsISH_E10value_typeET2_T3_PNSI_ISN_E10value_typeET4_T5_PSS_ST_PNS1_23onesweep_lookback_stateEbbT6_jjT7_P12ihipStream_tbENKUlT_T0_SH_SM_E_clISB_SB_SC_SC_EEDaS10_S11_SH_SM_EUlS10_E_NS1_11comp_targetILNS1_3genE2ELNS1_11target_archE906ELNS1_3gpuE6ELNS1_3repE0EEENS1_47radix_sort_onesweep_sort_config_static_selectorELNS0_4arch9wavefront6targetE0EEEvSH_,"axG",@progbits,_ZN7rocprim17ROCPRIM_400000_NS6detail17trampoline_kernelINS0_14default_configENS1_35radix_sort_onesweep_config_selectorIiNS0_10empty_typeEEEZZNS1_29radix_sort_onesweep_iterationIS3_Lb0EN6thrust23THRUST_200600_302600_NS10device_ptrIiEESB_PS5_SC_jNS0_19identity_decomposerENS1_16block_id_wrapperIjLb1EEEEE10hipError_tT1_PNSt15iterator_traitsISH_E10value_typeET2_T3_PNSI_ISN_E10value_typeET4_T5_PSS_ST_PNS1_23onesweep_lookback_stateEbbT6_jjT7_P12ihipStream_tbENKUlT_T0_SH_SM_E_clISB_SB_SC_SC_EEDaS10_S11_SH_SM_EUlS10_E_NS1_11comp_targetILNS1_3genE2ELNS1_11target_archE906ELNS1_3gpuE6ELNS1_3repE0EEENS1_47radix_sort_onesweep_sort_config_static_selectorELNS0_4arch9wavefront6targetE0EEEvSH_,comdat
	.protected	_ZN7rocprim17ROCPRIM_400000_NS6detail17trampoline_kernelINS0_14default_configENS1_35radix_sort_onesweep_config_selectorIiNS0_10empty_typeEEEZZNS1_29radix_sort_onesweep_iterationIS3_Lb0EN6thrust23THRUST_200600_302600_NS10device_ptrIiEESB_PS5_SC_jNS0_19identity_decomposerENS1_16block_id_wrapperIjLb1EEEEE10hipError_tT1_PNSt15iterator_traitsISH_E10value_typeET2_T3_PNSI_ISN_E10value_typeET4_T5_PSS_ST_PNS1_23onesweep_lookback_stateEbbT6_jjT7_P12ihipStream_tbENKUlT_T0_SH_SM_E_clISB_SB_SC_SC_EEDaS10_S11_SH_SM_EUlS10_E_NS1_11comp_targetILNS1_3genE2ELNS1_11target_archE906ELNS1_3gpuE6ELNS1_3repE0EEENS1_47radix_sort_onesweep_sort_config_static_selectorELNS0_4arch9wavefront6targetE0EEEvSH_ ; -- Begin function _ZN7rocprim17ROCPRIM_400000_NS6detail17trampoline_kernelINS0_14default_configENS1_35radix_sort_onesweep_config_selectorIiNS0_10empty_typeEEEZZNS1_29radix_sort_onesweep_iterationIS3_Lb0EN6thrust23THRUST_200600_302600_NS10device_ptrIiEESB_PS5_SC_jNS0_19identity_decomposerENS1_16block_id_wrapperIjLb1EEEEE10hipError_tT1_PNSt15iterator_traitsISH_E10value_typeET2_T3_PNSI_ISN_E10value_typeET4_T5_PSS_ST_PNS1_23onesweep_lookback_stateEbbT6_jjT7_P12ihipStream_tbENKUlT_T0_SH_SM_E_clISB_SB_SC_SC_EEDaS10_S11_SH_SM_EUlS10_E_NS1_11comp_targetILNS1_3genE2ELNS1_11target_archE906ELNS1_3gpuE6ELNS1_3repE0EEENS1_47radix_sort_onesweep_sort_config_static_selectorELNS0_4arch9wavefront6targetE0EEEvSH_
	.globl	_ZN7rocprim17ROCPRIM_400000_NS6detail17trampoline_kernelINS0_14default_configENS1_35radix_sort_onesweep_config_selectorIiNS0_10empty_typeEEEZZNS1_29radix_sort_onesweep_iterationIS3_Lb0EN6thrust23THRUST_200600_302600_NS10device_ptrIiEESB_PS5_SC_jNS0_19identity_decomposerENS1_16block_id_wrapperIjLb1EEEEE10hipError_tT1_PNSt15iterator_traitsISH_E10value_typeET2_T3_PNSI_ISN_E10value_typeET4_T5_PSS_ST_PNS1_23onesweep_lookback_stateEbbT6_jjT7_P12ihipStream_tbENKUlT_T0_SH_SM_E_clISB_SB_SC_SC_EEDaS10_S11_SH_SM_EUlS10_E_NS1_11comp_targetILNS1_3genE2ELNS1_11target_archE906ELNS1_3gpuE6ELNS1_3repE0EEENS1_47radix_sort_onesweep_sort_config_static_selectorELNS0_4arch9wavefront6targetE0EEEvSH_
	.p2align	8
	.type	_ZN7rocprim17ROCPRIM_400000_NS6detail17trampoline_kernelINS0_14default_configENS1_35radix_sort_onesweep_config_selectorIiNS0_10empty_typeEEEZZNS1_29radix_sort_onesweep_iterationIS3_Lb0EN6thrust23THRUST_200600_302600_NS10device_ptrIiEESB_PS5_SC_jNS0_19identity_decomposerENS1_16block_id_wrapperIjLb1EEEEE10hipError_tT1_PNSt15iterator_traitsISH_E10value_typeET2_T3_PNSI_ISN_E10value_typeET4_T5_PSS_ST_PNS1_23onesweep_lookback_stateEbbT6_jjT7_P12ihipStream_tbENKUlT_T0_SH_SM_E_clISB_SB_SC_SC_EEDaS10_S11_SH_SM_EUlS10_E_NS1_11comp_targetILNS1_3genE2ELNS1_11target_archE906ELNS1_3gpuE6ELNS1_3repE0EEENS1_47radix_sort_onesweep_sort_config_static_selectorELNS0_4arch9wavefront6targetE0EEEvSH_,@function
_ZN7rocprim17ROCPRIM_400000_NS6detail17trampoline_kernelINS0_14default_configENS1_35radix_sort_onesweep_config_selectorIiNS0_10empty_typeEEEZZNS1_29radix_sort_onesweep_iterationIS3_Lb0EN6thrust23THRUST_200600_302600_NS10device_ptrIiEESB_PS5_SC_jNS0_19identity_decomposerENS1_16block_id_wrapperIjLb1EEEEE10hipError_tT1_PNSt15iterator_traitsISH_E10value_typeET2_T3_PNSI_ISN_E10value_typeET4_T5_PSS_ST_PNS1_23onesweep_lookback_stateEbbT6_jjT7_P12ihipStream_tbENKUlT_T0_SH_SM_E_clISB_SB_SC_SC_EEDaS10_S11_SH_SM_EUlS10_E_NS1_11comp_targetILNS1_3genE2ELNS1_11target_archE906ELNS1_3gpuE6ELNS1_3repE0EEENS1_47radix_sort_onesweep_sort_config_static_selectorELNS0_4arch9wavefront6targetE0EEEvSH_: ; @_ZN7rocprim17ROCPRIM_400000_NS6detail17trampoline_kernelINS0_14default_configENS1_35radix_sort_onesweep_config_selectorIiNS0_10empty_typeEEEZZNS1_29radix_sort_onesweep_iterationIS3_Lb0EN6thrust23THRUST_200600_302600_NS10device_ptrIiEESB_PS5_SC_jNS0_19identity_decomposerENS1_16block_id_wrapperIjLb1EEEEE10hipError_tT1_PNSt15iterator_traitsISH_E10value_typeET2_T3_PNSI_ISN_E10value_typeET4_T5_PSS_ST_PNS1_23onesweep_lookback_stateEbbT6_jjT7_P12ihipStream_tbENKUlT_T0_SH_SM_E_clISB_SB_SC_SC_EEDaS10_S11_SH_SM_EUlS10_E_NS1_11comp_targetILNS1_3genE2ELNS1_11target_archE906ELNS1_3gpuE6ELNS1_3repE0EEENS1_47radix_sort_onesweep_sort_config_static_selectorELNS0_4arch9wavefront6targetE0EEEvSH_
; %bb.0:
	.section	.rodata,"a",@progbits
	.p2align	6, 0x0
	.amdhsa_kernel _ZN7rocprim17ROCPRIM_400000_NS6detail17trampoline_kernelINS0_14default_configENS1_35radix_sort_onesweep_config_selectorIiNS0_10empty_typeEEEZZNS1_29radix_sort_onesweep_iterationIS3_Lb0EN6thrust23THRUST_200600_302600_NS10device_ptrIiEESB_PS5_SC_jNS0_19identity_decomposerENS1_16block_id_wrapperIjLb1EEEEE10hipError_tT1_PNSt15iterator_traitsISH_E10value_typeET2_T3_PNSI_ISN_E10value_typeET4_T5_PSS_ST_PNS1_23onesweep_lookback_stateEbbT6_jjT7_P12ihipStream_tbENKUlT_T0_SH_SM_E_clISB_SB_SC_SC_EEDaS10_S11_SH_SM_EUlS10_E_NS1_11comp_targetILNS1_3genE2ELNS1_11target_archE906ELNS1_3gpuE6ELNS1_3repE0EEENS1_47radix_sort_onesweep_sort_config_static_selectorELNS0_4arch9wavefront6targetE0EEEvSH_
		.amdhsa_group_segment_fixed_size 0
		.amdhsa_private_segment_fixed_size 0
		.amdhsa_kernarg_size 88
		.amdhsa_user_sgpr_count 6
		.amdhsa_user_sgpr_private_segment_buffer 1
		.amdhsa_user_sgpr_dispatch_ptr 0
		.amdhsa_user_sgpr_queue_ptr 0
		.amdhsa_user_sgpr_kernarg_segment_ptr 1
		.amdhsa_user_sgpr_dispatch_id 0
		.amdhsa_user_sgpr_flat_scratch_init 0
		.amdhsa_user_sgpr_private_segment_size 0
		.amdhsa_wavefront_size32 1
		.amdhsa_uses_dynamic_stack 0
		.amdhsa_system_sgpr_private_segment_wavefront_offset 0
		.amdhsa_system_sgpr_workgroup_id_x 1
		.amdhsa_system_sgpr_workgroup_id_y 0
		.amdhsa_system_sgpr_workgroup_id_z 0
		.amdhsa_system_sgpr_workgroup_info 0
		.amdhsa_system_vgpr_workitem_id 0
		.amdhsa_next_free_vgpr 1
		.amdhsa_next_free_sgpr 1
		.amdhsa_reserve_vcc 0
		.amdhsa_reserve_flat_scratch 0
		.amdhsa_float_round_mode_32 0
		.amdhsa_float_round_mode_16_64 0
		.amdhsa_float_denorm_mode_32 3
		.amdhsa_float_denorm_mode_16_64 3
		.amdhsa_dx10_clamp 1
		.amdhsa_ieee_mode 1
		.amdhsa_fp16_overflow 0
		.amdhsa_workgroup_processor_mode 1
		.amdhsa_memory_ordered 1
		.amdhsa_forward_progress 1
		.amdhsa_shared_vgpr_count 0
		.amdhsa_exception_fp_ieee_invalid_op 0
		.amdhsa_exception_fp_denorm_src 0
		.amdhsa_exception_fp_ieee_div_zero 0
		.amdhsa_exception_fp_ieee_overflow 0
		.amdhsa_exception_fp_ieee_underflow 0
		.amdhsa_exception_fp_ieee_inexact 0
		.amdhsa_exception_int_div_zero 0
	.end_amdhsa_kernel
	.section	.text._ZN7rocprim17ROCPRIM_400000_NS6detail17trampoline_kernelINS0_14default_configENS1_35radix_sort_onesweep_config_selectorIiNS0_10empty_typeEEEZZNS1_29radix_sort_onesweep_iterationIS3_Lb0EN6thrust23THRUST_200600_302600_NS10device_ptrIiEESB_PS5_SC_jNS0_19identity_decomposerENS1_16block_id_wrapperIjLb1EEEEE10hipError_tT1_PNSt15iterator_traitsISH_E10value_typeET2_T3_PNSI_ISN_E10value_typeET4_T5_PSS_ST_PNS1_23onesweep_lookback_stateEbbT6_jjT7_P12ihipStream_tbENKUlT_T0_SH_SM_E_clISB_SB_SC_SC_EEDaS10_S11_SH_SM_EUlS10_E_NS1_11comp_targetILNS1_3genE2ELNS1_11target_archE906ELNS1_3gpuE6ELNS1_3repE0EEENS1_47radix_sort_onesweep_sort_config_static_selectorELNS0_4arch9wavefront6targetE0EEEvSH_,"axG",@progbits,_ZN7rocprim17ROCPRIM_400000_NS6detail17trampoline_kernelINS0_14default_configENS1_35radix_sort_onesweep_config_selectorIiNS0_10empty_typeEEEZZNS1_29radix_sort_onesweep_iterationIS3_Lb0EN6thrust23THRUST_200600_302600_NS10device_ptrIiEESB_PS5_SC_jNS0_19identity_decomposerENS1_16block_id_wrapperIjLb1EEEEE10hipError_tT1_PNSt15iterator_traitsISH_E10value_typeET2_T3_PNSI_ISN_E10value_typeET4_T5_PSS_ST_PNS1_23onesweep_lookback_stateEbbT6_jjT7_P12ihipStream_tbENKUlT_T0_SH_SM_E_clISB_SB_SC_SC_EEDaS10_S11_SH_SM_EUlS10_E_NS1_11comp_targetILNS1_3genE2ELNS1_11target_archE906ELNS1_3gpuE6ELNS1_3repE0EEENS1_47radix_sort_onesweep_sort_config_static_selectorELNS0_4arch9wavefront6targetE0EEEvSH_,comdat
.Lfunc_end1247:
	.size	_ZN7rocprim17ROCPRIM_400000_NS6detail17trampoline_kernelINS0_14default_configENS1_35radix_sort_onesweep_config_selectorIiNS0_10empty_typeEEEZZNS1_29radix_sort_onesweep_iterationIS3_Lb0EN6thrust23THRUST_200600_302600_NS10device_ptrIiEESB_PS5_SC_jNS0_19identity_decomposerENS1_16block_id_wrapperIjLb1EEEEE10hipError_tT1_PNSt15iterator_traitsISH_E10value_typeET2_T3_PNSI_ISN_E10value_typeET4_T5_PSS_ST_PNS1_23onesweep_lookback_stateEbbT6_jjT7_P12ihipStream_tbENKUlT_T0_SH_SM_E_clISB_SB_SC_SC_EEDaS10_S11_SH_SM_EUlS10_E_NS1_11comp_targetILNS1_3genE2ELNS1_11target_archE906ELNS1_3gpuE6ELNS1_3repE0EEENS1_47radix_sort_onesweep_sort_config_static_selectorELNS0_4arch9wavefront6targetE0EEEvSH_, .Lfunc_end1247-_ZN7rocprim17ROCPRIM_400000_NS6detail17trampoline_kernelINS0_14default_configENS1_35radix_sort_onesweep_config_selectorIiNS0_10empty_typeEEEZZNS1_29radix_sort_onesweep_iterationIS3_Lb0EN6thrust23THRUST_200600_302600_NS10device_ptrIiEESB_PS5_SC_jNS0_19identity_decomposerENS1_16block_id_wrapperIjLb1EEEEE10hipError_tT1_PNSt15iterator_traitsISH_E10value_typeET2_T3_PNSI_ISN_E10value_typeET4_T5_PSS_ST_PNS1_23onesweep_lookback_stateEbbT6_jjT7_P12ihipStream_tbENKUlT_T0_SH_SM_E_clISB_SB_SC_SC_EEDaS10_S11_SH_SM_EUlS10_E_NS1_11comp_targetILNS1_3genE2ELNS1_11target_archE906ELNS1_3gpuE6ELNS1_3repE0EEENS1_47radix_sort_onesweep_sort_config_static_selectorELNS0_4arch9wavefront6targetE0EEEvSH_
                                        ; -- End function
	.set _ZN7rocprim17ROCPRIM_400000_NS6detail17trampoline_kernelINS0_14default_configENS1_35radix_sort_onesweep_config_selectorIiNS0_10empty_typeEEEZZNS1_29radix_sort_onesweep_iterationIS3_Lb0EN6thrust23THRUST_200600_302600_NS10device_ptrIiEESB_PS5_SC_jNS0_19identity_decomposerENS1_16block_id_wrapperIjLb1EEEEE10hipError_tT1_PNSt15iterator_traitsISH_E10value_typeET2_T3_PNSI_ISN_E10value_typeET4_T5_PSS_ST_PNS1_23onesweep_lookback_stateEbbT6_jjT7_P12ihipStream_tbENKUlT_T0_SH_SM_E_clISB_SB_SC_SC_EEDaS10_S11_SH_SM_EUlS10_E_NS1_11comp_targetILNS1_3genE2ELNS1_11target_archE906ELNS1_3gpuE6ELNS1_3repE0EEENS1_47radix_sort_onesweep_sort_config_static_selectorELNS0_4arch9wavefront6targetE0EEEvSH_.num_vgpr, 0
	.set _ZN7rocprim17ROCPRIM_400000_NS6detail17trampoline_kernelINS0_14default_configENS1_35radix_sort_onesweep_config_selectorIiNS0_10empty_typeEEEZZNS1_29radix_sort_onesweep_iterationIS3_Lb0EN6thrust23THRUST_200600_302600_NS10device_ptrIiEESB_PS5_SC_jNS0_19identity_decomposerENS1_16block_id_wrapperIjLb1EEEEE10hipError_tT1_PNSt15iterator_traitsISH_E10value_typeET2_T3_PNSI_ISN_E10value_typeET4_T5_PSS_ST_PNS1_23onesweep_lookback_stateEbbT6_jjT7_P12ihipStream_tbENKUlT_T0_SH_SM_E_clISB_SB_SC_SC_EEDaS10_S11_SH_SM_EUlS10_E_NS1_11comp_targetILNS1_3genE2ELNS1_11target_archE906ELNS1_3gpuE6ELNS1_3repE0EEENS1_47radix_sort_onesweep_sort_config_static_selectorELNS0_4arch9wavefront6targetE0EEEvSH_.num_agpr, 0
	.set _ZN7rocprim17ROCPRIM_400000_NS6detail17trampoline_kernelINS0_14default_configENS1_35radix_sort_onesweep_config_selectorIiNS0_10empty_typeEEEZZNS1_29radix_sort_onesweep_iterationIS3_Lb0EN6thrust23THRUST_200600_302600_NS10device_ptrIiEESB_PS5_SC_jNS0_19identity_decomposerENS1_16block_id_wrapperIjLb1EEEEE10hipError_tT1_PNSt15iterator_traitsISH_E10value_typeET2_T3_PNSI_ISN_E10value_typeET4_T5_PSS_ST_PNS1_23onesweep_lookback_stateEbbT6_jjT7_P12ihipStream_tbENKUlT_T0_SH_SM_E_clISB_SB_SC_SC_EEDaS10_S11_SH_SM_EUlS10_E_NS1_11comp_targetILNS1_3genE2ELNS1_11target_archE906ELNS1_3gpuE6ELNS1_3repE0EEENS1_47radix_sort_onesweep_sort_config_static_selectorELNS0_4arch9wavefront6targetE0EEEvSH_.numbered_sgpr, 0
	.set _ZN7rocprim17ROCPRIM_400000_NS6detail17trampoline_kernelINS0_14default_configENS1_35radix_sort_onesweep_config_selectorIiNS0_10empty_typeEEEZZNS1_29radix_sort_onesweep_iterationIS3_Lb0EN6thrust23THRUST_200600_302600_NS10device_ptrIiEESB_PS5_SC_jNS0_19identity_decomposerENS1_16block_id_wrapperIjLb1EEEEE10hipError_tT1_PNSt15iterator_traitsISH_E10value_typeET2_T3_PNSI_ISN_E10value_typeET4_T5_PSS_ST_PNS1_23onesweep_lookback_stateEbbT6_jjT7_P12ihipStream_tbENKUlT_T0_SH_SM_E_clISB_SB_SC_SC_EEDaS10_S11_SH_SM_EUlS10_E_NS1_11comp_targetILNS1_3genE2ELNS1_11target_archE906ELNS1_3gpuE6ELNS1_3repE0EEENS1_47radix_sort_onesweep_sort_config_static_selectorELNS0_4arch9wavefront6targetE0EEEvSH_.num_named_barrier, 0
	.set _ZN7rocprim17ROCPRIM_400000_NS6detail17trampoline_kernelINS0_14default_configENS1_35radix_sort_onesweep_config_selectorIiNS0_10empty_typeEEEZZNS1_29radix_sort_onesweep_iterationIS3_Lb0EN6thrust23THRUST_200600_302600_NS10device_ptrIiEESB_PS5_SC_jNS0_19identity_decomposerENS1_16block_id_wrapperIjLb1EEEEE10hipError_tT1_PNSt15iterator_traitsISH_E10value_typeET2_T3_PNSI_ISN_E10value_typeET4_T5_PSS_ST_PNS1_23onesweep_lookback_stateEbbT6_jjT7_P12ihipStream_tbENKUlT_T0_SH_SM_E_clISB_SB_SC_SC_EEDaS10_S11_SH_SM_EUlS10_E_NS1_11comp_targetILNS1_3genE2ELNS1_11target_archE906ELNS1_3gpuE6ELNS1_3repE0EEENS1_47radix_sort_onesweep_sort_config_static_selectorELNS0_4arch9wavefront6targetE0EEEvSH_.private_seg_size, 0
	.set _ZN7rocprim17ROCPRIM_400000_NS6detail17trampoline_kernelINS0_14default_configENS1_35radix_sort_onesweep_config_selectorIiNS0_10empty_typeEEEZZNS1_29radix_sort_onesweep_iterationIS3_Lb0EN6thrust23THRUST_200600_302600_NS10device_ptrIiEESB_PS5_SC_jNS0_19identity_decomposerENS1_16block_id_wrapperIjLb1EEEEE10hipError_tT1_PNSt15iterator_traitsISH_E10value_typeET2_T3_PNSI_ISN_E10value_typeET4_T5_PSS_ST_PNS1_23onesweep_lookback_stateEbbT6_jjT7_P12ihipStream_tbENKUlT_T0_SH_SM_E_clISB_SB_SC_SC_EEDaS10_S11_SH_SM_EUlS10_E_NS1_11comp_targetILNS1_3genE2ELNS1_11target_archE906ELNS1_3gpuE6ELNS1_3repE0EEENS1_47radix_sort_onesweep_sort_config_static_selectorELNS0_4arch9wavefront6targetE0EEEvSH_.uses_vcc, 0
	.set _ZN7rocprim17ROCPRIM_400000_NS6detail17trampoline_kernelINS0_14default_configENS1_35radix_sort_onesweep_config_selectorIiNS0_10empty_typeEEEZZNS1_29radix_sort_onesweep_iterationIS3_Lb0EN6thrust23THRUST_200600_302600_NS10device_ptrIiEESB_PS5_SC_jNS0_19identity_decomposerENS1_16block_id_wrapperIjLb1EEEEE10hipError_tT1_PNSt15iterator_traitsISH_E10value_typeET2_T3_PNSI_ISN_E10value_typeET4_T5_PSS_ST_PNS1_23onesweep_lookback_stateEbbT6_jjT7_P12ihipStream_tbENKUlT_T0_SH_SM_E_clISB_SB_SC_SC_EEDaS10_S11_SH_SM_EUlS10_E_NS1_11comp_targetILNS1_3genE2ELNS1_11target_archE906ELNS1_3gpuE6ELNS1_3repE0EEENS1_47radix_sort_onesweep_sort_config_static_selectorELNS0_4arch9wavefront6targetE0EEEvSH_.uses_flat_scratch, 0
	.set _ZN7rocprim17ROCPRIM_400000_NS6detail17trampoline_kernelINS0_14default_configENS1_35radix_sort_onesweep_config_selectorIiNS0_10empty_typeEEEZZNS1_29radix_sort_onesweep_iterationIS3_Lb0EN6thrust23THRUST_200600_302600_NS10device_ptrIiEESB_PS5_SC_jNS0_19identity_decomposerENS1_16block_id_wrapperIjLb1EEEEE10hipError_tT1_PNSt15iterator_traitsISH_E10value_typeET2_T3_PNSI_ISN_E10value_typeET4_T5_PSS_ST_PNS1_23onesweep_lookback_stateEbbT6_jjT7_P12ihipStream_tbENKUlT_T0_SH_SM_E_clISB_SB_SC_SC_EEDaS10_S11_SH_SM_EUlS10_E_NS1_11comp_targetILNS1_3genE2ELNS1_11target_archE906ELNS1_3gpuE6ELNS1_3repE0EEENS1_47radix_sort_onesweep_sort_config_static_selectorELNS0_4arch9wavefront6targetE0EEEvSH_.has_dyn_sized_stack, 0
	.set _ZN7rocprim17ROCPRIM_400000_NS6detail17trampoline_kernelINS0_14default_configENS1_35radix_sort_onesweep_config_selectorIiNS0_10empty_typeEEEZZNS1_29radix_sort_onesweep_iterationIS3_Lb0EN6thrust23THRUST_200600_302600_NS10device_ptrIiEESB_PS5_SC_jNS0_19identity_decomposerENS1_16block_id_wrapperIjLb1EEEEE10hipError_tT1_PNSt15iterator_traitsISH_E10value_typeET2_T3_PNSI_ISN_E10value_typeET4_T5_PSS_ST_PNS1_23onesweep_lookback_stateEbbT6_jjT7_P12ihipStream_tbENKUlT_T0_SH_SM_E_clISB_SB_SC_SC_EEDaS10_S11_SH_SM_EUlS10_E_NS1_11comp_targetILNS1_3genE2ELNS1_11target_archE906ELNS1_3gpuE6ELNS1_3repE0EEENS1_47radix_sort_onesweep_sort_config_static_selectorELNS0_4arch9wavefront6targetE0EEEvSH_.has_recursion, 0
	.set _ZN7rocprim17ROCPRIM_400000_NS6detail17trampoline_kernelINS0_14default_configENS1_35radix_sort_onesweep_config_selectorIiNS0_10empty_typeEEEZZNS1_29radix_sort_onesweep_iterationIS3_Lb0EN6thrust23THRUST_200600_302600_NS10device_ptrIiEESB_PS5_SC_jNS0_19identity_decomposerENS1_16block_id_wrapperIjLb1EEEEE10hipError_tT1_PNSt15iterator_traitsISH_E10value_typeET2_T3_PNSI_ISN_E10value_typeET4_T5_PSS_ST_PNS1_23onesweep_lookback_stateEbbT6_jjT7_P12ihipStream_tbENKUlT_T0_SH_SM_E_clISB_SB_SC_SC_EEDaS10_S11_SH_SM_EUlS10_E_NS1_11comp_targetILNS1_3genE2ELNS1_11target_archE906ELNS1_3gpuE6ELNS1_3repE0EEENS1_47radix_sort_onesweep_sort_config_static_selectorELNS0_4arch9wavefront6targetE0EEEvSH_.has_indirect_call, 0
	.section	.AMDGPU.csdata,"",@progbits
; Kernel info:
; codeLenInByte = 0
; TotalNumSgprs: 0
; NumVgprs: 0
; ScratchSize: 0
; MemoryBound: 0
; FloatMode: 240
; IeeeMode: 1
; LDSByteSize: 0 bytes/workgroup (compile time only)
; SGPRBlocks: 0
; VGPRBlocks: 0
; NumSGPRsForWavesPerEU: 1
; NumVGPRsForWavesPerEU: 1
; Occupancy: 16
; WaveLimiterHint : 0
; COMPUTE_PGM_RSRC2:SCRATCH_EN: 0
; COMPUTE_PGM_RSRC2:USER_SGPR: 6
; COMPUTE_PGM_RSRC2:TRAP_HANDLER: 0
; COMPUTE_PGM_RSRC2:TGID_X_EN: 1
; COMPUTE_PGM_RSRC2:TGID_Y_EN: 0
; COMPUTE_PGM_RSRC2:TGID_Z_EN: 0
; COMPUTE_PGM_RSRC2:TIDIG_COMP_CNT: 0
	.section	.text._ZN7rocprim17ROCPRIM_400000_NS6detail17trampoline_kernelINS0_14default_configENS1_35radix_sort_onesweep_config_selectorIiNS0_10empty_typeEEEZZNS1_29radix_sort_onesweep_iterationIS3_Lb0EN6thrust23THRUST_200600_302600_NS10device_ptrIiEESB_PS5_SC_jNS0_19identity_decomposerENS1_16block_id_wrapperIjLb1EEEEE10hipError_tT1_PNSt15iterator_traitsISH_E10value_typeET2_T3_PNSI_ISN_E10value_typeET4_T5_PSS_ST_PNS1_23onesweep_lookback_stateEbbT6_jjT7_P12ihipStream_tbENKUlT_T0_SH_SM_E_clISB_SB_SC_SC_EEDaS10_S11_SH_SM_EUlS10_E_NS1_11comp_targetILNS1_3genE4ELNS1_11target_archE910ELNS1_3gpuE8ELNS1_3repE0EEENS1_47radix_sort_onesweep_sort_config_static_selectorELNS0_4arch9wavefront6targetE0EEEvSH_,"axG",@progbits,_ZN7rocprim17ROCPRIM_400000_NS6detail17trampoline_kernelINS0_14default_configENS1_35radix_sort_onesweep_config_selectorIiNS0_10empty_typeEEEZZNS1_29radix_sort_onesweep_iterationIS3_Lb0EN6thrust23THRUST_200600_302600_NS10device_ptrIiEESB_PS5_SC_jNS0_19identity_decomposerENS1_16block_id_wrapperIjLb1EEEEE10hipError_tT1_PNSt15iterator_traitsISH_E10value_typeET2_T3_PNSI_ISN_E10value_typeET4_T5_PSS_ST_PNS1_23onesweep_lookback_stateEbbT6_jjT7_P12ihipStream_tbENKUlT_T0_SH_SM_E_clISB_SB_SC_SC_EEDaS10_S11_SH_SM_EUlS10_E_NS1_11comp_targetILNS1_3genE4ELNS1_11target_archE910ELNS1_3gpuE8ELNS1_3repE0EEENS1_47radix_sort_onesweep_sort_config_static_selectorELNS0_4arch9wavefront6targetE0EEEvSH_,comdat
	.protected	_ZN7rocprim17ROCPRIM_400000_NS6detail17trampoline_kernelINS0_14default_configENS1_35radix_sort_onesweep_config_selectorIiNS0_10empty_typeEEEZZNS1_29radix_sort_onesweep_iterationIS3_Lb0EN6thrust23THRUST_200600_302600_NS10device_ptrIiEESB_PS5_SC_jNS0_19identity_decomposerENS1_16block_id_wrapperIjLb1EEEEE10hipError_tT1_PNSt15iterator_traitsISH_E10value_typeET2_T3_PNSI_ISN_E10value_typeET4_T5_PSS_ST_PNS1_23onesweep_lookback_stateEbbT6_jjT7_P12ihipStream_tbENKUlT_T0_SH_SM_E_clISB_SB_SC_SC_EEDaS10_S11_SH_SM_EUlS10_E_NS1_11comp_targetILNS1_3genE4ELNS1_11target_archE910ELNS1_3gpuE8ELNS1_3repE0EEENS1_47radix_sort_onesweep_sort_config_static_selectorELNS0_4arch9wavefront6targetE0EEEvSH_ ; -- Begin function _ZN7rocprim17ROCPRIM_400000_NS6detail17trampoline_kernelINS0_14default_configENS1_35radix_sort_onesweep_config_selectorIiNS0_10empty_typeEEEZZNS1_29radix_sort_onesweep_iterationIS3_Lb0EN6thrust23THRUST_200600_302600_NS10device_ptrIiEESB_PS5_SC_jNS0_19identity_decomposerENS1_16block_id_wrapperIjLb1EEEEE10hipError_tT1_PNSt15iterator_traitsISH_E10value_typeET2_T3_PNSI_ISN_E10value_typeET4_T5_PSS_ST_PNS1_23onesweep_lookback_stateEbbT6_jjT7_P12ihipStream_tbENKUlT_T0_SH_SM_E_clISB_SB_SC_SC_EEDaS10_S11_SH_SM_EUlS10_E_NS1_11comp_targetILNS1_3genE4ELNS1_11target_archE910ELNS1_3gpuE8ELNS1_3repE0EEENS1_47radix_sort_onesweep_sort_config_static_selectorELNS0_4arch9wavefront6targetE0EEEvSH_
	.globl	_ZN7rocprim17ROCPRIM_400000_NS6detail17trampoline_kernelINS0_14default_configENS1_35radix_sort_onesweep_config_selectorIiNS0_10empty_typeEEEZZNS1_29radix_sort_onesweep_iterationIS3_Lb0EN6thrust23THRUST_200600_302600_NS10device_ptrIiEESB_PS5_SC_jNS0_19identity_decomposerENS1_16block_id_wrapperIjLb1EEEEE10hipError_tT1_PNSt15iterator_traitsISH_E10value_typeET2_T3_PNSI_ISN_E10value_typeET4_T5_PSS_ST_PNS1_23onesweep_lookback_stateEbbT6_jjT7_P12ihipStream_tbENKUlT_T0_SH_SM_E_clISB_SB_SC_SC_EEDaS10_S11_SH_SM_EUlS10_E_NS1_11comp_targetILNS1_3genE4ELNS1_11target_archE910ELNS1_3gpuE8ELNS1_3repE0EEENS1_47radix_sort_onesweep_sort_config_static_selectorELNS0_4arch9wavefront6targetE0EEEvSH_
	.p2align	8
	.type	_ZN7rocprim17ROCPRIM_400000_NS6detail17trampoline_kernelINS0_14default_configENS1_35radix_sort_onesweep_config_selectorIiNS0_10empty_typeEEEZZNS1_29radix_sort_onesweep_iterationIS3_Lb0EN6thrust23THRUST_200600_302600_NS10device_ptrIiEESB_PS5_SC_jNS0_19identity_decomposerENS1_16block_id_wrapperIjLb1EEEEE10hipError_tT1_PNSt15iterator_traitsISH_E10value_typeET2_T3_PNSI_ISN_E10value_typeET4_T5_PSS_ST_PNS1_23onesweep_lookback_stateEbbT6_jjT7_P12ihipStream_tbENKUlT_T0_SH_SM_E_clISB_SB_SC_SC_EEDaS10_S11_SH_SM_EUlS10_E_NS1_11comp_targetILNS1_3genE4ELNS1_11target_archE910ELNS1_3gpuE8ELNS1_3repE0EEENS1_47radix_sort_onesweep_sort_config_static_selectorELNS0_4arch9wavefront6targetE0EEEvSH_,@function
_ZN7rocprim17ROCPRIM_400000_NS6detail17trampoline_kernelINS0_14default_configENS1_35radix_sort_onesweep_config_selectorIiNS0_10empty_typeEEEZZNS1_29radix_sort_onesweep_iterationIS3_Lb0EN6thrust23THRUST_200600_302600_NS10device_ptrIiEESB_PS5_SC_jNS0_19identity_decomposerENS1_16block_id_wrapperIjLb1EEEEE10hipError_tT1_PNSt15iterator_traitsISH_E10value_typeET2_T3_PNSI_ISN_E10value_typeET4_T5_PSS_ST_PNS1_23onesweep_lookback_stateEbbT6_jjT7_P12ihipStream_tbENKUlT_T0_SH_SM_E_clISB_SB_SC_SC_EEDaS10_S11_SH_SM_EUlS10_E_NS1_11comp_targetILNS1_3genE4ELNS1_11target_archE910ELNS1_3gpuE8ELNS1_3repE0EEENS1_47radix_sort_onesweep_sort_config_static_selectorELNS0_4arch9wavefront6targetE0EEEvSH_: ; @_ZN7rocprim17ROCPRIM_400000_NS6detail17trampoline_kernelINS0_14default_configENS1_35radix_sort_onesweep_config_selectorIiNS0_10empty_typeEEEZZNS1_29radix_sort_onesweep_iterationIS3_Lb0EN6thrust23THRUST_200600_302600_NS10device_ptrIiEESB_PS5_SC_jNS0_19identity_decomposerENS1_16block_id_wrapperIjLb1EEEEE10hipError_tT1_PNSt15iterator_traitsISH_E10value_typeET2_T3_PNSI_ISN_E10value_typeET4_T5_PSS_ST_PNS1_23onesweep_lookback_stateEbbT6_jjT7_P12ihipStream_tbENKUlT_T0_SH_SM_E_clISB_SB_SC_SC_EEDaS10_S11_SH_SM_EUlS10_E_NS1_11comp_targetILNS1_3genE4ELNS1_11target_archE910ELNS1_3gpuE8ELNS1_3repE0EEENS1_47radix_sort_onesweep_sort_config_static_selectorELNS0_4arch9wavefront6targetE0EEEvSH_
; %bb.0:
	.section	.rodata,"a",@progbits
	.p2align	6, 0x0
	.amdhsa_kernel _ZN7rocprim17ROCPRIM_400000_NS6detail17trampoline_kernelINS0_14default_configENS1_35radix_sort_onesweep_config_selectorIiNS0_10empty_typeEEEZZNS1_29radix_sort_onesweep_iterationIS3_Lb0EN6thrust23THRUST_200600_302600_NS10device_ptrIiEESB_PS5_SC_jNS0_19identity_decomposerENS1_16block_id_wrapperIjLb1EEEEE10hipError_tT1_PNSt15iterator_traitsISH_E10value_typeET2_T3_PNSI_ISN_E10value_typeET4_T5_PSS_ST_PNS1_23onesweep_lookback_stateEbbT6_jjT7_P12ihipStream_tbENKUlT_T0_SH_SM_E_clISB_SB_SC_SC_EEDaS10_S11_SH_SM_EUlS10_E_NS1_11comp_targetILNS1_3genE4ELNS1_11target_archE910ELNS1_3gpuE8ELNS1_3repE0EEENS1_47radix_sort_onesweep_sort_config_static_selectorELNS0_4arch9wavefront6targetE0EEEvSH_
		.amdhsa_group_segment_fixed_size 0
		.amdhsa_private_segment_fixed_size 0
		.amdhsa_kernarg_size 88
		.amdhsa_user_sgpr_count 6
		.amdhsa_user_sgpr_private_segment_buffer 1
		.amdhsa_user_sgpr_dispatch_ptr 0
		.amdhsa_user_sgpr_queue_ptr 0
		.amdhsa_user_sgpr_kernarg_segment_ptr 1
		.amdhsa_user_sgpr_dispatch_id 0
		.amdhsa_user_sgpr_flat_scratch_init 0
		.amdhsa_user_sgpr_private_segment_size 0
		.amdhsa_wavefront_size32 1
		.amdhsa_uses_dynamic_stack 0
		.amdhsa_system_sgpr_private_segment_wavefront_offset 0
		.amdhsa_system_sgpr_workgroup_id_x 1
		.amdhsa_system_sgpr_workgroup_id_y 0
		.amdhsa_system_sgpr_workgroup_id_z 0
		.amdhsa_system_sgpr_workgroup_info 0
		.amdhsa_system_vgpr_workitem_id 0
		.amdhsa_next_free_vgpr 1
		.amdhsa_next_free_sgpr 1
		.amdhsa_reserve_vcc 0
		.amdhsa_reserve_flat_scratch 0
		.amdhsa_float_round_mode_32 0
		.amdhsa_float_round_mode_16_64 0
		.amdhsa_float_denorm_mode_32 3
		.amdhsa_float_denorm_mode_16_64 3
		.amdhsa_dx10_clamp 1
		.amdhsa_ieee_mode 1
		.amdhsa_fp16_overflow 0
		.amdhsa_workgroup_processor_mode 1
		.amdhsa_memory_ordered 1
		.amdhsa_forward_progress 1
		.amdhsa_shared_vgpr_count 0
		.amdhsa_exception_fp_ieee_invalid_op 0
		.amdhsa_exception_fp_denorm_src 0
		.amdhsa_exception_fp_ieee_div_zero 0
		.amdhsa_exception_fp_ieee_overflow 0
		.amdhsa_exception_fp_ieee_underflow 0
		.amdhsa_exception_fp_ieee_inexact 0
		.amdhsa_exception_int_div_zero 0
	.end_amdhsa_kernel
	.section	.text._ZN7rocprim17ROCPRIM_400000_NS6detail17trampoline_kernelINS0_14default_configENS1_35radix_sort_onesweep_config_selectorIiNS0_10empty_typeEEEZZNS1_29radix_sort_onesweep_iterationIS3_Lb0EN6thrust23THRUST_200600_302600_NS10device_ptrIiEESB_PS5_SC_jNS0_19identity_decomposerENS1_16block_id_wrapperIjLb1EEEEE10hipError_tT1_PNSt15iterator_traitsISH_E10value_typeET2_T3_PNSI_ISN_E10value_typeET4_T5_PSS_ST_PNS1_23onesweep_lookback_stateEbbT6_jjT7_P12ihipStream_tbENKUlT_T0_SH_SM_E_clISB_SB_SC_SC_EEDaS10_S11_SH_SM_EUlS10_E_NS1_11comp_targetILNS1_3genE4ELNS1_11target_archE910ELNS1_3gpuE8ELNS1_3repE0EEENS1_47radix_sort_onesweep_sort_config_static_selectorELNS0_4arch9wavefront6targetE0EEEvSH_,"axG",@progbits,_ZN7rocprim17ROCPRIM_400000_NS6detail17trampoline_kernelINS0_14default_configENS1_35radix_sort_onesweep_config_selectorIiNS0_10empty_typeEEEZZNS1_29radix_sort_onesweep_iterationIS3_Lb0EN6thrust23THRUST_200600_302600_NS10device_ptrIiEESB_PS5_SC_jNS0_19identity_decomposerENS1_16block_id_wrapperIjLb1EEEEE10hipError_tT1_PNSt15iterator_traitsISH_E10value_typeET2_T3_PNSI_ISN_E10value_typeET4_T5_PSS_ST_PNS1_23onesweep_lookback_stateEbbT6_jjT7_P12ihipStream_tbENKUlT_T0_SH_SM_E_clISB_SB_SC_SC_EEDaS10_S11_SH_SM_EUlS10_E_NS1_11comp_targetILNS1_3genE4ELNS1_11target_archE910ELNS1_3gpuE8ELNS1_3repE0EEENS1_47radix_sort_onesweep_sort_config_static_selectorELNS0_4arch9wavefront6targetE0EEEvSH_,comdat
.Lfunc_end1248:
	.size	_ZN7rocprim17ROCPRIM_400000_NS6detail17trampoline_kernelINS0_14default_configENS1_35radix_sort_onesweep_config_selectorIiNS0_10empty_typeEEEZZNS1_29radix_sort_onesweep_iterationIS3_Lb0EN6thrust23THRUST_200600_302600_NS10device_ptrIiEESB_PS5_SC_jNS0_19identity_decomposerENS1_16block_id_wrapperIjLb1EEEEE10hipError_tT1_PNSt15iterator_traitsISH_E10value_typeET2_T3_PNSI_ISN_E10value_typeET4_T5_PSS_ST_PNS1_23onesweep_lookback_stateEbbT6_jjT7_P12ihipStream_tbENKUlT_T0_SH_SM_E_clISB_SB_SC_SC_EEDaS10_S11_SH_SM_EUlS10_E_NS1_11comp_targetILNS1_3genE4ELNS1_11target_archE910ELNS1_3gpuE8ELNS1_3repE0EEENS1_47radix_sort_onesweep_sort_config_static_selectorELNS0_4arch9wavefront6targetE0EEEvSH_, .Lfunc_end1248-_ZN7rocprim17ROCPRIM_400000_NS6detail17trampoline_kernelINS0_14default_configENS1_35radix_sort_onesweep_config_selectorIiNS0_10empty_typeEEEZZNS1_29radix_sort_onesweep_iterationIS3_Lb0EN6thrust23THRUST_200600_302600_NS10device_ptrIiEESB_PS5_SC_jNS0_19identity_decomposerENS1_16block_id_wrapperIjLb1EEEEE10hipError_tT1_PNSt15iterator_traitsISH_E10value_typeET2_T3_PNSI_ISN_E10value_typeET4_T5_PSS_ST_PNS1_23onesweep_lookback_stateEbbT6_jjT7_P12ihipStream_tbENKUlT_T0_SH_SM_E_clISB_SB_SC_SC_EEDaS10_S11_SH_SM_EUlS10_E_NS1_11comp_targetILNS1_3genE4ELNS1_11target_archE910ELNS1_3gpuE8ELNS1_3repE0EEENS1_47radix_sort_onesweep_sort_config_static_selectorELNS0_4arch9wavefront6targetE0EEEvSH_
                                        ; -- End function
	.set _ZN7rocprim17ROCPRIM_400000_NS6detail17trampoline_kernelINS0_14default_configENS1_35radix_sort_onesweep_config_selectorIiNS0_10empty_typeEEEZZNS1_29radix_sort_onesweep_iterationIS3_Lb0EN6thrust23THRUST_200600_302600_NS10device_ptrIiEESB_PS5_SC_jNS0_19identity_decomposerENS1_16block_id_wrapperIjLb1EEEEE10hipError_tT1_PNSt15iterator_traitsISH_E10value_typeET2_T3_PNSI_ISN_E10value_typeET4_T5_PSS_ST_PNS1_23onesweep_lookback_stateEbbT6_jjT7_P12ihipStream_tbENKUlT_T0_SH_SM_E_clISB_SB_SC_SC_EEDaS10_S11_SH_SM_EUlS10_E_NS1_11comp_targetILNS1_3genE4ELNS1_11target_archE910ELNS1_3gpuE8ELNS1_3repE0EEENS1_47radix_sort_onesweep_sort_config_static_selectorELNS0_4arch9wavefront6targetE0EEEvSH_.num_vgpr, 0
	.set _ZN7rocprim17ROCPRIM_400000_NS6detail17trampoline_kernelINS0_14default_configENS1_35radix_sort_onesweep_config_selectorIiNS0_10empty_typeEEEZZNS1_29radix_sort_onesweep_iterationIS3_Lb0EN6thrust23THRUST_200600_302600_NS10device_ptrIiEESB_PS5_SC_jNS0_19identity_decomposerENS1_16block_id_wrapperIjLb1EEEEE10hipError_tT1_PNSt15iterator_traitsISH_E10value_typeET2_T3_PNSI_ISN_E10value_typeET4_T5_PSS_ST_PNS1_23onesweep_lookback_stateEbbT6_jjT7_P12ihipStream_tbENKUlT_T0_SH_SM_E_clISB_SB_SC_SC_EEDaS10_S11_SH_SM_EUlS10_E_NS1_11comp_targetILNS1_3genE4ELNS1_11target_archE910ELNS1_3gpuE8ELNS1_3repE0EEENS1_47radix_sort_onesweep_sort_config_static_selectorELNS0_4arch9wavefront6targetE0EEEvSH_.num_agpr, 0
	.set _ZN7rocprim17ROCPRIM_400000_NS6detail17trampoline_kernelINS0_14default_configENS1_35radix_sort_onesweep_config_selectorIiNS0_10empty_typeEEEZZNS1_29radix_sort_onesweep_iterationIS3_Lb0EN6thrust23THRUST_200600_302600_NS10device_ptrIiEESB_PS5_SC_jNS0_19identity_decomposerENS1_16block_id_wrapperIjLb1EEEEE10hipError_tT1_PNSt15iterator_traitsISH_E10value_typeET2_T3_PNSI_ISN_E10value_typeET4_T5_PSS_ST_PNS1_23onesweep_lookback_stateEbbT6_jjT7_P12ihipStream_tbENKUlT_T0_SH_SM_E_clISB_SB_SC_SC_EEDaS10_S11_SH_SM_EUlS10_E_NS1_11comp_targetILNS1_3genE4ELNS1_11target_archE910ELNS1_3gpuE8ELNS1_3repE0EEENS1_47radix_sort_onesweep_sort_config_static_selectorELNS0_4arch9wavefront6targetE0EEEvSH_.numbered_sgpr, 0
	.set _ZN7rocprim17ROCPRIM_400000_NS6detail17trampoline_kernelINS0_14default_configENS1_35radix_sort_onesweep_config_selectorIiNS0_10empty_typeEEEZZNS1_29radix_sort_onesweep_iterationIS3_Lb0EN6thrust23THRUST_200600_302600_NS10device_ptrIiEESB_PS5_SC_jNS0_19identity_decomposerENS1_16block_id_wrapperIjLb1EEEEE10hipError_tT1_PNSt15iterator_traitsISH_E10value_typeET2_T3_PNSI_ISN_E10value_typeET4_T5_PSS_ST_PNS1_23onesweep_lookback_stateEbbT6_jjT7_P12ihipStream_tbENKUlT_T0_SH_SM_E_clISB_SB_SC_SC_EEDaS10_S11_SH_SM_EUlS10_E_NS1_11comp_targetILNS1_3genE4ELNS1_11target_archE910ELNS1_3gpuE8ELNS1_3repE0EEENS1_47radix_sort_onesweep_sort_config_static_selectorELNS0_4arch9wavefront6targetE0EEEvSH_.num_named_barrier, 0
	.set _ZN7rocprim17ROCPRIM_400000_NS6detail17trampoline_kernelINS0_14default_configENS1_35radix_sort_onesweep_config_selectorIiNS0_10empty_typeEEEZZNS1_29radix_sort_onesweep_iterationIS3_Lb0EN6thrust23THRUST_200600_302600_NS10device_ptrIiEESB_PS5_SC_jNS0_19identity_decomposerENS1_16block_id_wrapperIjLb1EEEEE10hipError_tT1_PNSt15iterator_traitsISH_E10value_typeET2_T3_PNSI_ISN_E10value_typeET4_T5_PSS_ST_PNS1_23onesweep_lookback_stateEbbT6_jjT7_P12ihipStream_tbENKUlT_T0_SH_SM_E_clISB_SB_SC_SC_EEDaS10_S11_SH_SM_EUlS10_E_NS1_11comp_targetILNS1_3genE4ELNS1_11target_archE910ELNS1_3gpuE8ELNS1_3repE0EEENS1_47radix_sort_onesweep_sort_config_static_selectorELNS0_4arch9wavefront6targetE0EEEvSH_.private_seg_size, 0
	.set _ZN7rocprim17ROCPRIM_400000_NS6detail17trampoline_kernelINS0_14default_configENS1_35radix_sort_onesweep_config_selectorIiNS0_10empty_typeEEEZZNS1_29radix_sort_onesweep_iterationIS3_Lb0EN6thrust23THRUST_200600_302600_NS10device_ptrIiEESB_PS5_SC_jNS0_19identity_decomposerENS1_16block_id_wrapperIjLb1EEEEE10hipError_tT1_PNSt15iterator_traitsISH_E10value_typeET2_T3_PNSI_ISN_E10value_typeET4_T5_PSS_ST_PNS1_23onesweep_lookback_stateEbbT6_jjT7_P12ihipStream_tbENKUlT_T0_SH_SM_E_clISB_SB_SC_SC_EEDaS10_S11_SH_SM_EUlS10_E_NS1_11comp_targetILNS1_3genE4ELNS1_11target_archE910ELNS1_3gpuE8ELNS1_3repE0EEENS1_47radix_sort_onesweep_sort_config_static_selectorELNS0_4arch9wavefront6targetE0EEEvSH_.uses_vcc, 0
	.set _ZN7rocprim17ROCPRIM_400000_NS6detail17trampoline_kernelINS0_14default_configENS1_35radix_sort_onesweep_config_selectorIiNS0_10empty_typeEEEZZNS1_29radix_sort_onesweep_iterationIS3_Lb0EN6thrust23THRUST_200600_302600_NS10device_ptrIiEESB_PS5_SC_jNS0_19identity_decomposerENS1_16block_id_wrapperIjLb1EEEEE10hipError_tT1_PNSt15iterator_traitsISH_E10value_typeET2_T3_PNSI_ISN_E10value_typeET4_T5_PSS_ST_PNS1_23onesweep_lookback_stateEbbT6_jjT7_P12ihipStream_tbENKUlT_T0_SH_SM_E_clISB_SB_SC_SC_EEDaS10_S11_SH_SM_EUlS10_E_NS1_11comp_targetILNS1_3genE4ELNS1_11target_archE910ELNS1_3gpuE8ELNS1_3repE0EEENS1_47radix_sort_onesweep_sort_config_static_selectorELNS0_4arch9wavefront6targetE0EEEvSH_.uses_flat_scratch, 0
	.set _ZN7rocprim17ROCPRIM_400000_NS6detail17trampoline_kernelINS0_14default_configENS1_35radix_sort_onesweep_config_selectorIiNS0_10empty_typeEEEZZNS1_29radix_sort_onesweep_iterationIS3_Lb0EN6thrust23THRUST_200600_302600_NS10device_ptrIiEESB_PS5_SC_jNS0_19identity_decomposerENS1_16block_id_wrapperIjLb1EEEEE10hipError_tT1_PNSt15iterator_traitsISH_E10value_typeET2_T3_PNSI_ISN_E10value_typeET4_T5_PSS_ST_PNS1_23onesweep_lookback_stateEbbT6_jjT7_P12ihipStream_tbENKUlT_T0_SH_SM_E_clISB_SB_SC_SC_EEDaS10_S11_SH_SM_EUlS10_E_NS1_11comp_targetILNS1_3genE4ELNS1_11target_archE910ELNS1_3gpuE8ELNS1_3repE0EEENS1_47radix_sort_onesweep_sort_config_static_selectorELNS0_4arch9wavefront6targetE0EEEvSH_.has_dyn_sized_stack, 0
	.set _ZN7rocprim17ROCPRIM_400000_NS6detail17trampoline_kernelINS0_14default_configENS1_35radix_sort_onesweep_config_selectorIiNS0_10empty_typeEEEZZNS1_29radix_sort_onesweep_iterationIS3_Lb0EN6thrust23THRUST_200600_302600_NS10device_ptrIiEESB_PS5_SC_jNS0_19identity_decomposerENS1_16block_id_wrapperIjLb1EEEEE10hipError_tT1_PNSt15iterator_traitsISH_E10value_typeET2_T3_PNSI_ISN_E10value_typeET4_T5_PSS_ST_PNS1_23onesweep_lookback_stateEbbT6_jjT7_P12ihipStream_tbENKUlT_T0_SH_SM_E_clISB_SB_SC_SC_EEDaS10_S11_SH_SM_EUlS10_E_NS1_11comp_targetILNS1_3genE4ELNS1_11target_archE910ELNS1_3gpuE8ELNS1_3repE0EEENS1_47radix_sort_onesweep_sort_config_static_selectorELNS0_4arch9wavefront6targetE0EEEvSH_.has_recursion, 0
	.set _ZN7rocprim17ROCPRIM_400000_NS6detail17trampoline_kernelINS0_14default_configENS1_35radix_sort_onesweep_config_selectorIiNS0_10empty_typeEEEZZNS1_29radix_sort_onesweep_iterationIS3_Lb0EN6thrust23THRUST_200600_302600_NS10device_ptrIiEESB_PS5_SC_jNS0_19identity_decomposerENS1_16block_id_wrapperIjLb1EEEEE10hipError_tT1_PNSt15iterator_traitsISH_E10value_typeET2_T3_PNSI_ISN_E10value_typeET4_T5_PSS_ST_PNS1_23onesweep_lookback_stateEbbT6_jjT7_P12ihipStream_tbENKUlT_T0_SH_SM_E_clISB_SB_SC_SC_EEDaS10_S11_SH_SM_EUlS10_E_NS1_11comp_targetILNS1_3genE4ELNS1_11target_archE910ELNS1_3gpuE8ELNS1_3repE0EEENS1_47radix_sort_onesweep_sort_config_static_selectorELNS0_4arch9wavefront6targetE0EEEvSH_.has_indirect_call, 0
	.section	.AMDGPU.csdata,"",@progbits
; Kernel info:
; codeLenInByte = 0
; TotalNumSgprs: 0
; NumVgprs: 0
; ScratchSize: 0
; MemoryBound: 0
; FloatMode: 240
; IeeeMode: 1
; LDSByteSize: 0 bytes/workgroup (compile time only)
; SGPRBlocks: 0
; VGPRBlocks: 0
; NumSGPRsForWavesPerEU: 1
; NumVGPRsForWavesPerEU: 1
; Occupancy: 16
; WaveLimiterHint : 0
; COMPUTE_PGM_RSRC2:SCRATCH_EN: 0
; COMPUTE_PGM_RSRC2:USER_SGPR: 6
; COMPUTE_PGM_RSRC2:TRAP_HANDLER: 0
; COMPUTE_PGM_RSRC2:TGID_X_EN: 1
; COMPUTE_PGM_RSRC2:TGID_Y_EN: 0
; COMPUTE_PGM_RSRC2:TGID_Z_EN: 0
; COMPUTE_PGM_RSRC2:TIDIG_COMP_CNT: 0
	.section	.text._ZN7rocprim17ROCPRIM_400000_NS6detail17trampoline_kernelINS0_14default_configENS1_35radix_sort_onesweep_config_selectorIiNS0_10empty_typeEEEZZNS1_29radix_sort_onesweep_iterationIS3_Lb0EN6thrust23THRUST_200600_302600_NS10device_ptrIiEESB_PS5_SC_jNS0_19identity_decomposerENS1_16block_id_wrapperIjLb1EEEEE10hipError_tT1_PNSt15iterator_traitsISH_E10value_typeET2_T3_PNSI_ISN_E10value_typeET4_T5_PSS_ST_PNS1_23onesweep_lookback_stateEbbT6_jjT7_P12ihipStream_tbENKUlT_T0_SH_SM_E_clISB_SB_SC_SC_EEDaS10_S11_SH_SM_EUlS10_E_NS1_11comp_targetILNS1_3genE3ELNS1_11target_archE908ELNS1_3gpuE7ELNS1_3repE0EEENS1_47radix_sort_onesweep_sort_config_static_selectorELNS0_4arch9wavefront6targetE0EEEvSH_,"axG",@progbits,_ZN7rocprim17ROCPRIM_400000_NS6detail17trampoline_kernelINS0_14default_configENS1_35radix_sort_onesweep_config_selectorIiNS0_10empty_typeEEEZZNS1_29radix_sort_onesweep_iterationIS3_Lb0EN6thrust23THRUST_200600_302600_NS10device_ptrIiEESB_PS5_SC_jNS0_19identity_decomposerENS1_16block_id_wrapperIjLb1EEEEE10hipError_tT1_PNSt15iterator_traitsISH_E10value_typeET2_T3_PNSI_ISN_E10value_typeET4_T5_PSS_ST_PNS1_23onesweep_lookback_stateEbbT6_jjT7_P12ihipStream_tbENKUlT_T0_SH_SM_E_clISB_SB_SC_SC_EEDaS10_S11_SH_SM_EUlS10_E_NS1_11comp_targetILNS1_3genE3ELNS1_11target_archE908ELNS1_3gpuE7ELNS1_3repE0EEENS1_47radix_sort_onesweep_sort_config_static_selectorELNS0_4arch9wavefront6targetE0EEEvSH_,comdat
	.protected	_ZN7rocprim17ROCPRIM_400000_NS6detail17trampoline_kernelINS0_14default_configENS1_35radix_sort_onesweep_config_selectorIiNS0_10empty_typeEEEZZNS1_29radix_sort_onesweep_iterationIS3_Lb0EN6thrust23THRUST_200600_302600_NS10device_ptrIiEESB_PS5_SC_jNS0_19identity_decomposerENS1_16block_id_wrapperIjLb1EEEEE10hipError_tT1_PNSt15iterator_traitsISH_E10value_typeET2_T3_PNSI_ISN_E10value_typeET4_T5_PSS_ST_PNS1_23onesweep_lookback_stateEbbT6_jjT7_P12ihipStream_tbENKUlT_T0_SH_SM_E_clISB_SB_SC_SC_EEDaS10_S11_SH_SM_EUlS10_E_NS1_11comp_targetILNS1_3genE3ELNS1_11target_archE908ELNS1_3gpuE7ELNS1_3repE0EEENS1_47radix_sort_onesweep_sort_config_static_selectorELNS0_4arch9wavefront6targetE0EEEvSH_ ; -- Begin function _ZN7rocprim17ROCPRIM_400000_NS6detail17trampoline_kernelINS0_14default_configENS1_35radix_sort_onesweep_config_selectorIiNS0_10empty_typeEEEZZNS1_29radix_sort_onesweep_iterationIS3_Lb0EN6thrust23THRUST_200600_302600_NS10device_ptrIiEESB_PS5_SC_jNS0_19identity_decomposerENS1_16block_id_wrapperIjLb1EEEEE10hipError_tT1_PNSt15iterator_traitsISH_E10value_typeET2_T3_PNSI_ISN_E10value_typeET4_T5_PSS_ST_PNS1_23onesweep_lookback_stateEbbT6_jjT7_P12ihipStream_tbENKUlT_T0_SH_SM_E_clISB_SB_SC_SC_EEDaS10_S11_SH_SM_EUlS10_E_NS1_11comp_targetILNS1_3genE3ELNS1_11target_archE908ELNS1_3gpuE7ELNS1_3repE0EEENS1_47radix_sort_onesweep_sort_config_static_selectorELNS0_4arch9wavefront6targetE0EEEvSH_
	.globl	_ZN7rocprim17ROCPRIM_400000_NS6detail17trampoline_kernelINS0_14default_configENS1_35radix_sort_onesweep_config_selectorIiNS0_10empty_typeEEEZZNS1_29radix_sort_onesweep_iterationIS3_Lb0EN6thrust23THRUST_200600_302600_NS10device_ptrIiEESB_PS5_SC_jNS0_19identity_decomposerENS1_16block_id_wrapperIjLb1EEEEE10hipError_tT1_PNSt15iterator_traitsISH_E10value_typeET2_T3_PNSI_ISN_E10value_typeET4_T5_PSS_ST_PNS1_23onesweep_lookback_stateEbbT6_jjT7_P12ihipStream_tbENKUlT_T0_SH_SM_E_clISB_SB_SC_SC_EEDaS10_S11_SH_SM_EUlS10_E_NS1_11comp_targetILNS1_3genE3ELNS1_11target_archE908ELNS1_3gpuE7ELNS1_3repE0EEENS1_47radix_sort_onesweep_sort_config_static_selectorELNS0_4arch9wavefront6targetE0EEEvSH_
	.p2align	8
	.type	_ZN7rocprim17ROCPRIM_400000_NS6detail17trampoline_kernelINS0_14default_configENS1_35radix_sort_onesweep_config_selectorIiNS0_10empty_typeEEEZZNS1_29radix_sort_onesweep_iterationIS3_Lb0EN6thrust23THRUST_200600_302600_NS10device_ptrIiEESB_PS5_SC_jNS0_19identity_decomposerENS1_16block_id_wrapperIjLb1EEEEE10hipError_tT1_PNSt15iterator_traitsISH_E10value_typeET2_T3_PNSI_ISN_E10value_typeET4_T5_PSS_ST_PNS1_23onesweep_lookback_stateEbbT6_jjT7_P12ihipStream_tbENKUlT_T0_SH_SM_E_clISB_SB_SC_SC_EEDaS10_S11_SH_SM_EUlS10_E_NS1_11comp_targetILNS1_3genE3ELNS1_11target_archE908ELNS1_3gpuE7ELNS1_3repE0EEENS1_47radix_sort_onesweep_sort_config_static_selectorELNS0_4arch9wavefront6targetE0EEEvSH_,@function
_ZN7rocprim17ROCPRIM_400000_NS6detail17trampoline_kernelINS0_14default_configENS1_35radix_sort_onesweep_config_selectorIiNS0_10empty_typeEEEZZNS1_29radix_sort_onesweep_iterationIS3_Lb0EN6thrust23THRUST_200600_302600_NS10device_ptrIiEESB_PS5_SC_jNS0_19identity_decomposerENS1_16block_id_wrapperIjLb1EEEEE10hipError_tT1_PNSt15iterator_traitsISH_E10value_typeET2_T3_PNSI_ISN_E10value_typeET4_T5_PSS_ST_PNS1_23onesweep_lookback_stateEbbT6_jjT7_P12ihipStream_tbENKUlT_T0_SH_SM_E_clISB_SB_SC_SC_EEDaS10_S11_SH_SM_EUlS10_E_NS1_11comp_targetILNS1_3genE3ELNS1_11target_archE908ELNS1_3gpuE7ELNS1_3repE0EEENS1_47radix_sort_onesweep_sort_config_static_selectorELNS0_4arch9wavefront6targetE0EEEvSH_: ; @_ZN7rocprim17ROCPRIM_400000_NS6detail17trampoline_kernelINS0_14default_configENS1_35radix_sort_onesweep_config_selectorIiNS0_10empty_typeEEEZZNS1_29radix_sort_onesweep_iterationIS3_Lb0EN6thrust23THRUST_200600_302600_NS10device_ptrIiEESB_PS5_SC_jNS0_19identity_decomposerENS1_16block_id_wrapperIjLb1EEEEE10hipError_tT1_PNSt15iterator_traitsISH_E10value_typeET2_T3_PNSI_ISN_E10value_typeET4_T5_PSS_ST_PNS1_23onesweep_lookback_stateEbbT6_jjT7_P12ihipStream_tbENKUlT_T0_SH_SM_E_clISB_SB_SC_SC_EEDaS10_S11_SH_SM_EUlS10_E_NS1_11comp_targetILNS1_3genE3ELNS1_11target_archE908ELNS1_3gpuE7ELNS1_3repE0EEENS1_47radix_sort_onesweep_sort_config_static_selectorELNS0_4arch9wavefront6targetE0EEEvSH_
; %bb.0:
	.section	.rodata,"a",@progbits
	.p2align	6, 0x0
	.amdhsa_kernel _ZN7rocprim17ROCPRIM_400000_NS6detail17trampoline_kernelINS0_14default_configENS1_35radix_sort_onesweep_config_selectorIiNS0_10empty_typeEEEZZNS1_29radix_sort_onesweep_iterationIS3_Lb0EN6thrust23THRUST_200600_302600_NS10device_ptrIiEESB_PS5_SC_jNS0_19identity_decomposerENS1_16block_id_wrapperIjLb1EEEEE10hipError_tT1_PNSt15iterator_traitsISH_E10value_typeET2_T3_PNSI_ISN_E10value_typeET4_T5_PSS_ST_PNS1_23onesweep_lookback_stateEbbT6_jjT7_P12ihipStream_tbENKUlT_T0_SH_SM_E_clISB_SB_SC_SC_EEDaS10_S11_SH_SM_EUlS10_E_NS1_11comp_targetILNS1_3genE3ELNS1_11target_archE908ELNS1_3gpuE7ELNS1_3repE0EEENS1_47radix_sort_onesweep_sort_config_static_selectorELNS0_4arch9wavefront6targetE0EEEvSH_
		.amdhsa_group_segment_fixed_size 0
		.amdhsa_private_segment_fixed_size 0
		.amdhsa_kernarg_size 88
		.amdhsa_user_sgpr_count 6
		.amdhsa_user_sgpr_private_segment_buffer 1
		.amdhsa_user_sgpr_dispatch_ptr 0
		.amdhsa_user_sgpr_queue_ptr 0
		.amdhsa_user_sgpr_kernarg_segment_ptr 1
		.amdhsa_user_sgpr_dispatch_id 0
		.amdhsa_user_sgpr_flat_scratch_init 0
		.amdhsa_user_sgpr_private_segment_size 0
		.amdhsa_wavefront_size32 1
		.amdhsa_uses_dynamic_stack 0
		.amdhsa_system_sgpr_private_segment_wavefront_offset 0
		.amdhsa_system_sgpr_workgroup_id_x 1
		.amdhsa_system_sgpr_workgroup_id_y 0
		.amdhsa_system_sgpr_workgroup_id_z 0
		.amdhsa_system_sgpr_workgroup_info 0
		.amdhsa_system_vgpr_workitem_id 0
		.amdhsa_next_free_vgpr 1
		.amdhsa_next_free_sgpr 1
		.amdhsa_reserve_vcc 0
		.amdhsa_reserve_flat_scratch 0
		.amdhsa_float_round_mode_32 0
		.amdhsa_float_round_mode_16_64 0
		.amdhsa_float_denorm_mode_32 3
		.amdhsa_float_denorm_mode_16_64 3
		.amdhsa_dx10_clamp 1
		.amdhsa_ieee_mode 1
		.amdhsa_fp16_overflow 0
		.amdhsa_workgroup_processor_mode 1
		.amdhsa_memory_ordered 1
		.amdhsa_forward_progress 1
		.amdhsa_shared_vgpr_count 0
		.amdhsa_exception_fp_ieee_invalid_op 0
		.amdhsa_exception_fp_denorm_src 0
		.amdhsa_exception_fp_ieee_div_zero 0
		.amdhsa_exception_fp_ieee_overflow 0
		.amdhsa_exception_fp_ieee_underflow 0
		.amdhsa_exception_fp_ieee_inexact 0
		.amdhsa_exception_int_div_zero 0
	.end_amdhsa_kernel
	.section	.text._ZN7rocprim17ROCPRIM_400000_NS6detail17trampoline_kernelINS0_14default_configENS1_35radix_sort_onesweep_config_selectorIiNS0_10empty_typeEEEZZNS1_29radix_sort_onesweep_iterationIS3_Lb0EN6thrust23THRUST_200600_302600_NS10device_ptrIiEESB_PS5_SC_jNS0_19identity_decomposerENS1_16block_id_wrapperIjLb1EEEEE10hipError_tT1_PNSt15iterator_traitsISH_E10value_typeET2_T3_PNSI_ISN_E10value_typeET4_T5_PSS_ST_PNS1_23onesweep_lookback_stateEbbT6_jjT7_P12ihipStream_tbENKUlT_T0_SH_SM_E_clISB_SB_SC_SC_EEDaS10_S11_SH_SM_EUlS10_E_NS1_11comp_targetILNS1_3genE3ELNS1_11target_archE908ELNS1_3gpuE7ELNS1_3repE0EEENS1_47radix_sort_onesweep_sort_config_static_selectorELNS0_4arch9wavefront6targetE0EEEvSH_,"axG",@progbits,_ZN7rocprim17ROCPRIM_400000_NS6detail17trampoline_kernelINS0_14default_configENS1_35radix_sort_onesweep_config_selectorIiNS0_10empty_typeEEEZZNS1_29radix_sort_onesweep_iterationIS3_Lb0EN6thrust23THRUST_200600_302600_NS10device_ptrIiEESB_PS5_SC_jNS0_19identity_decomposerENS1_16block_id_wrapperIjLb1EEEEE10hipError_tT1_PNSt15iterator_traitsISH_E10value_typeET2_T3_PNSI_ISN_E10value_typeET4_T5_PSS_ST_PNS1_23onesweep_lookback_stateEbbT6_jjT7_P12ihipStream_tbENKUlT_T0_SH_SM_E_clISB_SB_SC_SC_EEDaS10_S11_SH_SM_EUlS10_E_NS1_11comp_targetILNS1_3genE3ELNS1_11target_archE908ELNS1_3gpuE7ELNS1_3repE0EEENS1_47radix_sort_onesweep_sort_config_static_selectorELNS0_4arch9wavefront6targetE0EEEvSH_,comdat
.Lfunc_end1249:
	.size	_ZN7rocprim17ROCPRIM_400000_NS6detail17trampoline_kernelINS0_14default_configENS1_35radix_sort_onesweep_config_selectorIiNS0_10empty_typeEEEZZNS1_29radix_sort_onesweep_iterationIS3_Lb0EN6thrust23THRUST_200600_302600_NS10device_ptrIiEESB_PS5_SC_jNS0_19identity_decomposerENS1_16block_id_wrapperIjLb1EEEEE10hipError_tT1_PNSt15iterator_traitsISH_E10value_typeET2_T3_PNSI_ISN_E10value_typeET4_T5_PSS_ST_PNS1_23onesweep_lookback_stateEbbT6_jjT7_P12ihipStream_tbENKUlT_T0_SH_SM_E_clISB_SB_SC_SC_EEDaS10_S11_SH_SM_EUlS10_E_NS1_11comp_targetILNS1_3genE3ELNS1_11target_archE908ELNS1_3gpuE7ELNS1_3repE0EEENS1_47radix_sort_onesweep_sort_config_static_selectorELNS0_4arch9wavefront6targetE0EEEvSH_, .Lfunc_end1249-_ZN7rocprim17ROCPRIM_400000_NS6detail17trampoline_kernelINS0_14default_configENS1_35radix_sort_onesweep_config_selectorIiNS0_10empty_typeEEEZZNS1_29radix_sort_onesweep_iterationIS3_Lb0EN6thrust23THRUST_200600_302600_NS10device_ptrIiEESB_PS5_SC_jNS0_19identity_decomposerENS1_16block_id_wrapperIjLb1EEEEE10hipError_tT1_PNSt15iterator_traitsISH_E10value_typeET2_T3_PNSI_ISN_E10value_typeET4_T5_PSS_ST_PNS1_23onesweep_lookback_stateEbbT6_jjT7_P12ihipStream_tbENKUlT_T0_SH_SM_E_clISB_SB_SC_SC_EEDaS10_S11_SH_SM_EUlS10_E_NS1_11comp_targetILNS1_3genE3ELNS1_11target_archE908ELNS1_3gpuE7ELNS1_3repE0EEENS1_47radix_sort_onesweep_sort_config_static_selectorELNS0_4arch9wavefront6targetE0EEEvSH_
                                        ; -- End function
	.set _ZN7rocprim17ROCPRIM_400000_NS6detail17trampoline_kernelINS0_14default_configENS1_35radix_sort_onesweep_config_selectorIiNS0_10empty_typeEEEZZNS1_29radix_sort_onesweep_iterationIS3_Lb0EN6thrust23THRUST_200600_302600_NS10device_ptrIiEESB_PS5_SC_jNS0_19identity_decomposerENS1_16block_id_wrapperIjLb1EEEEE10hipError_tT1_PNSt15iterator_traitsISH_E10value_typeET2_T3_PNSI_ISN_E10value_typeET4_T5_PSS_ST_PNS1_23onesweep_lookback_stateEbbT6_jjT7_P12ihipStream_tbENKUlT_T0_SH_SM_E_clISB_SB_SC_SC_EEDaS10_S11_SH_SM_EUlS10_E_NS1_11comp_targetILNS1_3genE3ELNS1_11target_archE908ELNS1_3gpuE7ELNS1_3repE0EEENS1_47radix_sort_onesweep_sort_config_static_selectorELNS0_4arch9wavefront6targetE0EEEvSH_.num_vgpr, 0
	.set _ZN7rocprim17ROCPRIM_400000_NS6detail17trampoline_kernelINS0_14default_configENS1_35radix_sort_onesweep_config_selectorIiNS0_10empty_typeEEEZZNS1_29radix_sort_onesweep_iterationIS3_Lb0EN6thrust23THRUST_200600_302600_NS10device_ptrIiEESB_PS5_SC_jNS0_19identity_decomposerENS1_16block_id_wrapperIjLb1EEEEE10hipError_tT1_PNSt15iterator_traitsISH_E10value_typeET2_T3_PNSI_ISN_E10value_typeET4_T5_PSS_ST_PNS1_23onesweep_lookback_stateEbbT6_jjT7_P12ihipStream_tbENKUlT_T0_SH_SM_E_clISB_SB_SC_SC_EEDaS10_S11_SH_SM_EUlS10_E_NS1_11comp_targetILNS1_3genE3ELNS1_11target_archE908ELNS1_3gpuE7ELNS1_3repE0EEENS1_47radix_sort_onesweep_sort_config_static_selectorELNS0_4arch9wavefront6targetE0EEEvSH_.num_agpr, 0
	.set _ZN7rocprim17ROCPRIM_400000_NS6detail17trampoline_kernelINS0_14default_configENS1_35radix_sort_onesweep_config_selectorIiNS0_10empty_typeEEEZZNS1_29radix_sort_onesweep_iterationIS3_Lb0EN6thrust23THRUST_200600_302600_NS10device_ptrIiEESB_PS5_SC_jNS0_19identity_decomposerENS1_16block_id_wrapperIjLb1EEEEE10hipError_tT1_PNSt15iterator_traitsISH_E10value_typeET2_T3_PNSI_ISN_E10value_typeET4_T5_PSS_ST_PNS1_23onesweep_lookback_stateEbbT6_jjT7_P12ihipStream_tbENKUlT_T0_SH_SM_E_clISB_SB_SC_SC_EEDaS10_S11_SH_SM_EUlS10_E_NS1_11comp_targetILNS1_3genE3ELNS1_11target_archE908ELNS1_3gpuE7ELNS1_3repE0EEENS1_47radix_sort_onesweep_sort_config_static_selectorELNS0_4arch9wavefront6targetE0EEEvSH_.numbered_sgpr, 0
	.set _ZN7rocprim17ROCPRIM_400000_NS6detail17trampoline_kernelINS0_14default_configENS1_35radix_sort_onesweep_config_selectorIiNS0_10empty_typeEEEZZNS1_29radix_sort_onesweep_iterationIS3_Lb0EN6thrust23THRUST_200600_302600_NS10device_ptrIiEESB_PS5_SC_jNS0_19identity_decomposerENS1_16block_id_wrapperIjLb1EEEEE10hipError_tT1_PNSt15iterator_traitsISH_E10value_typeET2_T3_PNSI_ISN_E10value_typeET4_T5_PSS_ST_PNS1_23onesweep_lookback_stateEbbT6_jjT7_P12ihipStream_tbENKUlT_T0_SH_SM_E_clISB_SB_SC_SC_EEDaS10_S11_SH_SM_EUlS10_E_NS1_11comp_targetILNS1_3genE3ELNS1_11target_archE908ELNS1_3gpuE7ELNS1_3repE0EEENS1_47radix_sort_onesweep_sort_config_static_selectorELNS0_4arch9wavefront6targetE0EEEvSH_.num_named_barrier, 0
	.set _ZN7rocprim17ROCPRIM_400000_NS6detail17trampoline_kernelINS0_14default_configENS1_35radix_sort_onesweep_config_selectorIiNS0_10empty_typeEEEZZNS1_29radix_sort_onesweep_iterationIS3_Lb0EN6thrust23THRUST_200600_302600_NS10device_ptrIiEESB_PS5_SC_jNS0_19identity_decomposerENS1_16block_id_wrapperIjLb1EEEEE10hipError_tT1_PNSt15iterator_traitsISH_E10value_typeET2_T3_PNSI_ISN_E10value_typeET4_T5_PSS_ST_PNS1_23onesweep_lookback_stateEbbT6_jjT7_P12ihipStream_tbENKUlT_T0_SH_SM_E_clISB_SB_SC_SC_EEDaS10_S11_SH_SM_EUlS10_E_NS1_11comp_targetILNS1_3genE3ELNS1_11target_archE908ELNS1_3gpuE7ELNS1_3repE0EEENS1_47radix_sort_onesweep_sort_config_static_selectorELNS0_4arch9wavefront6targetE0EEEvSH_.private_seg_size, 0
	.set _ZN7rocprim17ROCPRIM_400000_NS6detail17trampoline_kernelINS0_14default_configENS1_35radix_sort_onesweep_config_selectorIiNS0_10empty_typeEEEZZNS1_29radix_sort_onesweep_iterationIS3_Lb0EN6thrust23THRUST_200600_302600_NS10device_ptrIiEESB_PS5_SC_jNS0_19identity_decomposerENS1_16block_id_wrapperIjLb1EEEEE10hipError_tT1_PNSt15iterator_traitsISH_E10value_typeET2_T3_PNSI_ISN_E10value_typeET4_T5_PSS_ST_PNS1_23onesweep_lookback_stateEbbT6_jjT7_P12ihipStream_tbENKUlT_T0_SH_SM_E_clISB_SB_SC_SC_EEDaS10_S11_SH_SM_EUlS10_E_NS1_11comp_targetILNS1_3genE3ELNS1_11target_archE908ELNS1_3gpuE7ELNS1_3repE0EEENS1_47radix_sort_onesweep_sort_config_static_selectorELNS0_4arch9wavefront6targetE0EEEvSH_.uses_vcc, 0
	.set _ZN7rocprim17ROCPRIM_400000_NS6detail17trampoline_kernelINS0_14default_configENS1_35radix_sort_onesweep_config_selectorIiNS0_10empty_typeEEEZZNS1_29radix_sort_onesweep_iterationIS3_Lb0EN6thrust23THRUST_200600_302600_NS10device_ptrIiEESB_PS5_SC_jNS0_19identity_decomposerENS1_16block_id_wrapperIjLb1EEEEE10hipError_tT1_PNSt15iterator_traitsISH_E10value_typeET2_T3_PNSI_ISN_E10value_typeET4_T5_PSS_ST_PNS1_23onesweep_lookback_stateEbbT6_jjT7_P12ihipStream_tbENKUlT_T0_SH_SM_E_clISB_SB_SC_SC_EEDaS10_S11_SH_SM_EUlS10_E_NS1_11comp_targetILNS1_3genE3ELNS1_11target_archE908ELNS1_3gpuE7ELNS1_3repE0EEENS1_47radix_sort_onesweep_sort_config_static_selectorELNS0_4arch9wavefront6targetE0EEEvSH_.uses_flat_scratch, 0
	.set _ZN7rocprim17ROCPRIM_400000_NS6detail17trampoline_kernelINS0_14default_configENS1_35radix_sort_onesweep_config_selectorIiNS0_10empty_typeEEEZZNS1_29radix_sort_onesweep_iterationIS3_Lb0EN6thrust23THRUST_200600_302600_NS10device_ptrIiEESB_PS5_SC_jNS0_19identity_decomposerENS1_16block_id_wrapperIjLb1EEEEE10hipError_tT1_PNSt15iterator_traitsISH_E10value_typeET2_T3_PNSI_ISN_E10value_typeET4_T5_PSS_ST_PNS1_23onesweep_lookback_stateEbbT6_jjT7_P12ihipStream_tbENKUlT_T0_SH_SM_E_clISB_SB_SC_SC_EEDaS10_S11_SH_SM_EUlS10_E_NS1_11comp_targetILNS1_3genE3ELNS1_11target_archE908ELNS1_3gpuE7ELNS1_3repE0EEENS1_47radix_sort_onesweep_sort_config_static_selectorELNS0_4arch9wavefront6targetE0EEEvSH_.has_dyn_sized_stack, 0
	.set _ZN7rocprim17ROCPRIM_400000_NS6detail17trampoline_kernelINS0_14default_configENS1_35radix_sort_onesweep_config_selectorIiNS0_10empty_typeEEEZZNS1_29radix_sort_onesweep_iterationIS3_Lb0EN6thrust23THRUST_200600_302600_NS10device_ptrIiEESB_PS5_SC_jNS0_19identity_decomposerENS1_16block_id_wrapperIjLb1EEEEE10hipError_tT1_PNSt15iterator_traitsISH_E10value_typeET2_T3_PNSI_ISN_E10value_typeET4_T5_PSS_ST_PNS1_23onesweep_lookback_stateEbbT6_jjT7_P12ihipStream_tbENKUlT_T0_SH_SM_E_clISB_SB_SC_SC_EEDaS10_S11_SH_SM_EUlS10_E_NS1_11comp_targetILNS1_3genE3ELNS1_11target_archE908ELNS1_3gpuE7ELNS1_3repE0EEENS1_47radix_sort_onesweep_sort_config_static_selectorELNS0_4arch9wavefront6targetE0EEEvSH_.has_recursion, 0
	.set _ZN7rocprim17ROCPRIM_400000_NS6detail17trampoline_kernelINS0_14default_configENS1_35radix_sort_onesweep_config_selectorIiNS0_10empty_typeEEEZZNS1_29radix_sort_onesweep_iterationIS3_Lb0EN6thrust23THRUST_200600_302600_NS10device_ptrIiEESB_PS5_SC_jNS0_19identity_decomposerENS1_16block_id_wrapperIjLb1EEEEE10hipError_tT1_PNSt15iterator_traitsISH_E10value_typeET2_T3_PNSI_ISN_E10value_typeET4_T5_PSS_ST_PNS1_23onesweep_lookback_stateEbbT6_jjT7_P12ihipStream_tbENKUlT_T0_SH_SM_E_clISB_SB_SC_SC_EEDaS10_S11_SH_SM_EUlS10_E_NS1_11comp_targetILNS1_3genE3ELNS1_11target_archE908ELNS1_3gpuE7ELNS1_3repE0EEENS1_47radix_sort_onesweep_sort_config_static_selectorELNS0_4arch9wavefront6targetE0EEEvSH_.has_indirect_call, 0
	.section	.AMDGPU.csdata,"",@progbits
; Kernel info:
; codeLenInByte = 0
; TotalNumSgprs: 0
; NumVgprs: 0
; ScratchSize: 0
; MemoryBound: 0
; FloatMode: 240
; IeeeMode: 1
; LDSByteSize: 0 bytes/workgroup (compile time only)
; SGPRBlocks: 0
; VGPRBlocks: 0
; NumSGPRsForWavesPerEU: 1
; NumVGPRsForWavesPerEU: 1
; Occupancy: 16
; WaveLimiterHint : 0
; COMPUTE_PGM_RSRC2:SCRATCH_EN: 0
; COMPUTE_PGM_RSRC2:USER_SGPR: 6
; COMPUTE_PGM_RSRC2:TRAP_HANDLER: 0
; COMPUTE_PGM_RSRC2:TGID_X_EN: 1
; COMPUTE_PGM_RSRC2:TGID_Y_EN: 0
; COMPUTE_PGM_RSRC2:TGID_Z_EN: 0
; COMPUTE_PGM_RSRC2:TIDIG_COMP_CNT: 0
	.section	.text._ZN7rocprim17ROCPRIM_400000_NS6detail17trampoline_kernelINS0_14default_configENS1_35radix_sort_onesweep_config_selectorIiNS0_10empty_typeEEEZZNS1_29radix_sort_onesweep_iterationIS3_Lb0EN6thrust23THRUST_200600_302600_NS10device_ptrIiEESB_PS5_SC_jNS0_19identity_decomposerENS1_16block_id_wrapperIjLb1EEEEE10hipError_tT1_PNSt15iterator_traitsISH_E10value_typeET2_T3_PNSI_ISN_E10value_typeET4_T5_PSS_ST_PNS1_23onesweep_lookback_stateEbbT6_jjT7_P12ihipStream_tbENKUlT_T0_SH_SM_E_clISB_SB_SC_SC_EEDaS10_S11_SH_SM_EUlS10_E_NS1_11comp_targetILNS1_3genE10ELNS1_11target_archE1201ELNS1_3gpuE5ELNS1_3repE0EEENS1_47radix_sort_onesweep_sort_config_static_selectorELNS0_4arch9wavefront6targetE0EEEvSH_,"axG",@progbits,_ZN7rocprim17ROCPRIM_400000_NS6detail17trampoline_kernelINS0_14default_configENS1_35radix_sort_onesweep_config_selectorIiNS0_10empty_typeEEEZZNS1_29radix_sort_onesweep_iterationIS3_Lb0EN6thrust23THRUST_200600_302600_NS10device_ptrIiEESB_PS5_SC_jNS0_19identity_decomposerENS1_16block_id_wrapperIjLb1EEEEE10hipError_tT1_PNSt15iterator_traitsISH_E10value_typeET2_T3_PNSI_ISN_E10value_typeET4_T5_PSS_ST_PNS1_23onesweep_lookback_stateEbbT6_jjT7_P12ihipStream_tbENKUlT_T0_SH_SM_E_clISB_SB_SC_SC_EEDaS10_S11_SH_SM_EUlS10_E_NS1_11comp_targetILNS1_3genE10ELNS1_11target_archE1201ELNS1_3gpuE5ELNS1_3repE0EEENS1_47radix_sort_onesweep_sort_config_static_selectorELNS0_4arch9wavefront6targetE0EEEvSH_,comdat
	.protected	_ZN7rocprim17ROCPRIM_400000_NS6detail17trampoline_kernelINS0_14default_configENS1_35radix_sort_onesweep_config_selectorIiNS0_10empty_typeEEEZZNS1_29radix_sort_onesweep_iterationIS3_Lb0EN6thrust23THRUST_200600_302600_NS10device_ptrIiEESB_PS5_SC_jNS0_19identity_decomposerENS1_16block_id_wrapperIjLb1EEEEE10hipError_tT1_PNSt15iterator_traitsISH_E10value_typeET2_T3_PNSI_ISN_E10value_typeET4_T5_PSS_ST_PNS1_23onesweep_lookback_stateEbbT6_jjT7_P12ihipStream_tbENKUlT_T0_SH_SM_E_clISB_SB_SC_SC_EEDaS10_S11_SH_SM_EUlS10_E_NS1_11comp_targetILNS1_3genE10ELNS1_11target_archE1201ELNS1_3gpuE5ELNS1_3repE0EEENS1_47radix_sort_onesweep_sort_config_static_selectorELNS0_4arch9wavefront6targetE0EEEvSH_ ; -- Begin function _ZN7rocprim17ROCPRIM_400000_NS6detail17trampoline_kernelINS0_14default_configENS1_35radix_sort_onesweep_config_selectorIiNS0_10empty_typeEEEZZNS1_29radix_sort_onesweep_iterationIS3_Lb0EN6thrust23THRUST_200600_302600_NS10device_ptrIiEESB_PS5_SC_jNS0_19identity_decomposerENS1_16block_id_wrapperIjLb1EEEEE10hipError_tT1_PNSt15iterator_traitsISH_E10value_typeET2_T3_PNSI_ISN_E10value_typeET4_T5_PSS_ST_PNS1_23onesweep_lookback_stateEbbT6_jjT7_P12ihipStream_tbENKUlT_T0_SH_SM_E_clISB_SB_SC_SC_EEDaS10_S11_SH_SM_EUlS10_E_NS1_11comp_targetILNS1_3genE10ELNS1_11target_archE1201ELNS1_3gpuE5ELNS1_3repE0EEENS1_47radix_sort_onesweep_sort_config_static_selectorELNS0_4arch9wavefront6targetE0EEEvSH_
	.globl	_ZN7rocprim17ROCPRIM_400000_NS6detail17trampoline_kernelINS0_14default_configENS1_35radix_sort_onesweep_config_selectorIiNS0_10empty_typeEEEZZNS1_29radix_sort_onesweep_iterationIS3_Lb0EN6thrust23THRUST_200600_302600_NS10device_ptrIiEESB_PS5_SC_jNS0_19identity_decomposerENS1_16block_id_wrapperIjLb1EEEEE10hipError_tT1_PNSt15iterator_traitsISH_E10value_typeET2_T3_PNSI_ISN_E10value_typeET4_T5_PSS_ST_PNS1_23onesweep_lookback_stateEbbT6_jjT7_P12ihipStream_tbENKUlT_T0_SH_SM_E_clISB_SB_SC_SC_EEDaS10_S11_SH_SM_EUlS10_E_NS1_11comp_targetILNS1_3genE10ELNS1_11target_archE1201ELNS1_3gpuE5ELNS1_3repE0EEENS1_47radix_sort_onesweep_sort_config_static_selectorELNS0_4arch9wavefront6targetE0EEEvSH_
	.p2align	8
	.type	_ZN7rocprim17ROCPRIM_400000_NS6detail17trampoline_kernelINS0_14default_configENS1_35radix_sort_onesweep_config_selectorIiNS0_10empty_typeEEEZZNS1_29radix_sort_onesweep_iterationIS3_Lb0EN6thrust23THRUST_200600_302600_NS10device_ptrIiEESB_PS5_SC_jNS0_19identity_decomposerENS1_16block_id_wrapperIjLb1EEEEE10hipError_tT1_PNSt15iterator_traitsISH_E10value_typeET2_T3_PNSI_ISN_E10value_typeET4_T5_PSS_ST_PNS1_23onesweep_lookback_stateEbbT6_jjT7_P12ihipStream_tbENKUlT_T0_SH_SM_E_clISB_SB_SC_SC_EEDaS10_S11_SH_SM_EUlS10_E_NS1_11comp_targetILNS1_3genE10ELNS1_11target_archE1201ELNS1_3gpuE5ELNS1_3repE0EEENS1_47radix_sort_onesweep_sort_config_static_selectorELNS0_4arch9wavefront6targetE0EEEvSH_,@function
_ZN7rocprim17ROCPRIM_400000_NS6detail17trampoline_kernelINS0_14default_configENS1_35radix_sort_onesweep_config_selectorIiNS0_10empty_typeEEEZZNS1_29radix_sort_onesweep_iterationIS3_Lb0EN6thrust23THRUST_200600_302600_NS10device_ptrIiEESB_PS5_SC_jNS0_19identity_decomposerENS1_16block_id_wrapperIjLb1EEEEE10hipError_tT1_PNSt15iterator_traitsISH_E10value_typeET2_T3_PNSI_ISN_E10value_typeET4_T5_PSS_ST_PNS1_23onesweep_lookback_stateEbbT6_jjT7_P12ihipStream_tbENKUlT_T0_SH_SM_E_clISB_SB_SC_SC_EEDaS10_S11_SH_SM_EUlS10_E_NS1_11comp_targetILNS1_3genE10ELNS1_11target_archE1201ELNS1_3gpuE5ELNS1_3repE0EEENS1_47radix_sort_onesweep_sort_config_static_selectorELNS0_4arch9wavefront6targetE0EEEvSH_: ; @_ZN7rocprim17ROCPRIM_400000_NS6detail17trampoline_kernelINS0_14default_configENS1_35radix_sort_onesweep_config_selectorIiNS0_10empty_typeEEEZZNS1_29radix_sort_onesweep_iterationIS3_Lb0EN6thrust23THRUST_200600_302600_NS10device_ptrIiEESB_PS5_SC_jNS0_19identity_decomposerENS1_16block_id_wrapperIjLb1EEEEE10hipError_tT1_PNSt15iterator_traitsISH_E10value_typeET2_T3_PNSI_ISN_E10value_typeET4_T5_PSS_ST_PNS1_23onesweep_lookback_stateEbbT6_jjT7_P12ihipStream_tbENKUlT_T0_SH_SM_E_clISB_SB_SC_SC_EEDaS10_S11_SH_SM_EUlS10_E_NS1_11comp_targetILNS1_3genE10ELNS1_11target_archE1201ELNS1_3gpuE5ELNS1_3repE0EEENS1_47radix_sort_onesweep_sort_config_static_selectorELNS0_4arch9wavefront6targetE0EEEvSH_
; %bb.0:
	.section	.rodata,"a",@progbits
	.p2align	6, 0x0
	.amdhsa_kernel _ZN7rocprim17ROCPRIM_400000_NS6detail17trampoline_kernelINS0_14default_configENS1_35radix_sort_onesweep_config_selectorIiNS0_10empty_typeEEEZZNS1_29radix_sort_onesweep_iterationIS3_Lb0EN6thrust23THRUST_200600_302600_NS10device_ptrIiEESB_PS5_SC_jNS0_19identity_decomposerENS1_16block_id_wrapperIjLb1EEEEE10hipError_tT1_PNSt15iterator_traitsISH_E10value_typeET2_T3_PNSI_ISN_E10value_typeET4_T5_PSS_ST_PNS1_23onesweep_lookback_stateEbbT6_jjT7_P12ihipStream_tbENKUlT_T0_SH_SM_E_clISB_SB_SC_SC_EEDaS10_S11_SH_SM_EUlS10_E_NS1_11comp_targetILNS1_3genE10ELNS1_11target_archE1201ELNS1_3gpuE5ELNS1_3repE0EEENS1_47radix_sort_onesweep_sort_config_static_selectorELNS0_4arch9wavefront6targetE0EEEvSH_
		.amdhsa_group_segment_fixed_size 0
		.amdhsa_private_segment_fixed_size 0
		.amdhsa_kernarg_size 88
		.amdhsa_user_sgpr_count 6
		.amdhsa_user_sgpr_private_segment_buffer 1
		.amdhsa_user_sgpr_dispatch_ptr 0
		.amdhsa_user_sgpr_queue_ptr 0
		.amdhsa_user_sgpr_kernarg_segment_ptr 1
		.amdhsa_user_sgpr_dispatch_id 0
		.amdhsa_user_sgpr_flat_scratch_init 0
		.amdhsa_user_sgpr_private_segment_size 0
		.amdhsa_wavefront_size32 1
		.amdhsa_uses_dynamic_stack 0
		.amdhsa_system_sgpr_private_segment_wavefront_offset 0
		.amdhsa_system_sgpr_workgroup_id_x 1
		.amdhsa_system_sgpr_workgroup_id_y 0
		.amdhsa_system_sgpr_workgroup_id_z 0
		.amdhsa_system_sgpr_workgroup_info 0
		.amdhsa_system_vgpr_workitem_id 0
		.amdhsa_next_free_vgpr 1
		.amdhsa_next_free_sgpr 1
		.amdhsa_reserve_vcc 0
		.amdhsa_reserve_flat_scratch 0
		.amdhsa_float_round_mode_32 0
		.amdhsa_float_round_mode_16_64 0
		.amdhsa_float_denorm_mode_32 3
		.amdhsa_float_denorm_mode_16_64 3
		.amdhsa_dx10_clamp 1
		.amdhsa_ieee_mode 1
		.amdhsa_fp16_overflow 0
		.amdhsa_workgroup_processor_mode 1
		.amdhsa_memory_ordered 1
		.amdhsa_forward_progress 1
		.amdhsa_shared_vgpr_count 0
		.amdhsa_exception_fp_ieee_invalid_op 0
		.amdhsa_exception_fp_denorm_src 0
		.amdhsa_exception_fp_ieee_div_zero 0
		.amdhsa_exception_fp_ieee_overflow 0
		.amdhsa_exception_fp_ieee_underflow 0
		.amdhsa_exception_fp_ieee_inexact 0
		.amdhsa_exception_int_div_zero 0
	.end_amdhsa_kernel
	.section	.text._ZN7rocprim17ROCPRIM_400000_NS6detail17trampoline_kernelINS0_14default_configENS1_35radix_sort_onesweep_config_selectorIiNS0_10empty_typeEEEZZNS1_29radix_sort_onesweep_iterationIS3_Lb0EN6thrust23THRUST_200600_302600_NS10device_ptrIiEESB_PS5_SC_jNS0_19identity_decomposerENS1_16block_id_wrapperIjLb1EEEEE10hipError_tT1_PNSt15iterator_traitsISH_E10value_typeET2_T3_PNSI_ISN_E10value_typeET4_T5_PSS_ST_PNS1_23onesweep_lookback_stateEbbT6_jjT7_P12ihipStream_tbENKUlT_T0_SH_SM_E_clISB_SB_SC_SC_EEDaS10_S11_SH_SM_EUlS10_E_NS1_11comp_targetILNS1_3genE10ELNS1_11target_archE1201ELNS1_3gpuE5ELNS1_3repE0EEENS1_47radix_sort_onesweep_sort_config_static_selectorELNS0_4arch9wavefront6targetE0EEEvSH_,"axG",@progbits,_ZN7rocprim17ROCPRIM_400000_NS6detail17trampoline_kernelINS0_14default_configENS1_35radix_sort_onesweep_config_selectorIiNS0_10empty_typeEEEZZNS1_29radix_sort_onesweep_iterationIS3_Lb0EN6thrust23THRUST_200600_302600_NS10device_ptrIiEESB_PS5_SC_jNS0_19identity_decomposerENS1_16block_id_wrapperIjLb1EEEEE10hipError_tT1_PNSt15iterator_traitsISH_E10value_typeET2_T3_PNSI_ISN_E10value_typeET4_T5_PSS_ST_PNS1_23onesweep_lookback_stateEbbT6_jjT7_P12ihipStream_tbENKUlT_T0_SH_SM_E_clISB_SB_SC_SC_EEDaS10_S11_SH_SM_EUlS10_E_NS1_11comp_targetILNS1_3genE10ELNS1_11target_archE1201ELNS1_3gpuE5ELNS1_3repE0EEENS1_47radix_sort_onesweep_sort_config_static_selectorELNS0_4arch9wavefront6targetE0EEEvSH_,comdat
.Lfunc_end1250:
	.size	_ZN7rocprim17ROCPRIM_400000_NS6detail17trampoline_kernelINS0_14default_configENS1_35radix_sort_onesweep_config_selectorIiNS0_10empty_typeEEEZZNS1_29radix_sort_onesweep_iterationIS3_Lb0EN6thrust23THRUST_200600_302600_NS10device_ptrIiEESB_PS5_SC_jNS0_19identity_decomposerENS1_16block_id_wrapperIjLb1EEEEE10hipError_tT1_PNSt15iterator_traitsISH_E10value_typeET2_T3_PNSI_ISN_E10value_typeET4_T5_PSS_ST_PNS1_23onesweep_lookback_stateEbbT6_jjT7_P12ihipStream_tbENKUlT_T0_SH_SM_E_clISB_SB_SC_SC_EEDaS10_S11_SH_SM_EUlS10_E_NS1_11comp_targetILNS1_3genE10ELNS1_11target_archE1201ELNS1_3gpuE5ELNS1_3repE0EEENS1_47radix_sort_onesweep_sort_config_static_selectorELNS0_4arch9wavefront6targetE0EEEvSH_, .Lfunc_end1250-_ZN7rocprim17ROCPRIM_400000_NS6detail17trampoline_kernelINS0_14default_configENS1_35radix_sort_onesweep_config_selectorIiNS0_10empty_typeEEEZZNS1_29radix_sort_onesweep_iterationIS3_Lb0EN6thrust23THRUST_200600_302600_NS10device_ptrIiEESB_PS5_SC_jNS0_19identity_decomposerENS1_16block_id_wrapperIjLb1EEEEE10hipError_tT1_PNSt15iterator_traitsISH_E10value_typeET2_T3_PNSI_ISN_E10value_typeET4_T5_PSS_ST_PNS1_23onesweep_lookback_stateEbbT6_jjT7_P12ihipStream_tbENKUlT_T0_SH_SM_E_clISB_SB_SC_SC_EEDaS10_S11_SH_SM_EUlS10_E_NS1_11comp_targetILNS1_3genE10ELNS1_11target_archE1201ELNS1_3gpuE5ELNS1_3repE0EEENS1_47radix_sort_onesweep_sort_config_static_selectorELNS0_4arch9wavefront6targetE0EEEvSH_
                                        ; -- End function
	.set _ZN7rocprim17ROCPRIM_400000_NS6detail17trampoline_kernelINS0_14default_configENS1_35radix_sort_onesweep_config_selectorIiNS0_10empty_typeEEEZZNS1_29radix_sort_onesweep_iterationIS3_Lb0EN6thrust23THRUST_200600_302600_NS10device_ptrIiEESB_PS5_SC_jNS0_19identity_decomposerENS1_16block_id_wrapperIjLb1EEEEE10hipError_tT1_PNSt15iterator_traitsISH_E10value_typeET2_T3_PNSI_ISN_E10value_typeET4_T5_PSS_ST_PNS1_23onesweep_lookback_stateEbbT6_jjT7_P12ihipStream_tbENKUlT_T0_SH_SM_E_clISB_SB_SC_SC_EEDaS10_S11_SH_SM_EUlS10_E_NS1_11comp_targetILNS1_3genE10ELNS1_11target_archE1201ELNS1_3gpuE5ELNS1_3repE0EEENS1_47radix_sort_onesweep_sort_config_static_selectorELNS0_4arch9wavefront6targetE0EEEvSH_.num_vgpr, 0
	.set _ZN7rocprim17ROCPRIM_400000_NS6detail17trampoline_kernelINS0_14default_configENS1_35radix_sort_onesweep_config_selectorIiNS0_10empty_typeEEEZZNS1_29radix_sort_onesweep_iterationIS3_Lb0EN6thrust23THRUST_200600_302600_NS10device_ptrIiEESB_PS5_SC_jNS0_19identity_decomposerENS1_16block_id_wrapperIjLb1EEEEE10hipError_tT1_PNSt15iterator_traitsISH_E10value_typeET2_T3_PNSI_ISN_E10value_typeET4_T5_PSS_ST_PNS1_23onesweep_lookback_stateEbbT6_jjT7_P12ihipStream_tbENKUlT_T0_SH_SM_E_clISB_SB_SC_SC_EEDaS10_S11_SH_SM_EUlS10_E_NS1_11comp_targetILNS1_3genE10ELNS1_11target_archE1201ELNS1_3gpuE5ELNS1_3repE0EEENS1_47radix_sort_onesweep_sort_config_static_selectorELNS0_4arch9wavefront6targetE0EEEvSH_.num_agpr, 0
	.set _ZN7rocprim17ROCPRIM_400000_NS6detail17trampoline_kernelINS0_14default_configENS1_35radix_sort_onesweep_config_selectorIiNS0_10empty_typeEEEZZNS1_29radix_sort_onesweep_iterationIS3_Lb0EN6thrust23THRUST_200600_302600_NS10device_ptrIiEESB_PS5_SC_jNS0_19identity_decomposerENS1_16block_id_wrapperIjLb1EEEEE10hipError_tT1_PNSt15iterator_traitsISH_E10value_typeET2_T3_PNSI_ISN_E10value_typeET4_T5_PSS_ST_PNS1_23onesweep_lookback_stateEbbT6_jjT7_P12ihipStream_tbENKUlT_T0_SH_SM_E_clISB_SB_SC_SC_EEDaS10_S11_SH_SM_EUlS10_E_NS1_11comp_targetILNS1_3genE10ELNS1_11target_archE1201ELNS1_3gpuE5ELNS1_3repE0EEENS1_47radix_sort_onesweep_sort_config_static_selectorELNS0_4arch9wavefront6targetE0EEEvSH_.numbered_sgpr, 0
	.set _ZN7rocprim17ROCPRIM_400000_NS6detail17trampoline_kernelINS0_14default_configENS1_35radix_sort_onesweep_config_selectorIiNS0_10empty_typeEEEZZNS1_29radix_sort_onesweep_iterationIS3_Lb0EN6thrust23THRUST_200600_302600_NS10device_ptrIiEESB_PS5_SC_jNS0_19identity_decomposerENS1_16block_id_wrapperIjLb1EEEEE10hipError_tT1_PNSt15iterator_traitsISH_E10value_typeET2_T3_PNSI_ISN_E10value_typeET4_T5_PSS_ST_PNS1_23onesweep_lookback_stateEbbT6_jjT7_P12ihipStream_tbENKUlT_T0_SH_SM_E_clISB_SB_SC_SC_EEDaS10_S11_SH_SM_EUlS10_E_NS1_11comp_targetILNS1_3genE10ELNS1_11target_archE1201ELNS1_3gpuE5ELNS1_3repE0EEENS1_47radix_sort_onesweep_sort_config_static_selectorELNS0_4arch9wavefront6targetE0EEEvSH_.num_named_barrier, 0
	.set _ZN7rocprim17ROCPRIM_400000_NS6detail17trampoline_kernelINS0_14default_configENS1_35radix_sort_onesweep_config_selectorIiNS0_10empty_typeEEEZZNS1_29radix_sort_onesweep_iterationIS3_Lb0EN6thrust23THRUST_200600_302600_NS10device_ptrIiEESB_PS5_SC_jNS0_19identity_decomposerENS1_16block_id_wrapperIjLb1EEEEE10hipError_tT1_PNSt15iterator_traitsISH_E10value_typeET2_T3_PNSI_ISN_E10value_typeET4_T5_PSS_ST_PNS1_23onesweep_lookback_stateEbbT6_jjT7_P12ihipStream_tbENKUlT_T0_SH_SM_E_clISB_SB_SC_SC_EEDaS10_S11_SH_SM_EUlS10_E_NS1_11comp_targetILNS1_3genE10ELNS1_11target_archE1201ELNS1_3gpuE5ELNS1_3repE0EEENS1_47radix_sort_onesweep_sort_config_static_selectorELNS0_4arch9wavefront6targetE0EEEvSH_.private_seg_size, 0
	.set _ZN7rocprim17ROCPRIM_400000_NS6detail17trampoline_kernelINS0_14default_configENS1_35radix_sort_onesweep_config_selectorIiNS0_10empty_typeEEEZZNS1_29radix_sort_onesweep_iterationIS3_Lb0EN6thrust23THRUST_200600_302600_NS10device_ptrIiEESB_PS5_SC_jNS0_19identity_decomposerENS1_16block_id_wrapperIjLb1EEEEE10hipError_tT1_PNSt15iterator_traitsISH_E10value_typeET2_T3_PNSI_ISN_E10value_typeET4_T5_PSS_ST_PNS1_23onesweep_lookback_stateEbbT6_jjT7_P12ihipStream_tbENKUlT_T0_SH_SM_E_clISB_SB_SC_SC_EEDaS10_S11_SH_SM_EUlS10_E_NS1_11comp_targetILNS1_3genE10ELNS1_11target_archE1201ELNS1_3gpuE5ELNS1_3repE0EEENS1_47radix_sort_onesweep_sort_config_static_selectorELNS0_4arch9wavefront6targetE0EEEvSH_.uses_vcc, 0
	.set _ZN7rocprim17ROCPRIM_400000_NS6detail17trampoline_kernelINS0_14default_configENS1_35radix_sort_onesweep_config_selectorIiNS0_10empty_typeEEEZZNS1_29radix_sort_onesweep_iterationIS3_Lb0EN6thrust23THRUST_200600_302600_NS10device_ptrIiEESB_PS5_SC_jNS0_19identity_decomposerENS1_16block_id_wrapperIjLb1EEEEE10hipError_tT1_PNSt15iterator_traitsISH_E10value_typeET2_T3_PNSI_ISN_E10value_typeET4_T5_PSS_ST_PNS1_23onesweep_lookback_stateEbbT6_jjT7_P12ihipStream_tbENKUlT_T0_SH_SM_E_clISB_SB_SC_SC_EEDaS10_S11_SH_SM_EUlS10_E_NS1_11comp_targetILNS1_3genE10ELNS1_11target_archE1201ELNS1_3gpuE5ELNS1_3repE0EEENS1_47radix_sort_onesweep_sort_config_static_selectorELNS0_4arch9wavefront6targetE0EEEvSH_.uses_flat_scratch, 0
	.set _ZN7rocprim17ROCPRIM_400000_NS6detail17trampoline_kernelINS0_14default_configENS1_35radix_sort_onesweep_config_selectorIiNS0_10empty_typeEEEZZNS1_29radix_sort_onesweep_iterationIS3_Lb0EN6thrust23THRUST_200600_302600_NS10device_ptrIiEESB_PS5_SC_jNS0_19identity_decomposerENS1_16block_id_wrapperIjLb1EEEEE10hipError_tT1_PNSt15iterator_traitsISH_E10value_typeET2_T3_PNSI_ISN_E10value_typeET4_T5_PSS_ST_PNS1_23onesweep_lookback_stateEbbT6_jjT7_P12ihipStream_tbENKUlT_T0_SH_SM_E_clISB_SB_SC_SC_EEDaS10_S11_SH_SM_EUlS10_E_NS1_11comp_targetILNS1_3genE10ELNS1_11target_archE1201ELNS1_3gpuE5ELNS1_3repE0EEENS1_47radix_sort_onesweep_sort_config_static_selectorELNS0_4arch9wavefront6targetE0EEEvSH_.has_dyn_sized_stack, 0
	.set _ZN7rocprim17ROCPRIM_400000_NS6detail17trampoline_kernelINS0_14default_configENS1_35radix_sort_onesweep_config_selectorIiNS0_10empty_typeEEEZZNS1_29radix_sort_onesweep_iterationIS3_Lb0EN6thrust23THRUST_200600_302600_NS10device_ptrIiEESB_PS5_SC_jNS0_19identity_decomposerENS1_16block_id_wrapperIjLb1EEEEE10hipError_tT1_PNSt15iterator_traitsISH_E10value_typeET2_T3_PNSI_ISN_E10value_typeET4_T5_PSS_ST_PNS1_23onesweep_lookback_stateEbbT6_jjT7_P12ihipStream_tbENKUlT_T0_SH_SM_E_clISB_SB_SC_SC_EEDaS10_S11_SH_SM_EUlS10_E_NS1_11comp_targetILNS1_3genE10ELNS1_11target_archE1201ELNS1_3gpuE5ELNS1_3repE0EEENS1_47radix_sort_onesweep_sort_config_static_selectorELNS0_4arch9wavefront6targetE0EEEvSH_.has_recursion, 0
	.set _ZN7rocprim17ROCPRIM_400000_NS6detail17trampoline_kernelINS0_14default_configENS1_35radix_sort_onesweep_config_selectorIiNS0_10empty_typeEEEZZNS1_29radix_sort_onesweep_iterationIS3_Lb0EN6thrust23THRUST_200600_302600_NS10device_ptrIiEESB_PS5_SC_jNS0_19identity_decomposerENS1_16block_id_wrapperIjLb1EEEEE10hipError_tT1_PNSt15iterator_traitsISH_E10value_typeET2_T3_PNSI_ISN_E10value_typeET4_T5_PSS_ST_PNS1_23onesweep_lookback_stateEbbT6_jjT7_P12ihipStream_tbENKUlT_T0_SH_SM_E_clISB_SB_SC_SC_EEDaS10_S11_SH_SM_EUlS10_E_NS1_11comp_targetILNS1_3genE10ELNS1_11target_archE1201ELNS1_3gpuE5ELNS1_3repE0EEENS1_47radix_sort_onesweep_sort_config_static_selectorELNS0_4arch9wavefront6targetE0EEEvSH_.has_indirect_call, 0
	.section	.AMDGPU.csdata,"",@progbits
; Kernel info:
; codeLenInByte = 0
; TotalNumSgprs: 0
; NumVgprs: 0
; ScratchSize: 0
; MemoryBound: 0
; FloatMode: 240
; IeeeMode: 1
; LDSByteSize: 0 bytes/workgroup (compile time only)
; SGPRBlocks: 0
; VGPRBlocks: 0
; NumSGPRsForWavesPerEU: 1
; NumVGPRsForWavesPerEU: 1
; Occupancy: 16
; WaveLimiterHint : 0
; COMPUTE_PGM_RSRC2:SCRATCH_EN: 0
; COMPUTE_PGM_RSRC2:USER_SGPR: 6
; COMPUTE_PGM_RSRC2:TRAP_HANDLER: 0
; COMPUTE_PGM_RSRC2:TGID_X_EN: 1
; COMPUTE_PGM_RSRC2:TGID_Y_EN: 0
; COMPUTE_PGM_RSRC2:TGID_Z_EN: 0
; COMPUTE_PGM_RSRC2:TIDIG_COMP_CNT: 0
	.section	.text._ZN7rocprim17ROCPRIM_400000_NS6detail17trampoline_kernelINS0_14default_configENS1_35radix_sort_onesweep_config_selectorIiNS0_10empty_typeEEEZZNS1_29radix_sort_onesweep_iterationIS3_Lb0EN6thrust23THRUST_200600_302600_NS10device_ptrIiEESB_PS5_SC_jNS0_19identity_decomposerENS1_16block_id_wrapperIjLb1EEEEE10hipError_tT1_PNSt15iterator_traitsISH_E10value_typeET2_T3_PNSI_ISN_E10value_typeET4_T5_PSS_ST_PNS1_23onesweep_lookback_stateEbbT6_jjT7_P12ihipStream_tbENKUlT_T0_SH_SM_E_clISB_SB_SC_SC_EEDaS10_S11_SH_SM_EUlS10_E_NS1_11comp_targetILNS1_3genE9ELNS1_11target_archE1100ELNS1_3gpuE3ELNS1_3repE0EEENS1_47radix_sort_onesweep_sort_config_static_selectorELNS0_4arch9wavefront6targetE0EEEvSH_,"axG",@progbits,_ZN7rocprim17ROCPRIM_400000_NS6detail17trampoline_kernelINS0_14default_configENS1_35radix_sort_onesweep_config_selectorIiNS0_10empty_typeEEEZZNS1_29radix_sort_onesweep_iterationIS3_Lb0EN6thrust23THRUST_200600_302600_NS10device_ptrIiEESB_PS5_SC_jNS0_19identity_decomposerENS1_16block_id_wrapperIjLb1EEEEE10hipError_tT1_PNSt15iterator_traitsISH_E10value_typeET2_T3_PNSI_ISN_E10value_typeET4_T5_PSS_ST_PNS1_23onesweep_lookback_stateEbbT6_jjT7_P12ihipStream_tbENKUlT_T0_SH_SM_E_clISB_SB_SC_SC_EEDaS10_S11_SH_SM_EUlS10_E_NS1_11comp_targetILNS1_3genE9ELNS1_11target_archE1100ELNS1_3gpuE3ELNS1_3repE0EEENS1_47radix_sort_onesweep_sort_config_static_selectorELNS0_4arch9wavefront6targetE0EEEvSH_,comdat
	.protected	_ZN7rocprim17ROCPRIM_400000_NS6detail17trampoline_kernelINS0_14default_configENS1_35radix_sort_onesweep_config_selectorIiNS0_10empty_typeEEEZZNS1_29radix_sort_onesweep_iterationIS3_Lb0EN6thrust23THRUST_200600_302600_NS10device_ptrIiEESB_PS5_SC_jNS0_19identity_decomposerENS1_16block_id_wrapperIjLb1EEEEE10hipError_tT1_PNSt15iterator_traitsISH_E10value_typeET2_T3_PNSI_ISN_E10value_typeET4_T5_PSS_ST_PNS1_23onesweep_lookback_stateEbbT6_jjT7_P12ihipStream_tbENKUlT_T0_SH_SM_E_clISB_SB_SC_SC_EEDaS10_S11_SH_SM_EUlS10_E_NS1_11comp_targetILNS1_3genE9ELNS1_11target_archE1100ELNS1_3gpuE3ELNS1_3repE0EEENS1_47radix_sort_onesweep_sort_config_static_selectorELNS0_4arch9wavefront6targetE0EEEvSH_ ; -- Begin function _ZN7rocprim17ROCPRIM_400000_NS6detail17trampoline_kernelINS0_14default_configENS1_35radix_sort_onesweep_config_selectorIiNS0_10empty_typeEEEZZNS1_29radix_sort_onesweep_iterationIS3_Lb0EN6thrust23THRUST_200600_302600_NS10device_ptrIiEESB_PS5_SC_jNS0_19identity_decomposerENS1_16block_id_wrapperIjLb1EEEEE10hipError_tT1_PNSt15iterator_traitsISH_E10value_typeET2_T3_PNSI_ISN_E10value_typeET4_T5_PSS_ST_PNS1_23onesweep_lookback_stateEbbT6_jjT7_P12ihipStream_tbENKUlT_T0_SH_SM_E_clISB_SB_SC_SC_EEDaS10_S11_SH_SM_EUlS10_E_NS1_11comp_targetILNS1_3genE9ELNS1_11target_archE1100ELNS1_3gpuE3ELNS1_3repE0EEENS1_47radix_sort_onesweep_sort_config_static_selectorELNS0_4arch9wavefront6targetE0EEEvSH_
	.globl	_ZN7rocprim17ROCPRIM_400000_NS6detail17trampoline_kernelINS0_14default_configENS1_35radix_sort_onesweep_config_selectorIiNS0_10empty_typeEEEZZNS1_29radix_sort_onesweep_iterationIS3_Lb0EN6thrust23THRUST_200600_302600_NS10device_ptrIiEESB_PS5_SC_jNS0_19identity_decomposerENS1_16block_id_wrapperIjLb1EEEEE10hipError_tT1_PNSt15iterator_traitsISH_E10value_typeET2_T3_PNSI_ISN_E10value_typeET4_T5_PSS_ST_PNS1_23onesweep_lookback_stateEbbT6_jjT7_P12ihipStream_tbENKUlT_T0_SH_SM_E_clISB_SB_SC_SC_EEDaS10_S11_SH_SM_EUlS10_E_NS1_11comp_targetILNS1_3genE9ELNS1_11target_archE1100ELNS1_3gpuE3ELNS1_3repE0EEENS1_47radix_sort_onesweep_sort_config_static_selectorELNS0_4arch9wavefront6targetE0EEEvSH_
	.p2align	8
	.type	_ZN7rocprim17ROCPRIM_400000_NS6detail17trampoline_kernelINS0_14default_configENS1_35radix_sort_onesweep_config_selectorIiNS0_10empty_typeEEEZZNS1_29radix_sort_onesweep_iterationIS3_Lb0EN6thrust23THRUST_200600_302600_NS10device_ptrIiEESB_PS5_SC_jNS0_19identity_decomposerENS1_16block_id_wrapperIjLb1EEEEE10hipError_tT1_PNSt15iterator_traitsISH_E10value_typeET2_T3_PNSI_ISN_E10value_typeET4_T5_PSS_ST_PNS1_23onesweep_lookback_stateEbbT6_jjT7_P12ihipStream_tbENKUlT_T0_SH_SM_E_clISB_SB_SC_SC_EEDaS10_S11_SH_SM_EUlS10_E_NS1_11comp_targetILNS1_3genE9ELNS1_11target_archE1100ELNS1_3gpuE3ELNS1_3repE0EEENS1_47radix_sort_onesweep_sort_config_static_selectorELNS0_4arch9wavefront6targetE0EEEvSH_,@function
_ZN7rocprim17ROCPRIM_400000_NS6detail17trampoline_kernelINS0_14default_configENS1_35radix_sort_onesweep_config_selectorIiNS0_10empty_typeEEEZZNS1_29radix_sort_onesweep_iterationIS3_Lb0EN6thrust23THRUST_200600_302600_NS10device_ptrIiEESB_PS5_SC_jNS0_19identity_decomposerENS1_16block_id_wrapperIjLb1EEEEE10hipError_tT1_PNSt15iterator_traitsISH_E10value_typeET2_T3_PNSI_ISN_E10value_typeET4_T5_PSS_ST_PNS1_23onesweep_lookback_stateEbbT6_jjT7_P12ihipStream_tbENKUlT_T0_SH_SM_E_clISB_SB_SC_SC_EEDaS10_S11_SH_SM_EUlS10_E_NS1_11comp_targetILNS1_3genE9ELNS1_11target_archE1100ELNS1_3gpuE3ELNS1_3repE0EEENS1_47radix_sort_onesweep_sort_config_static_selectorELNS0_4arch9wavefront6targetE0EEEvSH_: ; @_ZN7rocprim17ROCPRIM_400000_NS6detail17trampoline_kernelINS0_14default_configENS1_35radix_sort_onesweep_config_selectorIiNS0_10empty_typeEEEZZNS1_29radix_sort_onesweep_iterationIS3_Lb0EN6thrust23THRUST_200600_302600_NS10device_ptrIiEESB_PS5_SC_jNS0_19identity_decomposerENS1_16block_id_wrapperIjLb1EEEEE10hipError_tT1_PNSt15iterator_traitsISH_E10value_typeET2_T3_PNSI_ISN_E10value_typeET4_T5_PSS_ST_PNS1_23onesweep_lookback_stateEbbT6_jjT7_P12ihipStream_tbENKUlT_T0_SH_SM_E_clISB_SB_SC_SC_EEDaS10_S11_SH_SM_EUlS10_E_NS1_11comp_targetILNS1_3genE9ELNS1_11target_archE1100ELNS1_3gpuE3ELNS1_3repE0EEENS1_47radix_sort_onesweep_sort_config_static_selectorELNS0_4arch9wavefront6targetE0EEEvSH_
; %bb.0:
	.section	.rodata,"a",@progbits
	.p2align	6, 0x0
	.amdhsa_kernel _ZN7rocprim17ROCPRIM_400000_NS6detail17trampoline_kernelINS0_14default_configENS1_35radix_sort_onesweep_config_selectorIiNS0_10empty_typeEEEZZNS1_29radix_sort_onesweep_iterationIS3_Lb0EN6thrust23THRUST_200600_302600_NS10device_ptrIiEESB_PS5_SC_jNS0_19identity_decomposerENS1_16block_id_wrapperIjLb1EEEEE10hipError_tT1_PNSt15iterator_traitsISH_E10value_typeET2_T3_PNSI_ISN_E10value_typeET4_T5_PSS_ST_PNS1_23onesweep_lookback_stateEbbT6_jjT7_P12ihipStream_tbENKUlT_T0_SH_SM_E_clISB_SB_SC_SC_EEDaS10_S11_SH_SM_EUlS10_E_NS1_11comp_targetILNS1_3genE9ELNS1_11target_archE1100ELNS1_3gpuE3ELNS1_3repE0EEENS1_47radix_sort_onesweep_sort_config_static_selectorELNS0_4arch9wavefront6targetE0EEEvSH_
		.amdhsa_group_segment_fixed_size 0
		.amdhsa_private_segment_fixed_size 0
		.amdhsa_kernarg_size 88
		.amdhsa_user_sgpr_count 6
		.amdhsa_user_sgpr_private_segment_buffer 1
		.amdhsa_user_sgpr_dispatch_ptr 0
		.amdhsa_user_sgpr_queue_ptr 0
		.amdhsa_user_sgpr_kernarg_segment_ptr 1
		.amdhsa_user_sgpr_dispatch_id 0
		.amdhsa_user_sgpr_flat_scratch_init 0
		.amdhsa_user_sgpr_private_segment_size 0
		.amdhsa_wavefront_size32 1
		.amdhsa_uses_dynamic_stack 0
		.amdhsa_system_sgpr_private_segment_wavefront_offset 0
		.amdhsa_system_sgpr_workgroup_id_x 1
		.amdhsa_system_sgpr_workgroup_id_y 0
		.amdhsa_system_sgpr_workgroup_id_z 0
		.amdhsa_system_sgpr_workgroup_info 0
		.amdhsa_system_vgpr_workitem_id 0
		.amdhsa_next_free_vgpr 1
		.amdhsa_next_free_sgpr 1
		.amdhsa_reserve_vcc 0
		.amdhsa_reserve_flat_scratch 0
		.amdhsa_float_round_mode_32 0
		.amdhsa_float_round_mode_16_64 0
		.amdhsa_float_denorm_mode_32 3
		.amdhsa_float_denorm_mode_16_64 3
		.amdhsa_dx10_clamp 1
		.amdhsa_ieee_mode 1
		.amdhsa_fp16_overflow 0
		.amdhsa_workgroup_processor_mode 1
		.amdhsa_memory_ordered 1
		.amdhsa_forward_progress 1
		.amdhsa_shared_vgpr_count 0
		.amdhsa_exception_fp_ieee_invalid_op 0
		.amdhsa_exception_fp_denorm_src 0
		.amdhsa_exception_fp_ieee_div_zero 0
		.amdhsa_exception_fp_ieee_overflow 0
		.amdhsa_exception_fp_ieee_underflow 0
		.amdhsa_exception_fp_ieee_inexact 0
		.amdhsa_exception_int_div_zero 0
	.end_amdhsa_kernel
	.section	.text._ZN7rocprim17ROCPRIM_400000_NS6detail17trampoline_kernelINS0_14default_configENS1_35radix_sort_onesweep_config_selectorIiNS0_10empty_typeEEEZZNS1_29radix_sort_onesweep_iterationIS3_Lb0EN6thrust23THRUST_200600_302600_NS10device_ptrIiEESB_PS5_SC_jNS0_19identity_decomposerENS1_16block_id_wrapperIjLb1EEEEE10hipError_tT1_PNSt15iterator_traitsISH_E10value_typeET2_T3_PNSI_ISN_E10value_typeET4_T5_PSS_ST_PNS1_23onesweep_lookback_stateEbbT6_jjT7_P12ihipStream_tbENKUlT_T0_SH_SM_E_clISB_SB_SC_SC_EEDaS10_S11_SH_SM_EUlS10_E_NS1_11comp_targetILNS1_3genE9ELNS1_11target_archE1100ELNS1_3gpuE3ELNS1_3repE0EEENS1_47radix_sort_onesweep_sort_config_static_selectorELNS0_4arch9wavefront6targetE0EEEvSH_,"axG",@progbits,_ZN7rocprim17ROCPRIM_400000_NS6detail17trampoline_kernelINS0_14default_configENS1_35radix_sort_onesweep_config_selectorIiNS0_10empty_typeEEEZZNS1_29radix_sort_onesweep_iterationIS3_Lb0EN6thrust23THRUST_200600_302600_NS10device_ptrIiEESB_PS5_SC_jNS0_19identity_decomposerENS1_16block_id_wrapperIjLb1EEEEE10hipError_tT1_PNSt15iterator_traitsISH_E10value_typeET2_T3_PNSI_ISN_E10value_typeET4_T5_PSS_ST_PNS1_23onesweep_lookback_stateEbbT6_jjT7_P12ihipStream_tbENKUlT_T0_SH_SM_E_clISB_SB_SC_SC_EEDaS10_S11_SH_SM_EUlS10_E_NS1_11comp_targetILNS1_3genE9ELNS1_11target_archE1100ELNS1_3gpuE3ELNS1_3repE0EEENS1_47radix_sort_onesweep_sort_config_static_selectorELNS0_4arch9wavefront6targetE0EEEvSH_,comdat
.Lfunc_end1251:
	.size	_ZN7rocprim17ROCPRIM_400000_NS6detail17trampoline_kernelINS0_14default_configENS1_35radix_sort_onesweep_config_selectorIiNS0_10empty_typeEEEZZNS1_29radix_sort_onesweep_iterationIS3_Lb0EN6thrust23THRUST_200600_302600_NS10device_ptrIiEESB_PS5_SC_jNS0_19identity_decomposerENS1_16block_id_wrapperIjLb1EEEEE10hipError_tT1_PNSt15iterator_traitsISH_E10value_typeET2_T3_PNSI_ISN_E10value_typeET4_T5_PSS_ST_PNS1_23onesweep_lookback_stateEbbT6_jjT7_P12ihipStream_tbENKUlT_T0_SH_SM_E_clISB_SB_SC_SC_EEDaS10_S11_SH_SM_EUlS10_E_NS1_11comp_targetILNS1_3genE9ELNS1_11target_archE1100ELNS1_3gpuE3ELNS1_3repE0EEENS1_47radix_sort_onesweep_sort_config_static_selectorELNS0_4arch9wavefront6targetE0EEEvSH_, .Lfunc_end1251-_ZN7rocprim17ROCPRIM_400000_NS6detail17trampoline_kernelINS0_14default_configENS1_35radix_sort_onesweep_config_selectorIiNS0_10empty_typeEEEZZNS1_29radix_sort_onesweep_iterationIS3_Lb0EN6thrust23THRUST_200600_302600_NS10device_ptrIiEESB_PS5_SC_jNS0_19identity_decomposerENS1_16block_id_wrapperIjLb1EEEEE10hipError_tT1_PNSt15iterator_traitsISH_E10value_typeET2_T3_PNSI_ISN_E10value_typeET4_T5_PSS_ST_PNS1_23onesweep_lookback_stateEbbT6_jjT7_P12ihipStream_tbENKUlT_T0_SH_SM_E_clISB_SB_SC_SC_EEDaS10_S11_SH_SM_EUlS10_E_NS1_11comp_targetILNS1_3genE9ELNS1_11target_archE1100ELNS1_3gpuE3ELNS1_3repE0EEENS1_47radix_sort_onesweep_sort_config_static_selectorELNS0_4arch9wavefront6targetE0EEEvSH_
                                        ; -- End function
	.set _ZN7rocprim17ROCPRIM_400000_NS6detail17trampoline_kernelINS0_14default_configENS1_35radix_sort_onesweep_config_selectorIiNS0_10empty_typeEEEZZNS1_29radix_sort_onesweep_iterationIS3_Lb0EN6thrust23THRUST_200600_302600_NS10device_ptrIiEESB_PS5_SC_jNS0_19identity_decomposerENS1_16block_id_wrapperIjLb1EEEEE10hipError_tT1_PNSt15iterator_traitsISH_E10value_typeET2_T3_PNSI_ISN_E10value_typeET4_T5_PSS_ST_PNS1_23onesweep_lookback_stateEbbT6_jjT7_P12ihipStream_tbENKUlT_T0_SH_SM_E_clISB_SB_SC_SC_EEDaS10_S11_SH_SM_EUlS10_E_NS1_11comp_targetILNS1_3genE9ELNS1_11target_archE1100ELNS1_3gpuE3ELNS1_3repE0EEENS1_47radix_sort_onesweep_sort_config_static_selectorELNS0_4arch9wavefront6targetE0EEEvSH_.num_vgpr, 0
	.set _ZN7rocprim17ROCPRIM_400000_NS6detail17trampoline_kernelINS0_14default_configENS1_35radix_sort_onesweep_config_selectorIiNS0_10empty_typeEEEZZNS1_29radix_sort_onesweep_iterationIS3_Lb0EN6thrust23THRUST_200600_302600_NS10device_ptrIiEESB_PS5_SC_jNS0_19identity_decomposerENS1_16block_id_wrapperIjLb1EEEEE10hipError_tT1_PNSt15iterator_traitsISH_E10value_typeET2_T3_PNSI_ISN_E10value_typeET4_T5_PSS_ST_PNS1_23onesweep_lookback_stateEbbT6_jjT7_P12ihipStream_tbENKUlT_T0_SH_SM_E_clISB_SB_SC_SC_EEDaS10_S11_SH_SM_EUlS10_E_NS1_11comp_targetILNS1_3genE9ELNS1_11target_archE1100ELNS1_3gpuE3ELNS1_3repE0EEENS1_47radix_sort_onesweep_sort_config_static_selectorELNS0_4arch9wavefront6targetE0EEEvSH_.num_agpr, 0
	.set _ZN7rocprim17ROCPRIM_400000_NS6detail17trampoline_kernelINS0_14default_configENS1_35radix_sort_onesweep_config_selectorIiNS0_10empty_typeEEEZZNS1_29radix_sort_onesweep_iterationIS3_Lb0EN6thrust23THRUST_200600_302600_NS10device_ptrIiEESB_PS5_SC_jNS0_19identity_decomposerENS1_16block_id_wrapperIjLb1EEEEE10hipError_tT1_PNSt15iterator_traitsISH_E10value_typeET2_T3_PNSI_ISN_E10value_typeET4_T5_PSS_ST_PNS1_23onesweep_lookback_stateEbbT6_jjT7_P12ihipStream_tbENKUlT_T0_SH_SM_E_clISB_SB_SC_SC_EEDaS10_S11_SH_SM_EUlS10_E_NS1_11comp_targetILNS1_3genE9ELNS1_11target_archE1100ELNS1_3gpuE3ELNS1_3repE0EEENS1_47radix_sort_onesweep_sort_config_static_selectorELNS0_4arch9wavefront6targetE0EEEvSH_.numbered_sgpr, 0
	.set _ZN7rocprim17ROCPRIM_400000_NS6detail17trampoline_kernelINS0_14default_configENS1_35radix_sort_onesweep_config_selectorIiNS0_10empty_typeEEEZZNS1_29radix_sort_onesweep_iterationIS3_Lb0EN6thrust23THRUST_200600_302600_NS10device_ptrIiEESB_PS5_SC_jNS0_19identity_decomposerENS1_16block_id_wrapperIjLb1EEEEE10hipError_tT1_PNSt15iterator_traitsISH_E10value_typeET2_T3_PNSI_ISN_E10value_typeET4_T5_PSS_ST_PNS1_23onesweep_lookback_stateEbbT6_jjT7_P12ihipStream_tbENKUlT_T0_SH_SM_E_clISB_SB_SC_SC_EEDaS10_S11_SH_SM_EUlS10_E_NS1_11comp_targetILNS1_3genE9ELNS1_11target_archE1100ELNS1_3gpuE3ELNS1_3repE0EEENS1_47radix_sort_onesweep_sort_config_static_selectorELNS0_4arch9wavefront6targetE0EEEvSH_.num_named_barrier, 0
	.set _ZN7rocprim17ROCPRIM_400000_NS6detail17trampoline_kernelINS0_14default_configENS1_35radix_sort_onesweep_config_selectorIiNS0_10empty_typeEEEZZNS1_29radix_sort_onesweep_iterationIS3_Lb0EN6thrust23THRUST_200600_302600_NS10device_ptrIiEESB_PS5_SC_jNS0_19identity_decomposerENS1_16block_id_wrapperIjLb1EEEEE10hipError_tT1_PNSt15iterator_traitsISH_E10value_typeET2_T3_PNSI_ISN_E10value_typeET4_T5_PSS_ST_PNS1_23onesweep_lookback_stateEbbT6_jjT7_P12ihipStream_tbENKUlT_T0_SH_SM_E_clISB_SB_SC_SC_EEDaS10_S11_SH_SM_EUlS10_E_NS1_11comp_targetILNS1_3genE9ELNS1_11target_archE1100ELNS1_3gpuE3ELNS1_3repE0EEENS1_47radix_sort_onesweep_sort_config_static_selectorELNS0_4arch9wavefront6targetE0EEEvSH_.private_seg_size, 0
	.set _ZN7rocprim17ROCPRIM_400000_NS6detail17trampoline_kernelINS0_14default_configENS1_35radix_sort_onesweep_config_selectorIiNS0_10empty_typeEEEZZNS1_29radix_sort_onesweep_iterationIS3_Lb0EN6thrust23THRUST_200600_302600_NS10device_ptrIiEESB_PS5_SC_jNS0_19identity_decomposerENS1_16block_id_wrapperIjLb1EEEEE10hipError_tT1_PNSt15iterator_traitsISH_E10value_typeET2_T3_PNSI_ISN_E10value_typeET4_T5_PSS_ST_PNS1_23onesweep_lookback_stateEbbT6_jjT7_P12ihipStream_tbENKUlT_T0_SH_SM_E_clISB_SB_SC_SC_EEDaS10_S11_SH_SM_EUlS10_E_NS1_11comp_targetILNS1_3genE9ELNS1_11target_archE1100ELNS1_3gpuE3ELNS1_3repE0EEENS1_47radix_sort_onesweep_sort_config_static_selectorELNS0_4arch9wavefront6targetE0EEEvSH_.uses_vcc, 0
	.set _ZN7rocprim17ROCPRIM_400000_NS6detail17trampoline_kernelINS0_14default_configENS1_35radix_sort_onesweep_config_selectorIiNS0_10empty_typeEEEZZNS1_29radix_sort_onesweep_iterationIS3_Lb0EN6thrust23THRUST_200600_302600_NS10device_ptrIiEESB_PS5_SC_jNS0_19identity_decomposerENS1_16block_id_wrapperIjLb1EEEEE10hipError_tT1_PNSt15iterator_traitsISH_E10value_typeET2_T3_PNSI_ISN_E10value_typeET4_T5_PSS_ST_PNS1_23onesweep_lookback_stateEbbT6_jjT7_P12ihipStream_tbENKUlT_T0_SH_SM_E_clISB_SB_SC_SC_EEDaS10_S11_SH_SM_EUlS10_E_NS1_11comp_targetILNS1_3genE9ELNS1_11target_archE1100ELNS1_3gpuE3ELNS1_3repE0EEENS1_47radix_sort_onesweep_sort_config_static_selectorELNS0_4arch9wavefront6targetE0EEEvSH_.uses_flat_scratch, 0
	.set _ZN7rocprim17ROCPRIM_400000_NS6detail17trampoline_kernelINS0_14default_configENS1_35radix_sort_onesweep_config_selectorIiNS0_10empty_typeEEEZZNS1_29radix_sort_onesweep_iterationIS3_Lb0EN6thrust23THRUST_200600_302600_NS10device_ptrIiEESB_PS5_SC_jNS0_19identity_decomposerENS1_16block_id_wrapperIjLb1EEEEE10hipError_tT1_PNSt15iterator_traitsISH_E10value_typeET2_T3_PNSI_ISN_E10value_typeET4_T5_PSS_ST_PNS1_23onesweep_lookback_stateEbbT6_jjT7_P12ihipStream_tbENKUlT_T0_SH_SM_E_clISB_SB_SC_SC_EEDaS10_S11_SH_SM_EUlS10_E_NS1_11comp_targetILNS1_3genE9ELNS1_11target_archE1100ELNS1_3gpuE3ELNS1_3repE0EEENS1_47radix_sort_onesweep_sort_config_static_selectorELNS0_4arch9wavefront6targetE0EEEvSH_.has_dyn_sized_stack, 0
	.set _ZN7rocprim17ROCPRIM_400000_NS6detail17trampoline_kernelINS0_14default_configENS1_35radix_sort_onesweep_config_selectorIiNS0_10empty_typeEEEZZNS1_29radix_sort_onesweep_iterationIS3_Lb0EN6thrust23THRUST_200600_302600_NS10device_ptrIiEESB_PS5_SC_jNS0_19identity_decomposerENS1_16block_id_wrapperIjLb1EEEEE10hipError_tT1_PNSt15iterator_traitsISH_E10value_typeET2_T3_PNSI_ISN_E10value_typeET4_T5_PSS_ST_PNS1_23onesweep_lookback_stateEbbT6_jjT7_P12ihipStream_tbENKUlT_T0_SH_SM_E_clISB_SB_SC_SC_EEDaS10_S11_SH_SM_EUlS10_E_NS1_11comp_targetILNS1_3genE9ELNS1_11target_archE1100ELNS1_3gpuE3ELNS1_3repE0EEENS1_47radix_sort_onesweep_sort_config_static_selectorELNS0_4arch9wavefront6targetE0EEEvSH_.has_recursion, 0
	.set _ZN7rocprim17ROCPRIM_400000_NS6detail17trampoline_kernelINS0_14default_configENS1_35radix_sort_onesweep_config_selectorIiNS0_10empty_typeEEEZZNS1_29radix_sort_onesweep_iterationIS3_Lb0EN6thrust23THRUST_200600_302600_NS10device_ptrIiEESB_PS5_SC_jNS0_19identity_decomposerENS1_16block_id_wrapperIjLb1EEEEE10hipError_tT1_PNSt15iterator_traitsISH_E10value_typeET2_T3_PNSI_ISN_E10value_typeET4_T5_PSS_ST_PNS1_23onesweep_lookback_stateEbbT6_jjT7_P12ihipStream_tbENKUlT_T0_SH_SM_E_clISB_SB_SC_SC_EEDaS10_S11_SH_SM_EUlS10_E_NS1_11comp_targetILNS1_3genE9ELNS1_11target_archE1100ELNS1_3gpuE3ELNS1_3repE0EEENS1_47radix_sort_onesweep_sort_config_static_selectorELNS0_4arch9wavefront6targetE0EEEvSH_.has_indirect_call, 0
	.section	.AMDGPU.csdata,"",@progbits
; Kernel info:
; codeLenInByte = 0
; TotalNumSgprs: 0
; NumVgprs: 0
; ScratchSize: 0
; MemoryBound: 0
; FloatMode: 240
; IeeeMode: 1
; LDSByteSize: 0 bytes/workgroup (compile time only)
; SGPRBlocks: 0
; VGPRBlocks: 0
; NumSGPRsForWavesPerEU: 1
; NumVGPRsForWavesPerEU: 1
; Occupancy: 16
; WaveLimiterHint : 0
; COMPUTE_PGM_RSRC2:SCRATCH_EN: 0
; COMPUTE_PGM_RSRC2:USER_SGPR: 6
; COMPUTE_PGM_RSRC2:TRAP_HANDLER: 0
; COMPUTE_PGM_RSRC2:TGID_X_EN: 1
; COMPUTE_PGM_RSRC2:TGID_Y_EN: 0
; COMPUTE_PGM_RSRC2:TGID_Z_EN: 0
; COMPUTE_PGM_RSRC2:TIDIG_COMP_CNT: 0
	.section	.text._ZN7rocprim17ROCPRIM_400000_NS6detail17trampoline_kernelINS0_14default_configENS1_35radix_sort_onesweep_config_selectorIiNS0_10empty_typeEEEZZNS1_29radix_sort_onesweep_iterationIS3_Lb0EN6thrust23THRUST_200600_302600_NS10device_ptrIiEESB_PS5_SC_jNS0_19identity_decomposerENS1_16block_id_wrapperIjLb1EEEEE10hipError_tT1_PNSt15iterator_traitsISH_E10value_typeET2_T3_PNSI_ISN_E10value_typeET4_T5_PSS_ST_PNS1_23onesweep_lookback_stateEbbT6_jjT7_P12ihipStream_tbENKUlT_T0_SH_SM_E_clISB_SB_SC_SC_EEDaS10_S11_SH_SM_EUlS10_E_NS1_11comp_targetILNS1_3genE8ELNS1_11target_archE1030ELNS1_3gpuE2ELNS1_3repE0EEENS1_47radix_sort_onesweep_sort_config_static_selectorELNS0_4arch9wavefront6targetE0EEEvSH_,"axG",@progbits,_ZN7rocprim17ROCPRIM_400000_NS6detail17trampoline_kernelINS0_14default_configENS1_35radix_sort_onesweep_config_selectorIiNS0_10empty_typeEEEZZNS1_29radix_sort_onesweep_iterationIS3_Lb0EN6thrust23THRUST_200600_302600_NS10device_ptrIiEESB_PS5_SC_jNS0_19identity_decomposerENS1_16block_id_wrapperIjLb1EEEEE10hipError_tT1_PNSt15iterator_traitsISH_E10value_typeET2_T3_PNSI_ISN_E10value_typeET4_T5_PSS_ST_PNS1_23onesweep_lookback_stateEbbT6_jjT7_P12ihipStream_tbENKUlT_T0_SH_SM_E_clISB_SB_SC_SC_EEDaS10_S11_SH_SM_EUlS10_E_NS1_11comp_targetILNS1_3genE8ELNS1_11target_archE1030ELNS1_3gpuE2ELNS1_3repE0EEENS1_47radix_sort_onesweep_sort_config_static_selectorELNS0_4arch9wavefront6targetE0EEEvSH_,comdat
	.protected	_ZN7rocprim17ROCPRIM_400000_NS6detail17trampoline_kernelINS0_14default_configENS1_35radix_sort_onesweep_config_selectorIiNS0_10empty_typeEEEZZNS1_29radix_sort_onesweep_iterationIS3_Lb0EN6thrust23THRUST_200600_302600_NS10device_ptrIiEESB_PS5_SC_jNS0_19identity_decomposerENS1_16block_id_wrapperIjLb1EEEEE10hipError_tT1_PNSt15iterator_traitsISH_E10value_typeET2_T3_PNSI_ISN_E10value_typeET4_T5_PSS_ST_PNS1_23onesweep_lookback_stateEbbT6_jjT7_P12ihipStream_tbENKUlT_T0_SH_SM_E_clISB_SB_SC_SC_EEDaS10_S11_SH_SM_EUlS10_E_NS1_11comp_targetILNS1_3genE8ELNS1_11target_archE1030ELNS1_3gpuE2ELNS1_3repE0EEENS1_47radix_sort_onesweep_sort_config_static_selectorELNS0_4arch9wavefront6targetE0EEEvSH_ ; -- Begin function _ZN7rocprim17ROCPRIM_400000_NS6detail17trampoline_kernelINS0_14default_configENS1_35radix_sort_onesweep_config_selectorIiNS0_10empty_typeEEEZZNS1_29radix_sort_onesweep_iterationIS3_Lb0EN6thrust23THRUST_200600_302600_NS10device_ptrIiEESB_PS5_SC_jNS0_19identity_decomposerENS1_16block_id_wrapperIjLb1EEEEE10hipError_tT1_PNSt15iterator_traitsISH_E10value_typeET2_T3_PNSI_ISN_E10value_typeET4_T5_PSS_ST_PNS1_23onesweep_lookback_stateEbbT6_jjT7_P12ihipStream_tbENKUlT_T0_SH_SM_E_clISB_SB_SC_SC_EEDaS10_S11_SH_SM_EUlS10_E_NS1_11comp_targetILNS1_3genE8ELNS1_11target_archE1030ELNS1_3gpuE2ELNS1_3repE0EEENS1_47radix_sort_onesweep_sort_config_static_selectorELNS0_4arch9wavefront6targetE0EEEvSH_
	.globl	_ZN7rocprim17ROCPRIM_400000_NS6detail17trampoline_kernelINS0_14default_configENS1_35radix_sort_onesweep_config_selectorIiNS0_10empty_typeEEEZZNS1_29radix_sort_onesweep_iterationIS3_Lb0EN6thrust23THRUST_200600_302600_NS10device_ptrIiEESB_PS5_SC_jNS0_19identity_decomposerENS1_16block_id_wrapperIjLb1EEEEE10hipError_tT1_PNSt15iterator_traitsISH_E10value_typeET2_T3_PNSI_ISN_E10value_typeET4_T5_PSS_ST_PNS1_23onesweep_lookback_stateEbbT6_jjT7_P12ihipStream_tbENKUlT_T0_SH_SM_E_clISB_SB_SC_SC_EEDaS10_S11_SH_SM_EUlS10_E_NS1_11comp_targetILNS1_3genE8ELNS1_11target_archE1030ELNS1_3gpuE2ELNS1_3repE0EEENS1_47radix_sort_onesweep_sort_config_static_selectorELNS0_4arch9wavefront6targetE0EEEvSH_
	.p2align	8
	.type	_ZN7rocprim17ROCPRIM_400000_NS6detail17trampoline_kernelINS0_14default_configENS1_35radix_sort_onesweep_config_selectorIiNS0_10empty_typeEEEZZNS1_29radix_sort_onesweep_iterationIS3_Lb0EN6thrust23THRUST_200600_302600_NS10device_ptrIiEESB_PS5_SC_jNS0_19identity_decomposerENS1_16block_id_wrapperIjLb1EEEEE10hipError_tT1_PNSt15iterator_traitsISH_E10value_typeET2_T3_PNSI_ISN_E10value_typeET4_T5_PSS_ST_PNS1_23onesweep_lookback_stateEbbT6_jjT7_P12ihipStream_tbENKUlT_T0_SH_SM_E_clISB_SB_SC_SC_EEDaS10_S11_SH_SM_EUlS10_E_NS1_11comp_targetILNS1_3genE8ELNS1_11target_archE1030ELNS1_3gpuE2ELNS1_3repE0EEENS1_47radix_sort_onesweep_sort_config_static_selectorELNS0_4arch9wavefront6targetE0EEEvSH_,@function
_ZN7rocprim17ROCPRIM_400000_NS6detail17trampoline_kernelINS0_14default_configENS1_35radix_sort_onesweep_config_selectorIiNS0_10empty_typeEEEZZNS1_29radix_sort_onesweep_iterationIS3_Lb0EN6thrust23THRUST_200600_302600_NS10device_ptrIiEESB_PS5_SC_jNS0_19identity_decomposerENS1_16block_id_wrapperIjLb1EEEEE10hipError_tT1_PNSt15iterator_traitsISH_E10value_typeET2_T3_PNSI_ISN_E10value_typeET4_T5_PSS_ST_PNS1_23onesweep_lookback_stateEbbT6_jjT7_P12ihipStream_tbENKUlT_T0_SH_SM_E_clISB_SB_SC_SC_EEDaS10_S11_SH_SM_EUlS10_E_NS1_11comp_targetILNS1_3genE8ELNS1_11target_archE1030ELNS1_3gpuE2ELNS1_3repE0EEENS1_47radix_sort_onesweep_sort_config_static_selectorELNS0_4arch9wavefront6targetE0EEEvSH_: ; @_ZN7rocprim17ROCPRIM_400000_NS6detail17trampoline_kernelINS0_14default_configENS1_35radix_sort_onesweep_config_selectorIiNS0_10empty_typeEEEZZNS1_29radix_sort_onesweep_iterationIS3_Lb0EN6thrust23THRUST_200600_302600_NS10device_ptrIiEESB_PS5_SC_jNS0_19identity_decomposerENS1_16block_id_wrapperIjLb1EEEEE10hipError_tT1_PNSt15iterator_traitsISH_E10value_typeET2_T3_PNSI_ISN_E10value_typeET4_T5_PSS_ST_PNS1_23onesweep_lookback_stateEbbT6_jjT7_P12ihipStream_tbENKUlT_T0_SH_SM_E_clISB_SB_SC_SC_EEDaS10_S11_SH_SM_EUlS10_E_NS1_11comp_targetILNS1_3genE8ELNS1_11target_archE1030ELNS1_3gpuE2ELNS1_3repE0EEENS1_47radix_sort_onesweep_sort_config_static_selectorELNS0_4arch9wavefront6targetE0EEEvSH_
; %bb.0:
	s_clause 0x2
	s_load_dwordx4 s[12:15], s[4:5], 0x28
	s_load_dwordx2 s[10:11], s[4:5], 0x38
	s_load_dwordx4 s[20:23], s[4:5], 0x44
	v_cmp_eq_u32_e64 s0, 0, v0
	s_and_saveexec_b32 s1, s0
	s_cbranch_execz .LBB1252_4
; %bb.1:
	s_mov_b32 s3, exec_lo
	s_mov_b32 s2, exec_lo
	v_mbcnt_lo_u32_b32 v3, s3, 0
                                        ; implicit-def: $vgpr4
	v_cmpx_eq_u32_e32 0, v3
	s_cbranch_execz .LBB1252_3
; %bb.2:
	s_load_dwordx2 s[8:9], s[4:5], 0x50
	s_bcnt1_i32_b32 s3, s3
	v_mov_b32_e32 v4, 0
	v_mov_b32_e32 v5, s3
	s_waitcnt lgkmcnt(0)
	global_atomic_add v4, v4, v5, s[8:9] glc
.LBB1252_3:
	s_or_b32 exec_lo, exec_lo, s2
	s_waitcnt vmcnt(0)
	v_readfirstlane_b32 s2, v4
	v_mov_b32_e32 v4, 0
	v_add_nc_u32_e32 v3, s2, v3
	ds_write_b32 v4, v3 offset:36992
.LBB1252_4:
	s_or_b32 exec_lo, exec_lo, s1
	v_mov_b32_e32 v3, 0
	s_clause 0x1
	s_load_dwordx4 s[16:19], s[4:5], 0x0
	s_load_dword s1, s[4:5], 0x20
	s_waitcnt lgkmcnt(0)
	s_barrier
	buffer_gl0_inv
	ds_read_b32 v3, v3 offset:36992
	v_mbcnt_lo_u32_b32 v12, -1, 0
	v_lshlrev_b32_e32 v11, 2, v0
	s_mov_b32 s2, -1
	s_waitcnt lgkmcnt(0)
	s_barrier
	buffer_gl0_inv
	v_cmp_le_u32_e32 vcc_lo, s22, v3
	v_readfirstlane_b32 s23, v3
	s_cbranch_vccz .LBB1252_52
; %bb.5:
	s_lshl_b32 s3, s22, 12
	s_lshl_b32 s2, s23, 12
	s_sub_i32 s22, s1, s3
	s_mov_b32 s3, 0
	v_and_b32_e32 v3, 0xf80, v11
	v_lshlrev_b32_e32 v4, 2, v12
	s_lshl_b64 s[2:3], s[2:3], 2
	s_add_u32 s1, s16, s2
	s_addc_u32 s2, s17, s3
	v_lshlrev_b32_e32 v5, 2, v3
	v_add_co_u32 v4, s1, s1, v4
	v_add_co_ci_u32_e64 v6, null, s2, 0, s1
	v_or_b32_e32 v9, v12, v3
	v_bfrev_b32_e32 v3, -2
	v_add_co_u32 v7, vcc_lo, v4, v5
	v_add_co_ci_u32_e64 v8, null, 0, v6, vcc_lo
	v_mov_b32_e32 v4, v3
	v_mov_b32_e32 v5, v3
	;; [unrolled: 1-line block ×3, first 2 shown]
	s_mov_b32 s1, exec_lo
	v_cmpx_gt_u32_e64 s22, v9
	s_cbranch_execz .LBB1252_7
; %bb.6:
	global_load_dword v13, v[7:8], off
	v_mov_b32_e32 v14, v3
	v_mov_b32_e32 v15, v3
	;; [unrolled: 1-line block ×3, first 2 shown]
	s_waitcnt vmcnt(0)
	v_mov_b32_e32 v3, v13
	v_mov_b32_e32 v4, v14
	;; [unrolled: 1-line block ×4, first 2 shown]
.LBB1252_7:
	s_or_b32 exec_lo, exec_lo, s1
	v_or_b32_e32 v10, 32, v9
	s_mov_b32 s1, exec_lo
	v_cmpx_gt_u32_e64 s22, v10
	s_cbranch_execz .LBB1252_9
; %bb.8:
	global_load_dword v4, v[7:8], off offset:128
.LBB1252_9:
	s_or_b32 exec_lo, exec_lo, s1
	v_or_b32_e32 v10, 64, v9
	s_mov_b32 s1, exec_lo
	v_cmpx_gt_u32_e64 s22, v10
	s_cbranch_execz .LBB1252_11
; %bb.10:
	global_load_dword v5, v[7:8], off offset:256
.LBB1252_11:
	;; [unrolled: 8-line block ×3, first 2 shown]
	s_or_b32 exec_lo, exec_lo, s1
	s_clause 0x1
	s_load_dword s1, s[4:5], 0x64
	s_load_dword s24, s[4:5], 0x58
	s_add_u32 s2, s4, 0x58
	s_addc_u32 s3, s5, 0
	v_mov_b32_e32 v10, 0
	v_xor_b32_e32 v13, 0x80000000, v3
	v_lshrrev_b32_e32 v3, s20, v13
	s_waitcnt lgkmcnt(0)
	s_lshr_b32 s7, s1, 16
	s_cmp_lt_u32 s6, s24
	s_cselect_b32 s1, 12, 18
	s_add_u32 s2, s2, s1
	s_addc_u32 s3, s3, 0
	s_lshl_b32 s1, -1, s21
	global_load_ushort v7, v10, s[2:3]
	s_not_b32 s25, s1
	v_and_b32_e32 v3, s25, v3
	v_and_b32_e32 v8, 1, v3
	v_lshlrev_b32_e32 v9, 30, v3
	v_lshlrev_b32_e32 v14, 29, v3
	;; [unrolled: 1-line block ×4, first 2 shown]
	v_add_co_u32 v8, s1, v8, -1
	v_cndmask_b32_e64 v15, 0, 1, s1
	v_not_b32_e32 v19, v9
	v_cmp_gt_i32_e64 s1, 0, v9
	v_not_b32_e32 v9, v14
	v_lshlrev_b32_e32 v18, 26, v3
	v_cmp_ne_u32_e32 vcc_lo, 0, v15
	v_ashrrev_i32_e32 v19, 31, v19
	v_lshlrev_b32_e32 v15, 25, v3
	v_ashrrev_i32_e32 v9, 31, v9
	v_xor_b32_e32 v8, vcc_lo, v8
	v_cmp_gt_i32_e32 vcc_lo, 0, v14
	v_not_b32_e32 v14, v16
	v_xor_b32_e32 v19, s1, v19
	v_cmp_gt_i32_e64 s1, 0, v16
	v_and_b32_e32 v8, exec_lo, v8
	v_not_b32_e32 v16, v17
	v_ashrrev_i32_e32 v14, 31, v14
	v_xor_b32_e32 v9, vcc_lo, v9
	v_cmp_gt_i32_e32 vcc_lo, 0, v17
	v_and_b32_e32 v8, v8, v19
	v_not_b32_e32 v17, v18
	v_ashrrev_i32_e32 v16, 31, v16
	v_xor_b32_e32 v14, s1, v14
	v_cmp_gt_i32_e64 s1, 0, v18
	v_and_b32_e32 v8, v8, v9
	v_not_b32_e32 v9, v15
	v_ashrrev_i32_e32 v17, 31, v17
	v_xor_b32_e32 v16, vcc_lo, v16
	v_cmp_gt_i32_e32 vcc_lo, 0, v15
	v_and_b32_e32 v8, v8, v14
	v_lshlrev_b32_e32 v14, 24, v3
	v_ashrrev_i32_e32 v9, 31, v9
	v_xor_b32_e32 v15, s1, v17
	v_and_b32_e32 v8, v8, v16
	v_not_b32_e32 v16, v14
	v_xor_b32_e32 v9, vcc_lo, v9
	v_cmp_gt_i32_e32 vcc_lo, 0, v14
	v_and_b32_e32 v8, v8, v15
	v_mad_u32_u24 v15, v2, s7, v1
	v_ashrrev_i32_e32 v14, 31, v16
	v_mul_u32_u24_e32 v16, 36, v0
	v_and_b32_e32 v17, v8, v9
	ds_write2_b32 v16, v10, v10 offset0:32 offset1:33
	ds_write2_b32 v16, v10, v10 offset0:34 offset1:35
	;; [unrolled: 1-line block ×4, first 2 shown]
	ds_write_b32 v16, v10 offset:160
	s_waitcnt vmcnt(0) lgkmcnt(0)
	s_barrier
	buffer_gl0_inv
	; wave barrier
	v_mad_u64_u32 v[8:9], null, v15, v7, v[0:1]
	v_xor_b32_e32 v7, vcc_lo, v14
	v_mul_lo_u32 v9, 0x84, v3
	v_and_b32_e32 v7, v17, v7
	v_lshrrev_b32_e32 v8, 3, v8
	v_mbcnt_lo_u32_b32 v14, v7, 0
	v_and_b32_e32 v3, 0x1ffffffc, v8
	v_cmp_ne_u32_e64 s1, 0, v7
	v_cmp_eq_u32_e32 vcc_lo, 0, v14
	v_add_nc_u32_e32 v17, v3, v9
	s_and_b32 s2, s1, vcc_lo
	s_and_saveexec_b32 s1, s2
; %bb.14:
	v_bcnt_u32_b32 v7, v7, 0
	ds_write_b32 v17, v7 offset:128
; %bb.15:
	s_or_b32 exec_lo, exec_lo, s1
	v_xor_b32_e32 v15, 0x80000000, v4
	; wave barrier
	v_lshrrev_b32_e32 v4, s20, v15
	v_and_b32_e32 v4, s25, v4
	v_and_b32_e32 v8, 1, v4
	v_lshlrev_b32_e32 v9, 30, v4
	v_lshlrev_b32_e32 v10, 29, v4
	;; [unrolled: 1-line block ×4, first 2 shown]
	v_add_co_u32 v8, s1, v8, -1
	v_cndmask_b32_e64 v19, 0, 1, s1
	v_not_b32_e32 v23, v9
	v_cmp_gt_i32_e64 s1, 0, v9
	v_not_b32_e32 v9, v10
	v_lshlrev_b32_e32 v21, 26, v4
	v_cmp_ne_u32_e32 vcc_lo, 0, v19
	v_ashrrev_i32_e32 v19, 31, v23
	v_lshlrev_b32_e32 v22, 25, v4
	v_ashrrev_i32_e32 v9, 31, v9
	v_mul_lo_u32 v7, 0x84, v4
	v_xor_b32_e32 v8, vcc_lo, v8
	v_cmp_gt_i32_e32 vcc_lo, 0, v10
	v_not_b32_e32 v10, v18
	v_xor_b32_e32 v19, s1, v19
	v_cmp_gt_i32_e64 s1, 0, v18
	v_and_b32_e32 v8, exec_lo, v8
	v_not_b32_e32 v18, v20
	v_ashrrev_i32_e32 v10, 31, v10
	v_xor_b32_e32 v9, vcc_lo, v9
	v_cmp_gt_i32_e32 vcc_lo, 0, v20
	v_and_b32_e32 v8, v8, v19
	v_not_b32_e32 v19, v21
	v_ashrrev_i32_e32 v18, 31, v18
	v_xor_b32_e32 v10, s1, v10
	v_lshlrev_b32_e32 v4, 24, v4
	v_and_b32_e32 v8, v8, v9
	v_cmp_gt_i32_e64 s1, 0, v21
	v_not_b32_e32 v9, v22
	v_ashrrev_i32_e32 v19, 31, v19
	v_xor_b32_e32 v18, vcc_lo, v18
	v_and_b32_e32 v8, v8, v10
	v_cmp_gt_i32_e32 vcc_lo, 0, v22
	v_not_b32_e32 v10, v4
	v_ashrrev_i32_e32 v9, 31, v9
	v_xor_b32_e32 v19, s1, v19
	v_and_b32_e32 v8, v8, v18
	v_cmp_gt_i32_e64 s1, 0, v4
	v_ashrrev_i32_e32 v4, 31, v10
	v_xor_b32_e32 v9, vcc_lo, v9
	v_add_nc_u32_e32 v21, v3, v7
	v_and_b32_e32 v8, v8, v19
	v_xor_b32_e32 v4, s1, v4
	ds_read_b32 v18, v21 offset:128
	v_and_b32_e32 v7, v8, v9
	; wave barrier
	v_and_b32_e32 v4, v7, v4
	v_mbcnt_lo_u32_b32 v20, v4, 0
	v_cmp_ne_u32_e64 s1, 0, v4
	v_cmp_eq_u32_e32 vcc_lo, 0, v20
	s_and_b32 s2, s1, vcc_lo
	s_and_saveexec_b32 s1, s2
	s_cbranch_execz .LBB1252_17
; %bb.16:
	s_waitcnt lgkmcnt(0)
	v_bcnt_u32_b32 v4, v4, v18
	ds_write_b32 v21, v4 offset:128
.LBB1252_17:
	s_or_b32 exec_lo, exec_lo, s1
	v_xor_b32_e32 v19, 0x80000000, v5
	; wave barrier
	v_lshrrev_b32_e32 v4, s20, v19
	v_and_b32_e32 v4, s25, v4
	v_and_b32_e32 v7, 1, v4
	v_lshlrev_b32_e32 v8, 30, v4
	v_lshlrev_b32_e32 v9, 29, v4
	v_lshlrev_b32_e32 v10, 28, v4
	v_lshlrev_b32_e32 v23, 27, v4
	v_add_co_u32 v7, s1, v7, -1
	v_cndmask_b32_e64 v22, 0, 1, s1
	v_not_b32_e32 v26, v8
	v_cmp_gt_i32_e64 s1, 0, v8
	v_not_b32_e32 v8, v9
	v_lshlrev_b32_e32 v24, 26, v4
	v_cmp_ne_u32_e32 vcc_lo, 0, v22
	v_ashrrev_i32_e32 v22, 31, v26
	v_lshlrev_b32_e32 v25, 25, v4
	v_ashrrev_i32_e32 v8, 31, v8
	v_mul_lo_u32 v5, 0x84, v4
	v_xor_b32_e32 v7, vcc_lo, v7
	v_cmp_gt_i32_e32 vcc_lo, 0, v9
	v_not_b32_e32 v9, v10
	v_xor_b32_e32 v22, s1, v22
	v_cmp_gt_i32_e64 s1, 0, v10
	v_and_b32_e32 v7, exec_lo, v7
	v_not_b32_e32 v10, v23
	v_ashrrev_i32_e32 v9, 31, v9
	v_xor_b32_e32 v8, vcc_lo, v8
	v_cmp_gt_i32_e32 vcc_lo, 0, v23
	v_and_b32_e32 v7, v7, v22
	v_not_b32_e32 v22, v24
	v_ashrrev_i32_e32 v10, 31, v10
	v_xor_b32_e32 v9, s1, v9
	v_lshlrev_b32_e32 v4, 24, v4
	v_and_b32_e32 v7, v7, v8
	v_cmp_gt_i32_e64 s1, 0, v24
	v_not_b32_e32 v8, v25
	v_ashrrev_i32_e32 v22, 31, v22
	v_xor_b32_e32 v10, vcc_lo, v10
	v_and_b32_e32 v7, v7, v9
	v_cmp_gt_i32_e32 vcc_lo, 0, v25
	v_not_b32_e32 v9, v4
	v_ashrrev_i32_e32 v8, 31, v8
	v_xor_b32_e32 v22, s1, v22
	v_and_b32_e32 v7, v7, v10
	v_cmp_gt_i32_e64 s1, 0, v4
	v_ashrrev_i32_e32 v4, 31, v9
	v_xor_b32_e32 v8, vcc_lo, v8
	v_add_nc_u32_e32 v25, v3, v5
	v_and_b32_e32 v7, v7, v22
	v_xor_b32_e32 v4, s1, v4
	ds_read_b32 v22, v25 offset:128
	v_and_b32_e32 v5, v7, v8
	; wave barrier
	v_and_b32_e32 v4, v5, v4
	v_mbcnt_lo_u32_b32 v24, v4, 0
	v_cmp_ne_u32_e64 s1, 0, v4
	v_cmp_eq_u32_e32 vcc_lo, 0, v24
	s_and_b32 s2, s1, vcc_lo
	s_and_saveexec_b32 s1, s2
	s_cbranch_execz .LBB1252_19
; %bb.18:
	s_waitcnt lgkmcnt(0)
	v_bcnt_u32_b32 v4, v4, v22
	ds_write_b32 v25, v4 offset:128
.LBB1252_19:
	s_or_b32 exec_lo, exec_lo, s1
	v_xor_b32_e32 v23, 0x80000000, v6
	; wave barrier
	v_lshrrev_b32_e32 v4, s20, v23
	v_and_b32_e32 v4, s25, v4
	v_and_b32_e32 v6, 1, v4
	v_lshlrev_b32_e32 v7, 30, v4
	v_lshlrev_b32_e32 v8, 29, v4
	;; [unrolled: 1-line block ×4, first 2 shown]
	v_add_co_u32 v6, s1, v6, -1
	v_cndmask_b32_e64 v10, 0, 1, s1
	v_not_b32_e32 v29, v7
	v_cmp_gt_i32_e64 s1, 0, v7
	v_not_b32_e32 v7, v8
	v_lshlrev_b32_e32 v27, 26, v4
	v_cmp_ne_u32_e32 vcc_lo, 0, v10
	v_ashrrev_i32_e32 v10, 31, v29
	v_lshlrev_b32_e32 v28, 25, v4
	v_ashrrev_i32_e32 v7, 31, v7
	v_mul_lo_u32 v5, 0x84, v4
	v_xor_b32_e32 v6, vcc_lo, v6
	v_cmp_gt_i32_e32 vcc_lo, 0, v8
	v_not_b32_e32 v8, v9
	v_xor_b32_e32 v10, s1, v10
	v_cmp_gt_i32_e64 s1, 0, v9
	v_and_b32_e32 v6, exec_lo, v6
	v_not_b32_e32 v9, v26
	v_ashrrev_i32_e32 v8, 31, v8
	v_xor_b32_e32 v7, vcc_lo, v7
	v_cmp_gt_i32_e32 vcc_lo, 0, v26
	v_and_b32_e32 v6, v6, v10
	v_not_b32_e32 v10, v27
	v_ashrrev_i32_e32 v9, 31, v9
	v_xor_b32_e32 v8, s1, v8
	v_lshlrev_b32_e32 v4, 24, v4
	v_and_b32_e32 v6, v6, v7
	v_cmp_gt_i32_e64 s1, 0, v27
	v_not_b32_e32 v7, v28
	v_ashrrev_i32_e32 v10, 31, v10
	v_xor_b32_e32 v9, vcc_lo, v9
	v_and_b32_e32 v6, v6, v8
	v_cmp_gt_i32_e32 vcc_lo, 0, v28
	v_not_b32_e32 v8, v4
	v_ashrrev_i32_e32 v7, 31, v7
	v_xor_b32_e32 v10, s1, v10
	v_and_b32_e32 v6, v6, v9
	v_cmp_gt_i32_e64 s1, 0, v4
	v_ashrrev_i32_e32 v4, 31, v8
	v_xor_b32_e32 v7, vcc_lo, v7
	v_add_nc_u32_e32 v28, v3, v5
	v_and_b32_e32 v6, v6, v10
	v_xor_b32_e32 v3, s1, v4
	ds_read_b32 v26, v28 offset:128
	v_and_b32_e32 v4, v6, v7
	; wave barrier
	v_and_b32_e32 v3, v4, v3
	v_mbcnt_lo_u32_b32 v27, v3, 0
	v_cmp_ne_u32_e64 s1, 0, v3
	v_cmp_eq_u32_e32 vcc_lo, 0, v27
	s_and_b32 s2, s1, vcc_lo
	s_and_saveexec_b32 s1, s2
	s_cbranch_execz .LBB1252_21
; %bb.20:
	s_waitcnt lgkmcnt(0)
	v_bcnt_u32_b32 v3, v3, v26
	ds_write_b32 v28, v3 offset:128
.LBB1252_21:
	s_or_b32 exec_lo, exec_lo, s1
	; wave barrier
	s_waitcnt lgkmcnt(0)
	s_barrier
	buffer_gl0_inv
	ds_read2_b32 v[9:10], v16 offset0:32 offset1:33
	ds_read2_b32 v[7:8], v16 offset0:34 offset1:35
	;; [unrolled: 1-line block ×4, first 2 shown]
	ds_read_b32 v29, v16 offset:160
	v_and_b32_e32 v32, 16, v12
	v_and_b32_e32 v33, 31, v0
	s_mov_b32 s9, exec_lo
	v_cmp_eq_u32_e64 s7, 0, v32
	s_waitcnt lgkmcnt(3)
	v_add3_u32 v30, v10, v9, v7
	s_waitcnt lgkmcnt(2)
	v_add3_u32 v30, v30, v8, v5
	;; [unrolled: 2-line block ×4, first 2 shown]
	v_and_b32_e32 v30, 15, v12
	v_mov_b32_dpp v31, v29 row_shr:1 row_mask:0xf bank_mask:0xf
	v_cmp_eq_u32_e32 vcc_lo, 0, v30
	v_cmp_lt_u32_e64 s1, 1, v30
	v_cmp_lt_u32_e64 s2, 3, v30
	;; [unrolled: 1-line block ×3, first 2 shown]
	v_cndmask_b32_e64 v31, v31, 0, vcc_lo
	v_add_nc_u32_e32 v29, v31, v29
	v_mov_b32_dpp v31, v29 row_shr:2 row_mask:0xf bank_mask:0xf
	v_cndmask_b32_e64 v31, 0, v31, s1
	v_add_nc_u32_e32 v29, v29, v31
	v_mov_b32_dpp v31, v29 row_shr:4 row_mask:0xf bank_mask:0xf
	v_cndmask_b32_e64 v31, 0, v31, s2
	;; [unrolled: 3-line block ×3, first 2 shown]
	v_bfe_i32 v31, v12, 4, 1
	v_add_nc_u32_e32 v29, v29, v30
	ds_swizzle_b32 v30, v29 offset:swizzle(BROADCAST,32,15)
	s_waitcnt lgkmcnt(0)
	v_and_b32_e32 v31, v31, v30
	v_lshrrev_b32_e32 v30, 5, v0
	v_add_nc_u32_e32 v29, v29, v31
	v_cmpx_eq_u32_e32 31, v33
; %bb.22:
	v_lshlrev_b32_e32 v31, 2, v30
	ds_write_b32 v31, v29
; %bb.23:
	s_or_b32 exec_lo, exec_lo, s9
	v_cmp_lt_u32_e64 s8, 31, v0
	s_mov_b32 s26, exec_lo
	s_waitcnt lgkmcnt(0)
	s_barrier
	buffer_gl0_inv
	v_cmpx_gt_u32_e32 32, v0
	s_cbranch_execz .LBB1252_25
; %bb.24:
	ds_read_b32 v31, v11
	s_waitcnt lgkmcnt(0)
	v_mov_b32_dpp v32, v31 row_shr:1 row_mask:0xf bank_mask:0xf
	v_cndmask_b32_e64 v32, v32, 0, vcc_lo
	v_add_nc_u32_e32 v31, v32, v31
	v_mov_b32_dpp v32, v31 row_shr:2 row_mask:0xf bank_mask:0xf
	v_cndmask_b32_e64 v32, 0, v32, s1
	v_add_nc_u32_e32 v31, v31, v32
	v_mov_b32_dpp v32, v31 row_shr:4 row_mask:0xf bank_mask:0xf
	v_cndmask_b32_e64 v32, 0, v32, s2
	;; [unrolled: 3-line block ×3, first 2 shown]
	v_add_nc_u32_e32 v31, v31, v32
	ds_swizzle_b32 v32, v31 offset:swizzle(BROADCAST,32,15)
	s_waitcnt lgkmcnt(0)
	v_cndmask_b32_e64 v32, v32, 0, s7
	v_add_nc_u32_e32 v31, v31, v32
	ds_write_b32 v11, v31
.LBB1252_25:
	s_or_b32 exec_lo, exec_lo, s26
	v_mov_b32_e32 v31, 0
	s_waitcnt lgkmcnt(0)
	s_barrier
	buffer_gl0_inv
	s_and_saveexec_b32 s1, s8
; %bb.26:
	v_lshl_add_u32 v30, v30, 2, -4
	ds_read_b32 v31, v30
; %bb.27:
	s_or_b32 exec_lo, exec_lo, s1
	v_sub_co_u32 v30, vcc_lo, v12, 1
	s_waitcnt lgkmcnt(0)
	v_add_nc_u32_e32 v29, v31, v29
	v_cmp_gt_i32_e64 s1, 0, v30
	v_cndmask_b32_e64 v30, v30, v12, s1
	v_cmp_gt_u32_e64 s1, 0x100, v0
	v_lshlrev_b32_e32 v30, 2, v30
	ds_bpermute_b32 v29, v30, v29
	s_waitcnt lgkmcnt(0)
	v_cndmask_b32_e32 v29, v29, v31, vcc_lo
	v_cmp_lt_u32_e32 vcc_lo, 0xff, v0
	v_cndmask_b32_e64 v29, v29, 0, s0
	v_add_nc_u32_e32 v9, v29, v9
	v_add_nc_u32_e32 v10, v9, v10
	;; [unrolled: 1-line block ×8, first 2 shown]
	ds_write2_b32 v16, v29, v9 offset0:32 offset1:33
	ds_write2_b32 v16, v10, v7 offset0:34 offset1:35
	;; [unrolled: 1-line block ×4, first 2 shown]
	ds_write_b32 v16, v4 offset:160
	s_waitcnt lgkmcnt(0)
	s_barrier
	buffer_gl0_inv
	ds_read_b32 v3, v17 offset:128
	ds_read_b32 v6, v21 offset:128
	;; [unrolled: 1-line block ×4, first 2 shown]
                                        ; implicit-def: $vgpr9
                                        ; implicit-def: $vgpr10
	s_and_saveexec_b32 s3, s1
	s_cbranch_execz .LBB1252_31
; %bb.28:
	v_mul_u32_u24_e32 v7, 0x84, v0
	v_add_nc_u32_e32 v8, 1, v0
	s_mov_b32 s7, exec_lo
	ds_read_b32 v9, v7 offset:128
	v_mov_b32_e32 v7, 0x1000
	v_cmpx_ne_u32_e32 0x100, v8
; %bb.29:
	v_mul_u32_u24_e32 v7, 0x84, v8
	ds_read_b32 v7, v7 offset:128
; %bb.30:
	s_or_b32 exec_lo, exec_lo, s7
	s_waitcnt lgkmcnt(0)
	v_sub_nc_u32_e32 v10, v7, v9
.LBB1252_31:
	s_or_b32 exec_lo, exec_lo, s3
	v_lshlrev_b32_e32 v7, 2, v14
	v_lshlrev_b32_e32 v8, 2, v20
	;; [unrolled: 1-line block ×5, first 2 shown]
	s_waitcnt lgkmcnt(0)
	v_lshlrev_b32_e32 v4, 2, v4
	v_lshlrev_b32_e32 v6, 2, v6
	;; [unrolled: 1-line block ×5, first 2 shown]
	v_lshl_add_u32 v3, v3, 2, v7
	v_add3_u32 v7, v18, v20, v4
	v_mov_b32_e32 v4, 0
	v_add3_u32 v6, v8, v14, v6
	v_add3_u32 v5, v16, v17, v5
	s_barrier
	buffer_gl0_inv
	ds_write_b32 v3, v13 offset:1024
	ds_write_b32 v6, v15 offset:1024
	;; [unrolled: 1-line block ×4, first 2 shown]
	s_and_saveexec_b32 s2, s1
	s_cbranch_execz .LBB1252_41
; %bb.32:
	v_lshl_add_u32 v3, s23, 8, v0
	v_mov_b32_e32 v13, 0
	s_mov_b32 s3, 0
	s_mov_b32 s7, s23
	v_lshlrev_b64 v[5:6], 2, v[3:4]
	v_or_b32_e32 v3, 2.0, v10
	v_add_co_u32 v5, s1, s10, v5
	v_add_co_ci_u32_e64 v6, null, s11, v6, s1
                                        ; implicit-def: $sgpr1
	global_store_dword v[5:6], v3, off
	s_branch .LBB1252_35
	.p2align	6
.LBB1252_33:                            ;   in Loop: Header=BB1252_35 Depth=1
	s_or_b32 exec_lo, exec_lo, s9
.LBB1252_34:                            ;   in Loop: Header=BB1252_35 Depth=1
	s_or_b32 exec_lo, exec_lo, s8
	v_and_b32_e32 v7, 0x3fffffff, v3
	v_cmp_gt_i32_e64 s1, -2.0, v3
	v_add_nc_u32_e32 v13, v7, v13
	s_and_b32 s8, exec_lo, s1
	s_or_b32 s3, s8, s3
	s_andn2_b32 exec_lo, exec_lo, s3
	s_cbranch_execz .LBB1252_40
.LBB1252_35:                            ; =>This Loop Header: Depth=1
                                        ;     Child Loop BB1252_38 Depth 2
	s_or_b32 s1, s1, exec_lo
	s_cmp_eq_u32 s7, 0
	s_cbranch_scc1 .LBB1252_39
; %bb.36:                               ;   in Loop: Header=BB1252_35 Depth=1
	s_add_i32 s7, s7, -1
	s_mov_b32 s8, exec_lo
	v_lshl_or_b32 v3, s7, 8, v0
	v_lshlrev_b64 v[7:8], 2, v[3:4]
	v_add_co_u32 v7, s1, s10, v7
	v_add_co_ci_u32_e64 v8, null, s11, v8, s1
	global_load_dword v3, v[7:8], off glc dlc
	s_waitcnt vmcnt(0)
	v_cmpx_gt_u32_e32 2.0, v3
	s_cbranch_execz .LBB1252_34
; %bb.37:                               ;   in Loop: Header=BB1252_35 Depth=1
	s_mov_b32 s9, 0
.LBB1252_38:                            ;   Parent Loop BB1252_35 Depth=1
                                        ; =>  This Inner Loop Header: Depth=2
	global_load_dword v3, v[7:8], off glc dlc
	s_waitcnt vmcnt(0)
	v_cmp_lt_u32_e64 s1, 0x3fffffff, v3
	s_or_b32 s9, s1, s9
	s_andn2_b32 exec_lo, exec_lo, s9
	s_cbranch_execnz .LBB1252_38
	s_branch .LBB1252_33
.LBB1252_39:                            ;   in Loop: Header=BB1252_35 Depth=1
                                        ; implicit-def: $sgpr7
	s_and_b32 s8, exec_lo, s1
	s_or_b32 s3, s8, s3
	s_andn2_b32 exec_lo, exec_lo, s3
	s_cbranch_execnz .LBB1252_35
.LBB1252_40:
	s_or_b32 exec_lo, exec_lo, s3
	v_add_nc_u32_e32 v3, v13, v10
	v_sub_nc_u32_e32 v4, v13, v9
	v_or_b32_e32 v3, 0x80000000, v3
	global_store_dword v[5:6], v3, off
	global_load_dword v3, v11, s[12:13]
	s_waitcnt vmcnt(0)
	v_add_nc_u32_e32 v3, v4, v3
	ds_write_b32 v11, v3
.LBB1252_41:
	s_or_b32 exec_lo, exec_lo, s2
	s_mov_b32 s2, exec_lo
	s_waitcnt lgkmcnt(0)
	s_waitcnt_vscnt null, 0x0
	s_barrier
	buffer_gl0_inv
	v_cmpx_gt_u32_e64 s22, v0
	s_cbranch_execz .LBB1252_43
; %bb.42:
	ds_read_b32 v5, v11 offset:1024
	v_mov_b32_e32 v4, 0
	s_waitcnt lgkmcnt(0)
	v_lshrrev_b32_e32 v3, s20, v5
	v_xor_b32_e32 v5, 0x80000000, v5
	v_and_b32_e32 v3, s25, v3
	v_lshlrev_b32_e32 v3, 2, v3
	ds_read_b32 v3, v3
	s_waitcnt lgkmcnt(0)
	v_add_nc_u32_e32 v3, v3, v0
	v_lshlrev_b64 v[3:4], 2, v[3:4]
	v_add_co_u32 v3, s1, s18, v3
	v_add_co_ci_u32_e64 v4, null, s19, v4, s1
	global_store_dword v[3:4], v5, off
.LBB1252_43:
	s_or_b32 exec_lo, exec_lo, s2
	v_or_b32_e32 v3, 0x400, v0
	s_mov_b32 s2, exec_lo
	v_cmpx_gt_u32_e64 s22, v3
	s_cbranch_execz .LBB1252_45
; %bb.44:
	ds_read_b32 v5, v11 offset:5120
	s_waitcnt lgkmcnt(0)
	v_lshrrev_b32_e32 v4, s20, v5
	v_xor_b32_e32 v5, 0x80000000, v5
	v_and_b32_e32 v4, s25, v4
	v_lshlrev_b32_e32 v4, 2, v4
	ds_read_b32 v6, v4
	v_mov_b32_e32 v4, 0
	s_waitcnt lgkmcnt(0)
	v_add_nc_u32_e32 v3, v6, v3
	v_lshlrev_b64 v[3:4], 2, v[3:4]
	v_add_co_u32 v3, s1, s18, v3
	v_add_co_ci_u32_e64 v4, null, s19, v4, s1
	global_store_dword v[3:4], v5, off
.LBB1252_45:
	s_or_b32 exec_lo, exec_lo, s2
	v_or_b32_e32 v3, 0x800, v0
	s_mov_b32 s2, exec_lo
	v_cmpx_gt_u32_e64 s22, v3
	s_cbranch_execz .LBB1252_47
; %bb.46:
	ds_read_b32 v5, v11 offset:9216
	s_waitcnt lgkmcnt(0)
	v_lshrrev_b32_e32 v4, s20, v5
	v_xor_b32_e32 v5, 0x80000000, v5
	v_and_b32_e32 v4, s25, v4
	v_lshlrev_b32_e32 v4, 2, v4
	ds_read_b32 v6, v4
	v_mov_b32_e32 v4, 0
	s_waitcnt lgkmcnt(0)
	v_add_nc_u32_e32 v3, v6, v3
	v_lshlrev_b64 v[3:4], 2, v[3:4]
	v_add_co_u32 v3, s1, s18, v3
	v_add_co_ci_u32_e64 v4, null, s19, v4, s1
	global_store_dword v[3:4], v5, off
.LBB1252_47:
	;; [unrolled: 21-line block ×3, first 2 shown]
	s_or_b32 exec_lo, exec_lo, s2
	s_add_i32 s24, s24, -1
	s_cmp_eq_u32 s23, s24
	s_cselect_b32 s1, -1, 0
	s_xor_b32 s2, vcc_lo, -1
	s_and_b32 s2, s2, s1
	s_and_saveexec_b32 s1, s2
	s_cbranch_execz .LBB1252_51
; %bb.50:
	ds_read_b32 v3, v11
	s_waitcnt lgkmcnt(0)
	v_add3_u32 v3, v9, v10, v3
	global_store_dword v11, v3, s[14:15]
.LBB1252_51:
	s_or_b32 exec_lo, exec_lo, s1
	s_mov_b32 s2, 0
.LBB1252_52:
	s_and_b32 vcc_lo, exec_lo, s2
	s_cbranch_vccz .LBB1252_83
; %bb.53:
	s_lshl_b32 s2, s23, 12
	s_mov_b32 s3, 0
	v_lshlrev_b32_e32 v3, 4, v0
	v_lshlrev_b32_e32 v4, 2, v12
	s_lshl_b64 s[2:3], s[2:3], 2
	v_mov_b32_e32 v13, 0
	s_add_u32 s1, s16, s2
	s_addc_u32 s2, s17, s3
	v_and_b32_e32 v3, 0x3e00, v3
	v_add_co_u32 v4, s1, s1, v4
	v_add_co_ci_u32_e64 v5, null, s2, 0, s1
	s_add_u32 s2, s4, 0x58
	v_add_co_u32 v6, vcc_lo, v4, v3
	v_add_co_ci_u32_e64 v7, null, 0, v5, vcc_lo
	s_addc_u32 s3, s5, 0
	global_load_dword v8, v[6:7], off
	s_clause 0x1
	s_load_dword s1, s[4:5], 0x64
	s_load_dword s7, s[4:5], 0x58
	s_waitcnt lgkmcnt(0)
	s_lshr_b32 s4, s1, 16
	s_cmp_lt_u32 s6, s7
	v_mad_u32_u24 v1, v2, s4, v1
	s_cselect_b32 s1, 12, 18
	s_add_u32 s2, s2, s1
	s_addc_u32 s3, s3, 0
	global_load_ushort v10, v13, s[2:3]
	s_clause 0x2
	global_load_dword v5, v[6:7], off offset:128
	global_load_dword v4, v[6:7], off offset:256
	;; [unrolled: 1-line block ×3, first 2 shown]
	s_lshl_b32 s1, -1, s21
	s_not_b32 s8, s1
	s_waitcnt vmcnt(4)
	v_xor_b32_e32 v9, 0x80000000, v8
	v_lshrrev_b32_e32 v6, s20, v9
	v_and_b32_e32 v6, s8, v6
	v_and_b32_e32 v7, 1, v6
	v_lshlrev_b32_e32 v8, 30, v6
	v_lshlrev_b32_e32 v14, 29, v6
	;; [unrolled: 1-line block ×4, first 2 shown]
	v_add_co_u32 v7, s1, v7, -1
	v_cndmask_b32_e64 v16, 0, 1, s1
	v_not_b32_e32 v20, v8
	v_cmp_gt_i32_e64 s1, 0, v8
	v_not_b32_e32 v8, v14
	v_lshlrev_b32_e32 v18, 26, v6
	v_cmp_ne_u32_e32 vcc_lo, 0, v16
	v_ashrrev_i32_e32 v20, 31, v20
	v_lshlrev_b32_e32 v19, 25, v6
	v_ashrrev_i32_e32 v8, 31, v8
	v_lshlrev_b32_e32 v16, 24, v6
	v_xor_b32_e32 v7, vcc_lo, v7
	v_cmp_gt_i32_e32 vcc_lo, 0, v14
	v_not_b32_e32 v14, v15
	v_xor_b32_e32 v20, s1, v20
	v_cmp_gt_i32_e64 s1, 0, v15
	v_and_b32_e32 v7, exec_lo, v7
	v_not_b32_e32 v15, v17
	v_ashrrev_i32_e32 v14, 31, v14
	v_xor_b32_e32 v8, vcc_lo, v8
	v_cmp_gt_i32_e32 vcc_lo, 0, v17
	v_and_b32_e32 v7, v7, v20
	v_not_b32_e32 v17, v18
	v_ashrrev_i32_e32 v15, 31, v15
	v_xor_b32_e32 v14, s1, v14
	v_cmp_gt_i32_e64 s1, 0, v18
	v_and_b32_e32 v7, v7, v8
	v_not_b32_e32 v8, v19
	v_ashrrev_i32_e32 v17, 31, v17
	v_xor_b32_e32 v15, vcc_lo, v15
	v_cmp_gt_i32_e32 vcc_lo, 0, v19
	v_and_b32_e32 v7, v7, v14
	v_not_b32_e32 v14, v16
	v_ashrrev_i32_e32 v8, 31, v8
	v_xor_b32_e32 v17, s1, v17
	v_cmp_gt_i32_e64 s1, 0, v16
	v_and_b32_e32 v7, v7, v15
	v_ashrrev_i32_e32 v15, 31, v14
	v_xor_b32_e32 v8, vcc_lo, v8
	s_waitcnt vmcnt(3)
	v_mad_u64_u32 v[1:2], null, v1, v10, v[0:1]
	v_and_b32_e32 v7, v7, v17
	v_xor_b32_e32 v2, s1, v15
	v_mul_lo_u32 v6, 0x84, v6
	v_mul_u32_u24_e32 v14, 36, v0
	v_and_b32_e32 v7, v7, v8
	v_lshrrev_b32_e32 v1, 3, v1
	ds_write2_b32 v14, v13, v13 offset0:32 offset1:33
	ds_write2_b32 v14, v13, v13 offset0:34 offset1:35
	ds_write2_b32 v14, v13, v13 offset0:36 offset1:37
	v_and_b32_e32 v2, v7, v2
	v_and_b32_e32 v1, 0x1ffffffc, v1
	ds_write2_b32 v14, v13, v13 offset0:38 offset1:39
	ds_write_b32 v14, v13 offset:160
	s_waitcnt vmcnt(0) lgkmcnt(0)
	s_waitcnt_vscnt null, 0x0
	s_barrier
	v_mbcnt_lo_u32_b32 v10, v2, 0
	v_cmp_ne_u32_e64 s1, 0, v2
	v_add_nc_u32_e32 v15, v1, v6
	buffer_gl0_inv
	v_cmp_eq_u32_e32 vcc_lo, 0, v10
	; wave barrier
	s_and_b32 s2, s1, vcc_lo
	s_and_saveexec_b32 s1, s2
; %bb.54:
	v_bcnt_u32_b32 v2, v2, 0
	ds_write_b32 v15, v2 offset:128
; %bb.55:
	s_or_b32 exec_lo, exec_lo, s1
	v_xor_b32_e32 v13, 0x80000000, v5
	; wave barrier
	v_lshrrev_b32_e32 v2, s20, v13
	v_and_b32_e32 v2, s8, v2
	v_and_b32_e32 v6, 1, v2
	v_lshlrev_b32_e32 v7, 30, v2
	v_lshlrev_b32_e32 v8, 29, v2
	;; [unrolled: 1-line block ×4, first 2 shown]
	v_add_co_u32 v6, s1, v6, -1
	v_cndmask_b32_e64 v17, 0, 1, s1
	v_not_b32_e32 v21, v7
	v_cmp_gt_i32_e64 s1, 0, v7
	v_not_b32_e32 v7, v8
	v_lshlrev_b32_e32 v19, 26, v2
	v_cmp_ne_u32_e32 vcc_lo, 0, v17
	v_ashrrev_i32_e32 v17, 31, v21
	v_lshlrev_b32_e32 v20, 25, v2
	v_ashrrev_i32_e32 v7, 31, v7
	v_mul_lo_u32 v5, 0x84, v2
	v_xor_b32_e32 v6, vcc_lo, v6
	v_cmp_gt_i32_e32 vcc_lo, 0, v8
	v_not_b32_e32 v8, v16
	v_xor_b32_e32 v17, s1, v17
	v_cmp_gt_i32_e64 s1, 0, v16
	v_and_b32_e32 v6, exec_lo, v6
	v_not_b32_e32 v16, v18
	v_ashrrev_i32_e32 v8, 31, v8
	v_xor_b32_e32 v7, vcc_lo, v7
	v_cmp_gt_i32_e32 vcc_lo, 0, v18
	v_and_b32_e32 v6, v6, v17
	v_not_b32_e32 v17, v19
	v_ashrrev_i32_e32 v16, 31, v16
	v_xor_b32_e32 v8, s1, v8
	v_lshlrev_b32_e32 v2, 24, v2
	v_and_b32_e32 v6, v6, v7
	v_cmp_gt_i32_e64 s1, 0, v19
	v_not_b32_e32 v7, v20
	v_ashrrev_i32_e32 v17, 31, v17
	v_xor_b32_e32 v16, vcc_lo, v16
	v_and_b32_e32 v6, v6, v8
	v_cmp_gt_i32_e32 vcc_lo, 0, v20
	v_not_b32_e32 v8, v2
	v_ashrrev_i32_e32 v7, 31, v7
	v_xor_b32_e32 v17, s1, v17
	v_and_b32_e32 v6, v6, v16
	v_cmp_gt_i32_e64 s1, 0, v2
	v_ashrrev_i32_e32 v2, 31, v8
	v_xor_b32_e32 v7, vcc_lo, v7
	v_add_nc_u32_e32 v19, v1, v5
	v_and_b32_e32 v6, v6, v17
	v_xor_b32_e32 v2, s1, v2
	ds_read_b32 v16, v19 offset:128
	v_and_b32_e32 v5, v6, v7
	; wave barrier
	v_and_b32_e32 v2, v5, v2
	v_mbcnt_lo_u32_b32 v18, v2, 0
	v_cmp_ne_u32_e64 s1, 0, v2
	v_cmp_eq_u32_e32 vcc_lo, 0, v18
	s_and_b32 s2, s1, vcc_lo
	s_and_saveexec_b32 s1, s2
	s_cbranch_execz .LBB1252_57
; %bb.56:
	s_waitcnt lgkmcnt(0)
	v_bcnt_u32_b32 v2, v2, v16
	ds_write_b32 v19, v2 offset:128
.LBB1252_57:
	s_or_b32 exec_lo, exec_lo, s1
	v_xor_b32_e32 v17, 0x80000000, v4
	; wave barrier
	v_lshrrev_b32_e32 v2, s20, v17
	v_and_b32_e32 v2, s8, v2
	v_and_b32_e32 v5, 1, v2
	v_lshlrev_b32_e32 v6, 30, v2
	v_lshlrev_b32_e32 v7, 29, v2
	;; [unrolled: 1-line block ×4, first 2 shown]
	v_add_co_u32 v5, s1, v5, -1
	v_cndmask_b32_e64 v20, 0, 1, s1
	v_not_b32_e32 v24, v6
	v_cmp_gt_i32_e64 s1, 0, v6
	v_not_b32_e32 v6, v7
	v_lshlrev_b32_e32 v22, 26, v2
	v_cmp_ne_u32_e32 vcc_lo, 0, v20
	v_ashrrev_i32_e32 v20, 31, v24
	v_lshlrev_b32_e32 v23, 25, v2
	v_ashrrev_i32_e32 v6, 31, v6
	v_mul_lo_u32 v4, 0x84, v2
	v_xor_b32_e32 v5, vcc_lo, v5
	v_cmp_gt_i32_e32 vcc_lo, 0, v7
	v_not_b32_e32 v7, v8
	v_xor_b32_e32 v20, s1, v20
	v_cmp_gt_i32_e64 s1, 0, v8
	v_and_b32_e32 v5, exec_lo, v5
	v_not_b32_e32 v8, v21
	v_ashrrev_i32_e32 v7, 31, v7
	v_xor_b32_e32 v6, vcc_lo, v6
	v_cmp_gt_i32_e32 vcc_lo, 0, v21
	v_and_b32_e32 v5, v5, v20
	v_not_b32_e32 v20, v22
	v_ashrrev_i32_e32 v8, 31, v8
	v_xor_b32_e32 v7, s1, v7
	v_lshlrev_b32_e32 v2, 24, v2
	v_and_b32_e32 v5, v5, v6
	v_cmp_gt_i32_e64 s1, 0, v22
	v_not_b32_e32 v6, v23
	v_ashrrev_i32_e32 v20, 31, v20
	v_xor_b32_e32 v8, vcc_lo, v8
	v_and_b32_e32 v5, v5, v7
	v_cmp_gt_i32_e32 vcc_lo, 0, v23
	v_not_b32_e32 v7, v2
	v_ashrrev_i32_e32 v6, 31, v6
	v_xor_b32_e32 v20, s1, v20
	v_and_b32_e32 v5, v5, v8
	v_cmp_gt_i32_e64 s1, 0, v2
	v_ashrrev_i32_e32 v2, 31, v7
	v_xor_b32_e32 v6, vcc_lo, v6
	v_add_nc_u32_e32 v23, v1, v4
	v_and_b32_e32 v5, v5, v20
	v_xor_b32_e32 v2, s1, v2
	ds_read_b32 v20, v23 offset:128
	v_and_b32_e32 v4, v5, v6
	; wave barrier
	v_and_b32_e32 v2, v4, v2
	v_mbcnt_lo_u32_b32 v22, v2, 0
	v_cmp_ne_u32_e64 s1, 0, v2
	v_cmp_eq_u32_e32 vcc_lo, 0, v22
	s_and_b32 s2, s1, vcc_lo
	s_and_saveexec_b32 s1, s2
	s_cbranch_execz .LBB1252_59
; %bb.58:
	s_waitcnt lgkmcnt(0)
	v_bcnt_u32_b32 v2, v2, v20
	ds_write_b32 v23, v2 offset:128
.LBB1252_59:
	s_or_b32 exec_lo, exec_lo, s1
	v_xor_b32_e32 v21, 0x80000000, v3
	; wave barrier
	v_lshrrev_b32_e32 v2, s20, v21
	v_and_b32_e32 v2, s8, v2
	v_and_b32_e32 v4, 1, v2
	v_lshlrev_b32_e32 v5, 30, v2
	v_lshlrev_b32_e32 v6, 29, v2
	;; [unrolled: 1-line block ×4, first 2 shown]
	v_add_co_u32 v4, s1, v4, -1
	v_cndmask_b32_e64 v8, 0, 1, s1
	v_not_b32_e32 v27, v5
	v_cmp_gt_i32_e64 s1, 0, v5
	v_not_b32_e32 v5, v6
	v_lshlrev_b32_e32 v25, 26, v2
	v_cmp_ne_u32_e32 vcc_lo, 0, v8
	v_ashrrev_i32_e32 v8, 31, v27
	v_lshlrev_b32_e32 v26, 25, v2
	v_ashrrev_i32_e32 v5, 31, v5
	v_mul_lo_u32 v3, 0x84, v2
	v_xor_b32_e32 v4, vcc_lo, v4
	v_cmp_gt_i32_e32 vcc_lo, 0, v6
	v_not_b32_e32 v6, v7
	v_xor_b32_e32 v8, s1, v8
	v_cmp_gt_i32_e64 s1, 0, v7
	v_and_b32_e32 v4, exec_lo, v4
	v_not_b32_e32 v7, v24
	v_ashrrev_i32_e32 v6, 31, v6
	v_xor_b32_e32 v5, vcc_lo, v5
	v_cmp_gt_i32_e32 vcc_lo, 0, v24
	v_and_b32_e32 v4, v4, v8
	v_not_b32_e32 v8, v25
	v_ashrrev_i32_e32 v7, 31, v7
	v_xor_b32_e32 v6, s1, v6
	v_lshlrev_b32_e32 v2, 24, v2
	v_and_b32_e32 v4, v4, v5
	v_cmp_gt_i32_e64 s1, 0, v25
	v_not_b32_e32 v5, v26
	v_ashrrev_i32_e32 v8, 31, v8
	v_xor_b32_e32 v7, vcc_lo, v7
	v_and_b32_e32 v4, v4, v6
	v_cmp_gt_i32_e32 vcc_lo, 0, v26
	v_not_b32_e32 v6, v2
	v_ashrrev_i32_e32 v5, 31, v5
	v_xor_b32_e32 v8, s1, v8
	v_and_b32_e32 v4, v4, v7
	v_cmp_gt_i32_e64 s1, 0, v2
	v_ashrrev_i32_e32 v2, 31, v6
	v_xor_b32_e32 v5, vcc_lo, v5
	v_add_nc_u32_e32 v26, v1, v3
	v_and_b32_e32 v4, v4, v8
	v_xor_b32_e32 v1, s1, v2
	ds_read_b32 v24, v26 offset:128
	v_and_b32_e32 v2, v4, v5
	; wave barrier
	v_and_b32_e32 v1, v2, v1
	v_mbcnt_lo_u32_b32 v25, v1, 0
	v_cmp_ne_u32_e64 s1, 0, v1
	v_cmp_eq_u32_e32 vcc_lo, 0, v25
	s_and_b32 s2, s1, vcc_lo
	s_and_saveexec_b32 s1, s2
	s_cbranch_execz .LBB1252_61
; %bb.60:
	s_waitcnt lgkmcnt(0)
	v_bcnt_u32_b32 v1, v1, v24
	ds_write_b32 v26, v1 offset:128
.LBB1252_61:
	s_or_b32 exec_lo, exec_lo, s1
	; wave barrier
	s_waitcnt lgkmcnt(0)
	s_barrier
	buffer_gl0_inv
	ds_read2_b32 v[7:8], v14 offset0:32 offset1:33
	ds_read2_b32 v[5:6], v14 offset0:34 offset1:35
	;; [unrolled: 1-line block ×4, first 2 shown]
	ds_read_b32 v27, v14 offset:160
	v_and_b32_e32 v30, 16, v12
	v_and_b32_e32 v31, 31, v0
	s_mov_b32 s6, exec_lo
	v_cmp_eq_u32_e64 s4, 0, v30
	s_waitcnt lgkmcnt(3)
	v_add3_u32 v28, v8, v7, v5
	s_waitcnt lgkmcnt(2)
	v_add3_u32 v28, v28, v6, v3
	;; [unrolled: 2-line block ×4, first 2 shown]
	v_and_b32_e32 v28, 15, v12
	v_mov_b32_dpp v29, v27 row_shr:1 row_mask:0xf bank_mask:0xf
	v_cmp_eq_u32_e32 vcc_lo, 0, v28
	v_cmp_lt_u32_e64 s1, 1, v28
	v_cmp_lt_u32_e64 s2, 3, v28
	;; [unrolled: 1-line block ×3, first 2 shown]
	v_cndmask_b32_e64 v29, v29, 0, vcc_lo
	v_add_nc_u32_e32 v27, v29, v27
	v_mov_b32_dpp v29, v27 row_shr:2 row_mask:0xf bank_mask:0xf
	v_cndmask_b32_e64 v29, 0, v29, s1
	v_add_nc_u32_e32 v27, v27, v29
	v_mov_b32_dpp v29, v27 row_shr:4 row_mask:0xf bank_mask:0xf
	v_cndmask_b32_e64 v29, 0, v29, s2
	;; [unrolled: 3-line block ×3, first 2 shown]
	v_bfe_i32 v29, v12, 4, 1
	v_add_nc_u32_e32 v27, v27, v28
	ds_swizzle_b32 v28, v27 offset:swizzle(BROADCAST,32,15)
	s_waitcnt lgkmcnt(0)
	v_and_b32_e32 v29, v29, v28
	v_lshrrev_b32_e32 v28, 5, v0
	v_add_nc_u32_e32 v27, v27, v29
	v_cmpx_eq_u32_e32 31, v31
; %bb.62:
	v_lshlrev_b32_e32 v29, 2, v28
	ds_write_b32 v29, v27
; %bb.63:
	s_or_b32 exec_lo, exec_lo, s6
	v_cmp_lt_u32_e64 s5, 31, v0
	s_mov_b32 s9, exec_lo
	s_waitcnt lgkmcnt(0)
	s_barrier
	buffer_gl0_inv
	v_cmpx_gt_u32_e32 32, v0
	s_cbranch_execz .LBB1252_65
; %bb.64:
	ds_read_b32 v29, v11
	s_waitcnt lgkmcnt(0)
	v_mov_b32_dpp v30, v29 row_shr:1 row_mask:0xf bank_mask:0xf
	v_cndmask_b32_e64 v30, v30, 0, vcc_lo
	v_add_nc_u32_e32 v29, v30, v29
	v_mov_b32_dpp v30, v29 row_shr:2 row_mask:0xf bank_mask:0xf
	v_cndmask_b32_e64 v30, 0, v30, s1
	v_add_nc_u32_e32 v29, v29, v30
	v_mov_b32_dpp v30, v29 row_shr:4 row_mask:0xf bank_mask:0xf
	v_cndmask_b32_e64 v30, 0, v30, s2
	;; [unrolled: 3-line block ×3, first 2 shown]
	v_add_nc_u32_e32 v29, v29, v30
	ds_swizzle_b32 v30, v29 offset:swizzle(BROADCAST,32,15)
	s_waitcnt lgkmcnt(0)
	v_cndmask_b32_e64 v30, v30, 0, s4
	v_add_nc_u32_e32 v29, v29, v30
	ds_write_b32 v11, v29
.LBB1252_65:
	s_or_b32 exec_lo, exec_lo, s9
	v_mov_b32_e32 v29, 0
	s_waitcnt lgkmcnt(0)
	s_barrier
	buffer_gl0_inv
	s_and_saveexec_b32 s1, s5
; %bb.66:
	v_lshl_add_u32 v28, v28, 2, -4
	ds_read_b32 v29, v28
; %bb.67:
	s_or_b32 exec_lo, exec_lo, s1
	v_sub_co_u32 v28, vcc_lo, v12, 1
	s_waitcnt lgkmcnt(0)
	v_add_nc_u32_e32 v27, v29, v27
	v_cmp_gt_i32_e64 s1, 0, v28
	v_cndmask_b32_e64 v12, v28, v12, s1
	v_lshlrev_b32_e32 v12, 2, v12
	ds_bpermute_b32 v12, v12, v27
	s_waitcnt lgkmcnt(0)
	v_cndmask_b32_e32 v12, v12, v29, vcc_lo
	v_cmp_lt_u32_e32 vcc_lo, 0xff, v0
	v_cndmask_b32_e64 v12, v12, 0, s0
	v_cmp_gt_u32_e64 s0, 0x100, v0
	v_add_nc_u32_e32 v7, v12, v7
	v_add_nc_u32_e32 v8, v7, v8
	;; [unrolled: 1-line block ×8, first 2 shown]
	ds_write2_b32 v14, v12, v7 offset0:32 offset1:33
	ds_write2_b32 v14, v8, v5 offset0:34 offset1:35
	;; [unrolled: 1-line block ×4, first 2 shown]
	ds_write_b32 v14, v2 offset:160
	s_waitcnt lgkmcnt(0)
	s_barrier
	buffer_gl0_inv
	ds_read_b32 v1, v15 offset:128
	ds_read_b32 v4, v19 offset:128
	;; [unrolled: 1-line block ×4, first 2 shown]
                                        ; implicit-def: $vgpr7
                                        ; implicit-def: $vgpr8
	s_and_saveexec_b32 s2, s0
	s_cbranch_execz .LBB1252_71
; %bb.68:
	v_mul_u32_u24_e32 v5, 0x84, v0
	v_add_nc_u32_e32 v6, 1, v0
	s_mov_b32 s3, exec_lo
	ds_read_b32 v7, v5 offset:128
	v_mov_b32_e32 v5, 0x1000
	v_cmpx_ne_u32_e32 0x100, v6
; %bb.69:
	v_mul_u32_u24_e32 v5, 0x84, v6
	ds_read_b32 v5, v5 offset:128
; %bb.70:
	s_or_b32 exec_lo, exec_lo, s3
	s_waitcnt lgkmcnt(0)
	v_sub_nc_u32_e32 v8, v5, v7
.LBB1252_71:
	s_or_b32 exec_lo, exec_lo, s2
	v_lshlrev_b32_e32 v5, 2, v10
	v_lshlrev_b32_e32 v10, 2, v16
	;; [unrolled: 1-line block ×4, first 2 shown]
	s_waitcnt lgkmcnt(0)
	v_lshlrev_b32_e32 v2, 2, v2
	v_lshlrev_b32_e32 v6, 2, v18
	v_lshlrev_b32_e32 v4, 2, v4
	v_lshlrev_b32_e32 v12, 2, v22
	v_lshlrev_b32_e32 v14, 2, v20
	v_lshlrev_b32_e32 v3, 2, v3
	v_lshl_add_u32 v1, v1, 2, v5
	v_add3_u32 v5, v15, v16, v2
	v_mov_b32_e32 v2, 0
	v_add3_u32 v4, v6, v10, v4
	v_add3_u32 v3, v12, v14, v3
	s_barrier
	buffer_gl0_inv
	ds_write_b32 v1, v9 offset:1024
	ds_write_b32 v4, v13 offset:1024
	;; [unrolled: 1-line block ×4, first 2 shown]
	s_and_saveexec_b32 s1, s0
	s_cbranch_execz .LBB1252_81
; %bb.72:
	v_lshl_add_u32 v1, s23, 8, v0
	v_mov_b32_e32 v9, 0
	s_mov_b32 s2, 0
	s_mov_b32 s3, s23
	v_lshlrev_b64 v[3:4], 2, v[1:2]
	v_or_b32_e32 v1, 2.0, v8
	v_add_co_u32 v3, s0, s10, v3
	v_add_co_ci_u32_e64 v4, null, s11, v4, s0
                                        ; implicit-def: $sgpr0
	global_store_dword v[3:4], v1, off
	s_branch .LBB1252_75
	.p2align	6
.LBB1252_73:                            ;   in Loop: Header=BB1252_75 Depth=1
	s_or_b32 exec_lo, exec_lo, s5
.LBB1252_74:                            ;   in Loop: Header=BB1252_75 Depth=1
	s_or_b32 exec_lo, exec_lo, s4
	v_and_b32_e32 v5, 0x3fffffff, v1
	v_cmp_gt_i32_e64 s0, -2.0, v1
	v_add_nc_u32_e32 v9, v5, v9
	s_and_b32 s4, exec_lo, s0
	s_or_b32 s2, s4, s2
	s_andn2_b32 exec_lo, exec_lo, s2
	s_cbranch_execz .LBB1252_80
.LBB1252_75:                            ; =>This Loop Header: Depth=1
                                        ;     Child Loop BB1252_78 Depth 2
	s_or_b32 s0, s0, exec_lo
	s_cmp_eq_u32 s3, 0
	s_cbranch_scc1 .LBB1252_79
; %bb.76:                               ;   in Loop: Header=BB1252_75 Depth=1
	s_add_i32 s3, s3, -1
	s_mov_b32 s4, exec_lo
	v_lshl_or_b32 v1, s3, 8, v0
	v_lshlrev_b64 v[5:6], 2, v[1:2]
	v_add_co_u32 v5, s0, s10, v5
	v_add_co_ci_u32_e64 v6, null, s11, v6, s0
	global_load_dword v1, v[5:6], off glc dlc
	s_waitcnt vmcnt(0)
	v_cmpx_gt_u32_e32 2.0, v1
	s_cbranch_execz .LBB1252_74
; %bb.77:                               ;   in Loop: Header=BB1252_75 Depth=1
	s_mov_b32 s5, 0
.LBB1252_78:                            ;   Parent Loop BB1252_75 Depth=1
                                        ; =>  This Inner Loop Header: Depth=2
	global_load_dword v1, v[5:6], off glc dlc
	s_waitcnt vmcnt(0)
	v_cmp_lt_u32_e64 s0, 0x3fffffff, v1
	s_or_b32 s5, s0, s5
	s_andn2_b32 exec_lo, exec_lo, s5
	s_cbranch_execnz .LBB1252_78
	s_branch .LBB1252_73
.LBB1252_79:                            ;   in Loop: Header=BB1252_75 Depth=1
                                        ; implicit-def: $sgpr3
	s_and_b32 s4, exec_lo, s0
	s_or_b32 s2, s4, s2
	s_andn2_b32 exec_lo, exec_lo, s2
	s_cbranch_execnz .LBB1252_75
.LBB1252_80:
	s_or_b32 exec_lo, exec_lo, s2
	v_add_nc_u32_e32 v1, v9, v8
	v_sub_nc_u32_e32 v2, v9, v7
	v_or_b32_e32 v1, 0x80000000, v1
	global_store_dword v[3:4], v1, off
	global_load_dword v1, v11, s[12:13]
	s_waitcnt vmcnt(0)
	v_add_nc_u32_e32 v1, v2, v1
	ds_write_b32 v11, v1
.LBB1252_81:
	s_or_b32 exec_lo, exec_lo, s1
	s_waitcnt lgkmcnt(0)
	s_waitcnt_vscnt null, 0x0
	s_barrier
	buffer_gl0_inv
	ds_read2st64_b32 v[1:2], v11 offset0:4 offset1:20
	ds_read2st64_b32 v[3:4], v11 offset0:36 offset1:52
	s_add_i32 s7, s7, -1
	s_cmp_eq_u32 s23, s7
	s_waitcnt lgkmcnt(1)
	v_lshrrev_b32_e32 v5, s20, v1
	v_lshrrev_b32_e32 v6, s20, v2
	s_waitcnt lgkmcnt(0)
	v_lshrrev_b32_e32 v9, s20, v3
	v_lshrrev_b32_e32 v10, s20, v4
	v_xor_b32_e32 v15, 0x80000000, v1
	v_and_b32_e32 v5, s8, v5
	v_and_b32_e32 v6, s8, v6
	;; [unrolled: 1-line block ×3, first 2 shown]
	v_xor_b32_e32 v16, 0x80000000, v2
	v_xor_b32_e32 v4, 0x80000000, v4
	v_lshlrev_b32_e32 v5, 2, v5
	v_lshlrev_b32_e32 v6, 2, v6
	ds_read_b32 v5, v5
	ds_read_b32 v12, v6
	v_lshlrev_b32_e32 v6, 2, v9
	v_and_b32_e32 v9, s8, v10
	ds_read_b32 v13, v6
	v_lshlrev_b32_e32 v6, 2, v9
	ds_read_b32 v14, v6
	v_mov_b32_e32 v6, 0
	s_waitcnt lgkmcnt(3)
	v_add_nc_u32_e32 v5, v5, v0
	v_lshlrev_b64 v[9:10], 2, v[5:6]
	s_waitcnt lgkmcnt(2)
	v_add3_u32 v5, v12, v0, 0x400
	v_lshlrev_b64 v[1:2], 2, v[5:6]
	s_waitcnt lgkmcnt(1)
	v_add3_u32 v5, v13, v0, 0x800
	v_add_co_u32 v9, s0, s18, v9
	v_add_co_ci_u32_e64 v10, null, s19, v10, s0
	v_lshlrev_b64 v[12:13], 2, v[5:6]
	s_waitcnt lgkmcnt(0)
	v_add3_u32 v5, v14, v0, 0xc00
	v_add_co_u32 v0, s0, s18, v1
	v_add_co_ci_u32_e64 v1, null, s19, v2, s0
	v_xor_b32_e32 v14, 0x80000000, v3
	v_lshlrev_b64 v[2:3], 2, v[5:6]
	global_store_dword v[9:10], v15, off
	global_store_dword v[0:1], v16, off
	v_add_co_u32 v0, s0, s18, v12
	v_add_co_ci_u32_e64 v1, null, s19, v13, s0
	v_add_co_u32 v2, s0, s18, v2
	v_add_co_ci_u32_e64 v3, null, s19, v3, s0
	s_cselect_b32 s0, -1, 0
	s_xor_b32 s1, vcc_lo, -1
	global_store_dword v[0:1], v14, off
	s_and_b32 s0, s1, s0
	global_store_dword v[2:3], v4, off
	s_and_saveexec_b32 s1, s0
	s_cbranch_execz .LBB1252_83
; %bb.82:
	ds_read_b32 v0, v11
	s_waitcnt lgkmcnt(0)
	v_add3_u32 v0, v7, v8, v0
	global_store_dword v11, v0, s[14:15]
.LBB1252_83:
	s_endpgm
	.section	.rodata,"a",@progbits
	.p2align	6, 0x0
	.amdhsa_kernel _ZN7rocprim17ROCPRIM_400000_NS6detail17trampoline_kernelINS0_14default_configENS1_35radix_sort_onesweep_config_selectorIiNS0_10empty_typeEEEZZNS1_29radix_sort_onesweep_iterationIS3_Lb0EN6thrust23THRUST_200600_302600_NS10device_ptrIiEESB_PS5_SC_jNS0_19identity_decomposerENS1_16block_id_wrapperIjLb1EEEEE10hipError_tT1_PNSt15iterator_traitsISH_E10value_typeET2_T3_PNSI_ISN_E10value_typeET4_T5_PSS_ST_PNS1_23onesweep_lookback_stateEbbT6_jjT7_P12ihipStream_tbENKUlT_T0_SH_SM_E_clISB_SB_SC_SC_EEDaS10_S11_SH_SM_EUlS10_E_NS1_11comp_targetILNS1_3genE8ELNS1_11target_archE1030ELNS1_3gpuE2ELNS1_3repE0EEENS1_47radix_sort_onesweep_sort_config_static_selectorELNS0_4arch9wavefront6targetE0EEEvSH_
		.amdhsa_group_segment_fixed_size 37000
		.amdhsa_private_segment_fixed_size 0
		.amdhsa_kernarg_size 344
		.amdhsa_user_sgpr_count 6
		.amdhsa_user_sgpr_private_segment_buffer 1
		.amdhsa_user_sgpr_dispatch_ptr 0
		.amdhsa_user_sgpr_queue_ptr 0
		.amdhsa_user_sgpr_kernarg_segment_ptr 1
		.amdhsa_user_sgpr_dispatch_id 0
		.amdhsa_user_sgpr_flat_scratch_init 0
		.amdhsa_user_sgpr_private_segment_size 0
		.amdhsa_wavefront_size32 1
		.amdhsa_uses_dynamic_stack 0
		.amdhsa_system_sgpr_private_segment_wavefront_offset 0
		.amdhsa_system_sgpr_workgroup_id_x 1
		.amdhsa_system_sgpr_workgroup_id_y 0
		.amdhsa_system_sgpr_workgroup_id_z 0
		.amdhsa_system_sgpr_workgroup_info 0
		.amdhsa_system_vgpr_workitem_id 2
		.amdhsa_next_free_vgpr 34
		.amdhsa_next_free_sgpr 27
		.amdhsa_reserve_vcc 1
		.amdhsa_reserve_flat_scratch 0
		.amdhsa_float_round_mode_32 0
		.amdhsa_float_round_mode_16_64 0
		.amdhsa_float_denorm_mode_32 3
		.amdhsa_float_denorm_mode_16_64 3
		.amdhsa_dx10_clamp 1
		.amdhsa_ieee_mode 1
		.amdhsa_fp16_overflow 0
		.amdhsa_workgroup_processor_mode 1
		.amdhsa_memory_ordered 1
		.amdhsa_forward_progress 1
		.amdhsa_shared_vgpr_count 0
		.amdhsa_exception_fp_ieee_invalid_op 0
		.amdhsa_exception_fp_denorm_src 0
		.amdhsa_exception_fp_ieee_div_zero 0
		.amdhsa_exception_fp_ieee_overflow 0
		.amdhsa_exception_fp_ieee_underflow 0
		.amdhsa_exception_fp_ieee_inexact 0
		.amdhsa_exception_int_div_zero 0
	.end_amdhsa_kernel
	.section	.text._ZN7rocprim17ROCPRIM_400000_NS6detail17trampoline_kernelINS0_14default_configENS1_35radix_sort_onesweep_config_selectorIiNS0_10empty_typeEEEZZNS1_29radix_sort_onesweep_iterationIS3_Lb0EN6thrust23THRUST_200600_302600_NS10device_ptrIiEESB_PS5_SC_jNS0_19identity_decomposerENS1_16block_id_wrapperIjLb1EEEEE10hipError_tT1_PNSt15iterator_traitsISH_E10value_typeET2_T3_PNSI_ISN_E10value_typeET4_T5_PSS_ST_PNS1_23onesweep_lookback_stateEbbT6_jjT7_P12ihipStream_tbENKUlT_T0_SH_SM_E_clISB_SB_SC_SC_EEDaS10_S11_SH_SM_EUlS10_E_NS1_11comp_targetILNS1_3genE8ELNS1_11target_archE1030ELNS1_3gpuE2ELNS1_3repE0EEENS1_47radix_sort_onesweep_sort_config_static_selectorELNS0_4arch9wavefront6targetE0EEEvSH_,"axG",@progbits,_ZN7rocprim17ROCPRIM_400000_NS6detail17trampoline_kernelINS0_14default_configENS1_35radix_sort_onesweep_config_selectorIiNS0_10empty_typeEEEZZNS1_29radix_sort_onesweep_iterationIS3_Lb0EN6thrust23THRUST_200600_302600_NS10device_ptrIiEESB_PS5_SC_jNS0_19identity_decomposerENS1_16block_id_wrapperIjLb1EEEEE10hipError_tT1_PNSt15iterator_traitsISH_E10value_typeET2_T3_PNSI_ISN_E10value_typeET4_T5_PSS_ST_PNS1_23onesweep_lookback_stateEbbT6_jjT7_P12ihipStream_tbENKUlT_T0_SH_SM_E_clISB_SB_SC_SC_EEDaS10_S11_SH_SM_EUlS10_E_NS1_11comp_targetILNS1_3genE8ELNS1_11target_archE1030ELNS1_3gpuE2ELNS1_3repE0EEENS1_47radix_sort_onesweep_sort_config_static_selectorELNS0_4arch9wavefront6targetE0EEEvSH_,comdat
.Lfunc_end1252:
	.size	_ZN7rocprim17ROCPRIM_400000_NS6detail17trampoline_kernelINS0_14default_configENS1_35radix_sort_onesweep_config_selectorIiNS0_10empty_typeEEEZZNS1_29radix_sort_onesweep_iterationIS3_Lb0EN6thrust23THRUST_200600_302600_NS10device_ptrIiEESB_PS5_SC_jNS0_19identity_decomposerENS1_16block_id_wrapperIjLb1EEEEE10hipError_tT1_PNSt15iterator_traitsISH_E10value_typeET2_T3_PNSI_ISN_E10value_typeET4_T5_PSS_ST_PNS1_23onesweep_lookback_stateEbbT6_jjT7_P12ihipStream_tbENKUlT_T0_SH_SM_E_clISB_SB_SC_SC_EEDaS10_S11_SH_SM_EUlS10_E_NS1_11comp_targetILNS1_3genE8ELNS1_11target_archE1030ELNS1_3gpuE2ELNS1_3repE0EEENS1_47radix_sort_onesweep_sort_config_static_selectorELNS0_4arch9wavefront6targetE0EEEvSH_, .Lfunc_end1252-_ZN7rocprim17ROCPRIM_400000_NS6detail17trampoline_kernelINS0_14default_configENS1_35radix_sort_onesweep_config_selectorIiNS0_10empty_typeEEEZZNS1_29radix_sort_onesweep_iterationIS3_Lb0EN6thrust23THRUST_200600_302600_NS10device_ptrIiEESB_PS5_SC_jNS0_19identity_decomposerENS1_16block_id_wrapperIjLb1EEEEE10hipError_tT1_PNSt15iterator_traitsISH_E10value_typeET2_T3_PNSI_ISN_E10value_typeET4_T5_PSS_ST_PNS1_23onesweep_lookback_stateEbbT6_jjT7_P12ihipStream_tbENKUlT_T0_SH_SM_E_clISB_SB_SC_SC_EEDaS10_S11_SH_SM_EUlS10_E_NS1_11comp_targetILNS1_3genE8ELNS1_11target_archE1030ELNS1_3gpuE2ELNS1_3repE0EEENS1_47radix_sort_onesweep_sort_config_static_selectorELNS0_4arch9wavefront6targetE0EEEvSH_
                                        ; -- End function
	.set _ZN7rocprim17ROCPRIM_400000_NS6detail17trampoline_kernelINS0_14default_configENS1_35radix_sort_onesweep_config_selectorIiNS0_10empty_typeEEEZZNS1_29radix_sort_onesweep_iterationIS3_Lb0EN6thrust23THRUST_200600_302600_NS10device_ptrIiEESB_PS5_SC_jNS0_19identity_decomposerENS1_16block_id_wrapperIjLb1EEEEE10hipError_tT1_PNSt15iterator_traitsISH_E10value_typeET2_T3_PNSI_ISN_E10value_typeET4_T5_PSS_ST_PNS1_23onesweep_lookback_stateEbbT6_jjT7_P12ihipStream_tbENKUlT_T0_SH_SM_E_clISB_SB_SC_SC_EEDaS10_S11_SH_SM_EUlS10_E_NS1_11comp_targetILNS1_3genE8ELNS1_11target_archE1030ELNS1_3gpuE2ELNS1_3repE0EEENS1_47radix_sort_onesweep_sort_config_static_selectorELNS0_4arch9wavefront6targetE0EEEvSH_.num_vgpr, 34
	.set _ZN7rocprim17ROCPRIM_400000_NS6detail17trampoline_kernelINS0_14default_configENS1_35radix_sort_onesweep_config_selectorIiNS0_10empty_typeEEEZZNS1_29radix_sort_onesweep_iterationIS3_Lb0EN6thrust23THRUST_200600_302600_NS10device_ptrIiEESB_PS5_SC_jNS0_19identity_decomposerENS1_16block_id_wrapperIjLb1EEEEE10hipError_tT1_PNSt15iterator_traitsISH_E10value_typeET2_T3_PNSI_ISN_E10value_typeET4_T5_PSS_ST_PNS1_23onesweep_lookback_stateEbbT6_jjT7_P12ihipStream_tbENKUlT_T0_SH_SM_E_clISB_SB_SC_SC_EEDaS10_S11_SH_SM_EUlS10_E_NS1_11comp_targetILNS1_3genE8ELNS1_11target_archE1030ELNS1_3gpuE2ELNS1_3repE0EEENS1_47radix_sort_onesweep_sort_config_static_selectorELNS0_4arch9wavefront6targetE0EEEvSH_.num_agpr, 0
	.set _ZN7rocprim17ROCPRIM_400000_NS6detail17trampoline_kernelINS0_14default_configENS1_35radix_sort_onesweep_config_selectorIiNS0_10empty_typeEEEZZNS1_29radix_sort_onesweep_iterationIS3_Lb0EN6thrust23THRUST_200600_302600_NS10device_ptrIiEESB_PS5_SC_jNS0_19identity_decomposerENS1_16block_id_wrapperIjLb1EEEEE10hipError_tT1_PNSt15iterator_traitsISH_E10value_typeET2_T3_PNSI_ISN_E10value_typeET4_T5_PSS_ST_PNS1_23onesweep_lookback_stateEbbT6_jjT7_P12ihipStream_tbENKUlT_T0_SH_SM_E_clISB_SB_SC_SC_EEDaS10_S11_SH_SM_EUlS10_E_NS1_11comp_targetILNS1_3genE8ELNS1_11target_archE1030ELNS1_3gpuE2ELNS1_3repE0EEENS1_47radix_sort_onesweep_sort_config_static_selectorELNS0_4arch9wavefront6targetE0EEEvSH_.numbered_sgpr, 27
	.set _ZN7rocprim17ROCPRIM_400000_NS6detail17trampoline_kernelINS0_14default_configENS1_35radix_sort_onesweep_config_selectorIiNS0_10empty_typeEEEZZNS1_29radix_sort_onesweep_iterationIS3_Lb0EN6thrust23THRUST_200600_302600_NS10device_ptrIiEESB_PS5_SC_jNS0_19identity_decomposerENS1_16block_id_wrapperIjLb1EEEEE10hipError_tT1_PNSt15iterator_traitsISH_E10value_typeET2_T3_PNSI_ISN_E10value_typeET4_T5_PSS_ST_PNS1_23onesweep_lookback_stateEbbT6_jjT7_P12ihipStream_tbENKUlT_T0_SH_SM_E_clISB_SB_SC_SC_EEDaS10_S11_SH_SM_EUlS10_E_NS1_11comp_targetILNS1_3genE8ELNS1_11target_archE1030ELNS1_3gpuE2ELNS1_3repE0EEENS1_47radix_sort_onesweep_sort_config_static_selectorELNS0_4arch9wavefront6targetE0EEEvSH_.num_named_barrier, 0
	.set _ZN7rocprim17ROCPRIM_400000_NS6detail17trampoline_kernelINS0_14default_configENS1_35radix_sort_onesweep_config_selectorIiNS0_10empty_typeEEEZZNS1_29radix_sort_onesweep_iterationIS3_Lb0EN6thrust23THRUST_200600_302600_NS10device_ptrIiEESB_PS5_SC_jNS0_19identity_decomposerENS1_16block_id_wrapperIjLb1EEEEE10hipError_tT1_PNSt15iterator_traitsISH_E10value_typeET2_T3_PNSI_ISN_E10value_typeET4_T5_PSS_ST_PNS1_23onesweep_lookback_stateEbbT6_jjT7_P12ihipStream_tbENKUlT_T0_SH_SM_E_clISB_SB_SC_SC_EEDaS10_S11_SH_SM_EUlS10_E_NS1_11comp_targetILNS1_3genE8ELNS1_11target_archE1030ELNS1_3gpuE2ELNS1_3repE0EEENS1_47radix_sort_onesweep_sort_config_static_selectorELNS0_4arch9wavefront6targetE0EEEvSH_.private_seg_size, 0
	.set _ZN7rocprim17ROCPRIM_400000_NS6detail17trampoline_kernelINS0_14default_configENS1_35radix_sort_onesweep_config_selectorIiNS0_10empty_typeEEEZZNS1_29radix_sort_onesweep_iterationIS3_Lb0EN6thrust23THRUST_200600_302600_NS10device_ptrIiEESB_PS5_SC_jNS0_19identity_decomposerENS1_16block_id_wrapperIjLb1EEEEE10hipError_tT1_PNSt15iterator_traitsISH_E10value_typeET2_T3_PNSI_ISN_E10value_typeET4_T5_PSS_ST_PNS1_23onesweep_lookback_stateEbbT6_jjT7_P12ihipStream_tbENKUlT_T0_SH_SM_E_clISB_SB_SC_SC_EEDaS10_S11_SH_SM_EUlS10_E_NS1_11comp_targetILNS1_3genE8ELNS1_11target_archE1030ELNS1_3gpuE2ELNS1_3repE0EEENS1_47radix_sort_onesweep_sort_config_static_selectorELNS0_4arch9wavefront6targetE0EEEvSH_.uses_vcc, 1
	.set _ZN7rocprim17ROCPRIM_400000_NS6detail17trampoline_kernelINS0_14default_configENS1_35radix_sort_onesweep_config_selectorIiNS0_10empty_typeEEEZZNS1_29radix_sort_onesweep_iterationIS3_Lb0EN6thrust23THRUST_200600_302600_NS10device_ptrIiEESB_PS5_SC_jNS0_19identity_decomposerENS1_16block_id_wrapperIjLb1EEEEE10hipError_tT1_PNSt15iterator_traitsISH_E10value_typeET2_T3_PNSI_ISN_E10value_typeET4_T5_PSS_ST_PNS1_23onesweep_lookback_stateEbbT6_jjT7_P12ihipStream_tbENKUlT_T0_SH_SM_E_clISB_SB_SC_SC_EEDaS10_S11_SH_SM_EUlS10_E_NS1_11comp_targetILNS1_3genE8ELNS1_11target_archE1030ELNS1_3gpuE2ELNS1_3repE0EEENS1_47radix_sort_onesweep_sort_config_static_selectorELNS0_4arch9wavefront6targetE0EEEvSH_.uses_flat_scratch, 0
	.set _ZN7rocprim17ROCPRIM_400000_NS6detail17trampoline_kernelINS0_14default_configENS1_35radix_sort_onesweep_config_selectorIiNS0_10empty_typeEEEZZNS1_29radix_sort_onesweep_iterationIS3_Lb0EN6thrust23THRUST_200600_302600_NS10device_ptrIiEESB_PS5_SC_jNS0_19identity_decomposerENS1_16block_id_wrapperIjLb1EEEEE10hipError_tT1_PNSt15iterator_traitsISH_E10value_typeET2_T3_PNSI_ISN_E10value_typeET4_T5_PSS_ST_PNS1_23onesweep_lookback_stateEbbT6_jjT7_P12ihipStream_tbENKUlT_T0_SH_SM_E_clISB_SB_SC_SC_EEDaS10_S11_SH_SM_EUlS10_E_NS1_11comp_targetILNS1_3genE8ELNS1_11target_archE1030ELNS1_3gpuE2ELNS1_3repE0EEENS1_47radix_sort_onesweep_sort_config_static_selectorELNS0_4arch9wavefront6targetE0EEEvSH_.has_dyn_sized_stack, 0
	.set _ZN7rocprim17ROCPRIM_400000_NS6detail17trampoline_kernelINS0_14default_configENS1_35radix_sort_onesweep_config_selectorIiNS0_10empty_typeEEEZZNS1_29radix_sort_onesweep_iterationIS3_Lb0EN6thrust23THRUST_200600_302600_NS10device_ptrIiEESB_PS5_SC_jNS0_19identity_decomposerENS1_16block_id_wrapperIjLb1EEEEE10hipError_tT1_PNSt15iterator_traitsISH_E10value_typeET2_T3_PNSI_ISN_E10value_typeET4_T5_PSS_ST_PNS1_23onesweep_lookback_stateEbbT6_jjT7_P12ihipStream_tbENKUlT_T0_SH_SM_E_clISB_SB_SC_SC_EEDaS10_S11_SH_SM_EUlS10_E_NS1_11comp_targetILNS1_3genE8ELNS1_11target_archE1030ELNS1_3gpuE2ELNS1_3repE0EEENS1_47radix_sort_onesweep_sort_config_static_selectorELNS0_4arch9wavefront6targetE0EEEvSH_.has_recursion, 0
	.set _ZN7rocprim17ROCPRIM_400000_NS6detail17trampoline_kernelINS0_14default_configENS1_35radix_sort_onesweep_config_selectorIiNS0_10empty_typeEEEZZNS1_29radix_sort_onesweep_iterationIS3_Lb0EN6thrust23THRUST_200600_302600_NS10device_ptrIiEESB_PS5_SC_jNS0_19identity_decomposerENS1_16block_id_wrapperIjLb1EEEEE10hipError_tT1_PNSt15iterator_traitsISH_E10value_typeET2_T3_PNSI_ISN_E10value_typeET4_T5_PSS_ST_PNS1_23onesweep_lookback_stateEbbT6_jjT7_P12ihipStream_tbENKUlT_T0_SH_SM_E_clISB_SB_SC_SC_EEDaS10_S11_SH_SM_EUlS10_E_NS1_11comp_targetILNS1_3genE8ELNS1_11target_archE1030ELNS1_3gpuE2ELNS1_3repE0EEENS1_47radix_sort_onesweep_sort_config_static_selectorELNS0_4arch9wavefront6targetE0EEEvSH_.has_indirect_call, 0
	.section	.AMDGPU.csdata,"",@progbits
; Kernel info:
; codeLenInByte = 6780
; TotalNumSgprs: 29
; NumVgprs: 34
; ScratchSize: 0
; MemoryBound: 0
; FloatMode: 240
; IeeeMode: 1
; LDSByteSize: 37000 bytes/workgroup (compile time only)
; SGPRBlocks: 0
; VGPRBlocks: 4
; NumSGPRsForWavesPerEU: 29
; NumVGPRsForWavesPerEU: 34
; Occupancy: 16
; WaveLimiterHint : 1
; COMPUTE_PGM_RSRC2:SCRATCH_EN: 0
; COMPUTE_PGM_RSRC2:USER_SGPR: 6
; COMPUTE_PGM_RSRC2:TRAP_HANDLER: 0
; COMPUTE_PGM_RSRC2:TGID_X_EN: 1
; COMPUTE_PGM_RSRC2:TGID_Y_EN: 0
; COMPUTE_PGM_RSRC2:TGID_Z_EN: 0
; COMPUTE_PGM_RSRC2:TIDIG_COMP_CNT: 2
	.section	.text._ZN7rocprim17ROCPRIM_400000_NS6detail17trampoline_kernelINS0_14default_configENS1_35radix_sort_onesweep_config_selectorIiNS0_10empty_typeEEEZZNS1_29radix_sort_onesweep_iterationIS3_Lb0EN6thrust23THRUST_200600_302600_NS10device_ptrIiEESB_PS5_SC_jNS0_19identity_decomposerENS1_16block_id_wrapperIjLb1EEEEE10hipError_tT1_PNSt15iterator_traitsISH_E10value_typeET2_T3_PNSI_ISN_E10value_typeET4_T5_PSS_ST_PNS1_23onesweep_lookback_stateEbbT6_jjT7_P12ihipStream_tbENKUlT_T0_SH_SM_E_clISB_PiSC_SC_EEDaS10_S11_SH_SM_EUlS10_E_NS1_11comp_targetILNS1_3genE0ELNS1_11target_archE4294967295ELNS1_3gpuE0ELNS1_3repE0EEENS1_47radix_sort_onesweep_sort_config_static_selectorELNS0_4arch9wavefront6targetE0EEEvSH_,"axG",@progbits,_ZN7rocprim17ROCPRIM_400000_NS6detail17trampoline_kernelINS0_14default_configENS1_35radix_sort_onesweep_config_selectorIiNS0_10empty_typeEEEZZNS1_29radix_sort_onesweep_iterationIS3_Lb0EN6thrust23THRUST_200600_302600_NS10device_ptrIiEESB_PS5_SC_jNS0_19identity_decomposerENS1_16block_id_wrapperIjLb1EEEEE10hipError_tT1_PNSt15iterator_traitsISH_E10value_typeET2_T3_PNSI_ISN_E10value_typeET4_T5_PSS_ST_PNS1_23onesweep_lookback_stateEbbT6_jjT7_P12ihipStream_tbENKUlT_T0_SH_SM_E_clISB_PiSC_SC_EEDaS10_S11_SH_SM_EUlS10_E_NS1_11comp_targetILNS1_3genE0ELNS1_11target_archE4294967295ELNS1_3gpuE0ELNS1_3repE0EEENS1_47radix_sort_onesweep_sort_config_static_selectorELNS0_4arch9wavefront6targetE0EEEvSH_,comdat
	.protected	_ZN7rocprim17ROCPRIM_400000_NS6detail17trampoline_kernelINS0_14default_configENS1_35radix_sort_onesweep_config_selectorIiNS0_10empty_typeEEEZZNS1_29radix_sort_onesweep_iterationIS3_Lb0EN6thrust23THRUST_200600_302600_NS10device_ptrIiEESB_PS5_SC_jNS0_19identity_decomposerENS1_16block_id_wrapperIjLb1EEEEE10hipError_tT1_PNSt15iterator_traitsISH_E10value_typeET2_T3_PNSI_ISN_E10value_typeET4_T5_PSS_ST_PNS1_23onesweep_lookback_stateEbbT6_jjT7_P12ihipStream_tbENKUlT_T0_SH_SM_E_clISB_PiSC_SC_EEDaS10_S11_SH_SM_EUlS10_E_NS1_11comp_targetILNS1_3genE0ELNS1_11target_archE4294967295ELNS1_3gpuE0ELNS1_3repE0EEENS1_47radix_sort_onesweep_sort_config_static_selectorELNS0_4arch9wavefront6targetE0EEEvSH_ ; -- Begin function _ZN7rocprim17ROCPRIM_400000_NS6detail17trampoline_kernelINS0_14default_configENS1_35radix_sort_onesweep_config_selectorIiNS0_10empty_typeEEEZZNS1_29radix_sort_onesweep_iterationIS3_Lb0EN6thrust23THRUST_200600_302600_NS10device_ptrIiEESB_PS5_SC_jNS0_19identity_decomposerENS1_16block_id_wrapperIjLb1EEEEE10hipError_tT1_PNSt15iterator_traitsISH_E10value_typeET2_T3_PNSI_ISN_E10value_typeET4_T5_PSS_ST_PNS1_23onesweep_lookback_stateEbbT6_jjT7_P12ihipStream_tbENKUlT_T0_SH_SM_E_clISB_PiSC_SC_EEDaS10_S11_SH_SM_EUlS10_E_NS1_11comp_targetILNS1_3genE0ELNS1_11target_archE4294967295ELNS1_3gpuE0ELNS1_3repE0EEENS1_47radix_sort_onesweep_sort_config_static_selectorELNS0_4arch9wavefront6targetE0EEEvSH_
	.globl	_ZN7rocprim17ROCPRIM_400000_NS6detail17trampoline_kernelINS0_14default_configENS1_35radix_sort_onesweep_config_selectorIiNS0_10empty_typeEEEZZNS1_29radix_sort_onesweep_iterationIS3_Lb0EN6thrust23THRUST_200600_302600_NS10device_ptrIiEESB_PS5_SC_jNS0_19identity_decomposerENS1_16block_id_wrapperIjLb1EEEEE10hipError_tT1_PNSt15iterator_traitsISH_E10value_typeET2_T3_PNSI_ISN_E10value_typeET4_T5_PSS_ST_PNS1_23onesweep_lookback_stateEbbT6_jjT7_P12ihipStream_tbENKUlT_T0_SH_SM_E_clISB_PiSC_SC_EEDaS10_S11_SH_SM_EUlS10_E_NS1_11comp_targetILNS1_3genE0ELNS1_11target_archE4294967295ELNS1_3gpuE0ELNS1_3repE0EEENS1_47radix_sort_onesweep_sort_config_static_selectorELNS0_4arch9wavefront6targetE0EEEvSH_
	.p2align	8
	.type	_ZN7rocprim17ROCPRIM_400000_NS6detail17trampoline_kernelINS0_14default_configENS1_35radix_sort_onesweep_config_selectorIiNS0_10empty_typeEEEZZNS1_29radix_sort_onesweep_iterationIS3_Lb0EN6thrust23THRUST_200600_302600_NS10device_ptrIiEESB_PS5_SC_jNS0_19identity_decomposerENS1_16block_id_wrapperIjLb1EEEEE10hipError_tT1_PNSt15iterator_traitsISH_E10value_typeET2_T3_PNSI_ISN_E10value_typeET4_T5_PSS_ST_PNS1_23onesweep_lookback_stateEbbT6_jjT7_P12ihipStream_tbENKUlT_T0_SH_SM_E_clISB_PiSC_SC_EEDaS10_S11_SH_SM_EUlS10_E_NS1_11comp_targetILNS1_3genE0ELNS1_11target_archE4294967295ELNS1_3gpuE0ELNS1_3repE0EEENS1_47radix_sort_onesweep_sort_config_static_selectorELNS0_4arch9wavefront6targetE0EEEvSH_,@function
_ZN7rocprim17ROCPRIM_400000_NS6detail17trampoline_kernelINS0_14default_configENS1_35radix_sort_onesweep_config_selectorIiNS0_10empty_typeEEEZZNS1_29radix_sort_onesweep_iterationIS3_Lb0EN6thrust23THRUST_200600_302600_NS10device_ptrIiEESB_PS5_SC_jNS0_19identity_decomposerENS1_16block_id_wrapperIjLb1EEEEE10hipError_tT1_PNSt15iterator_traitsISH_E10value_typeET2_T3_PNSI_ISN_E10value_typeET4_T5_PSS_ST_PNS1_23onesweep_lookback_stateEbbT6_jjT7_P12ihipStream_tbENKUlT_T0_SH_SM_E_clISB_PiSC_SC_EEDaS10_S11_SH_SM_EUlS10_E_NS1_11comp_targetILNS1_3genE0ELNS1_11target_archE4294967295ELNS1_3gpuE0ELNS1_3repE0EEENS1_47radix_sort_onesweep_sort_config_static_selectorELNS0_4arch9wavefront6targetE0EEEvSH_: ; @_ZN7rocprim17ROCPRIM_400000_NS6detail17trampoline_kernelINS0_14default_configENS1_35radix_sort_onesweep_config_selectorIiNS0_10empty_typeEEEZZNS1_29radix_sort_onesweep_iterationIS3_Lb0EN6thrust23THRUST_200600_302600_NS10device_ptrIiEESB_PS5_SC_jNS0_19identity_decomposerENS1_16block_id_wrapperIjLb1EEEEE10hipError_tT1_PNSt15iterator_traitsISH_E10value_typeET2_T3_PNSI_ISN_E10value_typeET4_T5_PSS_ST_PNS1_23onesweep_lookback_stateEbbT6_jjT7_P12ihipStream_tbENKUlT_T0_SH_SM_E_clISB_PiSC_SC_EEDaS10_S11_SH_SM_EUlS10_E_NS1_11comp_targetILNS1_3genE0ELNS1_11target_archE4294967295ELNS1_3gpuE0ELNS1_3repE0EEENS1_47radix_sort_onesweep_sort_config_static_selectorELNS0_4arch9wavefront6targetE0EEEvSH_
; %bb.0:
	.section	.rodata,"a",@progbits
	.p2align	6, 0x0
	.amdhsa_kernel _ZN7rocprim17ROCPRIM_400000_NS6detail17trampoline_kernelINS0_14default_configENS1_35radix_sort_onesweep_config_selectorIiNS0_10empty_typeEEEZZNS1_29radix_sort_onesweep_iterationIS3_Lb0EN6thrust23THRUST_200600_302600_NS10device_ptrIiEESB_PS5_SC_jNS0_19identity_decomposerENS1_16block_id_wrapperIjLb1EEEEE10hipError_tT1_PNSt15iterator_traitsISH_E10value_typeET2_T3_PNSI_ISN_E10value_typeET4_T5_PSS_ST_PNS1_23onesweep_lookback_stateEbbT6_jjT7_P12ihipStream_tbENKUlT_T0_SH_SM_E_clISB_PiSC_SC_EEDaS10_S11_SH_SM_EUlS10_E_NS1_11comp_targetILNS1_3genE0ELNS1_11target_archE4294967295ELNS1_3gpuE0ELNS1_3repE0EEENS1_47radix_sort_onesweep_sort_config_static_selectorELNS0_4arch9wavefront6targetE0EEEvSH_
		.amdhsa_group_segment_fixed_size 0
		.amdhsa_private_segment_fixed_size 0
		.amdhsa_kernarg_size 88
		.amdhsa_user_sgpr_count 6
		.amdhsa_user_sgpr_private_segment_buffer 1
		.amdhsa_user_sgpr_dispatch_ptr 0
		.amdhsa_user_sgpr_queue_ptr 0
		.amdhsa_user_sgpr_kernarg_segment_ptr 1
		.amdhsa_user_sgpr_dispatch_id 0
		.amdhsa_user_sgpr_flat_scratch_init 0
		.amdhsa_user_sgpr_private_segment_size 0
		.amdhsa_wavefront_size32 1
		.amdhsa_uses_dynamic_stack 0
		.amdhsa_system_sgpr_private_segment_wavefront_offset 0
		.amdhsa_system_sgpr_workgroup_id_x 1
		.amdhsa_system_sgpr_workgroup_id_y 0
		.amdhsa_system_sgpr_workgroup_id_z 0
		.amdhsa_system_sgpr_workgroup_info 0
		.amdhsa_system_vgpr_workitem_id 0
		.amdhsa_next_free_vgpr 1
		.amdhsa_next_free_sgpr 1
		.amdhsa_reserve_vcc 0
		.amdhsa_reserve_flat_scratch 0
		.amdhsa_float_round_mode_32 0
		.amdhsa_float_round_mode_16_64 0
		.amdhsa_float_denorm_mode_32 3
		.amdhsa_float_denorm_mode_16_64 3
		.amdhsa_dx10_clamp 1
		.amdhsa_ieee_mode 1
		.amdhsa_fp16_overflow 0
		.amdhsa_workgroup_processor_mode 1
		.amdhsa_memory_ordered 1
		.amdhsa_forward_progress 1
		.amdhsa_shared_vgpr_count 0
		.amdhsa_exception_fp_ieee_invalid_op 0
		.amdhsa_exception_fp_denorm_src 0
		.amdhsa_exception_fp_ieee_div_zero 0
		.amdhsa_exception_fp_ieee_overflow 0
		.amdhsa_exception_fp_ieee_underflow 0
		.amdhsa_exception_fp_ieee_inexact 0
		.amdhsa_exception_int_div_zero 0
	.end_amdhsa_kernel
	.section	.text._ZN7rocprim17ROCPRIM_400000_NS6detail17trampoline_kernelINS0_14default_configENS1_35radix_sort_onesweep_config_selectorIiNS0_10empty_typeEEEZZNS1_29radix_sort_onesweep_iterationIS3_Lb0EN6thrust23THRUST_200600_302600_NS10device_ptrIiEESB_PS5_SC_jNS0_19identity_decomposerENS1_16block_id_wrapperIjLb1EEEEE10hipError_tT1_PNSt15iterator_traitsISH_E10value_typeET2_T3_PNSI_ISN_E10value_typeET4_T5_PSS_ST_PNS1_23onesweep_lookback_stateEbbT6_jjT7_P12ihipStream_tbENKUlT_T0_SH_SM_E_clISB_PiSC_SC_EEDaS10_S11_SH_SM_EUlS10_E_NS1_11comp_targetILNS1_3genE0ELNS1_11target_archE4294967295ELNS1_3gpuE0ELNS1_3repE0EEENS1_47radix_sort_onesweep_sort_config_static_selectorELNS0_4arch9wavefront6targetE0EEEvSH_,"axG",@progbits,_ZN7rocprim17ROCPRIM_400000_NS6detail17trampoline_kernelINS0_14default_configENS1_35radix_sort_onesweep_config_selectorIiNS0_10empty_typeEEEZZNS1_29radix_sort_onesweep_iterationIS3_Lb0EN6thrust23THRUST_200600_302600_NS10device_ptrIiEESB_PS5_SC_jNS0_19identity_decomposerENS1_16block_id_wrapperIjLb1EEEEE10hipError_tT1_PNSt15iterator_traitsISH_E10value_typeET2_T3_PNSI_ISN_E10value_typeET4_T5_PSS_ST_PNS1_23onesweep_lookback_stateEbbT6_jjT7_P12ihipStream_tbENKUlT_T0_SH_SM_E_clISB_PiSC_SC_EEDaS10_S11_SH_SM_EUlS10_E_NS1_11comp_targetILNS1_3genE0ELNS1_11target_archE4294967295ELNS1_3gpuE0ELNS1_3repE0EEENS1_47radix_sort_onesweep_sort_config_static_selectorELNS0_4arch9wavefront6targetE0EEEvSH_,comdat
.Lfunc_end1253:
	.size	_ZN7rocprim17ROCPRIM_400000_NS6detail17trampoline_kernelINS0_14default_configENS1_35radix_sort_onesweep_config_selectorIiNS0_10empty_typeEEEZZNS1_29radix_sort_onesweep_iterationIS3_Lb0EN6thrust23THRUST_200600_302600_NS10device_ptrIiEESB_PS5_SC_jNS0_19identity_decomposerENS1_16block_id_wrapperIjLb1EEEEE10hipError_tT1_PNSt15iterator_traitsISH_E10value_typeET2_T3_PNSI_ISN_E10value_typeET4_T5_PSS_ST_PNS1_23onesweep_lookback_stateEbbT6_jjT7_P12ihipStream_tbENKUlT_T0_SH_SM_E_clISB_PiSC_SC_EEDaS10_S11_SH_SM_EUlS10_E_NS1_11comp_targetILNS1_3genE0ELNS1_11target_archE4294967295ELNS1_3gpuE0ELNS1_3repE0EEENS1_47radix_sort_onesweep_sort_config_static_selectorELNS0_4arch9wavefront6targetE0EEEvSH_, .Lfunc_end1253-_ZN7rocprim17ROCPRIM_400000_NS6detail17trampoline_kernelINS0_14default_configENS1_35radix_sort_onesweep_config_selectorIiNS0_10empty_typeEEEZZNS1_29radix_sort_onesweep_iterationIS3_Lb0EN6thrust23THRUST_200600_302600_NS10device_ptrIiEESB_PS5_SC_jNS0_19identity_decomposerENS1_16block_id_wrapperIjLb1EEEEE10hipError_tT1_PNSt15iterator_traitsISH_E10value_typeET2_T3_PNSI_ISN_E10value_typeET4_T5_PSS_ST_PNS1_23onesweep_lookback_stateEbbT6_jjT7_P12ihipStream_tbENKUlT_T0_SH_SM_E_clISB_PiSC_SC_EEDaS10_S11_SH_SM_EUlS10_E_NS1_11comp_targetILNS1_3genE0ELNS1_11target_archE4294967295ELNS1_3gpuE0ELNS1_3repE0EEENS1_47radix_sort_onesweep_sort_config_static_selectorELNS0_4arch9wavefront6targetE0EEEvSH_
                                        ; -- End function
	.set _ZN7rocprim17ROCPRIM_400000_NS6detail17trampoline_kernelINS0_14default_configENS1_35radix_sort_onesweep_config_selectorIiNS0_10empty_typeEEEZZNS1_29radix_sort_onesweep_iterationIS3_Lb0EN6thrust23THRUST_200600_302600_NS10device_ptrIiEESB_PS5_SC_jNS0_19identity_decomposerENS1_16block_id_wrapperIjLb1EEEEE10hipError_tT1_PNSt15iterator_traitsISH_E10value_typeET2_T3_PNSI_ISN_E10value_typeET4_T5_PSS_ST_PNS1_23onesweep_lookback_stateEbbT6_jjT7_P12ihipStream_tbENKUlT_T0_SH_SM_E_clISB_PiSC_SC_EEDaS10_S11_SH_SM_EUlS10_E_NS1_11comp_targetILNS1_3genE0ELNS1_11target_archE4294967295ELNS1_3gpuE0ELNS1_3repE0EEENS1_47radix_sort_onesweep_sort_config_static_selectorELNS0_4arch9wavefront6targetE0EEEvSH_.num_vgpr, 0
	.set _ZN7rocprim17ROCPRIM_400000_NS6detail17trampoline_kernelINS0_14default_configENS1_35radix_sort_onesweep_config_selectorIiNS0_10empty_typeEEEZZNS1_29radix_sort_onesweep_iterationIS3_Lb0EN6thrust23THRUST_200600_302600_NS10device_ptrIiEESB_PS5_SC_jNS0_19identity_decomposerENS1_16block_id_wrapperIjLb1EEEEE10hipError_tT1_PNSt15iterator_traitsISH_E10value_typeET2_T3_PNSI_ISN_E10value_typeET4_T5_PSS_ST_PNS1_23onesweep_lookback_stateEbbT6_jjT7_P12ihipStream_tbENKUlT_T0_SH_SM_E_clISB_PiSC_SC_EEDaS10_S11_SH_SM_EUlS10_E_NS1_11comp_targetILNS1_3genE0ELNS1_11target_archE4294967295ELNS1_3gpuE0ELNS1_3repE0EEENS1_47radix_sort_onesweep_sort_config_static_selectorELNS0_4arch9wavefront6targetE0EEEvSH_.num_agpr, 0
	.set _ZN7rocprim17ROCPRIM_400000_NS6detail17trampoline_kernelINS0_14default_configENS1_35radix_sort_onesweep_config_selectorIiNS0_10empty_typeEEEZZNS1_29radix_sort_onesweep_iterationIS3_Lb0EN6thrust23THRUST_200600_302600_NS10device_ptrIiEESB_PS5_SC_jNS0_19identity_decomposerENS1_16block_id_wrapperIjLb1EEEEE10hipError_tT1_PNSt15iterator_traitsISH_E10value_typeET2_T3_PNSI_ISN_E10value_typeET4_T5_PSS_ST_PNS1_23onesweep_lookback_stateEbbT6_jjT7_P12ihipStream_tbENKUlT_T0_SH_SM_E_clISB_PiSC_SC_EEDaS10_S11_SH_SM_EUlS10_E_NS1_11comp_targetILNS1_3genE0ELNS1_11target_archE4294967295ELNS1_3gpuE0ELNS1_3repE0EEENS1_47radix_sort_onesweep_sort_config_static_selectorELNS0_4arch9wavefront6targetE0EEEvSH_.numbered_sgpr, 0
	.set _ZN7rocprim17ROCPRIM_400000_NS6detail17trampoline_kernelINS0_14default_configENS1_35radix_sort_onesweep_config_selectorIiNS0_10empty_typeEEEZZNS1_29radix_sort_onesweep_iterationIS3_Lb0EN6thrust23THRUST_200600_302600_NS10device_ptrIiEESB_PS5_SC_jNS0_19identity_decomposerENS1_16block_id_wrapperIjLb1EEEEE10hipError_tT1_PNSt15iterator_traitsISH_E10value_typeET2_T3_PNSI_ISN_E10value_typeET4_T5_PSS_ST_PNS1_23onesweep_lookback_stateEbbT6_jjT7_P12ihipStream_tbENKUlT_T0_SH_SM_E_clISB_PiSC_SC_EEDaS10_S11_SH_SM_EUlS10_E_NS1_11comp_targetILNS1_3genE0ELNS1_11target_archE4294967295ELNS1_3gpuE0ELNS1_3repE0EEENS1_47radix_sort_onesweep_sort_config_static_selectorELNS0_4arch9wavefront6targetE0EEEvSH_.num_named_barrier, 0
	.set _ZN7rocprim17ROCPRIM_400000_NS6detail17trampoline_kernelINS0_14default_configENS1_35radix_sort_onesweep_config_selectorIiNS0_10empty_typeEEEZZNS1_29radix_sort_onesweep_iterationIS3_Lb0EN6thrust23THRUST_200600_302600_NS10device_ptrIiEESB_PS5_SC_jNS0_19identity_decomposerENS1_16block_id_wrapperIjLb1EEEEE10hipError_tT1_PNSt15iterator_traitsISH_E10value_typeET2_T3_PNSI_ISN_E10value_typeET4_T5_PSS_ST_PNS1_23onesweep_lookback_stateEbbT6_jjT7_P12ihipStream_tbENKUlT_T0_SH_SM_E_clISB_PiSC_SC_EEDaS10_S11_SH_SM_EUlS10_E_NS1_11comp_targetILNS1_3genE0ELNS1_11target_archE4294967295ELNS1_3gpuE0ELNS1_3repE0EEENS1_47radix_sort_onesweep_sort_config_static_selectorELNS0_4arch9wavefront6targetE0EEEvSH_.private_seg_size, 0
	.set _ZN7rocprim17ROCPRIM_400000_NS6detail17trampoline_kernelINS0_14default_configENS1_35radix_sort_onesweep_config_selectorIiNS0_10empty_typeEEEZZNS1_29radix_sort_onesweep_iterationIS3_Lb0EN6thrust23THRUST_200600_302600_NS10device_ptrIiEESB_PS5_SC_jNS0_19identity_decomposerENS1_16block_id_wrapperIjLb1EEEEE10hipError_tT1_PNSt15iterator_traitsISH_E10value_typeET2_T3_PNSI_ISN_E10value_typeET4_T5_PSS_ST_PNS1_23onesweep_lookback_stateEbbT6_jjT7_P12ihipStream_tbENKUlT_T0_SH_SM_E_clISB_PiSC_SC_EEDaS10_S11_SH_SM_EUlS10_E_NS1_11comp_targetILNS1_3genE0ELNS1_11target_archE4294967295ELNS1_3gpuE0ELNS1_3repE0EEENS1_47radix_sort_onesweep_sort_config_static_selectorELNS0_4arch9wavefront6targetE0EEEvSH_.uses_vcc, 0
	.set _ZN7rocprim17ROCPRIM_400000_NS6detail17trampoline_kernelINS0_14default_configENS1_35radix_sort_onesweep_config_selectorIiNS0_10empty_typeEEEZZNS1_29radix_sort_onesweep_iterationIS3_Lb0EN6thrust23THRUST_200600_302600_NS10device_ptrIiEESB_PS5_SC_jNS0_19identity_decomposerENS1_16block_id_wrapperIjLb1EEEEE10hipError_tT1_PNSt15iterator_traitsISH_E10value_typeET2_T3_PNSI_ISN_E10value_typeET4_T5_PSS_ST_PNS1_23onesweep_lookback_stateEbbT6_jjT7_P12ihipStream_tbENKUlT_T0_SH_SM_E_clISB_PiSC_SC_EEDaS10_S11_SH_SM_EUlS10_E_NS1_11comp_targetILNS1_3genE0ELNS1_11target_archE4294967295ELNS1_3gpuE0ELNS1_3repE0EEENS1_47radix_sort_onesweep_sort_config_static_selectorELNS0_4arch9wavefront6targetE0EEEvSH_.uses_flat_scratch, 0
	.set _ZN7rocprim17ROCPRIM_400000_NS6detail17trampoline_kernelINS0_14default_configENS1_35radix_sort_onesweep_config_selectorIiNS0_10empty_typeEEEZZNS1_29radix_sort_onesweep_iterationIS3_Lb0EN6thrust23THRUST_200600_302600_NS10device_ptrIiEESB_PS5_SC_jNS0_19identity_decomposerENS1_16block_id_wrapperIjLb1EEEEE10hipError_tT1_PNSt15iterator_traitsISH_E10value_typeET2_T3_PNSI_ISN_E10value_typeET4_T5_PSS_ST_PNS1_23onesweep_lookback_stateEbbT6_jjT7_P12ihipStream_tbENKUlT_T0_SH_SM_E_clISB_PiSC_SC_EEDaS10_S11_SH_SM_EUlS10_E_NS1_11comp_targetILNS1_3genE0ELNS1_11target_archE4294967295ELNS1_3gpuE0ELNS1_3repE0EEENS1_47radix_sort_onesweep_sort_config_static_selectorELNS0_4arch9wavefront6targetE0EEEvSH_.has_dyn_sized_stack, 0
	.set _ZN7rocprim17ROCPRIM_400000_NS6detail17trampoline_kernelINS0_14default_configENS1_35radix_sort_onesweep_config_selectorIiNS0_10empty_typeEEEZZNS1_29radix_sort_onesweep_iterationIS3_Lb0EN6thrust23THRUST_200600_302600_NS10device_ptrIiEESB_PS5_SC_jNS0_19identity_decomposerENS1_16block_id_wrapperIjLb1EEEEE10hipError_tT1_PNSt15iterator_traitsISH_E10value_typeET2_T3_PNSI_ISN_E10value_typeET4_T5_PSS_ST_PNS1_23onesweep_lookback_stateEbbT6_jjT7_P12ihipStream_tbENKUlT_T0_SH_SM_E_clISB_PiSC_SC_EEDaS10_S11_SH_SM_EUlS10_E_NS1_11comp_targetILNS1_3genE0ELNS1_11target_archE4294967295ELNS1_3gpuE0ELNS1_3repE0EEENS1_47radix_sort_onesweep_sort_config_static_selectorELNS0_4arch9wavefront6targetE0EEEvSH_.has_recursion, 0
	.set _ZN7rocprim17ROCPRIM_400000_NS6detail17trampoline_kernelINS0_14default_configENS1_35radix_sort_onesweep_config_selectorIiNS0_10empty_typeEEEZZNS1_29radix_sort_onesweep_iterationIS3_Lb0EN6thrust23THRUST_200600_302600_NS10device_ptrIiEESB_PS5_SC_jNS0_19identity_decomposerENS1_16block_id_wrapperIjLb1EEEEE10hipError_tT1_PNSt15iterator_traitsISH_E10value_typeET2_T3_PNSI_ISN_E10value_typeET4_T5_PSS_ST_PNS1_23onesweep_lookback_stateEbbT6_jjT7_P12ihipStream_tbENKUlT_T0_SH_SM_E_clISB_PiSC_SC_EEDaS10_S11_SH_SM_EUlS10_E_NS1_11comp_targetILNS1_3genE0ELNS1_11target_archE4294967295ELNS1_3gpuE0ELNS1_3repE0EEENS1_47radix_sort_onesweep_sort_config_static_selectorELNS0_4arch9wavefront6targetE0EEEvSH_.has_indirect_call, 0
	.section	.AMDGPU.csdata,"",@progbits
; Kernel info:
; codeLenInByte = 0
; TotalNumSgprs: 0
; NumVgprs: 0
; ScratchSize: 0
; MemoryBound: 0
; FloatMode: 240
; IeeeMode: 1
; LDSByteSize: 0 bytes/workgroup (compile time only)
; SGPRBlocks: 0
; VGPRBlocks: 0
; NumSGPRsForWavesPerEU: 1
; NumVGPRsForWavesPerEU: 1
; Occupancy: 16
; WaveLimiterHint : 0
; COMPUTE_PGM_RSRC2:SCRATCH_EN: 0
; COMPUTE_PGM_RSRC2:USER_SGPR: 6
; COMPUTE_PGM_RSRC2:TRAP_HANDLER: 0
; COMPUTE_PGM_RSRC2:TGID_X_EN: 1
; COMPUTE_PGM_RSRC2:TGID_Y_EN: 0
; COMPUTE_PGM_RSRC2:TGID_Z_EN: 0
; COMPUTE_PGM_RSRC2:TIDIG_COMP_CNT: 0
	.section	.text._ZN7rocprim17ROCPRIM_400000_NS6detail17trampoline_kernelINS0_14default_configENS1_35radix_sort_onesweep_config_selectorIiNS0_10empty_typeEEEZZNS1_29radix_sort_onesweep_iterationIS3_Lb0EN6thrust23THRUST_200600_302600_NS10device_ptrIiEESB_PS5_SC_jNS0_19identity_decomposerENS1_16block_id_wrapperIjLb1EEEEE10hipError_tT1_PNSt15iterator_traitsISH_E10value_typeET2_T3_PNSI_ISN_E10value_typeET4_T5_PSS_ST_PNS1_23onesweep_lookback_stateEbbT6_jjT7_P12ihipStream_tbENKUlT_T0_SH_SM_E_clISB_PiSC_SC_EEDaS10_S11_SH_SM_EUlS10_E_NS1_11comp_targetILNS1_3genE6ELNS1_11target_archE950ELNS1_3gpuE13ELNS1_3repE0EEENS1_47radix_sort_onesweep_sort_config_static_selectorELNS0_4arch9wavefront6targetE0EEEvSH_,"axG",@progbits,_ZN7rocprim17ROCPRIM_400000_NS6detail17trampoline_kernelINS0_14default_configENS1_35radix_sort_onesweep_config_selectorIiNS0_10empty_typeEEEZZNS1_29radix_sort_onesweep_iterationIS3_Lb0EN6thrust23THRUST_200600_302600_NS10device_ptrIiEESB_PS5_SC_jNS0_19identity_decomposerENS1_16block_id_wrapperIjLb1EEEEE10hipError_tT1_PNSt15iterator_traitsISH_E10value_typeET2_T3_PNSI_ISN_E10value_typeET4_T5_PSS_ST_PNS1_23onesweep_lookback_stateEbbT6_jjT7_P12ihipStream_tbENKUlT_T0_SH_SM_E_clISB_PiSC_SC_EEDaS10_S11_SH_SM_EUlS10_E_NS1_11comp_targetILNS1_3genE6ELNS1_11target_archE950ELNS1_3gpuE13ELNS1_3repE0EEENS1_47radix_sort_onesweep_sort_config_static_selectorELNS0_4arch9wavefront6targetE0EEEvSH_,comdat
	.protected	_ZN7rocprim17ROCPRIM_400000_NS6detail17trampoline_kernelINS0_14default_configENS1_35radix_sort_onesweep_config_selectorIiNS0_10empty_typeEEEZZNS1_29radix_sort_onesweep_iterationIS3_Lb0EN6thrust23THRUST_200600_302600_NS10device_ptrIiEESB_PS5_SC_jNS0_19identity_decomposerENS1_16block_id_wrapperIjLb1EEEEE10hipError_tT1_PNSt15iterator_traitsISH_E10value_typeET2_T3_PNSI_ISN_E10value_typeET4_T5_PSS_ST_PNS1_23onesweep_lookback_stateEbbT6_jjT7_P12ihipStream_tbENKUlT_T0_SH_SM_E_clISB_PiSC_SC_EEDaS10_S11_SH_SM_EUlS10_E_NS1_11comp_targetILNS1_3genE6ELNS1_11target_archE950ELNS1_3gpuE13ELNS1_3repE0EEENS1_47radix_sort_onesweep_sort_config_static_selectorELNS0_4arch9wavefront6targetE0EEEvSH_ ; -- Begin function _ZN7rocprim17ROCPRIM_400000_NS6detail17trampoline_kernelINS0_14default_configENS1_35radix_sort_onesweep_config_selectorIiNS0_10empty_typeEEEZZNS1_29radix_sort_onesweep_iterationIS3_Lb0EN6thrust23THRUST_200600_302600_NS10device_ptrIiEESB_PS5_SC_jNS0_19identity_decomposerENS1_16block_id_wrapperIjLb1EEEEE10hipError_tT1_PNSt15iterator_traitsISH_E10value_typeET2_T3_PNSI_ISN_E10value_typeET4_T5_PSS_ST_PNS1_23onesweep_lookback_stateEbbT6_jjT7_P12ihipStream_tbENKUlT_T0_SH_SM_E_clISB_PiSC_SC_EEDaS10_S11_SH_SM_EUlS10_E_NS1_11comp_targetILNS1_3genE6ELNS1_11target_archE950ELNS1_3gpuE13ELNS1_3repE0EEENS1_47radix_sort_onesweep_sort_config_static_selectorELNS0_4arch9wavefront6targetE0EEEvSH_
	.globl	_ZN7rocprim17ROCPRIM_400000_NS6detail17trampoline_kernelINS0_14default_configENS1_35radix_sort_onesweep_config_selectorIiNS0_10empty_typeEEEZZNS1_29radix_sort_onesweep_iterationIS3_Lb0EN6thrust23THRUST_200600_302600_NS10device_ptrIiEESB_PS5_SC_jNS0_19identity_decomposerENS1_16block_id_wrapperIjLb1EEEEE10hipError_tT1_PNSt15iterator_traitsISH_E10value_typeET2_T3_PNSI_ISN_E10value_typeET4_T5_PSS_ST_PNS1_23onesweep_lookback_stateEbbT6_jjT7_P12ihipStream_tbENKUlT_T0_SH_SM_E_clISB_PiSC_SC_EEDaS10_S11_SH_SM_EUlS10_E_NS1_11comp_targetILNS1_3genE6ELNS1_11target_archE950ELNS1_3gpuE13ELNS1_3repE0EEENS1_47radix_sort_onesweep_sort_config_static_selectorELNS0_4arch9wavefront6targetE0EEEvSH_
	.p2align	8
	.type	_ZN7rocprim17ROCPRIM_400000_NS6detail17trampoline_kernelINS0_14default_configENS1_35radix_sort_onesweep_config_selectorIiNS0_10empty_typeEEEZZNS1_29radix_sort_onesweep_iterationIS3_Lb0EN6thrust23THRUST_200600_302600_NS10device_ptrIiEESB_PS5_SC_jNS0_19identity_decomposerENS1_16block_id_wrapperIjLb1EEEEE10hipError_tT1_PNSt15iterator_traitsISH_E10value_typeET2_T3_PNSI_ISN_E10value_typeET4_T5_PSS_ST_PNS1_23onesweep_lookback_stateEbbT6_jjT7_P12ihipStream_tbENKUlT_T0_SH_SM_E_clISB_PiSC_SC_EEDaS10_S11_SH_SM_EUlS10_E_NS1_11comp_targetILNS1_3genE6ELNS1_11target_archE950ELNS1_3gpuE13ELNS1_3repE0EEENS1_47radix_sort_onesweep_sort_config_static_selectorELNS0_4arch9wavefront6targetE0EEEvSH_,@function
_ZN7rocprim17ROCPRIM_400000_NS6detail17trampoline_kernelINS0_14default_configENS1_35radix_sort_onesweep_config_selectorIiNS0_10empty_typeEEEZZNS1_29radix_sort_onesweep_iterationIS3_Lb0EN6thrust23THRUST_200600_302600_NS10device_ptrIiEESB_PS5_SC_jNS0_19identity_decomposerENS1_16block_id_wrapperIjLb1EEEEE10hipError_tT1_PNSt15iterator_traitsISH_E10value_typeET2_T3_PNSI_ISN_E10value_typeET4_T5_PSS_ST_PNS1_23onesweep_lookback_stateEbbT6_jjT7_P12ihipStream_tbENKUlT_T0_SH_SM_E_clISB_PiSC_SC_EEDaS10_S11_SH_SM_EUlS10_E_NS1_11comp_targetILNS1_3genE6ELNS1_11target_archE950ELNS1_3gpuE13ELNS1_3repE0EEENS1_47radix_sort_onesweep_sort_config_static_selectorELNS0_4arch9wavefront6targetE0EEEvSH_: ; @_ZN7rocprim17ROCPRIM_400000_NS6detail17trampoline_kernelINS0_14default_configENS1_35radix_sort_onesweep_config_selectorIiNS0_10empty_typeEEEZZNS1_29radix_sort_onesweep_iterationIS3_Lb0EN6thrust23THRUST_200600_302600_NS10device_ptrIiEESB_PS5_SC_jNS0_19identity_decomposerENS1_16block_id_wrapperIjLb1EEEEE10hipError_tT1_PNSt15iterator_traitsISH_E10value_typeET2_T3_PNSI_ISN_E10value_typeET4_T5_PSS_ST_PNS1_23onesweep_lookback_stateEbbT6_jjT7_P12ihipStream_tbENKUlT_T0_SH_SM_E_clISB_PiSC_SC_EEDaS10_S11_SH_SM_EUlS10_E_NS1_11comp_targetILNS1_3genE6ELNS1_11target_archE950ELNS1_3gpuE13ELNS1_3repE0EEENS1_47radix_sort_onesweep_sort_config_static_selectorELNS0_4arch9wavefront6targetE0EEEvSH_
; %bb.0:
	.section	.rodata,"a",@progbits
	.p2align	6, 0x0
	.amdhsa_kernel _ZN7rocprim17ROCPRIM_400000_NS6detail17trampoline_kernelINS0_14default_configENS1_35radix_sort_onesweep_config_selectorIiNS0_10empty_typeEEEZZNS1_29radix_sort_onesweep_iterationIS3_Lb0EN6thrust23THRUST_200600_302600_NS10device_ptrIiEESB_PS5_SC_jNS0_19identity_decomposerENS1_16block_id_wrapperIjLb1EEEEE10hipError_tT1_PNSt15iterator_traitsISH_E10value_typeET2_T3_PNSI_ISN_E10value_typeET4_T5_PSS_ST_PNS1_23onesweep_lookback_stateEbbT6_jjT7_P12ihipStream_tbENKUlT_T0_SH_SM_E_clISB_PiSC_SC_EEDaS10_S11_SH_SM_EUlS10_E_NS1_11comp_targetILNS1_3genE6ELNS1_11target_archE950ELNS1_3gpuE13ELNS1_3repE0EEENS1_47radix_sort_onesweep_sort_config_static_selectorELNS0_4arch9wavefront6targetE0EEEvSH_
		.amdhsa_group_segment_fixed_size 0
		.amdhsa_private_segment_fixed_size 0
		.amdhsa_kernarg_size 88
		.amdhsa_user_sgpr_count 6
		.amdhsa_user_sgpr_private_segment_buffer 1
		.amdhsa_user_sgpr_dispatch_ptr 0
		.amdhsa_user_sgpr_queue_ptr 0
		.amdhsa_user_sgpr_kernarg_segment_ptr 1
		.amdhsa_user_sgpr_dispatch_id 0
		.amdhsa_user_sgpr_flat_scratch_init 0
		.amdhsa_user_sgpr_private_segment_size 0
		.amdhsa_wavefront_size32 1
		.amdhsa_uses_dynamic_stack 0
		.amdhsa_system_sgpr_private_segment_wavefront_offset 0
		.amdhsa_system_sgpr_workgroup_id_x 1
		.amdhsa_system_sgpr_workgroup_id_y 0
		.amdhsa_system_sgpr_workgroup_id_z 0
		.amdhsa_system_sgpr_workgroup_info 0
		.amdhsa_system_vgpr_workitem_id 0
		.amdhsa_next_free_vgpr 1
		.amdhsa_next_free_sgpr 1
		.amdhsa_reserve_vcc 0
		.amdhsa_reserve_flat_scratch 0
		.amdhsa_float_round_mode_32 0
		.amdhsa_float_round_mode_16_64 0
		.amdhsa_float_denorm_mode_32 3
		.amdhsa_float_denorm_mode_16_64 3
		.amdhsa_dx10_clamp 1
		.amdhsa_ieee_mode 1
		.amdhsa_fp16_overflow 0
		.amdhsa_workgroup_processor_mode 1
		.amdhsa_memory_ordered 1
		.amdhsa_forward_progress 1
		.amdhsa_shared_vgpr_count 0
		.amdhsa_exception_fp_ieee_invalid_op 0
		.amdhsa_exception_fp_denorm_src 0
		.amdhsa_exception_fp_ieee_div_zero 0
		.amdhsa_exception_fp_ieee_overflow 0
		.amdhsa_exception_fp_ieee_underflow 0
		.amdhsa_exception_fp_ieee_inexact 0
		.amdhsa_exception_int_div_zero 0
	.end_amdhsa_kernel
	.section	.text._ZN7rocprim17ROCPRIM_400000_NS6detail17trampoline_kernelINS0_14default_configENS1_35radix_sort_onesweep_config_selectorIiNS0_10empty_typeEEEZZNS1_29radix_sort_onesweep_iterationIS3_Lb0EN6thrust23THRUST_200600_302600_NS10device_ptrIiEESB_PS5_SC_jNS0_19identity_decomposerENS1_16block_id_wrapperIjLb1EEEEE10hipError_tT1_PNSt15iterator_traitsISH_E10value_typeET2_T3_PNSI_ISN_E10value_typeET4_T5_PSS_ST_PNS1_23onesweep_lookback_stateEbbT6_jjT7_P12ihipStream_tbENKUlT_T0_SH_SM_E_clISB_PiSC_SC_EEDaS10_S11_SH_SM_EUlS10_E_NS1_11comp_targetILNS1_3genE6ELNS1_11target_archE950ELNS1_3gpuE13ELNS1_3repE0EEENS1_47radix_sort_onesweep_sort_config_static_selectorELNS0_4arch9wavefront6targetE0EEEvSH_,"axG",@progbits,_ZN7rocprim17ROCPRIM_400000_NS6detail17trampoline_kernelINS0_14default_configENS1_35radix_sort_onesweep_config_selectorIiNS0_10empty_typeEEEZZNS1_29radix_sort_onesweep_iterationIS3_Lb0EN6thrust23THRUST_200600_302600_NS10device_ptrIiEESB_PS5_SC_jNS0_19identity_decomposerENS1_16block_id_wrapperIjLb1EEEEE10hipError_tT1_PNSt15iterator_traitsISH_E10value_typeET2_T3_PNSI_ISN_E10value_typeET4_T5_PSS_ST_PNS1_23onesweep_lookback_stateEbbT6_jjT7_P12ihipStream_tbENKUlT_T0_SH_SM_E_clISB_PiSC_SC_EEDaS10_S11_SH_SM_EUlS10_E_NS1_11comp_targetILNS1_3genE6ELNS1_11target_archE950ELNS1_3gpuE13ELNS1_3repE0EEENS1_47radix_sort_onesweep_sort_config_static_selectorELNS0_4arch9wavefront6targetE0EEEvSH_,comdat
.Lfunc_end1254:
	.size	_ZN7rocprim17ROCPRIM_400000_NS6detail17trampoline_kernelINS0_14default_configENS1_35radix_sort_onesweep_config_selectorIiNS0_10empty_typeEEEZZNS1_29radix_sort_onesweep_iterationIS3_Lb0EN6thrust23THRUST_200600_302600_NS10device_ptrIiEESB_PS5_SC_jNS0_19identity_decomposerENS1_16block_id_wrapperIjLb1EEEEE10hipError_tT1_PNSt15iterator_traitsISH_E10value_typeET2_T3_PNSI_ISN_E10value_typeET4_T5_PSS_ST_PNS1_23onesweep_lookback_stateEbbT6_jjT7_P12ihipStream_tbENKUlT_T0_SH_SM_E_clISB_PiSC_SC_EEDaS10_S11_SH_SM_EUlS10_E_NS1_11comp_targetILNS1_3genE6ELNS1_11target_archE950ELNS1_3gpuE13ELNS1_3repE0EEENS1_47radix_sort_onesweep_sort_config_static_selectorELNS0_4arch9wavefront6targetE0EEEvSH_, .Lfunc_end1254-_ZN7rocprim17ROCPRIM_400000_NS6detail17trampoline_kernelINS0_14default_configENS1_35radix_sort_onesweep_config_selectorIiNS0_10empty_typeEEEZZNS1_29radix_sort_onesweep_iterationIS3_Lb0EN6thrust23THRUST_200600_302600_NS10device_ptrIiEESB_PS5_SC_jNS0_19identity_decomposerENS1_16block_id_wrapperIjLb1EEEEE10hipError_tT1_PNSt15iterator_traitsISH_E10value_typeET2_T3_PNSI_ISN_E10value_typeET4_T5_PSS_ST_PNS1_23onesweep_lookback_stateEbbT6_jjT7_P12ihipStream_tbENKUlT_T0_SH_SM_E_clISB_PiSC_SC_EEDaS10_S11_SH_SM_EUlS10_E_NS1_11comp_targetILNS1_3genE6ELNS1_11target_archE950ELNS1_3gpuE13ELNS1_3repE0EEENS1_47radix_sort_onesweep_sort_config_static_selectorELNS0_4arch9wavefront6targetE0EEEvSH_
                                        ; -- End function
	.set _ZN7rocprim17ROCPRIM_400000_NS6detail17trampoline_kernelINS0_14default_configENS1_35radix_sort_onesweep_config_selectorIiNS0_10empty_typeEEEZZNS1_29radix_sort_onesweep_iterationIS3_Lb0EN6thrust23THRUST_200600_302600_NS10device_ptrIiEESB_PS5_SC_jNS0_19identity_decomposerENS1_16block_id_wrapperIjLb1EEEEE10hipError_tT1_PNSt15iterator_traitsISH_E10value_typeET2_T3_PNSI_ISN_E10value_typeET4_T5_PSS_ST_PNS1_23onesweep_lookback_stateEbbT6_jjT7_P12ihipStream_tbENKUlT_T0_SH_SM_E_clISB_PiSC_SC_EEDaS10_S11_SH_SM_EUlS10_E_NS1_11comp_targetILNS1_3genE6ELNS1_11target_archE950ELNS1_3gpuE13ELNS1_3repE0EEENS1_47radix_sort_onesweep_sort_config_static_selectorELNS0_4arch9wavefront6targetE0EEEvSH_.num_vgpr, 0
	.set _ZN7rocprim17ROCPRIM_400000_NS6detail17trampoline_kernelINS0_14default_configENS1_35radix_sort_onesweep_config_selectorIiNS0_10empty_typeEEEZZNS1_29radix_sort_onesweep_iterationIS3_Lb0EN6thrust23THRUST_200600_302600_NS10device_ptrIiEESB_PS5_SC_jNS0_19identity_decomposerENS1_16block_id_wrapperIjLb1EEEEE10hipError_tT1_PNSt15iterator_traitsISH_E10value_typeET2_T3_PNSI_ISN_E10value_typeET4_T5_PSS_ST_PNS1_23onesweep_lookback_stateEbbT6_jjT7_P12ihipStream_tbENKUlT_T0_SH_SM_E_clISB_PiSC_SC_EEDaS10_S11_SH_SM_EUlS10_E_NS1_11comp_targetILNS1_3genE6ELNS1_11target_archE950ELNS1_3gpuE13ELNS1_3repE0EEENS1_47radix_sort_onesweep_sort_config_static_selectorELNS0_4arch9wavefront6targetE0EEEvSH_.num_agpr, 0
	.set _ZN7rocprim17ROCPRIM_400000_NS6detail17trampoline_kernelINS0_14default_configENS1_35radix_sort_onesweep_config_selectorIiNS0_10empty_typeEEEZZNS1_29radix_sort_onesweep_iterationIS3_Lb0EN6thrust23THRUST_200600_302600_NS10device_ptrIiEESB_PS5_SC_jNS0_19identity_decomposerENS1_16block_id_wrapperIjLb1EEEEE10hipError_tT1_PNSt15iterator_traitsISH_E10value_typeET2_T3_PNSI_ISN_E10value_typeET4_T5_PSS_ST_PNS1_23onesweep_lookback_stateEbbT6_jjT7_P12ihipStream_tbENKUlT_T0_SH_SM_E_clISB_PiSC_SC_EEDaS10_S11_SH_SM_EUlS10_E_NS1_11comp_targetILNS1_3genE6ELNS1_11target_archE950ELNS1_3gpuE13ELNS1_3repE0EEENS1_47radix_sort_onesweep_sort_config_static_selectorELNS0_4arch9wavefront6targetE0EEEvSH_.numbered_sgpr, 0
	.set _ZN7rocprim17ROCPRIM_400000_NS6detail17trampoline_kernelINS0_14default_configENS1_35radix_sort_onesweep_config_selectorIiNS0_10empty_typeEEEZZNS1_29radix_sort_onesweep_iterationIS3_Lb0EN6thrust23THRUST_200600_302600_NS10device_ptrIiEESB_PS5_SC_jNS0_19identity_decomposerENS1_16block_id_wrapperIjLb1EEEEE10hipError_tT1_PNSt15iterator_traitsISH_E10value_typeET2_T3_PNSI_ISN_E10value_typeET4_T5_PSS_ST_PNS1_23onesweep_lookback_stateEbbT6_jjT7_P12ihipStream_tbENKUlT_T0_SH_SM_E_clISB_PiSC_SC_EEDaS10_S11_SH_SM_EUlS10_E_NS1_11comp_targetILNS1_3genE6ELNS1_11target_archE950ELNS1_3gpuE13ELNS1_3repE0EEENS1_47radix_sort_onesweep_sort_config_static_selectorELNS0_4arch9wavefront6targetE0EEEvSH_.num_named_barrier, 0
	.set _ZN7rocprim17ROCPRIM_400000_NS6detail17trampoline_kernelINS0_14default_configENS1_35radix_sort_onesweep_config_selectorIiNS0_10empty_typeEEEZZNS1_29radix_sort_onesweep_iterationIS3_Lb0EN6thrust23THRUST_200600_302600_NS10device_ptrIiEESB_PS5_SC_jNS0_19identity_decomposerENS1_16block_id_wrapperIjLb1EEEEE10hipError_tT1_PNSt15iterator_traitsISH_E10value_typeET2_T3_PNSI_ISN_E10value_typeET4_T5_PSS_ST_PNS1_23onesweep_lookback_stateEbbT6_jjT7_P12ihipStream_tbENKUlT_T0_SH_SM_E_clISB_PiSC_SC_EEDaS10_S11_SH_SM_EUlS10_E_NS1_11comp_targetILNS1_3genE6ELNS1_11target_archE950ELNS1_3gpuE13ELNS1_3repE0EEENS1_47radix_sort_onesweep_sort_config_static_selectorELNS0_4arch9wavefront6targetE0EEEvSH_.private_seg_size, 0
	.set _ZN7rocprim17ROCPRIM_400000_NS6detail17trampoline_kernelINS0_14default_configENS1_35radix_sort_onesweep_config_selectorIiNS0_10empty_typeEEEZZNS1_29radix_sort_onesweep_iterationIS3_Lb0EN6thrust23THRUST_200600_302600_NS10device_ptrIiEESB_PS5_SC_jNS0_19identity_decomposerENS1_16block_id_wrapperIjLb1EEEEE10hipError_tT1_PNSt15iterator_traitsISH_E10value_typeET2_T3_PNSI_ISN_E10value_typeET4_T5_PSS_ST_PNS1_23onesweep_lookback_stateEbbT6_jjT7_P12ihipStream_tbENKUlT_T0_SH_SM_E_clISB_PiSC_SC_EEDaS10_S11_SH_SM_EUlS10_E_NS1_11comp_targetILNS1_3genE6ELNS1_11target_archE950ELNS1_3gpuE13ELNS1_3repE0EEENS1_47radix_sort_onesweep_sort_config_static_selectorELNS0_4arch9wavefront6targetE0EEEvSH_.uses_vcc, 0
	.set _ZN7rocprim17ROCPRIM_400000_NS6detail17trampoline_kernelINS0_14default_configENS1_35radix_sort_onesweep_config_selectorIiNS0_10empty_typeEEEZZNS1_29radix_sort_onesweep_iterationIS3_Lb0EN6thrust23THRUST_200600_302600_NS10device_ptrIiEESB_PS5_SC_jNS0_19identity_decomposerENS1_16block_id_wrapperIjLb1EEEEE10hipError_tT1_PNSt15iterator_traitsISH_E10value_typeET2_T3_PNSI_ISN_E10value_typeET4_T5_PSS_ST_PNS1_23onesweep_lookback_stateEbbT6_jjT7_P12ihipStream_tbENKUlT_T0_SH_SM_E_clISB_PiSC_SC_EEDaS10_S11_SH_SM_EUlS10_E_NS1_11comp_targetILNS1_3genE6ELNS1_11target_archE950ELNS1_3gpuE13ELNS1_3repE0EEENS1_47radix_sort_onesweep_sort_config_static_selectorELNS0_4arch9wavefront6targetE0EEEvSH_.uses_flat_scratch, 0
	.set _ZN7rocprim17ROCPRIM_400000_NS6detail17trampoline_kernelINS0_14default_configENS1_35radix_sort_onesweep_config_selectorIiNS0_10empty_typeEEEZZNS1_29radix_sort_onesweep_iterationIS3_Lb0EN6thrust23THRUST_200600_302600_NS10device_ptrIiEESB_PS5_SC_jNS0_19identity_decomposerENS1_16block_id_wrapperIjLb1EEEEE10hipError_tT1_PNSt15iterator_traitsISH_E10value_typeET2_T3_PNSI_ISN_E10value_typeET4_T5_PSS_ST_PNS1_23onesweep_lookback_stateEbbT6_jjT7_P12ihipStream_tbENKUlT_T0_SH_SM_E_clISB_PiSC_SC_EEDaS10_S11_SH_SM_EUlS10_E_NS1_11comp_targetILNS1_3genE6ELNS1_11target_archE950ELNS1_3gpuE13ELNS1_3repE0EEENS1_47radix_sort_onesweep_sort_config_static_selectorELNS0_4arch9wavefront6targetE0EEEvSH_.has_dyn_sized_stack, 0
	.set _ZN7rocprim17ROCPRIM_400000_NS6detail17trampoline_kernelINS0_14default_configENS1_35radix_sort_onesweep_config_selectorIiNS0_10empty_typeEEEZZNS1_29radix_sort_onesweep_iterationIS3_Lb0EN6thrust23THRUST_200600_302600_NS10device_ptrIiEESB_PS5_SC_jNS0_19identity_decomposerENS1_16block_id_wrapperIjLb1EEEEE10hipError_tT1_PNSt15iterator_traitsISH_E10value_typeET2_T3_PNSI_ISN_E10value_typeET4_T5_PSS_ST_PNS1_23onesweep_lookback_stateEbbT6_jjT7_P12ihipStream_tbENKUlT_T0_SH_SM_E_clISB_PiSC_SC_EEDaS10_S11_SH_SM_EUlS10_E_NS1_11comp_targetILNS1_3genE6ELNS1_11target_archE950ELNS1_3gpuE13ELNS1_3repE0EEENS1_47radix_sort_onesweep_sort_config_static_selectorELNS0_4arch9wavefront6targetE0EEEvSH_.has_recursion, 0
	.set _ZN7rocprim17ROCPRIM_400000_NS6detail17trampoline_kernelINS0_14default_configENS1_35radix_sort_onesweep_config_selectorIiNS0_10empty_typeEEEZZNS1_29radix_sort_onesweep_iterationIS3_Lb0EN6thrust23THRUST_200600_302600_NS10device_ptrIiEESB_PS5_SC_jNS0_19identity_decomposerENS1_16block_id_wrapperIjLb1EEEEE10hipError_tT1_PNSt15iterator_traitsISH_E10value_typeET2_T3_PNSI_ISN_E10value_typeET4_T5_PSS_ST_PNS1_23onesweep_lookback_stateEbbT6_jjT7_P12ihipStream_tbENKUlT_T0_SH_SM_E_clISB_PiSC_SC_EEDaS10_S11_SH_SM_EUlS10_E_NS1_11comp_targetILNS1_3genE6ELNS1_11target_archE950ELNS1_3gpuE13ELNS1_3repE0EEENS1_47radix_sort_onesweep_sort_config_static_selectorELNS0_4arch9wavefront6targetE0EEEvSH_.has_indirect_call, 0
	.section	.AMDGPU.csdata,"",@progbits
; Kernel info:
; codeLenInByte = 0
; TotalNumSgprs: 0
; NumVgprs: 0
; ScratchSize: 0
; MemoryBound: 0
; FloatMode: 240
; IeeeMode: 1
; LDSByteSize: 0 bytes/workgroup (compile time only)
; SGPRBlocks: 0
; VGPRBlocks: 0
; NumSGPRsForWavesPerEU: 1
; NumVGPRsForWavesPerEU: 1
; Occupancy: 16
; WaveLimiterHint : 0
; COMPUTE_PGM_RSRC2:SCRATCH_EN: 0
; COMPUTE_PGM_RSRC2:USER_SGPR: 6
; COMPUTE_PGM_RSRC2:TRAP_HANDLER: 0
; COMPUTE_PGM_RSRC2:TGID_X_EN: 1
; COMPUTE_PGM_RSRC2:TGID_Y_EN: 0
; COMPUTE_PGM_RSRC2:TGID_Z_EN: 0
; COMPUTE_PGM_RSRC2:TIDIG_COMP_CNT: 0
	.section	.text._ZN7rocprim17ROCPRIM_400000_NS6detail17trampoline_kernelINS0_14default_configENS1_35radix_sort_onesweep_config_selectorIiNS0_10empty_typeEEEZZNS1_29radix_sort_onesweep_iterationIS3_Lb0EN6thrust23THRUST_200600_302600_NS10device_ptrIiEESB_PS5_SC_jNS0_19identity_decomposerENS1_16block_id_wrapperIjLb1EEEEE10hipError_tT1_PNSt15iterator_traitsISH_E10value_typeET2_T3_PNSI_ISN_E10value_typeET4_T5_PSS_ST_PNS1_23onesweep_lookback_stateEbbT6_jjT7_P12ihipStream_tbENKUlT_T0_SH_SM_E_clISB_PiSC_SC_EEDaS10_S11_SH_SM_EUlS10_E_NS1_11comp_targetILNS1_3genE5ELNS1_11target_archE942ELNS1_3gpuE9ELNS1_3repE0EEENS1_47radix_sort_onesweep_sort_config_static_selectorELNS0_4arch9wavefront6targetE0EEEvSH_,"axG",@progbits,_ZN7rocprim17ROCPRIM_400000_NS6detail17trampoline_kernelINS0_14default_configENS1_35radix_sort_onesweep_config_selectorIiNS0_10empty_typeEEEZZNS1_29radix_sort_onesweep_iterationIS3_Lb0EN6thrust23THRUST_200600_302600_NS10device_ptrIiEESB_PS5_SC_jNS0_19identity_decomposerENS1_16block_id_wrapperIjLb1EEEEE10hipError_tT1_PNSt15iterator_traitsISH_E10value_typeET2_T3_PNSI_ISN_E10value_typeET4_T5_PSS_ST_PNS1_23onesweep_lookback_stateEbbT6_jjT7_P12ihipStream_tbENKUlT_T0_SH_SM_E_clISB_PiSC_SC_EEDaS10_S11_SH_SM_EUlS10_E_NS1_11comp_targetILNS1_3genE5ELNS1_11target_archE942ELNS1_3gpuE9ELNS1_3repE0EEENS1_47radix_sort_onesweep_sort_config_static_selectorELNS0_4arch9wavefront6targetE0EEEvSH_,comdat
	.protected	_ZN7rocprim17ROCPRIM_400000_NS6detail17trampoline_kernelINS0_14default_configENS1_35radix_sort_onesweep_config_selectorIiNS0_10empty_typeEEEZZNS1_29radix_sort_onesweep_iterationIS3_Lb0EN6thrust23THRUST_200600_302600_NS10device_ptrIiEESB_PS5_SC_jNS0_19identity_decomposerENS1_16block_id_wrapperIjLb1EEEEE10hipError_tT1_PNSt15iterator_traitsISH_E10value_typeET2_T3_PNSI_ISN_E10value_typeET4_T5_PSS_ST_PNS1_23onesweep_lookback_stateEbbT6_jjT7_P12ihipStream_tbENKUlT_T0_SH_SM_E_clISB_PiSC_SC_EEDaS10_S11_SH_SM_EUlS10_E_NS1_11comp_targetILNS1_3genE5ELNS1_11target_archE942ELNS1_3gpuE9ELNS1_3repE0EEENS1_47radix_sort_onesweep_sort_config_static_selectorELNS0_4arch9wavefront6targetE0EEEvSH_ ; -- Begin function _ZN7rocprim17ROCPRIM_400000_NS6detail17trampoline_kernelINS0_14default_configENS1_35radix_sort_onesweep_config_selectorIiNS0_10empty_typeEEEZZNS1_29radix_sort_onesweep_iterationIS3_Lb0EN6thrust23THRUST_200600_302600_NS10device_ptrIiEESB_PS5_SC_jNS0_19identity_decomposerENS1_16block_id_wrapperIjLb1EEEEE10hipError_tT1_PNSt15iterator_traitsISH_E10value_typeET2_T3_PNSI_ISN_E10value_typeET4_T5_PSS_ST_PNS1_23onesweep_lookback_stateEbbT6_jjT7_P12ihipStream_tbENKUlT_T0_SH_SM_E_clISB_PiSC_SC_EEDaS10_S11_SH_SM_EUlS10_E_NS1_11comp_targetILNS1_3genE5ELNS1_11target_archE942ELNS1_3gpuE9ELNS1_3repE0EEENS1_47radix_sort_onesweep_sort_config_static_selectorELNS0_4arch9wavefront6targetE0EEEvSH_
	.globl	_ZN7rocprim17ROCPRIM_400000_NS6detail17trampoline_kernelINS0_14default_configENS1_35radix_sort_onesweep_config_selectorIiNS0_10empty_typeEEEZZNS1_29radix_sort_onesweep_iterationIS3_Lb0EN6thrust23THRUST_200600_302600_NS10device_ptrIiEESB_PS5_SC_jNS0_19identity_decomposerENS1_16block_id_wrapperIjLb1EEEEE10hipError_tT1_PNSt15iterator_traitsISH_E10value_typeET2_T3_PNSI_ISN_E10value_typeET4_T5_PSS_ST_PNS1_23onesweep_lookback_stateEbbT6_jjT7_P12ihipStream_tbENKUlT_T0_SH_SM_E_clISB_PiSC_SC_EEDaS10_S11_SH_SM_EUlS10_E_NS1_11comp_targetILNS1_3genE5ELNS1_11target_archE942ELNS1_3gpuE9ELNS1_3repE0EEENS1_47radix_sort_onesweep_sort_config_static_selectorELNS0_4arch9wavefront6targetE0EEEvSH_
	.p2align	8
	.type	_ZN7rocprim17ROCPRIM_400000_NS6detail17trampoline_kernelINS0_14default_configENS1_35radix_sort_onesweep_config_selectorIiNS0_10empty_typeEEEZZNS1_29radix_sort_onesweep_iterationIS3_Lb0EN6thrust23THRUST_200600_302600_NS10device_ptrIiEESB_PS5_SC_jNS0_19identity_decomposerENS1_16block_id_wrapperIjLb1EEEEE10hipError_tT1_PNSt15iterator_traitsISH_E10value_typeET2_T3_PNSI_ISN_E10value_typeET4_T5_PSS_ST_PNS1_23onesweep_lookback_stateEbbT6_jjT7_P12ihipStream_tbENKUlT_T0_SH_SM_E_clISB_PiSC_SC_EEDaS10_S11_SH_SM_EUlS10_E_NS1_11comp_targetILNS1_3genE5ELNS1_11target_archE942ELNS1_3gpuE9ELNS1_3repE0EEENS1_47radix_sort_onesweep_sort_config_static_selectorELNS0_4arch9wavefront6targetE0EEEvSH_,@function
_ZN7rocprim17ROCPRIM_400000_NS6detail17trampoline_kernelINS0_14default_configENS1_35radix_sort_onesweep_config_selectorIiNS0_10empty_typeEEEZZNS1_29radix_sort_onesweep_iterationIS3_Lb0EN6thrust23THRUST_200600_302600_NS10device_ptrIiEESB_PS5_SC_jNS0_19identity_decomposerENS1_16block_id_wrapperIjLb1EEEEE10hipError_tT1_PNSt15iterator_traitsISH_E10value_typeET2_T3_PNSI_ISN_E10value_typeET4_T5_PSS_ST_PNS1_23onesweep_lookback_stateEbbT6_jjT7_P12ihipStream_tbENKUlT_T0_SH_SM_E_clISB_PiSC_SC_EEDaS10_S11_SH_SM_EUlS10_E_NS1_11comp_targetILNS1_3genE5ELNS1_11target_archE942ELNS1_3gpuE9ELNS1_3repE0EEENS1_47radix_sort_onesweep_sort_config_static_selectorELNS0_4arch9wavefront6targetE0EEEvSH_: ; @_ZN7rocprim17ROCPRIM_400000_NS6detail17trampoline_kernelINS0_14default_configENS1_35radix_sort_onesweep_config_selectorIiNS0_10empty_typeEEEZZNS1_29radix_sort_onesweep_iterationIS3_Lb0EN6thrust23THRUST_200600_302600_NS10device_ptrIiEESB_PS5_SC_jNS0_19identity_decomposerENS1_16block_id_wrapperIjLb1EEEEE10hipError_tT1_PNSt15iterator_traitsISH_E10value_typeET2_T3_PNSI_ISN_E10value_typeET4_T5_PSS_ST_PNS1_23onesweep_lookback_stateEbbT6_jjT7_P12ihipStream_tbENKUlT_T0_SH_SM_E_clISB_PiSC_SC_EEDaS10_S11_SH_SM_EUlS10_E_NS1_11comp_targetILNS1_3genE5ELNS1_11target_archE942ELNS1_3gpuE9ELNS1_3repE0EEENS1_47radix_sort_onesweep_sort_config_static_selectorELNS0_4arch9wavefront6targetE0EEEvSH_
; %bb.0:
	.section	.rodata,"a",@progbits
	.p2align	6, 0x0
	.amdhsa_kernel _ZN7rocprim17ROCPRIM_400000_NS6detail17trampoline_kernelINS0_14default_configENS1_35radix_sort_onesweep_config_selectorIiNS0_10empty_typeEEEZZNS1_29radix_sort_onesweep_iterationIS3_Lb0EN6thrust23THRUST_200600_302600_NS10device_ptrIiEESB_PS5_SC_jNS0_19identity_decomposerENS1_16block_id_wrapperIjLb1EEEEE10hipError_tT1_PNSt15iterator_traitsISH_E10value_typeET2_T3_PNSI_ISN_E10value_typeET4_T5_PSS_ST_PNS1_23onesweep_lookback_stateEbbT6_jjT7_P12ihipStream_tbENKUlT_T0_SH_SM_E_clISB_PiSC_SC_EEDaS10_S11_SH_SM_EUlS10_E_NS1_11comp_targetILNS1_3genE5ELNS1_11target_archE942ELNS1_3gpuE9ELNS1_3repE0EEENS1_47radix_sort_onesweep_sort_config_static_selectorELNS0_4arch9wavefront6targetE0EEEvSH_
		.amdhsa_group_segment_fixed_size 0
		.amdhsa_private_segment_fixed_size 0
		.amdhsa_kernarg_size 88
		.amdhsa_user_sgpr_count 6
		.amdhsa_user_sgpr_private_segment_buffer 1
		.amdhsa_user_sgpr_dispatch_ptr 0
		.amdhsa_user_sgpr_queue_ptr 0
		.amdhsa_user_sgpr_kernarg_segment_ptr 1
		.amdhsa_user_sgpr_dispatch_id 0
		.amdhsa_user_sgpr_flat_scratch_init 0
		.amdhsa_user_sgpr_private_segment_size 0
		.amdhsa_wavefront_size32 1
		.amdhsa_uses_dynamic_stack 0
		.amdhsa_system_sgpr_private_segment_wavefront_offset 0
		.amdhsa_system_sgpr_workgroup_id_x 1
		.amdhsa_system_sgpr_workgroup_id_y 0
		.amdhsa_system_sgpr_workgroup_id_z 0
		.amdhsa_system_sgpr_workgroup_info 0
		.amdhsa_system_vgpr_workitem_id 0
		.amdhsa_next_free_vgpr 1
		.amdhsa_next_free_sgpr 1
		.amdhsa_reserve_vcc 0
		.amdhsa_reserve_flat_scratch 0
		.amdhsa_float_round_mode_32 0
		.amdhsa_float_round_mode_16_64 0
		.amdhsa_float_denorm_mode_32 3
		.amdhsa_float_denorm_mode_16_64 3
		.amdhsa_dx10_clamp 1
		.amdhsa_ieee_mode 1
		.amdhsa_fp16_overflow 0
		.amdhsa_workgroup_processor_mode 1
		.amdhsa_memory_ordered 1
		.amdhsa_forward_progress 1
		.amdhsa_shared_vgpr_count 0
		.amdhsa_exception_fp_ieee_invalid_op 0
		.amdhsa_exception_fp_denorm_src 0
		.amdhsa_exception_fp_ieee_div_zero 0
		.amdhsa_exception_fp_ieee_overflow 0
		.amdhsa_exception_fp_ieee_underflow 0
		.amdhsa_exception_fp_ieee_inexact 0
		.amdhsa_exception_int_div_zero 0
	.end_amdhsa_kernel
	.section	.text._ZN7rocprim17ROCPRIM_400000_NS6detail17trampoline_kernelINS0_14default_configENS1_35radix_sort_onesweep_config_selectorIiNS0_10empty_typeEEEZZNS1_29radix_sort_onesweep_iterationIS3_Lb0EN6thrust23THRUST_200600_302600_NS10device_ptrIiEESB_PS5_SC_jNS0_19identity_decomposerENS1_16block_id_wrapperIjLb1EEEEE10hipError_tT1_PNSt15iterator_traitsISH_E10value_typeET2_T3_PNSI_ISN_E10value_typeET4_T5_PSS_ST_PNS1_23onesweep_lookback_stateEbbT6_jjT7_P12ihipStream_tbENKUlT_T0_SH_SM_E_clISB_PiSC_SC_EEDaS10_S11_SH_SM_EUlS10_E_NS1_11comp_targetILNS1_3genE5ELNS1_11target_archE942ELNS1_3gpuE9ELNS1_3repE0EEENS1_47radix_sort_onesweep_sort_config_static_selectorELNS0_4arch9wavefront6targetE0EEEvSH_,"axG",@progbits,_ZN7rocprim17ROCPRIM_400000_NS6detail17trampoline_kernelINS0_14default_configENS1_35radix_sort_onesweep_config_selectorIiNS0_10empty_typeEEEZZNS1_29radix_sort_onesweep_iterationIS3_Lb0EN6thrust23THRUST_200600_302600_NS10device_ptrIiEESB_PS5_SC_jNS0_19identity_decomposerENS1_16block_id_wrapperIjLb1EEEEE10hipError_tT1_PNSt15iterator_traitsISH_E10value_typeET2_T3_PNSI_ISN_E10value_typeET4_T5_PSS_ST_PNS1_23onesweep_lookback_stateEbbT6_jjT7_P12ihipStream_tbENKUlT_T0_SH_SM_E_clISB_PiSC_SC_EEDaS10_S11_SH_SM_EUlS10_E_NS1_11comp_targetILNS1_3genE5ELNS1_11target_archE942ELNS1_3gpuE9ELNS1_3repE0EEENS1_47radix_sort_onesweep_sort_config_static_selectorELNS0_4arch9wavefront6targetE0EEEvSH_,comdat
.Lfunc_end1255:
	.size	_ZN7rocprim17ROCPRIM_400000_NS6detail17trampoline_kernelINS0_14default_configENS1_35radix_sort_onesweep_config_selectorIiNS0_10empty_typeEEEZZNS1_29radix_sort_onesweep_iterationIS3_Lb0EN6thrust23THRUST_200600_302600_NS10device_ptrIiEESB_PS5_SC_jNS0_19identity_decomposerENS1_16block_id_wrapperIjLb1EEEEE10hipError_tT1_PNSt15iterator_traitsISH_E10value_typeET2_T3_PNSI_ISN_E10value_typeET4_T5_PSS_ST_PNS1_23onesweep_lookback_stateEbbT6_jjT7_P12ihipStream_tbENKUlT_T0_SH_SM_E_clISB_PiSC_SC_EEDaS10_S11_SH_SM_EUlS10_E_NS1_11comp_targetILNS1_3genE5ELNS1_11target_archE942ELNS1_3gpuE9ELNS1_3repE0EEENS1_47radix_sort_onesweep_sort_config_static_selectorELNS0_4arch9wavefront6targetE0EEEvSH_, .Lfunc_end1255-_ZN7rocprim17ROCPRIM_400000_NS6detail17trampoline_kernelINS0_14default_configENS1_35radix_sort_onesweep_config_selectorIiNS0_10empty_typeEEEZZNS1_29radix_sort_onesweep_iterationIS3_Lb0EN6thrust23THRUST_200600_302600_NS10device_ptrIiEESB_PS5_SC_jNS0_19identity_decomposerENS1_16block_id_wrapperIjLb1EEEEE10hipError_tT1_PNSt15iterator_traitsISH_E10value_typeET2_T3_PNSI_ISN_E10value_typeET4_T5_PSS_ST_PNS1_23onesweep_lookback_stateEbbT6_jjT7_P12ihipStream_tbENKUlT_T0_SH_SM_E_clISB_PiSC_SC_EEDaS10_S11_SH_SM_EUlS10_E_NS1_11comp_targetILNS1_3genE5ELNS1_11target_archE942ELNS1_3gpuE9ELNS1_3repE0EEENS1_47radix_sort_onesweep_sort_config_static_selectorELNS0_4arch9wavefront6targetE0EEEvSH_
                                        ; -- End function
	.set _ZN7rocprim17ROCPRIM_400000_NS6detail17trampoline_kernelINS0_14default_configENS1_35radix_sort_onesweep_config_selectorIiNS0_10empty_typeEEEZZNS1_29radix_sort_onesweep_iterationIS3_Lb0EN6thrust23THRUST_200600_302600_NS10device_ptrIiEESB_PS5_SC_jNS0_19identity_decomposerENS1_16block_id_wrapperIjLb1EEEEE10hipError_tT1_PNSt15iterator_traitsISH_E10value_typeET2_T3_PNSI_ISN_E10value_typeET4_T5_PSS_ST_PNS1_23onesweep_lookback_stateEbbT6_jjT7_P12ihipStream_tbENKUlT_T0_SH_SM_E_clISB_PiSC_SC_EEDaS10_S11_SH_SM_EUlS10_E_NS1_11comp_targetILNS1_3genE5ELNS1_11target_archE942ELNS1_3gpuE9ELNS1_3repE0EEENS1_47radix_sort_onesweep_sort_config_static_selectorELNS0_4arch9wavefront6targetE0EEEvSH_.num_vgpr, 0
	.set _ZN7rocprim17ROCPRIM_400000_NS6detail17trampoline_kernelINS0_14default_configENS1_35radix_sort_onesweep_config_selectorIiNS0_10empty_typeEEEZZNS1_29radix_sort_onesweep_iterationIS3_Lb0EN6thrust23THRUST_200600_302600_NS10device_ptrIiEESB_PS5_SC_jNS0_19identity_decomposerENS1_16block_id_wrapperIjLb1EEEEE10hipError_tT1_PNSt15iterator_traitsISH_E10value_typeET2_T3_PNSI_ISN_E10value_typeET4_T5_PSS_ST_PNS1_23onesweep_lookback_stateEbbT6_jjT7_P12ihipStream_tbENKUlT_T0_SH_SM_E_clISB_PiSC_SC_EEDaS10_S11_SH_SM_EUlS10_E_NS1_11comp_targetILNS1_3genE5ELNS1_11target_archE942ELNS1_3gpuE9ELNS1_3repE0EEENS1_47radix_sort_onesweep_sort_config_static_selectorELNS0_4arch9wavefront6targetE0EEEvSH_.num_agpr, 0
	.set _ZN7rocprim17ROCPRIM_400000_NS6detail17trampoline_kernelINS0_14default_configENS1_35radix_sort_onesweep_config_selectorIiNS0_10empty_typeEEEZZNS1_29radix_sort_onesweep_iterationIS3_Lb0EN6thrust23THRUST_200600_302600_NS10device_ptrIiEESB_PS5_SC_jNS0_19identity_decomposerENS1_16block_id_wrapperIjLb1EEEEE10hipError_tT1_PNSt15iterator_traitsISH_E10value_typeET2_T3_PNSI_ISN_E10value_typeET4_T5_PSS_ST_PNS1_23onesweep_lookback_stateEbbT6_jjT7_P12ihipStream_tbENKUlT_T0_SH_SM_E_clISB_PiSC_SC_EEDaS10_S11_SH_SM_EUlS10_E_NS1_11comp_targetILNS1_3genE5ELNS1_11target_archE942ELNS1_3gpuE9ELNS1_3repE0EEENS1_47radix_sort_onesweep_sort_config_static_selectorELNS0_4arch9wavefront6targetE0EEEvSH_.numbered_sgpr, 0
	.set _ZN7rocprim17ROCPRIM_400000_NS6detail17trampoline_kernelINS0_14default_configENS1_35radix_sort_onesweep_config_selectorIiNS0_10empty_typeEEEZZNS1_29radix_sort_onesweep_iterationIS3_Lb0EN6thrust23THRUST_200600_302600_NS10device_ptrIiEESB_PS5_SC_jNS0_19identity_decomposerENS1_16block_id_wrapperIjLb1EEEEE10hipError_tT1_PNSt15iterator_traitsISH_E10value_typeET2_T3_PNSI_ISN_E10value_typeET4_T5_PSS_ST_PNS1_23onesweep_lookback_stateEbbT6_jjT7_P12ihipStream_tbENKUlT_T0_SH_SM_E_clISB_PiSC_SC_EEDaS10_S11_SH_SM_EUlS10_E_NS1_11comp_targetILNS1_3genE5ELNS1_11target_archE942ELNS1_3gpuE9ELNS1_3repE0EEENS1_47radix_sort_onesweep_sort_config_static_selectorELNS0_4arch9wavefront6targetE0EEEvSH_.num_named_barrier, 0
	.set _ZN7rocprim17ROCPRIM_400000_NS6detail17trampoline_kernelINS0_14default_configENS1_35radix_sort_onesweep_config_selectorIiNS0_10empty_typeEEEZZNS1_29radix_sort_onesweep_iterationIS3_Lb0EN6thrust23THRUST_200600_302600_NS10device_ptrIiEESB_PS5_SC_jNS0_19identity_decomposerENS1_16block_id_wrapperIjLb1EEEEE10hipError_tT1_PNSt15iterator_traitsISH_E10value_typeET2_T3_PNSI_ISN_E10value_typeET4_T5_PSS_ST_PNS1_23onesweep_lookback_stateEbbT6_jjT7_P12ihipStream_tbENKUlT_T0_SH_SM_E_clISB_PiSC_SC_EEDaS10_S11_SH_SM_EUlS10_E_NS1_11comp_targetILNS1_3genE5ELNS1_11target_archE942ELNS1_3gpuE9ELNS1_3repE0EEENS1_47radix_sort_onesweep_sort_config_static_selectorELNS0_4arch9wavefront6targetE0EEEvSH_.private_seg_size, 0
	.set _ZN7rocprim17ROCPRIM_400000_NS6detail17trampoline_kernelINS0_14default_configENS1_35radix_sort_onesweep_config_selectorIiNS0_10empty_typeEEEZZNS1_29radix_sort_onesweep_iterationIS3_Lb0EN6thrust23THRUST_200600_302600_NS10device_ptrIiEESB_PS5_SC_jNS0_19identity_decomposerENS1_16block_id_wrapperIjLb1EEEEE10hipError_tT1_PNSt15iterator_traitsISH_E10value_typeET2_T3_PNSI_ISN_E10value_typeET4_T5_PSS_ST_PNS1_23onesweep_lookback_stateEbbT6_jjT7_P12ihipStream_tbENKUlT_T0_SH_SM_E_clISB_PiSC_SC_EEDaS10_S11_SH_SM_EUlS10_E_NS1_11comp_targetILNS1_3genE5ELNS1_11target_archE942ELNS1_3gpuE9ELNS1_3repE0EEENS1_47radix_sort_onesweep_sort_config_static_selectorELNS0_4arch9wavefront6targetE0EEEvSH_.uses_vcc, 0
	.set _ZN7rocprim17ROCPRIM_400000_NS6detail17trampoline_kernelINS0_14default_configENS1_35radix_sort_onesweep_config_selectorIiNS0_10empty_typeEEEZZNS1_29radix_sort_onesweep_iterationIS3_Lb0EN6thrust23THRUST_200600_302600_NS10device_ptrIiEESB_PS5_SC_jNS0_19identity_decomposerENS1_16block_id_wrapperIjLb1EEEEE10hipError_tT1_PNSt15iterator_traitsISH_E10value_typeET2_T3_PNSI_ISN_E10value_typeET4_T5_PSS_ST_PNS1_23onesweep_lookback_stateEbbT6_jjT7_P12ihipStream_tbENKUlT_T0_SH_SM_E_clISB_PiSC_SC_EEDaS10_S11_SH_SM_EUlS10_E_NS1_11comp_targetILNS1_3genE5ELNS1_11target_archE942ELNS1_3gpuE9ELNS1_3repE0EEENS1_47radix_sort_onesweep_sort_config_static_selectorELNS0_4arch9wavefront6targetE0EEEvSH_.uses_flat_scratch, 0
	.set _ZN7rocprim17ROCPRIM_400000_NS6detail17trampoline_kernelINS0_14default_configENS1_35radix_sort_onesweep_config_selectorIiNS0_10empty_typeEEEZZNS1_29radix_sort_onesweep_iterationIS3_Lb0EN6thrust23THRUST_200600_302600_NS10device_ptrIiEESB_PS5_SC_jNS0_19identity_decomposerENS1_16block_id_wrapperIjLb1EEEEE10hipError_tT1_PNSt15iterator_traitsISH_E10value_typeET2_T3_PNSI_ISN_E10value_typeET4_T5_PSS_ST_PNS1_23onesweep_lookback_stateEbbT6_jjT7_P12ihipStream_tbENKUlT_T0_SH_SM_E_clISB_PiSC_SC_EEDaS10_S11_SH_SM_EUlS10_E_NS1_11comp_targetILNS1_3genE5ELNS1_11target_archE942ELNS1_3gpuE9ELNS1_3repE0EEENS1_47radix_sort_onesweep_sort_config_static_selectorELNS0_4arch9wavefront6targetE0EEEvSH_.has_dyn_sized_stack, 0
	.set _ZN7rocprim17ROCPRIM_400000_NS6detail17trampoline_kernelINS0_14default_configENS1_35radix_sort_onesweep_config_selectorIiNS0_10empty_typeEEEZZNS1_29radix_sort_onesweep_iterationIS3_Lb0EN6thrust23THRUST_200600_302600_NS10device_ptrIiEESB_PS5_SC_jNS0_19identity_decomposerENS1_16block_id_wrapperIjLb1EEEEE10hipError_tT1_PNSt15iterator_traitsISH_E10value_typeET2_T3_PNSI_ISN_E10value_typeET4_T5_PSS_ST_PNS1_23onesweep_lookback_stateEbbT6_jjT7_P12ihipStream_tbENKUlT_T0_SH_SM_E_clISB_PiSC_SC_EEDaS10_S11_SH_SM_EUlS10_E_NS1_11comp_targetILNS1_3genE5ELNS1_11target_archE942ELNS1_3gpuE9ELNS1_3repE0EEENS1_47radix_sort_onesweep_sort_config_static_selectorELNS0_4arch9wavefront6targetE0EEEvSH_.has_recursion, 0
	.set _ZN7rocprim17ROCPRIM_400000_NS6detail17trampoline_kernelINS0_14default_configENS1_35radix_sort_onesweep_config_selectorIiNS0_10empty_typeEEEZZNS1_29radix_sort_onesweep_iterationIS3_Lb0EN6thrust23THRUST_200600_302600_NS10device_ptrIiEESB_PS5_SC_jNS0_19identity_decomposerENS1_16block_id_wrapperIjLb1EEEEE10hipError_tT1_PNSt15iterator_traitsISH_E10value_typeET2_T3_PNSI_ISN_E10value_typeET4_T5_PSS_ST_PNS1_23onesweep_lookback_stateEbbT6_jjT7_P12ihipStream_tbENKUlT_T0_SH_SM_E_clISB_PiSC_SC_EEDaS10_S11_SH_SM_EUlS10_E_NS1_11comp_targetILNS1_3genE5ELNS1_11target_archE942ELNS1_3gpuE9ELNS1_3repE0EEENS1_47radix_sort_onesweep_sort_config_static_selectorELNS0_4arch9wavefront6targetE0EEEvSH_.has_indirect_call, 0
	.section	.AMDGPU.csdata,"",@progbits
; Kernel info:
; codeLenInByte = 0
; TotalNumSgprs: 0
; NumVgprs: 0
; ScratchSize: 0
; MemoryBound: 0
; FloatMode: 240
; IeeeMode: 1
; LDSByteSize: 0 bytes/workgroup (compile time only)
; SGPRBlocks: 0
; VGPRBlocks: 0
; NumSGPRsForWavesPerEU: 1
; NumVGPRsForWavesPerEU: 1
; Occupancy: 16
; WaveLimiterHint : 0
; COMPUTE_PGM_RSRC2:SCRATCH_EN: 0
; COMPUTE_PGM_RSRC2:USER_SGPR: 6
; COMPUTE_PGM_RSRC2:TRAP_HANDLER: 0
; COMPUTE_PGM_RSRC2:TGID_X_EN: 1
; COMPUTE_PGM_RSRC2:TGID_Y_EN: 0
; COMPUTE_PGM_RSRC2:TGID_Z_EN: 0
; COMPUTE_PGM_RSRC2:TIDIG_COMP_CNT: 0
	.section	.text._ZN7rocprim17ROCPRIM_400000_NS6detail17trampoline_kernelINS0_14default_configENS1_35radix_sort_onesweep_config_selectorIiNS0_10empty_typeEEEZZNS1_29radix_sort_onesweep_iterationIS3_Lb0EN6thrust23THRUST_200600_302600_NS10device_ptrIiEESB_PS5_SC_jNS0_19identity_decomposerENS1_16block_id_wrapperIjLb1EEEEE10hipError_tT1_PNSt15iterator_traitsISH_E10value_typeET2_T3_PNSI_ISN_E10value_typeET4_T5_PSS_ST_PNS1_23onesweep_lookback_stateEbbT6_jjT7_P12ihipStream_tbENKUlT_T0_SH_SM_E_clISB_PiSC_SC_EEDaS10_S11_SH_SM_EUlS10_E_NS1_11comp_targetILNS1_3genE2ELNS1_11target_archE906ELNS1_3gpuE6ELNS1_3repE0EEENS1_47radix_sort_onesweep_sort_config_static_selectorELNS0_4arch9wavefront6targetE0EEEvSH_,"axG",@progbits,_ZN7rocprim17ROCPRIM_400000_NS6detail17trampoline_kernelINS0_14default_configENS1_35radix_sort_onesweep_config_selectorIiNS0_10empty_typeEEEZZNS1_29radix_sort_onesweep_iterationIS3_Lb0EN6thrust23THRUST_200600_302600_NS10device_ptrIiEESB_PS5_SC_jNS0_19identity_decomposerENS1_16block_id_wrapperIjLb1EEEEE10hipError_tT1_PNSt15iterator_traitsISH_E10value_typeET2_T3_PNSI_ISN_E10value_typeET4_T5_PSS_ST_PNS1_23onesweep_lookback_stateEbbT6_jjT7_P12ihipStream_tbENKUlT_T0_SH_SM_E_clISB_PiSC_SC_EEDaS10_S11_SH_SM_EUlS10_E_NS1_11comp_targetILNS1_3genE2ELNS1_11target_archE906ELNS1_3gpuE6ELNS1_3repE0EEENS1_47radix_sort_onesweep_sort_config_static_selectorELNS0_4arch9wavefront6targetE0EEEvSH_,comdat
	.protected	_ZN7rocprim17ROCPRIM_400000_NS6detail17trampoline_kernelINS0_14default_configENS1_35radix_sort_onesweep_config_selectorIiNS0_10empty_typeEEEZZNS1_29radix_sort_onesweep_iterationIS3_Lb0EN6thrust23THRUST_200600_302600_NS10device_ptrIiEESB_PS5_SC_jNS0_19identity_decomposerENS1_16block_id_wrapperIjLb1EEEEE10hipError_tT1_PNSt15iterator_traitsISH_E10value_typeET2_T3_PNSI_ISN_E10value_typeET4_T5_PSS_ST_PNS1_23onesweep_lookback_stateEbbT6_jjT7_P12ihipStream_tbENKUlT_T0_SH_SM_E_clISB_PiSC_SC_EEDaS10_S11_SH_SM_EUlS10_E_NS1_11comp_targetILNS1_3genE2ELNS1_11target_archE906ELNS1_3gpuE6ELNS1_3repE0EEENS1_47radix_sort_onesweep_sort_config_static_selectorELNS0_4arch9wavefront6targetE0EEEvSH_ ; -- Begin function _ZN7rocprim17ROCPRIM_400000_NS6detail17trampoline_kernelINS0_14default_configENS1_35radix_sort_onesweep_config_selectorIiNS0_10empty_typeEEEZZNS1_29radix_sort_onesweep_iterationIS3_Lb0EN6thrust23THRUST_200600_302600_NS10device_ptrIiEESB_PS5_SC_jNS0_19identity_decomposerENS1_16block_id_wrapperIjLb1EEEEE10hipError_tT1_PNSt15iterator_traitsISH_E10value_typeET2_T3_PNSI_ISN_E10value_typeET4_T5_PSS_ST_PNS1_23onesweep_lookback_stateEbbT6_jjT7_P12ihipStream_tbENKUlT_T0_SH_SM_E_clISB_PiSC_SC_EEDaS10_S11_SH_SM_EUlS10_E_NS1_11comp_targetILNS1_3genE2ELNS1_11target_archE906ELNS1_3gpuE6ELNS1_3repE0EEENS1_47radix_sort_onesweep_sort_config_static_selectorELNS0_4arch9wavefront6targetE0EEEvSH_
	.globl	_ZN7rocprim17ROCPRIM_400000_NS6detail17trampoline_kernelINS0_14default_configENS1_35radix_sort_onesweep_config_selectorIiNS0_10empty_typeEEEZZNS1_29radix_sort_onesweep_iterationIS3_Lb0EN6thrust23THRUST_200600_302600_NS10device_ptrIiEESB_PS5_SC_jNS0_19identity_decomposerENS1_16block_id_wrapperIjLb1EEEEE10hipError_tT1_PNSt15iterator_traitsISH_E10value_typeET2_T3_PNSI_ISN_E10value_typeET4_T5_PSS_ST_PNS1_23onesweep_lookback_stateEbbT6_jjT7_P12ihipStream_tbENKUlT_T0_SH_SM_E_clISB_PiSC_SC_EEDaS10_S11_SH_SM_EUlS10_E_NS1_11comp_targetILNS1_3genE2ELNS1_11target_archE906ELNS1_3gpuE6ELNS1_3repE0EEENS1_47radix_sort_onesweep_sort_config_static_selectorELNS0_4arch9wavefront6targetE0EEEvSH_
	.p2align	8
	.type	_ZN7rocprim17ROCPRIM_400000_NS6detail17trampoline_kernelINS0_14default_configENS1_35radix_sort_onesweep_config_selectorIiNS0_10empty_typeEEEZZNS1_29radix_sort_onesweep_iterationIS3_Lb0EN6thrust23THRUST_200600_302600_NS10device_ptrIiEESB_PS5_SC_jNS0_19identity_decomposerENS1_16block_id_wrapperIjLb1EEEEE10hipError_tT1_PNSt15iterator_traitsISH_E10value_typeET2_T3_PNSI_ISN_E10value_typeET4_T5_PSS_ST_PNS1_23onesweep_lookback_stateEbbT6_jjT7_P12ihipStream_tbENKUlT_T0_SH_SM_E_clISB_PiSC_SC_EEDaS10_S11_SH_SM_EUlS10_E_NS1_11comp_targetILNS1_3genE2ELNS1_11target_archE906ELNS1_3gpuE6ELNS1_3repE0EEENS1_47radix_sort_onesweep_sort_config_static_selectorELNS0_4arch9wavefront6targetE0EEEvSH_,@function
_ZN7rocprim17ROCPRIM_400000_NS6detail17trampoline_kernelINS0_14default_configENS1_35radix_sort_onesweep_config_selectorIiNS0_10empty_typeEEEZZNS1_29radix_sort_onesweep_iterationIS3_Lb0EN6thrust23THRUST_200600_302600_NS10device_ptrIiEESB_PS5_SC_jNS0_19identity_decomposerENS1_16block_id_wrapperIjLb1EEEEE10hipError_tT1_PNSt15iterator_traitsISH_E10value_typeET2_T3_PNSI_ISN_E10value_typeET4_T5_PSS_ST_PNS1_23onesweep_lookback_stateEbbT6_jjT7_P12ihipStream_tbENKUlT_T0_SH_SM_E_clISB_PiSC_SC_EEDaS10_S11_SH_SM_EUlS10_E_NS1_11comp_targetILNS1_3genE2ELNS1_11target_archE906ELNS1_3gpuE6ELNS1_3repE0EEENS1_47radix_sort_onesweep_sort_config_static_selectorELNS0_4arch9wavefront6targetE0EEEvSH_: ; @_ZN7rocprim17ROCPRIM_400000_NS6detail17trampoline_kernelINS0_14default_configENS1_35radix_sort_onesweep_config_selectorIiNS0_10empty_typeEEEZZNS1_29radix_sort_onesweep_iterationIS3_Lb0EN6thrust23THRUST_200600_302600_NS10device_ptrIiEESB_PS5_SC_jNS0_19identity_decomposerENS1_16block_id_wrapperIjLb1EEEEE10hipError_tT1_PNSt15iterator_traitsISH_E10value_typeET2_T3_PNSI_ISN_E10value_typeET4_T5_PSS_ST_PNS1_23onesweep_lookback_stateEbbT6_jjT7_P12ihipStream_tbENKUlT_T0_SH_SM_E_clISB_PiSC_SC_EEDaS10_S11_SH_SM_EUlS10_E_NS1_11comp_targetILNS1_3genE2ELNS1_11target_archE906ELNS1_3gpuE6ELNS1_3repE0EEENS1_47radix_sort_onesweep_sort_config_static_selectorELNS0_4arch9wavefront6targetE0EEEvSH_
; %bb.0:
	.section	.rodata,"a",@progbits
	.p2align	6, 0x0
	.amdhsa_kernel _ZN7rocprim17ROCPRIM_400000_NS6detail17trampoline_kernelINS0_14default_configENS1_35radix_sort_onesweep_config_selectorIiNS0_10empty_typeEEEZZNS1_29radix_sort_onesweep_iterationIS3_Lb0EN6thrust23THRUST_200600_302600_NS10device_ptrIiEESB_PS5_SC_jNS0_19identity_decomposerENS1_16block_id_wrapperIjLb1EEEEE10hipError_tT1_PNSt15iterator_traitsISH_E10value_typeET2_T3_PNSI_ISN_E10value_typeET4_T5_PSS_ST_PNS1_23onesweep_lookback_stateEbbT6_jjT7_P12ihipStream_tbENKUlT_T0_SH_SM_E_clISB_PiSC_SC_EEDaS10_S11_SH_SM_EUlS10_E_NS1_11comp_targetILNS1_3genE2ELNS1_11target_archE906ELNS1_3gpuE6ELNS1_3repE0EEENS1_47radix_sort_onesweep_sort_config_static_selectorELNS0_4arch9wavefront6targetE0EEEvSH_
		.amdhsa_group_segment_fixed_size 0
		.amdhsa_private_segment_fixed_size 0
		.amdhsa_kernarg_size 88
		.amdhsa_user_sgpr_count 6
		.amdhsa_user_sgpr_private_segment_buffer 1
		.amdhsa_user_sgpr_dispatch_ptr 0
		.amdhsa_user_sgpr_queue_ptr 0
		.amdhsa_user_sgpr_kernarg_segment_ptr 1
		.amdhsa_user_sgpr_dispatch_id 0
		.amdhsa_user_sgpr_flat_scratch_init 0
		.amdhsa_user_sgpr_private_segment_size 0
		.amdhsa_wavefront_size32 1
		.amdhsa_uses_dynamic_stack 0
		.amdhsa_system_sgpr_private_segment_wavefront_offset 0
		.amdhsa_system_sgpr_workgroup_id_x 1
		.amdhsa_system_sgpr_workgroup_id_y 0
		.amdhsa_system_sgpr_workgroup_id_z 0
		.amdhsa_system_sgpr_workgroup_info 0
		.amdhsa_system_vgpr_workitem_id 0
		.amdhsa_next_free_vgpr 1
		.amdhsa_next_free_sgpr 1
		.amdhsa_reserve_vcc 0
		.amdhsa_reserve_flat_scratch 0
		.amdhsa_float_round_mode_32 0
		.amdhsa_float_round_mode_16_64 0
		.amdhsa_float_denorm_mode_32 3
		.amdhsa_float_denorm_mode_16_64 3
		.amdhsa_dx10_clamp 1
		.amdhsa_ieee_mode 1
		.amdhsa_fp16_overflow 0
		.amdhsa_workgroup_processor_mode 1
		.amdhsa_memory_ordered 1
		.amdhsa_forward_progress 1
		.amdhsa_shared_vgpr_count 0
		.amdhsa_exception_fp_ieee_invalid_op 0
		.amdhsa_exception_fp_denorm_src 0
		.amdhsa_exception_fp_ieee_div_zero 0
		.amdhsa_exception_fp_ieee_overflow 0
		.amdhsa_exception_fp_ieee_underflow 0
		.amdhsa_exception_fp_ieee_inexact 0
		.amdhsa_exception_int_div_zero 0
	.end_amdhsa_kernel
	.section	.text._ZN7rocprim17ROCPRIM_400000_NS6detail17trampoline_kernelINS0_14default_configENS1_35radix_sort_onesweep_config_selectorIiNS0_10empty_typeEEEZZNS1_29radix_sort_onesweep_iterationIS3_Lb0EN6thrust23THRUST_200600_302600_NS10device_ptrIiEESB_PS5_SC_jNS0_19identity_decomposerENS1_16block_id_wrapperIjLb1EEEEE10hipError_tT1_PNSt15iterator_traitsISH_E10value_typeET2_T3_PNSI_ISN_E10value_typeET4_T5_PSS_ST_PNS1_23onesweep_lookback_stateEbbT6_jjT7_P12ihipStream_tbENKUlT_T0_SH_SM_E_clISB_PiSC_SC_EEDaS10_S11_SH_SM_EUlS10_E_NS1_11comp_targetILNS1_3genE2ELNS1_11target_archE906ELNS1_3gpuE6ELNS1_3repE0EEENS1_47radix_sort_onesweep_sort_config_static_selectorELNS0_4arch9wavefront6targetE0EEEvSH_,"axG",@progbits,_ZN7rocprim17ROCPRIM_400000_NS6detail17trampoline_kernelINS0_14default_configENS1_35radix_sort_onesweep_config_selectorIiNS0_10empty_typeEEEZZNS1_29radix_sort_onesweep_iterationIS3_Lb0EN6thrust23THRUST_200600_302600_NS10device_ptrIiEESB_PS5_SC_jNS0_19identity_decomposerENS1_16block_id_wrapperIjLb1EEEEE10hipError_tT1_PNSt15iterator_traitsISH_E10value_typeET2_T3_PNSI_ISN_E10value_typeET4_T5_PSS_ST_PNS1_23onesweep_lookback_stateEbbT6_jjT7_P12ihipStream_tbENKUlT_T0_SH_SM_E_clISB_PiSC_SC_EEDaS10_S11_SH_SM_EUlS10_E_NS1_11comp_targetILNS1_3genE2ELNS1_11target_archE906ELNS1_3gpuE6ELNS1_3repE0EEENS1_47radix_sort_onesweep_sort_config_static_selectorELNS0_4arch9wavefront6targetE0EEEvSH_,comdat
.Lfunc_end1256:
	.size	_ZN7rocprim17ROCPRIM_400000_NS6detail17trampoline_kernelINS0_14default_configENS1_35radix_sort_onesweep_config_selectorIiNS0_10empty_typeEEEZZNS1_29radix_sort_onesweep_iterationIS3_Lb0EN6thrust23THRUST_200600_302600_NS10device_ptrIiEESB_PS5_SC_jNS0_19identity_decomposerENS1_16block_id_wrapperIjLb1EEEEE10hipError_tT1_PNSt15iterator_traitsISH_E10value_typeET2_T3_PNSI_ISN_E10value_typeET4_T5_PSS_ST_PNS1_23onesweep_lookback_stateEbbT6_jjT7_P12ihipStream_tbENKUlT_T0_SH_SM_E_clISB_PiSC_SC_EEDaS10_S11_SH_SM_EUlS10_E_NS1_11comp_targetILNS1_3genE2ELNS1_11target_archE906ELNS1_3gpuE6ELNS1_3repE0EEENS1_47radix_sort_onesweep_sort_config_static_selectorELNS0_4arch9wavefront6targetE0EEEvSH_, .Lfunc_end1256-_ZN7rocprim17ROCPRIM_400000_NS6detail17trampoline_kernelINS0_14default_configENS1_35radix_sort_onesweep_config_selectorIiNS0_10empty_typeEEEZZNS1_29radix_sort_onesweep_iterationIS3_Lb0EN6thrust23THRUST_200600_302600_NS10device_ptrIiEESB_PS5_SC_jNS0_19identity_decomposerENS1_16block_id_wrapperIjLb1EEEEE10hipError_tT1_PNSt15iterator_traitsISH_E10value_typeET2_T3_PNSI_ISN_E10value_typeET4_T5_PSS_ST_PNS1_23onesweep_lookback_stateEbbT6_jjT7_P12ihipStream_tbENKUlT_T0_SH_SM_E_clISB_PiSC_SC_EEDaS10_S11_SH_SM_EUlS10_E_NS1_11comp_targetILNS1_3genE2ELNS1_11target_archE906ELNS1_3gpuE6ELNS1_3repE0EEENS1_47radix_sort_onesweep_sort_config_static_selectorELNS0_4arch9wavefront6targetE0EEEvSH_
                                        ; -- End function
	.set _ZN7rocprim17ROCPRIM_400000_NS6detail17trampoline_kernelINS0_14default_configENS1_35radix_sort_onesweep_config_selectorIiNS0_10empty_typeEEEZZNS1_29radix_sort_onesweep_iterationIS3_Lb0EN6thrust23THRUST_200600_302600_NS10device_ptrIiEESB_PS5_SC_jNS0_19identity_decomposerENS1_16block_id_wrapperIjLb1EEEEE10hipError_tT1_PNSt15iterator_traitsISH_E10value_typeET2_T3_PNSI_ISN_E10value_typeET4_T5_PSS_ST_PNS1_23onesweep_lookback_stateEbbT6_jjT7_P12ihipStream_tbENKUlT_T0_SH_SM_E_clISB_PiSC_SC_EEDaS10_S11_SH_SM_EUlS10_E_NS1_11comp_targetILNS1_3genE2ELNS1_11target_archE906ELNS1_3gpuE6ELNS1_3repE0EEENS1_47radix_sort_onesweep_sort_config_static_selectorELNS0_4arch9wavefront6targetE0EEEvSH_.num_vgpr, 0
	.set _ZN7rocprim17ROCPRIM_400000_NS6detail17trampoline_kernelINS0_14default_configENS1_35radix_sort_onesweep_config_selectorIiNS0_10empty_typeEEEZZNS1_29radix_sort_onesweep_iterationIS3_Lb0EN6thrust23THRUST_200600_302600_NS10device_ptrIiEESB_PS5_SC_jNS0_19identity_decomposerENS1_16block_id_wrapperIjLb1EEEEE10hipError_tT1_PNSt15iterator_traitsISH_E10value_typeET2_T3_PNSI_ISN_E10value_typeET4_T5_PSS_ST_PNS1_23onesweep_lookback_stateEbbT6_jjT7_P12ihipStream_tbENKUlT_T0_SH_SM_E_clISB_PiSC_SC_EEDaS10_S11_SH_SM_EUlS10_E_NS1_11comp_targetILNS1_3genE2ELNS1_11target_archE906ELNS1_3gpuE6ELNS1_3repE0EEENS1_47radix_sort_onesweep_sort_config_static_selectorELNS0_4arch9wavefront6targetE0EEEvSH_.num_agpr, 0
	.set _ZN7rocprim17ROCPRIM_400000_NS6detail17trampoline_kernelINS0_14default_configENS1_35radix_sort_onesweep_config_selectorIiNS0_10empty_typeEEEZZNS1_29radix_sort_onesweep_iterationIS3_Lb0EN6thrust23THRUST_200600_302600_NS10device_ptrIiEESB_PS5_SC_jNS0_19identity_decomposerENS1_16block_id_wrapperIjLb1EEEEE10hipError_tT1_PNSt15iterator_traitsISH_E10value_typeET2_T3_PNSI_ISN_E10value_typeET4_T5_PSS_ST_PNS1_23onesweep_lookback_stateEbbT6_jjT7_P12ihipStream_tbENKUlT_T0_SH_SM_E_clISB_PiSC_SC_EEDaS10_S11_SH_SM_EUlS10_E_NS1_11comp_targetILNS1_3genE2ELNS1_11target_archE906ELNS1_3gpuE6ELNS1_3repE0EEENS1_47radix_sort_onesweep_sort_config_static_selectorELNS0_4arch9wavefront6targetE0EEEvSH_.numbered_sgpr, 0
	.set _ZN7rocprim17ROCPRIM_400000_NS6detail17trampoline_kernelINS0_14default_configENS1_35radix_sort_onesweep_config_selectorIiNS0_10empty_typeEEEZZNS1_29radix_sort_onesweep_iterationIS3_Lb0EN6thrust23THRUST_200600_302600_NS10device_ptrIiEESB_PS5_SC_jNS0_19identity_decomposerENS1_16block_id_wrapperIjLb1EEEEE10hipError_tT1_PNSt15iterator_traitsISH_E10value_typeET2_T3_PNSI_ISN_E10value_typeET4_T5_PSS_ST_PNS1_23onesweep_lookback_stateEbbT6_jjT7_P12ihipStream_tbENKUlT_T0_SH_SM_E_clISB_PiSC_SC_EEDaS10_S11_SH_SM_EUlS10_E_NS1_11comp_targetILNS1_3genE2ELNS1_11target_archE906ELNS1_3gpuE6ELNS1_3repE0EEENS1_47radix_sort_onesweep_sort_config_static_selectorELNS0_4arch9wavefront6targetE0EEEvSH_.num_named_barrier, 0
	.set _ZN7rocprim17ROCPRIM_400000_NS6detail17trampoline_kernelINS0_14default_configENS1_35radix_sort_onesweep_config_selectorIiNS0_10empty_typeEEEZZNS1_29radix_sort_onesweep_iterationIS3_Lb0EN6thrust23THRUST_200600_302600_NS10device_ptrIiEESB_PS5_SC_jNS0_19identity_decomposerENS1_16block_id_wrapperIjLb1EEEEE10hipError_tT1_PNSt15iterator_traitsISH_E10value_typeET2_T3_PNSI_ISN_E10value_typeET4_T5_PSS_ST_PNS1_23onesweep_lookback_stateEbbT6_jjT7_P12ihipStream_tbENKUlT_T0_SH_SM_E_clISB_PiSC_SC_EEDaS10_S11_SH_SM_EUlS10_E_NS1_11comp_targetILNS1_3genE2ELNS1_11target_archE906ELNS1_3gpuE6ELNS1_3repE0EEENS1_47radix_sort_onesweep_sort_config_static_selectorELNS0_4arch9wavefront6targetE0EEEvSH_.private_seg_size, 0
	.set _ZN7rocprim17ROCPRIM_400000_NS6detail17trampoline_kernelINS0_14default_configENS1_35radix_sort_onesweep_config_selectorIiNS0_10empty_typeEEEZZNS1_29radix_sort_onesweep_iterationIS3_Lb0EN6thrust23THRUST_200600_302600_NS10device_ptrIiEESB_PS5_SC_jNS0_19identity_decomposerENS1_16block_id_wrapperIjLb1EEEEE10hipError_tT1_PNSt15iterator_traitsISH_E10value_typeET2_T3_PNSI_ISN_E10value_typeET4_T5_PSS_ST_PNS1_23onesweep_lookback_stateEbbT6_jjT7_P12ihipStream_tbENKUlT_T0_SH_SM_E_clISB_PiSC_SC_EEDaS10_S11_SH_SM_EUlS10_E_NS1_11comp_targetILNS1_3genE2ELNS1_11target_archE906ELNS1_3gpuE6ELNS1_3repE0EEENS1_47radix_sort_onesweep_sort_config_static_selectorELNS0_4arch9wavefront6targetE0EEEvSH_.uses_vcc, 0
	.set _ZN7rocprim17ROCPRIM_400000_NS6detail17trampoline_kernelINS0_14default_configENS1_35radix_sort_onesweep_config_selectorIiNS0_10empty_typeEEEZZNS1_29radix_sort_onesweep_iterationIS3_Lb0EN6thrust23THRUST_200600_302600_NS10device_ptrIiEESB_PS5_SC_jNS0_19identity_decomposerENS1_16block_id_wrapperIjLb1EEEEE10hipError_tT1_PNSt15iterator_traitsISH_E10value_typeET2_T3_PNSI_ISN_E10value_typeET4_T5_PSS_ST_PNS1_23onesweep_lookback_stateEbbT6_jjT7_P12ihipStream_tbENKUlT_T0_SH_SM_E_clISB_PiSC_SC_EEDaS10_S11_SH_SM_EUlS10_E_NS1_11comp_targetILNS1_3genE2ELNS1_11target_archE906ELNS1_3gpuE6ELNS1_3repE0EEENS1_47radix_sort_onesweep_sort_config_static_selectorELNS0_4arch9wavefront6targetE0EEEvSH_.uses_flat_scratch, 0
	.set _ZN7rocprim17ROCPRIM_400000_NS6detail17trampoline_kernelINS0_14default_configENS1_35radix_sort_onesweep_config_selectorIiNS0_10empty_typeEEEZZNS1_29radix_sort_onesweep_iterationIS3_Lb0EN6thrust23THRUST_200600_302600_NS10device_ptrIiEESB_PS5_SC_jNS0_19identity_decomposerENS1_16block_id_wrapperIjLb1EEEEE10hipError_tT1_PNSt15iterator_traitsISH_E10value_typeET2_T3_PNSI_ISN_E10value_typeET4_T5_PSS_ST_PNS1_23onesweep_lookback_stateEbbT6_jjT7_P12ihipStream_tbENKUlT_T0_SH_SM_E_clISB_PiSC_SC_EEDaS10_S11_SH_SM_EUlS10_E_NS1_11comp_targetILNS1_3genE2ELNS1_11target_archE906ELNS1_3gpuE6ELNS1_3repE0EEENS1_47radix_sort_onesweep_sort_config_static_selectorELNS0_4arch9wavefront6targetE0EEEvSH_.has_dyn_sized_stack, 0
	.set _ZN7rocprim17ROCPRIM_400000_NS6detail17trampoline_kernelINS0_14default_configENS1_35radix_sort_onesweep_config_selectorIiNS0_10empty_typeEEEZZNS1_29radix_sort_onesweep_iterationIS3_Lb0EN6thrust23THRUST_200600_302600_NS10device_ptrIiEESB_PS5_SC_jNS0_19identity_decomposerENS1_16block_id_wrapperIjLb1EEEEE10hipError_tT1_PNSt15iterator_traitsISH_E10value_typeET2_T3_PNSI_ISN_E10value_typeET4_T5_PSS_ST_PNS1_23onesweep_lookback_stateEbbT6_jjT7_P12ihipStream_tbENKUlT_T0_SH_SM_E_clISB_PiSC_SC_EEDaS10_S11_SH_SM_EUlS10_E_NS1_11comp_targetILNS1_3genE2ELNS1_11target_archE906ELNS1_3gpuE6ELNS1_3repE0EEENS1_47radix_sort_onesweep_sort_config_static_selectorELNS0_4arch9wavefront6targetE0EEEvSH_.has_recursion, 0
	.set _ZN7rocprim17ROCPRIM_400000_NS6detail17trampoline_kernelINS0_14default_configENS1_35radix_sort_onesweep_config_selectorIiNS0_10empty_typeEEEZZNS1_29radix_sort_onesweep_iterationIS3_Lb0EN6thrust23THRUST_200600_302600_NS10device_ptrIiEESB_PS5_SC_jNS0_19identity_decomposerENS1_16block_id_wrapperIjLb1EEEEE10hipError_tT1_PNSt15iterator_traitsISH_E10value_typeET2_T3_PNSI_ISN_E10value_typeET4_T5_PSS_ST_PNS1_23onesweep_lookback_stateEbbT6_jjT7_P12ihipStream_tbENKUlT_T0_SH_SM_E_clISB_PiSC_SC_EEDaS10_S11_SH_SM_EUlS10_E_NS1_11comp_targetILNS1_3genE2ELNS1_11target_archE906ELNS1_3gpuE6ELNS1_3repE0EEENS1_47radix_sort_onesweep_sort_config_static_selectorELNS0_4arch9wavefront6targetE0EEEvSH_.has_indirect_call, 0
	.section	.AMDGPU.csdata,"",@progbits
; Kernel info:
; codeLenInByte = 0
; TotalNumSgprs: 0
; NumVgprs: 0
; ScratchSize: 0
; MemoryBound: 0
; FloatMode: 240
; IeeeMode: 1
; LDSByteSize: 0 bytes/workgroup (compile time only)
; SGPRBlocks: 0
; VGPRBlocks: 0
; NumSGPRsForWavesPerEU: 1
; NumVGPRsForWavesPerEU: 1
; Occupancy: 16
; WaveLimiterHint : 0
; COMPUTE_PGM_RSRC2:SCRATCH_EN: 0
; COMPUTE_PGM_RSRC2:USER_SGPR: 6
; COMPUTE_PGM_RSRC2:TRAP_HANDLER: 0
; COMPUTE_PGM_RSRC2:TGID_X_EN: 1
; COMPUTE_PGM_RSRC2:TGID_Y_EN: 0
; COMPUTE_PGM_RSRC2:TGID_Z_EN: 0
; COMPUTE_PGM_RSRC2:TIDIG_COMP_CNT: 0
	.section	.text._ZN7rocprim17ROCPRIM_400000_NS6detail17trampoline_kernelINS0_14default_configENS1_35radix_sort_onesweep_config_selectorIiNS0_10empty_typeEEEZZNS1_29radix_sort_onesweep_iterationIS3_Lb0EN6thrust23THRUST_200600_302600_NS10device_ptrIiEESB_PS5_SC_jNS0_19identity_decomposerENS1_16block_id_wrapperIjLb1EEEEE10hipError_tT1_PNSt15iterator_traitsISH_E10value_typeET2_T3_PNSI_ISN_E10value_typeET4_T5_PSS_ST_PNS1_23onesweep_lookback_stateEbbT6_jjT7_P12ihipStream_tbENKUlT_T0_SH_SM_E_clISB_PiSC_SC_EEDaS10_S11_SH_SM_EUlS10_E_NS1_11comp_targetILNS1_3genE4ELNS1_11target_archE910ELNS1_3gpuE8ELNS1_3repE0EEENS1_47radix_sort_onesweep_sort_config_static_selectorELNS0_4arch9wavefront6targetE0EEEvSH_,"axG",@progbits,_ZN7rocprim17ROCPRIM_400000_NS6detail17trampoline_kernelINS0_14default_configENS1_35radix_sort_onesweep_config_selectorIiNS0_10empty_typeEEEZZNS1_29radix_sort_onesweep_iterationIS3_Lb0EN6thrust23THRUST_200600_302600_NS10device_ptrIiEESB_PS5_SC_jNS0_19identity_decomposerENS1_16block_id_wrapperIjLb1EEEEE10hipError_tT1_PNSt15iterator_traitsISH_E10value_typeET2_T3_PNSI_ISN_E10value_typeET4_T5_PSS_ST_PNS1_23onesweep_lookback_stateEbbT6_jjT7_P12ihipStream_tbENKUlT_T0_SH_SM_E_clISB_PiSC_SC_EEDaS10_S11_SH_SM_EUlS10_E_NS1_11comp_targetILNS1_3genE4ELNS1_11target_archE910ELNS1_3gpuE8ELNS1_3repE0EEENS1_47radix_sort_onesweep_sort_config_static_selectorELNS0_4arch9wavefront6targetE0EEEvSH_,comdat
	.protected	_ZN7rocprim17ROCPRIM_400000_NS6detail17trampoline_kernelINS0_14default_configENS1_35radix_sort_onesweep_config_selectorIiNS0_10empty_typeEEEZZNS1_29radix_sort_onesweep_iterationIS3_Lb0EN6thrust23THRUST_200600_302600_NS10device_ptrIiEESB_PS5_SC_jNS0_19identity_decomposerENS1_16block_id_wrapperIjLb1EEEEE10hipError_tT1_PNSt15iterator_traitsISH_E10value_typeET2_T3_PNSI_ISN_E10value_typeET4_T5_PSS_ST_PNS1_23onesweep_lookback_stateEbbT6_jjT7_P12ihipStream_tbENKUlT_T0_SH_SM_E_clISB_PiSC_SC_EEDaS10_S11_SH_SM_EUlS10_E_NS1_11comp_targetILNS1_3genE4ELNS1_11target_archE910ELNS1_3gpuE8ELNS1_3repE0EEENS1_47radix_sort_onesweep_sort_config_static_selectorELNS0_4arch9wavefront6targetE0EEEvSH_ ; -- Begin function _ZN7rocprim17ROCPRIM_400000_NS6detail17trampoline_kernelINS0_14default_configENS1_35radix_sort_onesweep_config_selectorIiNS0_10empty_typeEEEZZNS1_29radix_sort_onesweep_iterationIS3_Lb0EN6thrust23THRUST_200600_302600_NS10device_ptrIiEESB_PS5_SC_jNS0_19identity_decomposerENS1_16block_id_wrapperIjLb1EEEEE10hipError_tT1_PNSt15iterator_traitsISH_E10value_typeET2_T3_PNSI_ISN_E10value_typeET4_T5_PSS_ST_PNS1_23onesweep_lookback_stateEbbT6_jjT7_P12ihipStream_tbENKUlT_T0_SH_SM_E_clISB_PiSC_SC_EEDaS10_S11_SH_SM_EUlS10_E_NS1_11comp_targetILNS1_3genE4ELNS1_11target_archE910ELNS1_3gpuE8ELNS1_3repE0EEENS1_47radix_sort_onesweep_sort_config_static_selectorELNS0_4arch9wavefront6targetE0EEEvSH_
	.globl	_ZN7rocprim17ROCPRIM_400000_NS6detail17trampoline_kernelINS0_14default_configENS1_35radix_sort_onesweep_config_selectorIiNS0_10empty_typeEEEZZNS1_29radix_sort_onesweep_iterationIS3_Lb0EN6thrust23THRUST_200600_302600_NS10device_ptrIiEESB_PS5_SC_jNS0_19identity_decomposerENS1_16block_id_wrapperIjLb1EEEEE10hipError_tT1_PNSt15iterator_traitsISH_E10value_typeET2_T3_PNSI_ISN_E10value_typeET4_T5_PSS_ST_PNS1_23onesweep_lookback_stateEbbT6_jjT7_P12ihipStream_tbENKUlT_T0_SH_SM_E_clISB_PiSC_SC_EEDaS10_S11_SH_SM_EUlS10_E_NS1_11comp_targetILNS1_3genE4ELNS1_11target_archE910ELNS1_3gpuE8ELNS1_3repE0EEENS1_47radix_sort_onesweep_sort_config_static_selectorELNS0_4arch9wavefront6targetE0EEEvSH_
	.p2align	8
	.type	_ZN7rocprim17ROCPRIM_400000_NS6detail17trampoline_kernelINS0_14default_configENS1_35radix_sort_onesweep_config_selectorIiNS0_10empty_typeEEEZZNS1_29radix_sort_onesweep_iterationIS3_Lb0EN6thrust23THRUST_200600_302600_NS10device_ptrIiEESB_PS5_SC_jNS0_19identity_decomposerENS1_16block_id_wrapperIjLb1EEEEE10hipError_tT1_PNSt15iterator_traitsISH_E10value_typeET2_T3_PNSI_ISN_E10value_typeET4_T5_PSS_ST_PNS1_23onesweep_lookback_stateEbbT6_jjT7_P12ihipStream_tbENKUlT_T0_SH_SM_E_clISB_PiSC_SC_EEDaS10_S11_SH_SM_EUlS10_E_NS1_11comp_targetILNS1_3genE4ELNS1_11target_archE910ELNS1_3gpuE8ELNS1_3repE0EEENS1_47radix_sort_onesweep_sort_config_static_selectorELNS0_4arch9wavefront6targetE0EEEvSH_,@function
_ZN7rocprim17ROCPRIM_400000_NS6detail17trampoline_kernelINS0_14default_configENS1_35radix_sort_onesweep_config_selectorIiNS0_10empty_typeEEEZZNS1_29radix_sort_onesweep_iterationIS3_Lb0EN6thrust23THRUST_200600_302600_NS10device_ptrIiEESB_PS5_SC_jNS0_19identity_decomposerENS1_16block_id_wrapperIjLb1EEEEE10hipError_tT1_PNSt15iterator_traitsISH_E10value_typeET2_T3_PNSI_ISN_E10value_typeET4_T5_PSS_ST_PNS1_23onesweep_lookback_stateEbbT6_jjT7_P12ihipStream_tbENKUlT_T0_SH_SM_E_clISB_PiSC_SC_EEDaS10_S11_SH_SM_EUlS10_E_NS1_11comp_targetILNS1_3genE4ELNS1_11target_archE910ELNS1_3gpuE8ELNS1_3repE0EEENS1_47radix_sort_onesweep_sort_config_static_selectorELNS0_4arch9wavefront6targetE0EEEvSH_: ; @_ZN7rocprim17ROCPRIM_400000_NS6detail17trampoline_kernelINS0_14default_configENS1_35radix_sort_onesweep_config_selectorIiNS0_10empty_typeEEEZZNS1_29radix_sort_onesweep_iterationIS3_Lb0EN6thrust23THRUST_200600_302600_NS10device_ptrIiEESB_PS5_SC_jNS0_19identity_decomposerENS1_16block_id_wrapperIjLb1EEEEE10hipError_tT1_PNSt15iterator_traitsISH_E10value_typeET2_T3_PNSI_ISN_E10value_typeET4_T5_PSS_ST_PNS1_23onesweep_lookback_stateEbbT6_jjT7_P12ihipStream_tbENKUlT_T0_SH_SM_E_clISB_PiSC_SC_EEDaS10_S11_SH_SM_EUlS10_E_NS1_11comp_targetILNS1_3genE4ELNS1_11target_archE910ELNS1_3gpuE8ELNS1_3repE0EEENS1_47radix_sort_onesweep_sort_config_static_selectorELNS0_4arch9wavefront6targetE0EEEvSH_
; %bb.0:
	.section	.rodata,"a",@progbits
	.p2align	6, 0x0
	.amdhsa_kernel _ZN7rocprim17ROCPRIM_400000_NS6detail17trampoline_kernelINS0_14default_configENS1_35radix_sort_onesweep_config_selectorIiNS0_10empty_typeEEEZZNS1_29radix_sort_onesweep_iterationIS3_Lb0EN6thrust23THRUST_200600_302600_NS10device_ptrIiEESB_PS5_SC_jNS0_19identity_decomposerENS1_16block_id_wrapperIjLb1EEEEE10hipError_tT1_PNSt15iterator_traitsISH_E10value_typeET2_T3_PNSI_ISN_E10value_typeET4_T5_PSS_ST_PNS1_23onesweep_lookback_stateEbbT6_jjT7_P12ihipStream_tbENKUlT_T0_SH_SM_E_clISB_PiSC_SC_EEDaS10_S11_SH_SM_EUlS10_E_NS1_11comp_targetILNS1_3genE4ELNS1_11target_archE910ELNS1_3gpuE8ELNS1_3repE0EEENS1_47radix_sort_onesweep_sort_config_static_selectorELNS0_4arch9wavefront6targetE0EEEvSH_
		.amdhsa_group_segment_fixed_size 0
		.amdhsa_private_segment_fixed_size 0
		.amdhsa_kernarg_size 88
		.amdhsa_user_sgpr_count 6
		.amdhsa_user_sgpr_private_segment_buffer 1
		.amdhsa_user_sgpr_dispatch_ptr 0
		.amdhsa_user_sgpr_queue_ptr 0
		.amdhsa_user_sgpr_kernarg_segment_ptr 1
		.amdhsa_user_sgpr_dispatch_id 0
		.amdhsa_user_sgpr_flat_scratch_init 0
		.amdhsa_user_sgpr_private_segment_size 0
		.amdhsa_wavefront_size32 1
		.amdhsa_uses_dynamic_stack 0
		.amdhsa_system_sgpr_private_segment_wavefront_offset 0
		.amdhsa_system_sgpr_workgroup_id_x 1
		.amdhsa_system_sgpr_workgroup_id_y 0
		.amdhsa_system_sgpr_workgroup_id_z 0
		.amdhsa_system_sgpr_workgroup_info 0
		.amdhsa_system_vgpr_workitem_id 0
		.amdhsa_next_free_vgpr 1
		.amdhsa_next_free_sgpr 1
		.amdhsa_reserve_vcc 0
		.amdhsa_reserve_flat_scratch 0
		.amdhsa_float_round_mode_32 0
		.amdhsa_float_round_mode_16_64 0
		.amdhsa_float_denorm_mode_32 3
		.amdhsa_float_denorm_mode_16_64 3
		.amdhsa_dx10_clamp 1
		.amdhsa_ieee_mode 1
		.amdhsa_fp16_overflow 0
		.amdhsa_workgroup_processor_mode 1
		.amdhsa_memory_ordered 1
		.amdhsa_forward_progress 1
		.amdhsa_shared_vgpr_count 0
		.amdhsa_exception_fp_ieee_invalid_op 0
		.amdhsa_exception_fp_denorm_src 0
		.amdhsa_exception_fp_ieee_div_zero 0
		.amdhsa_exception_fp_ieee_overflow 0
		.amdhsa_exception_fp_ieee_underflow 0
		.amdhsa_exception_fp_ieee_inexact 0
		.amdhsa_exception_int_div_zero 0
	.end_amdhsa_kernel
	.section	.text._ZN7rocprim17ROCPRIM_400000_NS6detail17trampoline_kernelINS0_14default_configENS1_35radix_sort_onesweep_config_selectorIiNS0_10empty_typeEEEZZNS1_29radix_sort_onesweep_iterationIS3_Lb0EN6thrust23THRUST_200600_302600_NS10device_ptrIiEESB_PS5_SC_jNS0_19identity_decomposerENS1_16block_id_wrapperIjLb1EEEEE10hipError_tT1_PNSt15iterator_traitsISH_E10value_typeET2_T3_PNSI_ISN_E10value_typeET4_T5_PSS_ST_PNS1_23onesweep_lookback_stateEbbT6_jjT7_P12ihipStream_tbENKUlT_T0_SH_SM_E_clISB_PiSC_SC_EEDaS10_S11_SH_SM_EUlS10_E_NS1_11comp_targetILNS1_3genE4ELNS1_11target_archE910ELNS1_3gpuE8ELNS1_3repE0EEENS1_47radix_sort_onesweep_sort_config_static_selectorELNS0_4arch9wavefront6targetE0EEEvSH_,"axG",@progbits,_ZN7rocprim17ROCPRIM_400000_NS6detail17trampoline_kernelINS0_14default_configENS1_35radix_sort_onesweep_config_selectorIiNS0_10empty_typeEEEZZNS1_29radix_sort_onesweep_iterationIS3_Lb0EN6thrust23THRUST_200600_302600_NS10device_ptrIiEESB_PS5_SC_jNS0_19identity_decomposerENS1_16block_id_wrapperIjLb1EEEEE10hipError_tT1_PNSt15iterator_traitsISH_E10value_typeET2_T3_PNSI_ISN_E10value_typeET4_T5_PSS_ST_PNS1_23onesweep_lookback_stateEbbT6_jjT7_P12ihipStream_tbENKUlT_T0_SH_SM_E_clISB_PiSC_SC_EEDaS10_S11_SH_SM_EUlS10_E_NS1_11comp_targetILNS1_3genE4ELNS1_11target_archE910ELNS1_3gpuE8ELNS1_3repE0EEENS1_47radix_sort_onesweep_sort_config_static_selectorELNS0_4arch9wavefront6targetE0EEEvSH_,comdat
.Lfunc_end1257:
	.size	_ZN7rocprim17ROCPRIM_400000_NS6detail17trampoline_kernelINS0_14default_configENS1_35radix_sort_onesweep_config_selectorIiNS0_10empty_typeEEEZZNS1_29radix_sort_onesweep_iterationIS3_Lb0EN6thrust23THRUST_200600_302600_NS10device_ptrIiEESB_PS5_SC_jNS0_19identity_decomposerENS1_16block_id_wrapperIjLb1EEEEE10hipError_tT1_PNSt15iterator_traitsISH_E10value_typeET2_T3_PNSI_ISN_E10value_typeET4_T5_PSS_ST_PNS1_23onesweep_lookback_stateEbbT6_jjT7_P12ihipStream_tbENKUlT_T0_SH_SM_E_clISB_PiSC_SC_EEDaS10_S11_SH_SM_EUlS10_E_NS1_11comp_targetILNS1_3genE4ELNS1_11target_archE910ELNS1_3gpuE8ELNS1_3repE0EEENS1_47radix_sort_onesweep_sort_config_static_selectorELNS0_4arch9wavefront6targetE0EEEvSH_, .Lfunc_end1257-_ZN7rocprim17ROCPRIM_400000_NS6detail17trampoline_kernelINS0_14default_configENS1_35radix_sort_onesweep_config_selectorIiNS0_10empty_typeEEEZZNS1_29radix_sort_onesweep_iterationIS3_Lb0EN6thrust23THRUST_200600_302600_NS10device_ptrIiEESB_PS5_SC_jNS0_19identity_decomposerENS1_16block_id_wrapperIjLb1EEEEE10hipError_tT1_PNSt15iterator_traitsISH_E10value_typeET2_T3_PNSI_ISN_E10value_typeET4_T5_PSS_ST_PNS1_23onesweep_lookback_stateEbbT6_jjT7_P12ihipStream_tbENKUlT_T0_SH_SM_E_clISB_PiSC_SC_EEDaS10_S11_SH_SM_EUlS10_E_NS1_11comp_targetILNS1_3genE4ELNS1_11target_archE910ELNS1_3gpuE8ELNS1_3repE0EEENS1_47radix_sort_onesweep_sort_config_static_selectorELNS0_4arch9wavefront6targetE0EEEvSH_
                                        ; -- End function
	.set _ZN7rocprim17ROCPRIM_400000_NS6detail17trampoline_kernelINS0_14default_configENS1_35radix_sort_onesweep_config_selectorIiNS0_10empty_typeEEEZZNS1_29radix_sort_onesweep_iterationIS3_Lb0EN6thrust23THRUST_200600_302600_NS10device_ptrIiEESB_PS5_SC_jNS0_19identity_decomposerENS1_16block_id_wrapperIjLb1EEEEE10hipError_tT1_PNSt15iterator_traitsISH_E10value_typeET2_T3_PNSI_ISN_E10value_typeET4_T5_PSS_ST_PNS1_23onesweep_lookback_stateEbbT6_jjT7_P12ihipStream_tbENKUlT_T0_SH_SM_E_clISB_PiSC_SC_EEDaS10_S11_SH_SM_EUlS10_E_NS1_11comp_targetILNS1_3genE4ELNS1_11target_archE910ELNS1_3gpuE8ELNS1_3repE0EEENS1_47radix_sort_onesweep_sort_config_static_selectorELNS0_4arch9wavefront6targetE0EEEvSH_.num_vgpr, 0
	.set _ZN7rocprim17ROCPRIM_400000_NS6detail17trampoline_kernelINS0_14default_configENS1_35radix_sort_onesweep_config_selectorIiNS0_10empty_typeEEEZZNS1_29radix_sort_onesweep_iterationIS3_Lb0EN6thrust23THRUST_200600_302600_NS10device_ptrIiEESB_PS5_SC_jNS0_19identity_decomposerENS1_16block_id_wrapperIjLb1EEEEE10hipError_tT1_PNSt15iterator_traitsISH_E10value_typeET2_T3_PNSI_ISN_E10value_typeET4_T5_PSS_ST_PNS1_23onesweep_lookback_stateEbbT6_jjT7_P12ihipStream_tbENKUlT_T0_SH_SM_E_clISB_PiSC_SC_EEDaS10_S11_SH_SM_EUlS10_E_NS1_11comp_targetILNS1_3genE4ELNS1_11target_archE910ELNS1_3gpuE8ELNS1_3repE0EEENS1_47radix_sort_onesweep_sort_config_static_selectorELNS0_4arch9wavefront6targetE0EEEvSH_.num_agpr, 0
	.set _ZN7rocprim17ROCPRIM_400000_NS6detail17trampoline_kernelINS0_14default_configENS1_35radix_sort_onesweep_config_selectorIiNS0_10empty_typeEEEZZNS1_29radix_sort_onesweep_iterationIS3_Lb0EN6thrust23THRUST_200600_302600_NS10device_ptrIiEESB_PS5_SC_jNS0_19identity_decomposerENS1_16block_id_wrapperIjLb1EEEEE10hipError_tT1_PNSt15iterator_traitsISH_E10value_typeET2_T3_PNSI_ISN_E10value_typeET4_T5_PSS_ST_PNS1_23onesweep_lookback_stateEbbT6_jjT7_P12ihipStream_tbENKUlT_T0_SH_SM_E_clISB_PiSC_SC_EEDaS10_S11_SH_SM_EUlS10_E_NS1_11comp_targetILNS1_3genE4ELNS1_11target_archE910ELNS1_3gpuE8ELNS1_3repE0EEENS1_47radix_sort_onesweep_sort_config_static_selectorELNS0_4arch9wavefront6targetE0EEEvSH_.numbered_sgpr, 0
	.set _ZN7rocprim17ROCPRIM_400000_NS6detail17trampoline_kernelINS0_14default_configENS1_35radix_sort_onesweep_config_selectorIiNS0_10empty_typeEEEZZNS1_29radix_sort_onesweep_iterationIS3_Lb0EN6thrust23THRUST_200600_302600_NS10device_ptrIiEESB_PS5_SC_jNS0_19identity_decomposerENS1_16block_id_wrapperIjLb1EEEEE10hipError_tT1_PNSt15iterator_traitsISH_E10value_typeET2_T3_PNSI_ISN_E10value_typeET4_T5_PSS_ST_PNS1_23onesweep_lookback_stateEbbT6_jjT7_P12ihipStream_tbENKUlT_T0_SH_SM_E_clISB_PiSC_SC_EEDaS10_S11_SH_SM_EUlS10_E_NS1_11comp_targetILNS1_3genE4ELNS1_11target_archE910ELNS1_3gpuE8ELNS1_3repE0EEENS1_47radix_sort_onesweep_sort_config_static_selectorELNS0_4arch9wavefront6targetE0EEEvSH_.num_named_barrier, 0
	.set _ZN7rocprim17ROCPRIM_400000_NS6detail17trampoline_kernelINS0_14default_configENS1_35radix_sort_onesweep_config_selectorIiNS0_10empty_typeEEEZZNS1_29radix_sort_onesweep_iterationIS3_Lb0EN6thrust23THRUST_200600_302600_NS10device_ptrIiEESB_PS5_SC_jNS0_19identity_decomposerENS1_16block_id_wrapperIjLb1EEEEE10hipError_tT1_PNSt15iterator_traitsISH_E10value_typeET2_T3_PNSI_ISN_E10value_typeET4_T5_PSS_ST_PNS1_23onesweep_lookback_stateEbbT6_jjT7_P12ihipStream_tbENKUlT_T0_SH_SM_E_clISB_PiSC_SC_EEDaS10_S11_SH_SM_EUlS10_E_NS1_11comp_targetILNS1_3genE4ELNS1_11target_archE910ELNS1_3gpuE8ELNS1_3repE0EEENS1_47radix_sort_onesweep_sort_config_static_selectorELNS0_4arch9wavefront6targetE0EEEvSH_.private_seg_size, 0
	.set _ZN7rocprim17ROCPRIM_400000_NS6detail17trampoline_kernelINS0_14default_configENS1_35radix_sort_onesweep_config_selectorIiNS0_10empty_typeEEEZZNS1_29radix_sort_onesweep_iterationIS3_Lb0EN6thrust23THRUST_200600_302600_NS10device_ptrIiEESB_PS5_SC_jNS0_19identity_decomposerENS1_16block_id_wrapperIjLb1EEEEE10hipError_tT1_PNSt15iterator_traitsISH_E10value_typeET2_T3_PNSI_ISN_E10value_typeET4_T5_PSS_ST_PNS1_23onesweep_lookback_stateEbbT6_jjT7_P12ihipStream_tbENKUlT_T0_SH_SM_E_clISB_PiSC_SC_EEDaS10_S11_SH_SM_EUlS10_E_NS1_11comp_targetILNS1_3genE4ELNS1_11target_archE910ELNS1_3gpuE8ELNS1_3repE0EEENS1_47radix_sort_onesweep_sort_config_static_selectorELNS0_4arch9wavefront6targetE0EEEvSH_.uses_vcc, 0
	.set _ZN7rocprim17ROCPRIM_400000_NS6detail17trampoline_kernelINS0_14default_configENS1_35radix_sort_onesweep_config_selectorIiNS0_10empty_typeEEEZZNS1_29radix_sort_onesweep_iterationIS3_Lb0EN6thrust23THRUST_200600_302600_NS10device_ptrIiEESB_PS5_SC_jNS0_19identity_decomposerENS1_16block_id_wrapperIjLb1EEEEE10hipError_tT1_PNSt15iterator_traitsISH_E10value_typeET2_T3_PNSI_ISN_E10value_typeET4_T5_PSS_ST_PNS1_23onesweep_lookback_stateEbbT6_jjT7_P12ihipStream_tbENKUlT_T0_SH_SM_E_clISB_PiSC_SC_EEDaS10_S11_SH_SM_EUlS10_E_NS1_11comp_targetILNS1_3genE4ELNS1_11target_archE910ELNS1_3gpuE8ELNS1_3repE0EEENS1_47radix_sort_onesweep_sort_config_static_selectorELNS0_4arch9wavefront6targetE0EEEvSH_.uses_flat_scratch, 0
	.set _ZN7rocprim17ROCPRIM_400000_NS6detail17trampoline_kernelINS0_14default_configENS1_35radix_sort_onesweep_config_selectorIiNS0_10empty_typeEEEZZNS1_29radix_sort_onesweep_iterationIS3_Lb0EN6thrust23THRUST_200600_302600_NS10device_ptrIiEESB_PS5_SC_jNS0_19identity_decomposerENS1_16block_id_wrapperIjLb1EEEEE10hipError_tT1_PNSt15iterator_traitsISH_E10value_typeET2_T3_PNSI_ISN_E10value_typeET4_T5_PSS_ST_PNS1_23onesweep_lookback_stateEbbT6_jjT7_P12ihipStream_tbENKUlT_T0_SH_SM_E_clISB_PiSC_SC_EEDaS10_S11_SH_SM_EUlS10_E_NS1_11comp_targetILNS1_3genE4ELNS1_11target_archE910ELNS1_3gpuE8ELNS1_3repE0EEENS1_47radix_sort_onesweep_sort_config_static_selectorELNS0_4arch9wavefront6targetE0EEEvSH_.has_dyn_sized_stack, 0
	.set _ZN7rocprim17ROCPRIM_400000_NS6detail17trampoline_kernelINS0_14default_configENS1_35radix_sort_onesweep_config_selectorIiNS0_10empty_typeEEEZZNS1_29radix_sort_onesweep_iterationIS3_Lb0EN6thrust23THRUST_200600_302600_NS10device_ptrIiEESB_PS5_SC_jNS0_19identity_decomposerENS1_16block_id_wrapperIjLb1EEEEE10hipError_tT1_PNSt15iterator_traitsISH_E10value_typeET2_T3_PNSI_ISN_E10value_typeET4_T5_PSS_ST_PNS1_23onesweep_lookback_stateEbbT6_jjT7_P12ihipStream_tbENKUlT_T0_SH_SM_E_clISB_PiSC_SC_EEDaS10_S11_SH_SM_EUlS10_E_NS1_11comp_targetILNS1_3genE4ELNS1_11target_archE910ELNS1_3gpuE8ELNS1_3repE0EEENS1_47radix_sort_onesweep_sort_config_static_selectorELNS0_4arch9wavefront6targetE0EEEvSH_.has_recursion, 0
	.set _ZN7rocprim17ROCPRIM_400000_NS6detail17trampoline_kernelINS0_14default_configENS1_35radix_sort_onesweep_config_selectorIiNS0_10empty_typeEEEZZNS1_29radix_sort_onesweep_iterationIS3_Lb0EN6thrust23THRUST_200600_302600_NS10device_ptrIiEESB_PS5_SC_jNS0_19identity_decomposerENS1_16block_id_wrapperIjLb1EEEEE10hipError_tT1_PNSt15iterator_traitsISH_E10value_typeET2_T3_PNSI_ISN_E10value_typeET4_T5_PSS_ST_PNS1_23onesweep_lookback_stateEbbT6_jjT7_P12ihipStream_tbENKUlT_T0_SH_SM_E_clISB_PiSC_SC_EEDaS10_S11_SH_SM_EUlS10_E_NS1_11comp_targetILNS1_3genE4ELNS1_11target_archE910ELNS1_3gpuE8ELNS1_3repE0EEENS1_47radix_sort_onesweep_sort_config_static_selectorELNS0_4arch9wavefront6targetE0EEEvSH_.has_indirect_call, 0
	.section	.AMDGPU.csdata,"",@progbits
; Kernel info:
; codeLenInByte = 0
; TotalNumSgprs: 0
; NumVgprs: 0
; ScratchSize: 0
; MemoryBound: 0
; FloatMode: 240
; IeeeMode: 1
; LDSByteSize: 0 bytes/workgroup (compile time only)
; SGPRBlocks: 0
; VGPRBlocks: 0
; NumSGPRsForWavesPerEU: 1
; NumVGPRsForWavesPerEU: 1
; Occupancy: 16
; WaveLimiterHint : 0
; COMPUTE_PGM_RSRC2:SCRATCH_EN: 0
; COMPUTE_PGM_RSRC2:USER_SGPR: 6
; COMPUTE_PGM_RSRC2:TRAP_HANDLER: 0
; COMPUTE_PGM_RSRC2:TGID_X_EN: 1
; COMPUTE_PGM_RSRC2:TGID_Y_EN: 0
; COMPUTE_PGM_RSRC2:TGID_Z_EN: 0
; COMPUTE_PGM_RSRC2:TIDIG_COMP_CNT: 0
	.section	.text._ZN7rocprim17ROCPRIM_400000_NS6detail17trampoline_kernelINS0_14default_configENS1_35radix_sort_onesweep_config_selectorIiNS0_10empty_typeEEEZZNS1_29radix_sort_onesweep_iterationIS3_Lb0EN6thrust23THRUST_200600_302600_NS10device_ptrIiEESB_PS5_SC_jNS0_19identity_decomposerENS1_16block_id_wrapperIjLb1EEEEE10hipError_tT1_PNSt15iterator_traitsISH_E10value_typeET2_T3_PNSI_ISN_E10value_typeET4_T5_PSS_ST_PNS1_23onesweep_lookback_stateEbbT6_jjT7_P12ihipStream_tbENKUlT_T0_SH_SM_E_clISB_PiSC_SC_EEDaS10_S11_SH_SM_EUlS10_E_NS1_11comp_targetILNS1_3genE3ELNS1_11target_archE908ELNS1_3gpuE7ELNS1_3repE0EEENS1_47radix_sort_onesweep_sort_config_static_selectorELNS0_4arch9wavefront6targetE0EEEvSH_,"axG",@progbits,_ZN7rocprim17ROCPRIM_400000_NS6detail17trampoline_kernelINS0_14default_configENS1_35radix_sort_onesweep_config_selectorIiNS0_10empty_typeEEEZZNS1_29radix_sort_onesweep_iterationIS3_Lb0EN6thrust23THRUST_200600_302600_NS10device_ptrIiEESB_PS5_SC_jNS0_19identity_decomposerENS1_16block_id_wrapperIjLb1EEEEE10hipError_tT1_PNSt15iterator_traitsISH_E10value_typeET2_T3_PNSI_ISN_E10value_typeET4_T5_PSS_ST_PNS1_23onesweep_lookback_stateEbbT6_jjT7_P12ihipStream_tbENKUlT_T0_SH_SM_E_clISB_PiSC_SC_EEDaS10_S11_SH_SM_EUlS10_E_NS1_11comp_targetILNS1_3genE3ELNS1_11target_archE908ELNS1_3gpuE7ELNS1_3repE0EEENS1_47radix_sort_onesweep_sort_config_static_selectorELNS0_4arch9wavefront6targetE0EEEvSH_,comdat
	.protected	_ZN7rocprim17ROCPRIM_400000_NS6detail17trampoline_kernelINS0_14default_configENS1_35radix_sort_onesweep_config_selectorIiNS0_10empty_typeEEEZZNS1_29radix_sort_onesweep_iterationIS3_Lb0EN6thrust23THRUST_200600_302600_NS10device_ptrIiEESB_PS5_SC_jNS0_19identity_decomposerENS1_16block_id_wrapperIjLb1EEEEE10hipError_tT1_PNSt15iterator_traitsISH_E10value_typeET2_T3_PNSI_ISN_E10value_typeET4_T5_PSS_ST_PNS1_23onesweep_lookback_stateEbbT6_jjT7_P12ihipStream_tbENKUlT_T0_SH_SM_E_clISB_PiSC_SC_EEDaS10_S11_SH_SM_EUlS10_E_NS1_11comp_targetILNS1_3genE3ELNS1_11target_archE908ELNS1_3gpuE7ELNS1_3repE0EEENS1_47radix_sort_onesweep_sort_config_static_selectorELNS0_4arch9wavefront6targetE0EEEvSH_ ; -- Begin function _ZN7rocprim17ROCPRIM_400000_NS6detail17trampoline_kernelINS0_14default_configENS1_35radix_sort_onesweep_config_selectorIiNS0_10empty_typeEEEZZNS1_29radix_sort_onesweep_iterationIS3_Lb0EN6thrust23THRUST_200600_302600_NS10device_ptrIiEESB_PS5_SC_jNS0_19identity_decomposerENS1_16block_id_wrapperIjLb1EEEEE10hipError_tT1_PNSt15iterator_traitsISH_E10value_typeET2_T3_PNSI_ISN_E10value_typeET4_T5_PSS_ST_PNS1_23onesweep_lookback_stateEbbT6_jjT7_P12ihipStream_tbENKUlT_T0_SH_SM_E_clISB_PiSC_SC_EEDaS10_S11_SH_SM_EUlS10_E_NS1_11comp_targetILNS1_3genE3ELNS1_11target_archE908ELNS1_3gpuE7ELNS1_3repE0EEENS1_47radix_sort_onesweep_sort_config_static_selectorELNS0_4arch9wavefront6targetE0EEEvSH_
	.globl	_ZN7rocprim17ROCPRIM_400000_NS6detail17trampoline_kernelINS0_14default_configENS1_35radix_sort_onesweep_config_selectorIiNS0_10empty_typeEEEZZNS1_29radix_sort_onesweep_iterationIS3_Lb0EN6thrust23THRUST_200600_302600_NS10device_ptrIiEESB_PS5_SC_jNS0_19identity_decomposerENS1_16block_id_wrapperIjLb1EEEEE10hipError_tT1_PNSt15iterator_traitsISH_E10value_typeET2_T3_PNSI_ISN_E10value_typeET4_T5_PSS_ST_PNS1_23onesweep_lookback_stateEbbT6_jjT7_P12ihipStream_tbENKUlT_T0_SH_SM_E_clISB_PiSC_SC_EEDaS10_S11_SH_SM_EUlS10_E_NS1_11comp_targetILNS1_3genE3ELNS1_11target_archE908ELNS1_3gpuE7ELNS1_3repE0EEENS1_47radix_sort_onesweep_sort_config_static_selectorELNS0_4arch9wavefront6targetE0EEEvSH_
	.p2align	8
	.type	_ZN7rocprim17ROCPRIM_400000_NS6detail17trampoline_kernelINS0_14default_configENS1_35radix_sort_onesweep_config_selectorIiNS0_10empty_typeEEEZZNS1_29radix_sort_onesweep_iterationIS3_Lb0EN6thrust23THRUST_200600_302600_NS10device_ptrIiEESB_PS5_SC_jNS0_19identity_decomposerENS1_16block_id_wrapperIjLb1EEEEE10hipError_tT1_PNSt15iterator_traitsISH_E10value_typeET2_T3_PNSI_ISN_E10value_typeET4_T5_PSS_ST_PNS1_23onesweep_lookback_stateEbbT6_jjT7_P12ihipStream_tbENKUlT_T0_SH_SM_E_clISB_PiSC_SC_EEDaS10_S11_SH_SM_EUlS10_E_NS1_11comp_targetILNS1_3genE3ELNS1_11target_archE908ELNS1_3gpuE7ELNS1_3repE0EEENS1_47radix_sort_onesweep_sort_config_static_selectorELNS0_4arch9wavefront6targetE0EEEvSH_,@function
_ZN7rocprim17ROCPRIM_400000_NS6detail17trampoline_kernelINS0_14default_configENS1_35radix_sort_onesweep_config_selectorIiNS0_10empty_typeEEEZZNS1_29radix_sort_onesweep_iterationIS3_Lb0EN6thrust23THRUST_200600_302600_NS10device_ptrIiEESB_PS5_SC_jNS0_19identity_decomposerENS1_16block_id_wrapperIjLb1EEEEE10hipError_tT1_PNSt15iterator_traitsISH_E10value_typeET2_T3_PNSI_ISN_E10value_typeET4_T5_PSS_ST_PNS1_23onesweep_lookback_stateEbbT6_jjT7_P12ihipStream_tbENKUlT_T0_SH_SM_E_clISB_PiSC_SC_EEDaS10_S11_SH_SM_EUlS10_E_NS1_11comp_targetILNS1_3genE3ELNS1_11target_archE908ELNS1_3gpuE7ELNS1_3repE0EEENS1_47radix_sort_onesweep_sort_config_static_selectorELNS0_4arch9wavefront6targetE0EEEvSH_: ; @_ZN7rocprim17ROCPRIM_400000_NS6detail17trampoline_kernelINS0_14default_configENS1_35radix_sort_onesweep_config_selectorIiNS0_10empty_typeEEEZZNS1_29radix_sort_onesweep_iterationIS3_Lb0EN6thrust23THRUST_200600_302600_NS10device_ptrIiEESB_PS5_SC_jNS0_19identity_decomposerENS1_16block_id_wrapperIjLb1EEEEE10hipError_tT1_PNSt15iterator_traitsISH_E10value_typeET2_T3_PNSI_ISN_E10value_typeET4_T5_PSS_ST_PNS1_23onesweep_lookback_stateEbbT6_jjT7_P12ihipStream_tbENKUlT_T0_SH_SM_E_clISB_PiSC_SC_EEDaS10_S11_SH_SM_EUlS10_E_NS1_11comp_targetILNS1_3genE3ELNS1_11target_archE908ELNS1_3gpuE7ELNS1_3repE0EEENS1_47radix_sort_onesweep_sort_config_static_selectorELNS0_4arch9wavefront6targetE0EEEvSH_
; %bb.0:
	.section	.rodata,"a",@progbits
	.p2align	6, 0x0
	.amdhsa_kernel _ZN7rocprim17ROCPRIM_400000_NS6detail17trampoline_kernelINS0_14default_configENS1_35radix_sort_onesweep_config_selectorIiNS0_10empty_typeEEEZZNS1_29radix_sort_onesweep_iterationIS3_Lb0EN6thrust23THRUST_200600_302600_NS10device_ptrIiEESB_PS5_SC_jNS0_19identity_decomposerENS1_16block_id_wrapperIjLb1EEEEE10hipError_tT1_PNSt15iterator_traitsISH_E10value_typeET2_T3_PNSI_ISN_E10value_typeET4_T5_PSS_ST_PNS1_23onesweep_lookback_stateEbbT6_jjT7_P12ihipStream_tbENKUlT_T0_SH_SM_E_clISB_PiSC_SC_EEDaS10_S11_SH_SM_EUlS10_E_NS1_11comp_targetILNS1_3genE3ELNS1_11target_archE908ELNS1_3gpuE7ELNS1_3repE0EEENS1_47radix_sort_onesweep_sort_config_static_selectorELNS0_4arch9wavefront6targetE0EEEvSH_
		.amdhsa_group_segment_fixed_size 0
		.amdhsa_private_segment_fixed_size 0
		.amdhsa_kernarg_size 88
		.amdhsa_user_sgpr_count 6
		.amdhsa_user_sgpr_private_segment_buffer 1
		.amdhsa_user_sgpr_dispatch_ptr 0
		.amdhsa_user_sgpr_queue_ptr 0
		.amdhsa_user_sgpr_kernarg_segment_ptr 1
		.amdhsa_user_sgpr_dispatch_id 0
		.amdhsa_user_sgpr_flat_scratch_init 0
		.amdhsa_user_sgpr_private_segment_size 0
		.amdhsa_wavefront_size32 1
		.amdhsa_uses_dynamic_stack 0
		.amdhsa_system_sgpr_private_segment_wavefront_offset 0
		.amdhsa_system_sgpr_workgroup_id_x 1
		.amdhsa_system_sgpr_workgroup_id_y 0
		.amdhsa_system_sgpr_workgroup_id_z 0
		.amdhsa_system_sgpr_workgroup_info 0
		.amdhsa_system_vgpr_workitem_id 0
		.amdhsa_next_free_vgpr 1
		.amdhsa_next_free_sgpr 1
		.amdhsa_reserve_vcc 0
		.amdhsa_reserve_flat_scratch 0
		.amdhsa_float_round_mode_32 0
		.amdhsa_float_round_mode_16_64 0
		.amdhsa_float_denorm_mode_32 3
		.amdhsa_float_denorm_mode_16_64 3
		.amdhsa_dx10_clamp 1
		.amdhsa_ieee_mode 1
		.amdhsa_fp16_overflow 0
		.amdhsa_workgroup_processor_mode 1
		.amdhsa_memory_ordered 1
		.amdhsa_forward_progress 1
		.amdhsa_shared_vgpr_count 0
		.amdhsa_exception_fp_ieee_invalid_op 0
		.amdhsa_exception_fp_denorm_src 0
		.amdhsa_exception_fp_ieee_div_zero 0
		.amdhsa_exception_fp_ieee_overflow 0
		.amdhsa_exception_fp_ieee_underflow 0
		.amdhsa_exception_fp_ieee_inexact 0
		.amdhsa_exception_int_div_zero 0
	.end_amdhsa_kernel
	.section	.text._ZN7rocprim17ROCPRIM_400000_NS6detail17trampoline_kernelINS0_14default_configENS1_35radix_sort_onesweep_config_selectorIiNS0_10empty_typeEEEZZNS1_29radix_sort_onesweep_iterationIS3_Lb0EN6thrust23THRUST_200600_302600_NS10device_ptrIiEESB_PS5_SC_jNS0_19identity_decomposerENS1_16block_id_wrapperIjLb1EEEEE10hipError_tT1_PNSt15iterator_traitsISH_E10value_typeET2_T3_PNSI_ISN_E10value_typeET4_T5_PSS_ST_PNS1_23onesweep_lookback_stateEbbT6_jjT7_P12ihipStream_tbENKUlT_T0_SH_SM_E_clISB_PiSC_SC_EEDaS10_S11_SH_SM_EUlS10_E_NS1_11comp_targetILNS1_3genE3ELNS1_11target_archE908ELNS1_3gpuE7ELNS1_3repE0EEENS1_47radix_sort_onesweep_sort_config_static_selectorELNS0_4arch9wavefront6targetE0EEEvSH_,"axG",@progbits,_ZN7rocprim17ROCPRIM_400000_NS6detail17trampoline_kernelINS0_14default_configENS1_35radix_sort_onesweep_config_selectorIiNS0_10empty_typeEEEZZNS1_29radix_sort_onesweep_iterationIS3_Lb0EN6thrust23THRUST_200600_302600_NS10device_ptrIiEESB_PS5_SC_jNS0_19identity_decomposerENS1_16block_id_wrapperIjLb1EEEEE10hipError_tT1_PNSt15iterator_traitsISH_E10value_typeET2_T3_PNSI_ISN_E10value_typeET4_T5_PSS_ST_PNS1_23onesweep_lookback_stateEbbT6_jjT7_P12ihipStream_tbENKUlT_T0_SH_SM_E_clISB_PiSC_SC_EEDaS10_S11_SH_SM_EUlS10_E_NS1_11comp_targetILNS1_3genE3ELNS1_11target_archE908ELNS1_3gpuE7ELNS1_3repE0EEENS1_47radix_sort_onesweep_sort_config_static_selectorELNS0_4arch9wavefront6targetE0EEEvSH_,comdat
.Lfunc_end1258:
	.size	_ZN7rocprim17ROCPRIM_400000_NS6detail17trampoline_kernelINS0_14default_configENS1_35radix_sort_onesweep_config_selectorIiNS0_10empty_typeEEEZZNS1_29radix_sort_onesweep_iterationIS3_Lb0EN6thrust23THRUST_200600_302600_NS10device_ptrIiEESB_PS5_SC_jNS0_19identity_decomposerENS1_16block_id_wrapperIjLb1EEEEE10hipError_tT1_PNSt15iterator_traitsISH_E10value_typeET2_T3_PNSI_ISN_E10value_typeET4_T5_PSS_ST_PNS1_23onesweep_lookback_stateEbbT6_jjT7_P12ihipStream_tbENKUlT_T0_SH_SM_E_clISB_PiSC_SC_EEDaS10_S11_SH_SM_EUlS10_E_NS1_11comp_targetILNS1_3genE3ELNS1_11target_archE908ELNS1_3gpuE7ELNS1_3repE0EEENS1_47radix_sort_onesweep_sort_config_static_selectorELNS0_4arch9wavefront6targetE0EEEvSH_, .Lfunc_end1258-_ZN7rocprim17ROCPRIM_400000_NS6detail17trampoline_kernelINS0_14default_configENS1_35radix_sort_onesweep_config_selectorIiNS0_10empty_typeEEEZZNS1_29radix_sort_onesweep_iterationIS3_Lb0EN6thrust23THRUST_200600_302600_NS10device_ptrIiEESB_PS5_SC_jNS0_19identity_decomposerENS1_16block_id_wrapperIjLb1EEEEE10hipError_tT1_PNSt15iterator_traitsISH_E10value_typeET2_T3_PNSI_ISN_E10value_typeET4_T5_PSS_ST_PNS1_23onesweep_lookback_stateEbbT6_jjT7_P12ihipStream_tbENKUlT_T0_SH_SM_E_clISB_PiSC_SC_EEDaS10_S11_SH_SM_EUlS10_E_NS1_11comp_targetILNS1_3genE3ELNS1_11target_archE908ELNS1_3gpuE7ELNS1_3repE0EEENS1_47radix_sort_onesweep_sort_config_static_selectorELNS0_4arch9wavefront6targetE0EEEvSH_
                                        ; -- End function
	.set _ZN7rocprim17ROCPRIM_400000_NS6detail17trampoline_kernelINS0_14default_configENS1_35radix_sort_onesweep_config_selectorIiNS0_10empty_typeEEEZZNS1_29radix_sort_onesweep_iterationIS3_Lb0EN6thrust23THRUST_200600_302600_NS10device_ptrIiEESB_PS5_SC_jNS0_19identity_decomposerENS1_16block_id_wrapperIjLb1EEEEE10hipError_tT1_PNSt15iterator_traitsISH_E10value_typeET2_T3_PNSI_ISN_E10value_typeET4_T5_PSS_ST_PNS1_23onesweep_lookback_stateEbbT6_jjT7_P12ihipStream_tbENKUlT_T0_SH_SM_E_clISB_PiSC_SC_EEDaS10_S11_SH_SM_EUlS10_E_NS1_11comp_targetILNS1_3genE3ELNS1_11target_archE908ELNS1_3gpuE7ELNS1_3repE0EEENS1_47radix_sort_onesweep_sort_config_static_selectorELNS0_4arch9wavefront6targetE0EEEvSH_.num_vgpr, 0
	.set _ZN7rocprim17ROCPRIM_400000_NS6detail17trampoline_kernelINS0_14default_configENS1_35radix_sort_onesweep_config_selectorIiNS0_10empty_typeEEEZZNS1_29radix_sort_onesweep_iterationIS3_Lb0EN6thrust23THRUST_200600_302600_NS10device_ptrIiEESB_PS5_SC_jNS0_19identity_decomposerENS1_16block_id_wrapperIjLb1EEEEE10hipError_tT1_PNSt15iterator_traitsISH_E10value_typeET2_T3_PNSI_ISN_E10value_typeET4_T5_PSS_ST_PNS1_23onesweep_lookback_stateEbbT6_jjT7_P12ihipStream_tbENKUlT_T0_SH_SM_E_clISB_PiSC_SC_EEDaS10_S11_SH_SM_EUlS10_E_NS1_11comp_targetILNS1_3genE3ELNS1_11target_archE908ELNS1_3gpuE7ELNS1_3repE0EEENS1_47radix_sort_onesweep_sort_config_static_selectorELNS0_4arch9wavefront6targetE0EEEvSH_.num_agpr, 0
	.set _ZN7rocprim17ROCPRIM_400000_NS6detail17trampoline_kernelINS0_14default_configENS1_35radix_sort_onesweep_config_selectorIiNS0_10empty_typeEEEZZNS1_29radix_sort_onesweep_iterationIS3_Lb0EN6thrust23THRUST_200600_302600_NS10device_ptrIiEESB_PS5_SC_jNS0_19identity_decomposerENS1_16block_id_wrapperIjLb1EEEEE10hipError_tT1_PNSt15iterator_traitsISH_E10value_typeET2_T3_PNSI_ISN_E10value_typeET4_T5_PSS_ST_PNS1_23onesweep_lookback_stateEbbT6_jjT7_P12ihipStream_tbENKUlT_T0_SH_SM_E_clISB_PiSC_SC_EEDaS10_S11_SH_SM_EUlS10_E_NS1_11comp_targetILNS1_3genE3ELNS1_11target_archE908ELNS1_3gpuE7ELNS1_3repE0EEENS1_47radix_sort_onesweep_sort_config_static_selectorELNS0_4arch9wavefront6targetE0EEEvSH_.numbered_sgpr, 0
	.set _ZN7rocprim17ROCPRIM_400000_NS6detail17trampoline_kernelINS0_14default_configENS1_35radix_sort_onesweep_config_selectorIiNS0_10empty_typeEEEZZNS1_29radix_sort_onesweep_iterationIS3_Lb0EN6thrust23THRUST_200600_302600_NS10device_ptrIiEESB_PS5_SC_jNS0_19identity_decomposerENS1_16block_id_wrapperIjLb1EEEEE10hipError_tT1_PNSt15iterator_traitsISH_E10value_typeET2_T3_PNSI_ISN_E10value_typeET4_T5_PSS_ST_PNS1_23onesweep_lookback_stateEbbT6_jjT7_P12ihipStream_tbENKUlT_T0_SH_SM_E_clISB_PiSC_SC_EEDaS10_S11_SH_SM_EUlS10_E_NS1_11comp_targetILNS1_3genE3ELNS1_11target_archE908ELNS1_3gpuE7ELNS1_3repE0EEENS1_47radix_sort_onesweep_sort_config_static_selectorELNS0_4arch9wavefront6targetE0EEEvSH_.num_named_barrier, 0
	.set _ZN7rocprim17ROCPRIM_400000_NS6detail17trampoline_kernelINS0_14default_configENS1_35radix_sort_onesweep_config_selectorIiNS0_10empty_typeEEEZZNS1_29radix_sort_onesweep_iterationIS3_Lb0EN6thrust23THRUST_200600_302600_NS10device_ptrIiEESB_PS5_SC_jNS0_19identity_decomposerENS1_16block_id_wrapperIjLb1EEEEE10hipError_tT1_PNSt15iterator_traitsISH_E10value_typeET2_T3_PNSI_ISN_E10value_typeET4_T5_PSS_ST_PNS1_23onesweep_lookback_stateEbbT6_jjT7_P12ihipStream_tbENKUlT_T0_SH_SM_E_clISB_PiSC_SC_EEDaS10_S11_SH_SM_EUlS10_E_NS1_11comp_targetILNS1_3genE3ELNS1_11target_archE908ELNS1_3gpuE7ELNS1_3repE0EEENS1_47radix_sort_onesweep_sort_config_static_selectorELNS0_4arch9wavefront6targetE0EEEvSH_.private_seg_size, 0
	.set _ZN7rocprim17ROCPRIM_400000_NS6detail17trampoline_kernelINS0_14default_configENS1_35radix_sort_onesweep_config_selectorIiNS0_10empty_typeEEEZZNS1_29radix_sort_onesweep_iterationIS3_Lb0EN6thrust23THRUST_200600_302600_NS10device_ptrIiEESB_PS5_SC_jNS0_19identity_decomposerENS1_16block_id_wrapperIjLb1EEEEE10hipError_tT1_PNSt15iterator_traitsISH_E10value_typeET2_T3_PNSI_ISN_E10value_typeET4_T5_PSS_ST_PNS1_23onesweep_lookback_stateEbbT6_jjT7_P12ihipStream_tbENKUlT_T0_SH_SM_E_clISB_PiSC_SC_EEDaS10_S11_SH_SM_EUlS10_E_NS1_11comp_targetILNS1_3genE3ELNS1_11target_archE908ELNS1_3gpuE7ELNS1_3repE0EEENS1_47radix_sort_onesweep_sort_config_static_selectorELNS0_4arch9wavefront6targetE0EEEvSH_.uses_vcc, 0
	.set _ZN7rocprim17ROCPRIM_400000_NS6detail17trampoline_kernelINS0_14default_configENS1_35radix_sort_onesweep_config_selectorIiNS0_10empty_typeEEEZZNS1_29radix_sort_onesweep_iterationIS3_Lb0EN6thrust23THRUST_200600_302600_NS10device_ptrIiEESB_PS5_SC_jNS0_19identity_decomposerENS1_16block_id_wrapperIjLb1EEEEE10hipError_tT1_PNSt15iterator_traitsISH_E10value_typeET2_T3_PNSI_ISN_E10value_typeET4_T5_PSS_ST_PNS1_23onesweep_lookback_stateEbbT6_jjT7_P12ihipStream_tbENKUlT_T0_SH_SM_E_clISB_PiSC_SC_EEDaS10_S11_SH_SM_EUlS10_E_NS1_11comp_targetILNS1_3genE3ELNS1_11target_archE908ELNS1_3gpuE7ELNS1_3repE0EEENS1_47radix_sort_onesweep_sort_config_static_selectorELNS0_4arch9wavefront6targetE0EEEvSH_.uses_flat_scratch, 0
	.set _ZN7rocprim17ROCPRIM_400000_NS6detail17trampoline_kernelINS0_14default_configENS1_35radix_sort_onesweep_config_selectorIiNS0_10empty_typeEEEZZNS1_29radix_sort_onesweep_iterationIS3_Lb0EN6thrust23THRUST_200600_302600_NS10device_ptrIiEESB_PS5_SC_jNS0_19identity_decomposerENS1_16block_id_wrapperIjLb1EEEEE10hipError_tT1_PNSt15iterator_traitsISH_E10value_typeET2_T3_PNSI_ISN_E10value_typeET4_T5_PSS_ST_PNS1_23onesweep_lookback_stateEbbT6_jjT7_P12ihipStream_tbENKUlT_T0_SH_SM_E_clISB_PiSC_SC_EEDaS10_S11_SH_SM_EUlS10_E_NS1_11comp_targetILNS1_3genE3ELNS1_11target_archE908ELNS1_3gpuE7ELNS1_3repE0EEENS1_47radix_sort_onesweep_sort_config_static_selectorELNS0_4arch9wavefront6targetE0EEEvSH_.has_dyn_sized_stack, 0
	.set _ZN7rocprim17ROCPRIM_400000_NS6detail17trampoline_kernelINS0_14default_configENS1_35radix_sort_onesweep_config_selectorIiNS0_10empty_typeEEEZZNS1_29radix_sort_onesweep_iterationIS3_Lb0EN6thrust23THRUST_200600_302600_NS10device_ptrIiEESB_PS5_SC_jNS0_19identity_decomposerENS1_16block_id_wrapperIjLb1EEEEE10hipError_tT1_PNSt15iterator_traitsISH_E10value_typeET2_T3_PNSI_ISN_E10value_typeET4_T5_PSS_ST_PNS1_23onesweep_lookback_stateEbbT6_jjT7_P12ihipStream_tbENKUlT_T0_SH_SM_E_clISB_PiSC_SC_EEDaS10_S11_SH_SM_EUlS10_E_NS1_11comp_targetILNS1_3genE3ELNS1_11target_archE908ELNS1_3gpuE7ELNS1_3repE0EEENS1_47radix_sort_onesweep_sort_config_static_selectorELNS0_4arch9wavefront6targetE0EEEvSH_.has_recursion, 0
	.set _ZN7rocprim17ROCPRIM_400000_NS6detail17trampoline_kernelINS0_14default_configENS1_35radix_sort_onesweep_config_selectorIiNS0_10empty_typeEEEZZNS1_29radix_sort_onesweep_iterationIS3_Lb0EN6thrust23THRUST_200600_302600_NS10device_ptrIiEESB_PS5_SC_jNS0_19identity_decomposerENS1_16block_id_wrapperIjLb1EEEEE10hipError_tT1_PNSt15iterator_traitsISH_E10value_typeET2_T3_PNSI_ISN_E10value_typeET4_T5_PSS_ST_PNS1_23onesweep_lookback_stateEbbT6_jjT7_P12ihipStream_tbENKUlT_T0_SH_SM_E_clISB_PiSC_SC_EEDaS10_S11_SH_SM_EUlS10_E_NS1_11comp_targetILNS1_3genE3ELNS1_11target_archE908ELNS1_3gpuE7ELNS1_3repE0EEENS1_47radix_sort_onesweep_sort_config_static_selectorELNS0_4arch9wavefront6targetE0EEEvSH_.has_indirect_call, 0
	.section	.AMDGPU.csdata,"",@progbits
; Kernel info:
; codeLenInByte = 0
; TotalNumSgprs: 0
; NumVgprs: 0
; ScratchSize: 0
; MemoryBound: 0
; FloatMode: 240
; IeeeMode: 1
; LDSByteSize: 0 bytes/workgroup (compile time only)
; SGPRBlocks: 0
; VGPRBlocks: 0
; NumSGPRsForWavesPerEU: 1
; NumVGPRsForWavesPerEU: 1
; Occupancy: 16
; WaveLimiterHint : 0
; COMPUTE_PGM_RSRC2:SCRATCH_EN: 0
; COMPUTE_PGM_RSRC2:USER_SGPR: 6
; COMPUTE_PGM_RSRC2:TRAP_HANDLER: 0
; COMPUTE_PGM_RSRC2:TGID_X_EN: 1
; COMPUTE_PGM_RSRC2:TGID_Y_EN: 0
; COMPUTE_PGM_RSRC2:TGID_Z_EN: 0
; COMPUTE_PGM_RSRC2:TIDIG_COMP_CNT: 0
	.section	.text._ZN7rocprim17ROCPRIM_400000_NS6detail17trampoline_kernelINS0_14default_configENS1_35radix_sort_onesweep_config_selectorIiNS0_10empty_typeEEEZZNS1_29radix_sort_onesweep_iterationIS3_Lb0EN6thrust23THRUST_200600_302600_NS10device_ptrIiEESB_PS5_SC_jNS0_19identity_decomposerENS1_16block_id_wrapperIjLb1EEEEE10hipError_tT1_PNSt15iterator_traitsISH_E10value_typeET2_T3_PNSI_ISN_E10value_typeET4_T5_PSS_ST_PNS1_23onesweep_lookback_stateEbbT6_jjT7_P12ihipStream_tbENKUlT_T0_SH_SM_E_clISB_PiSC_SC_EEDaS10_S11_SH_SM_EUlS10_E_NS1_11comp_targetILNS1_3genE10ELNS1_11target_archE1201ELNS1_3gpuE5ELNS1_3repE0EEENS1_47radix_sort_onesweep_sort_config_static_selectorELNS0_4arch9wavefront6targetE0EEEvSH_,"axG",@progbits,_ZN7rocprim17ROCPRIM_400000_NS6detail17trampoline_kernelINS0_14default_configENS1_35radix_sort_onesweep_config_selectorIiNS0_10empty_typeEEEZZNS1_29radix_sort_onesweep_iterationIS3_Lb0EN6thrust23THRUST_200600_302600_NS10device_ptrIiEESB_PS5_SC_jNS0_19identity_decomposerENS1_16block_id_wrapperIjLb1EEEEE10hipError_tT1_PNSt15iterator_traitsISH_E10value_typeET2_T3_PNSI_ISN_E10value_typeET4_T5_PSS_ST_PNS1_23onesweep_lookback_stateEbbT6_jjT7_P12ihipStream_tbENKUlT_T0_SH_SM_E_clISB_PiSC_SC_EEDaS10_S11_SH_SM_EUlS10_E_NS1_11comp_targetILNS1_3genE10ELNS1_11target_archE1201ELNS1_3gpuE5ELNS1_3repE0EEENS1_47radix_sort_onesweep_sort_config_static_selectorELNS0_4arch9wavefront6targetE0EEEvSH_,comdat
	.protected	_ZN7rocprim17ROCPRIM_400000_NS6detail17trampoline_kernelINS0_14default_configENS1_35radix_sort_onesweep_config_selectorIiNS0_10empty_typeEEEZZNS1_29radix_sort_onesweep_iterationIS3_Lb0EN6thrust23THRUST_200600_302600_NS10device_ptrIiEESB_PS5_SC_jNS0_19identity_decomposerENS1_16block_id_wrapperIjLb1EEEEE10hipError_tT1_PNSt15iterator_traitsISH_E10value_typeET2_T3_PNSI_ISN_E10value_typeET4_T5_PSS_ST_PNS1_23onesweep_lookback_stateEbbT6_jjT7_P12ihipStream_tbENKUlT_T0_SH_SM_E_clISB_PiSC_SC_EEDaS10_S11_SH_SM_EUlS10_E_NS1_11comp_targetILNS1_3genE10ELNS1_11target_archE1201ELNS1_3gpuE5ELNS1_3repE0EEENS1_47radix_sort_onesweep_sort_config_static_selectorELNS0_4arch9wavefront6targetE0EEEvSH_ ; -- Begin function _ZN7rocprim17ROCPRIM_400000_NS6detail17trampoline_kernelINS0_14default_configENS1_35radix_sort_onesweep_config_selectorIiNS0_10empty_typeEEEZZNS1_29radix_sort_onesweep_iterationIS3_Lb0EN6thrust23THRUST_200600_302600_NS10device_ptrIiEESB_PS5_SC_jNS0_19identity_decomposerENS1_16block_id_wrapperIjLb1EEEEE10hipError_tT1_PNSt15iterator_traitsISH_E10value_typeET2_T3_PNSI_ISN_E10value_typeET4_T5_PSS_ST_PNS1_23onesweep_lookback_stateEbbT6_jjT7_P12ihipStream_tbENKUlT_T0_SH_SM_E_clISB_PiSC_SC_EEDaS10_S11_SH_SM_EUlS10_E_NS1_11comp_targetILNS1_3genE10ELNS1_11target_archE1201ELNS1_3gpuE5ELNS1_3repE0EEENS1_47radix_sort_onesweep_sort_config_static_selectorELNS0_4arch9wavefront6targetE0EEEvSH_
	.globl	_ZN7rocprim17ROCPRIM_400000_NS6detail17trampoline_kernelINS0_14default_configENS1_35radix_sort_onesweep_config_selectorIiNS0_10empty_typeEEEZZNS1_29radix_sort_onesweep_iterationIS3_Lb0EN6thrust23THRUST_200600_302600_NS10device_ptrIiEESB_PS5_SC_jNS0_19identity_decomposerENS1_16block_id_wrapperIjLb1EEEEE10hipError_tT1_PNSt15iterator_traitsISH_E10value_typeET2_T3_PNSI_ISN_E10value_typeET4_T5_PSS_ST_PNS1_23onesweep_lookback_stateEbbT6_jjT7_P12ihipStream_tbENKUlT_T0_SH_SM_E_clISB_PiSC_SC_EEDaS10_S11_SH_SM_EUlS10_E_NS1_11comp_targetILNS1_3genE10ELNS1_11target_archE1201ELNS1_3gpuE5ELNS1_3repE0EEENS1_47radix_sort_onesweep_sort_config_static_selectorELNS0_4arch9wavefront6targetE0EEEvSH_
	.p2align	8
	.type	_ZN7rocprim17ROCPRIM_400000_NS6detail17trampoline_kernelINS0_14default_configENS1_35radix_sort_onesweep_config_selectorIiNS0_10empty_typeEEEZZNS1_29radix_sort_onesweep_iterationIS3_Lb0EN6thrust23THRUST_200600_302600_NS10device_ptrIiEESB_PS5_SC_jNS0_19identity_decomposerENS1_16block_id_wrapperIjLb1EEEEE10hipError_tT1_PNSt15iterator_traitsISH_E10value_typeET2_T3_PNSI_ISN_E10value_typeET4_T5_PSS_ST_PNS1_23onesweep_lookback_stateEbbT6_jjT7_P12ihipStream_tbENKUlT_T0_SH_SM_E_clISB_PiSC_SC_EEDaS10_S11_SH_SM_EUlS10_E_NS1_11comp_targetILNS1_3genE10ELNS1_11target_archE1201ELNS1_3gpuE5ELNS1_3repE0EEENS1_47radix_sort_onesweep_sort_config_static_selectorELNS0_4arch9wavefront6targetE0EEEvSH_,@function
_ZN7rocprim17ROCPRIM_400000_NS6detail17trampoline_kernelINS0_14default_configENS1_35radix_sort_onesweep_config_selectorIiNS0_10empty_typeEEEZZNS1_29radix_sort_onesweep_iterationIS3_Lb0EN6thrust23THRUST_200600_302600_NS10device_ptrIiEESB_PS5_SC_jNS0_19identity_decomposerENS1_16block_id_wrapperIjLb1EEEEE10hipError_tT1_PNSt15iterator_traitsISH_E10value_typeET2_T3_PNSI_ISN_E10value_typeET4_T5_PSS_ST_PNS1_23onesweep_lookback_stateEbbT6_jjT7_P12ihipStream_tbENKUlT_T0_SH_SM_E_clISB_PiSC_SC_EEDaS10_S11_SH_SM_EUlS10_E_NS1_11comp_targetILNS1_3genE10ELNS1_11target_archE1201ELNS1_3gpuE5ELNS1_3repE0EEENS1_47radix_sort_onesweep_sort_config_static_selectorELNS0_4arch9wavefront6targetE0EEEvSH_: ; @_ZN7rocprim17ROCPRIM_400000_NS6detail17trampoline_kernelINS0_14default_configENS1_35radix_sort_onesweep_config_selectorIiNS0_10empty_typeEEEZZNS1_29radix_sort_onesweep_iterationIS3_Lb0EN6thrust23THRUST_200600_302600_NS10device_ptrIiEESB_PS5_SC_jNS0_19identity_decomposerENS1_16block_id_wrapperIjLb1EEEEE10hipError_tT1_PNSt15iterator_traitsISH_E10value_typeET2_T3_PNSI_ISN_E10value_typeET4_T5_PSS_ST_PNS1_23onesweep_lookback_stateEbbT6_jjT7_P12ihipStream_tbENKUlT_T0_SH_SM_E_clISB_PiSC_SC_EEDaS10_S11_SH_SM_EUlS10_E_NS1_11comp_targetILNS1_3genE10ELNS1_11target_archE1201ELNS1_3gpuE5ELNS1_3repE0EEENS1_47radix_sort_onesweep_sort_config_static_selectorELNS0_4arch9wavefront6targetE0EEEvSH_
; %bb.0:
	.section	.rodata,"a",@progbits
	.p2align	6, 0x0
	.amdhsa_kernel _ZN7rocprim17ROCPRIM_400000_NS6detail17trampoline_kernelINS0_14default_configENS1_35radix_sort_onesweep_config_selectorIiNS0_10empty_typeEEEZZNS1_29radix_sort_onesweep_iterationIS3_Lb0EN6thrust23THRUST_200600_302600_NS10device_ptrIiEESB_PS5_SC_jNS0_19identity_decomposerENS1_16block_id_wrapperIjLb1EEEEE10hipError_tT1_PNSt15iterator_traitsISH_E10value_typeET2_T3_PNSI_ISN_E10value_typeET4_T5_PSS_ST_PNS1_23onesweep_lookback_stateEbbT6_jjT7_P12ihipStream_tbENKUlT_T0_SH_SM_E_clISB_PiSC_SC_EEDaS10_S11_SH_SM_EUlS10_E_NS1_11comp_targetILNS1_3genE10ELNS1_11target_archE1201ELNS1_3gpuE5ELNS1_3repE0EEENS1_47radix_sort_onesweep_sort_config_static_selectorELNS0_4arch9wavefront6targetE0EEEvSH_
		.amdhsa_group_segment_fixed_size 0
		.amdhsa_private_segment_fixed_size 0
		.amdhsa_kernarg_size 88
		.amdhsa_user_sgpr_count 6
		.amdhsa_user_sgpr_private_segment_buffer 1
		.amdhsa_user_sgpr_dispatch_ptr 0
		.amdhsa_user_sgpr_queue_ptr 0
		.amdhsa_user_sgpr_kernarg_segment_ptr 1
		.amdhsa_user_sgpr_dispatch_id 0
		.amdhsa_user_sgpr_flat_scratch_init 0
		.amdhsa_user_sgpr_private_segment_size 0
		.amdhsa_wavefront_size32 1
		.amdhsa_uses_dynamic_stack 0
		.amdhsa_system_sgpr_private_segment_wavefront_offset 0
		.amdhsa_system_sgpr_workgroup_id_x 1
		.amdhsa_system_sgpr_workgroup_id_y 0
		.amdhsa_system_sgpr_workgroup_id_z 0
		.amdhsa_system_sgpr_workgroup_info 0
		.amdhsa_system_vgpr_workitem_id 0
		.amdhsa_next_free_vgpr 1
		.amdhsa_next_free_sgpr 1
		.amdhsa_reserve_vcc 0
		.amdhsa_reserve_flat_scratch 0
		.amdhsa_float_round_mode_32 0
		.amdhsa_float_round_mode_16_64 0
		.amdhsa_float_denorm_mode_32 3
		.amdhsa_float_denorm_mode_16_64 3
		.amdhsa_dx10_clamp 1
		.amdhsa_ieee_mode 1
		.amdhsa_fp16_overflow 0
		.amdhsa_workgroup_processor_mode 1
		.amdhsa_memory_ordered 1
		.amdhsa_forward_progress 1
		.amdhsa_shared_vgpr_count 0
		.amdhsa_exception_fp_ieee_invalid_op 0
		.amdhsa_exception_fp_denorm_src 0
		.amdhsa_exception_fp_ieee_div_zero 0
		.amdhsa_exception_fp_ieee_overflow 0
		.amdhsa_exception_fp_ieee_underflow 0
		.amdhsa_exception_fp_ieee_inexact 0
		.amdhsa_exception_int_div_zero 0
	.end_amdhsa_kernel
	.section	.text._ZN7rocprim17ROCPRIM_400000_NS6detail17trampoline_kernelINS0_14default_configENS1_35radix_sort_onesweep_config_selectorIiNS0_10empty_typeEEEZZNS1_29radix_sort_onesweep_iterationIS3_Lb0EN6thrust23THRUST_200600_302600_NS10device_ptrIiEESB_PS5_SC_jNS0_19identity_decomposerENS1_16block_id_wrapperIjLb1EEEEE10hipError_tT1_PNSt15iterator_traitsISH_E10value_typeET2_T3_PNSI_ISN_E10value_typeET4_T5_PSS_ST_PNS1_23onesweep_lookback_stateEbbT6_jjT7_P12ihipStream_tbENKUlT_T0_SH_SM_E_clISB_PiSC_SC_EEDaS10_S11_SH_SM_EUlS10_E_NS1_11comp_targetILNS1_3genE10ELNS1_11target_archE1201ELNS1_3gpuE5ELNS1_3repE0EEENS1_47radix_sort_onesweep_sort_config_static_selectorELNS0_4arch9wavefront6targetE0EEEvSH_,"axG",@progbits,_ZN7rocprim17ROCPRIM_400000_NS6detail17trampoline_kernelINS0_14default_configENS1_35radix_sort_onesweep_config_selectorIiNS0_10empty_typeEEEZZNS1_29radix_sort_onesweep_iterationIS3_Lb0EN6thrust23THRUST_200600_302600_NS10device_ptrIiEESB_PS5_SC_jNS0_19identity_decomposerENS1_16block_id_wrapperIjLb1EEEEE10hipError_tT1_PNSt15iterator_traitsISH_E10value_typeET2_T3_PNSI_ISN_E10value_typeET4_T5_PSS_ST_PNS1_23onesweep_lookback_stateEbbT6_jjT7_P12ihipStream_tbENKUlT_T0_SH_SM_E_clISB_PiSC_SC_EEDaS10_S11_SH_SM_EUlS10_E_NS1_11comp_targetILNS1_3genE10ELNS1_11target_archE1201ELNS1_3gpuE5ELNS1_3repE0EEENS1_47radix_sort_onesweep_sort_config_static_selectorELNS0_4arch9wavefront6targetE0EEEvSH_,comdat
.Lfunc_end1259:
	.size	_ZN7rocprim17ROCPRIM_400000_NS6detail17trampoline_kernelINS0_14default_configENS1_35radix_sort_onesweep_config_selectorIiNS0_10empty_typeEEEZZNS1_29radix_sort_onesweep_iterationIS3_Lb0EN6thrust23THRUST_200600_302600_NS10device_ptrIiEESB_PS5_SC_jNS0_19identity_decomposerENS1_16block_id_wrapperIjLb1EEEEE10hipError_tT1_PNSt15iterator_traitsISH_E10value_typeET2_T3_PNSI_ISN_E10value_typeET4_T5_PSS_ST_PNS1_23onesweep_lookback_stateEbbT6_jjT7_P12ihipStream_tbENKUlT_T0_SH_SM_E_clISB_PiSC_SC_EEDaS10_S11_SH_SM_EUlS10_E_NS1_11comp_targetILNS1_3genE10ELNS1_11target_archE1201ELNS1_3gpuE5ELNS1_3repE0EEENS1_47radix_sort_onesweep_sort_config_static_selectorELNS0_4arch9wavefront6targetE0EEEvSH_, .Lfunc_end1259-_ZN7rocprim17ROCPRIM_400000_NS6detail17trampoline_kernelINS0_14default_configENS1_35radix_sort_onesweep_config_selectorIiNS0_10empty_typeEEEZZNS1_29radix_sort_onesweep_iterationIS3_Lb0EN6thrust23THRUST_200600_302600_NS10device_ptrIiEESB_PS5_SC_jNS0_19identity_decomposerENS1_16block_id_wrapperIjLb1EEEEE10hipError_tT1_PNSt15iterator_traitsISH_E10value_typeET2_T3_PNSI_ISN_E10value_typeET4_T5_PSS_ST_PNS1_23onesweep_lookback_stateEbbT6_jjT7_P12ihipStream_tbENKUlT_T0_SH_SM_E_clISB_PiSC_SC_EEDaS10_S11_SH_SM_EUlS10_E_NS1_11comp_targetILNS1_3genE10ELNS1_11target_archE1201ELNS1_3gpuE5ELNS1_3repE0EEENS1_47radix_sort_onesweep_sort_config_static_selectorELNS0_4arch9wavefront6targetE0EEEvSH_
                                        ; -- End function
	.set _ZN7rocprim17ROCPRIM_400000_NS6detail17trampoline_kernelINS0_14default_configENS1_35radix_sort_onesweep_config_selectorIiNS0_10empty_typeEEEZZNS1_29radix_sort_onesweep_iterationIS3_Lb0EN6thrust23THRUST_200600_302600_NS10device_ptrIiEESB_PS5_SC_jNS0_19identity_decomposerENS1_16block_id_wrapperIjLb1EEEEE10hipError_tT1_PNSt15iterator_traitsISH_E10value_typeET2_T3_PNSI_ISN_E10value_typeET4_T5_PSS_ST_PNS1_23onesweep_lookback_stateEbbT6_jjT7_P12ihipStream_tbENKUlT_T0_SH_SM_E_clISB_PiSC_SC_EEDaS10_S11_SH_SM_EUlS10_E_NS1_11comp_targetILNS1_3genE10ELNS1_11target_archE1201ELNS1_3gpuE5ELNS1_3repE0EEENS1_47radix_sort_onesweep_sort_config_static_selectorELNS0_4arch9wavefront6targetE0EEEvSH_.num_vgpr, 0
	.set _ZN7rocprim17ROCPRIM_400000_NS6detail17trampoline_kernelINS0_14default_configENS1_35radix_sort_onesweep_config_selectorIiNS0_10empty_typeEEEZZNS1_29radix_sort_onesweep_iterationIS3_Lb0EN6thrust23THRUST_200600_302600_NS10device_ptrIiEESB_PS5_SC_jNS0_19identity_decomposerENS1_16block_id_wrapperIjLb1EEEEE10hipError_tT1_PNSt15iterator_traitsISH_E10value_typeET2_T3_PNSI_ISN_E10value_typeET4_T5_PSS_ST_PNS1_23onesweep_lookback_stateEbbT6_jjT7_P12ihipStream_tbENKUlT_T0_SH_SM_E_clISB_PiSC_SC_EEDaS10_S11_SH_SM_EUlS10_E_NS1_11comp_targetILNS1_3genE10ELNS1_11target_archE1201ELNS1_3gpuE5ELNS1_3repE0EEENS1_47radix_sort_onesweep_sort_config_static_selectorELNS0_4arch9wavefront6targetE0EEEvSH_.num_agpr, 0
	.set _ZN7rocprim17ROCPRIM_400000_NS6detail17trampoline_kernelINS0_14default_configENS1_35radix_sort_onesweep_config_selectorIiNS0_10empty_typeEEEZZNS1_29radix_sort_onesweep_iterationIS3_Lb0EN6thrust23THRUST_200600_302600_NS10device_ptrIiEESB_PS5_SC_jNS0_19identity_decomposerENS1_16block_id_wrapperIjLb1EEEEE10hipError_tT1_PNSt15iterator_traitsISH_E10value_typeET2_T3_PNSI_ISN_E10value_typeET4_T5_PSS_ST_PNS1_23onesweep_lookback_stateEbbT6_jjT7_P12ihipStream_tbENKUlT_T0_SH_SM_E_clISB_PiSC_SC_EEDaS10_S11_SH_SM_EUlS10_E_NS1_11comp_targetILNS1_3genE10ELNS1_11target_archE1201ELNS1_3gpuE5ELNS1_3repE0EEENS1_47radix_sort_onesweep_sort_config_static_selectorELNS0_4arch9wavefront6targetE0EEEvSH_.numbered_sgpr, 0
	.set _ZN7rocprim17ROCPRIM_400000_NS6detail17trampoline_kernelINS0_14default_configENS1_35radix_sort_onesweep_config_selectorIiNS0_10empty_typeEEEZZNS1_29radix_sort_onesweep_iterationIS3_Lb0EN6thrust23THRUST_200600_302600_NS10device_ptrIiEESB_PS5_SC_jNS0_19identity_decomposerENS1_16block_id_wrapperIjLb1EEEEE10hipError_tT1_PNSt15iterator_traitsISH_E10value_typeET2_T3_PNSI_ISN_E10value_typeET4_T5_PSS_ST_PNS1_23onesweep_lookback_stateEbbT6_jjT7_P12ihipStream_tbENKUlT_T0_SH_SM_E_clISB_PiSC_SC_EEDaS10_S11_SH_SM_EUlS10_E_NS1_11comp_targetILNS1_3genE10ELNS1_11target_archE1201ELNS1_3gpuE5ELNS1_3repE0EEENS1_47radix_sort_onesweep_sort_config_static_selectorELNS0_4arch9wavefront6targetE0EEEvSH_.num_named_barrier, 0
	.set _ZN7rocprim17ROCPRIM_400000_NS6detail17trampoline_kernelINS0_14default_configENS1_35radix_sort_onesweep_config_selectorIiNS0_10empty_typeEEEZZNS1_29radix_sort_onesweep_iterationIS3_Lb0EN6thrust23THRUST_200600_302600_NS10device_ptrIiEESB_PS5_SC_jNS0_19identity_decomposerENS1_16block_id_wrapperIjLb1EEEEE10hipError_tT1_PNSt15iterator_traitsISH_E10value_typeET2_T3_PNSI_ISN_E10value_typeET4_T5_PSS_ST_PNS1_23onesweep_lookback_stateEbbT6_jjT7_P12ihipStream_tbENKUlT_T0_SH_SM_E_clISB_PiSC_SC_EEDaS10_S11_SH_SM_EUlS10_E_NS1_11comp_targetILNS1_3genE10ELNS1_11target_archE1201ELNS1_3gpuE5ELNS1_3repE0EEENS1_47radix_sort_onesweep_sort_config_static_selectorELNS0_4arch9wavefront6targetE0EEEvSH_.private_seg_size, 0
	.set _ZN7rocprim17ROCPRIM_400000_NS6detail17trampoline_kernelINS0_14default_configENS1_35radix_sort_onesweep_config_selectorIiNS0_10empty_typeEEEZZNS1_29radix_sort_onesweep_iterationIS3_Lb0EN6thrust23THRUST_200600_302600_NS10device_ptrIiEESB_PS5_SC_jNS0_19identity_decomposerENS1_16block_id_wrapperIjLb1EEEEE10hipError_tT1_PNSt15iterator_traitsISH_E10value_typeET2_T3_PNSI_ISN_E10value_typeET4_T5_PSS_ST_PNS1_23onesweep_lookback_stateEbbT6_jjT7_P12ihipStream_tbENKUlT_T0_SH_SM_E_clISB_PiSC_SC_EEDaS10_S11_SH_SM_EUlS10_E_NS1_11comp_targetILNS1_3genE10ELNS1_11target_archE1201ELNS1_3gpuE5ELNS1_3repE0EEENS1_47radix_sort_onesweep_sort_config_static_selectorELNS0_4arch9wavefront6targetE0EEEvSH_.uses_vcc, 0
	.set _ZN7rocprim17ROCPRIM_400000_NS6detail17trampoline_kernelINS0_14default_configENS1_35radix_sort_onesweep_config_selectorIiNS0_10empty_typeEEEZZNS1_29radix_sort_onesweep_iterationIS3_Lb0EN6thrust23THRUST_200600_302600_NS10device_ptrIiEESB_PS5_SC_jNS0_19identity_decomposerENS1_16block_id_wrapperIjLb1EEEEE10hipError_tT1_PNSt15iterator_traitsISH_E10value_typeET2_T3_PNSI_ISN_E10value_typeET4_T5_PSS_ST_PNS1_23onesweep_lookback_stateEbbT6_jjT7_P12ihipStream_tbENKUlT_T0_SH_SM_E_clISB_PiSC_SC_EEDaS10_S11_SH_SM_EUlS10_E_NS1_11comp_targetILNS1_3genE10ELNS1_11target_archE1201ELNS1_3gpuE5ELNS1_3repE0EEENS1_47radix_sort_onesweep_sort_config_static_selectorELNS0_4arch9wavefront6targetE0EEEvSH_.uses_flat_scratch, 0
	.set _ZN7rocprim17ROCPRIM_400000_NS6detail17trampoline_kernelINS0_14default_configENS1_35radix_sort_onesweep_config_selectorIiNS0_10empty_typeEEEZZNS1_29radix_sort_onesweep_iterationIS3_Lb0EN6thrust23THRUST_200600_302600_NS10device_ptrIiEESB_PS5_SC_jNS0_19identity_decomposerENS1_16block_id_wrapperIjLb1EEEEE10hipError_tT1_PNSt15iterator_traitsISH_E10value_typeET2_T3_PNSI_ISN_E10value_typeET4_T5_PSS_ST_PNS1_23onesweep_lookback_stateEbbT6_jjT7_P12ihipStream_tbENKUlT_T0_SH_SM_E_clISB_PiSC_SC_EEDaS10_S11_SH_SM_EUlS10_E_NS1_11comp_targetILNS1_3genE10ELNS1_11target_archE1201ELNS1_3gpuE5ELNS1_3repE0EEENS1_47radix_sort_onesweep_sort_config_static_selectorELNS0_4arch9wavefront6targetE0EEEvSH_.has_dyn_sized_stack, 0
	.set _ZN7rocprim17ROCPRIM_400000_NS6detail17trampoline_kernelINS0_14default_configENS1_35radix_sort_onesweep_config_selectorIiNS0_10empty_typeEEEZZNS1_29radix_sort_onesweep_iterationIS3_Lb0EN6thrust23THRUST_200600_302600_NS10device_ptrIiEESB_PS5_SC_jNS0_19identity_decomposerENS1_16block_id_wrapperIjLb1EEEEE10hipError_tT1_PNSt15iterator_traitsISH_E10value_typeET2_T3_PNSI_ISN_E10value_typeET4_T5_PSS_ST_PNS1_23onesweep_lookback_stateEbbT6_jjT7_P12ihipStream_tbENKUlT_T0_SH_SM_E_clISB_PiSC_SC_EEDaS10_S11_SH_SM_EUlS10_E_NS1_11comp_targetILNS1_3genE10ELNS1_11target_archE1201ELNS1_3gpuE5ELNS1_3repE0EEENS1_47radix_sort_onesweep_sort_config_static_selectorELNS0_4arch9wavefront6targetE0EEEvSH_.has_recursion, 0
	.set _ZN7rocprim17ROCPRIM_400000_NS6detail17trampoline_kernelINS0_14default_configENS1_35radix_sort_onesweep_config_selectorIiNS0_10empty_typeEEEZZNS1_29radix_sort_onesweep_iterationIS3_Lb0EN6thrust23THRUST_200600_302600_NS10device_ptrIiEESB_PS5_SC_jNS0_19identity_decomposerENS1_16block_id_wrapperIjLb1EEEEE10hipError_tT1_PNSt15iterator_traitsISH_E10value_typeET2_T3_PNSI_ISN_E10value_typeET4_T5_PSS_ST_PNS1_23onesweep_lookback_stateEbbT6_jjT7_P12ihipStream_tbENKUlT_T0_SH_SM_E_clISB_PiSC_SC_EEDaS10_S11_SH_SM_EUlS10_E_NS1_11comp_targetILNS1_3genE10ELNS1_11target_archE1201ELNS1_3gpuE5ELNS1_3repE0EEENS1_47radix_sort_onesweep_sort_config_static_selectorELNS0_4arch9wavefront6targetE0EEEvSH_.has_indirect_call, 0
	.section	.AMDGPU.csdata,"",@progbits
; Kernel info:
; codeLenInByte = 0
; TotalNumSgprs: 0
; NumVgprs: 0
; ScratchSize: 0
; MemoryBound: 0
; FloatMode: 240
; IeeeMode: 1
; LDSByteSize: 0 bytes/workgroup (compile time only)
; SGPRBlocks: 0
; VGPRBlocks: 0
; NumSGPRsForWavesPerEU: 1
; NumVGPRsForWavesPerEU: 1
; Occupancy: 16
; WaveLimiterHint : 0
; COMPUTE_PGM_RSRC2:SCRATCH_EN: 0
; COMPUTE_PGM_RSRC2:USER_SGPR: 6
; COMPUTE_PGM_RSRC2:TRAP_HANDLER: 0
; COMPUTE_PGM_RSRC2:TGID_X_EN: 1
; COMPUTE_PGM_RSRC2:TGID_Y_EN: 0
; COMPUTE_PGM_RSRC2:TGID_Z_EN: 0
; COMPUTE_PGM_RSRC2:TIDIG_COMP_CNT: 0
	.section	.text._ZN7rocprim17ROCPRIM_400000_NS6detail17trampoline_kernelINS0_14default_configENS1_35radix_sort_onesweep_config_selectorIiNS0_10empty_typeEEEZZNS1_29radix_sort_onesweep_iterationIS3_Lb0EN6thrust23THRUST_200600_302600_NS10device_ptrIiEESB_PS5_SC_jNS0_19identity_decomposerENS1_16block_id_wrapperIjLb1EEEEE10hipError_tT1_PNSt15iterator_traitsISH_E10value_typeET2_T3_PNSI_ISN_E10value_typeET4_T5_PSS_ST_PNS1_23onesweep_lookback_stateEbbT6_jjT7_P12ihipStream_tbENKUlT_T0_SH_SM_E_clISB_PiSC_SC_EEDaS10_S11_SH_SM_EUlS10_E_NS1_11comp_targetILNS1_3genE9ELNS1_11target_archE1100ELNS1_3gpuE3ELNS1_3repE0EEENS1_47radix_sort_onesweep_sort_config_static_selectorELNS0_4arch9wavefront6targetE0EEEvSH_,"axG",@progbits,_ZN7rocprim17ROCPRIM_400000_NS6detail17trampoline_kernelINS0_14default_configENS1_35radix_sort_onesweep_config_selectorIiNS0_10empty_typeEEEZZNS1_29radix_sort_onesweep_iterationIS3_Lb0EN6thrust23THRUST_200600_302600_NS10device_ptrIiEESB_PS5_SC_jNS0_19identity_decomposerENS1_16block_id_wrapperIjLb1EEEEE10hipError_tT1_PNSt15iterator_traitsISH_E10value_typeET2_T3_PNSI_ISN_E10value_typeET4_T5_PSS_ST_PNS1_23onesweep_lookback_stateEbbT6_jjT7_P12ihipStream_tbENKUlT_T0_SH_SM_E_clISB_PiSC_SC_EEDaS10_S11_SH_SM_EUlS10_E_NS1_11comp_targetILNS1_3genE9ELNS1_11target_archE1100ELNS1_3gpuE3ELNS1_3repE0EEENS1_47radix_sort_onesweep_sort_config_static_selectorELNS0_4arch9wavefront6targetE0EEEvSH_,comdat
	.protected	_ZN7rocprim17ROCPRIM_400000_NS6detail17trampoline_kernelINS0_14default_configENS1_35radix_sort_onesweep_config_selectorIiNS0_10empty_typeEEEZZNS1_29radix_sort_onesweep_iterationIS3_Lb0EN6thrust23THRUST_200600_302600_NS10device_ptrIiEESB_PS5_SC_jNS0_19identity_decomposerENS1_16block_id_wrapperIjLb1EEEEE10hipError_tT1_PNSt15iterator_traitsISH_E10value_typeET2_T3_PNSI_ISN_E10value_typeET4_T5_PSS_ST_PNS1_23onesweep_lookback_stateEbbT6_jjT7_P12ihipStream_tbENKUlT_T0_SH_SM_E_clISB_PiSC_SC_EEDaS10_S11_SH_SM_EUlS10_E_NS1_11comp_targetILNS1_3genE9ELNS1_11target_archE1100ELNS1_3gpuE3ELNS1_3repE0EEENS1_47radix_sort_onesweep_sort_config_static_selectorELNS0_4arch9wavefront6targetE0EEEvSH_ ; -- Begin function _ZN7rocprim17ROCPRIM_400000_NS6detail17trampoline_kernelINS0_14default_configENS1_35radix_sort_onesweep_config_selectorIiNS0_10empty_typeEEEZZNS1_29radix_sort_onesweep_iterationIS3_Lb0EN6thrust23THRUST_200600_302600_NS10device_ptrIiEESB_PS5_SC_jNS0_19identity_decomposerENS1_16block_id_wrapperIjLb1EEEEE10hipError_tT1_PNSt15iterator_traitsISH_E10value_typeET2_T3_PNSI_ISN_E10value_typeET4_T5_PSS_ST_PNS1_23onesweep_lookback_stateEbbT6_jjT7_P12ihipStream_tbENKUlT_T0_SH_SM_E_clISB_PiSC_SC_EEDaS10_S11_SH_SM_EUlS10_E_NS1_11comp_targetILNS1_3genE9ELNS1_11target_archE1100ELNS1_3gpuE3ELNS1_3repE0EEENS1_47radix_sort_onesweep_sort_config_static_selectorELNS0_4arch9wavefront6targetE0EEEvSH_
	.globl	_ZN7rocprim17ROCPRIM_400000_NS6detail17trampoline_kernelINS0_14default_configENS1_35radix_sort_onesweep_config_selectorIiNS0_10empty_typeEEEZZNS1_29radix_sort_onesweep_iterationIS3_Lb0EN6thrust23THRUST_200600_302600_NS10device_ptrIiEESB_PS5_SC_jNS0_19identity_decomposerENS1_16block_id_wrapperIjLb1EEEEE10hipError_tT1_PNSt15iterator_traitsISH_E10value_typeET2_T3_PNSI_ISN_E10value_typeET4_T5_PSS_ST_PNS1_23onesweep_lookback_stateEbbT6_jjT7_P12ihipStream_tbENKUlT_T0_SH_SM_E_clISB_PiSC_SC_EEDaS10_S11_SH_SM_EUlS10_E_NS1_11comp_targetILNS1_3genE9ELNS1_11target_archE1100ELNS1_3gpuE3ELNS1_3repE0EEENS1_47radix_sort_onesweep_sort_config_static_selectorELNS0_4arch9wavefront6targetE0EEEvSH_
	.p2align	8
	.type	_ZN7rocprim17ROCPRIM_400000_NS6detail17trampoline_kernelINS0_14default_configENS1_35radix_sort_onesweep_config_selectorIiNS0_10empty_typeEEEZZNS1_29radix_sort_onesweep_iterationIS3_Lb0EN6thrust23THRUST_200600_302600_NS10device_ptrIiEESB_PS5_SC_jNS0_19identity_decomposerENS1_16block_id_wrapperIjLb1EEEEE10hipError_tT1_PNSt15iterator_traitsISH_E10value_typeET2_T3_PNSI_ISN_E10value_typeET4_T5_PSS_ST_PNS1_23onesweep_lookback_stateEbbT6_jjT7_P12ihipStream_tbENKUlT_T0_SH_SM_E_clISB_PiSC_SC_EEDaS10_S11_SH_SM_EUlS10_E_NS1_11comp_targetILNS1_3genE9ELNS1_11target_archE1100ELNS1_3gpuE3ELNS1_3repE0EEENS1_47radix_sort_onesweep_sort_config_static_selectorELNS0_4arch9wavefront6targetE0EEEvSH_,@function
_ZN7rocprim17ROCPRIM_400000_NS6detail17trampoline_kernelINS0_14default_configENS1_35radix_sort_onesweep_config_selectorIiNS0_10empty_typeEEEZZNS1_29radix_sort_onesweep_iterationIS3_Lb0EN6thrust23THRUST_200600_302600_NS10device_ptrIiEESB_PS5_SC_jNS0_19identity_decomposerENS1_16block_id_wrapperIjLb1EEEEE10hipError_tT1_PNSt15iterator_traitsISH_E10value_typeET2_T3_PNSI_ISN_E10value_typeET4_T5_PSS_ST_PNS1_23onesweep_lookback_stateEbbT6_jjT7_P12ihipStream_tbENKUlT_T0_SH_SM_E_clISB_PiSC_SC_EEDaS10_S11_SH_SM_EUlS10_E_NS1_11comp_targetILNS1_3genE9ELNS1_11target_archE1100ELNS1_3gpuE3ELNS1_3repE0EEENS1_47radix_sort_onesweep_sort_config_static_selectorELNS0_4arch9wavefront6targetE0EEEvSH_: ; @_ZN7rocprim17ROCPRIM_400000_NS6detail17trampoline_kernelINS0_14default_configENS1_35radix_sort_onesweep_config_selectorIiNS0_10empty_typeEEEZZNS1_29radix_sort_onesweep_iterationIS3_Lb0EN6thrust23THRUST_200600_302600_NS10device_ptrIiEESB_PS5_SC_jNS0_19identity_decomposerENS1_16block_id_wrapperIjLb1EEEEE10hipError_tT1_PNSt15iterator_traitsISH_E10value_typeET2_T3_PNSI_ISN_E10value_typeET4_T5_PSS_ST_PNS1_23onesweep_lookback_stateEbbT6_jjT7_P12ihipStream_tbENKUlT_T0_SH_SM_E_clISB_PiSC_SC_EEDaS10_S11_SH_SM_EUlS10_E_NS1_11comp_targetILNS1_3genE9ELNS1_11target_archE1100ELNS1_3gpuE3ELNS1_3repE0EEENS1_47radix_sort_onesweep_sort_config_static_selectorELNS0_4arch9wavefront6targetE0EEEvSH_
; %bb.0:
	.section	.rodata,"a",@progbits
	.p2align	6, 0x0
	.amdhsa_kernel _ZN7rocprim17ROCPRIM_400000_NS6detail17trampoline_kernelINS0_14default_configENS1_35radix_sort_onesweep_config_selectorIiNS0_10empty_typeEEEZZNS1_29radix_sort_onesweep_iterationIS3_Lb0EN6thrust23THRUST_200600_302600_NS10device_ptrIiEESB_PS5_SC_jNS0_19identity_decomposerENS1_16block_id_wrapperIjLb1EEEEE10hipError_tT1_PNSt15iterator_traitsISH_E10value_typeET2_T3_PNSI_ISN_E10value_typeET4_T5_PSS_ST_PNS1_23onesweep_lookback_stateEbbT6_jjT7_P12ihipStream_tbENKUlT_T0_SH_SM_E_clISB_PiSC_SC_EEDaS10_S11_SH_SM_EUlS10_E_NS1_11comp_targetILNS1_3genE9ELNS1_11target_archE1100ELNS1_3gpuE3ELNS1_3repE0EEENS1_47radix_sort_onesweep_sort_config_static_selectorELNS0_4arch9wavefront6targetE0EEEvSH_
		.amdhsa_group_segment_fixed_size 0
		.amdhsa_private_segment_fixed_size 0
		.amdhsa_kernarg_size 88
		.amdhsa_user_sgpr_count 6
		.amdhsa_user_sgpr_private_segment_buffer 1
		.amdhsa_user_sgpr_dispatch_ptr 0
		.amdhsa_user_sgpr_queue_ptr 0
		.amdhsa_user_sgpr_kernarg_segment_ptr 1
		.amdhsa_user_sgpr_dispatch_id 0
		.amdhsa_user_sgpr_flat_scratch_init 0
		.amdhsa_user_sgpr_private_segment_size 0
		.amdhsa_wavefront_size32 1
		.amdhsa_uses_dynamic_stack 0
		.amdhsa_system_sgpr_private_segment_wavefront_offset 0
		.amdhsa_system_sgpr_workgroup_id_x 1
		.amdhsa_system_sgpr_workgroup_id_y 0
		.amdhsa_system_sgpr_workgroup_id_z 0
		.amdhsa_system_sgpr_workgroup_info 0
		.amdhsa_system_vgpr_workitem_id 0
		.amdhsa_next_free_vgpr 1
		.amdhsa_next_free_sgpr 1
		.amdhsa_reserve_vcc 0
		.amdhsa_reserve_flat_scratch 0
		.amdhsa_float_round_mode_32 0
		.amdhsa_float_round_mode_16_64 0
		.amdhsa_float_denorm_mode_32 3
		.amdhsa_float_denorm_mode_16_64 3
		.amdhsa_dx10_clamp 1
		.amdhsa_ieee_mode 1
		.amdhsa_fp16_overflow 0
		.amdhsa_workgroup_processor_mode 1
		.amdhsa_memory_ordered 1
		.amdhsa_forward_progress 1
		.amdhsa_shared_vgpr_count 0
		.amdhsa_exception_fp_ieee_invalid_op 0
		.amdhsa_exception_fp_denorm_src 0
		.amdhsa_exception_fp_ieee_div_zero 0
		.amdhsa_exception_fp_ieee_overflow 0
		.amdhsa_exception_fp_ieee_underflow 0
		.amdhsa_exception_fp_ieee_inexact 0
		.amdhsa_exception_int_div_zero 0
	.end_amdhsa_kernel
	.section	.text._ZN7rocprim17ROCPRIM_400000_NS6detail17trampoline_kernelINS0_14default_configENS1_35radix_sort_onesweep_config_selectorIiNS0_10empty_typeEEEZZNS1_29radix_sort_onesweep_iterationIS3_Lb0EN6thrust23THRUST_200600_302600_NS10device_ptrIiEESB_PS5_SC_jNS0_19identity_decomposerENS1_16block_id_wrapperIjLb1EEEEE10hipError_tT1_PNSt15iterator_traitsISH_E10value_typeET2_T3_PNSI_ISN_E10value_typeET4_T5_PSS_ST_PNS1_23onesweep_lookback_stateEbbT6_jjT7_P12ihipStream_tbENKUlT_T0_SH_SM_E_clISB_PiSC_SC_EEDaS10_S11_SH_SM_EUlS10_E_NS1_11comp_targetILNS1_3genE9ELNS1_11target_archE1100ELNS1_3gpuE3ELNS1_3repE0EEENS1_47radix_sort_onesweep_sort_config_static_selectorELNS0_4arch9wavefront6targetE0EEEvSH_,"axG",@progbits,_ZN7rocprim17ROCPRIM_400000_NS6detail17trampoline_kernelINS0_14default_configENS1_35radix_sort_onesweep_config_selectorIiNS0_10empty_typeEEEZZNS1_29radix_sort_onesweep_iterationIS3_Lb0EN6thrust23THRUST_200600_302600_NS10device_ptrIiEESB_PS5_SC_jNS0_19identity_decomposerENS1_16block_id_wrapperIjLb1EEEEE10hipError_tT1_PNSt15iterator_traitsISH_E10value_typeET2_T3_PNSI_ISN_E10value_typeET4_T5_PSS_ST_PNS1_23onesweep_lookback_stateEbbT6_jjT7_P12ihipStream_tbENKUlT_T0_SH_SM_E_clISB_PiSC_SC_EEDaS10_S11_SH_SM_EUlS10_E_NS1_11comp_targetILNS1_3genE9ELNS1_11target_archE1100ELNS1_3gpuE3ELNS1_3repE0EEENS1_47radix_sort_onesweep_sort_config_static_selectorELNS0_4arch9wavefront6targetE0EEEvSH_,comdat
.Lfunc_end1260:
	.size	_ZN7rocprim17ROCPRIM_400000_NS6detail17trampoline_kernelINS0_14default_configENS1_35radix_sort_onesweep_config_selectorIiNS0_10empty_typeEEEZZNS1_29radix_sort_onesweep_iterationIS3_Lb0EN6thrust23THRUST_200600_302600_NS10device_ptrIiEESB_PS5_SC_jNS0_19identity_decomposerENS1_16block_id_wrapperIjLb1EEEEE10hipError_tT1_PNSt15iterator_traitsISH_E10value_typeET2_T3_PNSI_ISN_E10value_typeET4_T5_PSS_ST_PNS1_23onesweep_lookback_stateEbbT6_jjT7_P12ihipStream_tbENKUlT_T0_SH_SM_E_clISB_PiSC_SC_EEDaS10_S11_SH_SM_EUlS10_E_NS1_11comp_targetILNS1_3genE9ELNS1_11target_archE1100ELNS1_3gpuE3ELNS1_3repE0EEENS1_47radix_sort_onesweep_sort_config_static_selectorELNS0_4arch9wavefront6targetE0EEEvSH_, .Lfunc_end1260-_ZN7rocprim17ROCPRIM_400000_NS6detail17trampoline_kernelINS0_14default_configENS1_35radix_sort_onesweep_config_selectorIiNS0_10empty_typeEEEZZNS1_29radix_sort_onesweep_iterationIS3_Lb0EN6thrust23THRUST_200600_302600_NS10device_ptrIiEESB_PS5_SC_jNS0_19identity_decomposerENS1_16block_id_wrapperIjLb1EEEEE10hipError_tT1_PNSt15iterator_traitsISH_E10value_typeET2_T3_PNSI_ISN_E10value_typeET4_T5_PSS_ST_PNS1_23onesweep_lookback_stateEbbT6_jjT7_P12ihipStream_tbENKUlT_T0_SH_SM_E_clISB_PiSC_SC_EEDaS10_S11_SH_SM_EUlS10_E_NS1_11comp_targetILNS1_3genE9ELNS1_11target_archE1100ELNS1_3gpuE3ELNS1_3repE0EEENS1_47radix_sort_onesweep_sort_config_static_selectorELNS0_4arch9wavefront6targetE0EEEvSH_
                                        ; -- End function
	.set _ZN7rocprim17ROCPRIM_400000_NS6detail17trampoline_kernelINS0_14default_configENS1_35radix_sort_onesweep_config_selectorIiNS0_10empty_typeEEEZZNS1_29radix_sort_onesweep_iterationIS3_Lb0EN6thrust23THRUST_200600_302600_NS10device_ptrIiEESB_PS5_SC_jNS0_19identity_decomposerENS1_16block_id_wrapperIjLb1EEEEE10hipError_tT1_PNSt15iterator_traitsISH_E10value_typeET2_T3_PNSI_ISN_E10value_typeET4_T5_PSS_ST_PNS1_23onesweep_lookback_stateEbbT6_jjT7_P12ihipStream_tbENKUlT_T0_SH_SM_E_clISB_PiSC_SC_EEDaS10_S11_SH_SM_EUlS10_E_NS1_11comp_targetILNS1_3genE9ELNS1_11target_archE1100ELNS1_3gpuE3ELNS1_3repE0EEENS1_47radix_sort_onesweep_sort_config_static_selectorELNS0_4arch9wavefront6targetE0EEEvSH_.num_vgpr, 0
	.set _ZN7rocprim17ROCPRIM_400000_NS6detail17trampoline_kernelINS0_14default_configENS1_35radix_sort_onesweep_config_selectorIiNS0_10empty_typeEEEZZNS1_29radix_sort_onesweep_iterationIS3_Lb0EN6thrust23THRUST_200600_302600_NS10device_ptrIiEESB_PS5_SC_jNS0_19identity_decomposerENS1_16block_id_wrapperIjLb1EEEEE10hipError_tT1_PNSt15iterator_traitsISH_E10value_typeET2_T3_PNSI_ISN_E10value_typeET4_T5_PSS_ST_PNS1_23onesweep_lookback_stateEbbT6_jjT7_P12ihipStream_tbENKUlT_T0_SH_SM_E_clISB_PiSC_SC_EEDaS10_S11_SH_SM_EUlS10_E_NS1_11comp_targetILNS1_3genE9ELNS1_11target_archE1100ELNS1_3gpuE3ELNS1_3repE0EEENS1_47radix_sort_onesweep_sort_config_static_selectorELNS0_4arch9wavefront6targetE0EEEvSH_.num_agpr, 0
	.set _ZN7rocprim17ROCPRIM_400000_NS6detail17trampoline_kernelINS0_14default_configENS1_35radix_sort_onesweep_config_selectorIiNS0_10empty_typeEEEZZNS1_29radix_sort_onesweep_iterationIS3_Lb0EN6thrust23THRUST_200600_302600_NS10device_ptrIiEESB_PS5_SC_jNS0_19identity_decomposerENS1_16block_id_wrapperIjLb1EEEEE10hipError_tT1_PNSt15iterator_traitsISH_E10value_typeET2_T3_PNSI_ISN_E10value_typeET4_T5_PSS_ST_PNS1_23onesweep_lookback_stateEbbT6_jjT7_P12ihipStream_tbENKUlT_T0_SH_SM_E_clISB_PiSC_SC_EEDaS10_S11_SH_SM_EUlS10_E_NS1_11comp_targetILNS1_3genE9ELNS1_11target_archE1100ELNS1_3gpuE3ELNS1_3repE0EEENS1_47radix_sort_onesweep_sort_config_static_selectorELNS0_4arch9wavefront6targetE0EEEvSH_.numbered_sgpr, 0
	.set _ZN7rocprim17ROCPRIM_400000_NS6detail17trampoline_kernelINS0_14default_configENS1_35radix_sort_onesweep_config_selectorIiNS0_10empty_typeEEEZZNS1_29radix_sort_onesweep_iterationIS3_Lb0EN6thrust23THRUST_200600_302600_NS10device_ptrIiEESB_PS5_SC_jNS0_19identity_decomposerENS1_16block_id_wrapperIjLb1EEEEE10hipError_tT1_PNSt15iterator_traitsISH_E10value_typeET2_T3_PNSI_ISN_E10value_typeET4_T5_PSS_ST_PNS1_23onesweep_lookback_stateEbbT6_jjT7_P12ihipStream_tbENKUlT_T0_SH_SM_E_clISB_PiSC_SC_EEDaS10_S11_SH_SM_EUlS10_E_NS1_11comp_targetILNS1_3genE9ELNS1_11target_archE1100ELNS1_3gpuE3ELNS1_3repE0EEENS1_47radix_sort_onesweep_sort_config_static_selectorELNS0_4arch9wavefront6targetE0EEEvSH_.num_named_barrier, 0
	.set _ZN7rocprim17ROCPRIM_400000_NS6detail17trampoline_kernelINS0_14default_configENS1_35radix_sort_onesweep_config_selectorIiNS0_10empty_typeEEEZZNS1_29radix_sort_onesweep_iterationIS3_Lb0EN6thrust23THRUST_200600_302600_NS10device_ptrIiEESB_PS5_SC_jNS0_19identity_decomposerENS1_16block_id_wrapperIjLb1EEEEE10hipError_tT1_PNSt15iterator_traitsISH_E10value_typeET2_T3_PNSI_ISN_E10value_typeET4_T5_PSS_ST_PNS1_23onesweep_lookback_stateEbbT6_jjT7_P12ihipStream_tbENKUlT_T0_SH_SM_E_clISB_PiSC_SC_EEDaS10_S11_SH_SM_EUlS10_E_NS1_11comp_targetILNS1_3genE9ELNS1_11target_archE1100ELNS1_3gpuE3ELNS1_3repE0EEENS1_47radix_sort_onesweep_sort_config_static_selectorELNS0_4arch9wavefront6targetE0EEEvSH_.private_seg_size, 0
	.set _ZN7rocprim17ROCPRIM_400000_NS6detail17trampoline_kernelINS0_14default_configENS1_35radix_sort_onesweep_config_selectorIiNS0_10empty_typeEEEZZNS1_29radix_sort_onesweep_iterationIS3_Lb0EN6thrust23THRUST_200600_302600_NS10device_ptrIiEESB_PS5_SC_jNS0_19identity_decomposerENS1_16block_id_wrapperIjLb1EEEEE10hipError_tT1_PNSt15iterator_traitsISH_E10value_typeET2_T3_PNSI_ISN_E10value_typeET4_T5_PSS_ST_PNS1_23onesweep_lookback_stateEbbT6_jjT7_P12ihipStream_tbENKUlT_T0_SH_SM_E_clISB_PiSC_SC_EEDaS10_S11_SH_SM_EUlS10_E_NS1_11comp_targetILNS1_3genE9ELNS1_11target_archE1100ELNS1_3gpuE3ELNS1_3repE0EEENS1_47radix_sort_onesweep_sort_config_static_selectorELNS0_4arch9wavefront6targetE0EEEvSH_.uses_vcc, 0
	.set _ZN7rocprim17ROCPRIM_400000_NS6detail17trampoline_kernelINS0_14default_configENS1_35radix_sort_onesweep_config_selectorIiNS0_10empty_typeEEEZZNS1_29radix_sort_onesweep_iterationIS3_Lb0EN6thrust23THRUST_200600_302600_NS10device_ptrIiEESB_PS5_SC_jNS0_19identity_decomposerENS1_16block_id_wrapperIjLb1EEEEE10hipError_tT1_PNSt15iterator_traitsISH_E10value_typeET2_T3_PNSI_ISN_E10value_typeET4_T5_PSS_ST_PNS1_23onesweep_lookback_stateEbbT6_jjT7_P12ihipStream_tbENKUlT_T0_SH_SM_E_clISB_PiSC_SC_EEDaS10_S11_SH_SM_EUlS10_E_NS1_11comp_targetILNS1_3genE9ELNS1_11target_archE1100ELNS1_3gpuE3ELNS1_3repE0EEENS1_47radix_sort_onesweep_sort_config_static_selectorELNS0_4arch9wavefront6targetE0EEEvSH_.uses_flat_scratch, 0
	.set _ZN7rocprim17ROCPRIM_400000_NS6detail17trampoline_kernelINS0_14default_configENS1_35radix_sort_onesweep_config_selectorIiNS0_10empty_typeEEEZZNS1_29radix_sort_onesweep_iterationIS3_Lb0EN6thrust23THRUST_200600_302600_NS10device_ptrIiEESB_PS5_SC_jNS0_19identity_decomposerENS1_16block_id_wrapperIjLb1EEEEE10hipError_tT1_PNSt15iterator_traitsISH_E10value_typeET2_T3_PNSI_ISN_E10value_typeET4_T5_PSS_ST_PNS1_23onesweep_lookback_stateEbbT6_jjT7_P12ihipStream_tbENKUlT_T0_SH_SM_E_clISB_PiSC_SC_EEDaS10_S11_SH_SM_EUlS10_E_NS1_11comp_targetILNS1_3genE9ELNS1_11target_archE1100ELNS1_3gpuE3ELNS1_3repE0EEENS1_47radix_sort_onesweep_sort_config_static_selectorELNS0_4arch9wavefront6targetE0EEEvSH_.has_dyn_sized_stack, 0
	.set _ZN7rocprim17ROCPRIM_400000_NS6detail17trampoline_kernelINS0_14default_configENS1_35radix_sort_onesweep_config_selectorIiNS0_10empty_typeEEEZZNS1_29radix_sort_onesweep_iterationIS3_Lb0EN6thrust23THRUST_200600_302600_NS10device_ptrIiEESB_PS5_SC_jNS0_19identity_decomposerENS1_16block_id_wrapperIjLb1EEEEE10hipError_tT1_PNSt15iterator_traitsISH_E10value_typeET2_T3_PNSI_ISN_E10value_typeET4_T5_PSS_ST_PNS1_23onesweep_lookback_stateEbbT6_jjT7_P12ihipStream_tbENKUlT_T0_SH_SM_E_clISB_PiSC_SC_EEDaS10_S11_SH_SM_EUlS10_E_NS1_11comp_targetILNS1_3genE9ELNS1_11target_archE1100ELNS1_3gpuE3ELNS1_3repE0EEENS1_47radix_sort_onesweep_sort_config_static_selectorELNS0_4arch9wavefront6targetE0EEEvSH_.has_recursion, 0
	.set _ZN7rocprim17ROCPRIM_400000_NS6detail17trampoline_kernelINS0_14default_configENS1_35radix_sort_onesweep_config_selectorIiNS0_10empty_typeEEEZZNS1_29radix_sort_onesweep_iterationIS3_Lb0EN6thrust23THRUST_200600_302600_NS10device_ptrIiEESB_PS5_SC_jNS0_19identity_decomposerENS1_16block_id_wrapperIjLb1EEEEE10hipError_tT1_PNSt15iterator_traitsISH_E10value_typeET2_T3_PNSI_ISN_E10value_typeET4_T5_PSS_ST_PNS1_23onesweep_lookback_stateEbbT6_jjT7_P12ihipStream_tbENKUlT_T0_SH_SM_E_clISB_PiSC_SC_EEDaS10_S11_SH_SM_EUlS10_E_NS1_11comp_targetILNS1_3genE9ELNS1_11target_archE1100ELNS1_3gpuE3ELNS1_3repE0EEENS1_47radix_sort_onesweep_sort_config_static_selectorELNS0_4arch9wavefront6targetE0EEEvSH_.has_indirect_call, 0
	.section	.AMDGPU.csdata,"",@progbits
; Kernel info:
; codeLenInByte = 0
; TotalNumSgprs: 0
; NumVgprs: 0
; ScratchSize: 0
; MemoryBound: 0
; FloatMode: 240
; IeeeMode: 1
; LDSByteSize: 0 bytes/workgroup (compile time only)
; SGPRBlocks: 0
; VGPRBlocks: 0
; NumSGPRsForWavesPerEU: 1
; NumVGPRsForWavesPerEU: 1
; Occupancy: 16
; WaveLimiterHint : 0
; COMPUTE_PGM_RSRC2:SCRATCH_EN: 0
; COMPUTE_PGM_RSRC2:USER_SGPR: 6
; COMPUTE_PGM_RSRC2:TRAP_HANDLER: 0
; COMPUTE_PGM_RSRC2:TGID_X_EN: 1
; COMPUTE_PGM_RSRC2:TGID_Y_EN: 0
; COMPUTE_PGM_RSRC2:TGID_Z_EN: 0
; COMPUTE_PGM_RSRC2:TIDIG_COMP_CNT: 0
	.section	.text._ZN7rocprim17ROCPRIM_400000_NS6detail17trampoline_kernelINS0_14default_configENS1_35radix_sort_onesweep_config_selectorIiNS0_10empty_typeEEEZZNS1_29radix_sort_onesweep_iterationIS3_Lb0EN6thrust23THRUST_200600_302600_NS10device_ptrIiEESB_PS5_SC_jNS0_19identity_decomposerENS1_16block_id_wrapperIjLb1EEEEE10hipError_tT1_PNSt15iterator_traitsISH_E10value_typeET2_T3_PNSI_ISN_E10value_typeET4_T5_PSS_ST_PNS1_23onesweep_lookback_stateEbbT6_jjT7_P12ihipStream_tbENKUlT_T0_SH_SM_E_clISB_PiSC_SC_EEDaS10_S11_SH_SM_EUlS10_E_NS1_11comp_targetILNS1_3genE8ELNS1_11target_archE1030ELNS1_3gpuE2ELNS1_3repE0EEENS1_47radix_sort_onesweep_sort_config_static_selectorELNS0_4arch9wavefront6targetE0EEEvSH_,"axG",@progbits,_ZN7rocprim17ROCPRIM_400000_NS6detail17trampoline_kernelINS0_14default_configENS1_35radix_sort_onesweep_config_selectorIiNS0_10empty_typeEEEZZNS1_29radix_sort_onesweep_iterationIS3_Lb0EN6thrust23THRUST_200600_302600_NS10device_ptrIiEESB_PS5_SC_jNS0_19identity_decomposerENS1_16block_id_wrapperIjLb1EEEEE10hipError_tT1_PNSt15iterator_traitsISH_E10value_typeET2_T3_PNSI_ISN_E10value_typeET4_T5_PSS_ST_PNS1_23onesweep_lookback_stateEbbT6_jjT7_P12ihipStream_tbENKUlT_T0_SH_SM_E_clISB_PiSC_SC_EEDaS10_S11_SH_SM_EUlS10_E_NS1_11comp_targetILNS1_3genE8ELNS1_11target_archE1030ELNS1_3gpuE2ELNS1_3repE0EEENS1_47radix_sort_onesweep_sort_config_static_selectorELNS0_4arch9wavefront6targetE0EEEvSH_,comdat
	.protected	_ZN7rocprim17ROCPRIM_400000_NS6detail17trampoline_kernelINS0_14default_configENS1_35radix_sort_onesweep_config_selectorIiNS0_10empty_typeEEEZZNS1_29radix_sort_onesweep_iterationIS3_Lb0EN6thrust23THRUST_200600_302600_NS10device_ptrIiEESB_PS5_SC_jNS0_19identity_decomposerENS1_16block_id_wrapperIjLb1EEEEE10hipError_tT1_PNSt15iterator_traitsISH_E10value_typeET2_T3_PNSI_ISN_E10value_typeET4_T5_PSS_ST_PNS1_23onesweep_lookback_stateEbbT6_jjT7_P12ihipStream_tbENKUlT_T0_SH_SM_E_clISB_PiSC_SC_EEDaS10_S11_SH_SM_EUlS10_E_NS1_11comp_targetILNS1_3genE8ELNS1_11target_archE1030ELNS1_3gpuE2ELNS1_3repE0EEENS1_47radix_sort_onesweep_sort_config_static_selectorELNS0_4arch9wavefront6targetE0EEEvSH_ ; -- Begin function _ZN7rocprim17ROCPRIM_400000_NS6detail17trampoline_kernelINS0_14default_configENS1_35radix_sort_onesweep_config_selectorIiNS0_10empty_typeEEEZZNS1_29radix_sort_onesweep_iterationIS3_Lb0EN6thrust23THRUST_200600_302600_NS10device_ptrIiEESB_PS5_SC_jNS0_19identity_decomposerENS1_16block_id_wrapperIjLb1EEEEE10hipError_tT1_PNSt15iterator_traitsISH_E10value_typeET2_T3_PNSI_ISN_E10value_typeET4_T5_PSS_ST_PNS1_23onesweep_lookback_stateEbbT6_jjT7_P12ihipStream_tbENKUlT_T0_SH_SM_E_clISB_PiSC_SC_EEDaS10_S11_SH_SM_EUlS10_E_NS1_11comp_targetILNS1_3genE8ELNS1_11target_archE1030ELNS1_3gpuE2ELNS1_3repE0EEENS1_47radix_sort_onesweep_sort_config_static_selectorELNS0_4arch9wavefront6targetE0EEEvSH_
	.globl	_ZN7rocprim17ROCPRIM_400000_NS6detail17trampoline_kernelINS0_14default_configENS1_35radix_sort_onesweep_config_selectorIiNS0_10empty_typeEEEZZNS1_29radix_sort_onesweep_iterationIS3_Lb0EN6thrust23THRUST_200600_302600_NS10device_ptrIiEESB_PS5_SC_jNS0_19identity_decomposerENS1_16block_id_wrapperIjLb1EEEEE10hipError_tT1_PNSt15iterator_traitsISH_E10value_typeET2_T3_PNSI_ISN_E10value_typeET4_T5_PSS_ST_PNS1_23onesweep_lookback_stateEbbT6_jjT7_P12ihipStream_tbENKUlT_T0_SH_SM_E_clISB_PiSC_SC_EEDaS10_S11_SH_SM_EUlS10_E_NS1_11comp_targetILNS1_3genE8ELNS1_11target_archE1030ELNS1_3gpuE2ELNS1_3repE0EEENS1_47radix_sort_onesweep_sort_config_static_selectorELNS0_4arch9wavefront6targetE0EEEvSH_
	.p2align	8
	.type	_ZN7rocprim17ROCPRIM_400000_NS6detail17trampoline_kernelINS0_14default_configENS1_35radix_sort_onesweep_config_selectorIiNS0_10empty_typeEEEZZNS1_29radix_sort_onesweep_iterationIS3_Lb0EN6thrust23THRUST_200600_302600_NS10device_ptrIiEESB_PS5_SC_jNS0_19identity_decomposerENS1_16block_id_wrapperIjLb1EEEEE10hipError_tT1_PNSt15iterator_traitsISH_E10value_typeET2_T3_PNSI_ISN_E10value_typeET4_T5_PSS_ST_PNS1_23onesweep_lookback_stateEbbT6_jjT7_P12ihipStream_tbENKUlT_T0_SH_SM_E_clISB_PiSC_SC_EEDaS10_S11_SH_SM_EUlS10_E_NS1_11comp_targetILNS1_3genE8ELNS1_11target_archE1030ELNS1_3gpuE2ELNS1_3repE0EEENS1_47radix_sort_onesweep_sort_config_static_selectorELNS0_4arch9wavefront6targetE0EEEvSH_,@function
_ZN7rocprim17ROCPRIM_400000_NS6detail17trampoline_kernelINS0_14default_configENS1_35radix_sort_onesweep_config_selectorIiNS0_10empty_typeEEEZZNS1_29radix_sort_onesweep_iterationIS3_Lb0EN6thrust23THRUST_200600_302600_NS10device_ptrIiEESB_PS5_SC_jNS0_19identity_decomposerENS1_16block_id_wrapperIjLb1EEEEE10hipError_tT1_PNSt15iterator_traitsISH_E10value_typeET2_T3_PNSI_ISN_E10value_typeET4_T5_PSS_ST_PNS1_23onesweep_lookback_stateEbbT6_jjT7_P12ihipStream_tbENKUlT_T0_SH_SM_E_clISB_PiSC_SC_EEDaS10_S11_SH_SM_EUlS10_E_NS1_11comp_targetILNS1_3genE8ELNS1_11target_archE1030ELNS1_3gpuE2ELNS1_3repE0EEENS1_47radix_sort_onesweep_sort_config_static_selectorELNS0_4arch9wavefront6targetE0EEEvSH_: ; @_ZN7rocprim17ROCPRIM_400000_NS6detail17trampoline_kernelINS0_14default_configENS1_35radix_sort_onesweep_config_selectorIiNS0_10empty_typeEEEZZNS1_29radix_sort_onesweep_iterationIS3_Lb0EN6thrust23THRUST_200600_302600_NS10device_ptrIiEESB_PS5_SC_jNS0_19identity_decomposerENS1_16block_id_wrapperIjLb1EEEEE10hipError_tT1_PNSt15iterator_traitsISH_E10value_typeET2_T3_PNSI_ISN_E10value_typeET4_T5_PSS_ST_PNS1_23onesweep_lookback_stateEbbT6_jjT7_P12ihipStream_tbENKUlT_T0_SH_SM_E_clISB_PiSC_SC_EEDaS10_S11_SH_SM_EUlS10_E_NS1_11comp_targetILNS1_3genE8ELNS1_11target_archE1030ELNS1_3gpuE2ELNS1_3repE0EEENS1_47radix_sort_onesweep_sort_config_static_selectorELNS0_4arch9wavefront6targetE0EEEvSH_
; %bb.0:
	s_clause 0x2
	s_load_dwordx4 s[12:15], s[4:5], 0x28
	s_load_dwordx2 s[10:11], s[4:5], 0x38
	s_load_dwordx4 s[20:23], s[4:5], 0x44
	v_cmp_eq_u32_e64 s0, 0, v0
	s_and_saveexec_b32 s1, s0
	s_cbranch_execz .LBB1261_4
; %bb.1:
	s_mov_b32 s3, exec_lo
	s_mov_b32 s2, exec_lo
	v_mbcnt_lo_u32_b32 v3, s3, 0
                                        ; implicit-def: $vgpr4
	v_cmpx_eq_u32_e32 0, v3
	s_cbranch_execz .LBB1261_3
; %bb.2:
	s_load_dwordx2 s[8:9], s[4:5], 0x50
	s_bcnt1_i32_b32 s3, s3
	v_mov_b32_e32 v4, 0
	v_mov_b32_e32 v5, s3
	s_waitcnt lgkmcnt(0)
	global_atomic_add v4, v4, v5, s[8:9] glc
.LBB1261_3:
	s_or_b32 exec_lo, exec_lo, s2
	s_waitcnt vmcnt(0)
	v_readfirstlane_b32 s2, v4
	v_mov_b32_e32 v4, 0
	v_add_nc_u32_e32 v3, s2, v3
	ds_write_b32 v4, v3 offset:36992
.LBB1261_4:
	s_or_b32 exec_lo, exec_lo, s1
	v_mov_b32_e32 v3, 0
	s_clause 0x1
	s_load_dwordx4 s[16:19], s[4:5], 0x0
	s_load_dword s1, s[4:5], 0x20
	s_waitcnt lgkmcnt(0)
	s_barrier
	buffer_gl0_inv
	ds_read_b32 v3, v3 offset:36992
	v_mbcnt_lo_u32_b32 v12, -1, 0
	v_lshlrev_b32_e32 v11, 2, v0
	s_mov_b32 s2, -1
	s_waitcnt lgkmcnt(0)
	s_barrier
	buffer_gl0_inv
	v_cmp_le_u32_e32 vcc_lo, s22, v3
	v_readfirstlane_b32 s23, v3
	s_cbranch_vccz .LBB1261_52
; %bb.5:
	s_lshl_b32 s3, s22, 12
	s_lshl_b32 s2, s23, 12
	s_sub_i32 s22, s1, s3
	s_mov_b32 s3, 0
	v_and_b32_e32 v3, 0xf80, v11
	v_lshlrev_b32_e32 v4, 2, v12
	s_lshl_b64 s[2:3], s[2:3], 2
	s_add_u32 s1, s16, s2
	s_addc_u32 s2, s17, s3
	v_lshlrev_b32_e32 v5, 2, v3
	v_add_co_u32 v4, s1, s1, v4
	v_add_co_ci_u32_e64 v6, null, s2, 0, s1
	v_or_b32_e32 v9, v12, v3
	v_bfrev_b32_e32 v3, -2
	v_add_co_u32 v7, vcc_lo, v4, v5
	v_add_co_ci_u32_e64 v8, null, 0, v6, vcc_lo
	v_mov_b32_e32 v4, v3
	v_mov_b32_e32 v5, v3
	;; [unrolled: 1-line block ×3, first 2 shown]
	s_mov_b32 s1, exec_lo
	v_cmpx_gt_u32_e64 s22, v9
	s_cbranch_execz .LBB1261_7
; %bb.6:
	global_load_dword v13, v[7:8], off
	v_mov_b32_e32 v14, v3
	v_mov_b32_e32 v15, v3
	;; [unrolled: 1-line block ×3, first 2 shown]
	s_waitcnt vmcnt(0)
	v_mov_b32_e32 v3, v13
	v_mov_b32_e32 v4, v14
	;; [unrolled: 1-line block ×4, first 2 shown]
.LBB1261_7:
	s_or_b32 exec_lo, exec_lo, s1
	v_or_b32_e32 v10, 32, v9
	s_mov_b32 s1, exec_lo
	v_cmpx_gt_u32_e64 s22, v10
	s_cbranch_execz .LBB1261_9
; %bb.8:
	global_load_dword v4, v[7:8], off offset:128
.LBB1261_9:
	s_or_b32 exec_lo, exec_lo, s1
	v_or_b32_e32 v10, 64, v9
	s_mov_b32 s1, exec_lo
	v_cmpx_gt_u32_e64 s22, v10
	s_cbranch_execz .LBB1261_11
; %bb.10:
	global_load_dword v5, v[7:8], off offset:256
.LBB1261_11:
	;; [unrolled: 8-line block ×3, first 2 shown]
	s_or_b32 exec_lo, exec_lo, s1
	s_clause 0x1
	s_load_dword s1, s[4:5], 0x64
	s_load_dword s24, s[4:5], 0x58
	s_add_u32 s2, s4, 0x58
	s_addc_u32 s3, s5, 0
	v_mov_b32_e32 v10, 0
	v_xor_b32_e32 v13, 0x80000000, v3
	v_lshrrev_b32_e32 v3, s20, v13
	s_waitcnt lgkmcnt(0)
	s_lshr_b32 s7, s1, 16
	s_cmp_lt_u32 s6, s24
	s_cselect_b32 s1, 12, 18
	s_add_u32 s2, s2, s1
	s_addc_u32 s3, s3, 0
	s_lshl_b32 s1, -1, s21
	global_load_ushort v7, v10, s[2:3]
	s_not_b32 s25, s1
	v_and_b32_e32 v3, s25, v3
	v_and_b32_e32 v8, 1, v3
	v_lshlrev_b32_e32 v9, 30, v3
	v_lshlrev_b32_e32 v14, 29, v3
	;; [unrolled: 1-line block ×4, first 2 shown]
	v_add_co_u32 v8, s1, v8, -1
	v_cndmask_b32_e64 v15, 0, 1, s1
	v_not_b32_e32 v19, v9
	v_cmp_gt_i32_e64 s1, 0, v9
	v_not_b32_e32 v9, v14
	v_lshlrev_b32_e32 v18, 26, v3
	v_cmp_ne_u32_e32 vcc_lo, 0, v15
	v_ashrrev_i32_e32 v19, 31, v19
	v_lshlrev_b32_e32 v15, 25, v3
	v_ashrrev_i32_e32 v9, 31, v9
	v_xor_b32_e32 v8, vcc_lo, v8
	v_cmp_gt_i32_e32 vcc_lo, 0, v14
	v_not_b32_e32 v14, v16
	v_xor_b32_e32 v19, s1, v19
	v_cmp_gt_i32_e64 s1, 0, v16
	v_and_b32_e32 v8, exec_lo, v8
	v_not_b32_e32 v16, v17
	v_ashrrev_i32_e32 v14, 31, v14
	v_xor_b32_e32 v9, vcc_lo, v9
	v_cmp_gt_i32_e32 vcc_lo, 0, v17
	v_and_b32_e32 v8, v8, v19
	v_not_b32_e32 v17, v18
	v_ashrrev_i32_e32 v16, 31, v16
	v_xor_b32_e32 v14, s1, v14
	v_cmp_gt_i32_e64 s1, 0, v18
	v_and_b32_e32 v8, v8, v9
	v_not_b32_e32 v9, v15
	v_ashrrev_i32_e32 v17, 31, v17
	v_xor_b32_e32 v16, vcc_lo, v16
	v_cmp_gt_i32_e32 vcc_lo, 0, v15
	v_and_b32_e32 v8, v8, v14
	v_lshlrev_b32_e32 v14, 24, v3
	v_ashrrev_i32_e32 v9, 31, v9
	v_xor_b32_e32 v15, s1, v17
	v_and_b32_e32 v8, v8, v16
	v_not_b32_e32 v16, v14
	v_xor_b32_e32 v9, vcc_lo, v9
	v_cmp_gt_i32_e32 vcc_lo, 0, v14
	v_and_b32_e32 v8, v8, v15
	v_mad_u32_u24 v15, v2, s7, v1
	v_ashrrev_i32_e32 v14, 31, v16
	v_mul_u32_u24_e32 v16, 36, v0
	v_and_b32_e32 v17, v8, v9
	ds_write2_b32 v16, v10, v10 offset0:32 offset1:33
	ds_write2_b32 v16, v10, v10 offset0:34 offset1:35
	;; [unrolled: 1-line block ×4, first 2 shown]
	ds_write_b32 v16, v10 offset:160
	s_waitcnt vmcnt(0) lgkmcnt(0)
	s_barrier
	buffer_gl0_inv
	; wave barrier
	v_mad_u64_u32 v[8:9], null, v15, v7, v[0:1]
	v_xor_b32_e32 v7, vcc_lo, v14
	v_mul_lo_u32 v9, 0x84, v3
	v_and_b32_e32 v7, v17, v7
	v_lshrrev_b32_e32 v8, 3, v8
	v_mbcnt_lo_u32_b32 v14, v7, 0
	v_and_b32_e32 v3, 0x1ffffffc, v8
	v_cmp_ne_u32_e64 s1, 0, v7
	v_cmp_eq_u32_e32 vcc_lo, 0, v14
	v_add_nc_u32_e32 v17, v3, v9
	s_and_b32 s2, s1, vcc_lo
	s_and_saveexec_b32 s1, s2
; %bb.14:
	v_bcnt_u32_b32 v7, v7, 0
	ds_write_b32 v17, v7 offset:128
; %bb.15:
	s_or_b32 exec_lo, exec_lo, s1
	v_xor_b32_e32 v15, 0x80000000, v4
	; wave barrier
	v_lshrrev_b32_e32 v4, s20, v15
	v_and_b32_e32 v4, s25, v4
	v_and_b32_e32 v8, 1, v4
	v_lshlrev_b32_e32 v9, 30, v4
	v_lshlrev_b32_e32 v10, 29, v4
	;; [unrolled: 1-line block ×4, first 2 shown]
	v_add_co_u32 v8, s1, v8, -1
	v_cndmask_b32_e64 v19, 0, 1, s1
	v_not_b32_e32 v23, v9
	v_cmp_gt_i32_e64 s1, 0, v9
	v_not_b32_e32 v9, v10
	v_lshlrev_b32_e32 v21, 26, v4
	v_cmp_ne_u32_e32 vcc_lo, 0, v19
	v_ashrrev_i32_e32 v19, 31, v23
	v_lshlrev_b32_e32 v22, 25, v4
	v_ashrrev_i32_e32 v9, 31, v9
	v_mul_lo_u32 v7, 0x84, v4
	v_xor_b32_e32 v8, vcc_lo, v8
	v_cmp_gt_i32_e32 vcc_lo, 0, v10
	v_not_b32_e32 v10, v18
	v_xor_b32_e32 v19, s1, v19
	v_cmp_gt_i32_e64 s1, 0, v18
	v_and_b32_e32 v8, exec_lo, v8
	v_not_b32_e32 v18, v20
	v_ashrrev_i32_e32 v10, 31, v10
	v_xor_b32_e32 v9, vcc_lo, v9
	v_cmp_gt_i32_e32 vcc_lo, 0, v20
	v_and_b32_e32 v8, v8, v19
	v_not_b32_e32 v19, v21
	v_ashrrev_i32_e32 v18, 31, v18
	v_xor_b32_e32 v10, s1, v10
	v_lshlrev_b32_e32 v4, 24, v4
	v_and_b32_e32 v8, v8, v9
	v_cmp_gt_i32_e64 s1, 0, v21
	v_not_b32_e32 v9, v22
	v_ashrrev_i32_e32 v19, 31, v19
	v_xor_b32_e32 v18, vcc_lo, v18
	v_and_b32_e32 v8, v8, v10
	v_cmp_gt_i32_e32 vcc_lo, 0, v22
	v_not_b32_e32 v10, v4
	v_ashrrev_i32_e32 v9, 31, v9
	v_xor_b32_e32 v19, s1, v19
	v_and_b32_e32 v8, v8, v18
	v_cmp_gt_i32_e64 s1, 0, v4
	v_ashrrev_i32_e32 v4, 31, v10
	v_xor_b32_e32 v9, vcc_lo, v9
	v_add_nc_u32_e32 v21, v3, v7
	v_and_b32_e32 v8, v8, v19
	v_xor_b32_e32 v4, s1, v4
	ds_read_b32 v18, v21 offset:128
	v_and_b32_e32 v7, v8, v9
	; wave barrier
	v_and_b32_e32 v4, v7, v4
	v_mbcnt_lo_u32_b32 v20, v4, 0
	v_cmp_ne_u32_e64 s1, 0, v4
	v_cmp_eq_u32_e32 vcc_lo, 0, v20
	s_and_b32 s2, s1, vcc_lo
	s_and_saveexec_b32 s1, s2
	s_cbranch_execz .LBB1261_17
; %bb.16:
	s_waitcnt lgkmcnt(0)
	v_bcnt_u32_b32 v4, v4, v18
	ds_write_b32 v21, v4 offset:128
.LBB1261_17:
	s_or_b32 exec_lo, exec_lo, s1
	v_xor_b32_e32 v19, 0x80000000, v5
	; wave barrier
	v_lshrrev_b32_e32 v4, s20, v19
	v_and_b32_e32 v4, s25, v4
	v_and_b32_e32 v7, 1, v4
	v_lshlrev_b32_e32 v8, 30, v4
	v_lshlrev_b32_e32 v9, 29, v4
	;; [unrolled: 1-line block ×4, first 2 shown]
	v_add_co_u32 v7, s1, v7, -1
	v_cndmask_b32_e64 v22, 0, 1, s1
	v_not_b32_e32 v26, v8
	v_cmp_gt_i32_e64 s1, 0, v8
	v_not_b32_e32 v8, v9
	v_lshlrev_b32_e32 v24, 26, v4
	v_cmp_ne_u32_e32 vcc_lo, 0, v22
	v_ashrrev_i32_e32 v22, 31, v26
	v_lshlrev_b32_e32 v25, 25, v4
	v_ashrrev_i32_e32 v8, 31, v8
	v_mul_lo_u32 v5, 0x84, v4
	v_xor_b32_e32 v7, vcc_lo, v7
	v_cmp_gt_i32_e32 vcc_lo, 0, v9
	v_not_b32_e32 v9, v10
	v_xor_b32_e32 v22, s1, v22
	v_cmp_gt_i32_e64 s1, 0, v10
	v_and_b32_e32 v7, exec_lo, v7
	v_not_b32_e32 v10, v23
	v_ashrrev_i32_e32 v9, 31, v9
	v_xor_b32_e32 v8, vcc_lo, v8
	v_cmp_gt_i32_e32 vcc_lo, 0, v23
	v_and_b32_e32 v7, v7, v22
	v_not_b32_e32 v22, v24
	v_ashrrev_i32_e32 v10, 31, v10
	v_xor_b32_e32 v9, s1, v9
	v_lshlrev_b32_e32 v4, 24, v4
	v_and_b32_e32 v7, v7, v8
	v_cmp_gt_i32_e64 s1, 0, v24
	v_not_b32_e32 v8, v25
	v_ashrrev_i32_e32 v22, 31, v22
	v_xor_b32_e32 v10, vcc_lo, v10
	v_and_b32_e32 v7, v7, v9
	v_cmp_gt_i32_e32 vcc_lo, 0, v25
	v_not_b32_e32 v9, v4
	v_ashrrev_i32_e32 v8, 31, v8
	v_xor_b32_e32 v22, s1, v22
	v_and_b32_e32 v7, v7, v10
	v_cmp_gt_i32_e64 s1, 0, v4
	v_ashrrev_i32_e32 v4, 31, v9
	v_xor_b32_e32 v8, vcc_lo, v8
	v_add_nc_u32_e32 v25, v3, v5
	v_and_b32_e32 v7, v7, v22
	v_xor_b32_e32 v4, s1, v4
	ds_read_b32 v22, v25 offset:128
	v_and_b32_e32 v5, v7, v8
	; wave barrier
	v_and_b32_e32 v4, v5, v4
	v_mbcnt_lo_u32_b32 v24, v4, 0
	v_cmp_ne_u32_e64 s1, 0, v4
	v_cmp_eq_u32_e32 vcc_lo, 0, v24
	s_and_b32 s2, s1, vcc_lo
	s_and_saveexec_b32 s1, s2
	s_cbranch_execz .LBB1261_19
; %bb.18:
	s_waitcnt lgkmcnt(0)
	v_bcnt_u32_b32 v4, v4, v22
	ds_write_b32 v25, v4 offset:128
.LBB1261_19:
	s_or_b32 exec_lo, exec_lo, s1
	v_xor_b32_e32 v23, 0x80000000, v6
	; wave barrier
	v_lshrrev_b32_e32 v4, s20, v23
	v_and_b32_e32 v4, s25, v4
	v_and_b32_e32 v6, 1, v4
	v_lshlrev_b32_e32 v7, 30, v4
	v_lshlrev_b32_e32 v8, 29, v4
	v_lshlrev_b32_e32 v9, 28, v4
	v_lshlrev_b32_e32 v26, 27, v4
	v_add_co_u32 v6, s1, v6, -1
	v_cndmask_b32_e64 v10, 0, 1, s1
	v_not_b32_e32 v29, v7
	v_cmp_gt_i32_e64 s1, 0, v7
	v_not_b32_e32 v7, v8
	v_lshlrev_b32_e32 v27, 26, v4
	v_cmp_ne_u32_e32 vcc_lo, 0, v10
	v_ashrrev_i32_e32 v10, 31, v29
	v_lshlrev_b32_e32 v28, 25, v4
	v_ashrrev_i32_e32 v7, 31, v7
	v_mul_lo_u32 v5, 0x84, v4
	v_xor_b32_e32 v6, vcc_lo, v6
	v_cmp_gt_i32_e32 vcc_lo, 0, v8
	v_not_b32_e32 v8, v9
	v_xor_b32_e32 v10, s1, v10
	v_cmp_gt_i32_e64 s1, 0, v9
	v_and_b32_e32 v6, exec_lo, v6
	v_not_b32_e32 v9, v26
	v_ashrrev_i32_e32 v8, 31, v8
	v_xor_b32_e32 v7, vcc_lo, v7
	v_cmp_gt_i32_e32 vcc_lo, 0, v26
	v_and_b32_e32 v6, v6, v10
	v_not_b32_e32 v10, v27
	v_ashrrev_i32_e32 v9, 31, v9
	v_xor_b32_e32 v8, s1, v8
	v_lshlrev_b32_e32 v4, 24, v4
	v_and_b32_e32 v6, v6, v7
	v_cmp_gt_i32_e64 s1, 0, v27
	v_not_b32_e32 v7, v28
	v_ashrrev_i32_e32 v10, 31, v10
	v_xor_b32_e32 v9, vcc_lo, v9
	v_and_b32_e32 v6, v6, v8
	v_cmp_gt_i32_e32 vcc_lo, 0, v28
	v_not_b32_e32 v8, v4
	v_ashrrev_i32_e32 v7, 31, v7
	v_xor_b32_e32 v10, s1, v10
	v_and_b32_e32 v6, v6, v9
	v_cmp_gt_i32_e64 s1, 0, v4
	v_ashrrev_i32_e32 v4, 31, v8
	v_xor_b32_e32 v7, vcc_lo, v7
	v_add_nc_u32_e32 v28, v3, v5
	v_and_b32_e32 v6, v6, v10
	v_xor_b32_e32 v3, s1, v4
	ds_read_b32 v26, v28 offset:128
	v_and_b32_e32 v4, v6, v7
	; wave barrier
	v_and_b32_e32 v3, v4, v3
	v_mbcnt_lo_u32_b32 v27, v3, 0
	v_cmp_ne_u32_e64 s1, 0, v3
	v_cmp_eq_u32_e32 vcc_lo, 0, v27
	s_and_b32 s2, s1, vcc_lo
	s_and_saveexec_b32 s1, s2
	s_cbranch_execz .LBB1261_21
; %bb.20:
	s_waitcnt lgkmcnt(0)
	v_bcnt_u32_b32 v3, v3, v26
	ds_write_b32 v28, v3 offset:128
.LBB1261_21:
	s_or_b32 exec_lo, exec_lo, s1
	; wave barrier
	s_waitcnt lgkmcnt(0)
	s_barrier
	buffer_gl0_inv
	ds_read2_b32 v[9:10], v16 offset0:32 offset1:33
	ds_read2_b32 v[7:8], v16 offset0:34 offset1:35
	;; [unrolled: 1-line block ×4, first 2 shown]
	ds_read_b32 v29, v16 offset:160
	v_and_b32_e32 v32, 16, v12
	v_and_b32_e32 v33, 31, v0
	s_mov_b32 s9, exec_lo
	v_cmp_eq_u32_e64 s7, 0, v32
	s_waitcnt lgkmcnt(3)
	v_add3_u32 v30, v10, v9, v7
	s_waitcnt lgkmcnt(2)
	v_add3_u32 v30, v30, v8, v5
	;; [unrolled: 2-line block ×4, first 2 shown]
	v_and_b32_e32 v30, 15, v12
	v_mov_b32_dpp v31, v29 row_shr:1 row_mask:0xf bank_mask:0xf
	v_cmp_eq_u32_e32 vcc_lo, 0, v30
	v_cmp_lt_u32_e64 s1, 1, v30
	v_cmp_lt_u32_e64 s2, 3, v30
	;; [unrolled: 1-line block ×3, first 2 shown]
	v_cndmask_b32_e64 v31, v31, 0, vcc_lo
	v_add_nc_u32_e32 v29, v31, v29
	v_mov_b32_dpp v31, v29 row_shr:2 row_mask:0xf bank_mask:0xf
	v_cndmask_b32_e64 v31, 0, v31, s1
	v_add_nc_u32_e32 v29, v29, v31
	v_mov_b32_dpp v31, v29 row_shr:4 row_mask:0xf bank_mask:0xf
	v_cndmask_b32_e64 v31, 0, v31, s2
	;; [unrolled: 3-line block ×3, first 2 shown]
	v_bfe_i32 v31, v12, 4, 1
	v_add_nc_u32_e32 v29, v29, v30
	ds_swizzle_b32 v30, v29 offset:swizzle(BROADCAST,32,15)
	s_waitcnt lgkmcnt(0)
	v_and_b32_e32 v31, v31, v30
	v_lshrrev_b32_e32 v30, 5, v0
	v_add_nc_u32_e32 v29, v29, v31
	v_cmpx_eq_u32_e32 31, v33
; %bb.22:
	v_lshlrev_b32_e32 v31, 2, v30
	ds_write_b32 v31, v29
; %bb.23:
	s_or_b32 exec_lo, exec_lo, s9
	v_cmp_lt_u32_e64 s8, 31, v0
	s_mov_b32 s26, exec_lo
	s_waitcnt lgkmcnt(0)
	s_barrier
	buffer_gl0_inv
	v_cmpx_gt_u32_e32 32, v0
	s_cbranch_execz .LBB1261_25
; %bb.24:
	ds_read_b32 v31, v11
	s_waitcnt lgkmcnt(0)
	v_mov_b32_dpp v32, v31 row_shr:1 row_mask:0xf bank_mask:0xf
	v_cndmask_b32_e64 v32, v32, 0, vcc_lo
	v_add_nc_u32_e32 v31, v32, v31
	v_mov_b32_dpp v32, v31 row_shr:2 row_mask:0xf bank_mask:0xf
	v_cndmask_b32_e64 v32, 0, v32, s1
	v_add_nc_u32_e32 v31, v31, v32
	v_mov_b32_dpp v32, v31 row_shr:4 row_mask:0xf bank_mask:0xf
	v_cndmask_b32_e64 v32, 0, v32, s2
	;; [unrolled: 3-line block ×3, first 2 shown]
	v_add_nc_u32_e32 v31, v31, v32
	ds_swizzle_b32 v32, v31 offset:swizzle(BROADCAST,32,15)
	s_waitcnt lgkmcnt(0)
	v_cndmask_b32_e64 v32, v32, 0, s7
	v_add_nc_u32_e32 v31, v31, v32
	ds_write_b32 v11, v31
.LBB1261_25:
	s_or_b32 exec_lo, exec_lo, s26
	v_mov_b32_e32 v31, 0
	s_waitcnt lgkmcnt(0)
	s_barrier
	buffer_gl0_inv
	s_and_saveexec_b32 s1, s8
; %bb.26:
	v_lshl_add_u32 v30, v30, 2, -4
	ds_read_b32 v31, v30
; %bb.27:
	s_or_b32 exec_lo, exec_lo, s1
	v_sub_co_u32 v30, vcc_lo, v12, 1
	s_waitcnt lgkmcnt(0)
	v_add_nc_u32_e32 v29, v31, v29
	v_cmp_gt_i32_e64 s1, 0, v30
	v_cndmask_b32_e64 v30, v30, v12, s1
	v_cmp_gt_u32_e64 s1, 0x100, v0
	v_lshlrev_b32_e32 v30, 2, v30
	ds_bpermute_b32 v29, v30, v29
	s_waitcnt lgkmcnt(0)
	v_cndmask_b32_e32 v29, v29, v31, vcc_lo
	v_cmp_lt_u32_e32 vcc_lo, 0xff, v0
	v_cndmask_b32_e64 v29, v29, 0, s0
	v_add_nc_u32_e32 v9, v29, v9
	v_add_nc_u32_e32 v10, v9, v10
	;; [unrolled: 1-line block ×8, first 2 shown]
	ds_write2_b32 v16, v29, v9 offset0:32 offset1:33
	ds_write2_b32 v16, v10, v7 offset0:34 offset1:35
	ds_write2_b32 v16, v8, v5 offset0:36 offset1:37
	ds_write2_b32 v16, v6, v3 offset0:38 offset1:39
	ds_write_b32 v16, v4 offset:160
	s_waitcnt lgkmcnt(0)
	s_barrier
	buffer_gl0_inv
	ds_read_b32 v3, v17 offset:128
	ds_read_b32 v6, v21 offset:128
	;; [unrolled: 1-line block ×4, first 2 shown]
                                        ; implicit-def: $vgpr9
                                        ; implicit-def: $vgpr10
	s_and_saveexec_b32 s3, s1
	s_cbranch_execz .LBB1261_31
; %bb.28:
	v_mul_u32_u24_e32 v7, 0x84, v0
	v_add_nc_u32_e32 v8, 1, v0
	s_mov_b32 s7, exec_lo
	ds_read_b32 v9, v7 offset:128
	v_mov_b32_e32 v7, 0x1000
	v_cmpx_ne_u32_e32 0x100, v8
; %bb.29:
	v_mul_u32_u24_e32 v7, 0x84, v8
	ds_read_b32 v7, v7 offset:128
; %bb.30:
	s_or_b32 exec_lo, exec_lo, s7
	s_waitcnt lgkmcnt(0)
	v_sub_nc_u32_e32 v10, v7, v9
.LBB1261_31:
	s_or_b32 exec_lo, exec_lo, s3
	v_lshlrev_b32_e32 v7, 2, v14
	v_lshlrev_b32_e32 v8, 2, v20
	;; [unrolled: 1-line block ×5, first 2 shown]
	s_waitcnt lgkmcnt(0)
	v_lshlrev_b32_e32 v4, 2, v4
	v_lshlrev_b32_e32 v6, 2, v6
	;; [unrolled: 1-line block ×5, first 2 shown]
	v_lshl_add_u32 v3, v3, 2, v7
	v_add3_u32 v7, v18, v20, v4
	v_mov_b32_e32 v4, 0
	v_add3_u32 v6, v8, v14, v6
	v_add3_u32 v5, v16, v17, v5
	s_barrier
	buffer_gl0_inv
	ds_write_b32 v3, v13 offset:1024
	ds_write_b32 v6, v15 offset:1024
	;; [unrolled: 1-line block ×4, first 2 shown]
	s_and_saveexec_b32 s2, s1
	s_cbranch_execz .LBB1261_41
; %bb.32:
	v_lshl_add_u32 v3, s23, 8, v0
	v_mov_b32_e32 v13, 0
	s_mov_b32 s3, 0
	s_mov_b32 s7, s23
	v_lshlrev_b64 v[5:6], 2, v[3:4]
	v_or_b32_e32 v3, 2.0, v10
	v_add_co_u32 v5, s1, s10, v5
	v_add_co_ci_u32_e64 v6, null, s11, v6, s1
                                        ; implicit-def: $sgpr1
	global_store_dword v[5:6], v3, off
	s_branch .LBB1261_35
	.p2align	6
.LBB1261_33:                            ;   in Loop: Header=BB1261_35 Depth=1
	s_or_b32 exec_lo, exec_lo, s9
.LBB1261_34:                            ;   in Loop: Header=BB1261_35 Depth=1
	s_or_b32 exec_lo, exec_lo, s8
	v_and_b32_e32 v7, 0x3fffffff, v3
	v_cmp_gt_i32_e64 s1, -2.0, v3
	v_add_nc_u32_e32 v13, v7, v13
	s_and_b32 s8, exec_lo, s1
	s_or_b32 s3, s8, s3
	s_andn2_b32 exec_lo, exec_lo, s3
	s_cbranch_execz .LBB1261_40
.LBB1261_35:                            ; =>This Loop Header: Depth=1
                                        ;     Child Loop BB1261_38 Depth 2
	s_or_b32 s1, s1, exec_lo
	s_cmp_eq_u32 s7, 0
	s_cbranch_scc1 .LBB1261_39
; %bb.36:                               ;   in Loop: Header=BB1261_35 Depth=1
	s_add_i32 s7, s7, -1
	s_mov_b32 s8, exec_lo
	v_lshl_or_b32 v3, s7, 8, v0
	v_lshlrev_b64 v[7:8], 2, v[3:4]
	v_add_co_u32 v7, s1, s10, v7
	v_add_co_ci_u32_e64 v8, null, s11, v8, s1
	global_load_dword v3, v[7:8], off glc dlc
	s_waitcnt vmcnt(0)
	v_cmpx_gt_u32_e32 2.0, v3
	s_cbranch_execz .LBB1261_34
; %bb.37:                               ;   in Loop: Header=BB1261_35 Depth=1
	s_mov_b32 s9, 0
.LBB1261_38:                            ;   Parent Loop BB1261_35 Depth=1
                                        ; =>  This Inner Loop Header: Depth=2
	global_load_dword v3, v[7:8], off glc dlc
	s_waitcnt vmcnt(0)
	v_cmp_lt_u32_e64 s1, 0x3fffffff, v3
	s_or_b32 s9, s1, s9
	s_andn2_b32 exec_lo, exec_lo, s9
	s_cbranch_execnz .LBB1261_38
	s_branch .LBB1261_33
.LBB1261_39:                            ;   in Loop: Header=BB1261_35 Depth=1
                                        ; implicit-def: $sgpr7
	s_and_b32 s8, exec_lo, s1
	s_or_b32 s3, s8, s3
	s_andn2_b32 exec_lo, exec_lo, s3
	s_cbranch_execnz .LBB1261_35
.LBB1261_40:
	s_or_b32 exec_lo, exec_lo, s3
	v_add_nc_u32_e32 v3, v13, v10
	v_sub_nc_u32_e32 v4, v13, v9
	v_or_b32_e32 v3, 0x80000000, v3
	global_store_dword v[5:6], v3, off
	global_load_dword v3, v11, s[12:13]
	s_waitcnt vmcnt(0)
	v_add_nc_u32_e32 v3, v4, v3
	ds_write_b32 v11, v3
.LBB1261_41:
	s_or_b32 exec_lo, exec_lo, s2
	s_mov_b32 s2, exec_lo
	s_waitcnt lgkmcnt(0)
	s_waitcnt_vscnt null, 0x0
	s_barrier
	buffer_gl0_inv
	v_cmpx_gt_u32_e64 s22, v0
	s_cbranch_execz .LBB1261_43
; %bb.42:
	ds_read_b32 v5, v11 offset:1024
	v_mov_b32_e32 v4, 0
	s_waitcnt lgkmcnt(0)
	v_lshrrev_b32_e32 v3, s20, v5
	v_xor_b32_e32 v5, 0x80000000, v5
	v_and_b32_e32 v3, s25, v3
	v_lshlrev_b32_e32 v3, 2, v3
	ds_read_b32 v3, v3
	s_waitcnt lgkmcnt(0)
	v_add_nc_u32_e32 v3, v3, v0
	v_lshlrev_b64 v[3:4], 2, v[3:4]
	v_add_co_u32 v3, s1, s18, v3
	v_add_co_ci_u32_e64 v4, null, s19, v4, s1
	global_store_dword v[3:4], v5, off
.LBB1261_43:
	s_or_b32 exec_lo, exec_lo, s2
	v_or_b32_e32 v3, 0x400, v0
	s_mov_b32 s2, exec_lo
	v_cmpx_gt_u32_e64 s22, v3
	s_cbranch_execz .LBB1261_45
; %bb.44:
	ds_read_b32 v5, v11 offset:5120
	s_waitcnt lgkmcnt(0)
	v_lshrrev_b32_e32 v4, s20, v5
	v_xor_b32_e32 v5, 0x80000000, v5
	v_and_b32_e32 v4, s25, v4
	v_lshlrev_b32_e32 v4, 2, v4
	ds_read_b32 v6, v4
	v_mov_b32_e32 v4, 0
	s_waitcnt lgkmcnt(0)
	v_add_nc_u32_e32 v3, v6, v3
	v_lshlrev_b64 v[3:4], 2, v[3:4]
	v_add_co_u32 v3, s1, s18, v3
	v_add_co_ci_u32_e64 v4, null, s19, v4, s1
	global_store_dword v[3:4], v5, off
.LBB1261_45:
	s_or_b32 exec_lo, exec_lo, s2
	v_or_b32_e32 v3, 0x800, v0
	s_mov_b32 s2, exec_lo
	v_cmpx_gt_u32_e64 s22, v3
	s_cbranch_execz .LBB1261_47
; %bb.46:
	ds_read_b32 v5, v11 offset:9216
	s_waitcnt lgkmcnt(0)
	v_lshrrev_b32_e32 v4, s20, v5
	v_xor_b32_e32 v5, 0x80000000, v5
	v_and_b32_e32 v4, s25, v4
	v_lshlrev_b32_e32 v4, 2, v4
	ds_read_b32 v6, v4
	v_mov_b32_e32 v4, 0
	s_waitcnt lgkmcnt(0)
	v_add_nc_u32_e32 v3, v6, v3
	v_lshlrev_b64 v[3:4], 2, v[3:4]
	v_add_co_u32 v3, s1, s18, v3
	v_add_co_ci_u32_e64 v4, null, s19, v4, s1
	global_store_dword v[3:4], v5, off
.LBB1261_47:
	;; [unrolled: 21-line block ×3, first 2 shown]
	s_or_b32 exec_lo, exec_lo, s2
	s_add_i32 s24, s24, -1
	s_cmp_eq_u32 s23, s24
	s_cselect_b32 s1, -1, 0
	s_xor_b32 s2, vcc_lo, -1
	s_and_b32 s2, s2, s1
	s_and_saveexec_b32 s1, s2
	s_cbranch_execz .LBB1261_51
; %bb.50:
	ds_read_b32 v3, v11
	s_waitcnt lgkmcnt(0)
	v_add3_u32 v3, v9, v10, v3
	global_store_dword v11, v3, s[14:15]
.LBB1261_51:
	s_or_b32 exec_lo, exec_lo, s1
	s_mov_b32 s2, 0
.LBB1261_52:
	s_and_b32 vcc_lo, exec_lo, s2
	s_cbranch_vccz .LBB1261_83
; %bb.53:
	s_lshl_b32 s2, s23, 12
	s_mov_b32 s3, 0
	v_lshlrev_b32_e32 v3, 4, v0
	v_lshlrev_b32_e32 v4, 2, v12
	s_lshl_b64 s[2:3], s[2:3], 2
	v_mov_b32_e32 v13, 0
	s_add_u32 s1, s16, s2
	s_addc_u32 s2, s17, s3
	v_and_b32_e32 v3, 0x3e00, v3
	v_add_co_u32 v4, s1, s1, v4
	v_add_co_ci_u32_e64 v5, null, s2, 0, s1
	s_add_u32 s2, s4, 0x58
	v_add_co_u32 v6, vcc_lo, v4, v3
	v_add_co_ci_u32_e64 v7, null, 0, v5, vcc_lo
	s_addc_u32 s3, s5, 0
	global_load_dword v8, v[6:7], off
	s_clause 0x1
	s_load_dword s1, s[4:5], 0x64
	s_load_dword s7, s[4:5], 0x58
	s_waitcnt lgkmcnt(0)
	s_lshr_b32 s4, s1, 16
	s_cmp_lt_u32 s6, s7
	v_mad_u32_u24 v1, v2, s4, v1
	s_cselect_b32 s1, 12, 18
	s_add_u32 s2, s2, s1
	s_addc_u32 s3, s3, 0
	global_load_ushort v10, v13, s[2:3]
	s_clause 0x2
	global_load_dword v5, v[6:7], off offset:128
	global_load_dword v4, v[6:7], off offset:256
	;; [unrolled: 1-line block ×3, first 2 shown]
	s_lshl_b32 s1, -1, s21
	s_not_b32 s8, s1
	s_waitcnt vmcnt(4)
	v_xor_b32_e32 v9, 0x80000000, v8
	v_lshrrev_b32_e32 v6, s20, v9
	v_and_b32_e32 v6, s8, v6
	v_and_b32_e32 v7, 1, v6
	v_lshlrev_b32_e32 v8, 30, v6
	v_lshlrev_b32_e32 v14, 29, v6
	;; [unrolled: 1-line block ×4, first 2 shown]
	v_add_co_u32 v7, s1, v7, -1
	v_cndmask_b32_e64 v16, 0, 1, s1
	v_not_b32_e32 v20, v8
	v_cmp_gt_i32_e64 s1, 0, v8
	v_not_b32_e32 v8, v14
	v_lshlrev_b32_e32 v18, 26, v6
	v_cmp_ne_u32_e32 vcc_lo, 0, v16
	v_ashrrev_i32_e32 v20, 31, v20
	v_lshlrev_b32_e32 v19, 25, v6
	v_ashrrev_i32_e32 v8, 31, v8
	v_lshlrev_b32_e32 v16, 24, v6
	v_xor_b32_e32 v7, vcc_lo, v7
	v_cmp_gt_i32_e32 vcc_lo, 0, v14
	v_not_b32_e32 v14, v15
	v_xor_b32_e32 v20, s1, v20
	v_cmp_gt_i32_e64 s1, 0, v15
	v_and_b32_e32 v7, exec_lo, v7
	v_not_b32_e32 v15, v17
	v_ashrrev_i32_e32 v14, 31, v14
	v_xor_b32_e32 v8, vcc_lo, v8
	v_cmp_gt_i32_e32 vcc_lo, 0, v17
	v_and_b32_e32 v7, v7, v20
	v_not_b32_e32 v17, v18
	v_ashrrev_i32_e32 v15, 31, v15
	v_xor_b32_e32 v14, s1, v14
	v_cmp_gt_i32_e64 s1, 0, v18
	v_and_b32_e32 v7, v7, v8
	v_not_b32_e32 v8, v19
	v_ashrrev_i32_e32 v17, 31, v17
	v_xor_b32_e32 v15, vcc_lo, v15
	v_cmp_gt_i32_e32 vcc_lo, 0, v19
	v_and_b32_e32 v7, v7, v14
	v_not_b32_e32 v14, v16
	v_ashrrev_i32_e32 v8, 31, v8
	v_xor_b32_e32 v17, s1, v17
	v_cmp_gt_i32_e64 s1, 0, v16
	v_and_b32_e32 v7, v7, v15
	v_ashrrev_i32_e32 v15, 31, v14
	v_xor_b32_e32 v8, vcc_lo, v8
	s_waitcnt vmcnt(3)
	v_mad_u64_u32 v[1:2], null, v1, v10, v[0:1]
	v_and_b32_e32 v7, v7, v17
	v_xor_b32_e32 v2, s1, v15
	v_mul_lo_u32 v6, 0x84, v6
	v_mul_u32_u24_e32 v14, 36, v0
	v_and_b32_e32 v7, v7, v8
	v_lshrrev_b32_e32 v1, 3, v1
	ds_write2_b32 v14, v13, v13 offset0:32 offset1:33
	ds_write2_b32 v14, v13, v13 offset0:34 offset1:35
	ds_write2_b32 v14, v13, v13 offset0:36 offset1:37
	v_and_b32_e32 v2, v7, v2
	v_and_b32_e32 v1, 0x1ffffffc, v1
	ds_write2_b32 v14, v13, v13 offset0:38 offset1:39
	ds_write_b32 v14, v13 offset:160
	s_waitcnt vmcnt(0) lgkmcnt(0)
	s_waitcnt_vscnt null, 0x0
	s_barrier
	v_mbcnt_lo_u32_b32 v10, v2, 0
	v_cmp_ne_u32_e64 s1, 0, v2
	v_add_nc_u32_e32 v15, v1, v6
	buffer_gl0_inv
	v_cmp_eq_u32_e32 vcc_lo, 0, v10
	; wave barrier
	s_and_b32 s2, s1, vcc_lo
	s_and_saveexec_b32 s1, s2
; %bb.54:
	v_bcnt_u32_b32 v2, v2, 0
	ds_write_b32 v15, v2 offset:128
; %bb.55:
	s_or_b32 exec_lo, exec_lo, s1
	v_xor_b32_e32 v13, 0x80000000, v5
	; wave barrier
	v_lshrrev_b32_e32 v2, s20, v13
	v_and_b32_e32 v2, s8, v2
	v_and_b32_e32 v6, 1, v2
	v_lshlrev_b32_e32 v7, 30, v2
	v_lshlrev_b32_e32 v8, 29, v2
	v_lshlrev_b32_e32 v16, 28, v2
	v_lshlrev_b32_e32 v18, 27, v2
	v_add_co_u32 v6, s1, v6, -1
	v_cndmask_b32_e64 v17, 0, 1, s1
	v_not_b32_e32 v21, v7
	v_cmp_gt_i32_e64 s1, 0, v7
	v_not_b32_e32 v7, v8
	v_lshlrev_b32_e32 v19, 26, v2
	v_cmp_ne_u32_e32 vcc_lo, 0, v17
	v_ashrrev_i32_e32 v17, 31, v21
	v_lshlrev_b32_e32 v20, 25, v2
	v_ashrrev_i32_e32 v7, 31, v7
	v_mul_lo_u32 v5, 0x84, v2
	v_xor_b32_e32 v6, vcc_lo, v6
	v_cmp_gt_i32_e32 vcc_lo, 0, v8
	v_not_b32_e32 v8, v16
	v_xor_b32_e32 v17, s1, v17
	v_cmp_gt_i32_e64 s1, 0, v16
	v_and_b32_e32 v6, exec_lo, v6
	v_not_b32_e32 v16, v18
	v_ashrrev_i32_e32 v8, 31, v8
	v_xor_b32_e32 v7, vcc_lo, v7
	v_cmp_gt_i32_e32 vcc_lo, 0, v18
	v_and_b32_e32 v6, v6, v17
	v_not_b32_e32 v17, v19
	v_ashrrev_i32_e32 v16, 31, v16
	v_xor_b32_e32 v8, s1, v8
	v_lshlrev_b32_e32 v2, 24, v2
	v_and_b32_e32 v6, v6, v7
	v_cmp_gt_i32_e64 s1, 0, v19
	v_not_b32_e32 v7, v20
	v_ashrrev_i32_e32 v17, 31, v17
	v_xor_b32_e32 v16, vcc_lo, v16
	v_and_b32_e32 v6, v6, v8
	v_cmp_gt_i32_e32 vcc_lo, 0, v20
	v_not_b32_e32 v8, v2
	v_ashrrev_i32_e32 v7, 31, v7
	v_xor_b32_e32 v17, s1, v17
	v_and_b32_e32 v6, v6, v16
	v_cmp_gt_i32_e64 s1, 0, v2
	v_ashrrev_i32_e32 v2, 31, v8
	v_xor_b32_e32 v7, vcc_lo, v7
	v_add_nc_u32_e32 v19, v1, v5
	v_and_b32_e32 v6, v6, v17
	v_xor_b32_e32 v2, s1, v2
	ds_read_b32 v16, v19 offset:128
	v_and_b32_e32 v5, v6, v7
	; wave barrier
	v_and_b32_e32 v2, v5, v2
	v_mbcnt_lo_u32_b32 v18, v2, 0
	v_cmp_ne_u32_e64 s1, 0, v2
	v_cmp_eq_u32_e32 vcc_lo, 0, v18
	s_and_b32 s2, s1, vcc_lo
	s_and_saveexec_b32 s1, s2
	s_cbranch_execz .LBB1261_57
; %bb.56:
	s_waitcnt lgkmcnt(0)
	v_bcnt_u32_b32 v2, v2, v16
	ds_write_b32 v19, v2 offset:128
.LBB1261_57:
	s_or_b32 exec_lo, exec_lo, s1
	v_xor_b32_e32 v17, 0x80000000, v4
	; wave barrier
	v_lshrrev_b32_e32 v2, s20, v17
	v_and_b32_e32 v2, s8, v2
	v_and_b32_e32 v5, 1, v2
	v_lshlrev_b32_e32 v6, 30, v2
	v_lshlrev_b32_e32 v7, 29, v2
	;; [unrolled: 1-line block ×4, first 2 shown]
	v_add_co_u32 v5, s1, v5, -1
	v_cndmask_b32_e64 v20, 0, 1, s1
	v_not_b32_e32 v24, v6
	v_cmp_gt_i32_e64 s1, 0, v6
	v_not_b32_e32 v6, v7
	v_lshlrev_b32_e32 v22, 26, v2
	v_cmp_ne_u32_e32 vcc_lo, 0, v20
	v_ashrrev_i32_e32 v20, 31, v24
	v_lshlrev_b32_e32 v23, 25, v2
	v_ashrrev_i32_e32 v6, 31, v6
	v_mul_lo_u32 v4, 0x84, v2
	v_xor_b32_e32 v5, vcc_lo, v5
	v_cmp_gt_i32_e32 vcc_lo, 0, v7
	v_not_b32_e32 v7, v8
	v_xor_b32_e32 v20, s1, v20
	v_cmp_gt_i32_e64 s1, 0, v8
	v_and_b32_e32 v5, exec_lo, v5
	v_not_b32_e32 v8, v21
	v_ashrrev_i32_e32 v7, 31, v7
	v_xor_b32_e32 v6, vcc_lo, v6
	v_cmp_gt_i32_e32 vcc_lo, 0, v21
	v_and_b32_e32 v5, v5, v20
	v_not_b32_e32 v20, v22
	v_ashrrev_i32_e32 v8, 31, v8
	v_xor_b32_e32 v7, s1, v7
	v_lshlrev_b32_e32 v2, 24, v2
	v_and_b32_e32 v5, v5, v6
	v_cmp_gt_i32_e64 s1, 0, v22
	v_not_b32_e32 v6, v23
	v_ashrrev_i32_e32 v20, 31, v20
	v_xor_b32_e32 v8, vcc_lo, v8
	v_and_b32_e32 v5, v5, v7
	v_cmp_gt_i32_e32 vcc_lo, 0, v23
	v_not_b32_e32 v7, v2
	v_ashrrev_i32_e32 v6, 31, v6
	v_xor_b32_e32 v20, s1, v20
	v_and_b32_e32 v5, v5, v8
	v_cmp_gt_i32_e64 s1, 0, v2
	v_ashrrev_i32_e32 v2, 31, v7
	v_xor_b32_e32 v6, vcc_lo, v6
	v_add_nc_u32_e32 v23, v1, v4
	v_and_b32_e32 v5, v5, v20
	v_xor_b32_e32 v2, s1, v2
	ds_read_b32 v20, v23 offset:128
	v_and_b32_e32 v4, v5, v6
	; wave barrier
	v_and_b32_e32 v2, v4, v2
	v_mbcnt_lo_u32_b32 v22, v2, 0
	v_cmp_ne_u32_e64 s1, 0, v2
	v_cmp_eq_u32_e32 vcc_lo, 0, v22
	s_and_b32 s2, s1, vcc_lo
	s_and_saveexec_b32 s1, s2
	s_cbranch_execz .LBB1261_59
; %bb.58:
	s_waitcnt lgkmcnt(0)
	v_bcnt_u32_b32 v2, v2, v20
	ds_write_b32 v23, v2 offset:128
.LBB1261_59:
	s_or_b32 exec_lo, exec_lo, s1
	v_xor_b32_e32 v21, 0x80000000, v3
	; wave barrier
	v_lshrrev_b32_e32 v2, s20, v21
	v_and_b32_e32 v2, s8, v2
	v_and_b32_e32 v4, 1, v2
	v_lshlrev_b32_e32 v5, 30, v2
	v_lshlrev_b32_e32 v6, 29, v2
	;; [unrolled: 1-line block ×4, first 2 shown]
	v_add_co_u32 v4, s1, v4, -1
	v_cndmask_b32_e64 v8, 0, 1, s1
	v_not_b32_e32 v27, v5
	v_cmp_gt_i32_e64 s1, 0, v5
	v_not_b32_e32 v5, v6
	v_lshlrev_b32_e32 v25, 26, v2
	v_cmp_ne_u32_e32 vcc_lo, 0, v8
	v_ashrrev_i32_e32 v8, 31, v27
	v_lshlrev_b32_e32 v26, 25, v2
	v_ashrrev_i32_e32 v5, 31, v5
	v_mul_lo_u32 v3, 0x84, v2
	v_xor_b32_e32 v4, vcc_lo, v4
	v_cmp_gt_i32_e32 vcc_lo, 0, v6
	v_not_b32_e32 v6, v7
	v_xor_b32_e32 v8, s1, v8
	v_cmp_gt_i32_e64 s1, 0, v7
	v_and_b32_e32 v4, exec_lo, v4
	v_not_b32_e32 v7, v24
	v_ashrrev_i32_e32 v6, 31, v6
	v_xor_b32_e32 v5, vcc_lo, v5
	v_cmp_gt_i32_e32 vcc_lo, 0, v24
	v_and_b32_e32 v4, v4, v8
	v_not_b32_e32 v8, v25
	v_ashrrev_i32_e32 v7, 31, v7
	v_xor_b32_e32 v6, s1, v6
	v_lshlrev_b32_e32 v2, 24, v2
	v_and_b32_e32 v4, v4, v5
	v_cmp_gt_i32_e64 s1, 0, v25
	v_not_b32_e32 v5, v26
	v_ashrrev_i32_e32 v8, 31, v8
	v_xor_b32_e32 v7, vcc_lo, v7
	v_and_b32_e32 v4, v4, v6
	v_cmp_gt_i32_e32 vcc_lo, 0, v26
	v_not_b32_e32 v6, v2
	v_ashrrev_i32_e32 v5, 31, v5
	v_xor_b32_e32 v8, s1, v8
	v_and_b32_e32 v4, v4, v7
	v_cmp_gt_i32_e64 s1, 0, v2
	v_ashrrev_i32_e32 v2, 31, v6
	v_xor_b32_e32 v5, vcc_lo, v5
	v_add_nc_u32_e32 v26, v1, v3
	v_and_b32_e32 v4, v4, v8
	v_xor_b32_e32 v1, s1, v2
	ds_read_b32 v24, v26 offset:128
	v_and_b32_e32 v2, v4, v5
	; wave barrier
	v_and_b32_e32 v1, v2, v1
	v_mbcnt_lo_u32_b32 v25, v1, 0
	v_cmp_ne_u32_e64 s1, 0, v1
	v_cmp_eq_u32_e32 vcc_lo, 0, v25
	s_and_b32 s2, s1, vcc_lo
	s_and_saveexec_b32 s1, s2
	s_cbranch_execz .LBB1261_61
; %bb.60:
	s_waitcnt lgkmcnt(0)
	v_bcnt_u32_b32 v1, v1, v24
	ds_write_b32 v26, v1 offset:128
.LBB1261_61:
	s_or_b32 exec_lo, exec_lo, s1
	; wave barrier
	s_waitcnt lgkmcnt(0)
	s_barrier
	buffer_gl0_inv
	ds_read2_b32 v[7:8], v14 offset0:32 offset1:33
	ds_read2_b32 v[5:6], v14 offset0:34 offset1:35
	;; [unrolled: 1-line block ×4, first 2 shown]
	ds_read_b32 v27, v14 offset:160
	v_and_b32_e32 v30, 16, v12
	v_and_b32_e32 v31, 31, v0
	s_mov_b32 s6, exec_lo
	v_cmp_eq_u32_e64 s4, 0, v30
	s_waitcnt lgkmcnt(3)
	v_add3_u32 v28, v8, v7, v5
	s_waitcnt lgkmcnt(2)
	v_add3_u32 v28, v28, v6, v3
	;; [unrolled: 2-line block ×4, first 2 shown]
	v_and_b32_e32 v28, 15, v12
	v_mov_b32_dpp v29, v27 row_shr:1 row_mask:0xf bank_mask:0xf
	v_cmp_eq_u32_e32 vcc_lo, 0, v28
	v_cmp_lt_u32_e64 s1, 1, v28
	v_cmp_lt_u32_e64 s2, 3, v28
	v_cmp_lt_u32_e64 s3, 7, v28
	v_cndmask_b32_e64 v29, v29, 0, vcc_lo
	v_add_nc_u32_e32 v27, v29, v27
	v_mov_b32_dpp v29, v27 row_shr:2 row_mask:0xf bank_mask:0xf
	v_cndmask_b32_e64 v29, 0, v29, s1
	v_add_nc_u32_e32 v27, v27, v29
	v_mov_b32_dpp v29, v27 row_shr:4 row_mask:0xf bank_mask:0xf
	v_cndmask_b32_e64 v29, 0, v29, s2
	;; [unrolled: 3-line block ×3, first 2 shown]
	v_bfe_i32 v29, v12, 4, 1
	v_add_nc_u32_e32 v27, v27, v28
	ds_swizzle_b32 v28, v27 offset:swizzle(BROADCAST,32,15)
	s_waitcnt lgkmcnt(0)
	v_and_b32_e32 v29, v29, v28
	v_lshrrev_b32_e32 v28, 5, v0
	v_add_nc_u32_e32 v27, v27, v29
	v_cmpx_eq_u32_e32 31, v31
; %bb.62:
	v_lshlrev_b32_e32 v29, 2, v28
	ds_write_b32 v29, v27
; %bb.63:
	s_or_b32 exec_lo, exec_lo, s6
	v_cmp_lt_u32_e64 s5, 31, v0
	s_mov_b32 s9, exec_lo
	s_waitcnt lgkmcnt(0)
	s_barrier
	buffer_gl0_inv
	v_cmpx_gt_u32_e32 32, v0
	s_cbranch_execz .LBB1261_65
; %bb.64:
	ds_read_b32 v29, v11
	s_waitcnt lgkmcnt(0)
	v_mov_b32_dpp v30, v29 row_shr:1 row_mask:0xf bank_mask:0xf
	v_cndmask_b32_e64 v30, v30, 0, vcc_lo
	v_add_nc_u32_e32 v29, v30, v29
	v_mov_b32_dpp v30, v29 row_shr:2 row_mask:0xf bank_mask:0xf
	v_cndmask_b32_e64 v30, 0, v30, s1
	v_add_nc_u32_e32 v29, v29, v30
	v_mov_b32_dpp v30, v29 row_shr:4 row_mask:0xf bank_mask:0xf
	v_cndmask_b32_e64 v30, 0, v30, s2
	;; [unrolled: 3-line block ×3, first 2 shown]
	v_add_nc_u32_e32 v29, v29, v30
	ds_swizzle_b32 v30, v29 offset:swizzle(BROADCAST,32,15)
	s_waitcnt lgkmcnt(0)
	v_cndmask_b32_e64 v30, v30, 0, s4
	v_add_nc_u32_e32 v29, v29, v30
	ds_write_b32 v11, v29
.LBB1261_65:
	s_or_b32 exec_lo, exec_lo, s9
	v_mov_b32_e32 v29, 0
	s_waitcnt lgkmcnt(0)
	s_barrier
	buffer_gl0_inv
	s_and_saveexec_b32 s1, s5
; %bb.66:
	v_lshl_add_u32 v28, v28, 2, -4
	ds_read_b32 v29, v28
; %bb.67:
	s_or_b32 exec_lo, exec_lo, s1
	v_sub_co_u32 v28, vcc_lo, v12, 1
	s_waitcnt lgkmcnt(0)
	v_add_nc_u32_e32 v27, v29, v27
	v_cmp_gt_i32_e64 s1, 0, v28
	v_cndmask_b32_e64 v12, v28, v12, s1
	v_lshlrev_b32_e32 v12, 2, v12
	ds_bpermute_b32 v12, v12, v27
	s_waitcnt lgkmcnt(0)
	v_cndmask_b32_e32 v12, v12, v29, vcc_lo
	v_cmp_lt_u32_e32 vcc_lo, 0xff, v0
	v_cndmask_b32_e64 v12, v12, 0, s0
	v_cmp_gt_u32_e64 s0, 0x100, v0
	v_add_nc_u32_e32 v7, v12, v7
	v_add_nc_u32_e32 v8, v7, v8
	;; [unrolled: 1-line block ×8, first 2 shown]
	ds_write2_b32 v14, v12, v7 offset0:32 offset1:33
	ds_write2_b32 v14, v8, v5 offset0:34 offset1:35
	;; [unrolled: 1-line block ×4, first 2 shown]
	ds_write_b32 v14, v2 offset:160
	s_waitcnt lgkmcnt(0)
	s_barrier
	buffer_gl0_inv
	ds_read_b32 v1, v15 offset:128
	ds_read_b32 v4, v19 offset:128
	;; [unrolled: 1-line block ×4, first 2 shown]
                                        ; implicit-def: $vgpr7
                                        ; implicit-def: $vgpr8
	s_and_saveexec_b32 s2, s0
	s_cbranch_execz .LBB1261_71
; %bb.68:
	v_mul_u32_u24_e32 v5, 0x84, v0
	v_add_nc_u32_e32 v6, 1, v0
	s_mov_b32 s3, exec_lo
	ds_read_b32 v7, v5 offset:128
	v_mov_b32_e32 v5, 0x1000
	v_cmpx_ne_u32_e32 0x100, v6
; %bb.69:
	v_mul_u32_u24_e32 v5, 0x84, v6
	ds_read_b32 v5, v5 offset:128
; %bb.70:
	s_or_b32 exec_lo, exec_lo, s3
	s_waitcnt lgkmcnt(0)
	v_sub_nc_u32_e32 v8, v5, v7
.LBB1261_71:
	s_or_b32 exec_lo, exec_lo, s2
	v_lshlrev_b32_e32 v5, 2, v10
	v_lshlrev_b32_e32 v10, 2, v16
	;; [unrolled: 1-line block ×4, first 2 shown]
	s_waitcnt lgkmcnt(0)
	v_lshlrev_b32_e32 v2, 2, v2
	v_lshlrev_b32_e32 v6, 2, v18
	;; [unrolled: 1-line block ×6, first 2 shown]
	v_lshl_add_u32 v1, v1, 2, v5
	v_add3_u32 v5, v15, v16, v2
	v_mov_b32_e32 v2, 0
	v_add3_u32 v4, v6, v10, v4
	v_add3_u32 v3, v12, v14, v3
	s_barrier
	buffer_gl0_inv
	ds_write_b32 v1, v9 offset:1024
	ds_write_b32 v4, v13 offset:1024
	;; [unrolled: 1-line block ×4, first 2 shown]
	s_and_saveexec_b32 s1, s0
	s_cbranch_execz .LBB1261_81
; %bb.72:
	v_lshl_add_u32 v1, s23, 8, v0
	v_mov_b32_e32 v9, 0
	s_mov_b32 s2, 0
	s_mov_b32 s3, s23
	v_lshlrev_b64 v[3:4], 2, v[1:2]
	v_or_b32_e32 v1, 2.0, v8
	v_add_co_u32 v3, s0, s10, v3
	v_add_co_ci_u32_e64 v4, null, s11, v4, s0
                                        ; implicit-def: $sgpr0
	global_store_dword v[3:4], v1, off
	s_branch .LBB1261_75
	.p2align	6
.LBB1261_73:                            ;   in Loop: Header=BB1261_75 Depth=1
	s_or_b32 exec_lo, exec_lo, s5
.LBB1261_74:                            ;   in Loop: Header=BB1261_75 Depth=1
	s_or_b32 exec_lo, exec_lo, s4
	v_and_b32_e32 v5, 0x3fffffff, v1
	v_cmp_gt_i32_e64 s0, -2.0, v1
	v_add_nc_u32_e32 v9, v5, v9
	s_and_b32 s4, exec_lo, s0
	s_or_b32 s2, s4, s2
	s_andn2_b32 exec_lo, exec_lo, s2
	s_cbranch_execz .LBB1261_80
.LBB1261_75:                            ; =>This Loop Header: Depth=1
                                        ;     Child Loop BB1261_78 Depth 2
	s_or_b32 s0, s0, exec_lo
	s_cmp_eq_u32 s3, 0
	s_cbranch_scc1 .LBB1261_79
; %bb.76:                               ;   in Loop: Header=BB1261_75 Depth=1
	s_add_i32 s3, s3, -1
	s_mov_b32 s4, exec_lo
	v_lshl_or_b32 v1, s3, 8, v0
	v_lshlrev_b64 v[5:6], 2, v[1:2]
	v_add_co_u32 v5, s0, s10, v5
	v_add_co_ci_u32_e64 v6, null, s11, v6, s0
	global_load_dword v1, v[5:6], off glc dlc
	s_waitcnt vmcnt(0)
	v_cmpx_gt_u32_e32 2.0, v1
	s_cbranch_execz .LBB1261_74
; %bb.77:                               ;   in Loop: Header=BB1261_75 Depth=1
	s_mov_b32 s5, 0
.LBB1261_78:                            ;   Parent Loop BB1261_75 Depth=1
                                        ; =>  This Inner Loop Header: Depth=2
	global_load_dword v1, v[5:6], off glc dlc
	s_waitcnt vmcnt(0)
	v_cmp_lt_u32_e64 s0, 0x3fffffff, v1
	s_or_b32 s5, s0, s5
	s_andn2_b32 exec_lo, exec_lo, s5
	s_cbranch_execnz .LBB1261_78
	s_branch .LBB1261_73
.LBB1261_79:                            ;   in Loop: Header=BB1261_75 Depth=1
                                        ; implicit-def: $sgpr3
	s_and_b32 s4, exec_lo, s0
	s_or_b32 s2, s4, s2
	s_andn2_b32 exec_lo, exec_lo, s2
	s_cbranch_execnz .LBB1261_75
.LBB1261_80:
	s_or_b32 exec_lo, exec_lo, s2
	v_add_nc_u32_e32 v1, v9, v8
	v_sub_nc_u32_e32 v2, v9, v7
	v_or_b32_e32 v1, 0x80000000, v1
	global_store_dword v[3:4], v1, off
	global_load_dword v1, v11, s[12:13]
	s_waitcnt vmcnt(0)
	v_add_nc_u32_e32 v1, v2, v1
	ds_write_b32 v11, v1
.LBB1261_81:
	s_or_b32 exec_lo, exec_lo, s1
	s_waitcnt lgkmcnt(0)
	s_waitcnt_vscnt null, 0x0
	s_barrier
	buffer_gl0_inv
	ds_read2st64_b32 v[1:2], v11 offset0:4 offset1:20
	ds_read2st64_b32 v[3:4], v11 offset0:36 offset1:52
	s_add_i32 s7, s7, -1
	s_cmp_eq_u32 s23, s7
	s_waitcnt lgkmcnt(1)
	v_lshrrev_b32_e32 v5, s20, v1
	v_lshrrev_b32_e32 v6, s20, v2
	s_waitcnt lgkmcnt(0)
	v_lshrrev_b32_e32 v9, s20, v3
	v_lshrrev_b32_e32 v10, s20, v4
	v_xor_b32_e32 v15, 0x80000000, v1
	v_and_b32_e32 v5, s8, v5
	v_and_b32_e32 v6, s8, v6
	;; [unrolled: 1-line block ×3, first 2 shown]
	v_xor_b32_e32 v16, 0x80000000, v2
	v_xor_b32_e32 v4, 0x80000000, v4
	v_lshlrev_b32_e32 v5, 2, v5
	v_lshlrev_b32_e32 v6, 2, v6
	ds_read_b32 v5, v5
	ds_read_b32 v12, v6
	v_lshlrev_b32_e32 v6, 2, v9
	v_and_b32_e32 v9, s8, v10
	ds_read_b32 v13, v6
	v_lshlrev_b32_e32 v6, 2, v9
	ds_read_b32 v14, v6
	v_mov_b32_e32 v6, 0
	s_waitcnt lgkmcnt(3)
	v_add_nc_u32_e32 v5, v5, v0
	v_lshlrev_b64 v[9:10], 2, v[5:6]
	s_waitcnt lgkmcnt(2)
	v_add3_u32 v5, v12, v0, 0x400
	v_lshlrev_b64 v[1:2], 2, v[5:6]
	s_waitcnt lgkmcnt(1)
	v_add3_u32 v5, v13, v0, 0x800
	v_add_co_u32 v9, s0, s18, v9
	v_add_co_ci_u32_e64 v10, null, s19, v10, s0
	v_lshlrev_b64 v[12:13], 2, v[5:6]
	s_waitcnt lgkmcnt(0)
	v_add3_u32 v5, v14, v0, 0xc00
	v_add_co_u32 v0, s0, s18, v1
	v_add_co_ci_u32_e64 v1, null, s19, v2, s0
	v_xor_b32_e32 v14, 0x80000000, v3
	v_lshlrev_b64 v[2:3], 2, v[5:6]
	global_store_dword v[9:10], v15, off
	global_store_dword v[0:1], v16, off
	v_add_co_u32 v0, s0, s18, v12
	v_add_co_ci_u32_e64 v1, null, s19, v13, s0
	v_add_co_u32 v2, s0, s18, v2
	v_add_co_ci_u32_e64 v3, null, s19, v3, s0
	s_cselect_b32 s0, -1, 0
	s_xor_b32 s1, vcc_lo, -1
	global_store_dword v[0:1], v14, off
	s_and_b32 s0, s1, s0
	global_store_dword v[2:3], v4, off
	s_and_saveexec_b32 s1, s0
	s_cbranch_execz .LBB1261_83
; %bb.82:
	ds_read_b32 v0, v11
	s_waitcnt lgkmcnt(0)
	v_add3_u32 v0, v7, v8, v0
	global_store_dword v11, v0, s[14:15]
.LBB1261_83:
	s_endpgm
	.section	.rodata,"a",@progbits
	.p2align	6, 0x0
	.amdhsa_kernel _ZN7rocprim17ROCPRIM_400000_NS6detail17trampoline_kernelINS0_14default_configENS1_35radix_sort_onesweep_config_selectorIiNS0_10empty_typeEEEZZNS1_29radix_sort_onesweep_iterationIS3_Lb0EN6thrust23THRUST_200600_302600_NS10device_ptrIiEESB_PS5_SC_jNS0_19identity_decomposerENS1_16block_id_wrapperIjLb1EEEEE10hipError_tT1_PNSt15iterator_traitsISH_E10value_typeET2_T3_PNSI_ISN_E10value_typeET4_T5_PSS_ST_PNS1_23onesweep_lookback_stateEbbT6_jjT7_P12ihipStream_tbENKUlT_T0_SH_SM_E_clISB_PiSC_SC_EEDaS10_S11_SH_SM_EUlS10_E_NS1_11comp_targetILNS1_3genE8ELNS1_11target_archE1030ELNS1_3gpuE2ELNS1_3repE0EEENS1_47radix_sort_onesweep_sort_config_static_selectorELNS0_4arch9wavefront6targetE0EEEvSH_
		.amdhsa_group_segment_fixed_size 37000
		.amdhsa_private_segment_fixed_size 0
		.amdhsa_kernarg_size 344
		.amdhsa_user_sgpr_count 6
		.amdhsa_user_sgpr_private_segment_buffer 1
		.amdhsa_user_sgpr_dispatch_ptr 0
		.amdhsa_user_sgpr_queue_ptr 0
		.amdhsa_user_sgpr_kernarg_segment_ptr 1
		.amdhsa_user_sgpr_dispatch_id 0
		.amdhsa_user_sgpr_flat_scratch_init 0
		.amdhsa_user_sgpr_private_segment_size 0
		.amdhsa_wavefront_size32 1
		.amdhsa_uses_dynamic_stack 0
		.amdhsa_system_sgpr_private_segment_wavefront_offset 0
		.amdhsa_system_sgpr_workgroup_id_x 1
		.amdhsa_system_sgpr_workgroup_id_y 0
		.amdhsa_system_sgpr_workgroup_id_z 0
		.amdhsa_system_sgpr_workgroup_info 0
		.amdhsa_system_vgpr_workitem_id 2
		.amdhsa_next_free_vgpr 34
		.amdhsa_next_free_sgpr 27
		.amdhsa_reserve_vcc 1
		.amdhsa_reserve_flat_scratch 0
		.amdhsa_float_round_mode_32 0
		.amdhsa_float_round_mode_16_64 0
		.amdhsa_float_denorm_mode_32 3
		.amdhsa_float_denorm_mode_16_64 3
		.amdhsa_dx10_clamp 1
		.amdhsa_ieee_mode 1
		.amdhsa_fp16_overflow 0
		.amdhsa_workgroup_processor_mode 1
		.amdhsa_memory_ordered 1
		.amdhsa_forward_progress 1
		.amdhsa_shared_vgpr_count 0
		.amdhsa_exception_fp_ieee_invalid_op 0
		.amdhsa_exception_fp_denorm_src 0
		.amdhsa_exception_fp_ieee_div_zero 0
		.amdhsa_exception_fp_ieee_overflow 0
		.amdhsa_exception_fp_ieee_underflow 0
		.amdhsa_exception_fp_ieee_inexact 0
		.amdhsa_exception_int_div_zero 0
	.end_amdhsa_kernel
	.section	.text._ZN7rocprim17ROCPRIM_400000_NS6detail17trampoline_kernelINS0_14default_configENS1_35radix_sort_onesweep_config_selectorIiNS0_10empty_typeEEEZZNS1_29radix_sort_onesweep_iterationIS3_Lb0EN6thrust23THRUST_200600_302600_NS10device_ptrIiEESB_PS5_SC_jNS0_19identity_decomposerENS1_16block_id_wrapperIjLb1EEEEE10hipError_tT1_PNSt15iterator_traitsISH_E10value_typeET2_T3_PNSI_ISN_E10value_typeET4_T5_PSS_ST_PNS1_23onesweep_lookback_stateEbbT6_jjT7_P12ihipStream_tbENKUlT_T0_SH_SM_E_clISB_PiSC_SC_EEDaS10_S11_SH_SM_EUlS10_E_NS1_11comp_targetILNS1_3genE8ELNS1_11target_archE1030ELNS1_3gpuE2ELNS1_3repE0EEENS1_47radix_sort_onesweep_sort_config_static_selectorELNS0_4arch9wavefront6targetE0EEEvSH_,"axG",@progbits,_ZN7rocprim17ROCPRIM_400000_NS6detail17trampoline_kernelINS0_14default_configENS1_35radix_sort_onesweep_config_selectorIiNS0_10empty_typeEEEZZNS1_29radix_sort_onesweep_iterationIS3_Lb0EN6thrust23THRUST_200600_302600_NS10device_ptrIiEESB_PS5_SC_jNS0_19identity_decomposerENS1_16block_id_wrapperIjLb1EEEEE10hipError_tT1_PNSt15iterator_traitsISH_E10value_typeET2_T3_PNSI_ISN_E10value_typeET4_T5_PSS_ST_PNS1_23onesweep_lookback_stateEbbT6_jjT7_P12ihipStream_tbENKUlT_T0_SH_SM_E_clISB_PiSC_SC_EEDaS10_S11_SH_SM_EUlS10_E_NS1_11comp_targetILNS1_3genE8ELNS1_11target_archE1030ELNS1_3gpuE2ELNS1_3repE0EEENS1_47radix_sort_onesweep_sort_config_static_selectorELNS0_4arch9wavefront6targetE0EEEvSH_,comdat
.Lfunc_end1261:
	.size	_ZN7rocprim17ROCPRIM_400000_NS6detail17trampoline_kernelINS0_14default_configENS1_35radix_sort_onesweep_config_selectorIiNS0_10empty_typeEEEZZNS1_29radix_sort_onesweep_iterationIS3_Lb0EN6thrust23THRUST_200600_302600_NS10device_ptrIiEESB_PS5_SC_jNS0_19identity_decomposerENS1_16block_id_wrapperIjLb1EEEEE10hipError_tT1_PNSt15iterator_traitsISH_E10value_typeET2_T3_PNSI_ISN_E10value_typeET4_T5_PSS_ST_PNS1_23onesweep_lookback_stateEbbT6_jjT7_P12ihipStream_tbENKUlT_T0_SH_SM_E_clISB_PiSC_SC_EEDaS10_S11_SH_SM_EUlS10_E_NS1_11comp_targetILNS1_3genE8ELNS1_11target_archE1030ELNS1_3gpuE2ELNS1_3repE0EEENS1_47radix_sort_onesweep_sort_config_static_selectorELNS0_4arch9wavefront6targetE0EEEvSH_, .Lfunc_end1261-_ZN7rocprim17ROCPRIM_400000_NS6detail17trampoline_kernelINS0_14default_configENS1_35radix_sort_onesweep_config_selectorIiNS0_10empty_typeEEEZZNS1_29radix_sort_onesweep_iterationIS3_Lb0EN6thrust23THRUST_200600_302600_NS10device_ptrIiEESB_PS5_SC_jNS0_19identity_decomposerENS1_16block_id_wrapperIjLb1EEEEE10hipError_tT1_PNSt15iterator_traitsISH_E10value_typeET2_T3_PNSI_ISN_E10value_typeET4_T5_PSS_ST_PNS1_23onesweep_lookback_stateEbbT6_jjT7_P12ihipStream_tbENKUlT_T0_SH_SM_E_clISB_PiSC_SC_EEDaS10_S11_SH_SM_EUlS10_E_NS1_11comp_targetILNS1_3genE8ELNS1_11target_archE1030ELNS1_3gpuE2ELNS1_3repE0EEENS1_47radix_sort_onesweep_sort_config_static_selectorELNS0_4arch9wavefront6targetE0EEEvSH_
                                        ; -- End function
	.set _ZN7rocprim17ROCPRIM_400000_NS6detail17trampoline_kernelINS0_14default_configENS1_35radix_sort_onesweep_config_selectorIiNS0_10empty_typeEEEZZNS1_29radix_sort_onesweep_iterationIS3_Lb0EN6thrust23THRUST_200600_302600_NS10device_ptrIiEESB_PS5_SC_jNS0_19identity_decomposerENS1_16block_id_wrapperIjLb1EEEEE10hipError_tT1_PNSt15iterator_traitsISH_E10value_typeET2_T3_PNSI_ISN_E10value_typeET4_T5_PSS_ST_PNS1_23onesweep_lookback_stateEbbT6_jjT7_P12ihipStream_tbENKUlT_T0_SH_SM_E_clISB_PiSC_SC_EEDaS10_S11_SH_SM_EUlS10_E_NS1_11comp_targetILNS1_3genE8ELNS1_11target_archE1030ELNS1_3gpuE2ELNS1_3repE0EEENS1_47radix_sort_onesweep_sort_config_static_selectorELNS0_4arch9wavefront6targetE0EEEvSH_.num_vgpr, 34
	.set _ZN7rocprim17ROCPRIM_400000_NS6detail17trampoline_kernelINS0_14default_configENS1_35radix_sort_onesweep_config_selectorIiNS0_10empty_typeEEEZZNS1_29radix_sort_onesweep_iterationIS3_Lb0EN6thrust23THRUST_200600_302600_NS10device_ptrIiEESB_PS5_SC_jNS0_19identity_decomposerENS1_16block_id_wrapperIjLb1EEEEE10hipError_tT1_PNSt15iterator_traitsISH_E10value_typeET2_T3_PNSI_ISN_E10value_typeET4_T5_PSS_ST_PNS1_23onesweep_lookback_stateEbbT6_jjT7_P12ihipStream_tbENKUlT_T0_SH_SM_E_clISB_PiSC_SC_EEDaS10_S11_SH_SM_EUlS10_E_NS1_11comp_targetILNS1_3genE8ELNS1_11target_archE1030ELNS1_3gpuE2ELNS1_3repE0EEENS1_47radix_sort_onesweep_sort_config_static_selectorELNS0_4arch9wavefront6targetE0EEEvSH_.num_agpr, 0
	.set _ZN7rocprim17ROCPRIM_400000_NS6detail17trampoline_kernelINS0_14default_configENS1_35radix_sort_onesweep_config_selectorIiNS0_10empty_typeEEEZZNS1_29radix_sort_onesweep_iterationIS3_Lb0EN6thrust23THRUST_200600_302600_NS10device_ptrIiEESB_PS5_SC_jNS0_19identity_decomposerENS1_16block_id_wrapperIjLb1EEEEE10hipError_tT1_PNSt15iterator_traitsISH_E10value_typeET2_T3_PNSI_ISN_E10value_typeET4_T5_PSS_ST_PNS1_23onesweep_lookback_stateEbbT6_jjT7_P12ihipStream_tbENKUlT_T0_SH_SM_E_clISB_PiSC_SC_EEDaS10_S11_SH_SM_EUlS10_E_NS1_11comp_targetILNS1_3genE8ELNS1_11target_archE1030ELNS1_3gpuE2ELNS1_3repE0EEENS1_47radix_sort_onesweep_sort_config_static_selectorELNS0_4arch9wavefront6targetE0EEEvSH_.numbered_sgpr, 27
	.set _ZN7rocprim17ROCPRIM_400000_NS6detail17trampoline_kernelINS0_14default_configENS1_35radix_sort_onesweep_config_selectorIiNS0_10empty_typeEEEZZNS1_29radix_sort_onesweep_iterationIS3_Lb0EN6thrust23THRUST_200600_302600_NS10device_ptrIiEESB_PS5_SC_jNS0_19identity_decomposerENS1_16block_id_wrapperIjLb1EEEEE10hipError_tT1_PNSt15iterator_traitsISH_E10value_typeET2_T3_PNSI_ISN_E10value_typeET4_T5_PSS_ST_PNS1_23onesweep_lookback_stateEbbT6_jjT7_P12ihipStream_tbENKUlT_T0_SH_SM_E_clISB_PiSC_SC_EEDaS10_S11_SH_SM_EUlS10_E_NS1_11comp_targetILNS1_3genE8ELNS1_11target_archE1030ELNS1_3gpuE2ELNS1_3repE0EEENS1_47radix_sort_onesweep_sort_config_static_selectorELNS0_4arch9wavefront6targetE0EEEvSH_.num_named_barrier, 0
	.set _ZN7rocprim17ROCPRIM_400000_NS6detail17trampoline_kernelINS0_14default_configENS1_35radix_sort_onesweep_config_selectorIiNS0_10empty_typeEEEZZNS1_29radix_sort_onesweep_iterationIS3_Lb0EN6thrust23THRUST_200600_302600_NS10device_ptrIiEESB_PS5_SC_jNS0_19identity_decomposerENS1_16block_id_wrapperIjLb1EEEEE10hipError_tT1_PNSt15iterator_traitsISH_E10value_typeET2_T3_PNSI_ISN_E10value_typeET4_T5_PSS_ST_PNS1_23onesweep_lookback_stateEbbT6_jjT7_P12ihipStream_tbENKUlT_T0_SH_SM_E_clISB_PiSC_SC_EEDaS10_S11_SH_SM_EUlS10_E_NS1_11comp_targetILNS1_3genE8ELNS1_11target_archE1030ELNS1_3gpuE2ELNS1_3repE0EEENS1_47radix_sort_onesweep_sort_config_static_selectorELNS0_4arch9wavefront6targetE0EEEvSH_.private_seg_size, 0
	.set _ZN7rocprim17ROCPRIM_400000_NS6detail17trampoline_kernelINS0_14default_configENS1_35radix_sort_onesweep_config_selectorIiNS0_10empty_typeEEEZZNS1_29radix_sort_onesweep_iterationIS3_Lb0EN6thrust23THRUST_200600_302600_NS10device_ptrIiEESB_PS5_SC_jNS0_19identity_decomposerENS1_16block_id_wrapperIjLb1EEEEE10hipError_tT1_PNSt15iterator_traitsISH_E10value_typeET2_T3_PNSI_ISN_E10value_typeET4_T5_PSS_ST_PNS1_23onesweep_lookback_stateEbbT6_jjT7_P12ihipStream_tbENKUlT_T0_SH_SM_E_clISB_PiSC_SC_EEDaS10_S11_SH_SM_EUlS10_E_NS1_11comp_targetILNS1_3genE8ELNS1_11target_archE1030ELNS1_3gpuE2ELNS1_3repE0EEENS1_47radix_sort_onesweep_sort_config_static_selectorELNS0_4arch9wavefront6targetE0EEEvSH_.uses_vcc, 1
	.set _ZN7rocprim17ROCPRIM_400000_NS6detail17trampoline_kernelINS0_14default_configENS1_35radix_sort_onesweep_config_selectorIiNS0_10empty_typeEEEZZNS1_29radix_sort_onesweep_iterationIS3_Lb0EN6thrust23THRUST_200600_302600_NS10device_ptrIiEESB_PS5_SC_jNS0_19identity_decomposerENS1_16block_id_wrapperIjLb1EEEEE10hipError_tT1_PNSt15iterator_traitsISH_E10value_typeET2_T3_PNSI_ISN_E10value_typeET4_T5_PSS_ST_PNS1_23onesweep_lookback_stateEbbT6_jjT7_P12ihipStream_tbENKUlT_T0_SH_SM_E_clISB_PiSC_SC_EEDaS10_S11_SH_SM_EUlS10_E_NS1_11comp_targetILNS1_3genE8ELNS1_11target_archE1030ELNS1_3gpuE2ELNS1_3repE0EEENS1_47radix_sort_onesweep_sort_config_static_selectorELNS0_4arch9wavefront6targetE0EEEvSH_.uses_flat_scratch, 0
	.set _ZN7rocprim17ROCPRIM_400000_NS6detail17trampoline_kernelINS0_14default_configENS1_35radix_sort_onesweep_config_selectorIiNS0_10empty_typeEEEZZNS1_29radix_sort_onesweep_iterationIS3_Lb0EN6thrust23THRUST_200600_302600_NS10device_ptrIiEESB_PS5_SC_jNS0_19identity_decomposerENS1_16block_id_wrapperIjLb1EEEEE10hipError_tT1_PNSt15iterator_traitsISH_E10value_typeET2_T3_PNSI_ISN_E10value_typeET4_T5_PSS_ST_PNS1_23onesweep_lookback_stateEbbT6_jjT7_P12ihipStream_tbENKUlT_T0_SH_SM_E_clISB_PiSC_SC_EEDaS10_S11_SH_SM_EUlS10_E_NS1_11comp_targetILNS1_3genE8ELNS1_11target_archE1030ELNS1_3gpuE2ELNS1_3repE0EEENS1_47radix_sort_onesweep_sort_config_static_selectorELNS0_4arch9wavefront6targetE0EEEvSH_.has_dyn_sized_stack, 0
	.set _ZN7rocprim17ROCPRIM_400000_NS6detail17trampoline_kernelINS0_14default_configENS1_35radix_sort_onesweep_config_selectorIiNS0_10empty_typeEEEZZNS1_29radix_sort_onesweep_iterationIS3_Lb0EN6thrust23THRUST_200600_302600_NS10device_ptrIiEESB_PS5_SC_jNS0_19identity_decomposerENS1_16block_id_wrapperIjLb1EEEEE10hipError_tT1_PNSt15iterator_traitsISH_E10value_typeET2_T3_PNSI_ISN_E10value_typeET4_T5_PSS_ST_PNS1_23onesweep_lookback_stateEbbT6_jjT7_P12ihipStream_tbENKUlT_T0_SH_SM_E_clISB_PiSC_SC_EEDaS10_S11_SH_SM_EUlS10_E_NS1_11comp_targetILNS1_3genE8ELNS1_11target_archE1030ELNS1_3gpuE2ELNS1_3repE0EEENS1_47radix_sort_onesweep_sort_config_static_selectorELNS0_4arch9wavefront6targetE0EEEvSH_.has_recursion, 0
	.set _ZN7rocprim17ROCPRIM_400000_NS6detail17trampoline_kernelINS0_14default_configENS1_35radix_sort_onesweep_config_selectorIiNS0_10empty_typeEEEZZNS1_29radix_sort_onesweep_iterationIS3_Lb0EN6thrust23THRUST_200600_302600_NS10device_ptrIiEESB_PS5_SC_jNS0_19identity_decomposerENS1_16block_id_wrapperIjLb1EEEEE10hipError_tT1_PNSt15iterator_traitsISH_E10value_typeET2_T3_PNSI_ISN_E10value_typeET4_T5_PSS_ST_PNS1_23onesweep_lookback_stateEbbT6_jjT7_P12ihipStream_tbENKUlT_T0_SH_SM_E_clISB_PiSC_SC_EEDaS10_S11_SH_SM_EUlS10_E_NS1_11comp_targetILNS1_3genE8ELNS1_11target_archE1030ELNS1_3gpuE2ELNS1_3repE0EEENS1_47radix_sort_onesweep_sort_config_static_selectorELNS0_4arch9wavefront6targetE0EEEvSH_.has_indirect_call, 0
	.section	.AMDGPU.csdata,"",@progbits
; Kernel info:
; codeLenInByte = 6780
; TotalNumSgprs: 29
; NumVgprs: 34
; ScratchSize: 0
; MemoryBound: 0
; FloatMode: 240
; IeeeMode: 1
; LDSByteSize: 37000 bytes/workgroup (compile time only)
; SGPRBlocks: 0
; VGPRBlocks: 4
; NumSGPRsForWavesPerEU: 29
; NumVGPRsForWavesPerEU: 34
; Occupancy: 16
; WaveLimiterHint : 1
; COMPUTE_PGM_RSRC2:SCRATCH_EN: 0
; COMPUTE_PGM_RSRC2:USER_SGPR: 6
; COMPUTE_PGM_RSRC2:TRAP_HANDLER: 0
; COMPUTE_PGM_RSRC2:TGID_X_EN: 1
; COMPUTE_PGM_RSRC2:TGID_Y_EN: 0
; COMPUTE_PGM_RSRC2:TGID_Z_EN: 0
; COMPUTE_PGM_RSRC2:TIDIG_COMP_CNT: 2
	.section	.text._ZN7rocprim17ROCPRIM_400000_NS6detail17trampoline_kernelINS0_14default_configENS1_35radix_sort_onesweep_config_selectorIiNS0_10empty_typeEEEZZNS1_29radix_sort_onesweep_iterationIS3_Lb0EN6thrust23THRUST_200600_302600_NS10device_ptrIiEESB_PS5_SC_jNS0_19identity_decomposerENS1_16block_id_wrapperIjLb1EEEEE10hipError_tT1_PNSt15iterator_traitsISH_E10value_typeET2_T3_PNSI_ISN_E10value_typeET4_T5_PSS_ST_PNS1_23onesweep_lookback_stateEbbT6_jjT7_P12ihipStream_tbENKUlT_T0_SH_SM_E_clIPiSB_SC_SC_EEDaS10_S11_SH_SM_EUlS10_E_NS1_11comp_targetILNS1_3genE0ELNS1_11target_archE4294967295ELNS1_3gpuE0ELNS1_3repE0EEENS1_47radix_sort_onesweep_sort_config_static_selectorELNS0_4arch9wavefront6targetE0EEEvSH_,"axG",@progbits,_ZN7rocprim17ROCPRIM_400000_NS6detail17trampoline_kernelINS0_14default_configENS1_35radix_sort_onesweep_config_selectorIiNS0_10empty_typeEEEZZNS1_29radix_sort_onesweep_iterationIS3_Lb0EN6thrust23THRUST_200600_302600_NS10device_ptrIiEESB_PS5_SC_jNS0_19identity_decomposerENS1_16block_id_wrapperIjLb1EEEEE10hipError_tT1_PNSt15iterator_traitsISH_E10value_typeET2_T3_PNSI_ISN_E10value_typeET4_T5_PSS_ST_PNS1_23onesweep_lookback_stateEbbT6_jjT7_P12ihipStream_tbENKUlT_T0_SH_SM_E_clIPiSB_SC_SC_EEDaS10_S11_SH_SM_EUlS10_E_NS1_11comp_targetILNS1_3genE0ELNS1_11target_archE4294967295ELNS1_3gpuE0ELNS1_3repE0EEENS1_47radix_sort_onesweep_sort_config_static_selectorELNS0_4arch9wavefront6targetE0EEEvSH_,comdat
	.protected	_ZN7rocprim17ROCPRIM_400000_NS6detail17trampoline_kernelINS0_14default_configENS1_35radix_sort_onesweep_config_selectorIiNS0_10empty_typeEEEZZNS1_29radix_sort_onesweep_iterationIS3_Lb0EN6thrust23THRUST_200600_302600_NS10device_ptrIiEESB_PS5_SC_jNS0_19identity_decomposerENS1_16block_id_wrapperIjLb1EEEEE10hipError_tT1_PNSt15iterator_traitsISH_E10value_typeET2_T3_PNSI_ISN_E10value_typeET4_T5_PSS_ST_PNS1_23onesweep_lookback_stateEbbT6_jjT7_P12ihipStream_tbENKUlT_T0_SH_SM_E_clIPiSB_SC_SC_EEDaS10_S11_SH_SM_EUlS10_E_NS1_11comp_targetILNS1_3genE0ELNS1_11target_archE4294967295ELNS1_3gpuE0ELNS1_3repE0EEENS1_47radix_sort_onesweep_sort_config_static_selectorELNS0_4arch9wavefront6targetE0EEEvSH_ ; -- Begin function _ZN7rocprim17ROCPRIM_400000_NS6detail17trampoline_kernelINS0_14default_configENS1_35radix_sort_onesweep_config_selectorIiNS0_10empty_typeEEEZZNS1_29radix_sort_onesweep_iterationIS3_Lb0EN6thrust23THRUST_200600_302600_NS10device_ptrIiEESB_PS5_SC_jNS0_19identity_decomposerENS1_16block_id_wrapperIjLb1EEEEE10hipError_tT1_PNSt15iterator_traitsISH_E10value_typeET2_T3_PNSI_ISN_E10value_typeET4_T5_PSS_ST_PNS1_23onesweep_lookback_stateEbbT6_jjT7_P12ihipStream_tbENKUlT_T0_SH_SM_E_clIPiSB_SC_SC_EEDaS10_S11_SH_SM_EUlS10_E_NS1_11comp_targetILNS1_3genE0ELNS1_11target_archE4294967295ELNS1_3gpuE0ELNS1_3repE0EEENS1_47radix_sort_onesweep_sort_config_static_selectorELNS0_4arch9wavefront6targetE0EEEvSH_
	.globl	_ZN7rocprim17ROCPRIM_400000_NS6detail17trampoline_kernelINS0_14default_configENS1_35radix_sort_onesweep_config_selectorIiNS0_10empty_typeEEEZZNS1_29radix_sort_onesweep_iterationIS3_Lb0EN6thrust23THRUST_200600_302600_NS10device_ptrIiEESB_PS5_SC_jNS0_19identity_decomposerENS1_16block_id_wrapperIjLb1EEEEE10hipError_tT1_PNSt15iterator_traitsISH_E10value_typeET2_T3_PNSI_ISN_E10value_typeET4_T5_PSS_ST_PNS1_23onesweep_lookback_stateEbbT6_jjT7_P12ihipStream_tbENKUlT_T0_SH_SM_E_clIPiSB_SC_SC_EEDaS10_S11_SH_SM_EUlS10_E_NS1_11comp_targetILNS1_3genE0ELNS1_11target_archE4294967295ELNS1_3gpuE0ELNS1_3repE0EEENS1_47radix_sort_onesweep_sort_config_static_selectorELNS0_4arch9wavefront6targetE0EEEvSH_
	.p2align	8
	.type	_ZN7rocprim17ROCPRIM_400000_NS6detail17trampoline_kernelINS0_14default_configENS1_35radix_sort_onesweep_config_selectorIiNS0_10empty_typeEEEZZNS1_29radix_sort_onesweep_iterationIS3_Lb0EN6thrust23THRUST_200600_302600_NS10device_ptrIiEESB_PS5_SC_jNS0_19identity_decomposerENS1_16block_id_wrapperIjLb1EEEEE10hipError_tT1_PNSt15iterator_traitsISH_E10value_typeET2_T3_PNSI_ISN_E10value_typeET4_T5_PSS_ST_PNS1_23onesweep_lookback_stateEbbT6_jjT7_P12ihipStream_tbENKUlT_T0_SH_SM_E_clIPiSB_SC_SC_EEDaS10_S11_SH_SM_EUlS10_E_NS1_11comp_targetILNS1_3genE0ELNS1_11target_archE4294967295ELNS1_3gpuE0ELNS1_3repE0EEENS1_47radix_sort_onesweep_sort_config_static_selectorELNS0_4arch9wavefront6targetE0EEEvSH_,@function
_ZN7rocprim17ROCPRIM_400000_NS6detail17trampoline_kernelINS0_14default_configENS1_35radix_sort_onesweep_config_selectorIiNS0_10empty_typeEEEZZNS1_29radix_sort_onesweep_iterationIS3_Lb0EN6thrust23THRUST_200600_302600_NS10device_ptrIiEESB_PS5_SC_jNS0_19identity_decomposerENS1_16block_id_wrapperIjLb1EEEEE10hipError_tT1_PNSt15iterator_traitsISH_E10value_typeET2_T3_PNSI_ISN_E10value_typeET4_T5_PSS_ST_PNS1_23onesweep_lookback_stateEbbT6_jjT7_P12ihipStream_tbENKUlT_T0_SH_SM_E_clIPiSB_SC_SC_EEDaS10_S11_SH_SM_EUlS10_E_NS1_11comp_targetILNS1_3genE0ELNS1_11target_archE4294967295ELNS1_3gpuE0ELNS1_3repE0EEENS1_47radix_sort_onesweep_sort_config_static_selectorELNS0_4arch9wavefront6targetE0EEEvSH_: ; @_ZN7rocprim17ROCPRIM_400000_NS6detail17trampoline_kernelINS0_14default_configENS1_35radix_sort_onesweep_config_selectorIiNS0_10empty_typeEEEZZNS1_29radix_sort_onesweep_iterationIS3_Lb0EN6thrust23THRUST_200600_302600_NS10device_ptrIiEESB_PS5_SC_jNS0_19identity_decomposerENS1_16block_id_wrapperIjLb1EEEEE10hipError_tT1_PNSt15iterator_traitsISH_E10value_typeET2_T3_PNSI_ISN_E10value_typeET4_T5_PSS_ST_PNS1_23onesweep_lookback_stateEbbT6_jjT7_P12ihipStream_tbENKUlT_T0_SH_SM_E_clIPiSB_SC_SC_EEDaS10_S11_SH_SM_EUlS10_E_NS1_11comp_targetILNS1_3genE0ELNS1_11target_archE4294967295ELNS1_3gpuE0ELNS1_3repE0EEENS1_47radix_sort_onesweep_sort_config_static_selectorELNS0_4arch9wavefront6targetE0EEEvSH_
; %bb.0:
	.section	.rodata,"a",@progbits
	.p2align	6, 0x0
	.amdhsa_kernel _ZN7rocprim17ROCPRIM_400000_NS6detail17trampoline_kernelINS0_14default_configENS1_35radix_sort_onesweep_config_selectorIiNS0_10empty_typeEEEZZNS1_29radix_sort_onesweep_iterationIS3_Lb0EN6thrust23THRUST_200600_302600_NS10device_ptrIiEESB_PS5_SC_jNS0_19identity_decomposerENS1_16block_id_wrapperIjLb1EEEEE10hipError_tT1_PNSt15iterator_traitsISH_E10value_typeET2_T3_PNSI_ISN_E10value_typeET4_T5_PSS_ST_PNS1_23onesweep_lookback_stateEbbT6_jjT7_P12ihipStream_tbENKUlT_T0_SH_SM_E_clIPiSB_SC_SC_EEDaS10_S11_SH_SM_EUlS10_E_NS1_11comp_targetILNS1_3genE0ELNS1_11target_archE4294967295ELNS1_3gpuE0ELNS1_3repE0EEENS1_47radix_sort_onesweep_sort_config_static_selectorELNS0_4arch9wavefront6targetE0EEEvSH_
		.amdhsa_group_segment_fixed_size 0
		.amdhsa_private_segment_fixed_size 0
		.amdhsa_kernarg_size 88
		.amdhsa_user_sgpr_count 6
		.amdhsa_user_sgpr_private_segment_buffer 1
		.amdhsa_user_sgpr_dispatch_ptr 0
		.amdhsa_user_sgpr_queue_ptr 0
		.amdhsa_user_sgpr_kernarg_segment_ptr 1
		.amdhsa_user_sgpr_dispatch_id 0
		.amdhsa_user_sgpr_flat_scratch_init 0
		.amdhsa_user_sgpr_private_segment_size 0
		.amdhsa_wavefront_size32 1
		.amdhsa_uses_dynamic_stack 0
		.amdhsa_system_sgpr_private_segment_wavefront_offset 0
		.amdhsa_system_sgpr_workgroup_id_x 1
		.amdhsa_system_sgpr_workgroup_id_y 0
		.amdhsa_system_sgpr_workgroup_id_z 0
		.amdhsa_system_sgpr_workgroup_info 0
		.amdhsa_system_vgpr_workitem_id 0
		.amdhsa_next_free_vgpr 1
		.amdhsa_next_free_sgpr 1
		.amdhsa_reserve_vcc 0
		.amdhsa_reserve_flat_scratch 0
		.amdhsa_float_round_mode_32 0
		.amdhsa_float_round_mode_16_64 0
		.amdhsa_float_denorm_mode_32 3
		.amdhsa_float_denorm_mode_16_64 3
		.amdhsa_dx10_clamp 1
		.amdhsa_ieee_mode 1
		.amdhsa_fp16_overflow 0
		.amdhsa_workgroup_processor_mode 1
		.amdhsa_memory_ordered 1
		.amdhsa_forward_progress 1
		.amdhsa_shared_vgpr_count 0
		.amdhsa_exception_fp_ieee_invalid_op 0
		.amdhsa_exception_fp_denorm_src 0
		.amdhsa_exception_fp_ieee_div_zero 0
		.amdhsa_exception_fp_ieee_overflow 0
		.amdhsa_exception_fp_ieee_underflow 0
		.amdhsa_exception_fp_ieee_inexact 0
		.amdhsa_exception_int_div_zero 0
	.end_amdhsa_kernel
	.section	.text._ZN7rocprim17ROCPRIM_400000_NS6detail17trampoline_kernelINS0_14default_configENS1_35radix_sort_onesweep_config_selectorIiNS0_10empty_typeEEEZZNS1_29radix_sort_onesweep_iterationIS3_Lb0EN6thrust23THRUST_200600_302600_NS10device_ptrIiEESB_PS5_SC_jNS0_19identity_decomposerENS1_16block_id_wrapperIjLb1EEEEE10hipError_tT1_PNSt15iterator_traitsISH_E10value_typeET2_T3_PNSI_ISN_E10value_typeET4_T5_PSS_ST_PNS1_23onesweep_lookback_stateEbbT6_jjT7_P12ihipStream_tbENKUlT_T0_SH_SM_E_clIPiSB_SC_SC_EEDaS10_S11_SH_SM_EUlS10_E_NS1_11comp_targetILNS1_3genE0ELNS1_11target_archE4294967295ELNS1_3gpuE0ELNS1_3repE0EEENS1_47radix_sort_onesweep_sort_config_static_selectorELNS0_4arch9wavefront6targetE0EEEvSH_,"axG",@progbits,_ZN7rocprim17ROCPRIM_400000_NS6detail17trampoline_kernelINS0_14default_configENS1_35radix_sort_onesweep_config_selectorIiNS0_10empty_typeEEEZZNS1_29radix_sort_onesweep_iterationIS3_Lb0EN6thrust23THRUST_200600_302600_NS10device_ptrIiEESB_PS5_SC_jNS0_19identity_decomposerENS1_16block_id_wrapperIjLb1EEEEE10hipError_tT1_PNSt15iterator_traitsISH_E10value_typeET2_T3_PNSI_ISN_E10value_typeET4_T5_PSS_ST_PNS1_23onesweep_lookback_stateEbbT6_jjT7_P12ihipStream_tbENKUlT_T0_SH_SM_E_clIPiSB_SC_SC_EEDaS10_S11_SH_SM_EUlS10_E_NS1_11comp_targetILNS1_3genE0ELNS1_11target_archE4294967295ELNS1_3gpuE0ELNS1_3repE0EEENS1_47radix_sort_onesweep_sort_config_static_selectorELNS0_4arch9wavefront6targetE0EEEvSH_,comdat
.Lfunc_end1262:
	.size	_ZN7rocprim17ROCPRIM_400000_NS6detail17trampoline_kernelINS0_14default_configENS1_35radix_sort_onesweep_config_selectorIiNS0_10empty_typeEEEZZNS1_29radix_sort_onesweep_iterationIS3_Lb0EN6thrust23THRUST_200600_302600_NS10device_ptrIiEESB_PS5_SC_jNS0_19identity_decomposerENS1_16block_id_wrapperIjLb1EEEEE10hipError_tT1_PNSt15iterator_traitsISH_E10value_typeET2_T3_PNSI_ISN_E10value_typeET4_T5_PSS_ST_PNS1_23onesweep_lookback_stateEbbT6_jjT7_P12ihipStream_tbENKUlT_T0_SH_SM_E_clIPiSB_SC_SC_EEDaS10_S11_SH_SM_EUlS10_E_NS1_11comp_targetILNS1_3genE0ELNS1_11target_archE4294967295ELNS1_3gpuE0ELNS1_3repE0EEENS1_47radix_sort_onesweep_sort_config_static_selectorELNS0_4arch9wavefront6targetE0EEEvSH_, .Lfunc_end1262-_ZN7rocprim17ROCPRIM_400000_NS6detail17trampoline_kernelINS0_14default_configENS1_35radix_sort_onesweep_config_selectorIiNS0_10empty_typeEEEZZNS1_29radix_sort_onesweep_iterationIS3_Lb0EN6thrust23THRUST_200600_302600_NS10device_ptrIiEESB_PS5_SC_jNS0_19identity_decomposerENS1_16block_id_wrapperIjLb1EEEEE10hipError_tT1_PNSt15iterator_traitsISH_E10value_typeET2_T3_PNSI_ISN_E10value_typeET4_T5_PSS_ST_PNS1_23onesweep_lookback_stateEbbT6_jjT7_P12ihipStream_tbENKUlT_T0_SH_SM_E_clIPiSB_SC_SC_EEDaS10_S11_SH_SM_EUlS10_E_NS1_11comp_targetILNS1_3genE0ELNS1_11target_archE4294967295ELNS1_3gpuE0ELNS1_3repE0EEENS1_47radix_sort_onesweep_sort_config_static_selectorELNS0_4arch9wavefront6targetE0EEEvSH_
                                        ; -- End function
	.set _ZN7rocprim17ROCPRIM_400000_NS6detail17trampoline_kernelINS0_14default_configENS1_35radix_sort_onesweep_config_selectorIiNS0_10empty_typeEEEZZNS1_29radix_sort_onesweep_iterationIS3_Lb0EN6thrust23THRUST_200600_302600_NS10device_ptrIiEESB_PS5_SC_jNS0_19identity_decomposerENS1_16block_id_wrapperIjLb1EEEEE10hipError_tT1_PNSt15iterator_traitsISH_E10value_typeET2_T3_PNSI_ISN_E10value_typeET4_T5_PSS_ST_PNS1_23onesweep_lookback_stateEbbT6_jjT7_P12ihipStream_tbENKUlT_T0_SH_SM_E_clIPiSB_SC_SC_EEDaS10_S11_SH_SM_EUlS10_E_NS1_11comp_targetILNS1_3genE0ELNS1_11target_archE4294967295ELNS1_3gpuE0ELNS1_3repE0EEENS1_47radix_sort_onesweep_sort_config_static_selectorELNS0_4arch9wavefront6targetE0EEEvSH_.num_vgpr, 0
	.set _ZN7rocprim17ROCPRIM_400000_NS6detail17trampoline_kernelINS0_14default_configENS1_35radix_sort_onesweep_config_selectorIiNS0_10empty_typeEEEZZNS1_29radix_sort_onesweep_iterationIS3_Lb0EN6thrust23THRUST_200600_302600_NS10device_ptrIiEESB_PS5_SC_jNS0_19identity_decomposerENS1_16block_id_wrapperIjLb1EEEEE10hipError_tT1_PNSt15iterator_traitsISH_E10value_typeET2_T3_PNSI_ISN_E10value_typeET4_T5_PSS_ST_PNS1_23onesweep_lookback_stateEbbT6_jjT7_P12ihipStream_tbENKUlT_T0_SH_SM_E_clIPiSB_SC_SC_EEDaS10_S11_SH_SM_EUlS10_E_NS1_11comp_targetILNS1_3genE0ELNS1_11target_archE4294967295ELNS1_3gpuE0ELNS1_3repE0EEENS1_47radix_sort_onesweep_sort_config_static_selectorELNS0_4arch9wavefront6targetE0EEEvSH_.num_agpr, 0
	.set _ZN7rocprim17ROCPRIM_400000_NS6detail17trampoline_kernelINS0_14default_configENS1_35radix_sort_onesweep_config_selectorIiNS0_10empty_typeEEEZZNS1_29radix_sort_onesweep_iterationIS3_Lb0EN6thrust23THRUST_200600_302600_NS10device_ptrIiEESB_PS5_SC_jNS0_19identity_decomposerENS1_16block_id_wrapperIjLb1EEEEE10hipError_tT1_PNSt15iterator_traitsISH_E10value_typeET2_T3_PNSI_ISN_E10value_typeET4_T5_PSS_ST_PNS1_23onesweep_lookback_stateEbbT6_jjT7_P12ihipStream_tbENKUlT_T0_SH_SM_E_clIPiSB_SC_SC_EEDaS10_S11_SH_SM_EUlS10_E_NS1_11comp_targetILNS1_3genE0ELNS1_11target_archE4294967295ELNS1_3gpuE0ELNS1_3repE0EEENS1_47radix_sort_onesweep_sort_config_static_selectorELNS0_4arch9wavefront6targetE0EEEvSH_.numbered_sgpr, 0
	.set _ZN7rocprim17ROCPRIM_400000_NS6detail17trampoline_kernelINS0_14default_configENS1_35radix_sort_onesweep_config_selectorIiNS0_10empty_typeEEEZZNS1_29radix_sort_onesweep_iterationIS3_Lb0EN6thrust23THRUST_200600_302600_NS10device_ptrIiEESB_PS5_SC_jNS0_19identity_decomposerENS1_16block_id_wrapperIjLb1EEEEE10hipError_tT1_PNSt15iterator_traitsISH_E10value_typeET2_T3_PNSI_ISN_E10value_typeET4_T5_PSS_ST_PNS1_23onesweep_lookback_stateEbbT6_jjT7_P12ihipStream_tbENKUlT_T0_SH_SM_E_clIPiSB_SC_SC_EEDaS10_S11_SH_SM_EUlS10_E_NS1_11comp_targetILNS1_3genE0ELNS1_11target_archE4294967295ELNS1_3gpuE0ELNS1_3repE0EEENS1_47radix_sort_onesweep_sort_config_static_selectorELNS0_4arch9wavefront6targetE0EEEvSH_.num_named_barrier, 0
	.set _ZN7rocprim17ROCPRIM_400000_NS6detail17trampoline_kernelINS0_14default_configENS1_35radix_sort_onesweep_config_selectorIiNS0_10empty_typeEEEZZNS1_29radix_sort_onesweep_iterationIS3_Lb0EN6thrust23THRUST_200600_302600_NS10device_ptrIiEESB_PS5_SC_jNS0_19identity_decomposerENS1_16block_id_wrapperIjLb1EEEEE10hipError_tT1_PNSt15iterator_traitsISH_E10value_typeET2_T3_PNSI_ISN_E10value_typeET4_T5_PSS_ST_PNS1_23onesweep_lookback_stateEbbT6_jjT7_P12ihipStream_tbENKUlT_T0_SH_SM_E_clIPiSB_SC_SC_EEDaS10_S11_SH_SM_EUlS10_E_NS1_11comp_targetILNS1_3genE0ELNS1_11target_archE4294967295ELNS1_3gpuE0ELNS1_3repE0EEENS1_47radix_sort_onesweep_sort_config_static_selectorELNS0_4arch9wavefront6targetE0EEEvSH_.private_seg_size, 0
	.set _ZN7rocprim17ROCPRIM_400000_NS6detail17trampoline_kernelINS0_14default_configENS1_35radix_sort_onesweep_config_selectorIiNS0_10empty_typeEEEZZNS1_29radix_sort_onesweep_iterationIS3_Lb0EN6thrust23THRUST_200600_302600_NS10device_ptrIiEESB_PS5_SC_jNS0_19identity_decomposerENS1_16block_id_wrapperIjLb1EEEEE10hipError_tT1_PNSt15iterator_traitsISH_E10value_typeET2_T3_PNSI_ISN_E10value_typeET4_T5_PSS_ST_PNS1_23onesweep_lookback_stateEbbT6_jjT7_P12ihipStream_tbENKUlT_T0_SH_SM_E_clIPiSB_SC_SC_EEDaS10_S11_SH_SM_EUlS10_E_NS1_11comp_targetILNS1_3genE0ELNS1_11target_archE4294967295ELNS1_3gpuE0ELNS1_3repE0EEENS1_47radix_sort_onesweep_sort_config_static_selectorELNS0_4arch9wavefront6targetE0EEEvSH_.uses_vcc, 0
	.set _ZN7rocprim17ROCPRIM_400000_NS6detail17trampoline_kernelINS0_14default_configENS1_35radix_sort_onesweep_config_selectorIiNS0_10empty_typeEEEZZNS1_29radix_sort_onesweep_iterationIS3_Lb0EN6thrust23THRUST_200600_302600_NS10device_ptrIiEESB_PS5_SC_jNS0_19identity_decomposerENS1_16block_id_wrapperIjLb1EEEEE10hipError_tT1_PNSt15iterator_traitsISH_E10value_typeET2_T3_PNSI_ISN_E10value_typeET4_T5_PSS_ST_PNS1_23onesweep_lookback_stateEbbT6_jjT7_P12ihipStream_tbENKUlT_T0_SH_SM_E_clIPiSB_SC_SC_EEDaS10_S11_SH_SM_EUlS10_E_NS1_11comp_targetILNS1_3genE0ELNS1_11target_archE4294967295ELNS1_3gpuE0ELNS1_3repE0EEENS1_47radix_sort_onesweep_sort_config_static_selectorELNS0_4arch9wavefront6targetE0EEEvSH_.uses_flat_scratch, 0
	.set _ZN7rocprim17ROCPRIM_400000_NS6detail17trampoline_kernelINS0_14default_configENS1_35radix_sort_onesweep_config_selectorIiNS0_10empty_typeEEEZZNS1_29radix_sort_onesweep_iterationIS3_Lb0EN6thrust23THRUST_200600_302600_NS10device_ptrIiEESB_PS5_SC_jNS0_19identity_decomposerENS1_16block_id_wrapperIjLb1EEEEE10hipError_tT1_PNSt15iterator_traitsISH_E10value_typeET2_T3_PNSI_ISN_E10value_typeET4_T5_PSS_ST_PNS1_23onesweep_lookback_stateEbbT6_jjT7_P12ihipStream_tbENKUlT_T0_SH_SM_E_clIPiSB_SC_SC_EEDaS10_S11_SH_SM_EUlS10_E_NS1_11comp_targetILNS1_3genE0ELNS1_11target_archE4294967295ELNS1_3gpuE0ELNS1_3repE0EEENS1_47radix_sort_onesweep_sort_config_static_selectorELNS0_4arch9wavefront6targetE0EEEvSH_.has_dyn_sized_stack, 0
	.set _ZN7rocprim17ROCPRIM_400000_NS6detail17trampoline_kernelINS0_14default_configENS1_35radix_sort_onesweep_config_selectorIiNS0_10empty_typeEEEZZNS1_29radix_sort_onesweep_iterationIS3_Lb0EN6thrust23THRUST_200600_302600_NS10device_ptrIiEESB_PS5_SC_jNS0_19identity_decomposerENS1_16block_id_wrapperIjLb1EEEEE10hipError_tT1_PNSt15iterator_traitsISH_E10value_typeET2_T3_PNSI_ISN_E10value_typeET4_T5_PSS_ST_PNS1_23onesweep_lookback_stateEbbT6_jjT7_P12ihipStream_tbENKUlT_T0_SH_SM_E_clIPiSB_SC_SC_EEDaS10_S11_SH_SM_EUlS10_E_NS1_11comp_targetILNS1_3genE0ELNS1_11target_archE4294967295ELNS1_3gpuE0ELNS1_3repE0EEENS1_47radix_sort_onesweep_sort_config_static_selectorELNS0_4arch9wavefront6targetE0EEEvSH_.has_recursion, 0
	.set _ZN7rocprim17ROCPRIM_400000_NS6detail17trampoline_kernelINS0_14default_configENS1_35radix_sort_onesweep_config_selectorIiNS0_10empty_typeEEEZZNS1_29radix_sort_onesweep_iterationIS3_Lb0EN6thrust23THRUST_200600_302600_NS10device_ptrIiEESB_PS5_SC_jNS0_19identity_decomposerENS1_16block_id_wrapperIjLb1EEEEE10hipError_tT1_PNSt15iterator_traitsISH_E10value_typeET2_T3_PNSI_ISN_E10value_typeET4_T5_PSS_ST_PNS1_23onesweep_lookback_stateEbbT6_jjT7_P12ihipStream_tbENKUlT_T0_SH_SM_E_clIPiSB_SC_SC_EEDaS10_S11_SH_SM_EUlS10_E_NS1_11comp_targetILNS1_3genE0ELNS1_11target_archE4294967295ELNS1_3gpuE0ELNS1_3repE0EEENS1_47radix_sort_onesweep_sort_config_static_selectorELNS0_4arch9wavefront6targetE0EEEvSH_.has_indirect_call, 0
	.section	.AMDGPU.csdata,"",@progbits
; Kernel info:
; codeLenInByte = 0
; TotalNumSgprs: 0
; NumVgprs: 0
; ScratchSize: 0
; MemoryBound: 0
; FloatMode: 240
; IeeeMode: 1
; LDSByteSize: 0 bytes/workgroup (compile time only)
; SGPRBlocks: 0
; VGPRBlocks: 0
; NumSGPRsForWavesPerEU: 1
; NumVGPRsForWavesPerEU: 1
; Occupancy: 16
; WaveLimiterHint : 0
; COMPUTE_PGM_RSRC2:SCRATCH_EN: 0
; COMPUTE_PGM_RSRC2:USER_SGPR: 6
; COMPUTE_PGM_RSRC2:TRAP_HANDLER: 0
; COMPUTE_PGM_RSRC2:TGID_X_EN: 1
; COMPUTE_PGM_RSRC2:TGID_Y_EN: 0
; COMPUTE_PGM_RSRC2:TGID_Z_EN: 0
; COMPUTE_PGM_RSRC2:TIDIG_COMP_CNT: 0
	.section	.text._ZN7rocprim17ROCPRIM_400000_NS6detail17trampoline_kernelINS0_14default_configENS1_35radix_sort_onesweep_config_selectorIiNS0_10empty_typeEEEZZNS1_29radix_sort_onesweep_iterationIS3_Lb0EN6thrust23THRUST_200600_302600_NS10device_ptrIiEESB_PS5_SC_jNS0_19identity_decomposerENS1_16block_id_wrapperIjLb1EEEEE10hipError_tT1_PNSt15iterator_traitsISH_E10value_typeET2_T3_PNSI_ISN_E10value_typeET4_T5_PSS_ST_PNS1_23onesweep_lookback_stateEbbT6_jjT7_P12ihipStream_tbENKUlT_T0_SH_SM_E_clIPiSB_SC_SC_EEDaS10_S11_SH_SM_EUlS10_E_NS1_11comp_targetILNS1_3genE6ELNS1_11target_archE950ELNS1_3gpuE13ELNS1_3repE0EEENS1_47radix_sort_onesweep_sort_config_static_selectorELNS0_4arch9wavefront6targetE0EEEvSH_,"axG",@progbits,_ZN7rocprim17ROCPRIM_400000_NS6detail17trampoline_kernelINS0_14default_configENS1_35radix_sort_onesweep_config_selectorIiNS0_10empty_typeEEEZZNS1_29radix_sort_onesweep_iterationIS3_Lb0EN6thrust23THRUST_200600_302600_NS10device_ptrIiEESB_PS5_SC_jNS0_19identity_decomposerENS1_16block_id_wrapperIjLb1EEEEE10hipError_tT1_PNSt15iterator_traitsISH_E10value_typeET2_T3_PNSI_ISN_E10value_typeET4_T5_PSS_ST_PNS1_23onesweep_lookback_stateEbbT6_jjT7_P12ihipStream_tbENKUlT_T0_SH_SM_E_clIPiSB_SC_SC_EEDaS10_S11_SH_SM_EUlS10_E_NS1_11comp_targetILNS1_3genE6ELNS1_11target_archE950ELNS1_3gpuE13ELNS1_3repE0EEENS1_47radix_sort_onesweep_sort_config_static_selectorELNS0_4arch9wavefront6targetE0EEEvSH_,comdat
	.protected	_ZN7rocprim17ROCPRIM_400000_NS6detail17trampoline_kernelINS0_14default_configENS1_35radix_sort_onesweep_config_selectorIiNS0_10empty_typeEEEZZNS1_29radix_sort_onesweep_iterationIS3_Lb0EN6thrust23THRUST_200600_302600_NS10device_ptrIiEESB_PS5_SC_jNS0_19identity_decomposerENS1_16block_id_wrapperIjLb1EEEEE10hipError_tT1_PNSt15iterator_traitsISH_E10value_typeET2_T3_PNSI_ISN_E10value_typeET4_T5_PSS_ST_PNS1_23onesweep_lookback_stateEbbT6_jjT7_P12ihipStream_tbENKUlT_T0_SH_SM_E_clIPiSB_SC_SC_EEDaS10_S11_SH_SM_EUlS10_E_NS1_11comp_targetILNS1_3genE6ELNS1_11target_archE950ELNS1_3gpuE13ELNS1_3repE0EEENS1_47radix_sort_onesweep_sort_config_static_selectorELNS0_4arch9wavefront6targetE0EEEvSH_ ; -- Begin function _ZN7rocprim17ROCPRIM_400000_NS6detail17trampoline_kernelINS0_14default_configENS1_35radix_sort_onesweep_config_selectorIiNS0_10empty_typeEEEZZNS1_29radix_sort_onesweep_iterationIS3_Lb0EN6thrust23THRUST_200600_302600_NS10device_ptrIiEESB_PS5_SC_jNS0_19identity_decomposerENS1_16block_id_wrapperIjLb1EEEEE10hipError_tT1_PNSt15iterator_traitsISH_E10value_typeET2_T3_PNSI_ISN_E10value_typeET4_T5_PSS_ST_PNS1_23onesweep_lookback_stateEbbT6_jjT7_P12ihipStream_tbENKUlT_T0_SH_SM_E_clIPiSB_SC_SC_EEDaS10_S11_SH_SM_EUlS10_E_NS1_11comp_targetILNS1_3genE6ELNS1_11target_archE950ELNS1_3gpuE13ELNS1_3repE0EEENS1_47radix_sort_onesweep_sort_config_static_selectorELNS0_4arch9wavefront6targetE0EEEvSH_
	.globl	_ZN7rocprim17ROCPRIM_400000_NS6detail17trampoline_kernelINS0_14default_configENS1_35radix_sort_onesweep_config_selectorIiNS0_10empty_typeEEEZZNS1_29radix_sort_onesweep_iterationIS3_Lb0EN6thrust23THRUST_200600_302600_NS10device_ptrIiEESB_PS5_SC_jNS0_19identity_decomposerENS1_16block_id_wrapperIjLb1EEEEE10hipError_tT1_PNSt15iterator_traitsISH_E10value_typeET2_T3_PNSI_ISN_E10value_typeET4_T5_PSS_ST_PNS1_23onesweep_lookback_stateEbbT6_jjT7_P12ihipStream_tbENKUlT_T0_SH_SM_E_clIPiSB_SC_SC_EEDaS10_S11_SH_SM_EUlS10_E_NS1_11comp_targetILNS1_3genE6ELNS1_11target_archE950ELNS1_3gpuE13ELNS1_3repE0EEENS1_47radix_sort_onesweep_sort_config_static_selectorELNS0_4arch9wavefront6targetE0EEEvSH_
	.p2align	8
	.type	_ZN7rocprim17ROCPRIM_400000_NS6detail17trampoline_kernelINS0_14default_configENS1_35radix_sort_onesweep_config_selectorIiNS0_10empty_typeEEEZZNS1_29radix_sort_onesweep_iterationIS3_Lb0EN6thrust23THRUST_200600_302600_NS10device_ptrIiEESB_PS5_SC_jNS0_19identity_decomposerENS1_16block_id_wrapperIjLb1EEEEE10hipError_tT1_PNSt15iterator_traitsISH_E10value_typeET2_T3_PNSI_ISN_E10value_typeET4_T5_PSS_ST_PNS1_23onesweep_lookback_stateEbbT6_jjT7_P12ihipStream_tbENKUlT_T0_SH_SM_E_clIPiSB_SC_SC_EEDaS10_S11_SH_SM_EUlS10_E_NS1_11comp_targetILNS1_3genE6ELNS1_11target_archE950ELNS1_3gpuE13ELNS1_3repE0EEENS1_47radix_sort_onesweep_sort_config_static_selectorELNS0_4arch9wavefront6targetE0EEEvSH_,@function
_ZN7rocprim17ROCPRIM_400000_NS6detail17trampoline_kernelINS0_14default_configENS1_35radix_sort_onesweep_config_selectorIiNS0_10empty_typeEEEZZNS1_29radix_sort_onesweep_iterationIS3_Lb0EN6thrust23THRUST_200600_302600_NS10device_ptrIiEESB_PS5_SC_jNS0_19identity_decomposerENS1_16block_id_wrapperIjLb1EEEEE10hipError_tT1_PNSt15iterator_traitsISH_E10value_typeET2_T3_PNSI_ISN_E10value_typeET4_T5_PSS_ST_PNS1_23onesweep_lookback_stateEbbT6_jjT7_P12ihipStream_tbENKUlT_T0_SH_SM_E_clIPiSB_SC_SC_EEDaS10_S11_SH_SM_EUlS10_E_NS1_11comp_targetILNS1_3genE6ELNS1_11target_archE950ELNS1_3gpuE13ELNS1_3repE0EEENS1_47radix_sort_onesweep_sort_config_static_selectorELNS0_4arch9wavefront6targetE0EEEvSH_: ; @_ZN7rocprim17ROCPRIM_400000_NS6detail17trampoline_kernelINS0_14default_configENS1_35radix_sort_onesweep_config_selectorIiNS0_10empty_typeEEEZZNS1_29radix_sort_onesweep_iterationIS3_Lb0EN6thrust23THRUST_200600_302600_NS10device_ptrIiEESB_PS5_SC_jNS0_19identity_decomposerENS1_16block_id_wrapperIjLb1EEEEE10hipError_tT1_PNSt15iterator_traitsISH_E10value_typeET2_T3_PNSI_ISN_E10value_typeET4_T5_PSS_ST_PNS1_23onesweep_lookback_stateEbbT6_jjT7_P12ihipStream_tbENKUlT_T0_SH_SM_E_clIPiSB_SC_SC_EEDaS10_S11_SH_SM_EUlS10_E_NS1_11comp_targetILNS1_3genE6ELNS1_11target_archE950ELNS1_3gpuE13ELNS1_3repE0EEENS1_47radix_sort_onesweep_sort_config_static_selectorELNS0_4arch9wavefront6targetE0EEEvSH_
; %bb.0:
	.section	.rodata,"a",@progbits
	.p2align	6, 0x0
	.amdhsa_kernel _ZN7rocprim17ROCPRIM_400000_NS6detail17trampoline_kernelINS0_14default_configENS1_35radix_sort_onesweep_config_selectorIiNS0_10empty_typeEEEZZNS1_29radix_sort_onesweep_iterationIS3_Lb0EN6thrust23THRUST_200600_302600_NS10device_ptrIiEESB_PS5_SC_jNS0_19identity_decomposerENS1_16block_id_wrapperIjLb1EEEEE10hipError_tT1_PNSt15iterator_traitsISH_E10value_typeET2_T3_PNSI_ISN_E10value_typeET4_T5_PSS_ST_PNS1_23onesweep_lookback_stateEbbT6_jjT7_P12ihipStream_tbENKUlT_T0_SH_SM_E_clIPiSB_SC_SC_EEDaS10_S11_SH_SM_EUlS10_E_NS1_11comp_targetILNS1_3genE6ELNS1_11target_archE950ELNS1_3gpuE13ELNS1_3repE0EEENS1_47radix_sort_onesweep_sort_config_static_selectorELNS0_4arch9wavefront6targetE0EEEvSH_
		.amdhsa_group_segment_fixed_size 0
		.amdhsa_private_segment_fixed_size 0
		.amdhsa_kernarg_size 88
		.amdhsa_user_sgpr_count 6
		.amdhsa_user_sgpr_private_segment_buffer 1
		.amdhsa_user_sgpr_dispatch_ptr 0
		.amdhsa_user_sgpr_queue_ptr 0
		.amdhsa_user_sgpr_kernarg_segment_ptr 1
		.amdhsa_user_sgpr_dispatch_id 0
		.amdhsa_user_sgpr_flat_scratch_init 0
		.amdhsa_user_sgpr_private_segment_size 0
		.amdhsa_wavefront_size32 1
		.amdhsa_uses_dynamic_stack 0
		.amdhsa_system_sgpr_private_segment_wavefront_offset 0
		.amdhsa_system_sgpr_workgroup_id_x 1
		.amdhsa_system_sgpr_workgroup_id_y 0
		.amdhsa_system_sgpr_workgroup_id_z 0
		.amdhsa_system_sgpr_workgroup_info 0
		.amdhsa_system_vgpr_workitem_id 0
		.amdhsa_next_free_vgpr 1
		.amdhsa_next_free_sgpr 1
		.amdhsa_reserve_vcc 0
		.amdhsa_reserve_flat_scratch 0
		.amdhsa_float_round_mode_32 0
		.amdhsa_float_round_mode_16_64 0
		.amdhsa_float_denorm_mode_32 3
		.amdhsa_float_denorm_mode_16_64 3
		.amdhsa_dx10_clamp 1
		.amdhsa_ieee_mode 1
		.amdhsa_fp16_overflow 0
		.amdhsa_workgroup_processor_mode 1
		.amdhsa_memory_ordered 1
		.amdhsa_forward_progress 1
		.amdhsa_shared_vgpr_count 0
		.amdhsa_exception_fp_ieee_invalid_op 0
		.amdhsa_exception_fp_denorm_src 0
		.amdhsa_exception_fp_ieee_div_zero 0
		.amdhsa_exception_fp_ieee_overflow 0
		.amdhsa_exception_fp_ieee_underflow 0
		.amdhsa_exception_fp_ieee_inexact 0
		.amdhsa_exception_int_div_zero 0
	.end_amdhsa_kernel
	.section	.text._ZN7rocprim17ROCPRIM_400000_NS6detail17trampoline_kernelINS0_14default_configENS1_35radix_sort_onesweep_config_selectorIiNS0_10empty_typeEEEZZNS1_29radix_sort_onesweep_iterationIS3_Lb0EN6thrust23THRUST_200600_302600_NS10device_ptrIiEESB_PS5_SC_jNS0_19identity_decomposerENS1_16block_id_wrapperIjLb1EEEEE10hipError_tT1_PNSt15iterator_traitsISH_E10value_typeET2_T3_PNSI_ISN_E10value_typeET4_T5_PSS_ST_PNS1_23onesweep_lookback_stateEbbT6_jjT7_P12ihipStream_tbENKUlT_T0_SH_SM_E_clIPiSB_SC_SC_EEDaS10_S11_SH_SM_EUlS10_E_NS1_11comp_targetILNS1_3genE6ELNS1_11target_archE950ELNS1_3gpuE13ELNS1_3repE0EEENS1_47radix_sort_onesweep_sort_config_static_selectorELNS0_4arch9wavefront6targetE0EEEvSH_,"axG",@progbits,_ZN7rocprim17ROCPRIM_400000_NS6detail17trampoline_kernelINS0_14default_configENS1_35radix_sort_onesweep_config_selectorIiNS0_10empty_typeEEEZZNS1_29radix_sort_onesweep_iterationIS3_Lb0EN6thrust23THRUST_200600_302600_NS10device_ptrIiEESB_PS5_SC_jNS0_19identity_decomposerENS1_16block_id_wrapperIjLb1EEEEE10hipError_tT1_PNSt15iterator_traitsISH_E10value_typeET2_T3_PNSI_ISN_E10value_typeET4_T5_PSS_ST_PNS1_23onesweep_lookback_stateEbbT6_jjT7_P12ihipStream_tbENKUlT_T0_SH_SM_E_clIPiSB_SC_SC_EEDaS10_S11_SH_SM_EUlS10_E_NS1_11comp_targetILNS1_3genE6ELNS1_11target_archE950ELNS1_3gpuE13ELNS1_3repE0EEENS1_47radix_sort_onesweep_sort_config_static_selectorELNS0_4arch9wavefront6targetE0EEEvSH_,comdat
.Lfunc_end1263:
	.size	_ZN7rocprim17ROCPRIM_400000_NS6detail17trampoline_kernelINS0_14default_configENS1_35radix_sort_onesweep_config_selectorIiNS0_10empty_typeEEEZZNS1_29radix_sort_onesweep_iterationIS3_Lb0EN6thrust23THRUST_200600_302600_NS10device_ptrIiEESB_PS5_SC_jNS0_19identity_decomposerENS1_16block_id_wrapperIjLb1EEEEE10hipError_tT1_PNSt15iterator_traitsISH_E10value_typeET2_T3_PNSI_ISN_E10value_typeET4_T5_PSS_ST_PNS1_23onesweep_lookback_stateEbbT6_jjT7_P12ihipStream_tbENKUlT_T0_SH_SM_E_clIPiSB_SC_SC_EEDaS10_S11_SH_SM_EUlS10_E_NS1_11comp_targetILNS1_3genE6ELNS1_11target_archE950ELNS1_3gpuE13ELNS1_3repE0EEENS1_47radix_sort_onesweep_sort_config_static_selectorELNS0_4arch9wavefront6targetE0EEEvSH_, .Lfunc_end1263-_ZN7rocprim17ROCPRIM_400000_NS6detail17trampoline_kernelINS0_14default_configENS1_35radix_sort_onesweep_config_selectorIiNS0_10empty_typeEEEZZNS1_29radix_sort_onesweep_iterationIS3_Lb0EN6thrust23THRUST_200600_302600_NS10device_ptrIiEESB_PS5_SC_jNS0_19identity_decomposerENS1_16block_id_wrapperIjLb1EEEEE10hipError_tT1_PNSt15iterator_traitsISH_E10value_typeET2_T3_PNSI_ISN_E10value_typeET4_T5_PSS_ST_PNS1_23onesweep_lookback_stateEbbT6_jjT7_P12ihipStream_tbENKUlT_T0_SH_SM_E_clIPiSB_SC_SC_EEDaS10_S11_SH_SM_EUlS10_E_NS1_11comp_targetILNS1_3genE6ELNS1_11target_archE950ELNS1_3gpuE13ELNS1_3repE0EEENS1_47radix_sort_onesweep_sort_config_static_selectorELNS0_4arch9wavefront6targetE0EEEvSH_
                                        ; -- End function
	.set _ZN7rocprim17ROCPRIM_400000_NS6detail17trampoline_kernelINS0_14default_configENS1_35radix_sort_onesweep_config_selectorIiNS0_10empty_typeEEEZZNS1_29radix_sort_onesweep_iterationIS3_Lb0EN6thrust23THRUST_200600_302600_NS10device_ptrIiEESB_PS5_SC_jNS0_19identity_decomposerENS1_16block_id_wrapperIjLb1EEEEE10hipError_tT1_PNSt15iterator_traitsISH_E10value_typeET2_T3_PNSI_ISN_E10value_typeET4_T5_PSS_ST_PNS1_23onesweep_lookback_stateEbbT6_jjT7_P12ihipStream_tbENKUlT_T0_SH_SM_E_clIPiSB_SC_SC_EEDaS10_S11_SH_SM_EUlS10_E_NS1_11comp_targetILNS1_3genE6ELNS1_11target_archE950ELNS1_3gpuE13ELNS1_3repE0EEENS1_47radix_sort_onesweep_sort_config_static_selectorELNS0_4arch9wavefront6targetE0EEEvSH_.num_vgpr, 0
	.set _ZN7rocprim17ROCPRIM_400000_NS6detail17trampoline_kernelINS0_14default_configENS1_35radix_sort_onesweep_config_selectorIiNS0_10empty_typeEEEZZNS1_29radix_sort_onesweep_iterationIS3_Lb0EN6thrust23THRUST_200600_302600_NS10device_ptrIiEESB_PS5_SC_jNS0_19identity_decomposerENS1_16block_id_wrapperIjLb1EEEEE10hipError_tT1_PNSt15iterator_traitsISH_E10value_typeET2_T3_PNSI_ISN_E10value_typeET4_T5_PSS_ST_PNS1_23onesweep_lookback_stateEbbT6_jjT7_P12ihipStream_tbENKUlT_T0_SH_SM_E_clIPiSB_SC_SC_EEDaS10_S11_SH_SM_EUlS10_E_NS1_11comp_targetILNS1_3genE6ELNS1_11target_archE950ELNS1_3gpuE13ELNS1_3repE0EEENS1_47radix_sort_onesweep_sort_config_static_selectorELNS0_4arch9wavefront6targetE0EEEvSH_.num_agpr, 0
	.set _ZN7rocprim17ROCPRIM_400000_NS6detail17trampoline_kernelINS0_14default_configENS1_35radix_sort_onesweep_config_selectorIiNS0_10empty_typeEEEZZNS1_29radix_sort_onesweep_iterationIS3_Lb0EN6thrust23THRUST_200600_302600_NS10device_ptrIiEESB_PS5_SC_jNS0_19identity_decomposerENS1_16block_id_wrapperIjLb1EEEEE10hipError_tT1_PNSt15iterator_traitsISH_E10value_typeET2_T3_PNSI_ISN_E10value_typeET4_T5_PSS_ST_PNS1_23onesweep_lookback_stateEbbT6_jjT7_P12ihipStream_tbENKUlT_T0_SH_SM_E_clIPiSB_SC_SC_EEDaS10_S11_SH_SM_EUlS10_E_NS1_11comp_targetILNS1_3genE6ELNS1_11target_archE950ELNS1_3gpuE13ELNS1_3repE0EEENS1_47radix_sort_onesweep_sort_config_static_selectorELNS0_4arch9wavefront6targetE0EEEvSH_.numbered_sgpr, 0
	.set _ZN7rocprim17ROCPRIM_400000_NS6detail17trampoline_kernelINS0_14default_configENS1_35radix_sort_onesweep_config_selectorIiNS0_10empty_typeEEEZZNS1_29radix_sort_onesweep_iterationIS3_Lb0EN6thrust23THRUST_200600_302600_NS10device_ptrIiEESB_PS5_SC_jNS0_19identity_decomposerENS1_16block_id_wrapperIjLb1EEEEE10hipError_tT1_PNSt15iterator_traitsISH_E10value_typeET2_T3_PNSI_ISN_E10value_typeET4_T5_PSS_ST_PNS1_23onesweep_lookback_stateEbbT6_jjT7_P12ihipStream_tbENKUlT_T0_SH_SM_E_clIPiSB_SC_SC_EEDaS10_S11_SH_SM_EUlS10_E_NS1_11comp_targetILNS1_3genE6ELNS1_11target_archE950ELNS1_3gpuE13ELNS1_3repE0EEENS1_47radix_sort_onesweep_sort_config_static_selectorELNS0_4arch9wavefront6targetE0EEEvSH_.num_named_barrier, 0
	.set _ZN7rocprim17ROCPRIM_400000_NS6detail17trampoline_kernelINS0_14default_configENS1_35radix_sort_onesweep_config_selectorIiNS0_10empty_typeEEEZZNS1_29radix_sort_onesweep_iterationIS3_Lb0EN6thrust23THRUST_200600_302600_NS10device_ptrIiEESB_PS5_SC_jNS0_19identity_decomposerENS1_16block_id_wrapperIjLb1EEEEE10hipError_tT1_PNSt15iterator_traitsISH_E10value_typeET2_T3_PNSI_ISN_E10value_typeET4_T5_PSS_ST_PNS1_23onesweep_lookback_stateEbbT6_jjT7_P12ihipStream_tbENKUlT_T0_SH_SM_E_clIPiSB_SC_SC_EEDaS10_S11_SH_SM_EUlS10_E_NS1_11comp_targetILNS1_3genE6ELNS1_11target_archE950ELNS1_3gpuE13ELNS1_3repE0EEENS1_47radix_sort_onesweep_sort_config_static_selectorELNS0_4arch9wavefront6targetE0EEEvSH_.private_seg_size, 0
	.set _ZN7rocprim17ROCPRIM_400000_NS6detail17trampoline_kernelINS0_14default_configENS1_35radix_sort_onesweep_config_selectorIiNS0_10empty_typeEEEZZNS1_29radix_sort_onesweep_iterationIS3_Lb0EN6thrust23THRUST_200600_302600_NS10device_ptrIiEESB_PS5_SC_jNS0_19identity_decomposerENS1_16block_id_wrapperIjLb1EEEEE10hipError_tT1_PNSt15iterator_traitsISH_E10value_typeET2_T3_PNSI_ISN_E10value_typeET4_T5_PSS_ST_PNS1_23onesweep_lookback_stateEbbT6_jjT7_P12ihipStream_tbENKUlT_T0_SH_SM_E_clIPiSB_SC_SC_EEDaS10_S11_SH_SM_EUlS10_E_NS1_11comp_targetILNS1_3genE6ELNS1_11target_archE950ELNS1_3gpuE13ELNS1_3repE0EEENS1_47radix_sort_onesweep_sort_config_static_selectorELNS0_4arch9wavefront6targetE0EEEvSH_.uses_vcc, 0
	.set _ZN7rocprim17ROCPRIM_400000_NS6detail17trampoline_kernelINS0_14default_configENS1_35radix_sort_onesweep_config_selectorIiNS0_10empty_typeEEEZZNS1_29radix_sort_onesweep_iterationIS3_Lb0EN6thrust23THRUST_200600_302600_NS10device_ptrIiEESB_PS5_SC_jNS0_19identity_decomposerENS1_16block_id_wrapperIjLb1EEEEE10hipError_tT1_PNSt15iterator_traitsISH_E10value_typeET2_T3_PNSI_ISN_E10value_typeET4_T5_PSS_ST_PNS1_23onesweep_lookback_stateEbbT6_jjT7_P12ihipStream_tbENKUlT_T0_SH_SM_E_clIPiSB_SC_SC_EEDaS10_S11_SH_SM_EUlS10_E_NS1_11comp_targetILNS1_3genE6ELNS1_11target_archE950ELNS1_3gpuE13ELNS1_3repE0EEENS1_47radix_sort_onesweep_sort_config_static_selectorELNS0_4arch9wavefront6targetE0EEEvSH_.uses_flat_scratch, 0
	.set _ZN7rocprim17ROCPRIM_400000_NS6detail17trampoline_kernelINS0_14default_configENS1_35radix_sort_onesweep_config_selectorIiNS0_10empty_typeEEEZZNS1_29radix_sort_onesweep_iterationIS3_Lb0EN6thrust23THRUST_200600_302600_NS10device_ptrIiEESB_PS5_SC_jNS0_19identity_decomposerENS1_16block_id_wrapperIjLb1EEEEE10hipError_tT1_PNSt15iterator_traitsISH_E10value_typeET2_T3_PNSI_ISN_E10value_typeET4_T5_PSS_ST_PNS1_23onesweep_lookback_stateEbbT6_jjT7_P12ihipStream_tbENKUlT_T0_SH_SM_E_clIPiSB_SC_SC_EEDaS10_S11_SH_SM_EUlS10_E_NS1_11comp_targetILNS1_3genE6ELNS1_11target_archE950ELNS1_3gpuE13ELNS1_3repE0EEENS1_47radix_sort_onesweep_sort_config_static_selectorELNS0_4arch9wavefront6targetE0EEEvSH_.has_dyn_sized_stack, 0
	.set _ZN7rocprim17ROCPRIM_400000_NS6detail17trampoline_kernelINS0_14default_configENS1_35radix_sort_onesweep_config_selectorIiNS0_10empty_typeEEEZZNS1_29radix_sort_onesweep_iterationIS3_Lb0EN6thrust23THRUST_200600_302600_NS10device_ptrIiEESB_PS5_SC_jNS0_19identity_decomposerENS1_16block_id_wrapperIjLb1EEEEE10hipError_tT1_PNSt15iterator_traitsISH_E10value_typeET2_T3_PNSI_ISN_E10value_typeET4_T5_PSS_ST_PNS1_23onesweep_lookback_stateEbbT6_jjT7_P12ihipStream_tbENKUlT_T0_SH_SM_E_clIPiSB_SC_SC_EEDaS10_S11_SH_SM_EUlS10_E_NS1_11comp_targetILNS1_3genE6ELNS1_11target_archE950ELNS1_3gpuE13ELNS1_3repE0EEENS1_47radix_sort_onesweep_sort_config_static_selectorELNS0_4arch9wavefront6targetE0EEEvSH_.has_recursion, 0
	.set _ZN7rocprim17ROCPRIM_400000_NS6detail17trampoline_kernelINS0_14default_configENS1_35radix_sort_onesweep_config_selectorIiNS0_10empty_typeEEEZZNS1_29radix_sort_onesweep_iterationIS3_Lb0EN6thrust23THRUST_200600_302600_NS10device_ptrIiEESB_PS5_SC_jNS0_19identity_decomposerENS1_16block_id_wrapperIjLb1EEEEE10hipError_tT1_PNSt15iterator_traitsISH_E10value_typeET2_T3_PNSI_ISN_E10value_typeET4_T5_PSS_ST_PNS1_23onesweep_lookback_stateEbbT6_jjT7_P12ihipStream_tbENKUlT_T0_SH_SM_E_clIPiSB_SC_SC_EEDaS10_S11_SH_SM_EUlS10_E_NS1_11comp_targetILNS1_3genE6ELNS1_11target_archE950ELNS1_3gpuE13ELNS1_3repE0EEENS1_47radix_sort_onesweep_sort_config_static_selectorELNS0_4arch9wavefront6targetE0EEEvSH_.has_indirect_call, 0
	.section	.AMDGPU.csdata,"",@progbits
; Kernel info:
; codeLenInByte = 0
; TotalNumSgprs: 0
; NumVgprs: 0
; ScratchSize: 0
; MemoryBound: 0
; FloatMode: 240
; IeeeMode: 1
; LDSByteSize: 0 bytes/workgroup (compile time only)
; SGPRBlocks: 0
; VGPRBlocks: 0
; NumSGPRsForWavesPerEU: 1
; NumVGPRsForWavesPerEU: 1
; Occupancy: 16
; WaveLimiterHint : 0
; COMPUTE_PGM_RSRC2:SCRATCH_EN: 0
; COMPUTE_PGM_RSRC2:USER_SGPR: 6
; COMPUTE_PGM_RSRC2:TRAP_HANDLER: 0
; COMPUTE_PGM_RSRC2:TGID_X_EN: 1
; COMPUTE_PGM_RSRC2:TGID_Y_EN: 0
; COMPUTE_PGM_RSRC2:TGID_Z_EN: 0
; COMPUTE_PGM_RSRC2:TIDIG_COMP_CNT: 0
	.section	.text._ZN7rocprim17ROCPRIM_400000_NS6detail17trampoline_kernelINS0_14default_configENS1_35radix_sort_onesweep_config_selectorIiNS0_10empty_typeEEEZZNS1_29radix_sort_onesweep_iterationIS3_Lb0EN6thrust23THRUST_200600_302600_NS10device_ptrIiEESB_PS5_SC_jNS0_19identity_decomposerENS1_16block_id_wrapperIjLb1EEEEE10hipError_tT1_PNSt15iterator_traitsISH_E10value_typeET2_T3_PNSI_ISN_E10value_typeET4_T5_PSS_ST_PNS1_23onesweep_lookback_stateEbbT6_jjT7_P12ihipStream_tbENKUlT_T0_SH_SM_E_clIPiSB_SC_SC_EEDaS10_S11_SH_SM_EUlS10_E_NS1_11comp_targetILNS1_3genE5ELNS1_11target_archE942ELNS1_3gpuE9ELNS1_3repE0EEENS1_47radix_sort_onesweep_sort_config_static_selectorELNS0_4arch9wavefront6targetE0EEEvSH_,"axG",@progbits,_ZN7rocprim17ROCPRIM_400000_NS6detail17trampoline_kernelINS0_14default_configENS1_35radix_sort_onesweep_config_selectorIiNS0_10empty_typeEEEZZNS1_29radix_sort_onesweep_iterationIS3_Lb0EN6thrust23THRUST_200600_302600_NS10device_ptrIiEESB_PS5_SC_jNS0_19identity_decomposerENS1_16block_id_wrapperIjLb1EEEEE10hipError_tT1_PNSt15iterator_traitsISH_E10value_typeET2_T3_PNSI_ISN_E10value_typeET4_T5_PSS_ST_PNS1_23onesweep_lookback_stateEbbT6_jjT7_P12ihipStream_tbENKUlT_T0_SH_SM_E_clIPiSB_SC_SC_EEDaS10_S11_SH_SM_EUlS10_E_NS1_11comp_targetILNS1_3genE5ELNS1_11target_archE942ELNS1_3gpuE9ELNS1_3repE0EEENS1_47radix_sort_onesweep_sort_config_static_selectorELNS0_4arch9wavefront6targetE0EEEvSH_,comdat
	.protected	_ZN7rocprim17ROCPRIM_400000_NS6detail17trampoline_kernelINS0_14default_configENS1_35radix_sort_onesweep_config_selectorIiNS0_10empty_typeEEEZZNS1_29radix_sort_onesweep_iterationIS3_Lb0EN6thrust23THRUST_200600_302600_NS10device_ptrIiEESB_PS5_SC_jNS0_19identity_decomposerENS1_16block_id_wrapperIjLb1EEEEE10hipError_tT1_PNSt15iterator_traitsISH_E10value_typeET2_T3_PNSI_ISN_E10value_typeET4_T5_PSS_ST_PNS1_23onesweep_lookback_stateEbbT6_jjT7_P12ihipStream_tbENKUlT_T0_SH_SM_E_clIPiSB_SC_SC_EEDaS10_S11_SH_SM_EUlS10_E_NS1_11comp_targetILNS1_3genE5ELNS1_11target_archE942ELNS1_3gpuE9ELNS1_3repE0EEENS1_47radix_sort_onesweep_sort_config_static_selectorELNS0_4arch9wavefront6targetE0EEEvSH_ ; -- Begin function _ZN7rocprim17ROCPRIM_400000_NS6detail17trampoline_kernelINS0_14default_configENS1_35radix_sort_onesweep_config_selectorIiNS0_10empty_typeEEEZZNS1_29radix_sort_onesweep_iterationIS3_Lb0EN6thrust23THRUST_200600_302600_NS10device_ptrIiEESB_PS5_SC_jNS0_19identity_decomposerENS1_16block_id_wrapperIjLb1EEEEE10hipError_tT1_PNSt15iterator_traitsISH_E10value_typeET2_T3_PNSI_ISN_E10value_typeET4_T5_PSS_ST_PNS1_23onesweep_lookback_stateEbbT6_jjT7_P12ihipStream_tbENKUlT_T0_SH_SM_E_clIPiSB_SC_SC_EEDaS10_S11_SH_SM_EUlS10_E_NS1_11comp_targetILNS1_3genE5ELNS1_11target_archE942ELNS1_3gpuE9ELNS1_3repE0EEENS1_47radix_sort_onesweep_sort_config_static_selectorELNS0_4arch9wavefront6targetE0EEEvSH_
	.globl	_ZN7rocprim17ROCPRIM_400000_NS6detail17trampoline_kernelINS0_14default_configENS1_35radix_sort_onesweep_config_selectorIiNS0_10empty_typeEEEZZNS1_29radix_sort_onesweep_iterationIS3_Lb0EN6thrust23THRUST_200600_302600_NS10device_ptrIiEESB_PS5_SC_jNS0_19identity_decomposerENS1_16block_id_wrapperIjLb1EEEEE10hipError_tT1_PNSt15iterator_traitsISH_E10value_typeET2_T3_PNSI_ISN_E10value_typeET4_T5_PSS_ST_PNS1_23onesweep_lookback_stateEbbT6_jjT7_P12ihipStream_tbENKUlT_T0_SH_SM_E_clIPiSB_SC_SC_EEDaS10_S11_SH_SM_EUlS10_E_NS1_11comp_targetILNS1_3genE5ELNS1_11target_archE942ELNS1_3gpuE9ELNS1_3repE0EEENS1_47radix_sort_onesweep_sort_config_static_selectorELNS0_4arch9wavefront6targetE0EEEvSH_
	.p2align	8
	.type	_ZN7rocprim17ROCPRIM_400000_NS6detail17trampoline_kernelINS0_14default_configENS1_35radix_sort_onesweep_config_selectorIiNS0_10empty_typeEEEZZNS1_29radix_sort_onesweep_iterationIS3_Lb0EN6thrust23THRUST_200600_302600_NS10device_ptrIiEESB_PS5_SC_jNS0_19identity_decomposerENS1_16block_id_wrapperIjLb1EEEEE10hipError_tT1_PNSt15iterator_traitsISH_E10value_typeET2_T3_PNSI_ISN_E10value_typeET4_T5_PSS_ST_PNS1_23onesweep_lookback_stateEbbT6_jjT7_P12ihipStream_tbENKUlT_T0_SH_SM_E_clIPiSB_SC_SC_EEDaS10_S11_SH_SM_EUlS10_E_NS1_11comp_targetILNS1_3genE5ELNS1_11target_archE942ELNS1_3gpuE9ELNS1_3repE0EEENS1_47radix_sort_onesweep_sort_config_static_selectorELNS0_4arch9wavefront6targetE0EEEvSH_,@function
_ZN7rocprim17ROCPRIM_400000_NS6detail17trampoline_kernelINS0_14default_configENS1_35radix_sort_onesweep_config_selectorIiNS0_10empty_typeEEEZZNS1_29radix_sort_onesweep_iterationIS3_Lb0EN6thrust23THRUST_200600_302600_NS10device_ptrIiEESB_PS5_SC_jNS0_19identity_decomposerENS1_16block_id_wrapperIjLb1EEEEE10hipError_tT1_PNSt15iterator_traitsISH_E10value_typeET2_T3_PNSI_ISN_E10value_typeET4_T5_PSS_ST_PNS1_23onesweep_lookback_stateEbbT6_jjT7_P12ihipStream_tbENKUlT_T0_SH_SM_E_clIPiSB_SC_SC_EEDaS10_S11_SH_SM_EUlS10_E_NS1_11comp_targetILNS1_3genE5ELNS1_11target_archE942ELNS1_3gpuE9ELNS1_3repE0EEENS1_47radix_sort_onesweep_sort_config_static_selectorELNS0_4arch9wavefront6targetE0EEEvSH_: ; @_ZN7rocprim17ROCPRIM_400000_NS6detail17trampoline_kernelINS0_14default_configENS1_35radix_sort_onesweep_config_selectorIiNS0_10empty_typeEEEZZNS1_29radix_sort_onesweep_iterationIS3_Lb0EN6thrust23THRUST_200600_302600_NS10device_ptrIiEESB_PS5_SC_jNS0_19identity_decomposerENS1_16block_id_wrapperIjLb1EEEEE10hipError_tT1_PNSt15iterator_traitsISH_E10value_typeET2_T3_PNSI_ISN_E10value_typeET4_T5_PSS_ST_PNS1_23onesweep_lookback_stateEbbT6_jjT7_P12ihipStream_tbENKUlT_T0_SH_SM_E_clIPiSB_SC_SC_EEDaS10_S11_SH_SM_EUlS10_E_NS1_11comp_targetILNS1_3genE5ELNS1_11target_archE942ELNS1_3gpuE9ELNS1_3repE0EEENS1_47radix_sort_onesweep_sort_config_static_selectorELNS0_4arch9wavefront6targetE0EEEvSH_
; %bb.0:
	.section	.rodata,"a",@progbits
	.p2align	6, 0x0
	.amdhsa_kernel _ZN7rocprim17ROCPRIM_400000_NS6detail17trampoline_kernelINS0_14default_configENS1_35radix_sort_onesweep_config_selectorIiNS0_10empty_typeEEEZZNS1_29radix_sort_onesweep_iterationIS3_Lb0EN6thrust23THRUST_200600_302600_NS10device_ptrIiEESB_PS5_SC_jNS0_19identity_decomposerENS1_16block_id_wrapperIjLb1EEEEE10hipError_tT1_PNSt15iterator_traitsISH_E10value_typeET2_T3_PNSI_ISN_E10value_typeET4_T5_PSS_ST_PNS1_23onesweep_lookback_stateEbbT6_jjT7_P12ihipStream_tbENKUlT_T0_SH_SM_E_clIPiSB_SC_SC_EEDaS10_S11_SH_SM_EUlS10_E_NS1_11comp_targetILNS1_3genE5ELNS1_11target_archE942ELNS1_3gpuE9ELNS1_3repE0EEENS1_47radix_sort_onesweep_sort_config_static_selectorELNS0_4arch9wavefront6targetE0EEEvSH_
		.amdhsa_group_segment_fixed_size 0
		.amdhsa_private_segment_fixed_size 0
		.amdhsa_kernarg_size 88
		.amdhsa_user_sgpr_count 6
		.amdhsa_user_sgpr_private_segment_buffer 1
		.amdhsa_user_sgpr_dispatch_ptr 0
		.amdhsa_user_sgpr_queue_ptr 0
		.amdhsa_user_sgpr_kernarg_segment_ptr 1
		.amdhsa_user_sgpr_dispatch_id 0
		.amdhsa_user_sgpr_flat_scratch_init 0
		.amdhsa_user_sgpr_private_segment_size 0
		.amdhsa_wavefront_size32 1
		.amdhsa_uses_dynamic_stack 0
		.amdhsa_system_sgpr_private_segment_wavefront_offset 0
		.amdhsa_system_sgpr_workgroup_id_x 1
		.amdhsa_system_sgpr_workgroup_id_y 0
		.amdhsa_system_sgpr_workgroup_id_z 0
		.amdhsa_system_sgpr_workgroup_info 0
		.amdhsa_system_vgpr_workitem_id 0
		.amdhsa_next_free_vgpr 1
		.amdhsa_next_free_sgpr 1
		.amdhsa_reserve_vcc 0
		.amdhsa_reserve_flat_scratch 0
		.amdhsa_float_round_mode_32 0
		.amdhsa_float_round_mode_16_64 0
		.amdhsa_float_denorm_mode_32 3
		.amdhsa_float_denorm_mode_16_64 3
		.amdhsa_dx10_clamp 1
		.amdhsa_ieee_mode 1
		.amdhsa_fp16_overflow 0
		.amdhsa_workgroup_processor_mode 1
		.amdhsa_memory_ordered 1
		.amdhsa_forward_progress 1
		.amdhsa_shared_vgpr_count 0
		.amdhsa_exception_fp_ieee_invalid_op 0
		.amdhsa_exception_fp_denorm_src 0
		.amdhsa_exception_fp_ieee_div_zero 0
		.amdhsa_exception_fp_ieee_overflow 0
		.amdhsa_exception_fp_ieee_underflow 0
		.amdhsa_exception_fp_ieee_inexact 0
		.amdhsa_exception_int_div_zero 0
	.end_amdhsa_kernel
	.section	.text._ZN7rocprim17ROCPRIM_400000_NS6detail17trampoline_kernelINS0_14default_configENS1_35radix_sort_onesweep_config_selectorIiNS0_10empty_typeEEEZZNS1_29radix_sort_onesweep_iterationIS3_Lb0EN6thrust23THRUST_200600_302600_NS10device_ptrIiEESB_PS5_SC_jNS0_19identity_decomposerENS1_16block_id_wrapperIjLb1EEEEE10hipError_tT1_PNSt15iterator_traitsISH_E10value_typeET2_T3_PNSI_ISN_E10value_typeET4_T5_PSS_ST_PNS1_23onesweep_lookback_stateEbbT6_jjT7_P12ihipStream_tbENKUlT_T0_SH_SM_E_clIPiSB_SC_SC_EEDaS10_S11_SH_SM_EUlS10_E_NS1_11comp_targetILNS1_3genE5ELNS1_11target_archE942ELNS1_3gpuE9ELNS1_3repE0EEENS1_47radix_sort_onesweep_sort_config_static_selectorELNS0_4arch9wavefront6targetE0EEEvSH_,"axG",@progbits,_ZN7rocprim17ROCPRIM_400000_NS6detail17trampoline_kernelINS0_14default_configENS1_35radix_sort_onesweep_config_selectorIiNS0_10empty_typeEEEZZNS1_29radix_sort_onesweep_iterationIS3_Lb0EN6thrust23THRUST_200600_302600_NS10device_ptrIiEESB_PS5_SC_jNS0_19identity_decomposerENS1_16block_id_wrapperIjLb1EEEEE10hipError_tT1_PNSt15iterator_traitsISH_E10value_typeET2_T3_PNSI_ISN_E10value_typeET4_T5_PSS_ST_PNS1_23onesweep_lookback_stateEbbT6_jjT7_P12ihipStream_tbENKUlT_T0_SH_SM_E_clIPiSB_SC_SC_EEDaS10_S11_SH_SM_EUlS10_E_NS1_11comp_targetILNS1_3genE5ELNS1_11target_archE942ELNS1_3gpuE9ELNS1_3repE0EEENS1_47radix_sort_onesweep_sort_config_static_selectorELNS0_4arch9wavefront6targetE0EEEvSH_,comdat
.Lfunc_end1264:
	.size	_ZN7rocprim17ROCPRIM_400000_NS6detail17trampoline_kernelINS0_14default_configENS1_35radix_sort_onesweep_config_selectorIiNS0_10empty_typeEEEZZNS1_29radix_sort_onesweep_iterationIS3_Lb0EN6thrust23THRUST_200600_302600_NS10device_ptrIiEESB_PS5_SC_jNS0_19identity_decomposerENS1_16block_id_wrapperIjLb1EEEEE10hipError_tT1_PNSt15iterator_traitsISH_E10value_typeET2_T3_PNSI_ISN_E10value_typeET4_T5_PSS_ST_PNS1_23onesweep_lookback_stateEbbT6_jjT7_P12ihipStream_tbENKUlT_T0_SH_SM_E_clIPiSB_SC_SC_EEDaS10_S11_SH_SM_EUlS10_E_NS1_11comp_targetILNS1_3genE5ELNS1_11target_archE942ELNS1_3gpuE9ELNS1_3repE0EEENS1_47radix_sort_onesweep_sort_config_static_selectorELNS0_4arch9wavefront6targetE0EEEvSH_, .Lfunc_end1264-_ZN7rocprim17ROCPRIM_400000_NS6detail17trampoline_kernelINS0_14default_configENS1_35radix_sort_onesweep_config_selectorIiNS0_10empty_typeEEEZZNS1_29radix_sort_onesweep_iterationIS3_Lb0EN6thrust23THRUST_200600_302600_NS10device_ptrIiEESB_PS5_SC_jNS0_19identity_decomposerENS1_16block_id_wrapperIjLb1EEEEE10hipError_tT1_PNSt15iterator_traitsISH_E10value_typeET2_T3_PNSI_ISN_E10value_typeET4_T5_PSS_ST_PNS1_23onesweep_lookback_stateEbbT6_jjT7_P12ihipStream_tbENKUlT_T0_SH_SM_E_clIPiSB_SC_SC_EEDaS10_S11_SH_SM_EUlS10_E_NS1_11comp_targetILNS1_3genE5ELNS1_11target_archE942ELNS1_3gpuE9ELNS1_3repE0EEENS1_47radix_sort_onesweep_sort_config_static_selectorELNS0_4arch9wavefront6targetE0EEEvSH_
                                        ; -- End function
	.set _ZN7rocprim17ROCPRIM_400000_NS6detail17trampoline_kernelINS0_14default_configENS1_35radix_sort_onesweep_config_selectorIiNS0_10empty_typeEEEZZNS1_29radix_sort_onesweep_iterationIS3_Lb0EN6thrust23THRUST_200600_302600_NS10device_ptrIiEESB_PS5_SC_jNS0_19identity_decomposerENS1_16block_id_wrapperIjLb1EEEEE10hipError_tT1_PNSt15iterator_traitsISH_E10value_typeET2_T3_PNSI_ISN_E10value_typeET4_T5_PSS_ST_PNS1_23onesweep_lookback_stateEbbT6_jjT7_P12ihipStream_tbENKUlT_T0_SH_SM_E_clIPiSB_SC_SC_EEDaS10_S11_SH_SM_EUlS10_E_NS1_11comp_targetILNS1_3genE5ELNS1_11target_archE942ELNS1_3gpuE9ELNS1_3repE0EEENS1_47radix_sort_onesweep_sort_config_static_selectorELNS0_4arch9wavefront6targetE0EEEvSH_.num_vgpr, 0
	.set _ZN7rocprim17ROCPRIM_400000_NS6detail17trampoline_kernelINS0_14default_configENS1_35radix_sort_onesweep_config_selectorIiNS0_10empty_typeEEEZZNS1_29radix_sort_onesweep_iterationIS3_Lb0EN6thrust23THRUST_200600_302600_NS10device_ptrIiEESB_PS5_SC_jNS0_19identity_decomposerENS1_16block_id_wrapperIjLb1EEEEE10hipError_tT1_PNSt15iterator_traitsISH_E10value_typeET2_T3_PNSI_ISN_E10value_typeET4_T5_PSS_ST_PNS1_23onesweep_lookback_stateEbbT6_jjT7_P12ihipStream_tbENKUlT_T0_SH_SM_E_clIPiSB_SC_SC_EEDaS10_S11_SH_SM_EUlS10_E_NS1_11comp_targetILNS1_3genE5ELNS1_11target_archE942ELNS1_3gpuE9ELNS1_3repE0EEENS1_47radix_sort_onesweep_sort_config_static_selectorELNS0_4arch9wavefront6targetE0EEEvSH_.num_agpr, 0
	.set _ZN7rocprim17ROCPRIM_400000_NS6detail17trampoline_kernelINS0_14default_configENS1_35radix_sort_onesweep_config_selectorIiNS0_10empty_typeEEEZZNS1_29radix_sort_onesweep_iterationIS3_Lb0EN6thrust23THRUST_200600_302600_NS10device_ptrIiEESB_PS5_SC_jNS0_19identity_decomposerENS1_16block_id_wrapperIjLb1EEEEE10hipError_tT1_PNSt15iterator_traitsISH_E10value_typeET2_T3_PNSI_ISN_E10value_typeET4_T5_PSS_ST_PNS1_23onesweep_lookback_stateEbbT6_jjT7_P12ihipStream_tbENKUlT_T0_SH_SM_E_clIPiSB_SC_SC_EEDaS10_S11_SH_SM_EUlS10_E_NS1_11comp_targetILNS1_3genE5ELNS1_11target_archE942ELNS1_3gpuE9ELNS1_3repE0EEENS1_47radix_sort_onesweep_sort_config_static_selectorELNS0_4arch9wavefront6targetE0EEEvSH_.numbered_sgpr, 0
	.set _ZN7rocprim17ROCPRIM_400000_NS6detail17trampoline_kernelINS0_14default_configENS1_35radix_sort_onesweep_config_selectorIiNS0_10empty_typeEEEZZNS1_29radix_sort_onesweep_iterationIS3_Lb0EN6thrust23THRUST_200600_302600_NS10device_ptrIiEESB_PS5_SC_jNS0_19identity_decomposerENS1_16block_id_wrapperIjLb1EEEEE10hipError_tT1_PNSt15iterator_traitsISH_E10value_typeET2_T3_PNSI_ISN_E10value_typeET4_T5_PSS_ST_PNS1_23onesweep_lookback_stateEbbT6_jjT7_P12ihipStream_tbENKUlT_T0_SH_SM_E_clIPiSB_SC_SC_EEDaS10_S11_SH_SM_EUlS10_E_NS1_11comp_targetILNS1_3genE5ELNS1_11target_archE942ELNS1_3gpuE9ELNS1_3repE0EEENS1_47radix_sort_onesweep_sort_config_static_selectorELNS0_4arch9wavefront6targetE0EEEvSH_.num_named_barrier, 0
	.set _ZN7rocprim17ROCPRIM_400000_NS6detail17trampoline_kernelINS0_14default_configENS1_35radix_sort_onesweep_config_selectorIiNS0_10empty_typeEEEZZNS1_29radix_sort_onesweep_iterationIS3_Lb0EN6thrust23THRUST_200600_302600_NS10device_ptrIiEESB_PS5_SC_jNS0_19identity_decomposerENS1_16block_id_wrapperIjLb1EEEEE10hipError_tT1_PNSt15iterator_traitsISH_E10value_typeET2_T3_PNSI_ISN_E10value_typeET4_T5_PSS_ST_PNS1_23onesweep_lookback_stateEbbT6_jjT7_P12ihipStream_tbENKUlT_T0_SH_SM_E_clIPiSB_SC_SC_EEDaS10_S11_SH_SM_EUlS10_E_NS1_11comp_targetILNS1_3genE5ELNS1_11target_archE942ELNS1_3gpuE9ELNS1_3repE0EEENS1_47radix_sort_onesweep_sort_config_static_selectorELNS0_4arch9wavefront6targetE0EEEvSH_.private_seg_size, 0
	.set _ZN7rocprim17ROCPRIM_400000_NS6detail17trampoline_kernelINS0_14default_configENS1_35radix_sort_onesweep_config_selectorIiNS0_10empty_typeEEEZZNS1_29radix_sort_onesweep_iterationIS3_Lb0EN6thrust23THRUST_200600_302600_NS10device_ptrIiEESB_PS5_SC_jNS0_19identity_decomposerENS1_16block_id_wrapperIjLb1EEEEE10hipError_tT1_PNSt15iterator_traitsISH_E10value_typeET2_T3_PNSI_ISN_E10value_typeET4_T5_PSS_ST_PNS1_23onesweep_lookback_stateEbbT6_jjT7_P12ihipStream_tbENKUlT_T0_SH_SM_E_clIPiSB_SC_SC_EEDaS10_S11_SH_SM_EUlS10_E_NS1_11comp_targetILNS1_3genE5ELNS1_11target_archE942ELNS1_3gpuE9ELNS1_3repE0EEENS1_47radix_sort_onesweep_sort_config_static_selectorELNS0_4arch9wavefront6targetE0EEEvSH_.uses_vcc, 0
	.set _ZN7rocprim17ROCPRIM_400000_NS6detail17trampoline_kernelINS0_14default_configENS1_35radix_sort_onesweep_config_selectorIiNS0_10empty_typeEEEZZNS1_29radix_sort_onesweep_iterationIS3_Lb0EN6thrust23THRUST_200600_302600_NS10device_ptrIiEESB_PS5_SC_jNS0_19identity_decomposerENS1_16block_id_wrapperIjLb1EEEEE10hipError_tT1_PNSt15iterator_traitsISH_E10value_typeET2_T3_PNSI_ISN_E10value_typeET4_T5_PSS_ST_PNS1_23onesweep_lookback_stateEbbT6_jjT7_P12ihipStream_tbENKUlT_T0_SH_SM_E_clIPiSB_SC_SC_EEDaS10_S11_SH_SM_EUlS10_E_NS1_11comp_targetILNS1_3genE5ELNS1_11target_archE942ELNS1_3gpuE9ELNS1_3repE0EEENS1_47radix_sort_onesweep_sort_config_static_selectorELNS0_4arch9wavefront6targetE0EEEvSH_.uses_flat_scratch, 0
	.set _ZN7rocprim17ROCPRIM_400000_NS6detail17trampoline_kernelINS0_14default_configENS1_35radix_sort_onesweep_config_selectorIiNS0_10empty_typeEEEZZNS1_29radix_sort_onesweep_iterationIS3_Lb0EN6thrust23THRUST_200600_302600_NS10device_ptrIiEESB_PS5_SC_jNS0_19identity_decomposerENS1_16block_id_wrapperIjLb1EEEEE10hipError_tT1_PNSt15iterator_traitsISH_E10value_typeET2_T3_PNSI_ISN_E10value_typeET4_T5_PSS_ST_PNS1_23onesweep_lookback_stateEbbT6_jjT7_P12ihipStream_tbENKUlT_T0_SH_SM_E_clIPiSB_SC_SC_EEDaS10_S11_SH_SM_EUlS10_E_NS1_11comp_targetILNS1_3genE5ELNS1_11target_archE942ELNS1_3gpuE9ELNS1_3repE0EEENS1_47radix_sort_onesweep_sort_config_static_selectorELNS0_4arch9wavefront6targetE0EEEvSH_.has_dyn_sized_stack, 0
	.set _ZN7rocprim17ROCPRIM_400000_NS6detail17trampoline_kernelINS0_14default_configENS1_35radix_sort_onesweep_config_selectorIiNS0_10empty_typeEEEZZNS1_29radix_sort_onesweep_iterationIS3_Lb0EN6thrust23THRUST_200600_302600_NS10device_ptrIiEESB_PS5_SC_jNS0_19identity_decomposerENS1_16block_id_wrapperIjLb1EEEEE10hipError_tT1_PNSt15iterator_traitsISH_E10value_typeET2_T3_PNSI_ISN_E10value_typeET4_T5_PSS_ST_PNS1_23onesweep_lookback_stateEbbT6_jjT7_P12ihipStream_tbENKUlT_T0_SH_SM_E_clIPiSB_SC_SC_EEDaS10_S11_SH_SM_EUlS10_E_NS1_11comp_targetILNS1_3genE5ELNS1_11target_archE942ELNS1_3gpuE9ELNS1_3repE0EEENS1_47radix_sort_onesweep_sort_config_static_selectorELNS0_4arch9wavefront6targetE0EEEvSH_.has_recursion, 0
	.set _ZN7rocprim17ROCPRIM_400000_NS6detail17trampoline_kernelINS0_14default_configENS1_35radix_sort_onesweep_config_selectorIiNS0_10empty_typeEEEZZNS1_29radix_sort_onesweep_iterationIS3_Lb0EN6thrust23THRUST_200600_302600_NS10device_ptrIiEESB_PS5_SC_jNS0_19identity_decomposerENS1_16block_id_wrapperIjLb1EEEEE10hipError_tT1_PNSt15iterator_traitsISH_E10value_typeET2_T3_PNSI_ISN_E10value_typeET4_T5_PSS_ST_PNS1_23onesweep_lookback_stateEbbT6_jjT7_P12ihipStream_tbENKUlT_T0_SH_SM_E_clIPiSB_SC_SC_EEDaS10_S11_SH_SM_EUlS10_E_NS1_11comp_targetILNS1_3genE5ELNS1_11target_archE942ELNS1_3gpuE9ELNS1_3repE0EEENS1_47radix_sort_onesweep_sort_config_static_selectorELNS0_4arch9wavefront6targetE0EEEvSH_.has_indirect_call, 0
	.section	.AMDGPU.csdata,"",@progbits
; Kernel info:
; codeLenInByte = 0
; TotalNumSgprs: 0
; NumVgprs: 0
; ScratchSize: 0
; MemoryBound: 0
; FloatMode: 240
; IeeeMode: 1
; LDSByteSize: 0 bytes/workgroup (compile time only)
; SGPRBlocks: 0
; VGPRBlocks: 0
; NumSGPRsForWavesPerEU: 1
; NumVGPRsForWavesPerEU: 1
; Occupancy: 16
; WaveLimiterHint : 0
; COMPUTE_PGM_RSRC2:SCRATCH_EN: 0
; COMPUTE_PGM_RSRC2:USER_SGPR: 6
; COMPUTE_PGM_RSRC2:TRAP_HANDLER: 0
; COMPUTE_PGM_RSRC2:TGID_X_EN: 1
; COMPUTE_PGM_RSRC2:TGID_Y_EN: 0
; COMPUTE_PGM_RSRC2:TGID_Z_EN: 0
; COMPUTE_PGM_RSRC2:TIDIG_COMP_CNT: 0
	.section	.text._ZN7rocprim17ROCPRIM_400000_NS6detail17trampoline_kernelINS0_14default_configENS1_35radix_sort_onesweep_config_selectorIiNS0_10empty_typeEEEZZNS1_29radix_sort_onesweep_iterationIS3_Lb0EN6thrust23THRUST_200600_302600_NS10device_ptrIiEESB_PS5_SC_jNS0_19identity_decomposerENS1_16block_id_wrapperIjLb1EEEEE10hipError_tT1_PNSt15iterator_traitsISH_E10value_typeET2_T3_PNSI_ISN_E10value_typeET4_T5_PSS_ST_PNS1_23onesweep_lookback_stateEbbT6_jjT7_P12ihipStream_tbENKUlT_T0_SH_SM_E_clIPiSB_SC_SC_EEDaS10_S11_SH_SM_EUlS10_E_NS1_11comp_targetILNS1_3genE2ELNS1_11target_archE906ELNS1_3gpuE6ELNS1_3repE0EEENS1_47radix_sort_onesweep_sort_config_static_selectorELNS0_4arch9wavefront6targetE0EEEvSH_,"axG",@progbits,_ZN7rocprim17ROCPRIM_400000_NS6detail17trampoline_kernelINS0_14default_configENS1_35radix_sort_onesweep_config_selectorIiNS0_10empty_typeEEEZZNS1_29radix_sort_onesweep_iterationIS3_Lb0EN6thrust23THRUST_200600_302600_NS10device_ptrIiEESB_PS5_SC_jNS0_19identity_decomposerENS1_16block_id_wrapperIjLb1EEEEE10hipError_tT1_PNSt15iterator_traitsISH_E10value_typeET2_T3_PNSI_ISN_E10value_typeET4_T5_PSS_ST_PNS1_23onesweep_lookback_stateEbbT6_jjT7_P12ihipStream_tbENKUlT_T0_SH_SM_E_clIPiSB_SC_SC_EEDaS10_S11_SH_SM_EUlS10_E_NS1_11comp_targetILNS1_3genE2ELNS1_11target_archE906ELNS1_3gpuE6ELNS1_3repE0EEENS1_47radix_sort_onesweep_sort_config_static_selectorELNS0_4arch9wavefront6targetE0EEEvSH_,comdat
	.protected	_ZN7rocprim17ROCPRIM_400000_NS6detail17trampoline_kernelINS0_14default_configENS1_35radix_sort_onesweep_config_selectorIiNS0_10empty_typeEEEZZNS1_29radix_sort_onesweep_iterationIS3_Lb0EN6thrust23THRUST_200600_302600_NS10device_ptrIiEESB_PS5_SC_jNS0_19identity_decomposerENS1_16block_id_wrapperIjLb1EEEEE10hipError_tT1_PNSt15iterator_traitsISH_E10value_typeET2_T3_PNSI_ISN_E10value_typeET4_T5_PSS_ST_PNS1_23onesweep_lookback_stateEbbT6_jjT7_P12ihipStream_tbENKUlT_T0_SH_SM_E_clIPiSB_SC_SC_EEDaS10_S11_SH_SM_EUlS10_E_NS1_11comp_targetILNS1_3genE2ELNS1_11target_archE906ELNS1_3gpuE6ELNS1_3repE0EEENS1_47radix_sort_onesweep_sort_config_static_selectorELNS0_4arch9wavefront6targetE0EEEvSH_ ; -- Begin function _ZN7rocprim17ROCPRIM_400000_NS6detail17trampoline_kernelINS0_14default_configENS1_35radix_sort_onesweep_config_selectorIiNS0_10empty_typeEEEZZNS1_29radix_sort_onesweep_iterationIS3_Lb0EN6thrust23THRUST_200600_302600_NS10device_ptrIiEESB_PS5_SC_jNS0_19identity_decomposerENS1_16block_id_wrapperIjLb1EEEEE10hipError_tT1_PNSt15iterator_traitsISH_E10value_typeET2_T3_PNSI_ISN_E10value_typeET4_T5_PSS_ST_PNS1_23onesweep_lookback_stateEbbT6_jjT7_P12ihipStream_tbENKUlT_T0_SH_SM_E_clIPiSB_SC_SC_EEDaS10_S11_SH_SM_EUlS10_E_NS1_11comp_targetILNS1_3genE2ELNS1_11target_archE906ELNS1_3gpuE6ELNS1_3repE0EEENS1_47radix_sort_onesweep_sort_config_static_selectorELNS0_4arch9wavefront6targetE0EEEvSH_
	.globl	_ZN7rocprim17ROCPRIM_400000_NS6detail17trampoline_kernelINS0_14default_configENS1_35radix_sort_onesweep_config_selectorIiNS0_10empty_typeEEEZZNS1_29radix_sort_onesweep_iterationIS3_Lb0EN6thrust23THRUST_200600_302600_NS10device_ptrIiEESB_PS5_SC_jNS0_19identity_decomposerENS1_16block_id_wrapperIjLb1EEEEE10hipError_tT1_PNSt15iterator_traitsISH_E10value_typeET2_T3_PNSI_ISN_E10value_typeET4_T5_PSS_ST_PNS1_23onesweep_lookback_stateEbbT6_jjT7_P12ihipStream_tbENKUlT_T0_SH_SM_E_clIPiSB_SC_SC_EEDaS10_S11_SH_SM_EUlS10_E_NS1_11comp_targetILNS1_3genE2ELNS1_11target_archE906ELNS1_3gpuE6ELNS1_3repE0EEENS1_47radix_sort_onesweep_sort_config_static_selectorELNS0_4arch9wavefront6targetE0EEEvSH_
	.p2align	8
	.type	_ZN7rocprim17ROCPRIM_400000_NS6detail17trampoline_kernelINS0_14default_configENS1_35radix_sort_onesweep_config_selectorIiNS0_10empty_typeEEEZZNS1_29radix_sort_onesweep_iterationIS3_Lb0EN6thrust23THRUST_200600_302600_NS10device_ptrIiEESB_PS5_SC_jNS0_19identity_decomposerENS1_16block_id_wrapperIjLb1EEEEE10hipError_tT1_PNSt15iterator_traitsISH_E10value_typeET2_T3_PNSI_ISN_E10value_typeET4_T5_PSS_ST_PNS1_23onesweep_lookback_stateEbbT6_jjT7_P12ihipStream_tbENKUlT_T0_SH_SM_E_clIPiSB_SC_SC_EEDaS10_S11_SH_SM_EUlS10_E_NS1_11comp_targetILNS1_3genE2ELNS1_11target_archE906ELNS1_3gpuE6ELNS1_3repE0EEENS1_47radix_sort_onesweep_sort_config_static_selectorELNS0_4arch9wavefront6targetE0EEEvSH_,@function
_ZN7rocprim17ROCPRIM_400000_NS6detail17trampoline_kernelINS0_14default_configENS1_35radix_sort_onesweep_config_selectorIiNS0_10empty_typeEEEZZNS1_29radix_sort_onesweep_iterationIS3_Lb0EN6thrust23THRUST_200600_302600_NS10device_ptrIiEESB_PS5_SC_jNS0_19identity_decomposerENS1_16block_id_wrapperIjLb1EEEEE10hipError_tT1_PNSt15iterator_traitsISH_E10value_typeET2_T3_PNSI_ISN_E10value_typeET4_T5_PSS_ST_PNS1_23onesweep_lookback_stateEbbT6_jjT7_P12ihipStream_tbENKUlT_T0_SH_SM_E_clIPiSB_SC_SC_EEDaS10_S11_SH_SM_EUlS10_E_NS1_11comp_targetILNS1_3genE2ELNS1_11target_archE906ELNS1_3gpuE6ELNS1_3repE0EEENS1_47radix_sort_onesweep_sort_config_static_selectorELNS0_4arch9wavefront6targetE0EEEvSH_: ; @_ZN7rocprim17ROCPRIM_400000_NS6detail17trampoline_kernelINS0_14default_configENS1_35radix_sort_onesweep_config_selectorIiNS0_10empty_typeEEEZZNS1_29radix_sort_onesweep_iterationIS3_Lb0EN6thrust23THRUST_200600_302600_NS10device_ptrIiEESB_PS5_SC_jNS0_19identity_decomposerENS1_16block_id_wrapperIjLb1EEEEE10hipError_tT1_PNSt15iterator_traitsISH_E10value_typeET2_T3_PNSI_ISN_E10value_typeET4_T5_PSS_ST_PNS1_23onesweep_lookback_stateEbbT6_jjT7_P12ihipStream_tbENKUlT_T0_SH_SM_E_clIPiSB_SC_SC_EEDaS10_S11_SH_SM_EUlS10_E_NS1_11comp_targetILNS1_3genE2ELNS1_11target_archE906ELNS1_3gpuE6ELNS1_3repE0EEENS1_47radix_sort_onesweep_sort_config_static_selectorELNS0_4arch9wavefront6targetE0EEEvSH_
; %bb.0:
	.section	.rodata,"a",@progbits
	.p2align	6, 0x0
	.amdhsa_kernel _ZN7rocprim17ROCPRIM_400000_NS6detail17trampoline_kernelINS0_14default_configENS1_35radix_sort_onesweep_config_selectorIiNS0_10empty_typeEEEZZNS1_29radix_sort_onesweep_iterationIS3_Lb0EN6thrust23THRUST_200600_302600_NS10device_ptrIiEESB_PS5_SC_jNS0_19identity_decomposerENS1_16block_id_wrapperIjLb1EEEEE10hipError_tT1_PNSt15iterator_traitsISH_E10value_typeET2_T3_PNSI_ISN_E10value_typeET4_T5_PSS_ST_PNS1_23onesweep_lookback_stateEbbT6_jjT7_P12ihipStream_tbENKUlT_T0_SH_SM_E_clIPiSB_SC_SC_EEDaS10_S11_SH_SM_EUlS10_E_NS1_11comp_targetILNS1_3genE2ELNS1_11target_archE906ELNS1_3gpuE6ELNS1_3repE0EEENS1_47radix_sort_onesweep_sort_config_static_selectorELNS0_4arch9wavefront6targetE0EEEvSH_
		.amdhsa_group_segment_fixed_size 0
		.amdhsa_private_segment_fixed_size 0
		.amdhsa_kernarg_size 88
		.amdhsa_user_sgpr_count 6
		.amdhsa_user_sgpr_private_segment_buffer 1
		.amdhsa_user_sgpr_dispatch_ptr 0
		.amdhsa_user_sgpr_queue_ptr 0
		.amdhsa_user_sgpr_kernarg_segment_ptr 1
		.amdhsa_user_sgpr_dispatch_id 0
		.amdhsa_user_sgpr_flat_scratch_init 0
		.amdhsa_user_sgpr_private_segment_size 0
		.amdhsa_wavefront_size32 1
		.amdhsa_uses_dynamic_stack 0
		.amdhsa_system_sgpr_private_segment_wavefront_offset 0
		.amdhsa_system_sgpr_workgroup_id_x 1
		.amdhsa_system_sgpr_workgroup_id_y 0
		.amdhsa_system_sgpr_workgroup_id_z 0
		.amdhsa_system_sgpr_workgroup_info 0
		.amdhsa_system_vgpr_workitem_id 0
		.amdhsa_next_free_vgpr 1
		.amdhsa_next_free_sgpr 1
		.amdhsa_reserve_vcc 0
		.amdhsa_reserve_flat_scratch 0
		.amdhsa_float_round_mode_32 0
		.amdhsa_float_round_mode_16_64 0
		.amdhsa_float_denorm_mode_32 3
		.amdhsa_float_denorm_mode_16_64 3
		.amdhsa_dx10_clamp 1
		.amdhsa_ieee_mode 1
		.amdhsa_fp16_overflow 0
		.amdhsa_workgroup_processor_mode 1
		.amdhsa_memory_ordered 1
		.amdhsa_forward_progress 1
		.amdhsa_shared_vgpr_count 0
		.amdhsa_exception_fp_ieee_invalid_op 0
		.amdhsa_exception_fp_denorm_src 0
		.amdhsa_exception_fp_ieee_div_zero 0
		.amdhsa_exception_fp_ieee_overflow 0
		.amdhsa_exception_fp_ieee_underflow 0
		.amdhsa_exception_fp_ieee_inexact 0
		.amdhsa_exception_int_div_zero 0
	.end_amdhsa_kernel
	.section	.text._ZN7rocprim17ROCPRIM_400000_NS6detail17trampoline_kernelINS0_14default_configENS1_35radix_sort_onesweep_config_selectorIiNS0_10empty_typeEEEZZNS1_29radix_sort_onesweep_iterationIS3_Lb0EN6thrust23THRUST_200600_302600_NS10device_ptrIiEESB_PS5_SC_jNS0_19identity_decomposerENS1_16block_id_wrapperIjLb1EEEEE10hipError_tT1_PNSt15iterator_traitsISH_E10value_typeET2_T3_PNSI_ISN_E10value_typeET4_T5_PSS_ST_PNS1_23onesweep_lookback_stateEbbT6_jjT7_P12ihipStream_tbENKUlT_T0_SH_SM_E_clIPiSB_SC_SC_EEDaS10_S11_SH_SM_EUlS10_E_NS1_11comp_targetILNS1_3genE2ELNS1_11target_archE906ELNS1_3gpuE6ELNS1_3repE0EEENS1_47radix_sort_onesweep_sort_config_static_selectorELNS0_4arch9wavefront6targetE0EEEvSH_,"axG",@progbits,_ZN7rocprim17ROCPRIM_400000_NS6detail17trampoline_kernelINS0_14default_configENS1_35radix_sort_onesweep_config_selectorIiNS0_10empty_typeEEEZZNS1_29radix_sort_onesweep_iterationIS3_Lb0EN6thrust23THRUST_200600_302600_NS10device_ptrIiEESB_PS5_SC_jNS0_19identity_decomposerENS1_16block_id_wrapperIjLb1EEEEE10hipError_tT1_PNSt15iterator_traitsISH_E10value_typeET2_T3_PNSI_ISN_E10value_typeET4_T5_PSS_ST_PNS1_23onesweep_lookback_stateEbbT6_jjT7_P12ihipStream_tbENKUlT_T0_SH_SM_E_clIPiSB_SC_SC_EEDaS10_S11_SH_SM_EUlS10_E_NS1_11comp_targetILNS1_3genE2ELNS1_11target_archE906ELNS1_3gpuE6ELNS1_3repE0EEENS1_47radix_sort_onesweep_sort_config_static_selectorELNS0_4arch9wavefront6targetE0EEEvSH_,comdat
.Lfunc_end1265:
	.size	_ZN7rocprim17ROCPRIM_400000_NS6detail17trampoline_kernelINS0_14default_configENS1_35radix_sort_onesweep_config_selectorIiNS0_10empty_typeEEEZZNS1_29radix_sort_onesweep_iterationIS3_Lb0EN6thrust23THRUST_200600_302600_NS10device_ptrIiEESB_PS5_SC_jNS0_19identity_decomposerENS1_16block_id_wrapperIjLb1EEEEE10hipError_tT1_PNSt15iterator_traitsISH_E10value_typeET2_T3_PNSI_ISN_E10value_typeET4_T5_PSS_ST_PNS1_23onesweep_lookback_stateEbbT6_jjT7_P12ihipStream_tbENKUlT_T0_SH_SM_E_clIPiSB_SC_SC_EEDaS10_S11_SH_SM_EUlS10_E_NS1_11comp_targetILNS1_3genE2ELNS1_11target_archE906ELNS1_3gpuE6ELNS1_3repE0EEENS1_47radix_sort_onesweep_sort_config_static_selectorELNS0_4arch9wavefront6targetE0EEEvSH_, .Lfunc_end1265-_ZN7rocprim17ROCPRIM_400000_NS6detail17trampoline_kernelINS0_14default_configENS1_35radix_sort_onesweep_config_selectorIiNS0_10empty_typeEEEZZNS1_29radix_sort_onesweep_iterationIS3_Lb0EN6thrust23THRUST_200600_302600_NS10device_ptrIiEESB_PS5_SC_jNS0_19identity_decomposerENS1_16block_id_wrapperIjLb1EEEEE10hipError_tT1_PNSt15iterator_traitsISH_E10value_typeET2_T3_PNSI_ISN_E10value_typeET4_T5_PSS_ST_PNS1_23onesweep_lookback_stateEbbT6_jjT7_P12ihipStream_tbENKUlT_T0_SH_SM_E_clIPiSB_SC_SC_EEDaS10_S11_SH_SM_EUlS10_E_NS1_11comp_targetILNS1_3genE2ELNS1_11target_archE906ELNS1_3gpuE6ELNS1_3repE0EEENS1_47radix_sort_onesweep_sort_config_static_selectorELNS0_4arch9wavefront6targetE0EEEvSH_
                                        ; -- End function
	.set _ZN7rocprim17ROCPRIM_400000_NS6detail17trampoline_kernelINS0_14default_configENS1_35radix_sort_onesweep_config_selectorIiNS0_10empty_typeEEEZZNS1_29radix_sort_onesweep_iterationIS3_Lb0EN6thrust23THRUST_200600_302600_NS10device_ptrIiEESB_PS5_SC_jNS0_19identity_decomposerENS1_16block_id_wrapperIjLb1EEEEE10hipError_tT1_PNSt15iterator_traitsISH_E10value_typeET2_T3_PNSI_ISN_E10value_typeET4_T5_PSS_ST_PNS1_23onesweep_lookback_stateEbbT6_jjT7_P12ihipStream_tbENKUlT_T0_SH_SM_E_clIPiSB_SC_SC_EEDaS10_S11_SH_SM_EUlS10_E_NS1_11comp_targetILNS1_3genE2ELNS1_11target_archE906ELNS1_3gpuE6ELNS1_3repE0EEENS1_47radix_sort_onesweep_sort_config_static_selectorELNS0_4arch9wavefront6targetE0EEEvSH_.num_vgpr, 0
	.set _ZN7rocprim17ROCPRIM_400000_NS6detail17trampoline_kernelINS0_14default_configENS1_35radix_sort_onesweep_config_selectorIiNS0_10empty_typeEEEZZNS1_29radix_sort_onesweep_iterationIS3_Lb0EN6thrust23THRUST_200600_302600_NS10device_ptrIiEESB_PS5_SC_jNS0_19identity_decomposerENS1_16block_id_wrapperIjLb1EEEEE10hipError_tT1_PNSt15iterator_traitsISH_E10value_typeET2_T3_PNSI_ISN_E10value_typeET4_T5_PSS_ST_PNS1_23onesweep_lookback_stateEbbT6_jjT7_P12ihipStream_tbENKUlT_T0_SH_SM_E_clIPiSB_SC_SC_EEDaS10_S11_SH_SM_EUlS10_E_NS1_11comp_targetILNS1_3genE2ELNS1_11target_archE906ELNS1_3gpuE6ELNS1_3repE0EEENS1_47radix_sort_onesweep_sort_config_static_selectorELNS0_4arch9wavefront6targetE0EEEvSH_.num_agpr, 0
	.set _ZN7rocprim17ROCPRIM_400000_NS6detail17trampoline_kernelINS0_14default_configENS1_35radix_sort_onesweep_config_selectorIiNS0_10empty_typeEEEZZNS1_29radix_sort_onesweep_iterationIS3_Lb0EN6thrust23THRUST_200600_302600_NS10device_ptrIiEESB_PS5_SC_jNS0_19identity_decomposerENS1_16block_id_wrapperIjLb1EEEEE10hipError_tT1_PNSt15iterator_traitsISH_E10value_typeET2_T3_PNSI_ISN_E10value_typeET4_T5_PSS_ST_PNS1_23onesweep_lookback_stateEbbT6_jjT7_P12ihipStream_tbENKUlT_T0_SH_SM_E_clIPiSB_SC_SC_EEDaS10_S11_SH_SM_EUlS10_E_NS1_11comp_targetILNS1_3genE2ELNS1_11target_archE906ELNS1_3gpuE6ELNS1_3repE0EEENS1_47radix_sort_onesweep_sort_config_static_selectorELNS0_4arch9wavefront6targetE0EEEvSH_.numbered_sgpr, 0
	.set _ZN7rocprim17ROCPRIM_400000_NS6detail17trampoline_kernelINS0_14default_configENS1_35radix_sort_onesweep_config_selectorIiNS0_10empty_typeEEEZZNS1_29radix_sort_onesweep_iterationIS3_Lb0EN6thrust23THRUST_200600_302600_NS10device_ptrIiEESB_PS5_SC_jNS0_19identity_decomposerENS1_16block_id_wrapperIjLb1EEEEE10hipError_tT1_PNSt15iterator_traitsISH_E10value_typeET2_T3_PNSI_ISN_E10value_typeET4_T5_PSS_ST_PNS1_23onesweep_lookback_stateEbbT6_jjT7_P12ihipStream_tbENKUlT_T0_SH_SM_E_clIPiSB_SC_SC_EEDaS10_S11_SH_SM_EUlS10_E_NS1_11comp_targetILNS1_3genE2ELNS1_11target_archE906ELNS1_3gpuE6ELNS1_3repE0EEENS1_47radix_sort_onesweep_sort_config_static_selectorELNS0_4arch9wavefront6targetE0EEEvSH_.num_named_barrier, 0
	.set _ZN7rocprim17ROCPRIM_400000_NS6detail17trampoline_kernelINS0_14default_configENS1_35radix_sort_onesweep_config_selectorIiNS0_10empty_typeEEEZZNS1_29radix_sort_onesweep_iterationIS3_Lb0EN6thrust23THRUST_200600_302600_NS10device_ptrIiEESB_PS5_SC_jNS0_19identity_decomposerENS1_16block_id_wrapperIjLb1EEEEE10hipError_tT1_PNSt15iterator_traitsISH_E10value_typeET2_T3_PNSI_ISN_E10value_typeET4_T5_PSS_ST_PNS1_23onesweep_lookback_stateEbbT6_jjT7_P12ihipStream_tbENKUlT_T0_SH_SM_E_clIPiSB_SC_SC_EEDaS10_S11_SH_SM_EUlS10_E_NS1_11comp_targetILNS1_3genE2ELNS1_11target_archE906ELNS1_3gpuE6ELNS1_3repE0EEENS1_47radix_sort_onesweep_sort_config_static_selectorELNS0_4arch9wavefront6targetE0EEEvSH_.private_seg_size, 0
	.set _ZN7rocprim17ROCPRIM_400000_NS6detail17trampoline_kernelINS0_14default_configENS1_35radix_sort_onesweep_config_selectorIiNS0_10empty_typeEEEZZNS1_29radix_sort_onesweep_iterationIS3_Lb0EN6thrust23THRUST_200600_302600_NS10device_ptrIiEESB_PS5_SC_jNS0_19identity_decomposerENS1_16block_id_wrapperIjLb1EEEEE10hipError_tT1_PNSt15iterator_traitsISH_E10value_typeET2_T3_PNSI_ISN_E10value_typeET4_T5_PSS_ST_PNS1_23onesweep_lookback_stateEbbT6_jjT7_P12ihipStream_tbENKUlT_T0_SH_SM_E_clIPiSB_SC_SC_EEDaS10_S11_SH_SM_EUlS10_E_NS1_11comp_targetILNS1_3genE2ELNS1_11target_archE906ELNS1_3gpuE6ELNS1_3repE0EEENS1_47radix_sort_onesweep_sort_config_static_selectorELNS0_4arch9wavefront6targetE0EEEvSH_.uses_vcc, 0
	.set _ZN7rocprim17ROCPRIM_400000_NS6detail17trampoline_kernelINS0_14default_configENS1_35radix_sort_onesweep_config_selectorIiNS0_10empty_typeEEEZZNS1_29radix_sort_onesweep_iterationIS3_Lb0EN6thrust23THRUST_200600_302600_NS10device_ptrIiEESB_PS5_SC_jNS0_19identity_decomposerENS1_16block_id_wrapperIjLb1EEEEE10hipError_tT1_PNSt15iterator_traitsISH_E10value_typeET2_T3_PNSI_ISN_E10value_typeET4_T5_PSS_ST_PNS1_23onesweep_lookback_stateEbbT6_jjT7_P12ihipStream_tbENKUlT_T0_SH_SM_E_clIPiSB_SC_SC_EEDaS10_S11_SH_SM_EUlS10_E_NS1_11comp_targetILNS1_3genE2ELNS1_11target_archE906ELNS1_3gpuE6ELNS1_3repE0EEENS1_47radix_sort_onesweep_sort_config_static_selectorELNS0_4arch9wavefront6targetE0EEEvSH_.uses_flat_scratch, 0
	.set _ZN7rocprim17ROCPRIM_400000_NS6detail17trampoline_kernelINS0_14default_configENS1_35radix_sort_onesweep_config_selectorIiNS0_10empty_typeEEEZZNS1_29radix_sort_onesweep_iterationIS3_Lb0EN6thrust23THRUST_200600_302600_NS10device_ptrIiEESB_PS5_SC_jNS0_19identity_decomposerENS1_16block_id_wrapperIjLb1EEEEE10hipError_tT1_PNSt15iterator_traitsISH_E10value_typeET2_T3_PNSI_ISN_E10value_typeET4_T5_PSS_ST_PNS1_23onesweep_lookback_stateEbbT6_jjT7_P12ihipStream_tbENKUlT_T0_SH_SM_E_clIPiSB_SC_SC_EEDaS10_S11_SH_SM_EUlS10_E_NS1_11comp_targetILNS1_3genE2ELNS1_11target_archE906ELNS1_3gpuE6ELNS1_3repE0EEENS1_47radix_sort_onesweep_sort_config_static_selectorELNS0_4arch9wavefront6targetE0EEEvSH_.has_dyn_sized_stack, 0
	.set _ZN7rocprim17ROCPRIM_400000_NS6detail17trampoline_kernelINS0_14default_configENS1_35radix_sort_onesweep_config_selectorIiNS0_10empty_typeEEEZZNS1_29radix_sort_onesweep_iterationIS3_Lb0EN6thrust23THRUST_200600_302600_NS10device_ptrIiEESB_PS5_SC_jNS0_19identity_decomposerENS1_16block_id_wrapperIjLb1EEEEE10hipError_tT1_PNSt15iterator_traitsISH_E10value_typeET2_T3_PNSI_ISN_E10value_typeET4_T5_PSS_ST_PNS1_23onesweep_lookback_stateEbbT6_jjT7_P12ihipStream_tbENKUlT_T0_SH_SM_E_clIPiSB_SC_SC_EEDaS10_S11_SH_SM_EUlS10_E_NS1_11comp_targetILNS1_3genE2ELNS1_11target_archE906ELNS1_3gpuE6ELNS1_3repE0EEENS1_47radix_sort_onesweep_sort_config_static_selectorELNS0_4arch9wavefront6targetE0EEEvSH_.has_recursion, 0
	.set _ZN7rocprim17ROCPRIM_400000_NS6detail17trampoline_kernelINS0_14default_configENS1_35radix_sort_onesweep_config_selectorIiNS0_10empty_typeEEEZZNS1_29radix_sort_onesweep_iterationIS3_Lb0EN6thrust23THRUST_200600_302600_NS10device_ptrIiEESB_PS5_SC_jNS0_19identity_decomposerENS1_16block_id_wrapperIjLb1EEEEE10hipError_tT1_PNSt15iterator_traitsISH_E10value_typeET2_T3_PNSI_ISN_E10value_typeET4_T5_PSS_ST_PNS1_23onesweep_lookback_stateEbbT6_jjT7_P12ihipStream_tbENKUlT_T0_SH_SM_E_clIPiSB_SC_SC_EEDaS10_S11_SH_SM_EUlS10_E_NS1_11comp_targetILNS1_3genE2ELNS1_11target_archE906ELNS1_3gpuE6ELNS1_3repE0EEENS1_47radix_sort_onesweep_sort_config_static_selectorELNS0_4arch9wavefront6targetE0EEEvSH_.has_indirect_call, 0
	.section	.AMDGPU.csdata,"",@progbits
; Kernel info:
; codeLenInByte = 0
; TotalNumSgprs: 0
; NumVgprs: 0
; ScratchSize: 0
; MemoryBound: 0
; FloatMode: 240
; IeeeMode: 1
; LDSByteSize: 0 bytes/workgroup (compile time only)
; SGPRBlocks: 0
; VGPRBlocks: 0
; NumSGPRsForWavesPerEU: 1
; NumVGPRsForWavesPerEU: 1
; Occupancy: 16
; WaveLimiterHint : 0
; COMPUTE_PGM_RSRC2:SCRATCH_EN: 0
; COMPUTE_PGM_RSRC2:USER_SGPR: 6
; COMPUTE_PGM_RSRC2:TRAP_HANDLER: 0
; COMPUTE_PGM_RSRC2:TGID_X_EN: 1
; COMPUTE_PGM_RSRC2:TGID_Y_EN: 0
; COMPUTE_PGM_RSRC2:TGID_Z_EN: 0
; COMPUTE_PGM_RSRC2:TIDIG_COMP_CNT: 0
	.section	.text._ZN7rocprim17ROCPRIM_400000_NS6detail17trampoline_kernelINS0_14default_configENS1_35radix_sort_onesweep_config_selectorIiNS0_10empty_typeEEEZZNS1_29radix_sort_onesweep_iterationIS3_Lb0EN6thrust23THRUST_200600_302600_NS10device_ptrIiEESB_PS5_SC_jNS0_19identity_decomposerENS1_16block_id_wrapperIjLb1EEEEE10hipError_tT1_PNSt15iterator_traitsISH_E10value_typeET2_T3_PNSI_ISN_E10value_typeET4_T5_PSS_ST_PNS1_23onesweep_lookback_stateEbbT6_jjT7_P12ihipStream_tbENKUlT_T0_SH_SM_E_clIPiSB_SC_SC_EEDaS10_S11_SH_SM_EUlS10_E_NS1_11comp_targetILNS1_3genE4ELNS1_11target_archE910ELNS1_3gpuE8ELNS1_3repE0EEENS1_47radix_sort_onesweep_sort_config_static_selectorELNS0_4arch9wavefront6targetE0EEEvSH_,"axG",@progbits,_ZN7rocprim17ROCPRIM_400000_NS6detail17trampoline_kernelINS0_14default_configENS1_35radix_sort_onesweep_config_selectorIiNS0_10empty_typeEEEZZNS1_29radix_sort_onesweep_iterationIS3_Lb0EN6thrust23THRUST_200600_302600_NS10device_ptrIiEESB_PS5_SC_jNS0_19identity_decomposerENS1_16block_id_wrapperIjLb1EEEEE10hipError_tT1_PNSt15iterator_traitsISH_E10value_typeET2_T3_PNSI_ISN_E10value_typeET4_T5_PSS_ST_PNS1_23onesweep_lookback_stateEbbT6_jjT7_P12ihipStream_tbENKUlT_T0_SH_SM_E_clIPiSB_SC_SC_EEDaS10_S11_SH_SM_EUlS10_E_NS1_11comp_targetILNS1_3genE4ELNS1_11target_archE910ELNS1_3gpuE8ELNS1_3repE0EEENS1_47radix_sort_onesweep_sort_config_static_selectorELNS0_4arch9wavefront6targetE0EEEvSH_,comdat
	.protected	_ZN7rocprim17ROCPRIM_400000_NS6detail17trampoline_kernelINS0_14default_configENS1_35radix_sort_onesweep_config_selectorIiNS0_10empty_typeEEEZZNS1_29radix_sort_onesweep_iterationIS3_Lb0EN6thrust23THRUST_200600_302600_NS10device_ptrIiEESB_PS5_SC_jNS0_19identity_decomposerENS1_16block_id_wrapperIjLb1EEEEE10hipError_tT1_PNSt15iterator_traitsISH_E10value_typeET2_T3_PNSI_ISN_E10value_typeET4_T5_PSS_ST_PNS1_23onesweep_lookback_stateEbbT6_jjT7_P12ihipStream_tbENKUlT_T0_SH_SM_E_clIPiSB_SC_SC_EEDaS10_S11_SH_SM_EUlS10_E_NS1_11comp_targetILNS1_3genE4ELNS1_11target_archE910ELNS1_3gpuE8ELNS1_3repE0EEENS1_47radix_sort_onesweep_sort_config_static_selectorELNS0_4arch9wavefront6targetE0EEEvSH_ ; -- Begin function _ZN7rocprim17ROCPRIM_400000_NS6detail17trampoline_kernelINS0_14default_configENS1_35radix_sort_onesweep_config_selectorIiNS0_10empty_typeEEEZZNS1_29radix_sort_onesweep_iterationIS3_Lb0EN6thrust23THRUST_200600_302600_NS10device_ptrIiEESB_PS5_SC_jNS0_19identity_decomposerENS1_16block_id_wrapperIjLb1EEEEE10hipError_tT1_PNSt15iterator_traitsISH_E10value_typeET2_T3_PNSI_ISN_E10value_typeET4_T5_PSS_ST_PNS1_23onesweep_lookback_stateEbbT6_jjT7_P12ihipStream_tbENKUlT_T0_SH_SM_E_clIPiSB_SC_SC_EEDaS10_S11_SH_SM_EUlS10_E_NS1_11comp_targetILNS1_3genE4ELNS1_11target_archE910ELNS1_3gpuE8ELNS1_3repE0EEENS1_47radix_sort_onesweep_sort_config_static_selectorELNS0_4arch9wavefront6targetE0EEEvSH_
	.globl	_ZN7rocprim17ROCPRIM_400000_NS6detail17trampoline_kernelINS0_14default_configENS1_35radix_sort_onesweep_config_selectorIiNS0_10empty_typeEEEZZNS1_29radix_sort_onesweep_iterationIS3_Lb0EN6thrust23THRUST_200600_302600_NS10device_ptrIiEESB_PS5_SC_jNS0_19identity_decomposerENS1_16block_id_wrapperIjLb1EEEEE10hipError_tT1_PNSt15iterator_traitsISH_E10value_typeET2_T3_PNSI_ISN_E10value_typeET4_T5_PSS_ST_PNS1_23onesweep_lookback_stateEbbT6_jjT7_P12ihipStream_tbENKUlT_T0_SH_SM_E_clIPiSB_SC_SC_EEDaS10_S11_SH_SM_EUlS10_E_NS1_11comp_targetILNS1_3genE4ELNS1_11target_archE910ELNS1_3gpuE8ELNS1_3repE0EEENS1_47radix_sort_onesweep_sort_config_static_selectorELNS0_4arch9wavefront6targetE0EEEvSH_
	.p2align	8
	.type	_ZN7rocprim17ROCPRIM_400000_NS6detail17trampoline_kernelINS0_14default_configENS1_35radix_sort_onesweep_config_selectorIiNS0_10empty_typeEEEZZNS1_29radix_sort_onesweep_iterationIS3_Lb0EN6thrust23THRUST_200600_302600_NS10device_ptrIiEESB_PS5_SC_jNS0_19identity_decomposerENS1_16block_id_wrapperIjLb1EEEEE10hipError_tT1_PNSt15iterator_traitsISH_E10value_typeET2_T3_PNSI_ISN_E10value_typeET4_T5_PSS_ST_PNS1_23onesweep_lookback_stateEbbT6_jjT7_P12ihipStream_tbENKUlT_T0_SH_SM_E_clIPiSB_SC_SC_EEDaS10_S11_SH_SM_EUlS10_E_NS1_11comp_targetILNS1_3genE4ELNS1_11target_archE910ELNS1_3gpuE8ELNS1_3repE0EEENS1_47radix_sort_onesweep_sort_config_static_selectorELNS0_4arch9wavefront6targetE0EEEvSH_,@function
_ZN7rocprim17ROCPRIM_400000_NS6detail17trampoline_kernelINS0_14default_configENS1_35radix_sort_onesweep_config_selectorIiNS0_10empty_typeEEEZZNS1_29radix_sort_onesweep_iterationIS3_Lb0EN6thrust23THRUST_200600_302600_NS10device_ptrIiEESB_PS5_SC_jNS0_19identity_decomposerENS1_16block_id_wrapperIjLb1EEEEE10hipError_tT1_PNSt15iterator_traitsISH_E10value_typeET2_T3_PNSI_ISN_E10value_typeET4_T5_PSS_ST_PNS1_23onesweep_lookback_stateEbbT6_jjT7_P12ihipStream_tbENKUlT_T0_SH_SM_E_clIPiSB_SC_SC_EEDaS10_S11_SH_SM_EUlS10_E_NS1_11comp_targetILNS1_3genE4ELNS1_11target_archE910ELNS1_3gpuE8ELNS1_3repE0EEENS1_47radix_sort_onesweep_sort_config_static_selectorELNS0_4arch9wavefront6targetE0EEEvSH_: ; @_ZN7rocprim17ROCPRIM_400000_NS6detail17trampoline_kernelINS0_14default_configENS1_35radix_sort_onesweep_config_selectorIiNS0_10empty_typeEEEZZNS1_29radix_sort_onesweep_iterationIS3_Lb0EN6thrust23THRUST_200600_302600_NS10device_ptrIiEESB_PS5_SC_jNS0_19identity_decomposerENS1_16block_id_wrapperIjLb1EEEEE10hipError_tT1_PNSt15iterator_traitsISH_E10value_typeET2_T3_PNSI_ISN_E10value_typeET4_T5_PSS_ST_PNS1_23onesweep_lookback_stateEbbT6_jjT7_P12ihipStream_tbENKUlT_T0_SH_SM_E_clIPiSB_SC_SC_EEDaS10_S11_SH_SM_EUlS10_E_NS1_11comp_targetILNS1_3genE4ELNS1_11target_archE910ELNS1_3gpuE8ELNS1_3repE0EEENS1_47radix_sort_onesweep_sort_config_static_selectorELNS0_4arch9wavefront6targetE0EEEvSH_
; %bb.0:
	.section	.rodata,"a",@progbits
	.p2align	6, 0x0
	.amdhsa_kernel _ZN7rocprim17ROCPRIM_400000_NS6detail17trampoline_kernelINS0_14default_configENS1_35radix_sort_onesweep_config_selectorIiNS0_10empty_typeEEEZZNS1_29radix_sort_onesweep_iterationIS3_Lb0EN6thrust23THRUST_200600_302600_NS10device_ptrIiEESB_PS5_SC_jNS0_19identity_decomposerENS1_16block_id_wrapperIjLb1EEEEE10hipError_tT1_PNSt15iterator_traitsISH_E10value_typeET2_T3_PNSI_ISN_E10value_typeET4_T5_PSS_ST_PNS1_23onesweep_lookback_stateEbbT6_jjT7_P12ihipStream_tbENKUlT_T0_SH_SM_E_clIPiSB_SC_SC_EEDaS10_S11_SH_SM_EUlS10_E_NS1_11comp_targetILNS1_3genE4ELNS1_11target_archE910ELNS1_3gpuE8ELNS1_3repE0EEENS1_47radix_sort_onesweep_sort_config_static_selectorELNS0_4arch9wavefront6targetE0EEEvSH_
		.amdhsa_group_segment_fixed_size 0
		.amdhsa_private_segment_fixed_size 0
		.amdhsa_kernarg_size 88
		.amdhsa_user_sgpr_count 6
		.amdhsa_user_sgpr_private_segment_buffer 1
		.amdhsa_user_sgpr_dispatch_ptr 0
		.amdhsa_user_sgpr_queue_ptr 0
		.amdhsa_user_sgpr_kernarg_segment_ptr 1
		.amdhsa_user_sgpr_dispatch_id 0
		.amdhsa_user_sgpr_flat_scratch_init 0
		.amdhsa_user_sgpr_private_segment_size 0
		.amdhsa_wavefront_size32 1
		.amdhsa_uses_dynamic_stack 0
		.amdhsa_system_sgpr_private_segment_wavefront_offset 0
		.amdhsa_system_sgpr_workgroup_id_x 1
		.amdhsa_system_sgpr_workgroup_id_y 0
		.amdhsa_system_sgpr_workgroup_id_z 0
		.amdhsa_system_sgpr_workgroup_info 0
		.amdhsa_system_vgpr_workitem_id 0
		.amdhsa_next_free_vgpr 1
		.amdhsa_next_free_sgpr 1
		.amdhsa_reserve_vcc 0
		.amdhsa_reserve_flat_scratch 0
		.amdhsa_float_round_mode_32 0
		.amdhsa_float_round_mode_16_64 0
		.amdhsa_float_denorm_mode_32 3
		.amdhsa_float_denorm_mode_16_64 3
		.amdhsa_dx10_clamp 1
		.amdhsa_ieee_mode 1
		.amdhsa_fp16_overflow 0
		.amdhsa_workgroup_processor_mode 1
		.amdhsa_memory_ordered 1
		.amdhsa_forward_progress 1
		.amdhsa_shared_vgpr_count 0
		.amdhsa_exception_fp_ieee_invalid_op 0
		.amdhsa_exception_fp_denorm_src 0
		.amdhsa_exception_fp_ieee_div_zero 0
		.amdhsa_exception_fp_ieee_overflow 0
		.amdhsa_exception_fp_ieee_underflow 0
		.amdhsa_exception_fp_ieee_inexact 0
		.amdhsa_exception_int_div_zero 0
	.end_amdhsa_kernel
	.section	.text._ZN7rocprim17ROCPRIM_400000_NS6detail17trampoline_kernelINS0_14default_configENS1_35radix_sort_onesweep_config_selectorIiNS0_10empty_typeEEEZZNS1_29radix_sort_onesweep_iterationIS3_Lb0EN6thrust23THRUST_200600_302600_NS10device_ptrIiEESB_PS5_SC_jNS0_19identity_decomposerENS1_16block_id_wrapperIjLb1EEEEE10hipError_tT1_PNSt15iterator_traitsISH_E10value_typeET2_T3_PNSI_ISN_E10value_typeET4_T5_PSS_ST_PNS1_23onesweep_lookback_stateEbbT6_jjT7_P12ihipStream_tbENKUlT_T0_SH_SM_E_clIPiSB_SC_SC_EEDaS10_S11_SH_SM_EUlS10_E_NS1_11comp_targetILNS1_3genE4ELNS1_11target_archE910ELNS1_3gpuE8ELNS1_3repE0EEENS1_47radix_sort_onesweep_sort_config_static_selectorELNS0_4arch9wavefront6targetE0EEEvSH_,"axG",@progbits,_ZN7rocprim17ROCPRIM_400000_NS6detail17trampoline_kernelINS0_14default_configENS1_35radix_sort_onesweep_config_selectorIiNS0_10empty_typeEEEZZNS1_29radix_sort_onesweep_iterationIS3_Lb0EN6thrust23THRUST_200600_302600_NS10device_ptrIiEESB_PS5_SC_jNS0_19identity_decomposerENS1_16block_id_wrapperIjLb1EEEEE10hipError_tT1_PNSt15iterator_traitsISH_E10value_typeET2_T3_PNSI_ISN_E10value_typeET4_T5_PSS_ST_PNS1_23onesweep_lookback_stateEbbT6_jjT7_P12ihipStream_tbENKUlT_T0_SH_SM_E_clIPiSB_SC_SC_EEDaS10_S11_SH_SM_EUlS10_E_NS1_11comp_targetILNS1_3genE4ELNS1_11target_archE910ELNS1_3gpuE8ELNS1_3repE0EEENS1_47radix_sort_onesweep_sort_config_static_selectorELNS0_4arch9wavefront6targetE0EEEvSH_,comdat
.Lfunc_end1266:
	.size	_ZN7rocprim17ROCPRIM_400000_NS6detail17trampoline_kernelINS0_14default_configENS1_35radix_sort_onesweep_config_selectorIiNS0_10empty_typeEEEZZNS1_29radix_sort_onesweep_iterationIS3_Lb0EN6thrust23THRUST_200600_302600_NS10device_ptrIiEESB_PS5_SC_jNS0_19identity_decomposerENS1_16block_id_wrapperIjLb1EEEEE10hipError_tT1_PNSt15iterator_traitsISH_E10value_typeET2_T3_PNSI_ISN_E10value_typeET4_T5_PSS_ST_PNS1_23onesweep_lookback_stateEbbT6_jjT7_P12ihipStream_tbENKUlT_T0_SH_SM_E_clIPiSB_SC_SC_EEDaS10_S11_SH_SM_EUlS10_E_NS1_11comp_targetILNS1_3genE4ELNS1_11target_archE910ELNS1_3gpuE8ELNS1_3repE0EEENS1_47radix_sort_onesweep_sort_config_static_selectorELNS0_4arch9wavefront6targetE0EEEvSH_, .Lfunc_end1266-_ZN7rocprim17ROCPRIM_400000_NS6detail17trampoline_kernelINS0_14default_configENS1_35radix_sort_onesweep_config_selectorIiNS0_10empty_typeEEEZZNS1_29radix_sort_onesweep_iterationIS3_Lb0EN6thrust23THRUST_200600_302600_NS10device_ptrIiEESB_PS5_SC_jNS0_19identity_decomposerENS1_16block_id_wrapperIjLb1EEEEE10hipError_tT1_PNSt15iterator_traitsISH_E10value_typeET2_T3_PNSI_ISN_E10value_typeET4_T5_PSS_ST_PNS1_23onesweep_lookback_stateEbbT6_jjT7_P12ihipStream_tbENKUlT_T0_SH_SM_E_clIPiSB_SC_SC_EEDaS10_S11_SH_SM_EUlS10_E_NS1_11comp_targetILNS1_3genE4ELNS1_11target_archE910ELNS1_3gpuE8ELNS1_3repE0EEENS1_47radix_sort_onesweep_sort_config_static_selectorELNS0_4arch9wavefront6targetE0EEEvSH_
                                        ; -- End function
	.set _ZN7rocprim17ROCPRIM_400000_NS6detail17trampoline_kernelINS0_14default_configENS1_35radix_sort_onesweep_config_selectorIiNS0_10empty_typeEEEZZNS1_29radix_sort_onesweep_iterationIS3_Lb0EN6thrust23THRUST_200600_302600_NS10device_ptrIiEESB_PS5_SC_jNS0_19identity_decomposerENS1_16block_id_wrapperIjLb1EEEEE10hipError_tT1_PNSt15iterator_traitsISH_E10value_typeET2_T3_PNSI_ISN_E10value_typeET4_T5_PSS_ST_PNS1_23onesweep_lookback_stateEbbT6_jjT7_P12ihipStream_tbENKUlT_T0_SH_SM_E_clIPiSB_SC_SC_EEDaS10_S11_SH_SM_EUlS10_E_NS1_11comp_targetILNS1_3genE4ELNS1_11target_archE910ELNS1_3gpuE8ELNS1_3repE0EEENS1_47radix_sort_onesweep_sort_config_static_selectorELNS0_4arch9wavefront6targetE0EEEvSH_.num_vgpr, 0
	.set _ZN7rocprim17ROCPRIM_400000_NS6detail17trampoline_kernelINS0_14default_configENS1_35radix_sort_onesweep_config_selectorIiNS0_10empty_typeEEEZZNS1_29radix_sort_onesweep_iterationIS3_Lb0EN6thrust23THRUST_200600_302600_NS10device_ptrIiEESB_PS5_SC_jNS0_19identity_decomposerENS1_16block_id_wrapperIjLb1EEEEE10hipError_tT1_PNSt15iterator_traitsISH_E10value_typeET2_T3_PNSI_ISN_E10value_typeET4_T5_PSS_ST_PNS1_23onesweep_lookback_stateEbbT6_jjT7_P12ihipStream_tbENKUlT_T0_SH_SM_E_clIPiSB_SC_SC_EEDaS10_S11_SH_SM_EUlS10_E_NS1_11comp_targetILNS1_3genE4ELNS1_11target_archE910ELNS1_3gpuE8ELNS1_3repE0EEENS1_47radix_sort_onesweep_sort_config_static_selectorELNS0_4arch9wavefront6targetE0EEEvSH_.num_agpr, 0
	.set _ZN7rocprim17ROCPRIM_400000_NS6detail17trampoline_kernelINS0_14default_configENS1_35radix_sort_onesweep_config_selectorIiNS0_10empty_typeEEEZZNS1_29radix_sort_onesweep_iterationIS3_Lb0EN6thrust23THRUST_200600_302600_NS10device_ptrIiEESB_PS5_SC_jNS0_19identity_decomposerENS1_16block_id_wrapperIjLb1EEEEE10hipError_tT1_PNSt15iterator_traitsISH_E10value_typeET2_T3_PNSI_ISN_E10value_typeET4_T5_PSS_ST_PNS1_23onesweep_lookback_stateEbbT6_jjT7_P12ihipStream_tbENKUlT_T0_SH_SM_E_clIPiSB_SC_SC_EEDaS10_S11_SH_SM_EUlS10_E_NS1_11comp_targetILNS1_3genE4ELNS1_11target_archE910ELNS1_3gpuE8ELNS1_3repE0EEENS1_47radix_sort_onesweep_sort_config_static_selectorELNS0_4arch9wavefront6targetE0EEEvSH_.numbered_sgpr, 0
	.set _ZN7rocprim17ROCPRIM_400000_NS6detail17trampoline_kernelINS0_14default_configENS1_35radix_sort_onesweep_config_selectorIiNS0_10empty_typeEEEZZNS1_29radix_sort_onesweep_iterationIS3_Lb0EN6thrust23THRUST_200600_302600_NS10device_ptrIiEESB_PS5_SC_jNS0_19identity_decomposerENS1_16block_id_wrapperIjLb1EEEEE10hipError_tT1_PNSt15iterator_traitsISH_E10value_typeET2_T3_PNSI_ISN_E10value_typeET4_T5_PSS_ST_PNS1_23onesweep_lookback_stateEbbT6_jjT7_P12ihipStream_tbENKUlT_T0_SH_SM_E_clIPiSB_SC_SC_EEDaS10_S11_SH_SM_EUlS10_E_NS1_11comp_targetILNS1_3genE4ELNS1_11target_archE910ELNS1_3gpuE8ELNS1_3repE0EEENS1_47radix_sort_onesweep_sort_config_static_selectorELNS0_4arch9wavefront6targetE0EEEvSH_.num_named_barrier, 0
	.set _ZN7rocprim17ROCPRIM_400000_NS6detail17trampoline_kernelINS0_14default_configENS1_35radix_sort_onesweep_config_selectorIiNS0_10empty_typeEEEZZNS1_29radix_sort_onesweep_iterationIS3_Lb0EN6thrust23THRUST_200600_302600_NS10device_ptrIiEESB_PS5_SC_jNS0_19identity_decomposerENS1_16block_id_wrapperIjLb1EEEEE10hipError_tT1_PNSt15iterator_traitsISH_E10value_typeET2_T3_PNSI_ISN_E10value_typeET4_T5_PSS_ST_PNS1_23onesweep_lookback_stateEbbT6_jjT7_P12ihipStream_tbENKUlT_T0_SH_SM_E_clIPiSB_SC_SC_EEDaS10_S11_SH_SM_EUlS10_E_NS1_11comp_targetILNS1_3genE4ELNS1_11target_archE910ELNS1_3gpuE8ELNS1_3repE0EEENS1_47radix_sort_onesweep_sort_config_static_selectorELNS0_4arch9wavefront6targetE0EEEvSH_.private_seg_size, 0
	.set _ZN7rocprim17ROCPRIM_400000_NS6detail17trampoline_kernelINS0_14default_configENS1_35radix_sort_onesweep_config_selectorIiNS0_10empty_typeEEEZZNS1_29radix_sort_onesweep_iterationIS3_Lb0EN6thrust23THRUST_200600_302600_NS10device_ptrIiEESB_PS5_SC_jNS0_19identity_decomposerENS1_16block_id_wrapperIjLb1EEEEE10hipError_tT1_PNSt15iterator_traitsISH_E10value_typeET2_T3_PNSI_ISN_E10value_typeET4_T5_PSS_ST_PNS1_23onesweep_lookback_stateEbbT6_jjT7_P12ihipStream_tbENKUlT_T0_SH_SM_E_clIPiSB_SC_SC_EEDaS10_S11_SH_SM_EUlS10_E_NS1_11comp_targetILNS1_3genE4ELNS1_11target_archE910ELNS1_3gpuE8ELNS1_3repE0EEENS1_47radix_sort_onesweep_sort_config_static_selectorELNS0_4arch9wavefront6targetE0EEEvSH_.uses_vcc, 0
	.set _ZN7rocprim17ROCPRIM_400000_NS6detail17trampoline_kernelINS0_14default_configENS1_35radix_sort_onesweep_config_selectorIiNS0_10empty_typeEEEZZNS1_29radix_sort_onesweep_iterationIS3_Lb0EN6thrust23THRUST_200600_302600_NS10device_ptrIiEESB_PS5_SC_jNS0_19identity_decomposerENS1_16block_id_wrapperIjLb1EEEEE10hipError_tT1_PNSt15iterator_traitsISH_E10value_typeET2_T3_PNSI_ISN_E10value_typeET4_T5_PSS_ST_PNS1_23onesweep_lookback_stateEbbT6_jjT7_P12ihipStream_tbENKUlT_T0_SH_SM_E_clIPiSB_SC_SC_EEDaS10_S11_SH_SM_EUlS10_E_NS1_11comp_targetILNS1_3genE4ELNS1_11target_archE910ELNS1_3gpuE8ELNS1_3repE0EEENS1_47radix_sort_onesweep_sort_config_static_selectorELNS0_4arch9wavefront6targetE0EEEvSH_.uses_flat_scratch, 0
	.set _ZN7rocprim17ROCPRIM_400000_NS6detail17trampoline_kernelINS0_14default_configENS1_35radix_sort_onesweep_config_selectorIiNS0_10empty_typeEEEZZNS1_29radix_sort_onesweep_iterationIS3_Lb0EN6thrust23THRUST_200600_302600_NS10device_ptrIiEESB_PS5_SC_jNS0_19identity_decomposerENS1_16block_id_wrapperIjLb1EEEEE10hipError_tT1_PNSt15iterator_traitsISH_E10value_typeET2_T3_PNSI_ISN_E10value_typeET4_T5_PSS_ST_PNS1_23onesweep_lookback_stateEbbT6_jjT7_P12ihipStream_tbENKUlT_T0_SH_SM_E_clIPiSB_SC_SC_EEDaS10_S11_SH_SM_EUlS10_E_NS1_11comp_targetILNS1_3genE4ELNS1_11target_archE910ELNS1_3gpuE8ELNS1_3repE0EEENS1_47radix_sort_onesweep_sort_config_static_selectorELNS0_4arch9wavefront6targetE0EEEvSH_.has_dyn_sized_stack, 0
	.set _ZN7rocprim17ROCPRIM_400000_NS6detail17trampoline_kernelINS0_14default_configENS1_35radix_sort_onesweep_config_selectorIiNS0_10empty_typeEEEZZNS1_29radix_sort_onesweep_iterationIS3_Lb0EN6thrust23THRUST_200600_302600_NS10device_ptrIiEESB_PS5_SC_jNS0_19identity_decomposerENS1_16block_id_wrapperIjLb1EEEEE10hipError_tT1_PNSt15iterator_traitsISH_E10value_typeET2_T3_PNSI_ISN_E10value_typeET4_T5_PSS_ST_PNS1_23onesweep_lookback_stateEbbT6_jjT7_P12ihipStream_tbENKUlT_T0_SH_SM_E_clIPiSB_SC_SC_EEDaS10_S11_SH_SM_EUlS10_E_NS1_11comp_targetILNS1_3genE4ELNS1_11target_archE910ELNS1_3gpuE8ELNS1_3repE0EEENS1_47radix_sort_onesweep_sort_config_static_selectorELNS0_4arch9wavefront6targetE0EEEvSH_.has_recursion, 0
	.set _ZN7rocprim17ROCPRIM_400000_NS6detail17trampoline_kernelINS0_14default_configENS1_35radix_sort_onesweep_config_selectorIiNS0_10empty_typeEEEZZNS1_29radix_sort_onesweep_iterationIS3_Lb0EN6thrust23THRUST_200600_302600_NS10device_ptrIiEESB_PS5_SC_jNS0_19identity_decomposerENS1_16block_id_wrapperIjLb1EEEEE10hipError_tT1_PNSt15iterator_traitsISH_E10value_typeET2_T3_PNSI_ISN_E10value_typeET4_T5_PSS_ST_PNS1_23onesweep_lookback_stateEbbT6_jjT7_P12ihipStream_tbENKUlT_T0_SH_SM_E_clIPiSB_SC_SC_EEDaS10_S11_SH_SM_EUlS10_E_NS1_11comp_targetILNS1_3genE4ELNS1_11target_archE910ELNS1_3gpuE8ELNS1_3repE0EEENS1_47radix_sort_onesweep_sort_config_static_selectorELNS0_4arch9wavefront6targetE0EEEvSH_.has_indirect_call, 0
	.section	.AMDGPU.csdata,"",@progbits
; Kernel info:
; codeLenInByte = 0
; TotalNumSgprs: 0
; NumVgprs: 0
; ScratchSize: 0
; MemoryBound: 0
; FloatMode: 240
; IeeeMode: 1
; LDSByteSize: 0 bytes/workgroup (compile time only)
; SGPRBlocks: 0
; VGPRBlocks: 0
; NumSGPRsForWavesPerEU: 1
; NumVGPRsForWavesPerEU: 1
; Occupancy: 16
; WaveLimiterHint : 0
; COMPUTE_PGM_RSRC2:SCRATCH_EN: 0
; COMPUTE_PGM_RSRC2:USER_SGPR: 6
; COMPUTE_PGM_RSRC2:TRAP_HANDLER: 0
; COMPUTE_PGM_RSRC2:TGID_X_EN: 1
; COMPUTE_PGM_RSRC2:TGID_Y_EN: 0
; COMPUTE_PGM_RSRC2:TGID_Z_EN: 0
; COMPUTE_PGM_RSRC2:TIDIG_COMP_CNT: 0
	.section	.text._ZN7rocprim17ROCPRIM_400000_NS6detail17trampoline_kernelINS0_14default_configENS1_35radix_sort_onesweep_config_selectorIiNS0_10empty_typeEEEZZNS1_29radix_sort_onesweep_iterationIS3_Lb0EN6thrust23THRUST_200600_302600_NS10device_ptrIiEESB_PS5_SC_jNS0_19identity_decomposerENS1_16block_id_wrapperIjLb1EEEEE10hipError_tT1_PNSt15iterator_traitsISH_E10value_typeET2_T3_PNSI_ISN_E10value_typeET4_T5_PSS_ST_PNS1_23onesweep_lookback_stateEbbT6_jjT7_P12ihipStream_tbENKUlT_T0_SH_SM_E_clIPiSB_SC_SC_EEDaS10_S11_SH_SM_EUlS10_E_NS1_11comp_targetILNS1_3genE3ELNS1_11target_archE908ELNS1_3gpuE7ELNS1_3repE0EEENS1_47radix_sort_onesweep_sort_config_static_selectorELNS0_4arch9wavefront6targetE0EEEvSH_,"axG",@progbits,_ZN7rocprim17ROCPRIM_400000_NS6detail17trampoline_kernelINS0_14default_configENS1_35radix_sort_onesweep_config_selectorIiNS0_10empty_typeEEEZZNS1_29radix_sort_onesweep_iterationIS3_Lb0EN6thrust23THRUST_200600_302600_NS10device_ptrIiEESB_PS5_SC_jNS0_19identity_decomposerENS1_16block_id_wrapperIjLb1EEEEE10hipError_tT1_PNSt15iterator_traitsISH_E10value_typeET2_T3_PNSI_ISN_E10value_typeET4_T5_PSS_ST_PNS1_23onesweep_lookback_stateEbbT6_jjT7_P12ihipStream_tbENKUlT_T0_SH_SM_E_clIPiSB_SC_SC_EEDaS10_S11_SH_SM_EUlS10_E_NS1_11comp_targetILNS1_3genE3ELNS1_11target_archE908ELNS1_3gpuE7ELNS1_3repE0EEENS1_47radix_sort_onesweep_sort_config_static_selectorELNS0_4arch9wavefront6targetE0EEEvSH_,comdat
	.protected	_ZN7rocprim17ROCPRIM_400000_NS6detail17trampoline_kernelINS0_14default_configENS1_35radix_sort_onesweep_config_selectorIiNS0_10empty_typeEEEZZNS1_29radix_sort_onesweep_iterationIS3_Lb0EN6thrust23THRUST_200600_302600_NS10device_ptrIiEESB_PS5_SC_jNS0_19identity_decomposerENS1_16block_id_wrapperIjLb1EEEEE10hipError_tT1_PNSt15iterator_traitsISH_E10value_typeET2_T3_PNSI_ISN_E10value_typeET4_T5_PSS_ST_PNS1_23onesweep_lookback_stateEbbT6_jjT7_P12ihipStream_tbENKUlT_T0_SH_SM_E_clIPiSB_SC_SC_EEDaS10_S11_SH_SM_EUlS10_E_NS1_11comp_targetILNS1_3genE3ELNS1_11target_archE908ELNS1_3gpuE7ELNS1_3repE0EEENS1_47radix_sort_onesweep_sort_config_static_selectorELNS0_4arch9wavefront6targetE0EEEvSH_ ; -- Begin function _ZN7rocprim17ROCPRIM_400000_NS6detail17trampoline_kernelINS0_14default_configENS1_35radix_sort_onesweep_config_selectorIiNS0_10empty_typeEEEZZNS1_29radix_sort_onesweep_iterationIS3_Lb0EN6thrust23THRUST_200600_302600_NS10device_ptrIiEESB_PS5_SC_jNS0_19identity_decomposerENS1_16block_id_wrapperIjLb1EEEEE10hipError_tT1_PNSt15iterator_traitsISH_E10value_typeET2_T3_PNSI_ISN_E10value_typeET4_T5_PSS_ST_PNS1_23onesweep_lookback_stateEbbT6_jjT7_P12ihipStream_tbENKUlT_T0_SH_SM_E_clIPiSB_SC_SC_EEDaS10_S11_SH_SM_EUlS10_E_NS1_11comp_targetILNS1_3genE3ELNS1_11target_archE908ELNS1_3gpuE7ELNS1_3repE0EEENS1_47radix_sort_onesweep_sort_config_static_selectorELNS0_4arch9wavefront6targetE0EEEvSH_
	.globl	_ZN7rocprim17ROCPRIM_400000_NS6detail17trampoline_kernelINS0_14default_configENS1_35radix_sort_onesweep_config_selectorIiNS0_10empty_typeEEEZZNS1_29radix_sort_onesweep_iterationIS3_Lb0EN6thrust23THRUST_200600_302600_NS10device_ptrIiEESB_PS5_SC_jNS0_19identity_decomposerENS1_16block_id_wrapperIjLb1EEEEE10hipError_tT1_PNSt15iterator_traitsISH_E10value_typeET2_T3_PNSI_ISN_E10value_typeET4_T5_PSS_ST_PNS1_23onesweep_lookback_stateEbbT6_jjT7_P12ihipStream_tbENKUlT_T0_SH_SM_E_clIPiSB_SC_SC_EEDaS10_S11_SH_SM_EUlS10_E_NS1_11comp_targetILNS1_3genE3ELNS1_11target_archE908ELNS1_3gpuE7ELNS1_3repE0EEENS1_47radix_sort_onesweep_sort_config_static_selectorELNS0_4arch9wavefront6targetE0EEEvSH_
	.p2align	8
	.type	_ZN7rocprim17ROCPRIM_400000_NS6detail17trampoline_kernelINS0_14default_configENS1_35radix_sort_onesweep_config_selectorIiNS0_10empty_typeEEEZZNS1_29radix_sort_onesweep_iterationIS3_Lb0EN6thrust23THRUST_200600_302600_NS10device_ptrIiEESB_PS5_SC_jNS0_19identity_decomposerENS1_16block_id_wrapperIjLb1EEEEE10hipError_tT1_PNSt15iterator_traitsISH_E10value_typeET2_T3_PNSI_ISN_E10value_typeET4_T5_PSS_ST_PNS1_23onesweep_lookback_stateEbbT6_jjT7_P12ihipStream_tbENKUlT_T0_SH_SM_E_clIPiSB_SC_SC_EEDaS10_S11_SH_SM_EUlS10_E_NS1_11comp_targetILNS1_3genE3ELNS1_11target_archE908ELNS1_3gpuE7ELNS1_3repE0EEENS1_47radix_sort_onesweep_sort_config_static_selectorELNS0_4arch9wavefront6targetE0EEEvSH_,@function
_ZN7rocprim17ROCPRIM_400000_NS6detail17trampoline_kernelINS0_14default_configENS1_35radix_sort_onesweep_config_selectorIiNS0_10empty_typeEEEZZNS1_29radix_sort_onesweep_iterationIS3_Lb0EN6thrust23THRUST_200600_302600_NS10device_ptrIiEESB_PS5_SC_jNS0_19identity_decomposerENS1_16block_id_wrapperIjLb1EEEEE10hipError_tT1_PNSt15iterator_traitsISH_E10value_typeET2_T3_PNSI_ISN_E10value_typeET4_T5_PSS_ST_PNS1_23onesweep_lookback_stateEbbT6_jjT7_P12ihipStream_tbENKUlT_T0_SH_SM_E_clIPiSB_SC_SC_EEDaS10_S11_SH_SM_EUlS10_E_NS1_11comp_targetILNS1_3genE3ELNS1_11target_archE908ELNS1_3gpuE7ELNS1_3repE0EEENS1_47radix_sort_onesweep_sort_config_static_selectorELNS0_4arch9wavefront6targetE0EEEvSH_: ; @_ZN7rocprim17ROCPRIM_400000_NS6detail17trampoline_kernelINS0_14default_configENS1_35radix_sort_onesweep_config_selectorIiNS0_10empty_typeEEEZZNS1_29radix_sort_onesweep_iterationIS3_Lb0EN6thrust23THRUST_200600_302600_NS10device_ptrIiEESB_PS5_SC_jNS0_19identity_decomposerENS1_16block_id_wrapperIjLb1EEEEE10hipError_tT1_PNSt15iterator_traitsISH_E10value_typeET2_T3_PNSI_ISN_E10value_typeET4_T5_PSS_ST_PNS1_23onesweep_lookback_stateEbbT6_jjT7_P12ihipStream_tbENKUlT_T0_SH_SM_E_clIPiSB_SC_SC_EEDaS10_S11_SH_SM_EUlS10_E_NS1_11comp_targetILNS1_3genE3ELNS1_11target_archE908ELNS1_3gpuE7ELNS1_3repE0EEENS1_47radix_sort_onesweep_sort_config_static_selectorELNS0_4arch9wavefront6targetE0EEEvSH_
; %bb.0:
	.section	.rodata,"a",@progbits
	.p2align	6, 0x0
	.amdhsa_kernel _ZN7rocprim17ROCPRIM_400000_NS6detail17trampoline_kernelINS0_14default_configENS1_35radix_sort_onesweep_config_selectorIiNS0_10empty_typeEEEZZNS1_29radix_sort_onesweep_iterationIS3_Lb0EN6thrust23THRUST_200600_302600_NS10device_ptrIiEESB_PS5_SC_jNS0_19identity_decomposerENS1_16block_id_wrapperIjLb1EEEEE10hipError_tT1_PNSt15iterator_traitsISH_E10value_typeET2_T3_PNSI_ISN_E10value_typeET4_T5_PSS_ST_PNS1_23onesweep_lookback_stateEbbT6_jjT7_P12ihipStream_tbENKUlT_T0_SH_SM_E_clIPiSB_SC_SC_EEDaS10_S11_SH_SM_EUlS10_E_NS1_11comp_targetILNS1_3genE3ELNS1_11target_archE908ELNS1_3gpuE7ELNS1_3repE0EEENS1_47radix_sort_onesweep_sort_config_static_selectorELNS0_4arch9wavefront6targetE0EEEvSH_
		.amdhsa_group_segment_fixed_size 0
		.amdhsa_private_segment_fixed_size 0
		.amdhsa_kernarg_size 88
		.amdhsa_user_sgpr_count 6
		.amdhsa_user_sgpr_private_segment_buffer 1
		.amdhsa_user_sgpr_dispatch_ptr 0
		.amdhsa_user_sgpr_queue_ptr 0
		.amdhsa_user_sgpr_kernarg_segment_ptr 1
		.amdhsa_user_sgpr_dispatch_id 0
		.amdhsa_user_sgpr_flat_scratch_init 0
		.amdhsa_user_sgpr_private_segment_size 0
		.amdhsa_wavefront_size32 1
		.amdhsa_uses_dynamic_stack 0
		.amdhsa_system_sgpr_private_segment_wavefront_offset 0
		.amdhsa_system_sgpr_workgroup_id_x 1
		.amdhsa_system_sgpr_workgroup_id_y 0
		.amdhsa_system_sgpr_workgroup_id_z 0
		.amdhsa_system_sgpr_workgroup_info 0
		.amdhsa_system_vgpr_workitem_id 0
		.amdhsa_next_free_vgpr 1
		.amdhsa_next_free_sgpr 1
		.amdhsa_reserve_vcc 0
		.amdhsa_reserve_flat_scratch 0
		.amdhsa_float_round_mode_32 0
		.amdhsa_float_round_mode_16_64 0
		.amdhsa_float_denorm_mode_32 3
		.amdhsa_float_denorm_mode_16_64 3
		.amdhsa_dx10_clamp 1
		.amdhsa_ieee_mode 1
		.amdhsa_fp16_overflow 0
		.amdhsa_workgroup_processor_mode 1
		.amdhsa_memory_ordered 1
		.amdhsa_forward_progress 1
		.amdhsa_shared_vgpr_count 0
		.amdhsa_exception_fp_ieee_invalid_op 0
		.amdhsa_exception_fp_denorm_src 0
		.amdhsa_exception_fp_ieee_div_zero 0
		.amdhsa_exception_fp_ieee_overflow 0
		.amdhsa_exception_fp_ieee_underflow 0
		.amdhsa_exception_fp_ieee_inexact 0
		.amdhsa_exception_int_div_zero 0
	.end_amdhsa_kernel
	.section	.text._ZN7rocprim17ROCPRIM_400000_NS6detail17trampoline_kernelINS0_14default_configENS1_35radix_sort_onesweep_config_selectorIiNS0_10empty_typeEEEZZNS1_29radix_sort_onesweep_iterationIS3_Lb0EN6thrust23THRUST_200600_302600_NS10device_ptrIiEESB_PS5_SC_jNS0_19identity_decomposerENS1_16block_id_wrapperIjLb1EEEEE10hipError_tT1_PNSt15iterator_traitsISH_E10value_typeET2_T3_PNSI_ISN_E10value_typeET4_T5_PSS_ST_PNS1_23onesweep_lookback_stateEbbT6_jjT7_P12ihipStream_tbENKUlT_T0_SH_SM_E_clIPiSB_SC_SC_EEDaS10_S11_SH_SM_EUlS10_E_NS1_11comp_targetILNS1_3genE3ELNS1_11target_archE908ELNS1_3gpuE7ELNS1_3repE0EEENS1_47radix_sort_onesweep_sort_config_static_selectorELNS0_4arch9wavefront6targetE0EEEvSH_,"axG",@progbits,_ZN7rocprim17ROCPRIM_400000_NS6detail17trampoline_kernelINS0_14default_configENS1_35radix_sort_onesweep_config_selectorIiNS0_10empty_typeEEEZZNS1_29radix_sort_onesweep_iterationIS3_Lb0EN6thrust23THRUST_200600_302600_NS10device_ptrIiEESB_PS5_SC_jNS0_19identity_decomposerENS1_16block_id_wrapperIjLb1EEEEE10hipError_tT1_PNSt15iterator_traitsISH_E10value_typeET2_T3_PNSI_ISN_E10value_typeET4_T5_PSS_ST_PNS1_23onesweep_lookback_stateEbbT6_jjT7_P12ihipStream_tbENKUlT_T0_SH_SM_E_clIPiSB_SC_SC_EEDaS10_S11_SH_SM_EUlS10_E_NS1_11comp_targetILNS1_3genE3ELNS1_11target_archE908ELNS1_3gpuE7ELNS1_3repE0EEENS1_47radix_sort_onesweep_sort_config_static_selectorELNS0_4arch9wavefront6targetE0EEEvSH_,comdat
.Lfunc_end1267:
	.size	_ZN7rocprim17ROCPRIM_400000_NS6detail17trampoline_kernelINS0_14default_configENS1_35radix_sort_onesweep_config_selectorIiNS0_10empty_typeEEEZZNS1_29radix_sort_onesweep_iterationIS3_Lb0EN6thrust23THRUST_200600_302600_NS10device_ptrIiEESB_PS5_SC_jNS0_19identity_decomposerENS1_16block_id_wrapperIjLb1EEEEE10hipError_tT1_PNSt15iterator_traitsISH_E10value_typeET2_T3_PNSI_ISN_E10value_typeET4_T5_PSS_ST_PNS1_23onesweep_lookback_stateEbbT6_jjT7_P12ihipStream_tbENKUlT_T0_SH_SM_E_clIPiSB_SC_SC_EEDaS10_S11_SH_SM_EUlS10_E_NS1_11comp_targetILNS1_3genE3ELNS1_11target_archE908ELNS1_3gpuE7ELNS1_3repE0EEENS1_47radix_sort_onesweep_sort_config_static_selectorELNS0_4arch9wavefront6targetE0EEEvSH_, .Lfunc_end1267-_ZN7rocprim17ROCPRIM_400000_NS6detail17trampoline_kernelINS0_14default_configENS1_35radix_sort_onesweep_config_selectorIiNS0_10empty_typeEEEZZNS1_29radix_sort_onesweep_iterationIS3_Lb0EN6thrust23THRUST_200600_302600_NS10device_ptrIiEESB_PS5_SC_jNS0_19identity_decomposerENS1_16block_id_wrapperIjLb1EEEEE10hipError_tT1_PNSt15iterator_traitsISH_E10value_typeET2_T3_PNSI_ISN_E10value_typeET4_T5_PSS_ST_PNS1_23onesweep_lookback_stateEbbT6_jjT7_P12ihipStream_tbENKUlT_T0_SH_SM_E_clIPiSB_SC_SC_EEDaS10_S11_SH_SM_EUlS10_E_NS1_11comp_targetILNS1_3genE3ELNS1_11target_archE908ELNS1_3gpuE7ELNS1_3repE0EEENS1_47radix_sort_onesweep_sort_config_static_selectorELNS0_4arch9wavefront6targetE0EEEvSH_
                                        ; -- End function
	.set _ZN7rocprim17ROCPRIM_400000_NS6detail17trampoline_kernelINS0_14default_configENS1_35radix_sort_onesweep_config_selectorIiNS0_10empty_typeEEEZZNS1_29radix_sort_onesweep_iterationIS3_Lb0EN6thrust23THRUST_200600_302600_NS10device_ptrIiEESB_PS5_SC_jNS0_19identity_decomposerENS1_16block_id_wrapperIjLb1EEEEE10hipError_tT1_PNSt15iterator_traitsISH_E10value_typeET2_T3_PNSI_ISN_E10value_typeET4_T5_PSS_ST_PNS1_23onesweep_lookback_stateEbbT6_jjT7_P12ihipStream_tbENKUlT_T0_SH_SM_E_clIPiSB_SC_SC_EEDaS10_S11_SH_SM_EUlS10_E_NS1_11comp_targetILNS1_3genE3ELNS1_11target_archE908ELNS1_3gpuE7ELNS1_3repE0EEENS1_47radix_sort_onesweep_sort_config_static_selectorELNS0_4arch9wavefront6targetE0EEEvSH_.num_vgpr, 0
	.set _ZN7rocprim17ROCPRIM_400000_NS6detail17trampoline_kernelINS0_14default_configENS1_35radix_sort_onesweep_config_selectorIiNS0_10empty_typeEEEZZNS1_29radix_sort_onesweep_iterationIS3_Lb0EN6thrust23THRUST_200600_302600_NS10device_ptrIiEESB_PS5_SC_jNS0_19identity_decomposerENS1_16block_id_wrapperIjLb1EEEEE10hipError_tT1_PNSt15iterator_traitsISH_E10value_typeET2_T3_PNSI_ISN_E10value_typeET4_T5_PSS_ST_PNS1_23onesweep_lookback_stateEbbT6_jjT7_P12ihipStream_tbENKUlT_T0_SH_SM_E_clIPiSB_SC_SC_EEDaS10_S11_SH_SM_EUlS10_E_NS1_11comp_targetILNS1_3genE3ELNS1_11target_archE908ELNS1_3gpuE7ELNS1_3repE0EEENS1_47radix_sort_onesweep_sort_config_static_selectorELNS0_4arch9wavefront6targetE0EEEvSH_.num_agpr, 0
	.set _ZN7rocprim17ROCPRIM_400000_NS6detail17trampoline_kernelINS0_14default_configENS1_35radix_sort_onesweep_config_selectorIiNS0_10empty_typeEEEZZNS1_29radix_sort_onesweep_iterationIS3_Lb0EN6thrust23THRUST_200600_302600_NS10device_ptrIiEESB_PS5_SC_jNS0_19identity_decomposerENS1_16block_id_wrapperIjLb1EEEEE10hipError_tT1_PNSt15iterator_traitsISH_E10value_typeET2_T3_PNSI_ISN_E10value_typeET4_T5_PSS_ST_PNS1_23onesweep_lookback_stateEbbT6_jjT7_P12ihipStream_tbENKUlT_T0_SH_SM_E_clIPiSB_SC_SC_EEDaS10_S11_SH_SM_EUlS10_E_NS1_11comp_targetILNS1_3genE3ELNS1_11target_archE908ELNS1_3gpuE7ELNS1_3repE0EEENS1_47radix_sort_onesweep_sort_config_static_selectorELNS0_4arch9wavefront6targetE0EEEvSH_.numbered_sgpr, 0
	.set _ZN7rocprim17ROCPRIM_400000_NS6detail17trampoline_kernelINS0_14default_configENS1_35radix_sort_onesweep_config_selectorIiNS0_10empty_typeEEEZZNS1_29radix_sort_onesweep_iterationIS3_Lb0EN6thrust23THRUST_200600_302600_NS10device_ptrIiEESB_PS5_SC_jNS0_19identity_decomposerENS1_16block_id_wrapperIjLb1EEEEE10hipError_tT1_PNSt15iterator_traitsISH_E10value_typeET2_T3_PNSI_ISN_E10value_typeET4_T5_PSS_ST_PNS1_23onesweep_lookback_stateEbbT6_jjT7_P12ihipStream_tbENKUlT_T0_SH_SM_E_clIPiSB_SC_SC_EEDaS10_S11_SH_SM_EUlS10_E_NS1_11comp_targetILNS1_3genE3ELNS1_11target_archE908ELNS1_3gpuE7ELNS1_3repE0EEENS1_47radix_sort_onesweep_sort_config_static_selectorELNS0_4arch9wavefront6targetE0EEEvSH_.num_named_barrier, 0
	.set _ZN7rocprim17ROCPRIM_400000_NS6detail17trampoline_kernelINS0_14default_configENS1_35radix_sort_onesweep_config_selectorIiNS0_10empty_typeEEEZZNS1_29radix_sort_onesweep_iterationIS3_Lb0EN6thrust23THRUST_200600_302600_NS10device_ptrIiEESB_PS5_SC_jNS0_19identity_decomposerENS1_16block_id_wrapperIjLb1EEEEE10hipError_tT1_PNSt15iterator_traitsISH_E10value_typeET2_T3_PNSI_ISN_E10value_typeET4_T5_PSS_ST_PNS1_23onesweep_lookback_stateEbbT6_jjT7_P12ihipStream_tbENKUlT_T0_SH_SM_E_clIPiSB_SC_SC_EEDaS10_S11_SH_SM_EUlS10_E_NS1_11comp_targetILNS1_3genE3ELNS1_11target_archE908ELNS1_3gpuE7ELNS1_3repE0EEENS1_47radix_sort_onesweep_sort_config_static_selectorELNS0_4arch9wavefront6targetE0EEEvSH_.private_seg_size, 0
	.set _ZN7rocprim17ROCPRIM_400000_NS6detail17trampoline_kernelINS0_14default_configENS1_35radix_sort_onesweep_config_selectorIiNS0_10empty_typeEEEZZNS1_29radix_sort_onesweep_iterationIS3_Lb0EN6thrust23THRUST_200600_302600_NS10device_ptrIiEESB_PS5_SC_jNS0_19identity_decomposerENS1_16block_id_wrapperIjLb1EEEEE10hipError_tT1_PNSt15iterator_traitsISH_E10value_typeET2_T3_PNSI_ISN_E10value_typeET4_T5_PSS_ST_PNS1_23onesweep_lookback_stateEbbT6_jjT7_P12ihipStream_tbENKUlT_T0_SH_SM_E_clIPiSB_SC_SC_EEDaS10_S11_SH_SM_EUlS10_E_NS1_11comp_targetILNS1_3genE3ELNS1_11target_archE908ELNS1_3gpuE7ELNS1_3repE0EEENS1_47radix_sort_onesweep_sort_config_static_selectorELNS0_4arch9wavefront6targetE0EEEvSH_.uses_vcc, 0
	.set _ZN7rocprim17ROCPRIM_400000_NS6detail17trampoline_kernelINS0_14default_configENS1_35radix_sort_onesweep_config_selectorIiNS0_10empty_typeEEEZZNS1_29radix_sort_onesweep_iterationIS3_Lb0EN6thrust23THRUST_200600_302600_NS10device_ptrIiEESB_PS5_SC_jNS0_19identity_decomposerENS1_16block_id_wrapperIjLb1EEEEE10hipError_tT1_PNSt15iterator_traitsISH_E10value_typeET2_T3_PNSI_ISN_E10value_typeET4_T5_PSS_ST_PNS1_23onesweep_lookback_stateEbbT6_jjT7_P12ihipStream_tbENKUlT_T0_SH_SM_E_clIPiSB_SC_SC_EEDaS10_S11_SH_SM_EUlS10_E_NS1_11comp_targetILNS1_3genE3ELNS1_11target_archE908ELNS1_3gpuE7ELNS1_3repE0EEENS1_47radix_sort_onesweep_sort_config_static_selectorELNS0_4arch9wavefront6targetE0EEEvSH_.uses_flat_scratch, 0
	.set _ZN7rocprim17ROCPRIM_400000_NS6detail17trampoline_kernelINS0_14default_configENS1_35radix_sort_onesweep_config_selectorIiNS0_10empty_typeEEEZZNS1_29radix_sort_onesweep_iterationIS3_Lb0EN6thrust23THRUST_200600_302600_NS10device_ptrIiEESB_PS5_SC_jNS0_19identity_decomposerENS1_16block_id_wrapperIjLb1EEEEE10hipError_tT1_PNSt15iterator_traitsISH_E10value_typeET2_T3_PNSI_ISN_E10value_typeET4_T5_PSS_ST_PNS1_23onesweep_lookback_stateEbbT6_jjT7_P12ihipStream_tbENKUlT_T0_SH_SM_E_clIPiSB_SC_SC_EEDaS10_S11_SH_SM_EUlS10_E_NS1_11comp_targetILNS1_3genE3ELNS1_11target_archE908ELNS1_3gpuE7ELNS1_3repE0EEENS1_47radix_sort_onesweep_sort_config_static_selectorELNS0_4arch9wavefront6targetE0EEEvSH_.has_dyn_sized_stack, 0
	.set _ZN7rocprim17ROCPRIM_400000_NS6detail17trampoline_kernelINS0_14default_configENS1_35radix_sort_onesweep_config_selectorIiNS0_10empty_typeEEEZZNS1_29radix_sort_onesweep_iterationIS3_Lb0EN6thrust23THRUST_200600_302600_NS10device_ptrIiEESB_PS5_SC_jNS0_19identity_decomposerENS1_16block_id_wrapperIjLb1EEEEE10hipError_tT1_PNSt15iterator_traitsISH_E10value_typeET2_T3_PNSI_ISN_E10value_typeET4_T5_PSS_ST_PNS1_23onesweep_lookback_stateEbbT6_jjT7_P12ihipStream_tbENKUlT_T0_SH_SM_E_clIPiSB_SC_SC_EEDaS10_S11_SH_SM_EUlS10_E_NS1_11comp_targetILNS1_3genE3ELNS1_11target_archE908ELNS1_3gpuE7ELNS1_3repE0EEENS1_47radix_sort_onesweep_sort_config_static_selectorELNS0_4arch9wavefront6targetE0EEEvSH_.has_recursion, 0
	.set _ZN7rocprim17ROCPRIM_400000_NS6detail17trampoline_kernelINS0_14default_configENS1_35radix_sort_onesweep_config_selectorIiNS0_10empty_typeEEEZZNS1_29radix_sort_onesweep_iterationIS3_Lb0EN6thrust23THRUST_200600_302600_NS10device_ptrIiEESB_PS5_SC_jNS0_19identity_decomposerENS1_16block_id_wrapperIjLb1EEEEE10hipError_tT1_PNSt15iterator_traitsISH_E10value_typeET2_T3_PNSI_ISN_E10value_typeET4_T5_PSS_ST_PNS1_23onesweep_lookback_stateEbbT6_jjT7_P12ihipStream_tbENKUlT_T0_SH_SM_E_clIPiSB_SC_SC_EEDaS10_S11_SH_SM_EUlS10_E_NS1_11comp_targetILNS1_3genE3ELNS1_11target_archE908ELNS1_3gpuE7ELNS1_3repE0EEENS1_47radix_sort_onesweep_sort_config_static_selectorELNS0_4arch9wavefront6targetE0EEEvSH_.has_indirect_call, 0
	.section	.AMDGPU.csdata,"",@progbits
; Kernel info:
; codeLenInByte = 0
; TotalNumSgprs: 0
; NumVgprs: 0
; ScratchSize: 0
; MemoryBound: 0
; FloatMode: 240
; IeeeMode: 1
; LDSByteSize: 0 bytes/workgroup (compile time only)
; SGPRBlocks: 0
; VGPRBlocks: 0
; NumSGPRsForWavesPerEU: 1
; NumVGPRsForWavesPerEU: 1
; Occupancy: 16
; WaveLimiterHint : 0
; COMPUTE_PGM_RSRC2:SCRATCH_EN: 0
; COMPUTE_PGM_RSRC2:USER_SGPR: 6
; COMPUTE_PGM_RSRC2:TRAP_HANDLER: 0
; COMPUTE_PGM_RSRC2:TGID_X_EN: 1
; COMPUTE_PGM_RSRC2:TGID_Y_EN: 0
; COMPUTE_PGM_RSRC2:TGID_Z_EN: 0
; COMPUTE_PGM_RSRC2:TIDIG_COMP_CNT: 0
	.section	.text._ZN7rocprim17ROCPRIM_400000_NS6detail17trampoline_kernelINS0_14default_configENS1_35radix_sort_onesweep_config_selectorIiNS0_10empty_typeEEEZZNS1_29radix_sort_onesweep_iterationIS3_Lb0EN6thrust23THRUST_200600_302600_NS10device_ptrIiEESB_PS5_SC_jNS0_19identity_decomposerENS1_16block_id_wrapperIjLb1EEEEE10hipError_tT1_PNSt15iterator_traitsISH_E10value_typeET2_T3_PNSI_ISN_E10value_typeET4_T5_PSS_ST_PNS1_23onesweep_lookback_stateEbbT6_jjT7_P12ihipStream_tbENKUlT_T0_SH_SM_E_clIPiSB_SC_SC_EEDaS10_S11_SH_SM_EUlS10_E_NS1_11comp_targetILNS1_3genE10ELNS1_11target_archE1201ELNS1_3gpuE5ELNS1_3repE0EEENS1_47radix_sort_onesweep_sort_config_static_selectorELNS0_4arch9wavefront6targetE0EEEvSH_,"axG",@progbits,_ZN7rocprim17ROCPRIM_400000_NS6detail17trampoline_kernelINS0_14default_configENS1_35radix_sort_onesweep_config_selectorIiNS0_10empty_typeEEEZZNS1_29radix_sort_onesweep_iterationIS3_Lb0EN6thrust23THRUST_200600_302600_NS10device_ptrIiEESB_PS5_SC_jNS0_19identity_decomposerENS1_16block_id_wrapperIjLb1EEEEE10hipError_tT1_PNSt15iterator_traitsISH_E10value_typeET2_T3_PNSI_ISN_E10value_typeET4_T5_PSS_ST_PNS1_23onesweep_lookback_stateEbbT6_jjT7_P12ihipStream_tbENKUlT_T0_SH_SM_E_clIPiSB_SC_SC_EEDaS10_S11_SH_SM_EUlS10_E_NS1_11comp_targetILNS1_3genE10ELNS1_11target_archE1201ELNS1_3gpuE5ELNS1_3repE0EEENS1_47radix_sort_onesweep_sort_config_static_selectorELNS0_4arch9wavefront6targetE0EEEvSH_,comdat
	.protected	_ZN7rocprim17ROCPRIM_400000_NS6detail17trampoline_kernelINS0_14default_configENS1_35radix_sort_onesweep_config_selectorIiNS0_10empty_typeEEEZZNS1_29radix_sort_onesweep_iterationIS3_Lb0EN6thrust23THRUST_200600_302600_NS10device_ptrIiEESB_PS5_SC_jNS0_19identity_decomposerENS1_16block_id_wrapperIjLb1EEEEE10hipError_tT1_PNSt15iterator_traitsISH_E10value_typeET2_T3_PNSI_ISN_E10value_typeET4_T5_PSS_ST_PNS1_23onesweep_lookback_stateEbbT6_jjT7_P12ihipStream_tbENKUlT_T0_SH_SM_E_clIPiSB_SC_SC_EEDaS10_S11_SH_SM_EUlS10_E_NS1_11comp_targetILNS1_3genE10ELNS1_11target_archE1201ELNS1_3gpuE5ELNS1_3repE0EEENS1_47radix_sort_onesweep_sort_config_static_selectorELNS0_4arch9wavefront6targetE0EEEvSH_ ; -- Begin function _ZN7rocprim17ROCPRIM_400000_NS6detail17trampoline_kernelINS0_14default_configENS1_35radix_sort_onesweep_config_selectorIiNS0_10empty_typeEEEZZNS1_29radix_sort_onesweep_iterationIS3_Lb0EN6thrust23THRUST_200600_302600_NS10device_ptrIiEESB_PS5_SC_jNS0_19identity_decomposerENS1_16block_id_wrapperIjLb1EEEEE10hipError_tT1_PNSt15iterator_traitsISH_E10value_typeET2_T3_PNSI_ISN_E10value_typeET4_T5_PSS_ST_PNS1_23onesweep_lookback_stateEbbT6_jjT7_P12ihipStream_tbENKUlT_T0_SH_SM_E_clIPiSB_SC_SC_EEDaS10_S11_SH_SM_EUlS10_E_NS1_11comp_targetILNS1_3genE10ELNS1_11target_archE1201ELNS1_3gpuE5ELNS1_3repE0EEENS1_47radix_sort_onesweep_sort_config_static_selectorELNS0_4arch9wavefront6targetE0EEEvSH_
	.globl	_ZN7rocprim17ROCPRIM_400000_NS6detail17trampoline_kernelINS0_14default_configENS1_35radix_sort_onesweep_config_selectorIiNS0_10empty_typeEEEZZNS1_29radix_sort_onesweep_iterationIS3_Lb0EN6thrust23THRUST_200600_302600_NS10device_ptrIiEESB_PS5_SC_jNS0_19identity_decomposerENS1_16block_id_wrapperIjLb1EEEEE10hipError_tT1_PNSt15iterator_traitsISH_E10value_typeET2_T3_PNSI_ISN_E10value_typeET4_T5_PSS_ST_PNS1_23onesweep_lookback_stateEbbT6_jjT7_P12ihipStream_tbENKUlT_T0_SH_SM_E_clIPiSB_SC_SC_EEDaS10_S11_SH_SM_EUlS10_E_NS1_11comp_targetILNS1_3genE10ELNS1_11target_archE1201ELNS1_3gpuE5ELNS1_3repE0EEENS1_47radix_sort_onesweep_sort_config_static_selectorELNS0_4arch9wavefront6targetE0EEEvSH_
	.p2align	8
	.type	_ZN7rocprim17ROCPRIM_400000_NS6detail17trampoline_kernelINS0_14default_configENS1_35radix_sort_onesweep_config_selectorIiNS0_10empty_typeEEEZZNS1_29radix_sort_onesweep_iterationIS3_Lb0EN6thrust23THRUST_200600_302600_NS10device_ptrIiEESB_PS5_SC_jNS0_19identity_decomposerENS1_16block_id_wrapperIjLb1EEEEE10hipError_tT1_PNSt15iterator_traitsISH_E10value_typeET2_T3_PNSI_ISN_E10value_typeET4_T5_PSS_ST_PNS1_23onesweep_lookback_stateEbbT6_jjT7_P12ihipStream_tbENKUlT_T0_SH_SM_E_clIPiSB_SC_SC_EEDaS10_S11_SH_SM_EUlS10_E_NS1_11comp_targetILNS1_3genE10ELNS1_11target_archE1201ELNS1_3gpuE5ELNS1_3repE0EEENS1_47radix_sort_onesweep_sort_config_static_selectorELNS0_4arch9wavefront6targetE0EEEvSH_,@function
_ZN7rocprim17ROCPRIM_400000_NS6detail17trampoline_kernelINS0_14default_configENS1_35radix_sort_onesweep_config_selectorIiNS0_10empty_typeEEEZZNS1_29radix_sort_onesweep_iterationIS3_Lb0EN6thrust23THRUST_200600_302600_NS10device_ptrIiEESB_PS5_SC_jNS0_19identity_decomposerENS1_16block_id_wrapperIjLb1EEEEE10hipError_tT1_PNSt15iterator_traitsISH_E10value_typeET2_T3_PNSI_ISN_E10value_typeET4_T5_PSS_ST_PNS1_23onesweep_lookback_stateEbbT6_jjT7_P12ihipStream_tbENKUlT_T0_SH_SM_E_clIPiSB_SC_SC_EEDaS10_S11_SH_SM_EUlS10_E_NS1_11comp_targetILNS1_3genE10ELNS1_11target_archE1201ELNS1_3gpuE5ELNS1_3repE0EEENS1_47radix_sort_onesweep_sort_config_static_selectorELNS0_4arch9wavefront6targetE0EEEvSH_: ; @_ZN7rocprim17ROCPRIM_400000_NS6detail17trampoline_kernelINS0_14default_configENS1_35radix_sort_onesweep_config_selectorIiNS0_10empty_typeEEEZZNS1_29radix_sort_onesweep_iterationIS3_Lb0EN6thrust23THRUST_200600_302600_NS10device_ptrIiEESB_PS5_SC_jNS0_19identity_decomposerENS1_16block_id_wrapperIjLb1EEEEE10hipError_tT1_PNSt15iterator_traitsISH_E10value_typeET2_T3_PNSI_ISN_E10value_typeET4_T5_PSS_ST_PNS1_23onesweep_lookback_stateEbbT6_jjT7_P12ihipStream_tbENKUlT_T0_SH_SM_E_clIPiSB_SC_SC_EEDaS10_S11_SH_SM_EUlS10_E_NS1_11comp_targetILNS1_3genE10ELNS1_11target_archE1201ELNS1_3gpuE5ELNS1_3repE0EEENS1_47radix_sort_onesweep_sort_config_static_selectorELNS0_4arch9wavefront6targetE0EEEvSH_
; %bb.0:
	.section	.rodata,"a",@progbits
	.p2align	6, 0x0
	.amdhsa_kernel _ZN7rocprim17ROCPRIM_400000_NS6detail17trampoline_kernelINS0_14default_configENS1_35radix_sort_onesweep_config_selectorIiNS0_10empty_typeEEEZZNS1_29radix_sort_onesweep_iterationIS3_Lb0EN6thrust23THRUST_200600_302600_NS10device_ptrIiEESB_PS5_SC_jNS0_19identity_decomposerENS1_16block_id_wrapperIjLb1EEEEE10hipError_tT1_PNSt15iterator_traitsISH_E10value_typeET2_T3_PNSI_ISN_E10value_typeET4_T5_PSS_ST_PNS1_23onesweep_lookback_stateEbbT6_jjT7_P12ihipStream_tbENKUlT_T0_SH_SM_E_clIPiSB_SC_SC_EEDaS10_S11_SH_SM_EUlS10_E_NS1_11comp_targetILNS1_3genE10ELNS1_11target_archE1201ELNS1_3gpuE5ELNS1_3repE0EEENS1_47radix_sort_onesweep_sort_config_static_selectorELNS0_4arch9wavefront6targetE0EEEvSH_
		.amdhsa_group_segment_fixed_size 0
		.amdhsa_private_segment_fixed_size 0
		.amdhsa_kernarg_size 88
		.amdhsa_user_sgpr_count 6
		.amdhsa_user_sgpr_private_segment_buffer 1
		.amdhsa_user_sgpr_dispatch_ptr 0
		.amdhsa_user_sgpr_queue_ptr 0
		.amdhsa_user_sgpr_kernarg_segment_ptr 1
		.amdhsa_user_sgpr_dispatch_id 0
		.amdhsa_user_sgpr_flat_scratch_init 0
		.amdhsa_user_sgpr_private_segment_size 0
		.amdhsa_wavefront_size32 1
		.amdhsa_uses_dynamic_stack 0
		.amdhsa_system_sgpr_private_segment_wavefront_offset 0
		.amdhsa_system_sgpr_workgroup_id_x 1
		.amdhsa_system_sgpr_workgroup_id_y 0
		.amdhsa_system_sgpr_workgroup_id_z 0
		.amdhsa_system_sgpr_workgroup_info 0
		.amdhsa_system_vgpr_workitem_id 0
		.amdhsa_next_free_vgpr 1
		.amdhsa_next_free_sgpr 1
		.amdhsa_reserve_vcc 0
		.amdhsa_reserve_flat_scratch 0
		.amdhsa_float_round_mode_32 0
		.amdhsa_float_round_mode_16_64 0
		.amdhsa_float_denorm_mode_32 3
		.amdhsa_float_denorm_mode_16_64 3
		.amdhsa_dx10_clamp 1
		.amdhsa_ieee_mode 1
		.amdhsa_fp16_overflow 0
		.amdhsa_workgroup_processor_mode 1
		.amdhsa_memory_ordered 1
		.amdhsa_forward_progress 1
		.amdhsa_shared_vgpr_count 0
		.amdhsa_exception_fp_ieee_invalid_op 0
		.amdhsa_exception_fp_denorm_src 0
		.amdhsa_exception_fp_ieee_div_zero 0
		.amdhsa_exception_fp_ieee_overflow 0
		.amdhsa_exception_fp_ieee_underflow 0
		.amdhsa_exception_fp_ieee_inexact 0
		.amdhsa_exception_int_div_zero 0
	.end_amdhsa_kernel
	.section	.text._ZN7rocprim17ROCPRIM_400000_NS6detail17trampoline_kernelINS0_14default_configENS1_35radix_sort_onesweep_config_selectorIiNS0_10empty_typeEEEZZNS1_29radix_sort_onesweep_iterationIS3_Lb0EN6thrust23THRUST_200600_302600_NS10device_ptrIiEESB_PS5_SC_jNS0_19identity_decomposerENS1_16block_id_wrapperIjLb1EEEEE10hipError_tT1_PNSt15iterator_traitsISH_E10value_typeET2_T3_PNSI_ISN_E10value_typeET4_T5_PSS_ST_PNS1_23onesweep_lookback_stateEbbT6_jjT7_P12ihipStream_tbENKUlT_T0_SH_SM_E_clIPiSB_SC_SC_EEDaS10_S11_SH_SM_EUlS10_E_NS1_11comp_targetILNS1_3genE10ELNS1_11target_archE1201ELNS1_3gpuE5ELNS1_3repE0EEENS1_47radix_sort_onesweep_sort_config_static_selectorELNS0_4arch9wavefront6targetE0EEEvSH_,"axG",@progbits,_ZN7rocprim17ROCPRIM_400000_NS6detail17trampoline_kernelINS0_14default_configENS1_35radix_sort_onesweep_config_selectorIiNS0_10empty_typeEEEZZNS1_29radix_sort_onesweep_iterationIS3_Lb0EN6thrust23THRUST_200600_302600_NS10device_ptrIiEESB_PS5_SC_jNS0_19identity_decomposerENS1_16block_id_wrapperIjLb1EEEEE10hipError_tT1_PNSt15iterator_traitsISH_E10value_typeET2_T3_PNSI_ISN_E10value_typeET4_T5_PSS_ST_PNS1_23onesweep_lookback_stateEbbT6_jjT7_P12ihipStream_tbENKUlT_T0_SH_SM_E_clIPiSB_SC_SC_EEDaS10_S11_SH_SM_EUlS10_E_NS1_11comp_targetILNS1_3genE10ELNS1_11target_archE1201ELNS1_3gpuE5ELNS1_3repE0EEENS1_47radix_sort_onesweep_sort_config_static_selectorELNS0_4arch9wavefront6targetE0EEEvSH_,comdat
.Lfunc_end1268:
	.size	_ZN7rocprim17ROCPRIM_400000_NS6detail17trampoline_kernelINS0_14default_configENS1_35radix_sort_onesweep_config_selectorIiNS0_10empty_typeEEEZZNS1_29radix_sort_onesweep_iterationIS3_Lb0EN6thrust23THRUST_200600_302600_NS10device_ptrIiEESB_PS5_SC_jNS0_19identity_decomposerENS1_16block_id_wrapperIjLb1EEEEE10hipError_tT1_PNSt15iterator_traitsISH_E10value_typeET2_T3_PNSI_ISN_E10value_typeET4_T5_PSS_ST_PNS1_23onesweep_lookback_stateEbbT6_jjT7_P12ihipStream_tbENKUlT_T0_SH_SM_E_clIPiSB_SC_SC_EEDaS10_S11_SH_SM_EUlS10_E_NS1_11comp_targetILNS1_3genE10ELNS1_11target_archE1201ELNS1_3gpuE5ELNS1_3repE0EEENS1_47radix_sort_onesweep_sort_config_static_selectorELNS0_4arch9wavefront6targetE0EEEvSH_, .Lfunc_end1268-_ZN7rocprim17ROCPRIM_400000_NS6detail17trampoline_kernelINS0_14default_configENS1_35radix_sort_onesweep_config_selectorIiNS0_10empty_typeEEEZZNS1_29radix_sort_onesweep_iterationIS3_Lb0EN6thrust23THRUST_200600_302600_NS10device_ptrIiEESB_PS5_SC_jNS0_19identity_decomposerENS1_16block_id_wrapperIjLb1EEEEE10hipError_tT1_PNSt15iterator_traitsISH_E10value_typeET2_T3_PNSI_ISN_E10value_typeET4_T5_PSS_ST_PNS1_23onesweep_lookback_stateEbbT6_jjT7_P12ihipStream_tbENKUlT_T0_SH_SM_E_clIPiSB_SC_SC_EEDaS10_S11_SH_SM_EUlS10_E_NS1_11comp_targetILNS1_3genE10ELNS1_11target_archE1201ELNS1_3gpuE5ELNS1_3repE0EEENS1_47radix_sort_onesweep_sort_config_static_selectorELNS0_4arch9wavefront6targetE0EEEvSH_
                                        ; -- End function
	.set _ZN7rocprim17ROCPRIM_400000_NS6detail17trampoline_kernelINS0_14default_configENS1_35radix_sort_onesweep_config_selectorIiNS0_10empty_typeEEEZZNS1_29radix_sort_onesweep_iterationIS3_Lb0EN6thrust23THRUST_200600_302600_NS10device_ptrIiEESB_PS5_SC_jNS0_19identity_decomposerENS1_16block_id_wrapperIjLb1EEEEE10hipError_tT1_PNSt15iterator_traitsISH_E10value_typeET2_T3_PNSI_ISN_E10value_typeET4_T5_PSS_ST_PNS1_23onesweep_lookback_stateEbbT6_jjT7_P12ihipStream_tbENKUlT_T0_SH_SM_E_clIPiSB_SC_SC_EEDaS10_S11_SH_SM_EUlS10_E_NS1_11comp_targetILNS1_3genE10ELNS1_11target_archE1201ELNS1_3gpuE5ELNS1_3repE0EEENS1_47radix_sort_onesweep_sort_config_static_selectorELNS0_4arch9wavefront6targetE0EEEvSH_.num_vgpr, 0
	.set _ZN7rocprim17ROCPRIM_400000_NS6detail17trampoline_kernelINS0_14default_configENS1_35radix_sort_onesweep_config_selectorIiNS0_10empty_typeEEEZZNS1_29radix_sort_onesweep_iterationIS3_Lb0EN6thrust23THRUST_200600_302600_NS10device_ptrIiEESB_PS5_SC_jNS0_19identity_decomposerENS1_16block_id_wrapperIjLb1EEEEE10hipError_tT1_PNSt15iterator_traitsISH_E10value_typeET2_T3_PNSI_ISN_E10value_typeET4_T5_PSS_ST_PNS1_23onesweep_lookback_stateEbbT6_jjT7_P12ihipStream_tbENKUlT_T0_SH_SM_E_clIPiSB_SC_SC_EEDaS10_S11_SH_SM_EUlS10_E_NS1_11comp_targetILNS1_3genE10ELNS1_11target_archE1201ELNS1_3gpuE5ELNS1_3repE0EEENS1_47radix_sort_onesweep_sort_config_static_selectorELNS0_4arch9wavefront6targetE0EEEvSH_.num_agpr, 0
	.set _ZN7rocprim17ROCPRIM_400000_NS6detail17trampoline_kernelINS0_14default_configENS1_35radix_sort_onesweep_config_selectorIiNS0_10empty_typeEEEZZNS1_29radix_sort_onesweep_iterationIS3_Lb0EN6thrust23THRUST_200600_302600_NS10device_ptrIiEESB_PS5_SC_jNS0_19identity_decomposerENS1_16block_id_wrapperIjLb1EEEEE10hipError_tT1_PNSt15iterator_traitsISH_E10value_typeET2_T3_PNSI_ISN_E10value_typeET4_T5_PSS_ST_PNS1_23onesweep_lookback_stateEbbT6_jjT7_P12ihipStream_tbENKUlT_T0_SH_SM_E_clIPiSB_SC_SC_EEDaS10_S11_SH_SM_EUlS10_E_NS1_11comp_targetILNS1_3genE10ELNS1_11target_archE1201ELNS1_3gpuE5ELNS1_3repE0EEENS1_47radix_sort_onesweep_sort_config_static_selectorELNS0_4arch9wavefront6targetE0EEEvSH_.numbered_sgpr, 0
	.set _ZN7rocprim17ROCPRIM_400000_NS6detail17trampoline_kernelINS0_14default_configENS1_35radix_sort_onesweep_config_selectorIiNS0_10empty_typeEEEZZNS1_29radix_sort_onesweep_iterationIS3_Lb0EN6thrust23THRUST_200600_302600_NS10device_ptrIiEESB_PS5_SC_jNS0_19identity_decomposerENS1_16block_id_wrapperIjLb1EEEEE10hipError_tT1_PNSt15iterator_traitsISH_E10value_typeET2_T3_PNSI_ISN_E10value_typeET4_T5_PSS_ST_PNS1_23onesweep_lookback_stateEbbT6_jjT7_P12ihipStream_tbENKUlT_T0_SH_SM_E_clIPiSB_SC_SC_EEDaS10_S11_SH_SM_EUlS10_E_NS1_11comp_targetILNS1_3genE10ELNS1_11target_archE1201ELNS1_3gpuE5ELNS1_3repE0EEENS1_47radix_sort_onesweep_sort_config_static_selectorELNS0_4arch9wavefront6targetE0EEEvSH_.num_named_barrier, 0
	.set _ZN7rocprim17ROCPRIM_400000_NS6detail17trampoline_kernelINS0_14default_configENS1_35radix_sort_onesweep_config_selectorIiNS0_10empty_typeEEEZZNS1_29radix_sort_onesweep_iterationIS3_Lb0EN6thrust23THRUST_200600_302600_NS10device_ptrIiEESB_PS5_SC_jNS0_19identity_decomposerENS1_16block_id_wrapperIjLb1EEEEE10hipError_tT1_PNSt15iterator_traitsISH_E10value_typeET2_T3_PNSI_ISN_E10value_typeET4_T5_PSS_ST_PNS1_23onesweep_lookback_stateEbbT6_jjT7_P12ihipStream_tbENKUlT_T0_SH_SM_E_clIPiSB_SC_SC_EEDaS10_S11_SH_SM_EUlS10_E_NS1_11comp_targetILNS1_3genE10ELNS1_11target_archE1201ELNS1_3gpuE5ELNS1_3repE0EEENS1_47radix_sort_onesweep_sort_config_static_selectorELNS0_4arch9wavefront6targetE0EEEvSH_.private_seg_size, 0
	.set _ZN7rocprim17ROCPRIM_400000_NS6detail17trampoline_kernelINS0_14default_configENS1_35radix_sort_onesweep_config_selectorIiNS0_10empty_typeEEEZZNS1_29radix_sort_onesweep_iterationIS3_Lb0EN6thrust23THRUST_200600_302600_NS10device_ptrIiEESB_PS5_SC_jNS0_19identity_decomposerENS1_16block_id_wrapperIjLb1EEEEE10hipError_tT1_PNSt15iterator_traitsISH_E10value_typeET2_T3_PNSI_ISN_E10value_typeET4_T5_PSS_ST_PNS1_23onesweep_lookback_stateEbbT6_jjT7_P12ihipStream_tbENKUlT_T0_SH_SM_E_clIPiSB_SC_SC_EEDaS10_S11_SH_SM_EUlS10_E_NS1_11comp_targetILNS1_3genE10ELNS1_11target_archE1201ELNS1_3gpuE5ELNS1_3repE0EEENS1_47radix_sort_onesweep_sort_config_static_selectorELNS0_4arch9wavefront6targetE0EEEvSH_.uses_vcc, 0
	.set _ZN7rocprim17ROCPRIM_400000_NS6detail17trampoline_kernelINS0_14default_configENS1_35radix_sort_onesweep_config_selectorIiNS0_10empty_typeEEEZZNS1_29radix_sort_onesweep_iterationIS3_Lb0EN6thrust23THRUST_200600_302600_NS10device_ptrIiEESB_PS5_SC_jNS0_19identity_decomposerENS1_16block_id_wrapperIjLb1EEEEE10hipError_tT1_PNSt15iterator_traitsISH_E10value_typeET2_T3_PNSI_ISN_E10value_typeET4_T5_PSS_ST_PNS1_23onesweep_lookback_stateEbbT6_jjT7_P12ihipStream_tbENKUlT_T0_SH_SM_E_clIPiSB_SC_SC_EEDaS10_S11_SH_SM_EUlS10_E_NS1_11comp_targetILNS1_3genE10ELNS1_11target_archE1201ELNS1_3gpuE5ELNS1_3repE0EEENS1_47radix_sort_onesweep_sort_config_static_selectorELNS0_4arch9wavefront6targetE0EEEvSH_.uses_flat_scratch, 0
	.set _ZN7rocprim17ROCPRIM_400000_NS6detail17trampoline_kernelINS0_14default_configENS1_35radix_sort_onesweep_config_selectorIiNS0_10empty_typeEEEZZNS1_29radix_sort_onesweep_iterationIS3_Lb0EN6thrust23THRUST_200600_302600_NS10device_ptrIiEESB_PS5_SC_jNS0_19identity_decomposerENS1_16block_id_wrapperIjLb1EEEEE10hipError_tT1_PNSt15iterator_traitsISH_E10value_typeET2_T3_PNSI_ISN_E10value_typeET4_T5_PSS_ST_PNS1_23onesweep_lookback_stateEbbT6_jjT7_P12ihipStream_tbENKUlT_T0_SH_SM_E_clIPiSB_SC_SC_EEDaS10_S11_SH_SM_EUlS10_E_NS1_11comp_targetILNS1_3genE10ELNS1_11target_archE1201ELNS1_3gpuE5ELNS1_3repE0EEENS1_47radix_sort_onesweep_sort_config_static_selectorELNS0_4arch9wavefront6targetE0EEEvSH_.has_dyn_sized_stack, 0
	.set _ZN7rocprim17ROCPRIM_400000_NS6detail17trampoline_kernelINS0_14default_configENS1_35radix_sort_onesweep_config_selectorIiNS0_10empty_typeEEEZZNS1_29radix_sort_onesweep_iterationIS3_Lb0EN6thrust23THRUST_200600_302600_NS10device_ptrIiEESB_PS5_SC_jNS0_19identity_decomposerENS1_16block_id_wrapperIjLb1EEEEE10hipError_tT1_PNSt15iterator_traitsISH_E10value_typeET2_T3_PNSI_ISN_E10value_typeET4_T5_PSS_ST_PNS1_23onesweep_lookback_stateEbbT6_jjT7_P12ihipStream_tbENKUlT_T0_SH_SM_E_clIPiSB_SC_SC_EEDaS10_S11_SH_SM_EUlS10_E_NS1_11comp_targetILNS1_3genE10ELNS1_11target_archE1201ELNS1_3gpuE5ELNS1_3repE0EEENS1_47radix_sort_onesweep_sort_config_static_selectorELNS0_4arch9wavefront6targetE0EEEvSH_.has_recursion, 0
	.set _ZN7rocprim17ROCPRIM_400000_NS6detail17trampoline_kernelINS0_14default_configENS1_35radix_sort_onesweep_config_selectorIiNS0_10empty_typeEEEZZNS1_29radix_sort_onesweep_iterationIS3_Lb0EN6thrust23THRUST_200600_302600_NS10device_ptrIiEESB_PS5_SC_jNS0_19identity_decomposerENS1_16block_id_wrapperIjLb1EEEEE10hipError_tT1_PNSt15iterator_traitsISH_E10value_typeET2_T3_PNSI_ISN_E10value_typeET4_T5_PSS_ST_PNS1_23onesweep_lookback_stateEbbT6_jjT7_P12ihipStream_tbENKUlT_T0_SH_SM_E_clIPiSB_SC_SC_EEDaS10_S11_SH_SM_EUlS10_E_NS1_11comp_targetILNS1_3genE10ELNS1_11target_archE1201ELNS1_3gpuE5ELNS1_3repE0EEENS1_47radix_sort_onesweep_sort_config_static_selectorELNS0_4arch9wavefront6targetE0EEEvSH_.has_indirect_call, 0
	.section	.AMDGPU.csdata,"",@progbits
; Kernel info:
; codeLenInByte = 0
; TotalNumSgprs: 0
; NumVgprs: 0
; ScratchSize: 0
; MemoryBound: 0
; FloatMode: 240
; IeeeMode: 1
; LDSByteSize: 0 bytes/workgroup (compile time only)
; SGPRBlocks: 0
; VGPRBlocks: 0
; NumSGPRsForWavesPerEU: 1
; NumVGPRsForWavesPerEU: 1
; Occupancy: 16
; WaveLimiterHint : 0
; COMPUTE_PGM_RSRC2:SCRATCH_EN: 0
; COMPUTE_PGM_RSRC2:USER_SGPR: 6
; COMPUTE_PGM_RSRC2:TRAP_HANDLER: 0
; COMPUTE_PGM_RSRC2:TGID_X_EN: 1
; COMPUTE_PGM_RSRC2:TGID_Y_EN: 0
; COMPUTE_PGM_RSRC2:TGID_Z_EN: 0
; COMPUTE_PGM_RSRC2:TIDIG_COMP_CNT: 0
	.section	.text._ZN7rocprim17ROCPRIM_400000_NS6detail17trampoline_kernelINS0_14default_configENS1_35radix_sort_onesweep_config_selectorIiNS0_10empty_typeEEEZZNS1_29radix_sort_onesweep_iterationIS3_Lb0EN6thrust23THRUST_200600_302600_NS10device_ptrIiEESB_PS5_SC_jNS0_19identity_decomposerENS1_16block_id_wrapperIjLb1EEEEE10hipError_tT1_PNSt15iterator_traitsISH_E10value_typeET2_T3_PNSI_ISN_E10value_typeET4_T5_PSS_ST_PNS1_23onesweep_lookback_stateEbbT6_jjT7_P12ihipStream_tbENKUlT_T0_SH_SM_E_clIPiSB_SC_SC_EEDaS10_S11_SH_SM_EUlS10_E_NS1_11comp_targetILNS1_3genE9ELNS1_11target_archE1100ELNS1_3gpuE3ELNS1_3repE0EEENS1_47radix_sort_onesweep_sort_config_static_selectorELNS0_4arch9wavefront6targetE0EEEvSH_,"axG",@progbits,_ZN7rocprim17ROCPRIM_400000_NS6detail17trampoline_kernelINS0_14default_configENS1_35radix_sort_onesweep_config_selectorIiNS0_10empty_typeEEEZZNS1_29radix_sort_onesweep_iterationIS3_Lb0EN6thrust23THRUST_200600_302600_NS10device_ptrIiEESB_PS5_SC_jNS0_19identity_decomposerENS1_16block_id_wrapperIjLb1EEEEE10hipError_tT1_PNSt15iterator_traitsISH_E10value_typeET2_T3_PNSI_ISN_E10value_typeET4_T5_PSS_ST_PNS1_23onesweep_lookback_stateEbbT6_jjT7_P12ihipStream_tbENKUlT_T0_SH_SM_E_clIPiSB_SC_SC_EEDaS10_S11_SH_SM_EUlS10_E_NS1_11comp_targetILNS1_3genE9ELNS1_11target_archE1100ELNS1_3gpuE3ELNS1_3repE0EEENS1_47radix_sort_onesweep_sort_config_static_selectorELNS0_4arch9wavefront6targetE0EEEvSH_,comdat
	.protected	_ZN7rocprim17ROCPRIM_400000_NS6detail17trampoline_kernelINS0_14default_configENS1_35radix_sort_onesweep_config_selectorIiNS0_10empty_typeEEEZZNS1_29radix_sort_onesweep_iterationIS3_Lb0EN6thrust23THRUST_200600_302600_NS10device_ptrIiEESB_PS5_SC_jNS0_19identity_decomposerENS1_16block_id_wrapperIjLb1EEEEE10hipError_tT1_PNSt15iterator_traitsISH_E10value_typeET2_T3_PNSI_ISN_E10value_typeET4_T5_PSS_ST_PNS1_23onesweep_lookback_stateEbbT6_jjT7_P12ihipStream_tbENKUlT_T0_SH_SM_E_clIPiSB_SC_SC_EEDaS10_S11_SH_SM_EUlS10_E_NS1_11comp_targetILNS1_3genE9ELNS1_11target_archE1100ELNS1_3gpuE3ELNS1_3repE0EEENS1_47radix_sort_onesweep_sort_config_static_selectorELNS0_4arch9wavefront6targetE0EEEvSH_ ; -- Begin function _ZN7rocprim17ROCPRIM_400000_NS6detail17trampoline_kernelINS0_14default_configENS1_35radix_sort_onesweep_config_selectorIiNS0_10empty_typeEEEZZNS1_29radix_sort_onesweep_iterationIS3_Lb0EN6thrust23THRUST_200600_302600_NS10device_ptrIiEESB_PS5_SC_jNS0_19identity_decomposerENS1_16block_id_wrapperIjLb1EEEEE10hipError_tT1_PNSt15iterator_traitsISH_E10value_typeET2_T3_PNSI_ISN_E10value_typeET4_T5_PSS_ST_PNS1_23onesweep_lookback_stateEbbT6_jjT7_P12ihipStream_tbENKUlT_T0_SH_SM_E_clIPiSB_SC_SC_EEDaS10_S11_SH_SM_EUlS10_E_NS1_11comp_targetILNS1_3genE9ELNS1_11target_archE1100ELNS1_3gpuE3ELNS1_3repE0EEENS1_47radix_sort_onesweep_sort_config_static_selectorELNS0_4arch9wavefront6targetE0EEEvSH_
	.globl	_ZN7rocprim17ROCPRIM_400000_NS6detail17trampoline_kernelINS0_14default_configENS1_35radix_sort_onesweep_config_selectorIiNS0_10empty_typeEEEZZNS1_29radix_sort_onesweep_iterationIS3_Lb0EN6thrust23THRUST_200600_302600_NS10device_ptrIiEESB_PS5_SC_jNS0_19identity_decomposerENS1_16block_id_wrapperIjLb1EEEEE10hipError_tT1_PNSt15iterator_traitsISH_E10value_typeET2_T3_PNSI_ISN_E10value_typeET4_T5_PSS_ST_PNS1_23onesweep_lookback_stateEbbT6_jjT7_P12ihipStream_tbENKUlT_T0_SH_SM_E_clIPiSB_SC_SC_EEDaS10_S11_SH_SM_EUlS10_E_NS1_11comp_targetILNS1_3genE9ELNS1_11target_archE1100ELNS1_3gpuE3ELNS1_3repE0EEENS1_47radix_sort_onesweep_sort_config_static_selectorELNS0_4arch9wavefront6targetE0EEEvSH_
	.p2align	8
	.type	_ZN7rocprim17ROCPRIM_400000_NS6detail17trampoline_kernelINS0_14default_configENS1_35radix_sort_onesweep_config_selectorIiNS0_10empty_typeEEEZZNS1_29radix_sort_onesweep_iterationIS3_Lb0EN6thrust23THRUST_200600_302600_NS10device_ptrIiEESB_PS5_SC_jNS0_19identity_decomposerENS1_16block_id_wrapperIjLb1EEEEE10hipError_tT1_PNSt15iterator_traitsISH_E10value_typeET2_T3_PNSI_ISN_E10value_typeET4_T5_PSS_ST_PNS1_23onesweep_lookback_stateEbbT6_jjT7_P12ihipStream_tbENKUlT_T0_SH_SM_E_clIPiSB_SC_SC_EEDaS10_S11_SH_SM_EUlS10_E_NS1_11comp_targetILNS1_3genE9ELNS1_11target_archE1100ELNS1_3gpuE3ELNS1_3repE0EEENS1_47radix_sort_onesweep_sort_config_static_selectorELNS0_4arch9wavefront6targetE0EEEvSH_,@function
_ZN7rocprim17ROCPRIM_400000_NS6detail17trampoline_kernelINS0_14default_configENS1_35radix_sort_onesweep_config_selectorIiNS0_10empty_typeEEEZZNS1_29radix_sort_onesweep_iterationIS3_Lb0EN6thrust23THRUST_200600_302600_NS10device_ptrIiEESB_PS5_SC_jNS0_19identity_decomposerENS1_16block_id_wrapperIjLb1EEEEE10hipError_tT1_PNSt15iterator_traitsISH_E10value_typeET2_T3_PNSI_ISN_E10value_typeET4_T5_PSS_ST_PNS1_23onesweep_lookback_stateEbbT6_jjT7_P12ihipStream_tbENKUlT_T0_SH_SM_E_clIPiSB_SC_SC_EEDaS10_S11_SH_SM_EUlS10_E_NS1_11comp_targetILNS1_3genE9ELNS1_11target_archE1100ELNS1_3gpuE3ELNS1_3repE0EEENS1_47radix_sort_onesweep_sort_config_static_selectorELNS0_4arch9wavefront6targetE0EEEvSH_: ; @_ZN7rocprim17ROCPRIM_400000_NS6detail17trampoline_kernelINS0_14default_configENS1_35radix_sort_onesweep_config_selectorIiNS0_10empty_typeEEEZZNS1_29radix_sort_onesweep_iterationIS3_Lb0EN6thrust23THRUST_200600_302600_NS10device_ptrIiEESB_PS5_SC_jNS0_19identity_decomposerENS1_16block_id_wrapperIjLb1EEEEE10hipError_tT1_PNSt15iterator_traitsISH_E10value_typeET2_T3_PNSI_ISN_E10value_typeET4_T5_PSS_ST_PNS1_23onesweep_lookback_stateEbbT6_jjT7_P12ihipStream_tbENKUlT_T0_SH_SM_E_clIPiSB_SC_SC_EEDaS10_S11_SH_SM_EUlS10_E_NS1_11comp_targetILNS1_3genE9ELNS1_11target_archE1100ELNS1_3gpuE3ELNS1_3repE0EEENS1_47radix_sort_onesweep_sort_config_static_selectorELNS0_4arch9wavefront6targetE0EEEvSH_
; %bb.0:
	.section	.rodata,"a",@progbits
	.p2align	6, 0x0
	.amdhsa_kernel _ZN7rocprim17ROCPRIM_400000_NS6detail17trampoline_kernelINS0_14default_configENS1_35radix_sort_onesweep_config_selectorIiNS0_10empty_typeEEEZZNS1_29radix_sort_onesweep_iterationIS3_Lb0EN6thrust23THRUST_200600_302600_NS10device_ptrIiEESB_PS5_SC_jNS0_19identity_decomposerENS1_16block_id_wrapperIjLb1EEEEE10hipError_tT1_PNSt15iterator_traitsISH_E10value_typeET2_T3_PNSI_ISN_E10value_typeET4_T5_PSS_ST_PNS1_23onesweep_lookback_stateEbbT6_jjT7_P12ihipStream_tbENKUlT_T0_SH_SM_E_clIPiSB_SC_SC_EEDaS10_S11_SH_SM_EUlS10_E_NS1_11comp_targetILNS1_3genE9ELNS1_11target_archE1100ELNS1_3gpuE3ELNS1_3repE0EEENS1_47radix_sort_onesweep_sort_config_static_selectorELNS0_4arch9wavefront6targetE0EEEvSH_
		.amdhsa_group_segment_fixed_size 0
		.amdhsa_private_segment_fixed_size 0
		.amdhsa_kernarg_size 88
		.amdhsa_user_sgpr_count 6
		.amdhsa_user_sgpr_private_segment_buffer 1
		.amdhsa_user_sgpr_dispatch_ptr 0
		.amdhsa_user_sgpr_queue_ptr 0
		.amdhsa_user_sgpr_kernarg_segment_ptr 1
		.amdhsa_user_sgpr_dispatch_id 0
		.amdhsa_user_sgpr_flat_scratch_init 0
		.amdhsa_user_sgpr_private_segment_size 0
		.amdhsa_wavefront_size32 1
		.amdhsa_uses_dynamic_stack 0
		.amdhsa_system_sgpr_private_segment_wavefront_offset 0
		.amdhsa_system_sgpr_workgroup_id_x 1
		.amdhsa_system_sgpr_workgroup_id_y 0
		.amdhsa_system_sgpr_workgroup_id_z 0
		.amdhsa_system_sgpr_workgroup_info 0
		.amdhsa_system_vgpr_workitem_id 0
		.amdhsa_next_free_vgpr 1
		.amdhsa_next_free_sgpr 1
		.amdhsa_reserve_vcc 0
		.amdhsa_reserve_flat_scratch 0
		.amdhsa_float_round_mode_32 0
		.amdhsa_float_round_mode_16_64 0
		.amdhsa_float_denorm_mode_32 3
		.amdhsa_float_denorm_mode_16_64 3
		.amdhsa_dx10_clamp 1
		.amdhsa_ieee_mode 1
		.amdhsa_fp16_overflow 0
		.amdhsa_workgroup_processor_mode 1
		.amdhsa_memory_ordered 1
		.amdhsa_forward_progress 1
		.amdhsa_shared_vgpr_count 0
		.amdhsa_exception_fp_ieee_invalid_op 0
		.amdhsa_exception_fp_denorm_src 0
		.amdhsa_exception_fp_ieee_div_zero 0
		.amdhsa_exception_fp_ieee_overflow 0
		.amdhsa_exception_fp_ieee_underflow 0
		.amdhsa_exception_fp_ieee_inexact 0
		.amdhsa_exception_int_div_zero 0
	.end_amdhsa_kernel
	.section	.text._ZN7rocprim17ROCPRIM_400000_NS6detail17trampoline_kernelINS0_14default_configENS1_35radix_sort_onesweep_config_selectorIiNS0_10empty_typeEEEZZNS1_29radix_sort_onesweep_iterationIS3_Lb0EN6thrust23THRUST_200600_302600_NS10device_ptrIiEESB_PS5_SC_jNS0_19identity_decomposerENS1_16block_id_wrapperIjLb1EEEEE10hipError_tT1_PNSt15iterator_traitsISH_E10value_typeET2_T3_PNSI_ISN_E10value_typeET4_T5_PSS_ST_PNS1_23onesweep_lookback_stateEbbT6_jjT7_P12ihipStream_tbENKUlT_T0_SH_SM_E_clIPiSB_SC_SC_EEDaS10_S11_SH_SM_EUlS10_E_NS1_11comp_targetILNS1_3genE9ELNS1_11target_archE1100ELNS1_3gpuE3ELNS1_3repE0EEENS1_47radix_sort_onesweep_sort_config_static_selectorELNS0_4arch9wavefront6targetE0EEEvSH_,"axG",@progbits,_ZN7rocprim17ROCPRIM_400000_NS6detail17trampoline_kernelINS0_14default_configENS1_35radix_sort_onesweep_config_selectorIiNS0_10empty_typeEEEZZNS1_29radix_sort_onesweep_iterationIS3_Lb0EN6thrust23THRUST_200600_302600_NS10device_ptrIiEESB_PS5_SC_jNS0_19identity_decomposerENS1_16block_id_wrapperIjLb1EEEEE10hipError_tT1_PNSt15iterator_traitsISH_E10value_typeET2_T3_PNSI_ISN_E10value_typeET4_T5_PSS_ST_PNS1_23onesweep_lookback_stateEbbT6_jjT7_P12ihipStream_tbENKUlT_T0_SH_SM_E_clIPiSB_SC_SC_EEDaS10_S11_SH_SM_EUlS10_E_NS1_11comp_targetILNS1_3genE9ELNS1_11target_archE1100ELNS1_3gpuE3ELNS1_3repE0EEENS1_47radix_sort_onesweep_sort_config_static_selectorELNS0_4arch9wavefront6targetE0EEEvSH_,comdat
.Lfunc_end1269:
	.size	_ZN7rocprim17ROCPRIM_400000_NS6detail17trampoline_kernelINS0_14default_configENS1_35radix_sort_onesweep_config_selectorIiNS0_10empty_typeEEEZZNS1_29radix_sort_onesweep_iterationIS3_Lb0EN6thrust23THRUST_200600_302600_NS10device_ptrIiEESB_PS5_SC_jNS0_19identity_decomposerENS1_16block_id_wrapperIjLb1EEEEE10hipError_tT1_PNSt15iterator_traitsISH_E10value_typeET2_T3_PNSI_ISN_E10value_typeET4_T5_PSS_ST_PNS1_23onesweep_lookback_stateEbbT6_jjT7_P12ihipStream_tbENKUlT_T0_SH_SM_E_clIPiSB_SC_SC_EEDaS10_S11_SH_SM_EUlS10_E_NS1_11comp_targetILNS1_3genE9ELNS1_11target_archE1100ELNS1_3gpuE3ELNS1_3repE0EEENS1_47radix_sort_onesweep_sort_config_static_selectorELNS0_4arch9wavefront6targetE0EEEvSH_, .Lfunc_end1269-_ZN7rocprim17ROCPRIM_400000_NS6detail17trampoline_kernelINS0_14default_configENS1_35radix_sort_onesweep_config_selectorIiNS0_10empty_typeEEEZZNS1_29radix_sort_onesweep_iterationIS3_Lb0EN6thrust23THRUST_200600_302600_NS10device_ptrIiEESB_PS5_SC_jNS0_19identity_decomposerENS1_16block_id_wrapperIjLb1EEEEE10hipError_tT1_PNSt15iterator_traitsISH_E10value_typeET2_T3_PNSI_ISN_E10value_typeET4_T5_PSS_ST_PNS1_23onesweep_lookback_stateEbbT6_jjT7_P12ihipStream_tbENKUlT_T0_SH_SM_E_clIPiSB_SC_SC_EEDaS10_S11_SH_SM_EUlS10_E_NS1_11comp_targetILNS1_3genE9ELNS1_11target_archE1100ELNS1_3gpuE3ELNS1_3repE0EEENS1_47radix_sort_onesweep_sort_config_static_selectorELNS0_4arch9wavefront6targetE0EEEvSH_
                                        ; -- End function
	.set _ZN7rocprim17ROCPRIM_400000_NS6detail17trampoline_kernelINS0_14default_configENS1_35radix_sort_onesweep_config_selectorIiNS0_10empty_typeEEEZZNS1_29radix_sort_onesweep_iterationIS3_Lb0EN6thrust23THRUST_200600_302600_NS10device_ptrIiEESB_PS5_SC_jNS0_19identity_decomposerENS1_16block_id_wrapperIjLb1EEEEE10hipError_tT1_PNSt15iterator_traitsISH_E10value_typeET2_T3_PNSI_ISN_E10value_typeET4_T5_PSS_ST_PNS1_23onesweep_lookback_stateEbbT6_jjT7_P12ihipStream_tbENKUlT_T0_SH_SM_E_clIPiSB_SC_SC_EEDaS10_S11_SH_SM_EUlS10_E_NS1_11comp_targetILNS1_3genE9ELNS1_11target_archE1100ELNS1_3gpuE3ELNS1_3repE0EEENS1_47radix_sort_onesweep_sort_config_static_selectorELNS0_4arch9wavefront6targetE0EEEvSH_.num_vgpr, 0
	.set _ZN7rocprim17ROCPRIM_400000_NS6detail17trampoline_kernelINS0_14default_configENS1_35radix_sort_onesweep_config_selectorIiNS0_10empty_typeEEEZZNS1_29radix_sort_onesweep_iterationIS3_Lb0EN6thrust23THRUST_200600_302600_NS10device_ptrIiEESB_PS5_SC_jNS0_19identity_decomposerENS1_16block_id_wrapperIjLb1EEEEE10hipError_tT1_PNSt15iterator_traitsISH_E10value_typeET2_T3_PNSI_ISN_E10value_typeET4_T5_PSS_ST_PNS1_23onesweep_lookback_stateEbbT6_jjT7_P12ihipStream_tbENKUlT_T0_SH_SM_E_clIPiSB_SC_SC_EEDaS10_S11_SH_SM_EUlS10_E_NS1_11comp_targetILNS1_3genE9ELNS1_11target_archE1100ELNS1_3gpuE3ELNS1_3repE0EEENS1_47radix_sort_onesweep_sort_config_static_selectorELNS0_4arch9wavefront6targetE0EEEvSH_.num_agpr, 0
	.set _ZN7rocprim17ROCPRIM_400000_NS6detail17trampoline_kernelINS0_14default_configENS1_35radix_sort_onesweep_config_selectorIiNS0_10empty_typeEEEZZNS1_29radix_sort_onesweep_iterationIS3_Lb0EN6thrust23THRUST_200600_302600_NS10device_ptrIiEESB_PS5_SC_jNS0_19identity_decomposerENS1_16block_id_wrapperIjLb1EEEEE10hipError_tT1_PNSt15iterator_traitsISH_E10value_typeET2_T3_PNSI_ISN_E10value_typeET4_T5_PSS_ST_PNS1_23onesweep_lookback_stateEbbT6_jjT7_P12ihipStream_tbENKUlT_T0_SH_SM_E_clIPiSB_SC_SC_EEDaS10_S11_SH_SM_EUlS10_E_NS1_11comp_targetILNS1_3genE9ELNS1_11target_archE1100ELNS1_3gpuE3ELNS1_3repE0EEENS1_47radix_sort_onesweep_sort_config_static_selectorELNS0_4arch9wavefront6targetE0EEEvSH_.numbered_sgpr, 0
	.set _ZN7rocprim17ROCPRIM_400000_NS6detail17trampoline_kernelINS0_14default_configENS1_35radix_sort_onesweep_config_selectorIiNS0_10empty_typeEEEZZNS1_29radix_sort_onesweep_iterationIS3_Lb0EN6thrust23THRUST_200600_302600_NS10device_ptrIiEESB_PS5_SC_jNS0_19identity_decomposerENS1_16block_id_wrapperIjLb1EEEEE10hipError_tT1_PNSt15iterator_traitsISH_E10value_typeET2_T3_PNSI_ISN_E10value_typeET4_T5_PSS_ST_PNS1_23onesweep_lookback_stateEbbT6_jjT7_P12ihipStream_tbENKUlT_T0_SH_SM_E_clIPiSB_SC_SC_EEDaS10_S11_SH_SM_EUlS10_E_NS1_11comp_targetILNS1_3genE9ELNS1_11target_archE1100ELNS1_3gpuE3ELNS1_3repE0EEENS1_47radix_sort_onesweep_sort_config_static_selectorELNS0_4arch9wavefront6targetE0EEEvSH_.num_named_barrier, 0
	.set _ZN7rocprim17ROCPRIM_400000_NS6detail17trampoline_kernelINS0_14default_configENS1_35radix_sort_onesweep_config_selectorIiNS0_10empty_typeEEEZZNS1_29radix_sort_onesweep_iterationIS3_Lb0EN6thrust23THRUST_200600_302600_NS10device_ptrIiEESB_PS5_SC_jNS0_19identity_decomposerENS1_16block_id_wrapperIjLb1EEEEE10hipError_tT1_PNSt15iterator_traitsISH_E10value_typeET2_T3_PNSI_ISN_E10value_typeET4_T5_PSS_ST_PNS1_23onesweep_lookback_stateEbbT6_jjT7_P12ihipStream_tbENKUlT_T0_SH_SM_E_clIPiSB_SC_SC_EEDaS10_S11_SH_SM_EUlS10_E_NS1_11comp_targetILNS1_3genE9ELNS1_11target_archE1100ELNS1_3gpuE3ELNS1_3repE0EEENS1_47radix_sort_onesweep_sort_config_static_selectorELNS0_4arch9wavefront6targetE0EEEvSH_.private_seg_size, 0
	.set _ZN7rocprim17ROCPRIM_400000_NS6detail17trampoline_kernelINS0_14default_configENS1_35radix_sort_onesweep_config_selectorIiNS0_10empty_typeEEEZZNS1_29radix_sort_onesweep_iterationIS3_Lb0EN6thrust23THRUST_200600_302600_NS10device_ptrIiEESB_PS5_SC_jNS0_19identity_decomposerENS1_16block_id_wrapperIjLb1EEEEE10hipError_tT1_PNSt15iterator_traitsISH_E10value_typeET2_T3_PNSI_ISN_E10value_typeET4_T5_PSS_ST_PNS1_23onesweep_lookback_stateEbbT6_jjT7_P12ihipStream_tbENKUlT_T0_SH_SM_E_clIPiSB_SC_SC_EEDaS10_S11_SH_SM_EUlS10_E_NS1_11comp_targetILNS1_3genE9ELNS1_11target_archE1100ELNS1_3gpuE3ELNS1_3repE0EEENS1_47radix_sort_onesweep_sort_config_static_selectorELNS0_4arch9wavefront6targetE0EEEvSH_.uses_vcc, 0
	.set _ZN7rocprim17ROCPRIM_400000_NS6detail17trampoline_kernelINS0_14default_configENS1_35radix_sort_onesweep_config_selectorIiNS0_10empty_typeEEEZZNS1_29radix_sort_onesweep_iterationIS3_Lb0EN6thrust23THRUST_200600_302600_NS10device_ptrIiEESB_PS5_SC_jNS0_19identity_decomposerENS1_16block_id_wrapperIjLb1EEEEE10hipError_tT1_PNSt15iterator_traitsISH_E10value_typeET2_T3_PNSI_ISN_E10value_typeET4_T5_PSS_ST_PNS1_23onesweep_lookback_stateEbbT6_jjT7_P12ihipStream_tbENKUlT_T0_SH_SM_E_clIPiSB_SC_SC_EEDaS10_S11_SH_SM_EUlS10_E_NS1_11comp_targetILNS1_3genE9ELNS1_11target_archE1100ELNS1_3gpuE3ELNS1_3repE0EEENS1_47radix_sort_onesweep_sort_config_static_selectorELNS0_4arch9wavefront6targetE0EEEvSH_.uses_flat_scratch, 0
	.set _ZN7rocprim17ROCPRIM_400000_NS6detail17trampoline_kernelINS0_14default_configENS1_35radix_sort_onesweep_config_selectorIiNS0_10empty_typeEEEZZNS1_29radix_sort_onesweep_iterationIS3_Lb0EN6thrust23THRUST_200600_302600_NS10device_ptrIiEESB_PS5_SC_jNS0_19identity_decomposerENS1_16block_id_wrapperIjLb1EEEEE10hipError_tT1_PNSt15iterator_traitsISH_E10value_typeET2_T3_PNSI_ISN_E10value_typeET4_T5_PSS_ST_PNS1_23onesweep_lookback_stateEbbT6_jjT7_P12ihipStream_tbENKUlT_T0_SH_SM_E_clIPiSB_SC_SC_EEDaS10_S11_SH_SM_EUlS10_E_NS1_11comp_targetILNS1_3genE9ELNS1_11target_archE1100ELNS1_3gpuE3ELNS1_3repE0EEENS1_47radix_sort_onesweep_sort_config_static_selectorELNS0_4arch9wavefront6targetE0EEEvSH_.has_dyn_sized_stack, 0
	.set _ZN7rocprim17ROCPRIM_400000_NS6detail17trampoline_kernelINS0_14default_configENS1_35radix_sort_onesweep_config_selectorIiNS0_10empty_typeEEEZZNS1_29radix_sort_onesweep_iterationIS3_Lb0EN6thrust23THRUST_200600_302600_NS10device_ptrIiEESB_PS5_SC_jNS0_19identity_decomposerENS1_16block_id_wrapperIjLb1EEEEE10hipError_tT1_PNSt15iterator_traitsISH_E10value_typeET2_T3_PNSI_ISN_E10value_typeET4_T5_PSS_ST_PNS1_23onesweep_lookback_stateEbbT6_jjT7_P12ihipStream_tbENKUlT_T0_SH_SM_E_clIPiSB_SC_SC_EEDaS10_S11_SH_SM_EUlS10_E_NS1_11comp_targetILNS1_3genE9ELNS1_11target_archE1100ELNS1_3gpuE3ELNS1_3repE0EEENS1_47radix_sort_onesweep_sort_config_static_selectorELNS0_4arch9wavefront6targetE0EEEvSH_.has_recursion, 0
	.set _ZN7rocprim17ROCPRIM_400000_NS6detail17trampoline_kernelINS0_14default_configENS1_35radix_sort_onesweep_config_selectorIiNS0_10empty_typeEEEZZNS1_29radix_sort_onesweep_iterationIS3_Lb0EN6thrust23THRUST_200600_302600_NS10device_ptrIiEESB_PS5_SC_jNS0_19identity_decomposerENS1_16block_id_wrapperIjLb1EEEEE10hipError_tT1_PNSt15iterator_traitsISH_E10value_typeET2_T3_PNSI_ISN_E10value_typeET4_T5_PSS_ST_PNS1_23onesweep_lookback_stateEbbT6_jjT7_P12ihipStream_tbENKUlT_T0_SH_SM_E_clIPiSB_SC_SC_EEDaS10_S11_SH_SM_EUlS10_E_NS1_11comp_targetILNS1_3genE9ELNS1_11target_archE1100ELNS1_3gpuE3ELNS1_3repE0EEENS1_47radix_sort_onesweep_sort_config_static_selectorELNS0_4arch9wavefront6targetE0EEEvSH_.has_indirect_call, 0
	.section	.AMDGPU.csdata,"",@progbits
; Kernel info:
; codeLenInByte = 0
; TotalNumSgprs: 0
; NumVgprs: 0
; ScratchSize: 0
; MemoryBound: 0
; FloatMode: 240
; IeeeMode: 1
; LDSByteSize: 0 bytes/workgroup (compile time only)
; SGPRBlocks: 0
; VGPRBlocks: 0
; NumSGPRsForWavesPerEU: 1
; NumVGPRsForWavesPerEU: 1
; Occupancy: 16
; WaveLimiterHint : 0
; COMPUTE_PGM_RSRC2:SCRATCH_EN: 0
; COMPUTE_PGM_RSRC2:USER_SGPR: 6
; COMPUTE_PGM_RSRC2:TRAP_HANDLER: 0
; COMPUTE_PGM_RSRC2:TGID_X_EN: 1
; COMPUTE_PGM_RSRC2:TGID_Y_EN: 0
; COMPUTE_PGM_RSRC2:TGID_Z_EN: 0
; COMPUTE_PGM_RSRC2:TIDIG_COMP_CNT: 0
	.section	.text._ZN7rocprim17ROCPRIM_400000_NS6detail17trampoline_kernelINS0_14default_configENS1_35radix_sort_onesweep_config_selectorIiNS0_10empty_typeEEEZZNS1_29radix_sort_onesweep_iterationIS3_Lb0EN6thrust23THRUST_200600_302600_NS10device_ptrIiEESB_PS5_SC_jNS0_19identity_decomposerENS1_16block_id_wrapperIjLb1EEEEE10hipError_tT1_PNSt15iterator_traitsISH_E10value_typeET2_T3_PNSI_ISN_E10value_typeET4_T5_PSS_ST_PNS1_23onesweep_lookback_stateEbbT6_jjT7_P12ihipStream_tbENKUlT_T0_SH_SM_E_clIPiSB_SC_SC_EEDaS10_S11_SH_SM_EUlS10_E_NS1_11comp_targetILNS1_3genE8ELNS1_11target_archE1030ELNS1_3gpuE2ELNS1_3repE0EEENS1_47radix_sort_onesweep_sort_config_static_selectorELNS0_4arch9wavefront6targetE0EEEvSH_,"axG",@progbits,_ZN7rocprim17ROCPRIM_400000_NS6detail17trampoline_kernelINS0_14default_configENS1_35radix_sort_onesweep_config_selectorIiNS0_10empty_typeEEEZZNS1_29radix_sort_onesweep_iterationIS3_Lb0EN6thrust23THRUST_200600_302600_NS10device_ptrIiEESB_PS5_SC_jNS0_19identity_decomposerENS1_16block_id_wrapperIjLb1EEEEE10hipError_tT1_PNSt15iterator_traitsISH_E10value_typeET2_T3_PNSI_ISN_E10value_typeET4_T5_PSS_ST_PNS1_23onesweep_lookback_stateEbbT6_jjT7_P12ihipStream_tbENKUlT_T0_SH_SM_E_clIPiSB_SC_SC_EEDaS10_S11_SH_SM_EUlS10_E_NS1_11comp_targetILNS1_3genE8ELNS1_11target_archE1030ELNS1_3gpuE2ELNS1_3repE0EEENS1_47radix_sort_onesweep_sort_config_static_selectorELNS0_4arch9wavefront6targetE0EEEvSH_,comdat
	.protected	_ZN7rocprim17ROCPRIM_400000_NS6detail17trampoline_kernelINS0_14default_configENS1_35radix_sort_onesweep_config_selectorIiNS0_10empty_typeEEEZZNS1_29radix_sort_onesweep_iterationIS3_Lb0EN6thrust23THRUST_200600_302600_NS10device_ptrIiEESB_PS5_SC_jNS0_19identity_decomposerENS1_16block_id_wrapperIjLb1EEEEE10hipError_tT1_PNSt15iterator_traitsISH_E10value_typeET2_T3_PNSI_ISN_E10value_typeET4_T5_PSS_ST_PNS1_23onesweep_lookback_stateEbbT6_jjT7_P12ihipStream_tbENKUlT_T0_SH_SM_E_clIPiSB_SC_SC_EEDaS10_S11_SH_SM_EUlS10_E_NS1_11comp_targetILNS1_3genE8ELNS1_11target_archE1030ELNS1_3gpuE2ELNS1_3repE0EEENS1_47radix_sort_onesweep_sort_config_static_selectorELNS0_4arch9wavefront6targetE0EEEvSH_ ; -- Begin function _ZN7rocprim17ROCPRIM_400000_NS6detail17trampoline_kernelINS0_14default_configENS1_35radix_sort_onesweep_config_selectorIiNS0_10empty_typeEEEZZNS1_29radix_sort_onesweep_iterationIS3_Lb0EN6thrust23THRUST_200600_302600_NS10device_ptrIiEESB_PS5_SC_jNS0_19identity_decomposerENS1_16block_id_wrapperIjLb1EEEEE10hipError_tT1_PNSt15iterator_traitsISH_E10value_typeET2_T3_PNSI_ISN_E10value_typeET4_T5_PSS_ST_PNS1_23onesweep_lookback_stateEbbT6_jjT7_P12ihipStream_tbENKUlT_T0_SH_SM_E_clIPiSB_SC_SC_EEDaS10_S11_SH_SM_EUlS10_E_NS1_11comp_targetILNS1_3genE8ELNS1_11target_archE1030ELNS1_3gpuE2ELNS1_3repE0EEENS1_47radix_sort_onesweep_sort_config_static_selectorELNS0_4arch9wavefront6targetE0EEEvSH_
	.globl	_ZN7rocprim17ROCPRIM_400000_NS6detail17trampoline_kernelINS0_14default_configENS1_35radix_sort_onesweep_config_selectorIiNS0_10empty_typeEEEZZNS1_29radix_sort_onesweep_iterationIS3_Lb0EN6thrust23THRUST_200600_302600_NS10device_ptrIiEESB_PS5_SC_jNS0_19identity_decomposerENS1_16block_id_wrapperIjLb1EEEEE10hipError_tT1_PNSt15iterator_traitsISH_E10value_typeET2_T3_PNSI_ISN_E10value_typeET4_T5_PSS_ST_PNS1_23onesweep_lookback_stateEbbT6_jjT7_P12ihipStream_tbENKUlT_T0_SH_SM_E_clIPiSB_SC_SC_EEDaS10_S11_SH_SM_EUlS10_E_NS1_11comp_targetILNS1_3genE8ELNS1_11target_archE1030ELNS1_3gpuE2ELNS1_3repE0EEENS1_47radix_sort_onesweep_sort_config_static_selectorELNS0_4arch9wavefront6targetE0EEEvSH_
	.p2align	8
	.type	_ZN7rocprim17ROCPRIM_400000_NS6detail17trampoline_kernelINS0_14default_configENS1_35radix_sort_onesweep_config_selectorIiNS0_10empty_typeEEEZZNS1_29radix_sort_onesweep_iterationIS3_Lb0EN6thrust23THRUST_200600_302600_NS10device_ptrIiEESB_PS5_SC_jNS0_19identity_decomposerENS1_16block_id_wrapperIjLb1EEEEE10hipError_tT1_PNSt15iterator_traitsISH_E10value_typeET2_T3_PNSI_ISN_E10value_typeET4_T5_PSS_ST_PNS1_23onesweep_lookback_stateEbbT6_jjT7_P12ihipStream_tbENKUlT_T0_SH_SM_E_clIPiSB_SC_SC_EEDaS10_S11_SH_SM_EUlS10_E_NS1_11comp_targetILNS1_3genE8ELNS1_11target_archE1030ELNS1_3gpuE2ELNS1_3repE0EEENS1_47radix_sort_onesweep_sort_config_static_selectorELNS0_4arch9wavefront6targetE0EEEvSH_,@function
_ZN7rocprim17ROCPRIM_400000_NS6detail17trampoline_kernelINS0_14default_configENS1_35radix_sort_onesweep_config_selectorIiNS0_10empty_typeEEEZZNS1_29radix_sort_onesweep_iterationIS3_Lb0EN6thrust23THRUST_200600_302600_NS10device_ptrIiEESB_PS5_SC_jNS0_19identity_decomposerENS1_16block_id_wrapperIjLb1EEEEE10hipError_tT1_PNSt15iterator_traitsISH_E10value_typeET2_T3_PNSI_ISN_E10value_typeET4_T5_PSS_ST_PNS1_23onesweep_lookback_stateEbbT6_jjT7_P12ihipStream_tbENKUlT_T0_SH_SM_E_clIPiSB_SC_SC_EEDaS10_S11_SH_SM_EUlS10_E_NS1_11comp_targetILNS1_3genE8ELNS1_11target_archE1030ELNS1_3gpuE2ELNS1_3repE0EEENS1_47radix_sort_onesweep_sort_config_static_selectorELNS0_4arch9wavefront6targetE0EEEvSH_: ; @_ZN7rocprim17ROCPRIM_400000_NS6detail17trampoline_kernelINS0_14default_configENS1_35radix_sort_onesweep_config_selectorIiNS0_10empty_typeEEEZZNS1_29radix_sort_onesweep_iterationIS3_Lb0EN6thrust23THRUST_200600_302600_NS10device_ptrIiEESB_PS5_SC_jNS0_19identity_decomposerENS1_16block_id_wrapperIjLb1EEEEE10hipError_tT1_PNSt15iterator_traitsISH_E10value_typeET2_T3_PNSI_ISN_E10value_typeET4_T5_PSS_ST_PNS1_23onesweep_lookback_stateEbbT6_jjT7_P12ihipStream_tbENKUlT_T0_SH_SM_E_clIPiSB_SC_SC_EEDaS10_S11_SH_SM_EUlS10_E_NS1_11comp_targetILNS1_3genE8ELNS1_11target_archE1030ELNS1_3gpuE2ELNS1_3repE0EEENS1_47radix_sort_onesweep_sort_config_static_selectorELNS0_4arch9wavefront6targetE0EEEvSH_
; %bb.0:
	s_clause 0x2
	s_load_dwordx4 s[12:15], s[4:5], 0x28
	s_load_dwordx2 s[10:11], s[4:5], 0x38
	s_load_dwordx4 s[20:23], s[4:5], 0x44
	v_cmp_eq_u32_e64 s0, 0, v0
	s_and_saveexec_b32 s1, s0
	s_cbranch_execz .LBB1270_4
; %bb.1:
	s_mov_b32 s3, exec_lo
	s_mov_b32 s2, exec_lo
	v_mbcnt_lo_u32_b32 v3, s3, 0
                                        ; implicit-def: $vgpr4
	v_cmpx_eq_u32_e32 0, v3
	s_cbranch_execz .LBB1270_3
; %bb.2:
	s_load_dwordx2 s[8:9], s[4:5], 0x50
	s_bcnt1_i32_b32 s3, s3
	v_mov_b32_e32 v4, 0
	v_mov_b32_e32 v5, s3
	s_waitcnt lgkmcnt(0)
	global_atomic_add v4, v4, v5, s[8:9] glc
.LBB1270_3:
	s_or_b32 exec_lo, exec_lo, s2
	s_waitcnt vmcnt(0)
	v_readfirstlane_b32 s2, v4
	v_mov_b32_e32 v4, 0
	v_add_nc_u32_e32 v3, s2, v3
	ds_write_b32 v4, v3 offset:36992
.LBB1270_4:
	s_or_b32 exec_lo, exec_lo, s1
	v_mov_b32_e32 v3, 0
	s_clause 0x1
	s_load_dwordx4 s[16:19], s[4:5], 0x0
	s_load_dword s1, s[4:5], 0x20
	s_waitcnt lgkmcnt(0)
	s_barrier
	buffer_gl0_inv
	ds_read_b32 v3, v3 offset:36992
	v_mbcnt_lo_u32_b32 v12, -1, 0
	v_lshlrev_b32_e32 v11, 2, v0
	s_mov_b32 s2, -1
	s_waitcnt lgkmcnt(0)
	s_barrier
	buffer_gl0_inv
	v_cmp_le_u32_e32 vcc_lo, s22, v3
	v_readfirstlane_b32 s23, v3
	s_cbranch_vccz .LBB1270_52
; %bb.5:
	s_lshl_b32 s3, s22, 12
	s_lshl_b32 s2, s23, 12
	s_sub_i32 s22, s1, s3
	s_mov_b32 s3, 0
	v_and_b32_e32 v3, 0xf80, v11
	v_lshlrev_b32_e32 v4, 2, v12
	s_lshl_b64 s[2:3], s[2:3], 2
	s_add_u32 s1, s16, s2
	s_addc_u32 s2, s17, s3
	v_lshlrev_b32_e32 v5, 2, v3
	v_add_co_u32 v4, s1, s1, v4
	v_add_co_ci_u32_e64 v6, null, s2, 0, s1
	v_or_b32_e32 v9, v12, v3
	v_bfrev_b32_e32 v3, -2
	v_add_co_u32 v7, vcc_lo, v4, v5
	v_add_co_ci_u32_e64 v8, null, 0, v6, vcc_lo
	v_mov_b32_e32 v4, v3
	v_mov_b32_e32 v5, v3
	;; [unrolled: 1-line block ×3, first 2 shown]
	s_mov_b32 s1, exec_lo
	v_cmpx_gt_u32_e64 s22, v9
	s_cbranch_execz .LBB1270_7
; %bb.6:
	global_load_dword v13, v[7:8], off
	v_mov_b32_e32 v14, v3
	v_mov_b32_e32 v15, v3
	;; [unrolled: 1-line block ×3, first 2 shown]
	s_waitcnt vmcnt(0)
	v_mov_b32_e32 v3, v13
	v_mov_b32_e32 v4, v14
	;; [unrolled: 1-line block ×4, first 2 shown]
.LBB1270_7:
	s_or_b32 exec_lo, exec_lo, s1
	v_or_b32_e32 v10, 32, v9
	s_mov_b32 s1, exec_lo
	v_cmpx_gt_u32_e64 s22, v10
	s_cbranch_execz .LBB1270_9
; %bb.8:
	global_load_dword v4, v[7:8], off offset:128
.LBB1270_9:
	s_or_b32 exec_lo, exec_lo, s1
	v_or_b32_e32 v10, 64, v9
	s_mov_b32 s1, exec_lo
	v_cmpx_gt_u32_e64 s22, v10
	s_cbranch_execz .LBB1270_11
; %bb.10:
	global_load_dword v5, v[7:8], off offset:256
.LBB1270_11:
	;; [unrolled: 8-line block ×3, first 2 shown]
	s_or_b32 exec_lo, exec_lo, s1
	s_clause 0x1
	s_load_dword s1, s[4:5], 0x64
	s_load_dword s24, s[4:5], 0x58
	s_add_u32 s2, s4, 0x58
	s_addc_u32 s3, s5, 0
	v_mov_b32_e32 v10, 0
	v_xor_b32_e32 v13, 0x80000000, v3
	v_lshrrev_b32_e32 v3, s20, v13
	s_waitcnt lgkmcnt(0)
	s_lshr_b32 s7, s1, 16
	s_cmp_lt_u32 s6, s24
	s_cselect_b32 s1, 12, 18
	s_add_u32 s2, s2, s1
	s_addc_u32 s3, s3, 0
	s_lshl_b32 s1, -1, s21
	global_load_ushort v7, v10, s[2:3]
	s_not_b32 s25, s1
	v_and_b32_e32 v3, s25, v3
	v_and_b32_e32 v8, 1, v3
	v_lshlrev_b32_e32 v9, 30, v3
	v_lshlrev_b32_e32 v14, 29, v3
	;; [unrolled: 1-line block ×4, first 2 shown]
	v_add_co_u32 v8, s1, v8, -1
	v_cndmask_b32_e64 v15, 0, 1, s1
	v_not_b32_e32 v19, v9
	v_cmp_gt_i32_e64 s1, 0, v9
	v_not_b32_e32 v9, v14
	v_lshlrev_b32_e32 v18, 26, v3
	v_cmp_ne_u32_e32 vcc_lo, 0, v15
	v_ashrrev_i32_e32 v19, 31, v19
	v_lshlrev_b32_e32 v15, 25, v3
	v_ashrrev_i32_e32 v9, 31, v9
	v_xor_b32_e32 v8, vcc_lo, v8
	v_cmp_gt_i32_e32 vcc_lo, 0, v14
	v_not_b32_e32 v14, v16
	v_xor_b32_e32 v19, s1, v19
	v_cmp_gt_i32_e64 s1, 0, v16
	v_and_b32_e32 v8, exec_lo, v8
	v_not_b32_e32 v16, v17
	v_ashrrev_i32_e32 v14, 31, v14
	v_xor_b32_e32 v9, vcc_lo, v9
	v_cmp_gt_i32_e32 vcc_lo, 0, v17
	v_and_b32_e32 v8, v8, v19
	v_not_b32_e32 v17, v18
	v_ashrrev_i32_e32 v16, 31, v16
	v_xor_b32_e32 v14, s1, v14
	v_cmp_gt_i32_e64 s1, 0, v18
	v_and_b32_e32 v8, v8, v9
	v_not_b32_e32 v9, v15
	v_ashrrev_i32_e32 v17, 31, v17
	v_xor_b32_e32 v16, vcc_lo, v16
	v_cmp_gt_i32_e32 vcc_lo, 0, v15
	v_and_b32_e32 v8, v8, v14
	v_lshlrev_b32_e32 v14, 24, v3
	v_ashrrev_i32_e32 v9, 31, v9
	v_xor_b32_e32 v15, s1, v17
	v_and_b32_e32 v8, v8, v16
	v_not_b32_e32 v16, v14
	v_xor_b32_e32 v9, vcc_lo, v9
	v_cmp_gt_i32_e32 vcc_lo, 0, v14
	v_and_b32_e32 v8, v8, v15
	v_mad_u32_u24 v15, v2, s7, v1
	v_ashrrev_i32_e32 v14, 31, v16
	v_mul_u32_u24_e32 v16, 36, v0
	v_and_b32_e32 v17, v8, v9
	ds_write2_b32 v16, v10, v10 offset0:32 offset1:33
	ds_write2_b32 v16, v10, v10 offset0:34 offset1:35
	;; [unrolled: 1-line block ×4, first 2 shown]
	ds_write_b32 v16, v10 offset:160
	s_waitcnt vmcnt(0) lgkmcnt(0)
	s_barrier
	buffer_gl0_inv
	; wave barrier
	v_mad_u64_u32 v[8:9], null, v15, v7, v[0:1]
	v_xor_b32_e32 v7, vcc_lo, v14
	v_mul_lo_u32 v9, 0x84, v3
	v_and_b32_e32 v7, v17, v7
	v_lshrrev_b32_e32 v8, 3, v8
	v_mbcnt_lo_u32_b32 v14, v7, 0
	v_and_b32_e32 v3, 0x1ffffffc, v8
	v_cmp_ne_u32_e64 s1, 0, v7
	v_cmp_eq_u32_e32 vcc_lo, 0, v14
	v_add_nc_u32_e32 v17, v3, v9
	s_and_b32 s2, s1, vcc_lo
	s_and_saveexec_b32 s1, s2
; %bb.14:
	v_bcnt_u32_b32 v7, v7, 0
	ds_write_b32 v17, v7 offset:128
; %bb.15:
	s_or_b32 exec_lo, exec_lo, s1
	v_xor_b32_e32 v15, 0x80000000, v4
	; wave barrier
	v_lshrrev_b32_e32 v4, s20, v15
	v_and_b32_e32 v4, s25, v4
	v_and_b32_e32 v8, 1, v4
	v_lshlrev_b32_e32 v9, 30, v4
	v_lshlrev_b32_e32 v10, 29, v4
	v_lshlrev_b32_e32 v18, 28, v4
	v_lshlrev_b32_e32 v20, 27, v4
	v_add_co_u32 v8, s1, v8, -1
	v_cndmask_b32_e64 v19, 0, 1, s1
	v_not_b32_e32 v23, v9
	v_cmp_gt_i32_e64 s1, 0, v9
	v_not_b32_e32 v9, v10
	v_lshlrev_b32_e32 v21, 26, v4
	v_cmp_ne_u32_e32 vcc_lo, 0, v19
	v_ashrrev_i32_e32 v19, 31, v23
	v_lshlrev_b32_e32 v22, 25, v4
	v_ashrrev_i32_e32 v9, 31, v9
	v_mul_lo_u32 v7, 0x84, v4
	v_xor_b32_e32 v8, vcc_lo, v8
	v_cmp_gt_i32_e32 vcc_lo, 0, v10
	v_not_b32_e32 v10, v18
	v_xor_b32_e32 v19, s1, v19
	v_cmp_gt_i32_e64 s1, 0, v18
	v_and_b32_e32 v8, exec_lo, v8
	v_not_b32_e32 v18, v20
	v_ashrrev_i32_e32 v10, 31, v10
	v_xor_b32_e32 v9, vcc_lo, v9
	v_cmp_gt_i32_e32 vcc_lo, 0, v20
	v_and_b32_e32 v8, v8, v19
	v_not_b32_e32 v19, v21
	v_ashrrev_i32_e32 v18, 31, v18
	v_xor_b32_e32 v10, s1, v10
	v_lshlrev_b32_e32 v4, 24, v4
	v_and_b32_e32 v8, v8, v9
	v_cmp_gt_i32_e64 s1, 0, v21
	v_not_b32_e32 v9, v22
	v_ashrrev_i32_e32 v19, 31, v19
	v_xor_b32_e32 v18, vcc_lo, v18
	v_and_b32_e32 v8, v8, v10
	v_cmp_gt_i32_e32 vcc_lo, 0, v22
	v_not_b32_e32 v10, v4
	v_ashrrev_i32_e32 v9, 31, v9
	v_xor_b32_e32 v19, s1, v19
	v_and_b32_e32 v8, v8, v18
	v_cmp_gt_i32_e64 s1, 0, v4
	v_ashrrev_i32_e32 v4, 31, v10
	v_xor_b32_e32 v9, vcc_lo, v9
	v_add_nc_u32_e32 v21, v3, v7
	v_and_b32_e32 v8, v8, v19
	v_xor_b32_e32 v4, s1, v4
	ds_read_b32 v18, v21 offset:128
	v_and_b32_e32 v7, v8, v9
	; wave barrier
	v_and_b32_e32 v4, v7, v4
	v_mbcnt_lo_u32_b32 v20, v4, 0
	v_cmp_ne_u32_e64 s1, 0, v4
	v_cmp_eq_u32_e32 vcc_lo, 0, v20
	s_and_b32 s2, s1, vcc_lo
	s_and_saveexec_b32 s1, s2
	s_cbranch_execz .LBB1270_17
; %bb.16:
	s_waitcnt lgkmcnt(0)
	v_bcnt_u32_b32 v4, v4, v18
	ds_write_b32 v21, v4 offset:128
.LBB1270_17:
	s_or_b32 exec_lo, exec_lo, s1
	v_xor_b32_e32 v19, 0x80000000, v5
	; wave barrier
	v_lshrrev_b32_e32 v4, s20, v19
	v_and_b32_e32 v4, s25, v4
	v_and_b32_e32 v7, 1, v4
	v_lshlrev_b32_e32 v8, 30, v4
	v_lshlrev_b32_e32 v9, 29, v4
	v_lshlrev_b32_e32 v10, 28, v4
	v_lshlrev_b32_e32 v23, 27, v4
	v_add_co_u32 v7, s1, v7, -1
	v_cndmask_b32_e64 v22, 0, 1, s1
	v_not_b32_e32 v26, v8
	v_cmp_gt_i32_e64 s1, 0, v8
	v_not_b32_e32 v8, v9
	v_lshlrev_b32_e32 v24, 26, v4
	v_cmp_ne_u32_e32 vcc_lo, 0, v22
	v_ashrrev_i32_e32 v22, 31, v26
	v_lshlrev_b32_e32 v25, 25, v4
	v_ashrrev_i32_e32 v8, 31, v8
	v_mul_lo_u32 v5, 0x84, v4
	v_xor_b32_e32 v7, vcc_lo, v7
	v_cmp_gt_i32_e32 vcc_lo, 0, v9
	v_not_b32_e32 v9, v10
	v_xor_b32_e32 v22, s1, v22
	v_cmp_gt_i32_e64 s1, 0, v10
	v_and_b32_e32 v7, exec_lo, v7
	v_not_b32_e32 v10, v23
	v_ashrrev_i32_e32 v9, 31, v9
	v_xor_b32_e32 v8, vcc_lo, v8
	v_cmp_gt_i32_e32 vcc_lo, 0, v23
	v_and_b32_e32 v7, v7, v22
	v_not_b32_e32 v22, v24
	v_ashrrev_i32_e32 v10, 31, v10
	v_xor_b32_e32 v9, s1, v9
	v_lshlrev_b32_e32 v4, 24, v4
	v_and_b32_e32 v7, v7, v8
	v_cmp_gt_i32_e64 s1, 0, v24
	v_not_b32_e32 v8, v25
	v_ashrrev_i32_e32 v22, 31, v22
	v_xor_b32_e32 v10, vcc_lo, v10
	v_and_b32_e32 v7, v7, v9
	v_cmp_gt_i32_e32 vcc_lo, 0, v25
	v_not_b32_e32 v9, v4
	v_ashrrev_i32_e32 v8, 31, v8
	v_xor_b32_e32 v22, s1, v22
	v_and_b32_e32 v7, v7, v10
	v_cmp_gt_i32_e64 s1, 0, v4
	v_ashrrev_i32_e32 v4, 31, v9
	v_xor_b32_e32 v8, vcc_lo, v8
	v_add_nc_u32_e32 v25, v3, v5
	v_and_b32_e32 v7, v7, v22
	v_xor_b32_e32 v4, s1, v4
	ds_read_b32 v22, v25 offset:128
	v_and_b32_e32 v5, v7, v8
	; wave barrier
	v_and_b32_e32 v4, v5, v4
	v_mbcnt_lo_u32_b32 v24, v4, 0
	v_cmp_ne_u32_e64 s1, 0, v4
	v_cmp_eq_u32_e32 vcc_lo, 0, v24
	s_and_b32 s2, s1, vcc_lo
	s_and_saveexec_b32 s1, s2
	s_cbranch_execz .LBB1270_19
; %bb.18:
	s_waitcnt lgkmcnt(0)
	v_bcnt_u32_b32 v4, v4, v22
	ds_write_b32 v25, v4 offset:128
.LBB1270_19:
	s_or_b32 exec_lo, exec_lo, s1
	v_xor_b32_e32 v23, 0x80000000, v6
	; wave barrier
	v_lshrrev_b32_e32 v4, s20, v23
	v_and_b32_e32 v4, s25, v4
	v_and_b32_e32 v6, 1, v4
	v_lshlrev_b32_e32 v7, 30, v4
	v_lshlrev_b32_e32 v8, 29, v4
	;; [unrolled: 1-line block ×4, first 2 shown]
	v_add_co_u32 v6, s1, v6, -1
	v_cndmask_b32_e64 v10, 0, 1, s1
	v_not_b32_e32 v29, v7
	v_cmp_gt_i32_e64 s1, 0, v7
	v_not_b32_e32 v7, v8
	v_lshlrev_b32_e32 v27, 26, v4
	v_cmp_ne_u32_e32 vcc_lo, 0, v10
	v_ashrrev_i32_e32 v10, 31, v29
	v_lshlrev_b32_e32 v28, 25, v4
	v_ashrrev_i32_e32 v7, 31, v7
	v_mul_lo_u32 v5, 0x84, v4
	v_xor_b32_e32 v6, vcc_lo, v6
	v_cmp_gt_i32_e32 vcc_lo, 0, v8
	v_not_b32_e32 v8, v9
	v_xor_b32_e32 v10, s1, v10
	v_cmp_gt_i32_e64 s1, 0, v9
	v_and_b32_e32 v6, exec_lo, v6
	v_not_b32_e32 v9, v26
	v_ashrrev_i32_e32 v8, 31, v8
	v_xor_b32_e32 v7, vcc_lo, v7
	v_cmp_gt_i32_e32 vcc_lo, 0, v26
	v_and_b32_e32 v6, v6, v10
	v_not_b32_e32 v10, v27
	v_ashrrev_i32_e32 v9, 31, v9
	v_xor_b32_e32 v8, s1, v8
	v_lshlrev_b32_e32 v4, 24, v4
	v_and_b32_e32 v6, v6, v7
	v_cmp_gt_i32_e64 s1, 0, v27
	v_not_b32_e32 v7, v28
	v_ashrrev_i32_e32 v10, 31, v10
	v_xor_b32_e32 v9, vcc_lo, v9
	v_and_b32_e32 v6, v6, v8
	v_cmp_gt_i32_e32 vcc_lo, 0, v28
	v_not_b32_e32 v8, v4
	v_ashrrev_i32_e32 v7, 31, v7
	v_xor_b32_e32 v10, s1, v10
	v_and_b32_e32 v6, v6, v9
	v_cmp_gt_i32_e64 s1, 0, v4
	v_ashrrev_i32_e32 v4, 31, v8
	v_xor_b32_e32 v7, vcc_lo, v7
	v_add_nc_u32_e32 v28, v3, v5
	v_and_b32_e32 v6, v6, v10
	v_xor_b32_e32 v3, s1, v4
	ds_read_b32 v26, v28 offset:128
	v_and_b32_e32 v4, v6, v7
	; wave barrier
	v_and_b32_e32 v3, v4, v3
	v_mbcnt_lo_u32_b32 v27, v3, 0
	v_cmp_ne_u32_e64 s1, 0, v3
	v_cmp_eq_u32_e32 vcc_lo, 0, v27
	s_and_b32 s2, s1, vcc_lo
	s_and_saveexec_b32 s1, s2
	s_cbranch_execz .LBB1270_21
; %bb.20:
	s_waitcnt lgkmcnt(0)
	v_bcnt_u32_b32 v3, v3, v26
	ds_write_b32 v28, v3 offset:128
.LBB1270_21:
	s_or_b32 exec_lo, exec_lo, s1
	; wave barrier
	s_waitcnt lgkmcnt(0)
	s_barrier
	buffer_gl0_inv
	ds_read2_b32 v[9:10], v16 offset0:32 offset1:33
	ds_read2_b32 v[7:8], v16 offset0:34 offset1:35
	;; [unrolled: 1-line block ×4, first 2 shown]
	ds_read_b32 v29, v16 offset:160
	v_and_b32_e32 v32, 16, v12
	v_and_b32_e32 v33, 31, v0
	s_mov_b32 s9, exec_lo
	v_cmp_eq_u32_e64 s7, 0, v32
	s_waitcnt lgkmcnt(3)
	v_add3_u32 v30, v10, v9, v7
	s_waitcnt lgkmcnt(2)
	v_add3_u32 v30, v30, v8, v5
	;; [unrolled: 2-line block ×4, first 2 shown]
	v_and_b32_e32 v30, 15, v12
	v_mov_b32_dpp v31, v29 row_shr:1 row_mask:0xf bank_mask:0xf
	v_cmp_eq_u32_e32 vcc_lo, 0, v30
	v_cmp_lt_u32_e64 s1, 1, v30
	v_cmp_lt_u32_e64 s2, 3, v30
	;; [unrolled: 1-line block ×3, first 2 shown]
	v_cndmask_b32_e64 v31, v31, 0, vcc_lo
	v_add_nc_u32_e32 v29, v31, v29
	v_mov_b32_dpp v31, v29 row_shr:2 row_mask:0xf bank_mask:0xf
	v_cndmask_b32_e64 v31, 0, v31, s1
	v_add_nc_u32_e32 v29, v29, v31
	v_mov_b32_dpp v31, v29 row_shr:4 row_mask:0xf bank_mask:0xf
	v_cndmask_b32_e64 v31, 0, v31, s2
	;; [unrolled: 3-line block ×3, first 2 shown]
	v_bfe_i32 v31, v12, 4, 1
	v_add_nc_u32_e32 v29, v29, v30
	ds_swizzle_b32 v30, v29 offset:swizzle(BROADCAST,32,15)
	s_waitcnt lgkmcnt(0)
	v_and_b32_e32 v31, v31, v30
	v_lshrrev_b32_e32 v30, 5, v0
	v_add_nc_u32_e32 v29, v29, v31
	v_cmpx_eq_u32_e32 31, v33
; %bb.22:
	v_lshlrev_b32_e32 v31, 2, v30
	ds_write_b32 v31, v29
; %bb.23:
	s_or_b32 exec_lo, exec_lo, s9
	v_cmp_lt_u32_e64 s8, 31, v0
	s_mov_b32 s26, exec_lo
	s_waitcnt lgkmcnt(0)
	s_barrier
	buffer_gl0_inv
	v_cmpx_gt_u32_e32 32, v0
	s_cbranch_execz .LBB1270_25
; %bb.24:
	ds_read_b32 v31, v11
	s_waitcnt lgkmcnt(0)
	v_mov_b32_dpp v32, v31 row_shr:1 row_mask:0xf bank_mask:0xf
	v_cndmask_b32_e64 v32, v32, 0, vcc_lo
	v_add_nc_u32_e32 v31, v32, v31
	v_mov_b32_dpp v32, v31 row_shr:2 row_mask:0xf bank_mask:0xf
	v_cndmask_b32_e64 v32, 0, v32, s1
	v_add_nc_u32_e32 v31, v31, v32
	v_mov_b32_dpp v32, v31 row_shr:4 row_mask:0xf bank_mask:0xf
	v_cndmask_b32_e64 v32, 0, v32, s2
	;; [unrolled: 3-line block ×3, first 2 shown]
	v_add_nc_u32_e32 v31, v31, v32
	ds_swizzle_b32 v32, v31 offset:swizzle(BROADCAST,32,15)
	s_waitcnt lgkmcnt(0)
	v_cndmask_b32_e64 v32, v32, 0, s7
	v_add_nc_u32_e32 v31, v31, v32
	ds_write_b32 v11, v31
.LBB1270_25:
	s_or_b32 exec_lo, exec_lo, s26
	v_mov_b32_e32 v31, 0
	s_waitcnt lgkmcnt(0)
	s_barrier
	buffer_gl0_inv
	s_and_saveexec_b32 s1, s8
; %bb.26:
	v_lshl_add_u32 v30, v30, 2, -4
	ds_read_b32 v31, v30
; %bb.27:
	s_or_b32 exec_lo, exec_lo, s1
	v_sub_co_u32 v30, vcc_lo, v12, 1
	s_waitcnt lgkmcnt(0)
	v_add_nc_u32_e32 v29, v31, v29
	v_cmp_gt_i32_e64 s1, 0, v30
	v_cndmask_b32_e64 v30, v30, v12, s1
	v_cmp_gt_u32_e64 s1, 0x100, v0
	v_lshlrev_b32_e32 v30, 2, v30
	ds_bpermute_b32 v29, v30, v29
	s_waitcnt lgkmcnt(0)
	v_cndmask_b32_e32 v29, v29, v31, vcc_lo
	v_cmp_lt_u32_e32 vcc_lo, 0xff, v0
	v_cndmask_b32_e64 v29, v29, 0, s0
	v_add_nc_u32_e32 v9, v29, v9
	v_add_nc_u32_e32 v10, v9, v10
	;; [unrolled: 1-line block ×8, first 2 shown]
	ds_write2_b32 v16, v29, v9 offset0:32 offset1:33
	ds_write2_b32 v16, v10, v7 offset0:34 offset1:35
	;; [unrolled: 1-line block ×4, first 2 shown]
	ds_write_b32 v16, v4 offset:160
	s_waitcnt lgkmcnt(0)
	s_barrier
	buffer_gl0_inv
	ds_read_b32 v3, v17 offset:128
	ds_read_b32 v6, v21 offset:128
	;; [unrolled: 1-line block ×4, first 2 shown]
                                        ; implicit-def: $vgpr9
                                        ; implicit-def: $vgpr10
	s_and_saveexec_b32 s3, s1
	s_cbranch_execz .LBB1270_31
; %bb.28:
	v_mul_u32_u24_e32 v7, 0x84, v0
	v_add_nc_u32_e32 v8, 1, v0
	s_mov_b32 s7, exec_lo
	ds_read_b32 v9, v7 offset:128
	v_mov_b32_e32 v7, 0x1000
	v_cmpx_ne_u32_e32 0x100, v8
; %bb.29:
	v_mul_u32_u24_e32 v7, 0x84, v8
	ds_read_b32 v7, v7 offset:128
; %bb.30:
	s_or_b32 exec_lo, exec_lo, s7
	s_waitcnt lgkmcnt(0)
	v_sub_nc_u32_e32 v10, v7, v9
.LBB1270_31:
	s_or_b32 exec_lo, exec_lo, s3
	v_lshlrev_b32_e32 v7, 2, v14
	v_lshlrev_b32_e32 v8, 2, v20
	;; [unrolled: 1-line block ×5, first 2 shown]
	s_waitcnt lgkmcnt(0)
	v_lshlrev_b32_e32 v4, 2, v4
	v_lshlrev_b32_e32 v6, 2, v6
	v_lshlrev_b32_e32 v16, 2, v24
	v_lshlrev_b32_e32 v17, 2, v22
	v_lshlrev_b32_e32 v5, 2, v5
	v_lshl_add_u32 v3, v3, 2, v7
	v_add3_u32 v7, v18, v20, v4
	v_mov_b32_e32 v4, 0
	v_add3_u32 v6, v8, v14, v6
	v_add3_u32 v5, v16, v17, v5
	s_barrier
	buffer_gl0_inv
	ds_write_b32 v3, v13 offset:1024
	ds_write_b32 v6, v15 offset:1024
	;; [unrolled: 1-line block ×4, first 2 shown]
	s_and_saveexec_b32 s2, s1
	s_cbranch_execz .LBB1270_41
; %bb.32:
	v_lshl_add_u32 v3, s23, 8, v0
	v_mov_b32_e32 v13, 0
	s_mov_b32 s3, 0
	s_mov_b32 s7, s23
	v_lshlrev_b64 v[5:6], 2, v[3:4]
	v_or_b32_e32 v3, 2.0, v10
	v_add_co_u32 v5, s1, s10, v5
	v_add_co_ci_u32_e64 v6, null, s11, v6, s1
                                        ; implicit-def: $sgpr1
	global_store_dword v[5:6], v3, off
	s_branch .LBB1270_35
	.p2align	6
.LBB1270_33:                            ;   in Loop: Header=BB1270_35 Depth=1
	s_or_b32 exec_lo, exec_lo, s9
.LBB1270_34:                            ;   in Loop: Header=BB1270_35 Depth=1
	s_or_b32 exec_lo, exec_lo, s8
	v_and_b32_e32 v7, 0x3fffffff, v3
	v_cmp_gt_i32_e64 s1, -2.0, v3
	v_add_nc_u32_e32 v13, v7, v13
	s_and_b32 s8, exec_lo, s1
	s_or_b32 s3, s8, s3
	s_andn2_b32 exec_lo, exec_lo, s3
	s_cbranch_execz .LBB1270_40
.LBB1270_35:                            ; =>This Loop Header: Depth=1
                                        ;     Child Loop BB1270_38 Depth 2
	s_or_b32 s1, s1, exec_lo
	s_cmp_eq_u32 s7, 0
	s_cbranch_scc1 .LBB1270_39
; %bb.36:                               ;   in Loop: Header=BB1270_35 Depth=1
	s_add_i32 s7, s7, -1
	s_mov_b32 s8, exec_lo
	v_lshl_or_b32 v3, s7, 8, v0
	v_lshlrev_b64 v[7:8], 2, v[3:4]
	v_add_co_u32 v7, s1, s10, v7
	v_add_co_ci_u32_e64 v8, null, s11, v8, s1
	global_load_dword v3, v[7:8], off glc dlc
	s_waitcnt vmcnt(0)
	v_cmpx_gt_u32_e32 2.0, v3
	s_cbranch_execz .LBB1270_34
; %bb.37:                               ;   in Loop: Header=BB1270_35 Depth=1
	s_mov_b32 s9, 0
.LBB1270_38:                            ;   Parent Loop BB1270_35 Depth=1
                                        ; =>  This Inner Loop Header: Depth=2
	global_load_dword v3, v[7:8], off glc dlc
	s_waitcnt vmcnt(0)
	v_cmp_lt_u32_e64 s1, 0x3fffffff, v3
	s_or_b32 s9, s1, s9
	s_andn2_b32 exec_lo, exec_lo, s9
	s_cbranch_execnz .LBB1270_38
	s_branch .LBB1270_33
.LBB1270_39:                            ;   in Loop: Header=BB1270_35 Depth=1
                                        ; implicit-def: $sgpr7
	s_and_b32 s8, exec_lo, s1
	s_or_b32 s3, s8, s3
	s_andn2_b32 exec_lo, exec_lo, s3
	s_cbranch_execnz .LBB1270_35
.LBB1270_40:
	s_or_b32 exec_lo, exec_lo, s3
	v_add_nc_u32_e32 v3, v13, v10
	v_sub_nc_u32_e32 v4, v13, v9
	v_or_b32_e32 v3, 0x80000000, v3
	global_store_dword v[5:6], v3, off
	global_load_dword v3, v11, s[12:13]
	s_waitcnt vmcnt(0)
	v_add_nc_u32_e32 v3, v4, v3
	ds_write_b32 v11, v3
.LBB1270_41:
	s_or_b32 exec_lo, exec_lo, s2
	s_mov_b32 s2, exec_lo
	s_waitcnt lgkmcnt(0)
	s_waitcnt_vscnt null, 0x0
	s_barrier
	buffer_gl0_inv
	v_cmpx_gt_u32_e64 s22, v0
	s_cbranch_execz .LBB1270_43
; %bb.42:
	ds_read_b32 v5, v11 offset:1024
	v_mov_b32_e32 v4, 0
	s_waitcnt lgkmcnt(0)
	v_lshrrev_b32_e32 v3, s20, v5
	v_xor_b32_e32 v5, 0x80000000, v5
	v_and_b32_e32 v3, s25, v3
	v_lshlrev_b32_e32 v3, 2, v3
	ds_read_b32 v3, v3
	s_waitcnt lgkmcnt(0)
	v_add_nc_u32_e32 v3, v3, v0
	v_lshlrev_b64 v[3:4], 2, v[3:4]
	v_add_co_u32 v3, s1, s18, v3
	v_add_co_ci_u32_e64 v4, null, s19, v4, s1
	global_store_dword v[3:4], v5, off
.LBB1270_43:
	s_or_b32 exec_lo, exec_lo, s2
	v_or_b32_e32 v3, 0x400, v0
	s_mov_b32 s2, exec_lo
	v_cmpx_gt_u32_e64 s22, v3
	s_cbranch_execz .LBB1270_45
; %bb.44:
	ds_read_b32 v5, v11 offset:5120
	s_waitcnt lgkmcnt(0)
	v_lshrrev_b32_e32 v4, s20, v5
	v_xor_b32_e32 v5, 0x80000000, v5
	v_and_b32_e32 v4, s25, v4
	v_lshlrev_b32_e32 v4, 2, v4
	ds_read_b32 v6, v4
	v_mov_b32_e32 v4, 0
	s_waitcnt lgkmcnt(0)
	v_add_nc_u32_e32 v3, v6, v3
	v_lshlrev_b64 v[3:4], 2, v[3:4]
	v_add_co_u32 v3, s1, s18, v3
	v_add_co_ci_u32_e64 v4, null, s19, v4, s1
	global_store_dword v[3:4], v5, off
.LBB1270_45:
	s_or_b32 exec_lo, exec_lo, s2
	v_or_b32_e32 v3, 0x800, v0
	s_mov_b32 s2, exec_lo
	v_cmpx_gt_u32_e64 s22, v3
	s_cbranch_execz .LBB1270_47
; %bb.46:
	ds_read_b32 v5, v11 offset:9216
	s_waitcnt lgkmcnt(0)
	v_lshrrev_b32_e32 v4, s20, v5
	v_xor_b32_e32 v5, 0x80000000, v5
	v_and_b32_e32 v4, s25, v4
	v_lshlrev_b32_e32 v4, 2, v4
	ds_read_b32 v6, v4
	v_mov_b32_e32 v4, 0
	s_waitcnt lgkmcnt(0)
	v_add_nc_u32_e32 v3, v6, v3
	v_lshlrev_b64 v[3:4], 2, v[3:4]
	v_add_co_u32 v3, s1, s18, v3
	v_add_co_ci_u32_e64 v4, null, s19, v4, s1
	global_store_dword v[3:4], v5, off
.LBB1270_47:
	;; [unrolled: 21-line block ×3, first 2 shown]
	s_or_b32 exec_lo, exec_lo, s2
	s_add_i32 s24, s24, -1
	s_cmp_eq_u32 s23, s24
	s_cselect_b32 s1, -1, 0
	s_xor_b32 s2, vcc_lo, -1
	s_and_b32 s2, s2, s1
	s_and_saveexec_b32 s1, s2
	s_cbranch_execz .LBB1270_51
; %bb.50:
	ds_read_b32 v3, v11
	s_waitcnt lgkmcnt(0)
	v_add3_u32 v3, v9, v10, v3
	global_store_dword v11, v3, s[14:15]
.LBB1270_51:
	s_or_b32 exec_lo, exec_lo, s1
	s_mov_b32 s2, 0
.LBB1270_52:
	s_and_b32 vcc_lo, exec_lo, s2
	s_cbranch_vccz .LBB1270_83
; %bb.53:
	s_lshl_b32 s2, s23, 12
	s_mov_b32 s3, 0
	v_lshlrev_b32_e32 v3, 4, v0
	v_lshlrev_b32_e32 v4, 2, v12
	s_lshl_b64 s[2:3], s[2:3], 2
	v_mov_b32_e32 v13, 0
	s_add_u32 s1, s16, s2
	s_addc_u32 s2, s17, s3
	v_and_b32_e32 v3, 0x3e00, v3
	v_add_co_u32 v4, s1, s1, v4
	v_add_co_ci_u32_e64 v5, null, s2, 0, s1
	s_add_u32 s2, s4, 0x58
	v_add_co_u32 v6, vcc_lo, v4, v3
	v_add_co_ci_u32_e64 v7, null, 0, v5, vcc_lo
	s_addc_u32 s3, s5, 0
	global_load_dword v8, v[6:7], off
	s_clause 0x1
	s_load_dword s1, s[4:5], 0x64
	s_load_dword s7, s[4:5], 0x58
	s_waitcnt lgkmcnt(0)
	s_lshr_b32 s4, s1, 16
	s_cmp_lt_u32 s6, s7
	v_mad_u32_u24 v1, v2, s4, v1
	s_cselect_b32 s1, 12, 18
	s_add_u32 s2, s2, s1
	s_addc_u32 s3, s3, 0
	global_load_ushort v10, v13, s[2:3]
	s_clause 0x2
	global_load_dword v5, v[6:7], off offset:128
	global_load_dword v4, v[6:7], off offset:256
	;; [unrolled: 1-line block ×3, first 2 shown]
	s_lshl_b32 s1, -1, s21
	s_not_b32 s8, s1
	s_waitcnt vmcnt(4)
	v_xor_b32_e32 v9, 0x80000000, v8
	v_lshrrev_b32_e32 v6, s20, v9
	v_and_b32_e32 v6, s8, v6
	v_and_b32_e32 v7, 1, v6
	v_lshlrev_b32_e32 v8, 30, v6
	v_lshlrev_b32_e32 v14, 29, v6
	;; [unrolled: 1-line block ×4, first 2 shown]
	v_add_co_u32 v7, s1, v7, -1
	v_cndmask_b32_e64 v16, 0, 1, s1
	v_not_b32_e32 v20, v8
	v_cmp_gt_i32_e64 s1, 0, v8
	v_not_b32_e32 v8, v14
	v_lshlrev_b32_e32 v18, 26, v6
	v_cmp_ne_u32_e32 vcc_lo, 0, v16
	v_ashrrev_i32_e32 v20, 31, v20
	v_lshlrev_b32_e32 v19, 25, v6
	v_ashrrev_i32_e32 v8, 31, v8
	v_lshlrev_b32_e32 v16, 24, v6
	v_xor_b32_e32 v7, vcc_lo, v7
	v_cmp_gt_i32_e32 vcc_lo, 0, v14
	v_not_b32_e32 v14, v15
	v_xor_b32_e32 v20, s1, v20
	v_cmp_gt_i32_e64 s1, 0, v15
	v_and_b32_e32 v7, exec_lo, v7
	v_not_b32_e32 v15, v17
	v_ashrrev_i32_e32 v14, 31, v14
	v_xor_b32_e32 v8, vcc_lo, v8
	v_cmp_gt_i32_e32 vcc_lo, 0, v17
	v_and_b32_e32 v7, v7, v20
	v_not_b32_e32 v17, v18
	v_ashrrev_i32_e32 v15, 31, v15
	v_xor_b32_e32 v14, s1, v14
	v_cmp_gt_i32_e64 s1, 0, v18
	v_and_b32_e32 v7, v7, v8
	v_not_b32_e32 v8, v19
	v_ashrrev_i32_e32 v17, 31, v17
	v_xor_b32_e32 v15, vcc_lo, v15
	v_cmp_gt_i32_e32 vcc_lo, 0, v19
	v_and_b32_e32 v7, v7, v14
	v_not_b32_e32 v14, v16
	v_ashrrev_i32_e32 v8, 31, v8
	v_xor_b32_e32 v17, s1, v17
	v_cmp_gt_i32_e64 s1, 0, v16
	v_and_b32_e32 v7, v7, v15
	v_ashrrev_i32_e32 v15, 31, v14
	v_xor_b32_e32 v8, vcc_lo, v8
	s_waitcnt vmcnt(3)
	v_mad_u64_u32 v[1:2], null, v1, v10, v[0:1]
	v_and_b32_e32 v7, v7, v17
	v_xor_b32_e32 v2, s1, v15
	v_mul_lo_u32 v6, 0x84, v6
	v_mul_u32_u24_e32 v14, 36, v0
	v_and_b32_e32 v7, v7, v8
	v_lshrrev_b32_e32 v1, 3, v1
	ds_write2_b32 v14, v13, v13 offset0:32 offset1:33
	ds_write2_b32 v14, v13, v13 offset0:34 offset1:35
	;; [unrolled: 1-line block ×3, first 2 shown]
	v_and_b32_e32 v2, v7, v2
	v_and_b32_e32 v1, 0x1ffffffc, v1
	ds_write2_b32 v14, v13, v13 offset0:38 offset1:39
	ds_write_b32 v14, v13 offset:160
	s_waitcnt vmcnt(0) lgkmcnt(0)
	s_waitcnt_vscnt null, 0x0
	s_barrier
	v_mbcnt_lo_u32_b32 v10, v2, 0
	v_cmp_ne_u32_e64 s1, 0, v2
	v_add_nc_u32_e32 v15, v1, v6
	buffer_gl0_inv
	v_cmp_eq_u32_e32 vcc_lo, 0, v10
	; wave barrier
	s_and_b32 s2, s1, vcc_lo
	s_and_saveexec_b32 s1, s2
; %bb.54:
	v_bcnt_u32_b32 v2, v2, 0
	ds_write_b32 v15, v2 offset:128
; %bb.55:
	s_or_b32 exec_lo, exec_lo, s1
	v_xor_b32_e32 v13, 0x80000000, v5
	; wave barrier
	v_lshrrev_b32_e32 v2, s20, v13
	v_and_b32_e32 v2, s8, v2
	v_and_b32_e32 v6, 1, v2
	v_lshlrev_b32_e32 v7, 30, v2
	v_lshlrev_b32_e32 v8, 29, v2
	;; [unrolled: 1-line block ×4, first 2 shown]
	v_add_co_u32 v6, s1, v6, -1
	v_cndmask_b32_e64 v17, 0, 1, s1
	v_not_b32_e32 v21, v7
	v_cmp_gt_i32_e64 s1, 0, v7
	v_not_b32_e32 v7, v8
	v_lshlrev_b32_e32 v19, 26, v2
	v_cmp_ne_u32_e32 vcc_lo, 0, v17
	v_ashrrev_i32_e32 v17, 31, v21
	v_lshlrev_b32_e32 v20, 25, v2
	v_ashrrev_i32_e32 v7, 31, v7
	v_mul_lo_u32 v5, 0x84, v2
	v_xor_b32_e32 v6, vcc_lo, v6
	v_cmp_gt_i32_e32 vcc_lo, 0, v8
	v_not_b32_e32 v8, v16
	v_xor_b32_e32 v17, s1, v17
	v_cmp_gt_i32_e64 s1, 0, v16
	v_and_b32_e32 v6, exec_lo, v6
	v_not_b32_e32 v16, v18
	v_ashrrev_i32_e32 v8, 31, v8
	v_xor_b32_e32 v7, vcc_lo, v7
	v_cmp_gt_i32_e32 vcc_lo, 0, v18
	v_and_b32_e32 v6, v6, v17
	v_not_b32_e32 v17, v19
	v_ashrrev_i32_e32 v16, 31, v16
	v_xor_b32_e32 v8, s1, v8
	v_lshlrev_b32_e32 v2, 24, v2
	v_and_b32_e32 v6, v6, v7
	v_cmp_gt_i32_e64 s1, 0, v19
	v_not_b32_e32 v7, v20
	v_ashrrev_i32_e32 v17, 31, v17
	v_xor_b32_e32 v16, vcc_lo, v16
	v_and_b32_e32 v6, v6, v8
	v_cmp_gt_i32_e32 vcc_lo, 0, v20
	v_not_b32_e32 v8, v2
	v_ashrrev_i32_e32 v7, 31, v7
	v_xor_b32_e32 v17, s1, v17
	v_and_b32_e32 v6, v6, v16
	v_cmp_gt_i32_e64 s1, 0, v2
	v_ashrrev_i32_e32 v2, 31, v8
	v_xor_b32_e32 v7, vcc_lo, v7
	v_add_nc_u32_e32 v19, v1, v5
	v_and_b32_e32 v6, v6, v17
	v_xor_b32_e32 v2, s1, v2
	ds_read_b32 v16, v19 offset:128
	v_and_b32_e32 v5, v6, v7
	; wave barrier
	v_and_b32_e32 v2, v5, v2
	v_mbcnt_lo_u32_b32 v18, v2, 0
	v_cmp_ne_u32_e64 s1, 0, v2
	v_cmp_eq_u32_e32 vcc_lo, 0, v18
	s_and_b32 s2, s1, vcc_lo
	s_and_saveexec_b32 s1, s2
	s_cbranch_execz .LBB1270_57
; %bb.56:
	s_waitcnt lgkmcnt(0)
	v_bcnt_u32_b32 v2, v2, v16
	ds_write_b32 v19, v2 offset:128
.LBB1270_57:
	s_or_b32 exec_lo, exec_lo, s1
	v_xor_b32_e32 v17, 0x80000000, v4
	; wave barrier
	v_lshrrev_b32_e32 v2, s20, v17
	v_and_b32_e32 v2, s8, v2
	v_and_b32_e32 v5, 1, v2
	v_lshlrev_b32_e32 v6, 30, v2
	v_lshlrev_b32_e32 v7, 29, v2
	;; [unrolled: 1-line block ×4, first 2 shown]
	v_add_co_u32 v5, s1, v5, -1
	v_cndmask_b32_e64 v20, 0, 1, s1
	v_not_b32_e32 v24, v6
	v_cmp_gt_i32_e64 s1, 0, v6
	v_not_b32_e32 v6, v7
	v_lshlrev_b32_e32 v22, 26, v2
	v_cmp_ne_u32_e32 vcc_lo, 0, v20
	v_ashrrev_i32_e32 v20, 31, v24
	v_lshlrev_b32_e32 v23, 25, v2
	v_ashrrev_i32_e32 v6, 31, v6
	v_mul_lo_u32 v4, 0x84, v2
	v_xor_b32_e32 v5, vcc_lo, v5
	v_cmp_gt_i32_e32 vcc_lo, 0, v7
	v_not_b32_e32 v7, v8
	v_xor_b32_e32 v20, s1, v20
	v_cmp_gt_i32_e64 s1, 0, v8
	v_and_b32_e32 v5, exec_lo, v5
	v_not_b32_e32 v8, v21
	v_ashrrev_i32_e32 v7, 31, v7
	v_xor_b32_e32 v6, vcc_lo, v6
	v_cmp_gt_i32_e32 vcc_lo, 0, v21
	v_and_b32_e32 v5, v5, v20
	v_not_b32_e32 v20, v22
	v_ashrrev_i32_e32 v8, 31, v8
	v_xor_b32_e32 v7, s1, v7
	v_lshlrev_b32_e32 v2, 24, v2
	v_and_b32_e32 v5, v5, v6
	v_cmp_gt_i32_e64 s1, 0, v22
	v_not_b32_e32 v6, v23
	v_ashrrev_i32_e32 v20, 31, v20
	v_xor_b32_e32 v8, vcc_lo, v8
	v_and_b32_e32 v5, v5, v7
	v_cmp_gt_i32_e32 vcc_lo, 0, v23
	v_not_b32_e32 v7, v2
	v_ashrrev_i32_e32 v6, 31, v6
	v_xor_b32_e32 v20, s1, v20
	v_and_b32_e32 v5, v5, v8
	v_cmp_gt_i32_e64 s1, 0, v2
	v_ashrrev_i32_e32 v2, 31, v7
	v_xor_b32_e32 v6, vcc_lo, v6
	v_add_nc_u32_e32 v23, v1, v4
	v_and_b32_e32 v5, v5, v20
	v_xor_b32_e32 v2, s1, v2
	ds_read_b32 v20, v23 offset:128
	v_and_b32_e32 v4, v5, v6
	; wave barrier
	v_and_b32_e32 v2, v4, v2
	v_mbcnt_lo_u32_b32 v22, v2, 0
	v_cmp_ne_u32_e64 s1, 0, v2
	v_cmp_eq_u32_e32 vcc_lo, 0, v22
	s_and_b32 s2, s1, vcc_lo
	s_and_saveexec_b32 s1, s2
	s_cbranch_execz .LBB1270_59
; %bb.58:
	s_waitcnt lgkmcnt(0)
	v_bcnt_u32_b32 v2, v2, v20
	ds_write_b32 v23, v2 offset:128
.LBB1270_59:
	s_or_b32 exec_lo, exec_lo, s1
	v_xor_b32_e32 v21, 0x80000000, v3
	; wave barrier
	v_lshrrev_b32_e32 v2, s20, v21
	v_and_b32_e32 v2, s8, v2
	v_and_b32_e32 v4, 1, v2
	v_lshlrev_b32_e32 v5, 30, v2
	v_lshlrev_b32_e32 v6, 29, v2
	v_lshlrev_b32_e32 v7, 28, v2
	v_lshlrev_b32_e32 v24, 27, v2
	v_add_co_u32 v4, s1, v4, -1
	v_cndmask_b32_e64 v8, 0, 1, s1
	v_not_b32_e32 v27, v5
	v_cmp_gt_i32_e64 s1, 0, v5
	v_not_b32_e32 v5, v6
	v_lshlrev_b32_e32 v25, 26, v2
	v_cmp_ne_u32_e32 vcc_lo, 0, v8
	v_ashrrev_i32_e32 v8, 31, v27
	v_lshlrev_b32_e32 v26, 25, v2
	v_ashrrev_i32_e32 v5, 31, v5
	v_mul_lo_u32 v3, 0x84, v2
	v_xor_b32_e32 v4, vcc_lo, v4
	v_cmp_gt_i32_e32 vcc_lo, 0, v6
	v_not_b32_e32 v6, v7
	v_xor_b32_e32 v8, s1, v8
	v_cmp_gt_i32_e64 s1, 0, v7
	v_and_b32_e32 v4, exec_lo, v4
	v_not_b32_e32 v7, v24
	v_ashrrev_i32_e32 v6, 31, v6
	v_xor_b32_e32 v5, vcc_lo, v5
	v_cmp_gt_i32_e32 vcc_lo, 0, v24
	v_and_b32_e32 v4, v4, v8
	v_not_b32_e32 v8, v25
	v_ashrrev_i32_e32 v7, 31, v7
	v_xor_b32_e32 v6, s1, v6
	v_lshlrev_b32_e32 v2, 24, v2
	v_and_b32_e32 v4, v4, v5
	v_cmp_gt_i32_e64 s1, 0, v25
	v_not_b32_e32 v5, v26
	v_ashrrev_i32_e32 v8, 31, v8
	v_xor_b32_e32 v7, vcc_lo, v7
	v_and_b32_e32 v4, v4, v6
	v_cmp_gt_i32_e32 vcc_lo, 0, v26
	v_not_b32_e32 v6, v2
	v_ashrrev_i32_e32 v5, 31, v5
	v_xor_b32_e32 v8, s1, v8
	v_and_b32_e32 v4, v4, v7
	v_cmp_gt_i32_e64 s1, 0, v2
	v_ashrrev_i32_e32 v2, 31, v6
	v_xor_b32_e32 v5, vcc_lo, v5
	v_add_nc_u32_e32 v26, v1, v3
	v_and_b32_e32 v4, v4, v8
	v_xor_b32_e32 v1, s1, v2
	ds_read_b32 v24, v26 offset:128
	v_and_b32_e32 v2, v4, v5
	; wave barrier
	v_and_b32_e32 v1, v2, v1
	v_mbcnt_lo_u32_b32 v25, v1, 0
	v_cmp_ne_u32_e64 s1, 0, v1
	v_cmp_eq_u32_e32 vcc_lo, 0, v25
	s_and_b32 s2, s1, vcc_lo
	s_and_saveexec_b32 s1, s2
	s_cbranch_execz .LBB1270_61
; %bb.60:
	s_waitcnt lgkmcnt(0)
	v_bcnt_u32_b32 v1, v1, v24
	ds_write_b32 v26, v1 offset:128
.LBB1270_61:
	s_or_b32 exec_lo, exec_lo, s1
	; wave barrier
	s_waitcnt lgkmcnt(0)
	s_barrier
	buffer_gl0_inv
	ds_read2_b32 v[7:8], v14 offset0:32 offset1:33
	ds_read2_b32 v[5:6], v14 offset0:34 offset1:35
	;; [unrolled: 1-line block ×4, first 2 shown]
	ds_read_b32 v27, v14 offset:160
	v_and_b32_e32 v30, 16, v12
	v_and_b32_e32 v31, 31, v0
	s_mov_b32 s6, exec_lo
	v_cmp_eq_u32_e64 s4, 0, v30
	s_waitcnt lgkmcnt(3)
	v_add3_u32 v28, v8, v7, v5
	s_waitcnt lgkmcnt(2)
	v_add3_u32 v28, v28, v6, v3
	;; [unrolled: 2-line block ×4, first 2 shown]
	v_and_b32_e32 v28, 15, v12
	v_mov_b32_dpp v29, v27 row_shr:1 row_mask:0xf bank_mask:0xf
	v_cmp_eq_u32_e32 vcc_lo, 0, v28
	v_cmp_lt_u32_e64 s1, 1, v28
	v_cmp_lt_u32_e64 s2, 3, v28
	;; [unrolled: 1-line block ×3, first 2 shown]
	v_cndmask_b32_e64 v29, v29, 0, vcc_lo
	v_add_nc_u32_e32 v27, v29, v27
	v_mov_b32_dpp v29, v27 row_shr:2 row_mask:0xf bank_mask:0xf
	v_cndmask_b32_e64 v29, 0, v29, s1
	v_add_nc_u32_e32 v27, v27, v29
	v_mov_b32_dpp v29, v27 row_shr:4 row_mask:0xf bank_mask:0xf
	v_cndmask_b32_e64 v29, 0, v29, s2
	;; [unrolled: 3-line block ×3, first 2 shown]
	v_bfe_i32 v29, v12, 4, 1
	v_add_nc_u32_e32 v27, v27, v28
	ds_swizzle_b32 v28, v27 offset:swizzle(BROADCAST,32,15)
	s_waitcnt lgkmcnt(0)
	v_and_b32_e32 v29, v29, v28
	v_lshrrev_b32_e32 v28, 5, v0
	v_add_nc_u32_e32 v27, v27, v29
	v_cmpx_eq_u32_e32 31, v31
; %bb.62:
	v_lshlrev_b32_e32 v29, 2, v28
	ds_write_b32 v29, v27
; %bb.63:
	s_or_b32 exec_lo, exec_lo, s6
	v_cmp_lt_u32_e64 s5, 31, v0
	s_mov_b32 s9, exec_lo
	s_waitcnt lgkmcnt(0)
	s_barrier
	buffer_gl0_inv
	v_cmpx_gt_u32_e32 32, v0
	s_cbranch_execz .LBB1270_65
; %bb.64:
	ds_read_b32 v29, v11
	s_waitcnt lgkmcnt(0)
	v_mov_b32_dpp v30, v29 row_shr:1 row_mask:0xf bank_mask:0xf
	v_cndmask_b32_e64 v30, v30, 0, vcc_lo
	v_add_nc_u32_e32 v29, v30, v29
	v_mov_b32_dpp v30, v29 row_shr:2 row_mask:0xf bank_mask:0xf
	v_cndmask_b32_e64 v30, 0, v30, s1
	v_add_nc_u32_e32 v29, v29, v30
	v_mov_b32_dpp v30, v29 row_shr:4 row_mask:0xf bank_mask:0xf
	v_cndmask_b32_e64 v30, 0, v30, s2
	v_add_nc_u32_e32 v29, v29, v30
	v_mov_b32_dpp v30, v29 row_shr:8 row_mask:0xf bank_mask:0xf
	v_cndmask_b32_e64 v30, 0, v30, s3
	v_add_nc_u32_e32 v29, v29, v30
	ds_swizzle_b32 v30, v29 offset:swizzle(BROADCAST,32,15)
	s_waitcnt lgkmcnt(0)
	v_cndmask_b32_e64 v30, v30, 0, s4
	v_add_nc_u32_e32 v29, v29, v30
	ds_write_b32 v11, v29
.LBB1270_65:
	s_or_b32 exec_lo, exec_lo, s9
	v_mov_b32_e32 v29, 0
	s_waitcnt lgkmcnt(0)
	s_barrier
	buffer_gl0_inv
	s_and_saveexec_b32 s1, s5
; %bb.66:
	v_lshl_add_u32 v28, v28, 2, -4
	ds_read_b32 v29, v28
; %bb.67:
	s_or_b32 exec_lo, exec_lo, s1
	v_sub_co_u32 v28, vcc_lo, v12, 1
	s_waitcnt lgkmcnt(0)
	v_add_nc_u32_e32 v27, v29, v27
	v_cmp_gt_i32_e64 s1, 0, v28
	v_cndmask_b32_e64 v12, v28, v12, s1
	v_lshlrev_b32_e32 v12, 2, v12
	ds_bpermute_b32 v12, v12, v27
	s_waitcnt lgkmcnt(0)
	v_cndmask_b32_e32 v12, v12, v29, vcc_lo
	v_cmp_lt_u32_e32 vcc_lo, 0xff, v0
	v_cndmask_b32_e64 v12, v12, 0, s0
	v_cmp_gt_u32_e64 s0, 0x100, v0
	v_add_nc_u32_e32 v7, v12, v7
	v_add_nc_u32_e32 v8, v7, v8
	;; [unrolled: 1-line block ×8, first 2 shown]
	ds_write2_b32 v14, v12, v7 offset0:32 offset1:33
	ds_write2_b32 v14, v8, v5 offset0:34 offset1:35
	;; [unrolled: 1-line block ×4, first 2 shown]
	ds_write_b32 v14, v2 offset:160
	s_waitcnt lgkmcnt(0)
	s_barrier
	buffer_gl0_inv
	ds_read_b32 v1, v15 offset:128
	ds_read_b32 v4, v19 offset:128
	;; [unrolled: 1-line block ×4, first 2 shown]
                                        ; implicit-def: $vgpr7
                                        ; implicit-def: $vgpr8
	s_and_saveexec_b32 s2, s0
	s_cbranch_execz .LBB1270_71
; %bb.68:
	v_mul_u32_u24_e32 v5, 0x84, v0
	v_add_nc_u32_e32 v6, 1, v0
	s_mov_b32 s3, exec_lo
	ds_read_b32 v7, v5 offset:128
	v_mov_b32_e32 v5, 0x1000
	v_cmpx_ne_u32_e32 0x100, v6
; %bb.69:
	v_mul_u32_u24_e32 v5, 0x84, v6
	ds_read_b32 v5, v5 offset:128
; %bb.70:
	s_or_b32 exec_lo, exec_lo, s3
	s_waitcnt lgkmcnt(0)
	v_sub_nc_u32_e32 v8, v5, v7
.LBB1270_71:
	s_or_b32 exec_lo, exec_lo, s2
	v_lshlrev_b32_e32 v5, 2, v10
	v_lshlrev_b32_e32 v10, 2, v16
	;; [unrolled: 1-line block ×4, first 2 shown]
	s_waitcnt lgkmcnt(0)
	v_lshlrev_b32_e32 v2, 2, v2
	v_lshlrev_b32_e32 v6, 2, v18
	;; [unrolled: 1-line block ×6, first 2 shown]
	v_lshl_add_u32 v1, v1, 2, v5
	v_add3_u32 v5, v15, v16, v2
	v_mov_b32_e32 v2, 0
	v_add3_u32 v4, v6, v10, v4
	v_add3_u32 v3, v12, v14, v3
	s_barrier
	buffer_gl0_inv
	ds_write_b32 v1, v9 offset:1024
	ds_write_b32 v4, v13 offset:1024
	;; [unrolled: 1-line block ×4, first 2 shown]
	s_and_saveexec_b32 s1, s0
	s_cbranch_execz .LBB1270_81
; %bb.72:
	v_lshl_add_u32 v1, s23, 8, v0
	v_mov_b32_e32 v9, 0
	s_mov_b32 s2, 0
	s_mov_b32 s3, s23
	v_lshlrev_b64 v[3:4], 2, v[1:2]
	v_or_b32_e32 v1, 2.0, v8
	v_add_co_u32 v3, s0, s10, v3
	v_add_co_ci_u32_e64 v4, null, s11, v4, s0
                                        ; implicit-def: $sgpr0
	global_store_dword v[3:4], v1, off
	s_branch .LBB1270_75
	.p2align	6
.LBB1270_73:                            ;   in Loop: Header=BB1270_75 Depth=1
	s_or_b32 exec_lo, exec_lo, s5
.LBB1270_74:                            ;   in Loop: Header=BB1270_75 Depth=1
	s_or_b32 exec_lo, exec_lo, s4
	v_and_b32_e32 v5, 0x3fffffff, v1
	v_cmp_gt_i32_e64 s0, -2.0, v1
	v_add_nc_u32_e32 v9, v5, v9
	s_and_b32 s4, exec_lo, s0
	s_or_b32 s2, s4, s2
	s_andn2_b32 exec_lo, exec_lo, s2
	s_cbranch_execz .LBB1270_80
.LBB1270_75:                            ; =>This Loop Header: Depth=1
                                        ;     Child Loop BB1270_78 Depth 2
	s_or_b32 s0, s0, exec_lo
	s_cmp_eq_u32 s3, 0
	s_cbranch_scc1 .LBB1270_79
; %bb.76:                               ;   in Loop: Header=BB1270_75 Depth=1
	s_add_i32 s3, s3, -1
	s_mov_b32 s4, exec_lo
	v_lshl_or_b32 v1, s3, 8, v0
	v_lshlrev_b64 v[5:6], 2, v[1:2]
	v_add_co_u32 v5, s0, s10, v5
	v_add_co_ci_u32_e64 v6, null, s11, v6, s0
	global_load_dword v1, v[5:6], off glc dlc
	s_waitcnt vmcnt(0)
	v_cmpx_gt_u32_e32 2.0, v1
	s_cbranch_execz .LBB1270_74
; %bb.77:                               ;   in Loop: Header=BB1270_75 Depth=1
	s_mov_b32 s5, 0
.LBB1270_78:                            ;   Parent Loop BB1270_75 Depth=1
                                        ; =>  This Inner Loop Header: Depth=2
	global_load_dword v1, v[5:6], off glc dlc
	s_waitcnt vmcnt(0)
	v_cmp_lt_u32_e64 s0, 0x3fffffff, v1
	s_or_b32 s5, s0, s5
	s_andn2_b32 exec_lo, exec_lo, s5
	s_cbranch_execnz .LBB1270_78
	s_branch .LBB1270_73
.LBB1270_79:                            ;   in Loop: Header=BB1270_75 Depth=1
                                        ; implicit-def: $sgpr3
	s_and_b32 s4, exec_lo, s0
	s_or_b32 s2, s4, s2
	s_andn2_b32 exec_lo, exec_lo, s2
	s_cbranch_execnz .LBB1270_75
.LBB1270_80:
	s_or_b32 exec_lo, exec_lo, s2
	v_add_nc_u32_e32 v1, v9, v8
	v_sub_nc_u32_e32 v2, v9, v7
	v_or_b32_e32 v1, 0x80000000, v1
	global_store_dword v[3:4], v1, off
	global_load_dword v1, v11, s[12:13]
	s_waitcnt vmcnt(0)
	v_add_nc_u32_e32 v1, v2, v1
	ds_write_b32 v11, v1
.LBB1270_81:
	s_or_b32 exec_lo, exec_lo, s1
	s_waitcnt lgkmcnt(0)
	s_waitcnt_vscnt null, 0x0
	s_barrier
	buffer_gl0_inv
	ds_read2st64_b32 v[1:2], v11 offset0:4 offset1:20
	ds_read2st64_b32 v[3:4], v11 offset0:36 offset1:52
	s_add_i32 s7, s7, -1
	s_cmp_eq_u32 s23, s7
	s_waitcnt lgkmcnt(1)
	v_lshrrev_b32_e32 v5, s20, v1
	v_lshrrev_b32_e32 v6, s20, v2
	s_waitcnt lgkmcnt(0)
	v_lshrrev_b32_e32 v9, s20, v3
	v_lshrrev_b32_e32 v10, s20, v4
	v_xor_b32_e32 v15, 0x80000000, v1
	v_and_b32_e32 v5, s8, v5
	v_and_b32_e32 v6, s8, v6
	;; [unrolled: 1-line block ×3, first 2 shown]
	v_xor_b32_e32 v16, 0x80000000, v2
	v_xor_b32_e32 v4, 0x80000000, v4
	v_lshlrev_b32_e32 v5, 2, v5
	v_lshlrev_b32_e32 v6, 2, v6
	ds_read_b32 v5, v5
	ds_read_b32 v12, v6
	v_lshlrev_b32_e32 v6, 2, v9
	v_and_b32_e32 v9, s8, v10
	ds_read_b32 v13, v6
	v_lshlrev_b32_e32 v6, 2, v9
	ds_read_b32 v14, v6
	v_mov_b32_e32 v6, 0
	s_waitcnt lgkmcnt(3)
	v_add_nc_u32_e32 v5, v5, v0
	v_lshlrev_b64 v[9:10], 2, v[5:6]
	s_waitcnt lgkmcnt(2)
	v_add3_u32 v5, v12, v0, 0x400
	v_lshlrev_b64 v[1:2], 2, v[5:6]
	s_waitcnt lgkmcnt(1)
	v_add3_u32 v5, v13, v0, 0x800
	v_add_co_u32 v9, s0, s18, v9
	v_add_co_ci_u32_e64 v10, null, s19, v10, s0
	v_lshlrev_b64 v[12:13], 2, v[5:6]
	s_waitcnt lgkmcnt(0)
	v_add3_u32 v5, v14, v0, 0xc00
	v_add_co_u32 v0, s0, s18, v1
	v_add_co_ci_u32_e64 v1, null, s19, v2, s0
	v_xor_b32_e32 v14, 0x80000000, v3
	v_lshlrev_b64 v[2:3], 2, v[5:6]
	global_store_dword v[9:10], v15, off
	global_store_dword v[0:1], v16, off
	v_add_co_u32 v0, s0, s18, v12
	v_add_co_ci_u32_e64 v1, null, s19, v13, s0
	v_add_co_u32 v2, s0, s18, v2
	v_add_co_ci_u32_e64 v3, null, s19, v3, s0
	s_cselect_b32 s0, -1, 0
	s_xor_b32 s1, vcc_lo, -1
	global_store_dword v[0:1], v14, off
	s_and_b32 s0, s1, s0
	global_store_dword v[2:3], v4, off
	s_and_saveexec_b32 s1, s0
	s_cbranch_execz .LBB1270_83
; %bb.82:
	ds_read_b32 v0, v11
	s_waitcnt lgkmcnt(0)
	v_add3_u32 v0, v7, v8, v0
	global_store_dword v11, v0, s[14:15]
.LBB1270_83:
	s_endpgm
	.section	.rodata,"a",@progbits
	.p2align	6, 0x0
	.amdhsa_kernel _ZN7rocprim17ROCPRIM_400000_NS6detail17trampoline_kernelINS0_14default_configENS1_35radix_sort_onesweep_config_selectorIiNS0_10empty_typeEEEZZNS1_29radix_sort_onesweep_iterationIS3_Lb0EN6thrust23THRUST_200600_302600_NS10device_ptrIiEESB_PS5_SC_jNS0_19identity_decomposerENS1_16block_id_wrapperIjLb1EEEEE10hipError_tT1_PNSt15iterator_traitsISH_E10value_typeET2_T3_PNSI_ISN_E10value_typeET4_T5_PSS_ST_PNS1_23onesweep_lookback_stateEbbT6_jjT7_P12ihipStream_tbENKUlT_T0_SH_SM_E_clIPiSB_SC_SC_EEDaS10_S11_SH_SM_EUlS10_E_NS1_11comp_targetILNS1_3genE8ELNS1_11target_archE1030ELNS1_3gpuE2ELNS1_3repE0EEENS1_47radix_sort_onesweep_sort_config_static_selectorELNS0_4arch9wavefront6targetE0EEEvSH_
		.amdhsa_group_segment_fixed_size 37000
		.amdhsa_private_segment_fixed_size 0
		.amdhsa_kernarg_size 344
		.amdhsa_user_sgpr_count 6
		.amdhsa_user_sgpr_private_segment_buffer 1
		.amdhsa_user_sgpr_dispatch_ptr 0
		.amdhsa_user_sgpr_queue_ptr 0
		.amdhsa_user_sgpr_kernarg_segment_ptr 1
		.amdhsa_user_sgpr_dispatch_id 0
		.amdhsa_user_sgpr_flat_scratch_init 0
		.amdhsa_user_sgpr_private_segment_size 0
		.amdhsa_wavefront_size32 1
		.amdhsa_uses_dynamic_stack 0
		.amdhsa_system_sgpr_private_segment_wavefront_offset 0
		.amdhsa_system_sgpr_workgroup_id_x 1
		.amdhsa_system_sgpr_workgroup_id_y 0
		.amdhsa_system_sgpr_workgroup_id_z 0
		.amdhsa_system_sgpr_workgroup_info 0
		.amdhsa_system_vgpr_workitem_id 2
		.amdhsa_next_free_vgpr 34
		.amdhsa_next_free_sgpr 27
		.amdhsa_reserve_vcc 1
		.amdhsa_reserve_flat_scratch 0
		.amdhsa_float_round_mode_32 0
		.amdhsa_float_round_mode_16_64 0
		.amdhsa_float_denorm_mode_32 3
		.amdhsa_float_denorm_mode_16_64 3
		.amdhsa_dx10_clamp 1
		.amdhsa_ieee_mode 1
		.amdhsa_fp16_overflow 0
		.amdhsa_workgroup_processor_mode 1
		.amdhsa_memory_ordered 1
		.amdhsa_forward_progress 1
		.amdhsa_shared_vgpr_count 0
		.amdhsa_exception_fp_ieee_invalid_op 0
		.amdhsa_exception_fp_denorm_src 0
		.amdhsa_exception_fp_ieee_div_zero 0
		.amdhsa_exception_fp_ieee_overflow 0
		.amdhsa_exception_fp_ieee_underflow 0
		.amdhsa_exception_fp_ieee_inexact 0
		.amdhsa_exception_int_div_zero 0
	.end_amdhsa_kernel
	.section	.text._ZN7rocprim17ROCPRIM_400000_NS6detail17trampoline_kernelINS0_14default_configENS1_35radix_sort_onesweep_config_selectorIiNS0_10empty_typeEEEZZNS1_29radix_sort_onesweep_iterationIS3_Lb0EN6thrust23THRUST_200600_302600_NS10device_ptrIiEESB_PS5_SC_jNS0_19identity_decomposerENS1_16block_id_wrapperIjLb1EEEEE10hipError_tT1_PNSt15iterator_traitsISH_E10value_typeET2_T3_PNSI_ISN_E10value_typeET4_T5_PSS_ST_PNS1_23onesweep_lookback_stateEbbT6_jjT7_P12ihipStream_tbENKUlT_T0_SH_SM_E_clIPiSB_SC_SC_EEDaS10_S11_SH_SM_EUlS10_E_NS1_11comp_targetILNS1_3genE8ELNS1_11target_archE1030ELNS1_3gpuE2ELNS1_3repE0EEENS1_47radix_sort_onesweep_sort_config_static_selectorELNS0_4arch9wavefront6targetE0EEEvSH_,"axG",@progbits,_ZN7rocprim17ROCPRIM_400000_NS6detail17trampoline_kernelINS0_14default_configENS1_35radix_sort_onesweep_config_selectorIiNS0_10empty_typeEEEZZNS1_29radix_sort_onesweep_iterationIS3_Lb0EN6thrust23THRUST_200600_302600_NS10device_ptrIiEESB_PS5_SC_jNS0_19identity_decomposerENS1_16block_id_wrapperIjLb1EEEEE10hipError_tT1_PNSt15iterator_traitsISH_E10value_typeET2_T3_PNSI_ISN_E10value_typeET4_T5_PSS_ST_PNS1_23onesweep_lookback_stateEbbT6_jjT7_P12ihipStream_tbENKUlT_T0_SH_SM_E_clIPiSB_SC_SC_EEDaS10_S11_SH_SM_EUlS10_E_NS1_11comp_targetILNS1_3genE8ELNS1_11target_archE1030ELNS1_3gpuE2ELNS1_3repE0EEENS1_47radix_sort_onesweep_sort_config_static_selectorELNS0_4arch9wavefront6targetE0EEEvSH_,comdat
.Lfunc_end1270:
	.size	_ZN7rocprim17ROCPRIM_400000_NS6detail17trampoline_kernelINS0_14default_configENS1_35radix_sort_onesweep_config_selectorIiNS0_10empty_typeEEEZZNS1_29radix_sort_onesweep_iterationIS3_Lb0EN6thrust23THRUST_200600_302600_NS10device_ptrIiEESB_PS5_SC_jNS0_19identity_decomposerENS1_16block_id_wrapperIjLb1EEEEE10hipError_tT1_PNSt15iterator_traitsISH_E10value_typeET2_T3_PNSI_ISN_E10value_typeET4_T5_PSS_ST_PNS1_23onesweep_lookback_stateEbbT6_jjT7_P12ihipStream_tbENKUlT_T0_SH_SM_E_clIPiSB_SC_SC_EEDaS10_S11_SH_SM_EUlS10_E_NS1_11comp_targetILNS1_3genE8ELNS1_11target_archE1030ELNS1_3gpuE2ELNS1_3repE0EEENS1_47radix_sort_onesweep_sort_config_static_selectorELNS0_4arch9wavefront6targetE0EEEvSH_, .Lfunc_end1270-_ZN7rocprim17ROCPRIM_400000_NS6detail17trampoline_kernelINS0_14default_configENS1_35radix_sort_onesweep_config_selectorIiNS0_10empty_typeEEEZZNS1_29radix_sort_onesweep_iterationIS3_Lb0EN6thrust23THRUST_200600_302600_NS10device_ptrIiEESB_PS5_SC_jNS0_19identity_decomposerENS1_16block_id_wrapperIjLb1EEEEE10hipError_tT1_PNSt15iterator_traitsISH_E10value_typeET2_T3_PNSI_ISN_E10value_typeET4_T5_PSS_ST_PNS1_23onesweep_lookback_stateEbbT6_jjT7_P12ihipStream_tbENKUlT_T0_SH_SM_E_clIPiSB_SC_SC_EEDaS10_S11_SH_SM_EUlS10_E_NS1_11comp_targetILNS1_3genE8ELNS1_11target_archE1030ELNS1_3gpuE2ELNS1_3repE0EEENS1_47radix_sort_onesweep_sort_config_static_selectorELNS0_4arch9wavefront6targetE0EEEvSH_
                                        ; -- End function
	.set _ZN7rocprim17ROCPRIM_400000_NS6detail17trampoline_kernelINS0_14default_configENS1_35radix_sort_onesweep_config_selectorIiNS0_10empty_typeEEEZZNS1_29radix_sort_onesweep_iterationIS3_Lb0EN6thrust23THRUST_200600_302600_NS10device_ptrIiEESB_PS5_SC_jNS0_19identity_decomposerENS1_16block_id_wrapperIjLb1EEEEE10hipError_tT1_PNSt15iterator_traitsISH_E10value_typeET2_T3_PNSI_ISN_E10value_typeET4_T5_PSS_ST_PNS1_23onesweep_lookback_stateEbbT6_jjT7_P12ihipStream_tbENKUlT_T0_SH_SM_E_clIPiSB_SC_SC_EEDaS10_S11_SH_SM_EUlS10_E_NS1_11comp_targetILNS1_3genE8ELNS1_11target_archE1030ELNS1_3gpuE2ELNS1_3repE0EEENS1_47radix_sort_onesweep_sort_config_static_selectorELNS0_4arch9wavefront6targetE0EEEvSH_.num_vgpr, 34
	.set _ZN7rocprim17ROCPRIM_400000_NS6detail17trampoline_kernelINS0_14default_configENS1_35radix_sort_onesweep_config_selectorIiNS0_10empty_typeEEEZZNS1_29radix_sort_onesweep_iterationIS3_Lb0EN6thrust23THRUST_200600_302600_NS10device_ptrIiEESB_PS5_SC_jNS0_19identity_decomposerENS1_16block_id_wrapperIjLb1EEEEE10hipError_tT1_PNSt15iterator_traitsISH_E10value_typeET2_T3_PNSI_ISN_E10value_typeET4_T5_PSS_ST_PNS1_23onesweep_lookback_stateEbbT6_jjT7_P12ihipStream_tbENKUlT_T0_SH_SM_E_clIPiSB_SC_SC_EEDaS10_S11_SH_SM_EUlS10_E_NS1_11comp_targetILNS1_3genE8ELNS1_11target_archE1030ELNS1_3gpuE2ELNS1_3repE0EEENS1_47radix_sort_onesweep_sort_config_static_selectorELNS0_4arch9wavefront6targetE0EEEvSH_.num_agpr, 0
	.set _ZN7rocprim17ROCPRIM_400000_NS6detail17trampoline_kernelINS0_14default_configENS1_35radix_sort_onesweep_config_selectorIiNS0_10empty_typeEEEZZNS1_29radix_sort_onesweep_iterationIS3_Lb0EN6thrust23THRUST_200600_302600_NS10device_ptrIiEESB_PS5_SC_jNS0_19identity_decomposerENS1_16block_id_wrapperIjLb1EEEEE10hipError_tT1_PNSt15iterator_traitsISH_E10value_typeET2_T3_PNSI_ISN_E10value_typeET4_T5_PSS_ST_PNS1_23onesweep_lookback_stateEbbT6_jjT7_P12ihipStream_tbENKUlT_T0_SH_SM_E_clIPiSB_SC_SC_EEDaS10_S11_SH_SM_EUlS10_E_NS1_11comp_targetILNS1_3genE8ELNS1_11target_archE1030ELNS1_3gpuE2ELNS1_3repE0EEENS1_47radix_sort_onesweep_sort_config_static_selectorELNS0_4arch9wavefront6targetE0EEEvSH_.numbered_sgpr, 27
	.set _ZN7rocprim17ROCPRIM_400000_NS6detail17trampoline_kernelINS0_14default_configENS1_35radix_sort_onesweep_config_selectorIiNS0_10empty_typeEEEZZNS1_29radix_sort_onesweep_iterationIS3_Lb0EN6thrust23THRUST_200600_302600_NS10device_ptrIiEESB_PS5_SC_jNS0_19identity_decomposerENS1_16block_id_wrapperIjLb1EEEEE10hipError_tT1_PNSt15iterator_traitsISH_E10value_typeET2_T3_PNSI_ISN_E10value_typeET4_T5_PSS_ST_PNS1_23onesweep_lookback_stateEbbT6_jjT7_P12ihipStream_tbENKUlT_T0_SH_SM_E_clIPiSB_SC_SC_EEDaS10_S11_SH_SM_EUlS10_E_NS1_11comp_targetILNS1_3genE8ELNS1_11target_archE1030ELNS1_3gpuE2ELNS1_3repE0EEENS1_47radix_sort_onesweep_sort_config_static_selectorELNS0_4arch9wavefront6targetE0EEEvSH_.num_named_barrier, 0
	.set _ZN7rocprim17ROCPRIM_400000_NS6detail17trampoline_kernelINS0_14default_configENS1_35radix_sort_onesweep_config_selectorIiNS0_10empty_typeEEEZZNS1_29radix_sort_onesweep_iterationIS3_Lb0EN6thrust23THRUST_200600_302600_NS10device_ptrIiEESB_PS5_SC_jNS0_19identity_decomposerENS1_16block_id_wrapperIjLb1EEEEE10hipError_tT1_PNSt15iterator_traitsISH_E10value_typeET2_T3_PNSI_ISN_E10value_typeET4_T5_PSS_ST_PNS1_23onesweep_lookback_stateEbbT6_jjT7_P12ihipStream_tbENKUlT_T0_SH_SM_E_clIPiSB_SC_SC_EEDaS10_S11_SH_SM_EUlS10_E_NS1_11comp_targetILNS1_3genE8ELNS1_11target_archE1030ELNS1_3gpuE2ELNS1_3repE0EEENS1_47radix_sort_onesweep_sort_config_static_selectorELNS0_4arch9wavefront6targetE0EEEvSH_.private_seg_size, 0
	.set _ZN7rocprim17ROCPRIM_400000_NS6detail17trampoline_kernelINS0_14default_configENS1_35radix_sort_onesweep_config_selectorIiNS0_10empty_typeEEEZZNS1_29radix_sort_onesweep_iterationIS3_Lb0EN6thrust23THRUST_200600_302600_NS10device_ptrIiEESB_PS5_SC_jNS0_19identity_decomposerENS1_16block_id_wrapperIjLb1EEEEE10hipError_tT1_PNSt15iterator_traitsISH_E10value_typeET2_T3_PNSI_ISN_E10value_typeET4_T5_PSS_ST_PNS1_23onesweep_lookback_stateEbbT6_jjT7_P12ihipStream_tbENKUlT_T0_SH_SM_E_clIPiSB_SC_SC_EEDaS10_S11_SH_SM_EUlS10_E_NS1_11comp_targetILNS1_3genE8ELNS1_11target_archE1030ELNS1_3gpuE2ELNS1_3repE0EEENS1_47radix_sort_onesweep_sort_config_static_selectorELNS0_4arch9wavefront6targetE0EEEvSH_.uses_vcc, 1
	.set _ZN7rocprim17ROCPRIM_400000_NS6detail17trampoline_kernelINS0_14default_configENS1_35radix_sort_onesweep_config_selectorIiNS0_10empty_typeEEEZZNS1_29radix_sort_onesweep_iterationIS3_Lb0EN6thrust23THRUST_200600_302600_NS10device_ptrIiEESB_PS5_SC_jNS0_19identity_decomposerENS1_16block_id_wrapperIjLb1EEEEE10hipError_tT1_PNSt15iterator_traitsISH_E10value_typeET2_T3_PNSI_ISN_E10value_typeET4_T5_PSS_ST_PNS1_23onesweep_lookback_stateEbbT6_jjT7_P12ihipStream_tbENKUlT_T0_SH_SM_E_clIPiSB_SC_SC_EEDaS10_S11_SH_SM_EUlS10_E_NS1_11comp_targetILNS1_3genE8ELNS1_11target_archE1030ELNS1_3gpuE2ELNS1_3repE0EEENS1_47radix_sort_onesweep_sort_config_static_selectorELNS0_4arch9wavefront6targetE0EEEvSH_.uses_flat_scratch, 0
	.set _ZN7rocprim17ROCPRIM_400000_NS6detail17trampoline_kernelINS0_14default_configENS1_35radix_sort_onesweep_config_selectorIiNS0_10empty_typeEEEZZNS1_29radix_sort_onesweep_iterationIS3_Lb0EN6thrust23THRUST_200600_302600_NS10device_ptrIiEESB_PS5_SC_jNS0_19identity_decomposerENS1_16block_id_wrapperIjLb1EEEEE10hipError_tT1_PNSt15iterator_traitsISH_E10value_typeET2_T3_PNSI_ISN_E10value_typeET4_T5_PSS_ST_PNS1_23onesweep_lookback_stateEbbT6_jjT7_P12ihipStream_tbENKUlT_T0_SH_SM_E_clIPiSB_SC_SC_EEDaS10_S11_SH_SM_EUlS10_E_NS1_11comp_targetILNS1_3genE8ELNS1_11target_archE1030ELNS1_3gpuE2ELNS1_3repE0EEENS1_47radix_sort_onesweep_sort_config_static_selectorELNS0_4arch9wavefront6targetE0EEEvSH_.has_dyn_sized_stack, 0
	.set _ZN7rocprim17ROCPRIM_400000_NS6detail17trampoline_kernelINS0_14default_configENS1_35radix_sort_onesweep_config_selectorIiNS0_10empty_typeEEEZZNS1_29radix_sort_onesweep_iterationIS3_Lb0EN6thrust23THRUST_200600_302600_NS10device_ptrIiEESB_PS5_SC_jNS0_19identity_decomposerENS1_16block_id_wrapperIjLb1EEEEE10hipError_tT1_PNSt15iterator_traitsISH_E10value_typeET2_T3_PNSI_ISN_E10value_typeET4_T5_PSS_ST_PNS1_23onesweep_lookback_stateEbbT6_jjT7_P12ihipStream_tbENKUlT_T0_SH_SM_E_clIPiSB_SC_SC_EEDaS10_S11_SH_SM_EUlS10_E_NS1_11comp_targetILNS1_3genE8ELNS1_11target_archE1030ELNS1_3gpuE2ELNS1_3repE0EEENS1_47radix_sort_onesweep_sort_config_static_selectorELNS0_4arch9wavefront6targetE0EEEvSH_.has_recursion, 0
	.set _ZN7rocprim17ROCPRIM_400000_NS6detail17trampoline_kernelINS0_14default_configENS1_35radix_sort_onesweep_config_selectorIiNS0_10empty_typeEEEZZNS1_29radix_sort_onesweep_iterationIS3_Lb0EN6thrust23THRUST_200600_302600_NS10device_ptrIiEESB_PS5_SC_jNS0_19identity_decomposerENS1_16block_id_wrapperIjLb1EEEEE10hipError_tT1_PNSt15iterator_traitsISH_E10value_typeET2_T3_PNSI_ISN_E10value_typeET4_T5_PSS_ST_PNS1_23onesweep_lookback_stateEbbT6_jjT7_P12ihipStream_tbENKUlT_T0_SH_SM_E_clIPiSB_SC_SC_EEDaS10_S11_SH_SM_EUlS10_E_NS1_11comp_targetILNS1_3genE8ELNS1_11target_archE1030ELNS1_3gpuE2ELNS1_3repE0EEENS1_47radix_sort_onesweep_sort_config_static_selectorELNS0_4arch9wavefront6targetE0EEEvSH_.has_indirect_call, 0
	.section	.AMDGPU.csdata,"",@progbits
; Kernel info:
; codeLenInByte = 6780
; TotalNumSgprs: 29
; NumVgprs: 34
; ScratchSize: 0
; MemoryBound: 0
; FloatMode: 240
; IeeeMode: 1
; LDSByteSize: 37000 bytes/workgroup (compile time only)
; SGPRBlocks: 0
; VGPRBlocks: 4
; NumSGPRsForWavesPerEU: 29
; NumVGPRsForWavesPerEU: 34
; Occupancy: 16
; WaveLimiterHint : 1
; COMPUTE_PGM_RSRC2:SCRATCH_EN: 0
; COMPUTE_PGM_RSRC2:USER_SGPR: 6
; COMPUTE_PGM_RSRC2:TRAP_HANDLER: 0
; COMPUTE_PGM_RSRC2:TGID_X_EN: 1
; COMPUTE_PGM_RSRC2:TGID_Y_EN: 0
; COMPUTE_PGM_RSRC2:TGID_Z_EN: 0
; COMPUTE_PGM_RSRC2:TIDIG_COMP_CNT: 2
	.section	.text._ZN7rocprim17ROCPRIM_400000_NS6detail17trampoline_kernelINS0_14default_configENS1_35radix_sort_onesweep_config_selectorIiNS0_10empty_typeEEEZZNS1_29radix_sort_onesweep_iterationIS3_Lb0EN6thrust23THRUST_200600_302600_NS10device_ptrIiEESB_PS5_SC_jNS0_19identity_decomposerENS1_16block_id_wrapperIjLb0EEEEE10hipError_tT1_PNSt15iterator_traitsISH_E10value_typeET2_T3_PNSI_ISN_E10value_typeET4_T5_PSS_ST_PNS1_23onesweep_lookback_stateEbbT6_jjT7_P12ihipStream_tbENKUlT_T0_SH_SM_E_clISB_SB_SC_SC_EEDaS10_S11_SH_SM_EUlS10_E_NS1_11comp_targetILNS1_3genE0ELNS1_11target_archE4294967295ELNS1_3gpuE0ELNS1_3repE0EEENS1_47radix_sort_onesweep_sort_config_static_selectorELNS0_4arch9wavefront6targetE0EEEvSH_,"axG",@progbits,_ZN7rocprim17ROCPRIM_400000_NS6detail17trampoline_kernelINS0_14default_configENS1_35radix_sort_onesweep_config_selectorIiNS0_10empty_typeEEEZZNS1_29radix_sort_onesweep_iterationIS3_Lb0EN6thrust23THRUST_200600_302600_NS10device_ptrIiEESB_PS5_SC_jNS0_19identity_decomposerENS1_16block_id_wrapperIjLb0EEEEE10hipError_tT1_PNSt15iterator_traitsISH_E10value_typeET2_T3_PNSI_ISN_E10value_typeET4_T5_PSS_ST_PNS1_23onesweep_lookback_stateEbbT6_jjT7_P12ihipStream_tbENKUlT_T0_SH_SM_E_clISB_SB_SC_SC_EEDaS10_S11_SH_SM_EUlS10_E_NS1_11comp_targetILNS1_3genE0ELNS1_11target_archE4294967295ELNS1_3gpuE0ELNS1_3repE0EEENS1_47radix_sort_onesweep_sort_config_static_selectorELNS0_4arch9wavefront6targetE0EEEvSH_,comdat
	.protected	_ZN7rocprim17ROCPRIM_400000_NS6detail17trampoline_kernelINS0_14default_configENS1_35radix_sort_onesweep_config_selectorIiNS0_10empty_typeEEEZZNS1_29radix_sort_onesweep_iterationIS3_Lb0EN6thrust23THRUST_200600_302600_NS10device_ptrIiEESB_PS5_SC_jNS0_19identity_decomposerENS1_16block_id_wrapperIjLb0EEEEE10hipError_tT1_PNSt15iterator_traitsISH_E10value_typeET2_T3_PNSI_ISN_E10value_typeET4_T5_PSS_ST_PNS1_23onesweep_lookback_stateEbbT6_jjT7_P12ihipStream_tbENKUlT_T0_SH_SM_E_clISB_SB_SC_SC_EEDaS10_S11_SH_SM_EUlS10_E_NS1_11comp_targetILNS1_3genE0ELNS1_11target_archE4294967295ELNS1_3gpuE0ELNS1_3repE0EEENS1_47radix_sort_onesweep_sort_config_static_selectorELNS0_4arch9wavefront6targetE0EEEvSH_ ; -- Begin function _ZN7rocprim17ROCPRIM_400000_NS6detail17trampoline_kernelINS0_14default_configENS1_35radix_sort_onesweep_config_selectorIiNS0_10empty_typeEEEZZNS1_29radix_sort_onesweep_iterationIS3_Lb0EN6thrust23THRUST_200600_302600_NS10device_ptrIiEESB_PS5_SC_jNS0_19identity_decomposerENS1_16block_id_wrapperIjLb0EEEEE10hipError_tT1_PNSt15iterator_traitsISH_E10value_typeET2_T3_PNSI_ISN_E10value_typeET4_T5_PSS_ST_PNS1_23onesweep_lookback_stateEbbT6_jjT7_P12ihipStream_tbENKUlT_T0_SH_SM_E_clISB_SB_SC_SC_EEDaS10_S11_SH_SM_EUlS10_E_NS1_11comp_targetILNS1_3genE0ELNS1_11target_archE4294967295ELNS1_3gpuE0ELNS1_3repE0EEENS1_47radix_sort_onesweep_sort_config_static_selectorELNS0_4arch9wavefront6targetE0EEEvSH_
	.globl	_ZN7rocprim17ROCPRIM_400000_NS6detail17trampoline_kernelINS0_14default_configENS1_35radix_sort_onesweep_config_selectorIiNS0_10empty_typeEEEZZNS1_29radix_sort_onesweep_iterationIS3_Lb0EN6thrust23THRUST_200600_302600_NS10device_ptrIiEESB_PS5_SC_jNS0_19identity_decomposerENS1_16block_id_wrapperIjLb0EEEEE10hipError_tT1_PNSt15iterator_traitsISH_E10value_typeET2_T3_PNSI_ISN_E10value_typeET4_T5_PSS_ST_PNS1_23onesweep_lookback_stateEbbT6_jjT7_P12ihipStream_tbENKUlT_T0_SH_SM_E_clISB_SB_SC_SC_EEDaS10_S11_SH_SM_EUlS10_E_NS1_11comp_targetILNS1_3genE0ELNS1_11target_archE4294967295ELNS1_3gpuE0ELNS1_3repE0EEENS1_47radix_sort_onesweep_sort_config_static_selectorELNS0_4arch9wavefront6targetE0EEEvSH_
	.p2align	8
	.type	_ZN7rocprim17ROCPRIM_400000_NS6detail17trampoline_kernelINS0_14default_configENS1_35radix_sort_onesweep_config_selectorIiNS0_10empty_typeEEEZZNS1_29radix_sort_onesweep_iterationIS3_Lb0EN6thrust23THRUST_200600_302600_NS10device_ptrIiEESB_PS5_SC_jNS0_19identity_decomposerENS1_16block_id_wrapperIjLb0EEEEE10hipError_tT1_PNSt15iterator_traitsISH_E10value_typeET2_T3_PNSI_ISN_E10value_typeET4_T5_PSS_ST_PNS1_23onesweep_lookback_stateEbbT6_jjT7_P12ihipStream_tbENKUlT_T0_SH_SM_E_clISB_SB_SC_SC_EEDaS10_S11_SH_SM_EUlS10_E_NS1_11comp_targetILNS1_3genE0ELNS1_11target_archE4294967295ELNS1_3gpuE0ELNS1_3repE0EEENS1_47radix_sort_onesweep_sort_config_static_selectorELNS0_4arch9wavefront6targetE0EEEvSH_,@function
_ZN7rocprim17ROCPRIM_400000_NS6detail17trampoline_kernelINS0_14default_configENS1_35radix_sort_onesweep_config_selectorIiNS0_10empty_typeEEEZZNS1_29radix_sort_onesweep_iterationIS3_Lb0EN6thrust23THRUST_200600_302600_NS10device_ptrIiEESB_PS5_SC_jNS0_19identity_decomposerENS1_16block_id_wrapperIjLb0EEEEE10hipError_tT1_PNSt15iterator_traitsISH_E10value_typeET2_T3_PNSI_ISN_E10value_typeET4_T5_PSS_ST_PNS1_23onesweep_lookback_stateEbbT6_jjT7_P12ihipStream_tbENKUlT_T0_SH_SM_E_clISB_SB_SC_SC_EEDaS10_S11_SH_SM_EUlS10_E_NS1_11comp_targetILNS1_3genE0ELNS1_11target_archE4294967295ELNS1_3gpuE0ELNS1_3repE0EEENS1_47radix_sort_onesweep_sort_config_static_selectorELNS0_4arch9wavefront6targetE0EEEvSH_: ; @_ZN7rocprim17ROCPRIM_400000_NS6detail17trampoline_kernelINS0_14default_configENS1_35radix_sort_onesweep_config_selectorIiNS0_10empty_typeEEEZZNS1_29radix_sort_onesweep_iterationIS3_Lb0EN6thrust23THRUST_200600_302600_NS10device_ptrIiEESB_PS5_SC_jNS0_19identity_decomposerENS1_16block_id_wrapperIjLb0EEEEE10hipError_tT1_PNSt15iterator_traitsISH_E10value_typeET2_T3_PNSI_ISN_E10value_typeET4_T5_PSS_ST_PNS1_23onesweep_lookback_stateEbbT6_jjT7_P12ihipStream_tbENKUlT_T0_SH_SM_E_clISB_SB_SC_SC_EEDaS10_S11_SH_SM_EUlS10_E_NS1_11comp_targetILNS1_3genE0ELNS1_11target_archE4294967295ELNS1_3gpuE0ELNS1_3repE0EEENS1_47radix_sort_onesweep_sort_config_static_selectorELNS0_4arch9wavefront6targetE0EEEvSH_
; %bb.0:
	.section	.rodata,"a",@progbits
	.p2align	6, 0x0
	.amdhsa_kernel _ZN7rocprim17ROCPRIM_400000_NS6detail17trampoline_kernelINS0_14default_configENS1_35radix_sort_onesweep_config_selectorIiNS0_10empty_typeEEEZZNS1_29radix_sort_onesweep_iterationIS3_Lb0EN6thrust23THRUST_200600_302600_NS10device_ptrIiEESB_PS5_SC_jNS0_19identity_decomposerENS1_16block_id_wrapperIjLb0EEEEE10hipError_tT1_PNSt15iterator_traitsISH_E10value_typeET2_T3_PNSI_ISN_E10value_typeET4_T5_PSS_ST_PNS1_23onesweep_lookback_stateEbbT6_jjT7_P12ihipStream_tbENKUlT_T0_SH_SM_E_clISB_SB_SC_SC_EEDaS10_S11_SH_SM_EUlS10_E_NS1_11comp_targetILNS1_3genE0ELNS1_11target_archE4294967295ELNS1_3gpuE0ELNS1_3repE0EEENS1_47radix_sort_onesweep_sort_config_static_selectorELNS0_4arch9wavefront6targetE0EEEvSH_
		.amdhsa_group_segment_fixed_size 0
		.amdhsa_private_segment_fixed_size 0
		.amdhsa_kernarg_size 88
		.amdhsa_user_sgpr_count 6
		.amdhsa_user_sgpr_private_segment_buffer 1
		.amdhsa_user_sgpr_dispatch_ptr 0
		.amdhsa_user_sgpr_queue_ptr 0
		.amdhsa_user_sgpr_kernarg_segment_ptr 1
		.amdhsa_user_sgpr_dispatch_id 0
		.amdhsa_user_sgpr_flat_scratch_init 0
		.amdhsa_user_sgpr_private_segment_size 0
		.amdhsa_wavefront_size32 1
		.amdhsa_uses_dynamic_stack 0
		.amdhsa_system_sgpr_private_segment_wavefront_offset 0
		.amdhsa_system_sgpr_workgroup_id_x 1
		.amdhsa_system_sgpr_workgroup_id_y 0
		.amdhsa_system_sgpr_workgroup_id_z 0
		.amdhsa_system_sgpr_workgroup_info 0
		.amdhsa_system_vgpr_workitem_id 0
		.amdhsa_next_free_vgpr 1
		.amdhsa_next_free_sgpr 1
		.amdhsa_reserve_vcc 0
		.amdhsa_reserve_flat_scratch 0
		.amdhsa_float_round_mode_32 0
		.amdhsa_float_round_mode_16_64 0
		.amdhsa_float_denorm_mode_32 3
		.amdhsa_float_denorm_mode_16_64 3
		.amdhsa_dx10_clamp 1
		.amdhsa_ieee_mode 1
		.amdhsa_fp16_overflow 0
		.amdhsa_workgroup_processor_mode 1
		.amdhsa_memory_ordered 1
		.amdhsa_forward_progress 1
		.amdhsa_shared_vgpr_count 0
		.amdhsa_exception_fp_ieee_invalid_op 0
		.amdhsa_exception_fp_denorm_src 0
		.amdhsa_exception_fp_ieee_div_zero 0
		.amdhsa_exception_fp_ieee_overflow 0
		.amdhsa_exception_fp_ieee_underflow 0
		.amdhsa_exception_fp_ieee_inexact 0
		.amdhsa_exception_int_div_zero 0
	.end_amdhsa_kernel
	.section	.text._ZN7rocprim17ROCPRIM_400000_NS6detail17trampoline_kernelINS0_14default_configENS1_35radix_sort_onesweep_config_selectorIiNS0_10empty_typeEEEZZNS1_29radix_sort_onesweep_iterationIS3_Lb0EN6thrust23THRUST_200600_302600_NS10device_ptrIiEESB_PS5_SC_jNS0_19identity_decomposerENS1_16block_id_wrapperIjLb0EEEEE10hipError_tT1_PNSt15iterator_traitsISH_E10value_typeET2_T3_PNSI_ISN_E10value_typeET4_T5_PSS_ST_PNS1_23onesweep_lookback_stateEbbT6_jjT7_P12ihipStream_tbENKUlT_T0_SH_SM_E_clISB_SB_SC_SC_EEDaS10_S11_SH_SM_EUlS10_E_NS1_11comp_targetILNS1_3genE0ELNS1_11target_archE4294967295ELNS1_3gpuE0ELNS1_3repE0EEENS1_47radix_sort_onesweep_sort_config_static_selectorELNS0_4arch9wavefront6targetE0EEEvSH_,"axG",@progbits,_ZN7rocprim17ROCPRIM_400000_NS6detail17trampoline_kernelINS0_14default_configENS1_35radix_sort_onesweep_config_selectorIiNS0_10empty_typeEEEZZNS1_29radix_sort_onesweep_iterationIS3_Lb0EN6thrust23THRUST_200600_302600_NS10device_ptrIiEESB_PS5_SC_jNS0_19identity_decomposerENS1_16block_id_wrapperIjLb0EEEEE10hipError_tT1_PNSt15iterator_traitsISH_E10value_typeET2_T3_PNSI_ISN_E10value_typeET4_T5_PSS_ST_PNS1_23onesweep_lookback_stateEbbT6_jjT7_P12ihipStream_tbENKUlT_T0_SH_SM_E_clISB_SB_SC_SC_EEDaS10_S11_SH_SM_EUlS10_E_NS1_11comp_targetILNS1_3genE0ELNS1_11target_archE4294967295ELNS1_3gpuE0ELNS1_3repE0EEENS1_47radix_sort_onesweep_sort_config_static_selectorELNS0_4arch9wavefront6targetE0EEEvSH_,comdat
.Lfunc_end1271:
	.size	_ZN7rocprim17ROCPRIM_400000_NS6detail17trampoline_kernelINS0_14default_configENS1_35radix_sort_onesweep_config_selectorIiNS0_10empty_typeEEEZZNS1_29radix_sort_onesweep_iterationIS3_Lb0EN6thrust23THRUST_200600_302600_NS10device_ptrIiEESB_PS5_SC_jNS0_19identity_decomposerENS1_16block_id_wrapperIjLb0EEEEE10hipError_tT1_PNSt15iterator_traitsISH_E10value_typeET2_T3_PNSI_ISN_E10value_typeET4_T5_PSS_ST_PNS1_23onesweep_lookback_stateEbbT6_jjT7_P12ihipStream_tbENKUlT_T0_SH_SM_E_clISB_SB_SC_SC_EEDaS10_S11_SH_SM_EUlS10_E_NS1_11comp_targetILNS1_3genE0ELNS1_11target_archE4294967295ELNS1_3gpuE0ELNS1_3repE0EEENS1_47radix_sort_onesweep_sort_config_static_selectorELNS0_4arch9wavefront6targetE0EEEvSH_, .Lfunc_end1271-_ZN7rocprim17ROCPRIM_400000_NS6detail17trampoline_kernelINS0_14default_configENS1_35radix_sort_onesweep_config_selectorIiNS0_10empty_typeEEEZZNS1_29radix_sort_onesweep_iterationIS3_Lb0EN6thrust23THRUST_200600_302600_NS10device_ptrIiEESB_PS5_SC_jNS0_19identity_decomposerENS1_16block_id_wrapperIjLb0EEEEE10hipError_tT1_PNSt15iterator_traitsISH_E10value_typeET2_T3_PNSI_ISN_E10value_typeET4_T5_PSS_ST_PNS1_23onesweep_lookback_stateEbbT6_jjT7_P12ihipStream_tbENKUlT_T0_SH_SM_E_clISB_SB_SC_SC_EEDaS10_S11_SH_SM_EUlS10_E_NS1_11comp_targetILNS1_3genE0ELNS1_11target_archE4294967295ELNS1_3gpuE0ELNS1_3repE0EEENS1_47radix_sort_onesweep_sort_config_static_selectorELNS0_4arch9wavefront6targetE0EEEvSH_
                                        ; -- End function
	.set _ZN7rocprim17ROCPRIM_400000_NS6detail17trampoline_kernelINS0_14default_configENS1_35radix_sort_onesweep_config_selectorIiNS0_10empty_typeEEEZZNS1_29radix_sort_onesweep_iterationIS3_Lb0EN6thrust23THRUST_200600_302600_NS10device_ptrIiEESB_PS5_SC_jNS0_19identity_decomposerENS1_16block_id_wrapperIjLb0EEEEE10hipError_tT1_PNSt15iterator_traitsISH_E10value_typeET2_T3_PNSI_ISN_E10value_typeET4_T5_PSS_ST_PNS1_23onesweep_lookback_stateEbbT6_jjT7_P12ihipStream_tbENKUlT_T0_SH_SM_E_clISB_SB_SC_SC_EEDaS10_S11_SH_SM_EUlS10_E_NS1_11comp_targetILNS1_3genE0ELNS1_11target_archE4294967295ELNS1_3gpuE0ELNS1_3repE0EEENS1_47radix_sort_onesweep_sort_config_static_selectorELNS0_4arch9wavefront6targetE0EEEvSH_.num_vgpr, 0
	.set _ZN7rocprim17ROCPRIM_400000_NS6detail17trampoline_kernelINS0_14default_configENS1_35radix_sort_onesweep_config_selectorIiNS0_10empty_typeEEEZZNS1_29radix_sort_onesweep_iterationIS3_Lb0EN6thrust23THRUST_200600_302600_NS10device_ptrIiEESB_PS5_SC_jNS0_19identity_decomposerENS1_16block_id_wrapperIjLb0EEEEE10hipError_tT1_PNSt15iterator_traitsISH_E10value_typeET2_T3_PNSI_ISN_E10value_typeET4_T5_PSS_ST_PNS1_23onesweep_lookback_stateEbbT6_jjT7_P12ihipStream_tbENKUlT_T0_SH_SM_E_clISB_SB_SC_SC_EEDaS10_S11_SH_SM_EUlS10_E_NS1_11comp_targetILNS1_3genE0ELNS1_11target_archE4294967295ELNS1_3gpuE0ELNS1_3repE0EEENS1_47radix_sort_onesweep_sort_config_static_selectorELNS0_4arch9wavefront6targetE0EEEvSH_.num_agpr, 0
	.set _ZN7rocprim17ROCPRIM_400000_NS6detail17trampoline_kernelINS0_14default_configENS1_35radix_sort_onesweep_config_selectorIiNS0_10empty_typeEEEZZNS1_29radix_sort_onesweep_iterationIS3_Lb0EN6thrust23THRUST_200600_302600_NS10device_ptrIiEESB_PS5_SC_jNS0_19identity_decomposerENS1_16block_id_wrapperIjLb0EEEEE10hipError_tT1_PNSt15iterator_traitsISH_E10value_typeET2_T3_PNSI_ISN_E10value_typeET4_T5_PSS_ST_PNS1_23onesweep_lookback_stateEbbT6_jjT7_P12ihipStream_tbENKUlT_T0_SH_SM_E_clISB_SB_SC_SC_EEDaS10_S11_SH_SM_EUlS10_E_NS1_11comp_targetILNS1_3genE0ELNS1_11target_archE4294967295ELNS1_3gpuE0ELNS1_3repE0EEENS1_47radix_sort_onesweep_sort_config_static_selectorELNS0_4arch9wavefront6targetE0EEEvSH_.numbered_sgpr, 0
	.set _ZN7rocprim17ROCPRIM_400000_NS6detail17trampoline_kernelINS0_14default_configENS1_35radix_sort_onesweep_config_selectorIiNS0_10empty_typeEEEZZNS1_29radix_sort_onesweep_iterationIS3_Lb0EN6thrust23THRUST_200600_302600_NS10device_ptrIiEESB_PS5_SC_jNS0_19identity_decomposerENS1_16block_id_wrapperIjLb0EEEEE10hipError_tT1_PNSt15iterator_traitsISH_E10value_typeET2_T3_PNSI_ISN_E10value_typeET4_T5_PSS_ST_PNS1_23onesweep_lookback_stateEbbT6_jjT7_P12ihipStream_tbENKUlT_T0_SH_SM_E_clISB_SB_SC_SC_EEDaS10_S11_SH_SM_EUlS10_E_NS1_11comp_targetILNS1_3genE0ELNS1_11target_archE4294967295ELNS1_3gpuE0ELNS1_3repE0EEENS1_47radix_sort_onesweep_sort_config_static_selectorELNS0_4arch9wavefront6targetE0EEEvSH_.num_named_barrier, 0
	.set _ZN7rocprim17ROCPRIM_400000_NS6detail17trampoline_kernelINS0_14default_configENS1_35radix_sort_onesweep_config_selectorIiNS0_10empty_typeEEEZZNS1_29radix_sort_onesweep_iterationIS3_Lb0EN6thrust23THRUST_200600_302600_NS10device_ptrIiEESB_PS5_SC_jNS0_19identity_decomposerENS1_16block_id_wrapperIjLb0EEEEE10hipError_tT1_PNSt15iterator_traitsISH_E10value_typeET2_T3_PNSI_ISN_E10value_typeET4_T5_PSS_ST_PNS1_23onesweep_lookback_stateEbbT6_jjT7_P12ihipStream_tbENKUlT_T0_SH_SM_E_clISB_SB_SC_SC_EEDaS10_S11_SH_SM_EUlS10_E_NS1_11comp_targetILNS1_3genE0ELNS1_11target_archE4294967295ELNS1_3gpuE0ELNS1_3repE0EEENS1_47radix_sort_onesweep_sort_config_static_selectorELNS0_4arch9wavefront6targetE0EEEvSH_.private_seg_size, 0
	.set _ZN7rocprim17ROCPRIM_400000_NS6detail17trampoline_kernelINS0_14default_configENS1_35radix_sort_onesweep_config_selectorIiNS0_10empty_typeEEEZZNS1_29radix_sort_onesweep_iterationIS3_Lb0EN6thrust23THRUST_200600_302600_NS10device_ptrIiEESB_PS5_SC_jNS0_19identity_decomposerENS1_16block_id_wrapperIjLb0EEEEE10hipError_tT1_PNSt15iterator_traitsISH_E10value_typeET2_T3_PNSI_ISN_E10value_typeET4_T5_PSS_ST_PNS1_23onesweep_lookback_stateEbbT6_jjT7_P12ihipStream_tbENKUlT_T0_SH_SM_E_clISB_SB_SC_SC_EEDaS10_S11_SH_SM_EUlS10_E_NS1_11comp_targetILNS1_3genE0ELNS1_11target_archE4294967295ELNS1_3gpuE0ELNS1_3repE0EEENS1_47radix_sort_onesweep_sort_config_static_selectorELNS0_4arch9wavefront6targetE0EEEvSH_.uses_vcc, 0
	.set _ZN7rocprim17ROCPRIM_400000_NS6detail17trampoline_kernelINS0_14default_configENS1_35radix_sort_onesweep_config_selectorIiNS0_10empty_typeEEEZZNS1_29radix_sort_onesweep_iterationIS3_Lb0EN6thrust23THRUST_200600_302600_NS10device_ptrIiEESB_PS5_SC_jNS0_19identity_decomposerENS1_16block_id_wrapperIjLb0EEEEE10hipError_tT1_PNSt15iterator_traitsISH_E10value_typeET2_T3_PNSI_ISN_E10value_typeET4_T5_PSS_ST_PNS1_23onesweep_lookback_stateEbbT6_jjT7_P12ihipStream_tbENKUlT_T0_SH_SM_E_clISB_SB_SC_SC_EEDaS10_S11_SH_SM_EUlS10_E_NS1_11comp_targetILNS1_3genE0ELNS1_11target_archE4294967295ELNS1_3gpuE0ELNS1_3repE0EEENS1_47radix_sort_onesweep_sort_config_static_selectorELNS0_4arch9wavefront6targetE0EEEvSH_.uses_flat_scratch, 0
	.set _ZN7rocprim17ROCPRIM_400000_NS6detail17trampoline_kernelINS0_14default_configENS1_35radix_sort_onesweep_config_selectorIiNS0_10empty_typeEEEZZNS1_29radix_sort_onesweep_iterationIS3_Lb0EN6thrust23THRUST_200600_302600_NS10device_ptrIiEESB_PS5_SC_jNS0_19identity_decomposerENS1_16block_id_wrapperIjLb0EEEEE10hipError_tT1_PNSt15iterator_traitsISH_E10value_typeET2_T3_PNSI_ISN_E10value_typeET4_T5_PSS_ST_PNS1_23onesweep_lookback_stateEbbT6_jjT7_P12ihipStream_tbENKUlT_T0_SH_SM_E_clISB_SB_SC_SC_EEDaS10_S11_SH_SM_EUlS10_E_NS1_11comp_targetILNS1_3genE0ELNS1_11target_archE4294967295ELNS1_3gpuE0ELNS1_3repE0EEENS1_47radix_sort_onesweep_sort_config_static_selectorELNS0_4arch9wavefront6targetE0EEEvSH_.has_dyn_sized_stack, 0
	.set _ZN7rocprim17ROCPRIM_400000_NS6detail17trampoline_kernelINS0_14default_configENS1_35radix_sort_onesweep_config_selectorIiNS0_10empty_typeEEEZZNS1_29radix_sort_onesweep_iterationIS3_Lb0EN6thrust23THRUST_200600_302600_NS10device_ptrIiEESB_PS5_SC_jNS0_19identity_decomposerENS1_16block_id_wrapperIjLb0EEEEE10hipError_tT1_PNSt15iterator_traitsISH_E10value_typeET2_T3_PNSI_ISN_E10value_typeET4_T5_PSS_ST_PNS1_23onesweep_lookback_stateEbbT6_jjT7_P12ihipStream_tbENKUlT_T0_SH_SM_E_clISB_SB_SC_SC_EEDaS10_S11_SH_SM_EUlS10_E_NS1_11comp_targetILNS1_3genE0ELNS1_11target_archE4294967295ELNS1_3gpuE0ELNS1_3repE0EEENS1_47radix_sort_onesweep_sort_config_static_selectorELNS0_4arch9wavefront6targetE0EEEvSH_.has_recursion, 0
	.set _ZN7rocprim17ROCPRIM_400000_NS6detail17trampoline_kernelINS0_14default_configENS1_35radix_sort_onesweep_config_selectorIiNS0_10empty_typeEEEZZNS1_29radix_sort_onesweep_iterationIS3_Lb0EN6thrust23THRUST_200600_302600_NS10device_ptrIiEESB_PS5_SC_jNS0_19identity_decomposerENS1_16block_id_wrapperIjLb0EEEEE10hipError_tT1_PNSt15iterator_traitsISH_E10value_typeET2_T3_PNSI_ISN_E10value_typeET4_T5_PSS_ST_PNS1_23onesweep_lookback_stateEbbT6_jjT7_P12ihipStream_tbENKUlT_T0_SH_SM_E_clISB_SB_SC_SC_EEDaS10_S11_SH_SM_EUlS10_E_NS1_11comp_targetILNS1_3genE0ELNS1_11target_archE4294967295ELNS1_3gpuE0ELNS1_3repE0EEENS1_47radix_sort_onesweep_sort_config_static_selectorELNS0_4arch9wavefront6targetE0EEEvSH_.has_indirect_call, 0
	.section	.AMDGPU.csdata,"",@progbits
; Kernel info:
; codeLenInByte = 0
; TotalNumSgprs: 0
; NumVgprs: 0
; ScratchSize: 0
; MemoryBound: 0
; FloatMode: 240
; IeeeMode: 1
; LDSByteSize: 0 bytes/workgroup (compile time only)
; SGPRBlocks: 0
; VGPRBlocks: 0
; NumSGPRsForWavesPerEU: 1
; NumVGPRsForWavesPerEU: 1
; Occupancy: 16
; WaveLimiterHint : 0
; COMPUTE_PGM_RSRC2:SCRATCH_EN: 0
; COMPUTE_PGM_RSRC2:USER_SGPR: 6
; COMPUTE_PGM_RSRC2:TRAP_HANDLER: 0
; COMPUTE_PGM_RSRC2:TGID_X_EN: 1
; COMPUTE_PGM_RSRC2:TGID_Y_EN: 0
; COMPUTE_PGM_RSRC2:TGID_Z_EN: 0
; COMPUTE_PGM_RSRC2:TIDIG_COMP_CNT: 0
	.section	.text._ZN7rocprim17ROCPRIM_400000_NS6detail17trampoline_kernelINS0_14default_configENS1_35radix_sort_onesweep_config_selectorIiNS0_10empty_typeEEEZZNS1_29radix_sort_onesweep_iterationIS3_Lb0EN6thrust23THRUST_200600_302600_NS10device_ptrIiEESB_PS5_SC_jNS0_19identity_decomposerENS1_16block_id_wrapperIjLb0EEEEE10hipError_tT1_PNSt15iterator_traitsISH_E10value_typeET2_T3_PNSI_ISN_E10value_typeET4_T5_PSS_ST_PNS1_23onesweep_lookback_stateEbbT6_jjT7_P12ihipStream_tbENKUlT_T0_SH_SM_E_clISB_SB_SC_SC_EEDaS10_S11_SH_SM_EUlS10_E_NS1_11comp_targetILNS1_3genE6ELNS1_11target_archE950ELNS1_3gpuE13ELNS1_3repE0EEENS1_47radix_sort_onesweep_sort_config_static_selectorELNS0_4arch9wavefront6targetE0EEEvSH_,"axG",@progbits,_ZN7rocprim17ROCPRIM_400000_NS6detail17trampoline_kernelINS0_14default_configENS1_35radix_sort_onesweep_config_selectorIiNS0_10empty_typeEEEZZNS1_29radix_sort_onesweep_iterationIS3_Lb0EN6thrust23THRUST_200600_302600_NS10device_ptrIiEESB_PS5_SC_jNS0_19identity_decomposerENS1_16block_id_wrapperIjLb0EEEEE10hipError_tT1_PNSt15iterator_traitsISH_E10value_typeET2_T3_PNSI_ISN_E10value_typeET4_T5_PSS_ST_PNS1_23onesweep_lookback_stateEbbT6_jjT7_P12ihipStream_tbENKUlT_T0_SH_SM_E_clISB_SB_SC_SC_EEDaS10_S11_SH_SM_EUlS10_E_NS1_11comp_targetILNS1_3genE6ELNS1_11target_archE950ELNS1_3gpuE13ELNS1_3repE0EEENS1_47radix_sort_onesweep_sort_config_static_selectorELNS0_4arch9wavefront6targetE0EEEvSH_,comdat
	.protected	_ZN7rocprim17ROCPRIM_400000_NS6detail17trampoline_kernelINS0_14default_configENS1_35radix_sort_onesweep_config_selectorIiNS0_10empty_typeEEEZZNS1_29radix_sort_onesweep_iterationIS3_Lb0EN6thrust23THRUST_200600_302600_NS10device_ptrIiEESB_PS5_SC_jNS0_19identity_decomposerENS1_16block_id_wrapperIjLb0EEEEE10hipError_tT1_PNSt15iterator_traitsISH_E10value_typeET2_T3_PNSI_ISN_E10value_typeET4_T5_PSS_ST_PNS1_23onesweep_lookback_stateEbbT6_jjT7_P12ihipStream_tbENKUlT_T0_SH_SM_E_clISB_SB_SC_SC_EEDaS10_S11_SH_SM_EUlS10_E_NS1_11comp_targetILNS1_3genE6ELNS1_11target_archE950ELNS1_3gpuE13ELNS1_3repE0EEENS1_47radix_sort_onesweep_sort_config_static_selectorELNS0_4arch9wavefront6targetE0EEEvSH_ ; -- Begin function _ZN7rocprim17ROCPRIM_400000_NS6detail17trampoline_kernelINS0_14default_configENS1_35radix_sort_onesweep_config_selectorIiNS0_10empty_typeEEEZZNS1_29radix_sort_onesweep_iterationIS3_Lb0EN6thrust23THRUST_200600_302600_NS10device_ptrIiEESB_PS5_SC_jNS0_19identity_decomposerENS1_16block_id_wrapperIjLb0EEEEE10hipError_tT1_PNSt15iterator_traitsISH_E10value_typeET2_T3_PNSI_ISN_E10value_typeET4_T5_PSS_ST_PNS1_23onesweep_lookback_stateEbbT6_jjT7_P12ihipStream_tbENKUlT_T0_SH_SM_E_clISB_SB_SC_SC_EEDaS10_S11_SH_SM_EUlS10_E_NS1_11comp_targetILNS1_3genE6ELNS1_11target_archE950ELNS1_3gpuE13ELNS1_3repE0EEENS1_47radix_sort_onesweep_sort_config_static_selectorELNS0_4arch9wavefront6targetE0EEEvSH_
	.globl	_ZN7rocprim17ROCPRIM_400000_NS6detail17trampoline_kernelINS0_14default_configENS1_35radix_sort_onesweep_config_selectorIiNS0_10empty_typeEEEZZNS1_29radix_sort_onesweep_iterationIS3_Lb0EN6thrust23THRUST_200600_302600_NS10device_ptrIiEESB_PS5_SC_jNS0_19identity_decomposerENS1_16block_id_wrapperIjLb0EEEEE10hipError_tT1_PNSt15iterator_traitsISH_E10value_typeET2_T3_PNSI_ISN_E10value_typeET4_T5_PSS_ST_PNS1_23onesweep_lookback_stateEbbT6_jjT7_P12ihipStream_tbENKUlT_T0_SH_SM_E_clISB_SB_SC_SC_EEDaS10_S11_SH_SM_EUlS10_E_NS1_11comp_targetILNS1_3genE6ELNS1_11target_archE950ELNS1_3gpuE13ELNS1_3repE0EEENS1_47radix_sort_onesweep_sort_config_static_selectorELNS0_4arch9wavefront6targetE0EEEvSH_
	.p2align	8
	.type	_ZN7rocprim17ROCPRIM_400000_NS6detail17trampoline_kernelINS0_14default_configENS1_35radix_sort_onesweep_config_selectorIiNS0_10empty_typeEEEZZNS1_29radix_sort_onesweep_iterationIS3_Lb0EN6thrust23THRUST_200600_302600_NS10device_ptrIiEESB_PS5_SC_jNS0_19identity_decomposerENS1_16block_id_wrapperIjLb0EEEEE10hipError_tT1_PNSt15iterator_traitsISH_E10value_typeET2_T3_PNSI_ISN_E10value_typeET4_T5_PSS_ST_PNS1_23onesweep_lookback_stateEbbT6_jjT7_P12ihipStream_tbENKUlT_T0_SH_SM_E_clISB_SB_SC_SC_EEDaS10_S11_SH_SM_EUlS10_E_NS1_11comp_targetILNS1_3genE6ELNS1_11target_archE950ELNS1_3gpuE13ELNS1_3repE0EEENS1_47radix_sort_onesweep_sort_config_static_selectorELNS0_4arch9wavefront6targetE0EEEvSH_,@function
_ZN7rocprim17ROCPRIM_400000_NS6detail17trampoline_kernelINS0_14default_configENS1_35radix_sort_onesweep_config_selectorIiNS0_10empty_typeEEEZZNS1_29radix_sort_onesweep_iterationIS3_Lb0EN6thrust23THRUST_200600_302600_NS10device_ptrIiEESB_PS5_SC_jNS0_19identity_decomposerENS1_16block_id_wrapperIjLb0EEEEE10hipError_tT1_PNSt15iterator_traitsISH_E10value_typeET2_T3_PNSI_ISN_E10value_typeET4_T5_PSS_ST_PNS1_23onesweep_lookback_stateEbbT6_jjT7_P12ihipStream_tbENKUlT_T0_SH_SM_E_clISB_SB_SC_SC_EEDaS10_S11_SH_SM_EUlS10_E_NS1_11comp_targetILNS1_3genE6ELNS1_11target_archE950ELNS1_3gpuE13ELNS1_3repE0EEENS1_47radix_sort_onesweep_sort_config_static_selectorELNS0_4arch9wavefront6targetE0EEEvSH_: ; @_ZN7rocprim17ROCPRIM_400000_NS6detail17trampoline_kernelINS0_14default_configENS1_35radix_sort_onesweep_config_selectorIiNS0_10empty_typeEEEZZNS1_29radix_sort_onesweep_iterationIS3_Lb0EN6thrust23THRUST_200600_302600_NS10device_ptrIiEESB_PS5_SC_jNS0_19identity_decomposerENS1_16block_id_wrapperIjLb0EEEEE10hipError_tT1_PNSt15iterator_traitsISH_E10value_typeET2_T3_PNSI_ISN_E10value_typeET4_T5_PSS_ST_PNS1_23onesweep_lookback_stateEbbT6_jjT7_P12ihipStream_tbENKUlT_T0_SH_SM_E_clISB_SB_SC_SC_EEDaS10_S11_SH_SM_EUlS10_E_NS1_11comp_targetILNS1_3genE6ELNS1_11target_archE950ELNS1_3gpuE13ELNS1_3repE0EEENS1_47radix_sort_onesweep_sort_config_static_selectorELNS0_4arch9wavefront6targetE0EEEvSH_
; %bb.0:
	.section	.rodata,"a",@progbits
	.p2align	6, 0x0
	.amdhsa_kernel _ZN7rocprim17ROCPRIM_400000_NS6detail17trampoline_kernelINS0_14default_configENS1_35radix_sort_onesweep_config_selectorIiNS0_10empty_typeEEEZZNS1_29radix_sort_onesweep_iterationIS3_Lb0EN6thrust23THRUST_200600_302600_NS10device_ptrIiEESB_PS5_SC_jNS0_19identity_decomposerENS1_16block_id_wrapperIjLb0EEEEE10hipError_tT1_PNSt15iterator_traitsISH_E10value_typeET2_T3_PNSI_ISN_E10value_typeET4_T5_PSS_ST_PNS1_23onesweep_lookback_stateEbbT6_jjT7_P12ihipStream_tbENKUlT_T0_SH_SM_E_clISB_SB_SC_SC_EEDaS10_S11_SH_SM_EUlS10_E_NS1_11comp_targetILNS1_3genE6ELNS1_11target_archE950ELNS1_3gpuE13ELNS1_3repE0EEENS1_47radix_sort_onesweep_sort_config_static_selectorELNS0_4arch9wavefront6targetE0EEEvSH_
		.amdhsa_group_segment_fixed_size 0
		.amdhsa_private_segment_fixed_size 0
		.amdhsa_kernarg_size 88
		.amdhsa_user_sgpr_count 6
		.amdhsa_user_sgpr_private_segment_buffer 1
		.amdhsa_user_sgpr_dispatch_ptr 0
		.amdhsa_user_sgpr_queue_ptr 0
		.amdhsa_user_sgpr_kernarg_segment_ptr 1
		.amdhsa_user_sgpr_dispatch_id 0
		.amdhsa_user_sgpr_flat_scratch_init 0
		.amdhsa_user_sgpr_private_segment_size 0
		.amdhsa_wavefront_size32 1
		.amdhsa_uses_dynamic_stack 0
		.amdhsa_system_sgpr_private_segment_wavefront_offset 0
		.amdhsa_system_sgpr_workgroup_id_x 1
		.amdhsa_system_sgpr_workgroup_id_y 0
		.amdhsa_system_sgpr_workgroup_id_z 0
		.amdhsa_system_sgpr_workgroup_info 0
		.amdhsa_system_vgpr_workitem_id 0
		.amdhsa_next_free_vgpr 1
		.amdhsa_next_free_sgpr 1
		.amdhsa_reserve_vcc 0
		.amdhsa_reserve_flat_scratch 0
		.amdhsa_float_round_mode_32 0
		.amdhsa_float_round_mode_16_64 0
		.amdhsa_float_denorm_mode_32 3
		.amdhsa_float_denorm_mode_16_64 3
		.amdhsa_dx10_clamp 1
		.amdhsa_ieee_mode 1
		.amdhsa_fp16_overflow 0
		.amdhsa_workgroup_processor_mode 1
		.amdhsa_memory_ordered 1
		.amdhsa_forward_progress 1
		.amdhsa_shared_vgpr_count 0
		.amdhsa_exception_fp_ieee_invalid_op 0
		.amdhsa_exception_fp_denorm_src 0
		.amdhsa_exception_fp_ieee_div_zero 0
		.amdhsa_exception_fp_ieee_overflow 0
		.amdhsa_exception_fp_ieee_underflow 0
		.amdhsa_exception_fp_ieee_inexact 0
		.amdhsa_exception_int_div_zero 0
	.end_amdhsa_kernel
	.section	.text._ZN7rocprim17ROCPRIM_400000_NS6detail17trampoline_kernelINS0_14default_configENS1_35radix_sort_onesweep_config_selectorIiNS0_10empty_typeEEEZZNS1_29radix_sort_onesweep_iterationIS3_Lb0EN6thrust23THRUST_200600_302600_NS10device_ptrIiEESB_PS5_SC_jNS0_19identity_decomposerENS1_16block_id_wrapperIjLb0EEEEE10hipError_tT1_PNSt15iterator_traitsISH_E10value_typeET2_T3_PNSI_ISN_E10value_typeET4_T5_PSS_ST_PNS1_23onesweep_lookback_stateEbbT6_jjT7_P12ihipStream_tbENKUlT_T0_SH_SM_E_clISB_SB_SC_SC_EEDaS10_S11_SH_SM_EUlS10_E_NS1_11comp_targetILNS1_3genE6ELNS1_11target_archE950ELNS1_3gpuE13ELNS1_3repE0EEENS1_47radix_sort_onesweep_sort_config_static_selectorELNS0_4arch9wavefront6targetE0EEEvSH_,"axG",@progbits,_ZN7rocprim17ROCPRIM_400000_NS6detail17trampoline_kernelINS0_14default_configENS1_35radix_sort_onesweep_config_selectorIiNS0_10empty_typeEEEZZNS1_29radix_sort_onesweep_iterationIS3_Lb0EN6thrust23THRUST_200600_302600_NS10device_ptrIiEESB_PS5_SC_jNS0_19identity_decomposerENS1_16block_id_wrapperIjLb0EEEEE10hipError_tT1_PNSt15iterator_traitsISH_E10value_typeET2_T3_PNSI_ISN_E10value_typeET4_T5_PSS_ST_PNS1_23onesweep_lookback_stateEbbT6_jjT7_P12ihipStream_tbENKUlT_T0_SH_SM_E_clISB_SB_SC_SC_EEDaS10_S11_SH_SM_EUlS10_E_NS1_11comp_targetILNS1_3genE6ELNS1_11target_archE950ELNS1_3gpuE13ELNS1_3repE0EEENS1_47radix_sort_onesweep_sort_config_static_selectorELNS0_4arch9wavefront6targetE0EEEvSH_,comdat
.Lfunc_end1272:
	.size	_ZN7rocprim17ROCPRIM_400000_NS6detail17trampoline_kernelINS0_14default_configENS1_35radix_sort_onesweep_config_selectorIiNS0_10empty_typeEEEZZNS1_29radix_sort_onesweep_iterationIS3_Lb0EN6thrust23THRUST_200600_302600_NS10device_ptrIiEESB_PS5_SC_jNS0_19identity_decomposerENS1_16block_id_wrapperIjLb0EEEEE10hipError_tT1_PNSt15iterator_traitsISH_E10value_typeET2_T3_PNSI_ISN_E10value_typeET4_T5_PSS_ST_PNS1_23onesweep_lookback_stateEbbT6_jjT7_P12ihipStream_tbENKUlT_T0_SH_SM_E_clISB_SB_SC_SC_EEDaS10_S11_SH_SM_EUlS10_E_NS1_11comp_targetILNS1_3genE6ELNS1_11target_archE950ELNS1_3gpuE13ELNS1_3repE0EEENS1_47radix_sort_onesweep_sort_config_static_selectorELNS0_4arch9wavefront6targetE0EEEvSH_, .Lfunc_end1272-_ZN7rocprim17ROCPRIM_400000_NS6detail17trampoline_kernelINS0_14default_configENS1_35radix_sort_onesweep_config_selectorIiNS0_10empty_typeEEEZZNS1_29radix_sort_onesweep_iterationIS3_Lb0EN6thrust23THRUST_200600_302600_NS10device_ptrIiEESB_PS5_SC_jNS0_19identity_decomposerENS1_16block_id_wrapperIjLb0EEEEE10hipError_tT1_PNSt15iterator_traitsISH_E10value_typeET2_T3_PNSI_ISN_E10value_typeET4_T5_PSS_ST_PNS1_23onesweep_lookback_stateEbbT6_jjT7_P12ihipStream_tbENKUlT_T0_SH_SM_E_clISB_SB_SC_SC_EEDaS10_S11_SH_SM_EUlS10_E_NS1_11comp_targetILNS1_3genE6ELNS1_11target_archE950ELNS1_3gpuE13ELNS1_3repE0EEENS1_47radix_sort_onesweep_sort_config_static_selectorELNS0_4arch9wavefront6targetE0EEEvSH_
                                        ; -- End function
	.set _ZN7rocprim17ROCPRIM_400000_NS6detail17trampoline_kernelINS0_14default_configENS1_35radix_sort_onesweep_config_selectorIiNS0_10empty_typeEEEZZNS1_29radix_sort_onesweep_iterationIS3_Lb0EN6thrust23THRUST_200600_302600_NS10device_ptrIiEESB_PS5_SC_jNS0_19identity_decomposerENS1_16block_id_wrapperIjLb0EEEEE10hipError_tT1_PNSt15iterator_traitsISH_E10value_typeET2_T3_PNSI_ISN_E10value_typeET4_T5_PSS_ST_PNS1_23onesweep_lookback_stateEbbT6_jjT7_P12ihipStream_tbENKUlT_T0_SH_SM_E_clISB_SB_SC_SC_EEDaS10_S11_SH_SM_EUlS10_E_NS1_11comp_targetILNS1_3genE6ELNS1_11target_archE950ELNS1_3gpuE13ELNS1_3repE0EEENS1_47radix_sort_onesweep_sort_config_static_selectorELNS0_4arch9wavefront6targetE0EEEvSH_.num_vgpr, 0
	.set _ZN7rocprim17ROCPRIM_400000_NS6detail17trampoline_kernelINS0_14default_configENS1_35radix_sort_onesweep_config_selectorIiNS0_10empty_typeEEEZZNS1_29radix_sort_onesweep_iterationIS3_Lb0EN6thrust23THRUST_200600_302600_NS10device_ptrIiEESB_PS5_SC_jNS0_19identity_decomposerENS1_16block_id_wrapperIjLb0EEEEE10hipError_tT1_PNSt15iterator_traitsISH_E10value_typeET2_T3_PNSI_ISN_E10value_typeET4_T5_PSS_ST_PNS1_23onesweep_lookback_stateEbbT6_jjT7_P12ihipStream_tbENKUlT_T0_SH_SM_E_clISB_SB_SC_SC_EEDaS10_S11_SH_SM_EUlS10_E_NS1_11comp_targetILNS1_3genE6ELNS1_11target_archE950ELNS1_3gpuE13ELNS1_3repE0EEENS1_47radix_sort_onesweep_sort_config_static_selectorELNS0_4arch9wavefront6targetE0EEEvSH_.num_agpr, 0
	.set _ZN7rocprim17ROCPRIM_400000_NS6detail17trampoline_kernelINS0_14default_configENS1_35radix_sort_onesweep_config_selectorIiNS0_10empty_typeEEEZZNS1_29radix_sort_onesweep_iterationIS3_Lb0EN6thrust23THRUST_200600_302600_NS10device_ptrIiEESB_PS5_SC_jNS0_19identity_decomposerENS1_16block_id_wrapperIjLb0EEEEE10hipError_tT1_PNSt15iterator_traitsISH_E10value_typeET2_T3_PNSI_ISN_E10value_typeET4_T5_PSS_ST_PNS1_23onesweep_lookback_stateEbbT6_jjT7_P12ihipStream_tbENKUlT_T0_SH_SM_E_clISB_SB_SC_SC_EEDaS10_S11_SH_SM_EUlS10_E_NS1_11comp_targetILNS1_3genE6ELNS1_11target_archE950ELNS1_3gpuE13ELNS1_3repE0EEENS1_47radix_sort_onesweep_sort_config_static_selectorELNS0_4arch9wavefront6targetE0EEEvSH_.numbered_sgpr, 0
	.set _ZN7rocprim17ROCPRIM_400000_NS6detail17trampoline_kernelINS0_14default_configENS1_35radix_sort_onesweep_config_selectorIiNS0_10empty_typeEEEZZNS1_29radix_sort_onesweep_iterationIS3_Lb0EN6thrust23THRUST_200600_302600_NS10device_ptrIiEESB_PS5_SC_jNS0_19identity_decomposerENS1_16block_id_wrapperIjLb0EEEEE10hipError_tT1_PNSt15iterator_traitsISH_E10value_typeET2_T3_PNSI_ISN_E10value_typeET4_T5_PSS_ST_PNS1_23onesweep_lookback_stateEbbT6_jjT7_P12ihipStream_tbENKUlT_T0_SH_SM_E_clISB_SB_SC_SC_EEDaS10_S11_SH_SM_EUlS10_E_NS1_11comp_targetILNS1_3genE6ELNS1_11target_archE950ELNS1_3gpuE13ELNS1_3repE0EEENS1_47radix_sort_onesweep_sort_config_static_selectorELNS0_4arch9wavefront6targetE0EEEvSH_.num_named_barrier, 0
	.set _ZN7rocprim17ROCPRIM_400000_NS6detail17trampoline_kernelINS0_14default_configENS1_35radix_sort_onesweep_config_selectorIiNS0_10empty_typeEEEZZNS1_29radix_sort_onesweep_iterationIS3_Lb0EN6thrust23THRUST_200600_302600_NS10device_ptrIiEESB_PS5_SC_jNS0_19identity_decomposerENS1_16block_id_wrapperIjLb0EEEEE10hipError_tT1_PNSt15iterator_traitsISH_E10value_typeET2_T3_PNSI_ISN_E10value_typeET4_T5_PSS_ST_PNS1_23onesweep_lookback_stateEbbT6_jjT7_P12ihipStream_tbENKUlT_T0_SH_SM_E_clISB_SB_SC_SC_EEDaS10_S11_SH_SM_EUlS10_E_NS1_11comp_targetILNS1_3genE6ELNS1_11target_archE950ELNS1_3gpuE13ELNS1_3repE0EEENS1_47radix_sort_onesweep_sort_config_static_selectorELNS0_4arch9wavefront6targetE0EEEvSH_.private_seg_size, 0
	.set _ZN7rocprim17ROCPRIM_400000_NS6detail17trampoline_kernelINS0_14default_configENS1_35radix_sort_onesweep_config_selectorIiNS0_10empty_typeEEEZZNS1_29radix_sort_onesweep_iterationIS3_Lb0EN6thrust23THRUST_200600_302600_NS10device_ptrIiEESB_PS5_SC_jNS0_19identity_decomposerENS1_16block_id_wrapperIjLb0EEEEE10hipError_tT1_PNSt15iterator_traitsISH_E10value_typeET2_T3_PNSI_ISN_E10value_typeET4_T5_PSS_ST_PNS1_23onesweep_lookback_stateEbbT6_jjT7_P12ihipStream_tbENKUlT_T0_SH_SM_E_clISB_SB_SC_SC_EEDaS10_S11_SH_SM_EUlS10_E_NS1_11comp_targetILNS1_3genE6ELNS1_11target_archE950ELNS1_3gpuE13ELNS1_3repE0EEENS1_47radix_sort_onesweep_sort_config_static_selectorELNS0_4arch9wavefront6targetE0EEEvSH_.uses_vcc, 0
	.set _ZN7rocprim17ROCPRIM_400000_NS6detail17trampoline_kernelINS0_14default_configENS1_35radix_sort_onesweep_config_selectorIiNS0_10empty_typeEEEZZNS1_29radix_sort_onesweep_iterationIS3_Lb0EN6thrust23THRUST_200600_302600_NS10device_ptrIiEESB_PS5_SC_jNS0_19identity_decomposerENS1_16block_id_wrapperIjLb0EEEEE10hipError_tT1_PNSt15iterator_traitsISH_E10value_typeET2_T3_PNSI_ISN_E10value_typeET4_T5_PSS_ST_PNS1_23onesweep_lookback_stateEbbT6_jjT7_P12ihipStream_tbENKUlT_T0_SH_SM_E_clISB_SB_SC_SC_EEDaS10_S11_SH_SM_EUlS10_E_NS1_11comp_targetILNS1_3genE6ELNS1_11target_archE950ELNS1_3gpuE13ELNS1_3repE0EEENS1_47radix_sort_onesweep_sort_config_static_selectorELNS0_4arch9wavefront6targetE0EEEvSH_.uses_flat_scratch, 0
	.set _ZN7rocprim17ROCPRIM_400000_NS6detail17trampoline_kernelINS0_14default_configENS1_35radix_sort_onesweep_config_selectorIiNS0_10empty_typeEEEZZNS1_29radix_sort_onesweep_iterationIS3_Lb0EN6thrust23THRUST_200600_302600_NS10device_ptrIiEESB_PS5_SC_jNS0_19identity_decomposerENS1_16block_id_wrapperIjLb0EEEEE10hipError_tT1_PNSt15iterator_traitsISH_E10value_typeET2_T3_PNSI_ISN_E10value_typeET4_T5_PSS_ST_PNS1_23onesweep_lookback_stateEbbT6_jjT7_P12ihipStream_tbENKUlT_T0_SH_SM_E_clISB_SB_SC_SC_EEDaS10_S11_SH_SM_EUlS10_E_NS1_11comp_targetILNS1_3genE6ELNS1_11target_archE950ELNS1_3gpuE13ELNS1_3repE0EEENS1_47radix_sort_onesweep_sort_config_static_selectorELNS0_4arch9wavefront6targetE0EEEvSH_.has_dyn_sized_stack, 0
	.set _ZN7rocprim17ROCPRIM_400000_NS6detail17trampoline_kernelINS0_14default_configENS1_35radix_sort_onesweep_config_selectorIiNS0_10empty_typeEEEZZNS1_29radix_sort_onesweep_iterationIS3_Lb0EN6thrust23THRUST_200600_302600_NS10device_ptrIiEESB_PS5_SC_jNS0_19identity_decomposerENS1_16block_id_wrapperIjLb0EEEEE10hipError_tT1_PNSt15iterator_traitsISH_E10value_typeET2_T3_PNSI_ISN_E10value_typeET4_T5_PSS_ST_PNS1_23onesweep_lookback_stateEbbT6_jjT7_P12ihipStream_tbENKUlT_T0_SH_SM_E_clISB_SB_SC_SC_EEDaS10_S11_SH_SM_EUlS10_E_NS1_11comp_targetILNS1_3genE6ELNS1_11target_archE950ELNS1_3gpuE13ELNS1_3repE0EEENS1_47radix_sort_onesweep_sort_config_static_selectorELNS0_4arch9wavefront6targetE0EEEvSH_.has_recursion, 0
	.set _ZN7rocprim17ROCPRIM_400000_NS6detail17trampoline_kernelINS0_14default_configENS1_35radix_sort_onesweep_config_selectorIiNS0_10empty_typeEEEZZNS1_29radix_sort_onesweep_iterationIS3_Lb0EN6thrust23THRUST_200600_302600_NS10device_ptrIiEESB_PS5_SC_jNS0_19identity_decomposerENS1_16block_id_wrapperIjLb0EEEEE10hipError_tT1_PNSt15iterator_traitsISH_E10value_typeET2_T3_PNSI_ISN_E10value_typeET4_T5_PSS_ST_PNS1_23onesweep_lookback_stateEbbT6_jjT7_P12ihipStream_tbENKUlT_T0_SH_SM_E_clISB_SB_SC_SC_EEDaS10_S11_SH_SM_EUlS10_E_NS1_11comp_targetILNS1_3genE6ELNS1_11target_archE950ELNS1_3gpuE13ELNS1_3repE0EEENS1_47radix_sort_onesweep_sort_config_static_selectorELNS0_4arch9wavefront6targetE0EEEvSH_.has_indirect_call, 0
	.section	.AMDGPU.csdata,"",@progbits
; Kernel info:
; codeLenInByte = 0
; TotalNumSgprs: 0
; NumVgprs: 0
; ScratchSize: 0
; MemoryBound: 0
; FloatMode: 240
; IeeeMode: 1
; LDSByteSize: 0 bytes/workgroup (compile time only)
; SGPRBlocks: 0
; VGPRBlocks: 0
; NumSGPRsForWavesPerEU: 1
; NumVGPRsForWavesPerEU: 1
; Occupancy: 16
; WaveLimiterHint : 0
; COMPUTE_PGM_RSRC2:SCRATCH_EN: 0
; COMPUTE_PGM_RSRC2:USER_SGPR: 6
; COMPUTE_PGM_RSRC2:TRAP_HANDLER: 0
; COMPUTE_PGM_RSRC2:TGID_X_EN: 1
; COMPUTE_PGM_RSRC2:TGID_Y_EN: 0
; COMPUTE_PGM_RSRC2:TGID_Z_EN: 0
; COMPUTE_PGM_RSRC2:TIDIG_COMP_CNT: 0
	.section	.text._ZN7rocprim17ROCPRIM_400000_NS6detail17trampoline_kernelINS0_14default_configENS1_35radix_sort_onesweep_config_selectorIiNS0_10empty_typeEEEZZNS1_29radix_sort_onesweep_iterationIS3_Lb0EN6thrust23THRUST_200600_302600_NS10device_ptrIiEESB_PS5_SC_jNS0_19identity_decomposerENS1_16block_id_wrapperIjLb0EEEEE10hipError_tT1_PNSt15iterator_traitsISH_E10value_typeET2_T3_PNSI_ISN_E10value_typeET4_T5_PSS_ST_PNS1_23onesweep_lookback_stateEbbT6_jjT7_P12ihipStream_tbENKUlT_T0_SH_SM_E_clISB_SB_SC_SC_EEDaS10_S11_SH_SM_EUlS10_E_NS1_11comp_targetILNS1_3genE5ELNS1_11target_archE942ELNS1_3gpuE9ELNS1_3repE0EEENS1_47radix_sort_onesweep_sort_config_static_selectorELNS0_4arch9wavefront6targetE0EEEvSH_,"axG",@progbits,_ZN7rocprim17ROCPRIM_400000_NS6detail17trampoline_kernelINS0_14default_configENS1_35radix_sort_onesweep_config_selectorIiNS0_10empty_typeEEEZZNS1_29radix_sort_onesweep_iterationIS3_Lb0EN6thrust23THRUST_200600_302600_NS10device_ptrIiEESB_PS5_SC_jNS0_19identity_decomposerENS1_16block_id_wrapperIjLb0EEEEE10hipError_tT1_PNSt15iterator_traitsISH_E10value_typeET2_T3_PNSI_ISN_E10value_typeET4_T5_PSS_ST_PNS1_23onesweep_lookback_stateEbbT6_jjT7_P12ihipStream_tbENKUlT_T0_SH_SM_E_clISB_SB_SC_SC_EEDaS10_S11_SH_SM_EUlS10_E_NS1_11comp_targetILNS1_3genE5ELNS1_11target_archE942ELNS1_3gpuE9ELNS1_3repE0EEENS1_47radix_sort_onesweep_sort_config_static_selectorELNS0_4arch9wavefront6targetE0EEEvSH_,comdat
	.protected	_ZN7rocprim17ROCPRIM_400000_NS6detail17trampoline_kernelINS0_14default_configENS1_35radix_sort_onesweep_config_selectorIiNS0_10empty_typeEEEZZNS1_29radix_sort_onesweep_iterationIS3_Lb0EN6thrust23THRUST_200600_302600_NS10device_ptrIiEESB_PS5_SC_jNS0_19identity_decomposerENS1_16block_id_wrapperIjLb0EEEEE10hipError_tT1_PNSt15iterator_traitsISH_E10value_typeET2_T3_PNSI_ISN_E10value_typeET4_T5_PSS_ST_PNS1_23onesweep_lookback_stateEbbT6_jjT7_P12ihipStream_tbENKUlT_T0_SH_SM_E_clISB_SB_SC_SC_EEDaS10_S11_SH_SM_EUlS10_E_NS1_11comp_targetILNS1_3genE5ELNS1_11target_archE942ELNS1_3gpuE9ELNS1_3repE0EEENS1_47radix_sort_onesweep_sort_config_static_selectorELNS0_4arch9wavefront6targetE0EEEvSH_ ; -- Begin function _ZN7rocprim17ROCPRIM_400000_NS6detail17trampoline_kernelINS0_14default_configENS1_35radix_sort_onesweep_config_selectorIiNS0_10empty_typeEEEZZNS1_29radix_sort_onesweep_iterationIS3_Lb0EN6thrust23THRUST_200600_302600_NS10device_ptrIiEESB_PS5_SC_jNS0_19identity_decomposerENS1_16block_id_wrapperIjLb0EEEEE10hipError_tT1_PNSt15iterator_traitsISH_E10value_typeET2_T3_PNSI_ISN_E10value_typeET4_T5_PSS_ST_PNS1_23onesweep_lookback_stateEbbT6_jjT7_P12ihipStream_tbENKUlT_T0_SH_SM_E_clISB_SB_SC_SC_EEDaS10_S11_SH_SM_EUlS10_E_NS1_11comp_targetILNS1_3genE5ELNS1_11target_archE942ELNS1_3gpuE9ELNS1_3repE0EEENS1_47radix_sort_onesweep_sort_config_static_selectorELNS0_4arch9wavefront6targetE0EEEvSH_
	.globl	_ZN7rocprim17ROCPRIM_400000_NS6detail17trampoline_kernelINS0_14default_configENS1_35radix_sort_onesweep_config_selectorIiNS0_10empty_typeEEEZZNS1_29radix_sort_onesweep_iterationIS3_Lb0EN6thrust23THRUST_200600_302600_NS10device_ptrIiEESB_PS5_SC_jNS0_19identity_decomposerENS1_16block_id_wrapperIjLb0EEEEE10hipError_tT1_PNSt15iterator_traitsISH_E10value_typeET2_T3_PNSI_ISN_E10value_typeET4_T5_PSS_ST_PNS1_23onesweep_lookback_stateEbbT6_jjT7_P12ihipStream_tbENKUlT_T0_SH_SM_E_clISB_SB_SC_SC_EEDaS10_S11_SH_SM_EUlS10_E_NS1_11comp_targetILNS1_3genE5ELNS1_11target_archE942ELNS1_3gpuE9ELNS1_3repE0EEENS1_47radix_sort_onesweep_sort_config_static_selectorELNS0_4arch9wavefront6targetE0EEEvSH_
	.p2align	8
	.type	_ZN7rocprim17ROCPRIM_400000_NS6detail17trampoline_kernelINS0_14default_configENS1_35radix_sort_onesweep_config_selectorIiNS0_10empty_typeEEEZZNS1_29radix_sort_onesweep_iterationIS3_Lb0EN6thrust23THRUST_200600_302600_NS10device_ptrIiEESB_PS5_SC_jNS0_19identity_decomposerENS1_16block_id_wrapperIjLb0EEEEE10hipError_tT1_PNSt15iterator_traitsISH_E10value_typeET2_T3_PNSI_ISN_E10value_typeET4_T5_PSS_ST_PNS1_23onesweep_lookback_stateEbbT6_jjT7_P12ihipStream_tbENKUlT_T0_SH_SM_E_clISB_SB_SC_SC_EEDaS10_S11_SH_SM_EUlS10_E_NS1_11comp_targetILNS1_3genE5ELNS1_11target_archE942ELNS1_3gpuE9ELNS1_3repE0EEENS1_47radix_sort_onesweep_sort_config_static_selectorELNS0_4arch9wavefront6targetE0EEEvSH_,@function
_ZN7rocprim17ROCPRIM_400000_NS6detail17trampoline_kernelINS0_14default_configENS1_35radix_sort_onesweep_config_selectorIiNS0_10empty_typeEEEZZNS1_29radix_sort_onesweep_iterationIS3_Lb0EN6thrust23THRUST_200600_302600_NS10device_ptrIiEESB_PS5_SC_jNS0_19identity_decomposerENS1_16block_id_wrapperIjLb0EEEEE10hipError_tT1_PNSt15iterator_traitsISH_E10value_typeET2_T3_PNSI_ISN_E10value_typeET4_T5_PSS_ST_PNS1_23onesweep_lookback_stateEbbT6_jjT7_P12ihipStream_tbENKUlT_T0_SH_SM_E_clISB_SB_SC_SC_EEDaS10_S11_SH_SM_EUlS10_E_NS1_11comp_targetILNS1_3genE5ELNS1_11target_archE942ELNS1_3gpuE9ELNS1_3repE0EEENS1_47radix_sort_onesweep_sort_config_static_selectorELNS0_4arch9wavefront6targetE0EEEvSH_: ; @_ZN7rocprim17ROCPRIM_400000_NS6detail17trampoline_kernelINS0_14default_configENS1_35radix_sort_onesweep_config_selectorIiNS0_10empty_typeEEEZZNS1_29radix_sort_onesweep_iterationIS3_Lb0EN6thrust23THRUST_200600_302600_NS10device_ptrIiEESB_PS5_SC_jNS0_19identity_decomposerENS1_16block_id_wrapperIjLb0EEEEE10hipError_tT1_PNSt15iterator_traitsISH_E10value_typeET2_T3_PNSI_ISN_E10value_typeET4_T5_PSS_ST_PNS1_23onesweep_lookback_stateEbbT6_jjT7_P12ihipStream_tbENKUlT_T0_SH_SM_E_clISB_SB_SC_SC_EEDaS10_S11_SH_SM_EUlS10_E_NS1_11comp_targetILNS1_3genE5ELNS1_11target_archE942ELNS1_3gpuE9ELNS1_3repE0EEENS1_47radix_sort_onesweep_sort_config_static_selectorELNS0_4arch9wavefront6targetE0EEEvSH_
; %bb.0:
	.section	.rodata,"a",@progbits
	.p2align	6, 0x0
	.amdhsa_kernel _ZN7rocprim17ROCPRIM_400000_NS6detail17trampoline_kernelINS0_14default_configENS1_35radix_sort_onesweep_config_selectorIiNS0_10empty_typeEEEZZNS1_29radix_sort_onesweep_iterationIS3_Lb0EN6thrust23THRUST_200600_302600_NS10device_ptrIiEESB_PS5_SC_jNS0_19identity_decomposerENS1_16block_id_wrapperIjLb0EEEEE10hipError_tT1_PNSt15iterator_traitsISH_E10value_typeET2_T3_PNSI_ISN_E10value_typeET4_T5_PSS_ST_PNS1_23onesweep_lookback_stateEbbT6_jjT7_P12ihipStream_tbENKUlT_T0_SH_SM_E_clISB_SB_SC_SC_EEDaS10_S11_SH_SM_EUlS10_E_NS1_11comp_targetILNS1_3genE5ELNS1_11target_archE942ELNS1_3gpuE9ELNS1_3repE0EEENS1_47radix_sort_onesweep_sort_config_static_selectorELNS0_4arch9wavefront6targetE0EEEvSH_
		.amdhsa_group_segment_fixed_size 0
		.amdhsa_private_segment_fixed_size 0
		.amdhsa_kernarg_size 88
		.amdhsa_user_sgpr_count 6
		.amdhsa_user_sgpr_private_segment_buffer 1
		.amdhsa_user_sgpr_dispatch_ptr 0
		.amdhsa_user_sgpr_queue_ptr 0
		.amdhsa_user_sgpr_kernarg_segment_ptr 1
		.amdhsa_user_sgpr_dispatch_id 0
		.amdhsa_user_sgpr_flat_scratch_init 0
		.amdhsa_user_sgpr_private_segment_size 0
		.amdhsa_wavefront_size32 1
		.amdhsa_uses_dynamic_stack 0
		.amdhsa_system_sgpr_private_segment_wavefront_offset 0
		.amdhsa_system_sgpr_workgroup_id_x 1
		.amdhsa_system_sgpr_workgroup_id_y 0
		.amdhsa_system_sgpr_workgroup_id_z 0
		.amdhsa_system_sgpr_workgroup_info 0
		.amdhsa_system_vgpr_workitem_id 0
		.amdhsa_next_free_vgpr 1
		.amdhsa_next_free_sgpr 1
		.amdhsa_reserve_vcc 0
		.amdhsa_reserve_flat_scratch 0
		.amdhsa_float_round_mode_32 0
		.amdhsa_float_round_mode_16_64 0
		.amdhsa_float_denorm_mode_32 3
		.amdhsa_float_denorm_mode_16_64 3
		.amdhsa_dx10_clamp 1
		.amdhsa_ieee_mode 1
		.amdhsa_fp16_overflow 0
		.amdhsa_workgroup_processor_mode 1
		.amdhsa_memory_ordered 1
		.amdhsa_forward_progress 1
		.amdhsa_shared_vgpr_count 0
		.amdhsa_exception_fp_ieee_invalid_op 0
		.amdhsa_exception_fp_denorm_src 0
		.amdhsa_exception_fp_ieee_div_zero 0
		.amdhsa_exception_fp_ieee_overflow 0
		.amdhsa_exception_fp_ieee_underflow 0
		.amdhsa_exception_fp_ieee_inexact 0
		.amdhsa_exception_int_div_zero 0
	.end_amdhsa_kernel
	.section	.text._ZN7rocprim17ROCPRIM_400000_NS6detail17trampoline_kernelINS0_14default_configENS1_35radix_sort_onesweep_config_selectorIiNS0_10empty_typeEEEZZNS1_29radix_sort_onesweep_iterationIS3_Lb0EN6thrust23THRUST_200600_302600_NS10device_ptrIiEESB_PS5_SC_jNS0_19identity_decomposerENS1_16block_id_wrapperIjLb0EEEEE10hipError_tT1_PNSt15iterator_traitsISH_E10value_typeET2_T3_PNSI_ISN_E10value_typeET4_T5_PSS_ST_PNS1_23onesweep_lookback_stateEbbT6_jjT7_P12ihipStream_tbENKUlT_T0_SH_SM_E_clISB_SB_SC_SC_EEDaS10_S11_SH_SM_EUlS10_E_NS1_11comp_targetILNS1_3genE5ELNS1_11target_archE942ELNS1_3gpuE9ELNS1_3repE0EEENS1_47radix_sort_onesweep_sort_config_static_selectorELNS0_4arch9wavefront6targetE0EEEvSH_,"axG",@progbits,_ZN7rocprim17ROCPRIM_400000_NS6detail17trampoline_kernelINS0_14default_configENS1_35radix_sort_onesweep_config_selectorIiNS0_10empty_typeEEEZZNS1_29radix_sort_onesweep_iterationIS3_Lb0EN6thrust23THRUST_200600_302600_NS10device_ptrIiEESB_PS5_SC_jNS0_19identity_decomposerENS1_16block_id_wrapperIjLb0EEEEE10hipError_tT1_PNSt15iterator_traitsISH_E10value_typeET2_T3_PNSI_ISN_E10value_typeET4_T5_PSS_ST_PNS1_23onesweep_lookback_stateEbbT6_jjT7_P12ihipStream_tbENKUlT_T0_SH_SM_E_clISB_SB_SC_SC_EEDaS10_S11_SH_SM_EUlS10_E_NS1_11comp_targetILNS1_3genE5ELNS1_11target_archE942ELNS1_3gpuE9ELNS1_3repE0EEENS1_47radix_sort_onesweep_sort_config_static_selectorELNS0_4arch9wavefront6targetE0EEEvSH_,comdat
.Lfunc_end1273:
	.size	_ZN7rocprim17ROCPRIM_400000_NS6detail17trampoline_kernelINS0_14default_configENS1_35radix_sort_onesweep_config_selectorIiNS0_10empty_typeEEEZZNS1_29radix_sort_onesweep_iterationIS3_Lb0EN6thrust23THRUST_200600_302600_NS10device_ptrIiEESB_PS5_SC_jNS0_19identity_decomposerENS1_16block_id_wrapperIjLb0EEEEE10hipError_tT1_PNSt15iterator_traitsISH_E10value_typeET2_T3_PNSI_ISN_E10value_typeET4_T5_PSS_ST_PNS1_23onesweep_lookback_stateEbbT6_jjT7_P12ihipStream_tbENKUlT_T0_SH_SM_E_clISB_SB_SC_SC_EEDaS10_S11_SH_SM_EUlS10_E_NS1_11comp_targetILNS1_3genE5ELNS1_11target_archE942ELNS1_3gpuE9ELNS1_3repE0EEENS1_47radix_sort_onesweep_sort_config_static_selectorELNS0_4arch9wavefront6targetE0EEEvSH_, .Lfunc_end1273-_ZN7rocprim17ROCPRIM_400000_NS6detail17trampoline_kernelINS0_14default_configENS1_35radix_sort_onesweep_config_selectorIiNS0_10empty_typeEEEZZNS1_29radix_sort_onesweep_iterationIS3_Lb0EN6thrust23THRUST_200600_302600_NS10device_ptrIiEESB_PS5_SC_jNS0_19identity_decomposerENS1_16block_id_wrapperIjLb0EEEEE10hipError_tT1_PNSt15iterator_traitsISH_E10value_typeET2_T3_PNSI_ISN_E10value_typeET4_T5_PSS_ST_PNS1_23onesweep_lookback_stateEbbT6_jjT7_P12ihipStream_tbENKUlT_T0_SH_SM_E_clISB_SB_SC_SC_EEDaS10_S11_SH_SM_EUlS10_E_NS1_11comp_targetILNS1_3genE5ELNS1_11target_archE942ELNS1_3gpuE9ELNS1_3repE0EEENS1_47radix_sort_onesweep_sort_config_static_selectorELNS0_4arch9wavefront6targetE0EEEvSH_
                                        ; -- End function
	.set _ZN7rocprim17ROCPRIM_400000_NS6detail17trampoline_kernelINS0_14default_configENS1_35radix_sort_onesweep_config_selectorIiNS0_10empty_typeEEEZZNS1_29radix_sort_onesweep_iterationIS3_Lb0EN6thrust23THRUST_200600_302600_NS10device_ptrIiEESB_PS5_SC_jNS0_19identity_decomposerENS1_16block_id_wrapperIjLb0EEEEE10hipError_tT1_PNSt15iterator_traitsISH_E10value_typeET2_T3_PNSI_ISN_E10value_typeET4_T5_PSS_ST_PNS1_23onesweep_lookback_stateEbbT6_jjT7_P12ihipStream_tbENKUlT_T0_SH_SM_E_clISB_SB_SC_SC_EEDaS10_S11_SH_SM_EUlS10_E_NS1_11comp_targetILNS1_3genE5ELNS1_11target_archE942ELNS1_3gpuE9ELNS1_3repE0EEENS1_47radix_sort_onesweep_sort_config_static_selectorELNS0_4arch9wavefront6targetE0EEEvSH_.num_vgpr, 0
	.set _ZN7rocprim17ROCPRIM_400000_NS6detail17trampoline_kernelINS0_14default_configENS1_35radix_sort_onesweep_config_selectorIiNS0_10empty_typeEEEZZNS1_29radix_sort_onesweep_iterationIS3_Lb0EN6thrust23THRUST_200600_302600_NS10device_ptrIiEESB_PS5_SC_jNS0_19identity_decomposerENS1_16block_id_wrapperIjLb0EEEEE10hipError_tT1_PNSt15iterator_traitsISH_E10value_typeET2_T3_PNSI_ISN_E10value_typeET4_T5_PSS_ST_PNS1_23onesweep_lookback_stateEbbT6_jjT7_P12ihipStream_tbENKUlT_T0_SH_SM_E_clISB_SB_SC_SC_EEDaS10_S11_SH_SM_EUlS10_E_NS1_11comp_targetILNS1_3genE5ELNS1_11target_archE942ELNS1_3gpuE9ELNS1_3repE0EEENS1_47radix_sort_onesweep_sort_config_static_selectorELNS0_4arch9wavefront6targetE0EEEvSH_.num_agpr, 0
	.set _ZN7rocprim17ROCPRIM_400000_NS6detail17trampoline_kernelINS0_14default_configENS1_35radix_sort_onesweep_config_selectorIiNS0_10empty_typeEEEZZNS1_29radix_sort_onesweep_iterationIS3_Lb0EN6thrust23THRUST_200600_302600_NS10device_ptrIiEESB_PS5_SC_jNS0_19identity_decomposerENS1_16block_id_wrapperIjLb0EEEEE10hipError_tT1_PNSt15iterator_traitsISH_E10value_typeET2_T3_PNSI_ISN_E10value_typeET4_T5_PSS_ST_PNS1_23onesweep_lookback_stateEbbT6_jjT7_P12ihipStream_tbENKUlT_T0_SH_SM_E_clISB_SB_SC_SC_EEDaS10_S11_SH_SM_EUlS10_E_NS1_11comp_targetILNS1_3genE5ELNS1_11target_archE942ELNS1_3gpuE9ELNS1_3repE0EEENS1_47radix_sort_onesweep_sort_config_static_selectorELNS0_4arch9wavefront6targetE0EEEvSH_.numbered_sgpr, 0
	.set _ZN7rocprim17ROCPRIM_400000_NS6detail17trampoline_kernelINS0_14default_configENS1_35radix_sort_onesweep_config_selectorIiNS0_10empty_typeEEEZZNS1_29radix_sort_onesweep_iterationIS3_Lb0EN6thrust23THRUST_200600_302600_NS10device_ptrIiEESB_PS5_SC_jNS0_19identity_decomposerENS1_16block_id_wrapperIjLb0EEEEE10hipError_tT1_PNSt15iterator_traitsISH_E10value_typeET2_T3_PNSI_ISN_E10value_typeET4_T5_PSS_ST_PNS1_23onesweep_lookback_stateEbbT6_jjT7_P12ihipStream_tbENKUlT_T0_SH_SM_E_clISB_SB_SC_SC_EEDaS10_S11_SH_SM_EUlS10_E_NS1_11comp_targetILNS1_3genE5ELNS1_11target_archE942ELNS1_3gpuE9ELNS1_3repE0EEENS1_47radix_sort_onesweep_sort_config_static_selectorELNS0_4arch9wavefront6targetE0EEEvSH_.num_named_barrier, 0
	.set _ZN7rocprim17ROCPRIM_400000_NS6detail17trampoline_kernelINS0_14default_configENS1_35radix_sort_onesweep_config_selectorIiNS0_10empty_typeEEEZZNS1_29radix_sort_onesweep_iterationIS3_Lb0EN6thrust23THRUST_200600_302600_NS10device_ptrIiEESB_PS5_SC_jNS0_19identity_decomposerENS1_16block_id_wrapperIjLb0EEEEE10hipError_tT1_PNSt15iterator_traitsISH_E10value_typeET2_T3_PNSI_ISN_E10value_typeET4_T5_PSS_ST_PNS1_23onesweep_lookback_stateEbbT6_jjT7_P12ihipStream_tbENKUlT_T0_SH_SM_E_clISB_SB_SC_SC_EEDaS10_S11_SH_SM_EUlS10_E_NS1_11comp_targetILNS1_3genE5ELNS1_11target_archE942ELNS1_3gpuE9ELNS1_3repE0EEENS1_47radix_sort_onesweep_sort_config_static_selectorELNS0_4arch9wavefront6targetE0EEEvSH_.private_seg_size, 0
	.set _ZN7rocprim17ROCPRIM_400000_NS6detail17trampoline_kernelINS0_14default_configENS1_35radix_sort_onesweep_config_selectorIiNS0_10empty_typeEEEZZNS1_29radix_sort_onesweep_iterationIS3_Lb0EN6thrust23THRUST_200600_302600_NS10device_ptrIiEESB_PS5_SC_jNS0_19identity_decomposerENS1_16block_id_wrapperIjLb0EEEEE10hipError_tT1_PNSt15iterator_traitsISH_E10value_typeET2_T3_PNSI_ISN_E10value_typeET4_T5_PSS_ST_PNS1_23onesweep_lookback_stateEbbT6_jjT7_P12ihipStream_tbENKUlT_T0_SH_SM_E_clISB_SB_SC_SC_EEDaS10_S11_SH_SM_EUlS10_E_NS1_11comp_targetILNS1_3genE5ELNS1_11target_archE942ELNS1_3gpuE9ELNS1_3repE0EEENS1_47radix_sort_onesweep_sort_config_static_selectorELNS0_4arch9wavefront6targetE0EEEvSH_.uses_vcc, 0
	.set _ZN7rocprim17ROCPRIM_400000_NS6detail17trampoline_kernelINS0_14default_configENS1_35radix_sort_onesweep_config_selectorIiNS0_10empty_typeEEEZZNS1_29radix_sort_onesweep_iterationIS3_Lb0EN6thrust23THRUST_200600_302600_NS10device_ptrIiEESB_PS5_SC_jNS0_19identity_decomposerENS1_16block_id_wrapperIjLb0EEEEE10hipError_tT1_PNSt15iterator_traitsISH_E10value_typeET2_T3_PNSI_ISN_E10value_typeET4_T5_PSS_ST_PNS1_23onesweep_lookback_stateEbbT6_jjT7_P12ihipStream_tbENKUlT_T0_SH_SM_E_clISB_SB_SC_SC_EEDaS10_S11_SH_SM_EUlS10_E_NS1_11comp_targetILNS1_3genE5ELNS1_11target_archE942ELNS1_3gpuE9ELNS1_3repE0EEENS1_47radix_sort_onesweep_sort_config_static_selectorELNS0_4arch9wavefront6targetE0EEEvSH_.uses_flat_scratch, 0
	.set _ZN7rocprim17ROCPRIM_400000_NS6detail17trampoline_kernelINS0_14default_configENS1_35radix_sort_onesweep_config_selectorIiNS0_10empty_typeEEEZZNS1_29radix_sort_onesweep_iterationIS3_Lb0EN6thrust23THRUST_200600_302600_NS10device_ptrIiEESB_PS5_SC_jNS0_19identity_decomposerENS1_16block_id_wrapperIjLb0EEEEE10hipError_tT1_PNSt15iterator_traitsISH_E10value_typeET2_T3_PNSI_ISN_E10value_typeET4_T5_PSS_ST_PNS1_23onesweep_lookback_stateEbbT6_jjT7_P12ihipStream_tbENKUlT_T0_SH_SM_E_clISB_SB_SC_SC_EEDaS10_S11_SH_SM_EUlS10_E_NS1_11comp_targetILNS1_3genE5ELNS1_11target_archE942ELNS1_3gpuE9ELNS1_3repE0EEENS1_47radix_sort_onesweep_sort_config_static_selectorELNS0_4arch9wavefront6targetE0EEEvSH_.has_dyn_sized_stack, 0
	.set _ZN7rocprim17ROCPRIM_400000_NS6detail17trampoline_kernelINS0_14default_configENS1_35radix_sort_onesweep_config_selectorIiNS0_10empty_typeEEEZZNS1_29radix_sort_onesweep_iterationIS3_Lb0EN6thrust23THRUST_200600_302600_NS10device_ptrIiEESB_PS5_SC_jNS0_19identity_decomposerENS1_16block_id_wrapperIjLb0EEEEE10hipError_tT1_PNSt15iterator_traitsISH_E10value_typeET2_T3_PNSI_ISN_E10value_typeET4_T5_PSS_ST_PNS1_23onesweep_lookback_stateEbbT6_jjT7_P12ihipStream_tbENKUlT_T0_SH_SM_E_clISB_SB_SC_SC_EEDaS10_S11_SH_SM_EUlS10_E_NS1_11comp_targetILNS1_3genE5ELNS1_11target_archE942ELNS1_3gpuE9ELNS1_3repE0EEENS1_47radix_sort_onesweep_sort_config_static_selectorELNS0_4arch9wavefront6targetE0EEEvSH_.has_recursion, 0
	.set _ZN7rocprim17ROCPRIM_400000_NS6detail17trampoline_kernelINS0_14default_configENS1_35radix_sort_onesweep_config_selectorIiNS0_10empty_typeEEEZZNS1_29radix_sort_onesweep_iterationIS3_Lb0EN6thrust23THRUST_200600_302600_NS10device_ptrIiEESB_PS5_SC_jNS0_19identity_decomposerENS1_16block_id_wrapperIjLb0EEEEE10hipError_tT1_PNSt15iterator_traitsISH_E10value_typeET2_T3_PNSI_ISN_E10value_typeET4_T5_PSS_ST_PNS1_23onesweep_lookback_stateEbbT6_jjT7_P12ihipStream_tbENKUlT_T0_SH_SM_E_clISB_SB_SC_SC_EEDaS10_S11_SH_SM_EUlS10_E_NS1_11comp_targetILNS1_3genE5ELNS1_11target_archE942ELNS1_3gpuE9ELNS1_3repE0EEENS1_47radix_sort_onesweep_sort_config_static_selectorELNS0_4arch9wavefront6targetE0EEEvSH_.has_indirect_call, 0
	.section	.AMDGPU.csdata,"",@progbits
; Kernel info:
; codeLenInByte = 0
; TotalNumSgprs: 0
; NumVgprs: 0
; ScratchSize: 0
; MemoryBound: 0
; FloatMode: 240
; IeeeMode: 1
; LDSByteSize: 0 bytes/workgroup (compile time only)
; SGPRBlocks: 0
; VGPRBlocks: 0
; NumSGPRsForWavesPerEU: 1
; NumVGPRsForWavesPerEU: 1
; Occupancy: 16
; WaveLimiterHint : 0
; COMPUTE_PGM_RSRC2:SCRATCH_EN: 0
; COMPUTE_PGM_RSRC2:USER_SGPR: 6
; COMPUTE_PGM_RSRC2:TRAP_HANDLER: 0
; COMPUTE_PGM_RSRC2:TGID_X_EN: 1
; COMPUTE_PGM_RSRC2:TGID_Y_EN: 0
; COMPUTE_PGM_RSRC2:TGID_Z_EN: 0
; COMPUTE_PGM_RSRC2:TIDIG_COMP_CNT: 0
	.section	.text._ZN7rocprim17ROCPRIM_400000_NS6detail17trampoline_kernelINS0_14default_configENS1_35radix_sort_onesweep_config_selectorIiNS0_10empty_typeEEEZZNS1_29radix_sort_onesweep_iterationIS3_Lb0EN6thrust23THRUST_200600_302600_NS10device_ptrIiEESB_PS5_SC_jNS0_19identity_decomposerENS1_16block_id_wrapperIjLb0EEEEE10hipError_tT1_PNSt15iterator_traitsISH_E10value_typeET2_T3_PNSI_ISN_E10value_typeET4_T5_PSS_ST_PNS1_23onesweep_lookback_stateEbbT6_jjT7_P12ihipStream_tbENKUlT_T0_SH_SM_E_clISB_SB_SC_SC_EEDaS10_S11_SH_SM_EUlS10_E_NS1_11comp_targetILNS1_3genE2ELNS1_11target_archE906ELNS1_3gpuE6ELNS1_3repE0EEENS1_47radix_sort_onesweep_sort_config_static_selectorELNS0_4arch9wavefront6targetE0EEEvSH_,"axG",@progbits,_ZN7rocprim17ROCPRIM_400000_NS6detail17trampoline_kernelINS0_14default_configENS1_35radix_sort_onesweep_config_selectorIiNS0_10empty_typeEEEZZNS1_29radix_sort_onesweep_iterationIS3_Lb0EN6thrust23THRUST_200600_302600_NS10device_ptrIiEESB_PS5_SC_jNS0_19identity_decomposerENS1_16block_id_wrapperIjLb0EEEEE10hipError_tT1_PNSt15iterator_traitsISH_E10value_typeET2_T3_PNSI_ISN_E10value_typeET4_T5_PSS_ST_PNS1_23onesweep_lookback_stateEbbT6_jjT7_P12ihipStream_tbENKUlT_T0_SH_SM_E_clISB_SB_SC_SC_EEDaS10_S11_SH_SM_EUlS10_E_NS1_11comp_targetILNS1_3genE2ELNS1_11target_archE906ELNS1_3gpuE6ELNS1_3repE0EEENS1_47radix_sort_onesweep_sort_config_static_selectorELNS0_4arch9wavefront6targetE0EEEvSH_,comdat
	.protected	_ZN7rocprim17ROCPRIM_400000_NS6detail17trampoline_kernelINS0_14default_configENS1_35radix_sort_onesweep_config_selectorIiNS0_10empty_typeEEEZZNS1_29radix_sort_onesweep_iterationIS3_Lb0EN6thrust23THRUST_200600_302600_NS10device_ptrIiEESB_PS5_SC_jNS0_19identity_decomposerENS1_16block_id_wrapperIjLb0EEEEE10hipError_tT1_PNSt15iterator_traitsISH_E10value_typeET2_T3_PNSI_ISN_E10value_typeET4_T5_PSS_ST_PNS1_23onesweep_lookback_stateEbbT6_jjT7_P12ihipStream_tbENKUlT_T0_SH_SM_E_clISB_SB_SC_SC_EEDaS10_S11_SH_SM_EUlS10_E_NS1_11comp_targetILNS1_3genE2ELNS1_11target_archE906ELNS1_3gpuE6ELNS1_3repE0EEENS1_47radix_sort_onesweep_sort_config_static_selectorELNS0_4arch9wavefront6targetE0EEEvSH_ ; -- Begin function _ZN7rocprim17ROCPRIM_400000_NS6detail17trampoline_kernelINS0_14default_configENS1_35radix_sort_onesweep_config_selectorIiNS0_10empty_typeEEEZZNS1_29radix_sort_onesweep_iterationIS3_Lb0EN6thrust23THRUST_200600_302600_NS10device_ptrIiEESB_PS5_SC_jNS0_19identity_decomposerENS1_16block_id_wrapperIjLb0EEEEE10hipError_tT1_PNSt15iterator_traitsISH_E10value_typeET2_T3_PNSI_ISN_E10value_typeET4_T5_PSS_ST_PNS1_23onesweep_lookback_stateEbbT6_jjT7_P12ihipStream_tbENKUlT_T0_SH_SM_E_clISB_SB_SC_SC_EEDaS10_S11_SH_SM_EUlS10_E_NS1_11comp_targetILNS1_3genE2ELNS1_11target_archE906ELNS1_3gpuE6ELNS1_3repE0EEENS1_47radix_sort_onesweep_sort_config_static_selectorELNS0_4arch9wavefront6targetE0EEEvSH_
	.globl	_ZN7rocprim17ROCPRIM_400000_NS6detail17trampoline_kernelINS0_14default_configENS1_35radix_sort_onesweep_config_selectorIiNS0_10empty_typeEEEZZNS1_29radix_sort_onesweep_iterationIS3_Lb0EN6thrust23THRUST_200600_302600_NS10device_ptrIiEESB_PS5_SC_jNS0_19identity_decomposerENS1_16block_id_wrapperIjLb0EEEEE10hipError_tT1_PNSt15iterator_traitsISH_E10value_typeET2_T3_PNSI_ISN_E10value_typeET4_T5_PSS_ST_PNS1_23onesweep_lookback_stateEbbT6_jjT7_P12ihipStream_tbENKUlT_T0_SH_SM_E_clISB_SB_SC_SC_EEDaS10_S11_SH_SM_EUlS10_E_NS1_11comp_targetILNS1_3genE2ELNS1_11target_archE906ELNS1_3gpuE6ELNS1_3repE0EEENS1_47radix_sort_onesweep_sort_config_static_selectorELNS0_4arch9wavefront6targetE0EEEvSH_
	.p2align	8
	.type	_ZN7rocprim17ROCPRIM_400000_NS6detail17trampoline_kernelINS0_14default_configENS1_35radix_sort_onesweep_config_selectorIiNS0_10empty_typeEEEZZNS1_29radix_sort_onesweep_iterationIS3_Lb0EN6thrust23THRUST_200600_302600_NS10device_ptrIiEESB_PS5_SC_jNS0_19identity_decomposerENS1_16block_id_wrapperIjLb0EEEEE10hipError_tT1_PNSt15iterator_traitsISH_E10value_typeET2_T3_PNSI_ISN_E10value_typeET4_T5_PSS_ST_PNS1_23onesweep_lookback_stateEbbT6_jjT7_P12ihipStream_tbENKUlT_T0_SH_SM_E_clISB_SB_SC_SC_EEDaS10_S11_SH_SM_EUlS10_E_NS1_11comp_targetILNS1_3genE2ELNS1_11target_archE906ELNS1_3gpuE6ELNS1_3repE0EEENS1_47radix_sort_onesweep_sort_config_static_selectorELNS0_4arch9wavefront6targetE0EEEvSH_,@function
_ZN7rocprim17ROCPRIM_400000_NS6detail17trampoline_kernelINS0_14default_configENS1_35radix_sort_onesweep_config_selectorIiNS0_10empty_typeEEEZZNS1_29radix_sort_onesweep_iterationIS3_Lb0EN6thrust23THRUST_200600_302600_NS10device_ptrIiEESB_PS5_SC_jNS0_19identity_decomposerENS1_16block_id_wrapperIjLb0EEEEE10hipError_tT1_PNSt15iterator_traitsISH_E10value_typeET2_T3_PNSI_ISN_E10value_typeET4_T5_PSS_ST_PNS1_23onesweep_lookback_stateEbbT6_jjT7_P12ihipStream_tbENKUlT_T0_SH_SM_E_clISB_SB_SC_SC_EEDaS10_S11_SH_SM_EUlS10_E_NS1_11comp_targetILNS1_3genE2ELNS1_11target_archE906ELNS1_3gpuE6ELNS1_3repE0EEENS1_47radix_sort_onesweep_sort_config_static_selectorELNS0_4arch9wavefront6targetE0EEEvSH_: ; @_ZN7rocprim17ROCPRIM_400000_NS6detail17trampoline_kernelINS0_14default_configENS1_35radix_sort_onesweep_config_selectorIiNS0_10empty_typeEEEZZNS1_29radix_sort_onesweep_iterationIS3_Lb0EN6thrust23THRUST_200600_302600_NS10device_ptrIiEESB_PS5_SC_jNS0_19identity_decomposerENS1_16block_id_wrapperIjLb0EEEEE10hipError_tT1_PNSt15iterator_traitsISH_E10value_typeET2_T3_PNSI_ISN_E10value_typeET4_T5_PSS_ST_PNS1_23onesweep_lookback_stateEbbT6_jjT7_P12ihipStream_tbENKUlT_T0_SH_SM_E_clISB_SB_SC_SC_EEDaS10_S11_SH_SM_EUlS10_E_NS1_11comp_targetILNS1_3genE2ELNS1_11target_archE906ELNS1_3gpuE6ELNS1_3repE0EEENS1_47radix_sort_onesweep_sort_config_static_selectorELNS0_4arch9wavefront6targetE0EEEvSH_
; %bb.0:
	.section	.rodata,"a",@progbits
	.p2align	6, 0x0
	.amdhsa_kernel _ZN7rocprim17ROCPRIM_400000_NS6detail17trampoline_kernelINS0_14default_configENS1_35radix_sort_onesweep_config_selectorIiNS0_10empty_typeEEEZZNS1_29radix_sort_onesweep_iterationIS3_Lb0EN6thrust23THRUST_200600_302600_NS10device_ptrIiEESB_PS5_SC_jNS0_19identity_decomposerENS1_16block_id_wrapperIjLb0EEEEE10hipError_tT1_PNSt15iterator_traitsISH_E10value_typeET2_T3_PNSI_ISN_E10value_typeET4_T5_PSS_ST_PNS1_23onesweep_lookback_stateEbbT6_jjT7_P12ihipStream_tbENKUlT_T0_SH_SM_E_clISB_SB_SC_SC_EEDaS10_S11_SH_SM_EUlS10_E_NS1_11comp_targetILNS1_3genE2ELNS1_11target_archE906ELNS1_3gpuE6ELNS1_3repE0EEENS1_47radix_sort_onesweep_sort_config_static_selectorELNS0_4arch9wavefront6targetE0EEEvSH_
		.amdhsa_group_segment_fixed_size 0
		.amdhsa_private_segment_fixed_size 0
		.amdhsa_kernarg_size 88
		.amdhsa_user_sgpr_count 6
		.amdhsa_user_sgpr_private_segment_buffer 1
		.amdhsa_user_sgpr_dispatch_ptr 0
		.amdhsa_user_sgpr_queue_ptr 0
		.amdhsa_user_sgpr_kernarg_segment_ptr 1
		.amdhsa_user_sgpr_dispatch_id 0
		.amdhsa_user_sgpr_flat_scratch_init 0
		.amdhsa_user_sgpr_private_segment_size 0
		.amdhsa_wavefront_size32 1
		.amdhsa_uses_dynamic_stack 0
		.amdhsa_system_sgpr_private_segment_wavefront_offset 0
		.amdhsa_system_sgpr_workgroup_id_x 1
		.amdhsa_system_sgpr_workgroup_id_y 0
		.amdhsa_system_sgpr_workgroup_id_z 0
		.amdhsa_system_sgpr_workgroup_info 0
		.amdhsa_system_vgpr_workitem_id 0
		.amdhsa_next_free_vgpr 1
		.amdhsa_next_free_sgpr 1
		.amdhsa_reserve_vcc 0
		.amdhsa_reserve_flat_scratch 0
		.amdhsa_float_round_mode_32 0
		.amdhsa_float_round_mode_16_64 0
		.amdhsa_float_denorm_mode_32 3
		.amdhsa_float_denorm_mode_16_64 3
		.amdhsa_dx10_clamp 1
		.amdhsa_ieee_mode 1
		.amdhsa_fp16_overflow 0
		.amdhsa_workgroup_processor_mode 1
		.amdhsa_memory_ordered 1
		.amdhsa_forward_progress 1
		.amdhsa_shared_vgpr_count 0
		.amdhsa_exception_fp_ieee_invalid_op 0
		.amdhsa_exception_fp_denorm_src 0
		.amdhsa_exception_fp_ieee_div_zero 0
		.amdhsa_exception_fp_ieee_overflow 0
		.amdhsa_exception_fp_ieee_underflow 0
		.amdhsa_exception_fp_ieee_inexact 0
		.amdhsa_exception_int_div_zero 0
	.end_amdhsa_kernel
	.section	.text._ZN7rocprim17ROCPRIM_400000_NS6detail17trampoline_kernelINS0_14default_configENS1_35radix_sort_onesweep_config_selectorIiNS0_10empty_typeEEEZZNS1_29radix_sort_onesweep_iterationIS3_Lb0EN6thrust23THRUST_200600_302600_NS10device_ptrIiEESB_PS5_SC_jNS0_19identity_decomposerENS1_16block_id_wrapperIjLb0EEEEE10hipError_tT1_PNSt15iterator_traitsISH_E10value_typeET2_T3_PNSI_ISN_E10value_typeET4_T5_PSS_ST_PNS1_23onesweep_lookback_stateEbbT6_jjT7_P12ihipStream_tbENKUlT_T0_SH_SM_E_clISB_SB_SC_SC_EEDaS10_S11_SH_SM_EUlS10_E_NS1_11comp_targetILNS1_3genE2ELNS1_11target_archE906ELNS1_3gpuE6ELNS1_3repE0EEENS1_47radix_sort_onesweep_sort_config_static_selectorELNS0_4arch9wavefront6targetE0EEEvSH_,"axG",@progbits,_ZN7rocprim17ROCPRIM_400000_NS6detail17trampoline_kernelINS0_14default_configENS1_35radix_sort_onesweep_config_selectorIiNS0_10empty_typeEEEZZNS1_29radix_sort_onesweep_iterationIS3_Lb0EN6thrust23THRUST_200600_302600_NS10device_ptrIiEESB_PS5_SC_jNS0_19identity_decomposerENS1_16block_id_wrapperIjLb0EEEEE10hipError_tT1_PNSt15iterator_traitsISH_E10value_typeET2_T3_PNSI_ISN_E10value_typeET4_T5_PSS_ST_PNS1_23onesweep_lookback_stateEbbT6_jjT7_P12ihipStream_tbENKUlT_T0_SH_SM_E_clISB_SB_SC_SC_EEDaS10_S11_SH_SM_EUlS10_E_NS1_11comp_targetILNS1_3genE2ELNS1_11target_archE906ELNS1_3gpuE6ELNS1_3repE0EEENS1_47radix_sort_onesweep_sort_config_static_selectorELNS0_4arch9wavefront6targetE0EEEvSH_,comdat
.Lfunc_end1274:
	.size	_ZN7rocprim17ROCPRIM_400000_NS6detail17trampoline_kernelINS0_14default_configENS1_35radix_sort_onesweep_config_selectorIiNS0_10empty_typeEEEZZNS1_29radix_sort_onesweep_iterationIS3_Lb0EN6thrust23THRUST_200600_302600_NS10device_ptrIiEESB_PS5_SC_jNS0_19identity_decomposerENS1_16block_id_wrapperIjLb0EEEEE10hipError_tT1_PNSt15iterator_traitsISH_E10value_typeET2_T3_PNSI_ISN_E10value_typeET4_T5_PSS_ST_PNS1_23onesweep_lookback_stateEbbT6_jjT7_P12ihipStream_tbENKUlT_T0_SH_SM_E_clISB_SB_SC_SC_EEDaS10_S11_SH_SM_EUlS10_E_NS1_11comp_targetILNS1_3genE2ELNS1_11target_archE906ELNS1_3gpuE6ELNS1_3repE0EEENS1_47radix_sort_onesweep_sort_config_static_selectorELNS0_4arch9wavefront6targetE0EEEvSH_, .Lfunc_end1274-_ZN7rocprim17ROCPRIM_400000_NS6detail17trampoline_kernelINS0_14default_configENS1_35radix_sort_onesweep_config_selectorIiNS0_10empty_typeEEEZZNS1_29radix_sort_onesweep_iterationIS3_Lb0EN6thrust23THRUST_200600_302600_NS10device_ptrIiEESB_PS5_SC_jNS0_19identity_decomposerENS1_16block_id_wrapperIjLb0EEEEE10hipError_tT1_PNSt15iterator_traitsISH_E10value_typeET2_T3_PNSI_ISN_E10value_typeET4_T5_PSS_ST_PNS1_23onesweep_lookback_stateEbbT6_jjT7_P12ihipStream_tbENKUlT_T0_SH_SM_E_clISB_SB_SC_SC_EEDaS10_S11_SH_SM_EUlS10_E_NS1_11comp_targetILNS1_3genE2ELNS1_11target_archE906ELNS1_3gpuE6ELNS1_3repE0EEENS1_47radix_sort_onesweep_sort_config_static_selectorELNS0_4arch9wavefront6targetE0EEEvSH_
                                        ; -- End function
	.set _ZN7rocprim17ROCPRIM_400000_NS6detail17trampoline_kernelINS0_14default_configENS1_35radix_sort_onesweep_config_selectorIiNS0_10empty_typeEEEZZNS1_29radix_sort_onesweep_iterationIS3_Lb0EN6thrust23THRUST_200600_302600_NS10device_ptrIiEESB_PS5_SC_jNS0_19identity_decomposerENS1_16block_id_wrapperIjLb0EEEEE10hipError_tT1_PNSt15iterator_traitsISH_E10value_typeET2_T3_PNSI_ISN_E10value_typeET4_T5_PSS_ST_PNS1_23onesweep_lookback_stateEbbT6_jjT7_P12ihipStream_tbENKUlT_T0_SH_SM_E_clISB_SB_SC_SC_EEDaS10_S11_SH_SM_EUlS10_E_NS1_11comp_targetILNS1_3genE2ELNS1_11target_archE906ELNS1_3gpuE6ELNS1_3repE0EEENS1_47radix_sort_onesweep_sort_config_static_selectorELNS0_4arch9wavefront6targetE0EEEvSH_.num_vgpr, 0
	.set _ZN7rocprim17ROCPRIM_400000_NS6detail17trampoline_kernelINS0_14default_configENS1_35radix_sort_onesweep_config_selectorIiNS0_10empty_typeEEEZZNS1_29radix_sort_onesweep_iterationIS3_Lb0EN6thrust23THRUST_200600_302600_NS10device_ptrIiEESB_PS5_SC_jNS0_19identity_decomposerENS1_16block_id_wrapperIjLb0EEEEE10hipError_tT1_PNSt15iterator_traitsISH_E10value_typeET2_T3_PNSI_ISN_E10value_typeET4_T5_PSS_ST_PNS1_23onesweep_lookback_stateEbbT6_jjT7_P12ihipStream_tbENKUlT_T0_SH_SM_E_clISB_SB_SC_SC_EEDaS10_S11_SH_SM_EUlS10_E_NS1_11comp_targetILNS1_3genE2ELNS1_11target_archE906ELNS1_3gpuE6ELNS1_3repE0EEENS1_47radix_sort_onesweep_sort_config_static_selectorELNS0_4arch9wavefront6targetE0EEEvSH_.num_agpr, 0
	.set _ZN7rocprim17ROCPRIM_400000_NS6detail17trampoline_kernelINS0_14default_configENS1_35radix_sort_onesweep_config_selectorIiNS0_10empty_typeEEEZZNS1_29radix_sort_onesweep_iterationIS3_Lb0EN6thrust23THRUST_200600_302600_NS10device_ptrIiEESB_PS5_SC_jNS0_19identity_decomposerENS1_16block_id_wrapperIjLb0EEEEE10hipError_tT1_PNSt15iterator_traitsISH_E10value_typeET2_T3_PNSI_ISN_E10value_typeET4_T5_PSS_ST_PNS1_23onesweep_lookback_stateEbbT6_jjT7_P12ihipStream_tbENKUlT_T0_SH_SM_E_clISB_SB_SC_SC_EEDaS10_S11_SH_SM_EUlS10_E_NS1_11comp_targetILNS1_3genE2ELNS1_11target_archE906ELNS1_3gpuE6ELNS1_3repE0EEENS1_47radix_sort_onesweep_sort_config_static_selectorELNS0_4arch9wavefront6targetE0EEEvSH_.numbered_sgpr, 0
	.set _ZN7rocprim17ROCPRIM_400000_NS6detail17trampoline_kernelINS0_14default_configENS1_35radix_sort_onesweep_config_selectorIiNS0_10empty_typeEEEZZNS1_29radix_sort_onesweep_iterationIS3_Lb0EN6thrust23THRUST_200600_302600_NS10device_ptrIiEESB_PS5_SC_jNS0_19identity_decomposerENS1_16block_id_wrapperIjLb0EEEEE10hipError_tT1_PNSt15iterator_traitsISH_E10value_typeET2_T3_PNSI_ISN_E10value_typeET4_T5_PSS_ST_PNS1_23onesweep_lookback_stateEbbT6_jjT7_P12ihipStream_tbENKUlT_T0_SH_SM_E_clISB_SB_SC_SC_EEDaS10_S11_SH_SM_EUlS10_E_NS1_11comp_targetILNS1_3genE2ELNS1_11target_archE906ELNS1_3gpuE6ELNS1_3repE0EEENS1_47radix_sort_onesweep_sort_config_static_selectorELNS0_4arch9wavefront6targetE0EEEvSH_.num_named_barrier, 0
	.set _ZN7rocprim17ROCPRIM_400000_NS6detail17trampoline_kernelINS0_14default_configENS1_35radix_sort_onesweep_config_selectorIiNS0_10empty_typeEEEZZNS1_29radix_sort_onesweep_iterationIS3_Lb0EN6thrust23THRUST_200600_302600_NS10device_ptrIiEESB_PS5_SC_jNS0_19identity_decomposerENS1_16block_id_wrapperIjLb0EEEEE10hipError_tT1_PNSt15iterator_traitsISH_E10value_typeET2_T3_PNSI_ISN_E10value_typeET4_T5_PSS_ST_PNS1_23onesweep_lookback_stateEbbT6_jjT7_P12ihipStream_tbENKUlT_T0_SH_SM_E_clISB_SB_SC_SC_EEDaS10_S11_SH_SM_EUlS10_E_NS1_11comp_targetILNS1_3genE2ELNS1_11target_archE906ELNS1_3gpuE6ELNS1_3repE0EEENS1_47radix_sort_onesweep_sort_config_static_selectorELNS0_4arch9wavefront6targetE0EEEvSH_.private_seg_size, 0
	.set _ZN7rocprim17ROCPRIM_400000_NS6detail17trampoline_kernelINS0_14default_configENS1_35radix_sort_onesweep_config_selectorIiNS0_10empty_typeEEEZZNS1_29radix_sort_onesweep_iterationIS3_Lb0EN6thrust23THRUST_200600_302600_NS10device_ptrIiEESB_PS5_SC_jNS0_19identity_decomposerENS1_16block_id_wrapperIjLb0EEEEE10hipError_tT1_PNSt15iterator_traitsISH_E10value_typeET2_T3_PNSI_ISN_E10value_typeET4_T5_PSS_ST_PNS1_23onesweep_lookback_stateEbbT6_jjT7_P12ihipStream_tbENKUlT_T0_SH_SM_E_clISB_SB_SC_SC_EEDaS10_S11_SH_SM_EUlS10_E_NS1_11comp_targetILNS1_3genE2ELNS1_11target_archE906ELNS1_3gpuE6ELNS1_3repE0EEENS1_47radix_sort_onesweep_sort_config_static_selectorELNS0_4arch9wavefront6targetE0EEEvSH_.uses_vcc, 0
	.set _ZN7rocprim17ROCPRIM_400000_NS6detail17trampoline_kernelINS0_14default_configENS1_35radix_sort_onesweep_config_selectorIiNS0_10empty_typeEEEZZNS1_29radix_sort_onesweep_iterationIS3_Lb0EN6thrust23THRUST_200600_302600_NS10device_ptrIiEESB_PS5_SC_jNS0_19identity_decomposerENS1_16block_id_wrapperIjLb0EEEEE10hipError_tT1_PNSt15iterator_traitsISH_E10value_typeET2_T3_PNSI_ISN_E10value_typeET4_T5_PSS_ST_PNS1_23onesweep_lookback_stateEbbT6_jjT7_P12ihipStream_tbENKUlT_T0_SH_SM_E_clISB_SB_SC_SC_EEDaS10_S11_SH_SM_EUlS10_E_NS1_11comp_targetILNS1_3genE2ELNS1_11target_archE906ELNS1_3gpuE6ELNS1_3repE0EEENS1_47radix_sort_onesweep_sort_config_static_selectorELNS0_4arch9wavefront6targetE0EEEvSH_.uses_flat_scratch, 0
	.set _ZN7rocprim17ROCPRIM_400000_NS6detail17trampoline_kernelINS0_14default_configENS1_35radix_sort_onesweep_config_selectorIiNS0_10empty_typeEEEZZNS1_29radix_sort_onesweep_iterationIS3_Lb0EN6thrust23THRUST_200600_302600_NS10device_ptrIiEESB_PS5_SC_jNS0_19identity_decomposerENS1_16block_id_wrapperIjLb0EEEEE10hipError_tT1_PNSt15iterator_traitsISH_E10value_typeET2_T3_PNSI_ISN_E10value_typeET4_T5_PSS_ST_PNS1_23onesweep_lookback_stateEbbT6_jjT7_P12ihipStream_tbENKUlT_T0_SH_SM_E_clISB_SB_SC_SC_EEDaS10_S11_SH_SM_EUlS10_E_NS1_11comp_targetILNS1_3genE2ELNS1_11target_archE906ELNS1_3gpuE6ELNS1_3repE0EEENS1_47radix_sort_onesweep_sort_config_static_selectorELNS0_4arch9wavefront6targetE0EEEvSH_.has_dyn_sized_stack, 0
	.set _ZN7rocprim17ROCPRIM_400000_NS6detail17trampoline_kernelINS0_14default_configENS1_35radix_sort_onesweep_config_selectorIiNS0_10empty_typeEEEZZNS1_29radix_sort_onesweep_iterationIS3_Lb0EN6thrust23THRUST_200600_302600_NS10device_ptrIiEESB_PS5_SC_jNS0_19identity_decomposerENS1_16block_id_wrapperIjLb0EEEEE10hipError_tT1_PNSt15iterator_traitsISH_E10value_typeET2_T3_PNSI_ISN_E10value_typeET4_T5_PSS_ST_PNS1_23onesweep_lookback_stateEbbT6_jjT7_P12ihipStream_tbENKUlT_T0_SH_SM_E_clISB_SB_SC_SC_EEDaS10_S11_SH_SM_EUlS10_E_NS1_11comp_targetILNS1_3genE2ELNS1_11target_archE906ELNS1_3gpuE6ELNS1_3repE0EEENS1_47radix_sort_onesweep_sort_config_static_selectorELNS0_4arch9wavefront6targetE0EEEvSH_.has_recursion, 0
	.set _ZN7rocprim17ROCPRIM_400000_NS6detail17trampoline_kernelINS0_14default_configENS1_35radix_sort_onesweep_config_selectorIiNS0_10empty_typeEEEZZNS1_29radix_sort_onesweep_iterationIS3_Lb0EN6thrust23THRUST_200600_302600_NS10device_ptrIiEESB_PS5_SC_jNS0_19identity_decomposerENS1_16block_id_wrapperIjLb0EEEEE10hipError_tT1_PNSt15iterator_traitsISH_E10value_typeET2_T3_PNSI_ISN_E10value_typeET4_T5_PSS_ST_PNS1_23onesweep_lookback_stateEbbT6_jjT7_P12ihipStream_tbENKUlT_T0_SH_SM_E_clISB_SB_SC_SC_EEDaS10_S11_SH_SM_EUlS10_E_NS1_11comp_targetILNS1_3genE2ELNS1_11target_archE906ELNS1_3gpuE6ELNS1_3repE0EEENS1_47radix_sort_onesweep_sort_config_static_selectorELNS0_4arch9wavefront6targetE0EEEvSH_.has_indirect_call, 0
	.section	.AMDGPU.csdata,"",@progbits
; Kernel info:
; codeLenInByte = 0
; TotalNumSgprs: 0
; NumVgprs: 0
; ScratchSize: 0
; MemoryBound: 0
; FloatMode: 240
; IeeeMode: 1
; LDSByteSize: 0 bytes/workgroup (compile time only)
; SGPRBlocks: 0
; VGPRBlocks: 0
; NumSGPRsForWavesPerEU: 1
; NumVGPRsForWavesPerEU: 1
; Occupancy: 16
; WaveLimiterHint : 0
; COMPUTE_PGM_RSRC2:SCRATCH_EN: 0
; COMPUTE_PGM_RSRC2:USER_SGPR: 6
; COMPUTE_PGM_RSRC2:TRAP_HANDLER: 0
; COMPUTE_PGM_RSRC2:TGID_X_EN: 1
; COMPUTE_PGM_RSRC2:TGID_Y_EN: 0
; COMPUTE_PGM_RSRC2:TGID_Z_EN: 0
; COMPUTE_PGM_RSRC2:TIDIG_COMP_CNT: 0
	.section	.text._ZN7rocprim17ROCPRIM_400000_NS6detail17trampoline_kernelINS0_14default_configENS1_35radix_sort_onesweep_config_selectorIiNS0_10empty_typeEEEZZNS1_29radix_sort_onesweep_iterationIS3_Lb0EN6thrust23THRUST_200600_302600_NS10device_ptrIiEESB_PS5_SC_jNS0_19identity_decomposerENS1_16block_id_wrapperIjLb0EEEEE10hipError_tT1_PNSt15iterator_traitsISH_E10value_typeET2_T3_PNSI_ISN_E10value_typeET4_T5_PSS_ST_PNS1_23onesweep_lookback_stateEbbT6_jjT7_P12ihipStream_tbENKUlT_T0_SH_SM_E_clISB_SB_SC_SC_EEDaS10_S11_SH_SM_EUlS10_E_NS1_11comp_targetILNS1_3genE4ELNS1_11target_archE910ELNS1_3gpuE8ELNS1_3repE0EEENS1_47radix_sort_onesweep_sort_config_static_selectorELNS0_4arch9wavefront6targetE0EEEvSH_,"axG",@progbits,_ZN7rocprim17ROCPRIM_400000_NS6detail17trampoline_kernelINS0_14default_configENS1_35radix_sort_onesweep_config_selectorIiNS0_10empty_typeEEEZZNS1_29radix_sort_onesweep_iterationIS3_Lb0EN6thrust23THRUST_200600_302600_NS10device_ptrIiEESB_PS5_SC_jNS0_19identity_decomposerENS1_16block_id_wrapperIjLb0EEEEE10hipError_tT1_PNSt15iterator_traitsISH_E10value_typeET2_T3_PNSI_ISN_E10value_typeET4_T5_PSS_ST_PNS1_23onesweep_lookback_stateEbbT6_jjT7_P12ihipStream_tbENKUlT_T0_SH_SM_E_clISB_SB_SC_SC_EEDaS10_S11_SH_SM_EUlS10_E_NS1_11comp_targetILNS1_3genE4ELNS1_11target_archE910ELNS1_3gpuE8ELNS1_3repE0EEENS1_47radix_sort_onesweep_sort_config_static_selectorELNS0_4arch9wavefront6targetE0EEEvSH_,comdat
	.protected	_ZN7rocprim17ROCPRIM_400000_NS6detail17trampoline_kernelINS0_14default_configENS1_35radix_sort_onesweep_config_selectorIiNS0_10empty_typeEEEZZNS1_29radix_sort_onesweep_iterationIS3_Lb0EN6thrust23THRUST_200600_302600_NS10device_ptrIiEESB_PS5_SC_jNS0_19identity_decomposerENS1_16block_id_wrapperIjLb0EEEEE10hipError_tT1_PNSt15iterator_traitsISH_E10value_typeET2_T3_PNSI_ISN_E10value_typeET4_T5_PSS_ST_PNS1_23onesweep_lookback_stateEbbT6_jjT7_P12ihipStream_tbENKUlT_T0_SH_SM_E_clISB_SB_SC_SC_EEDaS10_S11_SH_SM_EUlS10_E_NS1_11comp_targetILNS1_3genE4ELNS1_11target_archE910ELNS1_3gpuE8ELNS1_3repE0EEENS1_47radix_sort_onesweep_sort_config_static_selectorELNS0_4arch9wavefront6targetE0EEEvSH_ ; -- Begin function _ZN7rocprim17ROCPRIM_400000_NS6detail17trampoline_kernelINS0_14default_configENS1_35radix_sort_onesweep_config_selectorIiNS0_10empty_typeEEEZZNS1_29radix_sort_onesweep_iterationIS3_Lb0EN6thrust23THRUST_200600_302600_NS10device_ptrIiEESB_PS5_SC_jNS0_19identity_decomposerENS1_16block_id_wrapperIjLb0EEEEE10hipError_tT1_PNSt15iterator_traitsISH_E10value_typeET2_T3_PNSI_ISN_E10value_typeET4_T5_PSS_ST_PNS1_23onesweep_lookback_stateEbbT6_jjT7_P12ihipStream_tbENKUlT_T0_SH_SM_E_clISB_SB_SC_SC_EEDaS10_S11_SH_SM_EUlS10_E_NS1_11comp_targetILNS1_3genE4ELNS1_11target_archE910ELNS1_3gpuE8ELNS1_3repE0EEENS1_47radix_sort_onesweep_sort_config_static_selectorELNS0_4arch9wavefront6targetE0EEEvSH_
	.globl	_ZN7rocprim17ROCPRIM_400000_NS6detail17trampoline_kernelINS0_14default_configENS1_35radix_sort_onesweep_config_selectorIiNS0_10empty_typeEEEZZNS1_29radix_sort_onesweep_iterationIS3_Lb0EN6thrust23THRUST_200600_302600_NS10device_ptrIiEESB_PS5_SC_jNS0_19identity_decomposerENS1_16block_id_wrapperIjLb0EEEEE10hipError_tT1_PNSt15iterator_traitsISH_E10value_typeET2_T3_PNSI_ISN_E10value_typeET4_T5_PSS_ST_PNS1_23onesweep_lookback_stateEbbT6_jjT7_P12ihipStream_tbENKUlT_T0_SH_SM_E_clISB_SB_SC_SC_EEDaS10_S11_SH_SM_EUlS10_E_NS1_11comp_targetILNS1_3genE4ELNS1_11target_archE910ELNS1_3gpuE8ELNS1_3repE0EEENS1_47radix_sort_onesweep_sort_config_static_selectorELNS0_4arch9wavefront6targetE0EEEvSH_
	.p2align	8
	.type	_ZN7rocprim17ROCPRIM_400000_NS6detail17trampoline_kernelINS0_14default_configENS1_35radix_sort_onesweep_config_selectorIiNS0_10empty_typeEEEZZNS1_29radix_sort_onesweep_iterationIS3_Lb0EN6thrust23THRUST_200600_302600_NS10device_ptrIiEESB_PS5_SC_jNS0_19identity_decomposerENS1_16block_id_wrapperIjLb0EEEEE10hipError_tT1_PNSt15iterator_traitsISH_E10value_typeET2_T3_PNSI_ISN_E10value_typeET4_T5_PSS_ST_PNS1_23onesweep_lookback_stateEbbT6_jjT7_P12ihipStream_tbENKUlT_T0_SH_SM_E_clISB_SB_SC_SC_EEDaS10_S11_SH_SM_EUlS10_E_NS1_11comp_targetILNS1_3genE4ELNS1_11target_archE910ELNS1_3gpuE8ELNS1_3repE0EEENS1_47radix_sort_onesweep_sort_config_static_selectorELNS0_4arch9wavefront6targetE0EEEvSH_,@function
_ZN7rocprim17ROCPRIM_400000_NS6detail17trampoline_kernelINS0_14default_configENS1_35radix_sort_onesweep_config_selectorIiNS0_10empty_typeEEEZZNS1_29radix_sort_onesweep_iterationIS3_Lb0EN6thrust23THRUST_200600_302600_NS10device_ptrIiEESB_PS5_SC_jNS0_19identity_decomposerENS1_16block_id_wrapperIjLb0EEEEE10hipError_tT1_PNSt15iterator_traitsISH_E10value_typeET2_T3_PNSI_ISN_E10value_typeET4_T5_PSS_ST_PNS1_23onesweep_lookback_stateEbbT6_jjT7_P12ihipStream_tbENKUlT_T0_SH_SM_E_clISB_SB_SC_SC_EEDaS10_S11_SH_SM_EUlS10_E_NS1_11comp_targetILNS1_3genE4ELNS1_11target_archE910ELNS1_3gpuE8ELNS1_3repE0EEENS1_47radix_sort_onesweep_sort_config_static_selectorELNS0_4arch9wavefront6targetE0EEEvSH_: ; @_ZN7rocprim17ROCPRIM_400000_NS6detail17trampoline_kernelINS0_14default_configENS1_35radix_sort_onesweep_config_selectorIiNS0_10empty_typeEEEZZNS1_29radix_sort_onesweep_iterationIS3_Lb0EN6thrust23THRUST_200600_302600_NS10device_ptrIiEESB_PS5_SC_jNS0_19identity_decomposerENS1_16block_id_wrapperIjLb0EEEEE10hipError_tT1_PNSt15iterator_traitsISH_E10value_typeET2_T3_PNSI_ISN_E10value_typeET4_T5_PSS_ST_PNS1_23onesweep_lookback_stateEbbT6_jjT7_P12ihipStream_tbENKUlT_T0_SH_SM_E_clISB_SB_SC_SC_EEDaS10_S11_SH_SM_EUlS10_E_NS1_11comp_targetILNS1_3genE4ELNS1_11target_archE910ELNS1_3gpuE8ELNS1_3repE0EEENS1_47radix_sort_onesweep_sort_config_static_selectorELNS0_4arch9wavefront6targetE0EEEvSH_
; %bb.0:
	.section	.rodata,"a",@progbits
	.p2align	6, 0x0
	.amdhsa_kernel _ZN7rocprim17ROCPRIM_400000_NS6detail17trampoline_kernelINS0_14default_configENS1_35radix_sort_onesweep_config_selectorIiNS0_10empty_typeEEEZZNS1_29radix_sort_onesweep_iterationIS3_Lb0EN6thrust23THRUST_200600_302600_NS10device_ptrIiEESB_PS5_SC_jNS0_19identity_decomposerENS1_16block_id_wrapperIjLb0EEEEE10hipError_tT1_PNSt15iterator_traitsISH_E10value_typeET2_T3_PNSI_ISN_E10value_typeET4_T5_PSS_ST_PNS1_23onesweep_lookback_stateEbbT6_jjT7_P12ihipStream_tbENKUlT_T0_SH_SM_E_clISB_SB_SC_SC_EEDaS10_S11_SH_SM_EUlS10_E_NS1_11comp_targetILNS1_3genE4ELNS1_11target_archE910ELNS1_3gpuE8ELNS1_3repE0EEENS1_47radix_sort_onesweep_sort_config_static_selectorELNS0_4arch9wavefront6targetE0EEEvSH_
		.amdhsa_group_segment_fixed_size 0
		.amdhsa_private_segment_fixed_size 0
		.amdhsa_kernarg_size 88
		.amdhsa_user_sgpr_count 6
		.amdhsa_user_sgpr_private_segment_buffer 1
		.amdhsa_user_sgpr_dispatch_ptr 0
		.amdhsa_user_sgpr_queue_ptr 0
		.amdhsa_user_sgpr_kernarg_segment_ptr 1
		.amdhsa_user_sgpr_dispatch_id 0
		.amdhsa_user_sgpr_flat_scratch_init 0
		.amdhsa_user_sgpr_private_segment_size 0
		.amdhsa_wavefront_size32 1
		.amdhsa_uses_dynamic_stack 0
		.amdhsa_system_sgpr_private_segment_wavefront_offset 0
		.amdhsa_system_sgpr_workgroup_id_x 1
		.amdhsa_system_sgpr_workgroup_id_y 0
		.amdhsa_system_sgpr_workgroup_id_z 0
		.amdhsa_system_sgpr_workgroup_info 0
		.amdhsa_system_vgpr_workitem_id 0
		.amdhsa_next_free_vgpr 1
		.amdhsa_next_free_sgpr 1
		.amdhsa_reserve_vcc 0
		.amdhsa_reserve_flat_scratch 0
		.amdhsa_float_round_mode_32 0
		.amdhsa_float_round_mode_16_64 0
		.amdhsa_float_denorm_mode_32 3
		.amdhsa_float_denorm_mode_16_64 3
		.amdhsa_dx10_clamp 1
		.amdhsa_ieee_mode 1
		.amdhsa_fp16_overflow 0
		.amdhsa_workgroup_processor_mode 1
		.amdhsa_memory_ordered 1
		.amdhsa_forward_progress 1
		.amdhsa_shared_vgpr_count 0
		.amdhsa_exception_fp_ieee_invalid_op 0
		.amdhsa_exception_fp_denorm_src 0
		.amdhsa_exception_fp_ieee_div_zero 0
		.amdhsa_exception_fp_ieee_overflow 0
		.amdhsa_exception_fp_ieee_underflow 0
		.amdhsa_exception_fp_ieee_inexact 0
		.amdhsa_exception_int_div_zero 0
	.end_amdhsa_kernel
	.section	.text._ZN7rocprim17ROCPRIM_400000_NS6detail17trampoline_kernelINS0_14default_configENS1_35radix_sort_onesweep_config_selectorIiNS0_10empty_typeEEEZZNS1_29radix_sort_onesweep_iterationIS3_Lb0EN6thrust23THRUST_200600_302600_NS10device_ptrIiEESB_PS5_SC_jNS0_19identity_decomposerENS1_16block_id_wrapperIjLb0EEEEE10hipError_tT1_PNSt15iterator_traitsISH_E10value_typeET2_T3_PNSI_ISN_E10value_typeET4_T5_PSS_ST_PNS1_23onesweep_lookback_stateEbbT6_jjT7_P12ihipStream_tbENKUlT_T0_SH_SM_E_clISB_SB_SC_SC_EEDaS10_S11_SH_SM_EUlS10_E_NS1_11comp_targetILNS1_3genE4ELNS1_11target_archE910ELNS1_3gpuE8ELNS1_3repE0EEENS1_47radix_sort_onesweep_sort_config_static_selectorELNS0_4arch9wavefront6targetE0EEEvSH_,"axG",@progbits,_ZN7rocprim17ROCPRIM_400000_NS6detail17trampoline_kernelINS0_14default_configENS1_35radix_sort_onesweep_config_selectorIiNS0_10empty_typeEEEZZNS1_29radix_sort_onesweep_iterationIS3_Lb0EN6thrust23THRUST_200600_302600_NS10device_ptrIiEESB_PS5_SC_jNS0_19identity_decomposerENS1_16block_id_wrapperIjLb0EEEEE10hipError_tT1_PNSt15iterator_traitsISH_E10value_typeET2_T3_PNSI_ISN_E10value_typeET4_T5_PSS_ST_PNS1_23onesweep_lookback_stateEbbT6_jjT7_P12ihipStream_tbENKUlT_T0_SH_SM_E_clISB_SB_SC_SC_EEDaS10_S11_SH_SM_EUlS10_E_NS1_11comp_targetILNS1_3genE4ELNS1_11target_archE910ELNS1_3gpuE8ELNS1_3repE0EEENS1_47radix_sort_onesweep_sort_config_static_selectorELNS0_4arch9wavefront6targetE0EEEvSH_,comdat
.Lfunc_end1275:
	.size	_ZN7rocprim17ROCPRIM_400000_NS6detail17trampoline_kernelINS0_14default_configENS1_35radix_sort_onesweep_config_selectorIiNS0_10empty_typeEEEZZNS1_29radix_sort_onesweep_iterationIS3_Lb0EN6thrust23THRUST_200600_302600_NS10device_ptrIiEESB_PS5_SC_jNS0_19identity_decomposerENS1_16block_id_wrapperIjLb0EEEEE10hipError_tT1_PNSt15iterator_traitsISH_E10value_typeET2_T3_PNSI_ISN_E10value_typeET4_T5_PSS_ST_PNS1_23onesweep_lookback_stateEbbT6_jjT7_P12ihipStream_tbENKUlT_T0_SH_SM_E_clISB_SB_SC_SC_EEDaS10_S11_SH_SM_EUlS10_E_NS1_11comp_targetILNS1_3genE4ELNS1_11target_archE910ELNS1_3gpuE8ELNS1_3repE0EEENS1_47radix_sort_onesweep_sort_config_static_selectorELNS0_4arch9wavefront6targetE0EEEvSH_, .Lfunc_end1275-_ZN7rocprim17ROCPRIM_400000_NS6detail17trampoline_kernelINS0_14default_configENS1_35radix_sort_onesweep_config_selectorIiNS0_10empty_typeEEEZZNS1_29radix_sort_onesweep_iterationIS3_Lb0EN6thrust23THRUST_200600_302600_NS10device_ptrIiEESB_PS5_SC_jNS0_19identity_decomposerENS1_16block_id_wrapperIjLb0EEEEE10hipError_tT1_PNSt15iterator_traitsISH_E10value_typeET2_T3_PNSI_ISN_E10value_typeET4_T5_PSS_ST_PNS1_23onesweep_lookback_stateEbbT6_jjT7_P12ihipStream_tbENKUlT_T0_SH_SM_E_clISB_SB_SC_SC_EEDaS10_S11_SH_SM_EUlS10_E_NS1_11comp_targetILNS1_3genE4ELNS1_11target_archE910ELNS1_3gpuE8ELNS1_3repE0EEENS1_47radix_sort_onesweep_sort_config_static_selectorELNS0_4arch9wavefront6targetE0EEEvSH_
                                        ; -- End function
	.set _ZN7rocprim17ROCPRIM_400000_NS6detail17trampoline_kernelINS0_14default_configENS1_35radix_sort_onesweep_config_selectorIiNS0_10empty_typeEEEZZNS1_29radix_sort_onesweep_iterationIS3_Lb0EN6thrust23THRUST_200600_302600_NS10device_ptrIiEESB_PS5_SC_jNS0_19identity_decomposerENS1_16block_id_wrapperIjLb0EEEEE10hipError_tT1_PNSt15iterator_traitsISH_E10value_typeET2_T3_PNSI_ISN_E10value_typeET4_T5_PSS_ST_PNS1_23onesweep_lookback_stateEbbT6_jjT7_P12ihipStream_tbENKUlT_T0_SH_SM_E_clISB_SB_SC_SC_EEDaS10_S11_SH_SM_EUlS10_E_NS1_11comp_targetILNS1_3genE4ELNS1_11target_archE910ELNS1_3gpuE8ELNS1_3repE0EEENS1_47radix_sort_onesweep_sort_config_static_selectorELNS0_4arch9wavefront6targetE0EEEvSH_.num_vgpr, 0
	.set _ZN7rocprim17ROCPRIM_400000_NS6detail17trampoline_kernelINS0_14default_configENS1_35radix_sort_onesweep_config_selectorIiNS0_10empty_typeEEEZZNS1_29radix_sort_onesweep_iterationIS3_Lb0EN6thrust23THRUST_200600_302600_NS10device_ptrIiEESB_PS5_SC_jNS0_19identity_decomposerENS1_16block_id_wrapperIjLb0EEEEE10hipError_tT1_PNSt15iterator_traitsISH_E10value_typeET2_T3_PNSI_ISN_E10value_typeET4_T5_PSS_ST_PNS1_23onesweep_lookback_stateEbbT6_jjT7_P12ihipStream_tbENKUlT_T0_SH_SM_E_clISB_SB_SC_SC_EEDaS10_S11_SH_SM_EUlS10_E_NS1_11comp_targetILNS1_3genE4ELNS1_11target_archE910ELNS1_3gpuE8ELNS1_3repE0EEENS1_47radix_sort_onesweep_sort_config_static_selectorELNS0_4arch9wavefront6targetE0EEEvSH_.num_agpr, 0
	.set _ZN7rocprim17ROCPRIM_400000_NS6detail17trampoline_kernelINS0_14default_configENS1_35radix_sort_onesweep_config_selectorIiNS0_10empty_typeEEEZZNS1_29radix_sort_onesweep_iterationIS3_Lb0EN6thrust23THRUST_200600_302600_NS10device_ptrIiEESB_PS5_SC_jNS0_19identity_decomposerENS1_16block_id_wrapperIjLb0EEEEE10hipError_tT1_PNSt15iterator_traitsISH_E10value_typeET2_T3_PNSI_ISN_E10value_typeET4_T5_PSS_ST_PNS1_23onesweep_lookback_stateEbbT6_jjT7_P12ihipStream_tbENKUlT_T0_SH_SM_E_clISB_SB_SC_SC_EEDaS10_S11_SH_SM_EUlS10_E_NS1_11comp_targetILNS1_3genE4ELNS1_11target_archE910ELNS1_3gpuE8ELNS1_3repE0EEENS1_47radix_sort_onesweep_sort_config_static_selectorELNS0_4arch9wavefront6targetE0EEEvSH_.numbered_sgpr, 0
	.set _ZN7rocprim17ROCPRIM_400000_NS6detail17trampoline_kernelINS0_14default_configENS1_35radix_sort_onesweep_config_selectorIiNS0_10empty_typeEEEZZNS1_29radix_sort_onesweep_iterationIS3_Lb0EN6thrust23THRUST_200600_302600_NS10device_ptrIiEESB_PS5_SC_jNS0_19identity_decomposerENS1_16block_id_wrapperIjLb0EEEEE10hipError_tT1_PNSt15iterator_traitsISH_E10value_typeET2_T3_PNSI_ISN_E10value_typeET4_T5_PSS_ST_PNS1_23onesweep_lookback_stateEbbT6_jjT7_P12ihipStream_tbENKUlT_T0_SH_SM_E_clISB_SB_SC_SC_EEDaS10_S11_SH_SM_EUlS10_E_NS1_11comp_targetILNS1_3genE4ELNS1_11target_archE910ELNS1_3gpuE8ELNS1_3repE0EEENS1_47radix_sort_onesweep_sort_config_static_selectorELNS0_4arch9wavefront6targetE0EEEvSH_.num_named_barrier, 0
	.set _ZN7rocprim17ROCPRIM_400000_NS6detail17trampoline_kernelINS0_14default_configENS1_35radix_sort_onesweep_config_selectorIiNS0_10empty_typeEEEZZNS1_29radix_sort_onesweep_iterationIS3_Lb0EN6thrust23THRUST_200600_302600_NS10device_ptrIiEESB_PS5_SC_jNS0_19identity_decomposerENS1_16block_id_wrapperIjLb0EEEEE10hipError_tT1_PNSt15iterator_traitsISH_E10value_typeET2_T3_PNSI_ISN_E10value_typeET4_T5_PSS_ST_PNS1_23onesweep_lookback_stateEbbT6_jjT7_P12ihipStream_tbENKUlT_T0_SH_SM_E_clISB_SB_SC_SC_EEDaS10_S11_SH_SM_EUlS10_E_NS1_11comp_targetILNS1_3genE4ELNS1_11target_archE910ELNS1_3gpuE8ELNS1_3repE0EEENS1_47radix_sort_onesweep_sort_config_static_selectorELNS0_4arch9wavefront6targetE0EEEvSH_.private_seg_size, 0
	.set _ZN7rocprim17ROCPRIM_400000_NS6detail17trampoline_kernelINS0_14default_configENS1_35radix_sort_onesweep_config_selectorIiNS0_10empty_typeEEEZZNS1_29radix_sort_onesweep_iterationIS3_Lb0EN6thrust23THRUST_200600_302600_NS10device_ptrIiEESB_PS5_SC_jNS0_19identity_decomposerENS1_16block_id_wrapperIjLb0EEEEE10hipError_tT1_PNSt15iterator_traitsISH_E10value_typeET2_T3_PNSI_ISN_E10value_typeET4_T5_PSS_ST_PNS1_23onesweep_lookback_stateEbbT6_jjT7_P12ihipStream_tbENKUlT_T0_SH_SM_E_clISB_SB_SC_SC_EEDaS10_S11_SH_SM_EUlS10_E_NS1_11comp_targetILNS1_3genE4ELNS1_11target_archE910ELNS1_3gpuE8ELNS1_3repE0EEENS1_47radix_sort_onesweep_sort_config_static_selectorELNS0_4arch9wavefront6targetE0EEEvSH_.uses_vcc, 0
	.set _ZN7rocprim17ROCPRIM_400000_NS6detail17trampoline_kernelINS0_14default_configENS1_35radix_sort_onesweep_config_selectorIiNS0_10empty_typeEEEZZNS1_29radix_sort_onesweep_iterationIS3_Lb0EN6thrust23THRUST_200600_302600_NS10device_ptrIiEESB_PS5_SC_jNS0_19identity_decomposerENS1_16block_id_wrapperIjLb0EEEEE10hipError_tT1_PNSt15iterator_traitsISH_E10value_typeET2_T3_PNSI_ISN_E10value_typeET4_T5_PSS_ST_PNS1_23onesweep_lookback_stateEbbT6_jjT7_P12ihipStream_tbENKUlT_T0_SH_SM_E_clISB_SB_SC_SC_EEDaS10_S11_SH_SM_EUlS10_E_NS1_11comp_targetILNS1_3genE4ELNS1_11target_archE910ELNS1_3gpuE8ELNS1_3repE0EEENS1_47radix_sort_onesweep_sort_config_static_selectorELNS0_4arch9wavefront6targetE0EEEvSH_.uses_flat_scratch, 0
	.set _ZN7rocprim17ROCPRIM_400000_NS6detail17trampoline_kernelINS0_14default_configENS1_35radix_sort_onesweep_config_selectorIiNS0_10empty_typeEEEZZNS1_29radix_sort_onesweep_iterationIS3_Lb0EN6thrust23THRUST_200600_302600_NS10device_ptrIiEESB_PS5_SC_jNS0_19identity_decomposerENS1_16block_id_wrapperIjLb0EEEEE10hipError_tT1_PNSt15iterator_traitsISH_E10value_typeET2_T3_PNSI_ISN_E10value_typeET4_T5_PSS_ST_PNS1_23onesweep_lookback_stateEbbT6_jjT7_P12ihipStream_tbENKUlT_T0_SH_SM_E_clISB_SB_SC_SC_EEDaS10_S11_SH_SM_EUlS10_E_NS1_11comp_targetILNS1_3genE4ELNS1_11target_archE910ELNS1_3gpuE8ELNS1_3repE0EEENS1_47radix_sort_onesweep_sort_config_static_selectorELNS0_4arch9wavefront6targetE0EEEvSH_.has_dyn_sized_stack, 0
	.set _ZN7rocprim17ROCPRIM_400000_NS6detail17trampoline_kernelINS0_14default_configENS1_35radix_sort_onesweep_config_selectorIiNS0_10empty_typeEEEZZNS1_29radix_sort_onesweep_iterationIS3_Lb0EN6thrust23THRUST_200600_302600_NS10device_ptrIiEESB_PS5_SC_jNS0_19identity_decomposerENS1_16block_id_wrapperIjLb0EEEEE10hipError_tT1_PNSt15iterator_traitsISH_E10value_typeET2_T3_PNSI_ISN_E10value_typeET4_T5_PSS_ST_PNS1_23onesweep_lookback_stateEbbT6_jjT7_P12ihipStream_tbENKUlT_T0_SH_SM_E_clISB_SB_SC_SC_EEDaS10_S11_SH_SM_EUlS10_E_NS1_11comp_targetILNS1_3genE4ELNS1_11target_archE910ELNS1_3gpuE8ELNS1_3repE0EEENS1_47radix_sort_onesweep_sort_config_static_selectorELNS0_4arch9wavefront6targetE0EEEvSH_.has_recursion, 0
	.set _ZN7rocprim17ROCPRIM_400000_NS6detail17trampoline_kernelINS0_14default_configENS1_35radix_sort_onesweep_config_selectorIiNS0_10empty_typeEEEZZNS1_29radix_sort_onesweep_iterationIS3_Lb0EN6thrust23THRUST_200600_302600_NS10device_ptrIiEESB_PS5_SC_jNS0_19identity_decomposerENS1_16block_id_wrapperIjLb0EEEEE10hipError_tT1_PNSt15iterator_traitsISH_E10value_typeET2_T3_PNSI_ISN_E10value_typeET4_T5_PSS_ST_PNS1_23onesweep_lookback_stateEbbT6_jjT7_P12ihipStream_tbENKUlT_T0_SH_SM_E_clISB_SB_SC_SC_EEDaS10_S11_SH_SM_EUlS10_E_NS1_11comp_targetILNS1_3genE4ELNS1_11target_archE910ELNS1_3gpuE8ELNS1_3repE0EEENS1_47radix_sort_onesweep_sort_config_static_selectorELNS0_4arch9wavefront6targetE0EEEvSH_.has_indirect_call, 0
	.section	.AMDGPU.csdata,"",@progbits
; Kernel info:
; codeLenInByte = 0
; TotalNumSgprs: 0
; NumVgprs: 0
; ScratchSize: 0
; MemoryBound: 0
; FloatMode: 240
; IeeeMode: 1
; LDSByteSize: 0 bytes/workgroup (compile time only)
; SGPRBlocks: 0
; VGPRBlocks: 0
; NumSGPRsForWavesPerEU: 1
; NumVGPRsForWavesPerEU: 1
; Occupancy: 16
; WaveLimiterHint : 0
; COMPUTE_PGM_RSRC2:SCRATCH_EN: 0
; COMPUTE_PGM_RSRC2:USER_SGPR: 6
; COMPUTE_PGM_RSRC2:TRAP_HANDLER: 0
; COMPUTE_PGM_RSRC2:TGID_X_EN: 1
; COMPUTE_PGM_RSRC2:TGID_Y_EN: 0
; COMPUTE_PGM_RSRC2:TGID_Z_EN: 0
; COMPUTE_PGM_RSRC2:TIDIG_COMP_CNT: 0
	.section	.text._ZN7rocprim17ROCPRIM_400000_NS6detail17trampoline_kernelINS0_14default_configENS1_35radix_sort_onesweep_config_selectorIiNS0_10empty_typeEEEZZNS1_29radix_sort_onesweep_iterationIS3_Lb0EN6thrust23THRUST_200600_302600_NS10device_ptrIiEESB_PS5_SC_jNS0_19identity_decomposerENS1_16block_id_wrapperIjLb0EEEEE10hipError_tT1_PNSt15iterator_traitsISH_E10value_typeET2_T3_PNSI_ISN_E10value_typeET4_T5_PSS_ST_PNS1_23onesweep_lookback_stateEbbT6_jjT7_P12ihipStream_tbENKUlT_T0_SH_SM_E_clISB_SB_SC_SC_EEDaS10_S11_SH_SM_EUlS10_E_NS1_11comp_targetILNS1_3genE3ELNS1_11target_archE908ELNS1_3gpuE7ELNS1_3repE0EEENS1_47radix_sort_onesweep_sort_config_static_selectorELNS0_4arch9wavefront6targetE0EEEvSH_,"axG",@progbits,_ZN7rocprim17ROCPRIM_400000_NS6detail17trampoline_kernelINS0_14default_configENS1_35radix_sort_onesweep_config_selectorIiNS0_10empty_typeEEEZZNS1_29radix_sort_onesweep_iterationIS3_Lb0EN6thrust23THRUST_200600_302600_NS10device_ptrIiEESB_PS5_SC_jNS0_19identity_decomposerENS1_16block_id_wrapperIjLb0EEEEE10hipError_tT1_PNSt15iterator_traitsISH_E10value_typeET2_T3_PNSI_ISN_E10value_typeET4_T5_PSS_ST_PNS1_23onesweep_lookback_stateEbbT6_jjT7_P12ihipStream_tbENKUlT_T0_SH_SM_E_clISB_SB_SC_SC_EEDaS10_S11_SH_SM_EUlS10_E_NS1_11comp_targetILNS1_3genE3ELNS1_11target_archE908ELNS1_3gpuE7ELNS1_3repE0EEENS1_47radix_sort_onesweep_sort_config_static_selectorELNS0_4arch9wavefront6targetE0EEEvSH_,comdat
	.protected	_ZN7rocprim17ROCPRIM_400000_NS6detail17trampoline_kernelINS0_14default_configENS1_35radix_sort_onesweep_config_selectorIiNS0_10empty_typeEEEZZNS1_29radix_sort_onesweep_iterationIS3_Lb0EN6thrust23THRUST_200600_302600_NS10device_ptrIiEESB_PS5_SC_jNS0_19identity_decomposerENS1_16block_id_wrapperIjLb0EEEEE10hipError_tT1_PNSt15iterator_traitsISH_E10value_typeET2_T3_PNSI_ISN_E10value_typeET4_T5_PSS_ST_PNS1_23onesweep_lookback_stateEbbT6_jjT7_P12ihipStream_tbENKUlT_T0_SH_SM_E_clISB_SB_SC_SC_EEDaS10_S11_SH_SM_EUlS10_E_NS1_11comp_targetILNS1_3genE3ELNS1_11target_archE908ELNS1_3gpuE7ELNS1_3repE0EEENS1_47radix_sort_onesweep_sort_config_static_selectorELNS0_4arch9wavefront6targetE0EEEvSH_ ; -- Begin function _ZN7rocprim17ROCPRIM_400000_NS6detail17trampoline_kernelINS0_14default_configENS1_35radix_sort_onesweep_config_selectorIiNS0_10empty_typeEEEZZNS1_29radix_sort_onesweep_iterationIS3_Lb0EN6thrust23THRUST_200600_302600_NS10device_ptrIiEESB_PS5_SC_jNS0_19identity_decomposerENS1_16block_id_wrapperIjLb0EEEEE10hipError_tT1_PNSt15iterator_traitsISH_E10value_typeET2_T3_PNSI_ISN_E10value_typeET4_T5_PSS_ST_PNS1_23onesweep_lookback_stateEbbT6_jjT7_P12ihipStream_tbENKUlT_T0_SH_SM_E_clISB_SB_SC_SC_EEDaS10_S11_SH_SM_EUlS10_E_NS1_11comp_targetILNS1_3genE3ELNS1_11target_archE908ELNS1_3gpuE7ELNS1_3repE0EEENS1_47radix_sort_onesweep_sort_config_static_selectorELNS0_4arch9wavefront6targetE0EEEvSH_
	.globl	_ZN7rocprim17ROCPRIM_400000_NS6detail17trampoline_kernelINS0_14default_configENS1_35radix_sort_onesweep_config_selectorIiNS0_10empty_typeEEEZZNS1_29radix_sort_onesweep_iterationIS3_Lb0EN6thrust23THRUST_200600_302600_NS10device_ptrIiEESB_PS5_SC_jNS0_19identity_decomposerENS1_16block_id_wrapperIjLb0EEEEE10hipError_tT1_PNSt15iterator_traitsISH_E10value_typeET2_T3_PNSI_ISN_E10value_typeET4_T5_PSS_ST_PNS1_23onesweep_lookback_stateEbbT6_jjT7_P12ihipStream_tbENKUlT_T0_SH_SM_E_clISB_SB_SC_SC_EEDaS10_S11_SH_SM_EUlS10_E_NS1_11comp_targetILNS1_3genE3ELNS1_11target_archE908ELNS1_3gpuE7ELNS1_3repE0EEENS1_47radix_sort_onesweep_sort_config_static_selectorELNS0_4arch9wavefront6targetE0EEEvSH_
	.p2align	8
	.type	_ZN7rocprim17ROCPRIM_400000_NS6detail17trampoline_kernelINS0_14default_configENS1_35radix_sort_onesweep_config_selectorIiNS0_10empty_typeEEEZZNS1_29radix_sort_onesweep_iterationIS3_Lb0EN6thrust23THRUST_200600_302600_NS10device_ptrIiEESB_PS5_SC_jNS0_19identity_decomposerENS1_16block_id_wrapperIjLb0EEEEE10hipError_tT1_PNSt15iterator_traitsISH_E10value_typeET2_T3_PNSI_ISN_E10value_typeET4_T5_PSS_ST_PNS1_23onesweep_lookback_stateEbbT6_jjT7_P12ihipStream_tbENKUlT_T0_SH_SM_E_clISB_SB_SC_SC_EEDaS10_S11_SH_SM_EUlS10_E_NS1_11comp_targetILNS1_3genE3ELNS1_11target_archE908ELNS1_3gpuE7ELNS1_3repE0EEENS1_47radix_sort_onesweep_sort_config_static_selectorELNS0_4arch9wavefront6targetE0EEEvSH_,@function
_ZN7rocprim17ROCPRIM_400000_NS6detail17trampoline_kernelINS0_14default_configENS1_35radix_sort_onesweep_config_selectorIiNS0_10empty_typeEEEZZNS1_29radix_sort_onesweep_iterationIS3_Lb0EN6thrust23THRUST_200600_302600_NS10device_ptrIiEESB_PS5_SC_jNS0_19identity_decomposerENS1_16block_id_wrapperIjLb0EEEEE10hipError_tT1_PNSt15iterator_traitsISH_E10value_typeET2_T3_PNSI_ISN_E10value_typeET4_T5_PSS_ST_PNS1_23onesweep_lookback_stateEbbT6_jjT7_P12ihipStream_tbENKUlT_T0_SH_SM_E_clISB_SB_SC_SC_EEDaS10_S11_SH_SM_EUlS10_E_NS1_11comp_targetILNS1_3genE3ELNS1_11target_archE908ELNS1_3gpuE7ELNS1_3repE0EEENS1_47radix_sort_onesweep_sort_config_static_selectorELNS0_4arch9wavefront6targetE0EEEvSH_: ; @_ZN7rocprim17ROCPRIM_400000_NS6detail17trampoline_kernelINS0_14default_configENS1_35radix_sort_onesweep_config_selectorIiNS0_10empty_typeEEEZZNS1_29radix_sort_onesweep_iterationIS3_Lb0EN6thrust23THRUST_200600_302600_NS10device_ptrIiEESB_PS5_SC_jNS0_19identity_decomposerENS1_16block_id_wrapperIjLb0EEEEE10hipError_tT1_PNSt15iterator_traitsISH_E10value_typeET2_T3_PNSI_ISN_E10value_typeET4_T5_PSS_ST_PNS1_23onesweep_lookback_stateEbbT6_jjT7_P12ihipStream_tbENKUlT_T0_SH_SM_E_clISB_SB_SC_SC_EEDaS10_S11_SH_SM_EUlS10_E_NS1_11comp_targetILNS1_3genE3ELNS1_11target_archE908ELNS1_3gpuE7ELNS1_3repE0EEENS1_47radix_sort_onesweep_sort_config_static_selectorELNS0_4arch9wavefront6targetE0EEEvSH_
; %bb.0:
	.section	.rodata,"a",@progbits
	.p2align	6, 0x0
	.amdhsa_kernel _ZN7rocprim17ROCPRIM_400000_NS6detail17trampoline_kernelINS0_14default_configENS1_35radix_sort_onesweep_config_selectorIiNS0_10empty_typeEEEZZNS1_29radix_sort_onesweep_iterationIS3_Lb0EN6thrust23THRUST_200600_302600_NS10device_ptrIiEESB_PS5_SC_jNS0_19identity_decomposerENS1_16block_id_wrapperIjLb0EEEEE10hipError_tT1_PNSt15iterator_traitsISH_E10value_typeET2_T3_PNSI_ISN_E10value_typeET4_T5_PSS_ST_PNS1_23onesweep_lookback_stateEbbT6_jjT7_P12ihipStream_tbENKUlT_T0_SH_SM_E_clISB_SB_SC_SC_EEDaS10_S11_SH_SM_EUlS10_E_NS1_11comp_targetILNS1_3genE3ELNS1_11target_archE908ELNS1_3gpuE7ELNS1_3repE0EEENS1_47radix_sort_onesweep_sort_config_static_selectorELNS0_4arch9wavefront6targetE0EEEvSH_
		.amdhsa_group_segment_fixed_size 0
		.amdhsa_private_segment_fixed_size 0
		.amdhsa_kernarg_size 88
		.amdhsa_user_sgpr_count 6
		.amdhsa_user_sgpr_private_segment_buffer 1
		.amdhsa_user_sgpr_dispatch_ptr 0
		.amdhsa_user_sgpr_queue_ptr 0
		.amdhsa_user_sgpr_kernarg_segment_ptr 1
		.amdhsa_user_sgpr_dispatch_id 0
		.amdhsa_user_sgpr_flat_scratch_init 0
		.amdhsa_user_sgpr_private_segment_size 0
		.amdhsa_wavefront_size32 1
		.amdhsa_uses_dynamic_stack 0
		.amdhsa_system_sgpr_private_segment_wavefront_offset 0
		.amdhsa_system_sgpr_workgroup_id_x 1
		.amdhsa_system_sgpr_workgroup_id_y 0
		.amdhsa_system_sgpr_workgroup_id_z 0
		.amdhsa_system_sgpr_workgroup_info 0
		.amdhsa_system_vgpr_workitem_id 0
		.amdhsa_next_free_vgpr 1
		.amdhsa_next_free_sgpr 1
		.amdhsa_reserve_vcc 0
		.amdhsa_reserve_flat_scratch 0
		.amdhsa_float_round_mode_32 0
		.amdhsa_float_round_mode_16_64 0
		.amdhsa_float_denorm_mode_32 3
		.amdhsa_float_denorm_mode_16_64 3
		.amdhsa_dx10_clamp 1
		.amdhsa_ieee_mode 1
		.amdhsa_fp16_overflow 0
		.amdhsa_workgroup_processor_mode 1
		.amdhsa_memory_ordered 1
		.amdhsa_forward_progress 1
		.amdhsa_shared_vgpr_count 0
		.amdhsa_exception_fp_ieee_invalid_op 0
		.amdhsa_exception_fp_denorm_src 0
		.amdhsa_exception_fp_ieee_div_zero 0
		.amdhsa_exception_fp_ieee_overflow 0
		.amdhsa_exception_fp_ieee_underflow 0
		.amdhsa_exception_fp_ieee_inexact 0
		.amdhsa_exception_int_div_zero 0
	.end_amdhsa_kernel
	.section	.text._ZN7rocprim17ROCPRIM_400000_NS6detail17trampoline_kernelINS0_14default_configENS1_35radix_sort_onesweep_config_selectorIiNS0_10empty_typeEEEZZNS1_29radix_sort_onesweep_iterationIS3_Lb0EN6thrust23THRUST_200600_302600_NS10device_ptrIiEESB_PS5_SC_jNS0_19identity_decomposerENS1_16block_id_wrapperIjLb0EEEEE10hipError_tT1_PNSt15iterator_traitsISH_E10value_typeET2_T3_PNSI_ISN_E10value_typeET4_T5_PSS_ST_PNS1_23onesweep_lookback_stateEbbT6_jjT7_P12ihipStream_tbENKUlT_T0_SH_SM_E_clISB_SB_SC_SC_EEDaS10_S11_SH_SM_EUlS10_E_NS1_11comp_targetILNS1_3genE3ELNS1_11target_archE908ELNS1_3gpuE7ELNS1_3repE0EEENS1_47radix_sort_onesweep_sort_config_static_selectorELNS0_4arch9wavefront6targetE0EEEvSH_,"axG",@progbits,_ZN7rocprim17ROCPRIM_400000_NS6detail17trampoline_kernelINS0_14default_configENS1_35radix_sort_onesweep_config_selectorIiNS0_10empty_typeEEEZZNS1_29radix_sort_onesweep_iterationIS3_Lb0EN6thrust23THRUST_200600_302600_NS10device_ptrIiEESB_PS5_SC_jNS0_19identity_decomposerENS1_16block_id_wrapperIjLb0EEEEE10hipError_tT1_PNSt15iterator_traitsISH_E10value_typeET2_T3_PNSI_ISN_E10value_typeET4_T5_PSS_ST_PNS1_23onesweep_lookback_stateEbbT6_jjT7_P12ihipStream_tbENKUlT_T0_SH_SM_E_clISB_SB_SC_SC_EEDaS10_S11_SH_SM_EUlS10_E_NS1_11comp_targetILNS1_3genE3ELNS1_11target_archE908ELNS1_3gpuE7ELNS1_3repE0EEENS1_47radix_sort_onesweep_sort_config_static_selectorELNS0_4arch9wavefront6targetE0EEEvSH_,comdat
.Lfunc_end1276:
	.size	_ZN7rocprim17ROCPRIM_400000_NS6detail17trampoline_kernelINS0_14default_configENS1_35radix_sort_onesweep_config_selectorIiNS0_10empty_typeEEEZZNS1_29radix_sort_onesweep_iterationIS3_Lb0EN6thrust23THRUST_200600_302600_NS10device_ptrIiEESB_PS5_SC_jNS0_19identity_decomposerENS1_16block_id_wrapperIjLb0EEEEE10hipError_tT1_PNSt15iterator_traitsISH_E10value_typeET2_T3_PNSI_ISN_E10value_typeET4_T5_PSS_ST_PNS1_23onesweep_lookback_stateEbbT6_jjT7_P12ihipStream_tbENKUlT_T0_SH_SM_E_clISB_SB_SC_SC_EEDaS10_S11_SH_SM_EUlS10_E_NS1_11comp_targetILNS1_3genE3ELNS1_11target_archE908ELNS1_3gpuE7ELNS1_3repE0EEENS1_47radix_sort_onesweep_sort_config_static_selectorELNS0_4arch9wavefront6targetE0EEEvSH_, .Lfunc_end1276-_ZN7rocprim17ROCPRIM_400000_NS6detail17trampoline_kernelINS0_14default_configENS1_35radix_sort_onesweep_config_selectorIiNS0_10empty_typeEEEZZNS1_29radix_sort_onesweep_iterationIS3_Lb0EN6thrust23THRUST_200600_302600_NS10device_ptrIiEESB_PS5_SC_jNS0_19identity_decomposerENS1_16block_id_wrapperIjLb0EEEEE10hipError_tT1_PNSt15iterator_traitsISH_E10value_typeET2_T3_PNSI_ISN_E10value_typeET4_T5_PSS_ST_PNS1_23onesweep_lookback_stateEbbT6_jjT7_P12ihipStream_tbENKUlT_T0_SH_SM_E_clISB_SB_SC_SC_EEDaS10_S11_SH_SM_EUlS10_E_NS1_11comp_targetILNS1_3genE3ELNS1_11target_archE908ELNS1_3gpuE7ELNS1_3repE0EEENS1_47radix_sort_onesweep_sort_config_static_selectorELNS0_4arch9wavefront6targetE0EEEvSH_
                                        ; -- End function
	.set _ZN7rocprim17ROCPRIM_400000_NS6detail17trampoline_kernelINS0_14default_configENS1_35radix_sort_onesweep_config_selectorIiNS0_10empty_typeEEEZZNS1_29radix_sort_onesweep_iterationIS3_Lb0EN6thrust23THRUST_200600_302600_NS10device_ptrIiEESB_PS5_SC_jNS0_19identity_decomposerENS1_16block_id_wrapperIjLb0EEEEE10hipError_tT1_PNSt15iterator_traitsISH_E10value_typeET2_T3_PNSI_ISN_E10value_typeET4_T5_PSS_ST_PNS1_23onesweep_lookback_stateEbbT6_jjT7_P12ihipStream_tbENKUlT_T0_SH_SM_E_clISB_SB_SC_SC_EEDaS10_S11_SH_SM_EUlS10_E_NS1_11comp_targetILNS1_3genE3ELNS1_11target_archE908ELNS1_3gpuE7ELNS1_3repE0EEENS1_47radix_sort_onesweep_sort_config_static_selectorELNS0_4arch9wavefront6targetE0EEEvSH_.num_vgpr, 0
	.set _ZN7rocprim17ROCPRIM_400000_NS6detail17trampoline_kernelINS0_14default_configENS1_35radix_sort_onesweep_config_selectorIiNS0_10empty_typeEEEZZNS1_29radix_sort_onesweep_iterationIS3_Lb0EN6thrust23THRUST_200600_302600_NS10device_ptrIiEESB_PS5_SC_jNS0_19identity_decomposerENS1_16block_id_wrapperIjLb0EEEEE10hipError_tT1_PNSt15iterator_traitsISH_E10value_typeET2_T3_PNSI_ISN_E10value_typeET4_T5_PSS_ST_PNS1_23onesweep_lookback_stateEbbT6_jjT7_P12ihipStream_tbENKUlT_T0_SH_SM_E_clISB_SB_SC_SC_EEDaS10_S11_SH_SM_EUlS10_E_NS1_11comp_targetILNS1_3genE3ELNS1_11target_archE908ELNS1_3gpuE7ELNS1_3repE0EEENS1_47radix_sort_onesweep_sort_config_static_selectorELNS0_4arch9wavefront6targetE0EEEvSH_.num_agpr, 0
	.set _ZN7rocprim17ROCPRIM_400000_NS6detail17trampoline_kernelINS0_14default_configENS1_35radix_sort_onesweep_config_selectorIiNS0_10empty_typeEEEZZNS1_29radix_sort_onesweep_iterationIS3_Lb0EN6thrust23THRUST_200600_302600_NS10device_ptrIiEESB_PS5_SC_jNS0_19identity_decomposerENS1_16block_id_wrapperIjLb0EEEEE10hipError_tT1_PNSt15iterator_traitsISH_E10value_typeET2_T3_PNSI_ISN_E10value_typeET4_T5_PSS_ST_PNS1_23onesweep_lookback_stateEbbT6_jjT7_P12ihipStream_tbENKUlT_T0_SH_SM_E_clISB_SB_SC_SC_EEDaS10_S11_SH_SM_EUlS10_E_NS1_11comp_targetILNS1_3genE3ELNS1_11target_archE908ELNS1_3gpuE7ELNS1_3repE0EEENS1_47radix_sort_onesweep_sort_config_static_selectorELNS0_4arch9wavefront6targetE0EEEvSH_.numbered_sgpr, 0
	.set _ZN7rocprim17ROCPRIM_400000_NS6detail17trampoline_kernelINS0_14default_configENS1_35radix_sort_onesweep_config_selectorIiNS0_10empty_typeEEEZZNS1_29radix_sort_onesweep_iterationIS3_Lb0EN6thrust23THRUST_200600_302600_NS10device_ptrIiEESB_PS5_SC_jNS0_19identity_decomposerENS1_16block_id_wrapperIjLb0EEEEE10hipError_tT1_PNSt15iterator_traitsISH_E10value_typeET2_T3_PNSI_ISN_E10value_typeET4_T5_PSS_ST_PNS1_23onesweep_lookback_stateEbbT6_jjT7_P12ihipStream_tbENKUlT_T0_SH_SM_E_clISB_SB_SC_SC_EEDaS10_S11_SH_SM_EUlS10_E_NS1_11comp_targetILNS1_3genE3ELNS1_11target_archE908ELNS1_3gpuE7ELNS1_3repE0EEENS1_47radix_sort_onesweep_sort_config_static_selectorELNS0_4arch9wavefront6targetE0EEEvSH_.num_named_barrier, 0
	.set _ZN7rocprim17ROCPRIM_400000_NS6detail17trampoline_kernelINS0_14default_configENS1_35radix_sort_onesweep_config_selectorIiNS0_10empty_typeEEEZZNS1_29radix_sort_onesweep_iterationIS3_Lb0EN6thrust23THRUST_200600_302600_NS10device_ptrIiEESB_PS5_SC_jNS0_19identity_decomposerENS1_16block_id_wrapperIjLb0EEEEE10hipError_tT1_PNSt15iterator_traitsISH_E10value_typeET2_T3_PNSI_ISN_E10value_typeET4_T5_PSS_ST_PNS1_23onesweep_lookback_stateEbbT6_jjT7_P12ihipStream_tbENKUlT_T0_SH_SM_E_clISB_SB_SC_SC_EEDaS10_S11_SH_SM_EUlS10_E_NS1_11comp_targetILNS1_3genE3ELNS1_11target_archE908ELNS1_3gpuE7ELNS1_3repE0EEENS1_47radix_sort_onesweep_sort_config_static_selectorELNS0_4arch9wavefront6targetE0EEEvSH_.private_seg_size, 0
	.set _ZN7rocprim17ROCPRIM_400000_NS6detail17trampoline_kernelINS0_14default_configENS1_35radix_sort_onesweep_config_selectorIiNS0_10empty_typeEEEZZNS1_29radix_sort_onesweep_iterationIS3_Lb0EN6thrust23THRUST_200600_302600_NS10device_ptrIiEESB_PS5_SC_jNS0_19identity_decomposerENS1_16block_id_wrapperIjLb0EEEEE10hipError_tT1_PNSt15iterator_traitsISH_E10value_typeET2_T3_PNSI_ISN_E10value_typeET4_T5_PSS_ST_PNS1_23onesweep_lookback_stateEbbT6_jjT7_P12ihipStream_tbENKUlT_T0_SH_SM_E_clISB_SB_SC_SC_EEDaS10_S11_SH_SM_EUlS10_E_NS1_11comp_targetILNS1_3genE3ELNS1_11target_archE908ELNS1_3gpuE7ELNS1_3repE0EEENS1_47radix_sort_onesweep_sort_config_static_selectorELNS0_4arch9wavefront6targetE0EEEvSH_.uses_vcc, 0
	.set _ZN7rocprim17ROCPRIM_400000_NS6detail17trampoline_kernelINS0_14default_configENS1_35radix_sort_onesweep_config_selectorIiNS0_10empty_typeEEEZZNS1_29radix_sort_onesweep_iterationIS3_Lb0EN6thrust23THRUST_200600_302600_NS10device_ptrIiEESB_PS5_SC_jNS0_19identity_decomposerENS1_16block_id_wrapperIjLb0EEEEE10hipError_tT1_PNSt15iterator_traitsISH_E10value_typeET2_T3_PNSI_ISN_E10value_typeET4_T5_PSS_ST_PNS1_23onesweep_lookback_stateEbbT6_jjT7_P12ihipStream_tbENKUlT_T0_SH_SM_E_clISB_SB_SC_SC_EEDaS10_S11_SH_SM_EUlS10_E_NS1_11comp_targetILNS1_3genE3ELNS1_11target_archE908ELNS1_3gpuE7ELNS1_3repE0EEENS1_47radix_sort_onesweep_sort_config_static_selectorELNS0_4arch9wavefront6targetE0EEEvSH_.uses_flat_scratch, 0
	.set _ZN7rocprim17ROCPRIM_400000_NS6detail17trampoline_kernelINS0_14default_configENS1_35radix_sort_onesweep_config_selectorIiNS0_10empty_typeEEEZZNS1_29radix_sort_onesweep_iterationIS3_Lb0EN6thrust23THRUST_200600_302600_NS10device_ptrIiEESB_PS5_SC_jNS0_19identity_decomposerENS1_16block_id_wrapperIjLb0EEEEE10hipError_tT1_PNSt15iterator_traitsISH_E10value_typeET2_T3_PNSI_ISN_E10value_typeET4_T5_PSS_ST_PNS1_23onesweep_lookback_stateEbbT6_jjT7_P12ihipStream_tbENKUlT_T0_SH_SM_E_clISB_SB_SC_SC_EEDaS10_S11_SH_SM_EUlS10_E_NS1_11comp_targetILNS1_3genE3ELNS1_11target_archE908ELNS1_3gpuE7ELNS1_3repE0EEENS1_47radix_sort_onesweep_sort_config_static_selectorELNS0_4arch9wavefront6targetE0EEEvSH_.has_dyn_sized_stack, 0
	.set _ZN7rocprim17ROCPRIM_400000_NS6detail17trampoline_kernelINS0_14default_configENS1_35radix_sort_onesweep_config_selectorIiNS0_10empty_typeEEEZZNS1_29radix_sort_onesweep_iterationIS3_Lb0EN6thrust23THRUST_200600_302600_NS10device_ptrIiEESB_PS5_SC_jNS0_19identity_decomposerENS1_16block_id_wrapperIjLb0EEEEE10hipError_tT1_PNSt15iterator_traitsISH_E10value_typeET2_T3_PNSI_ISN_E10value_typeET4_T5_PSS_ST_PNS1_23onesweep_lookback_stateEbbT6_jjT7_P12ihipStream_tbENKUlT_T0_SH_SM_E_clISB_SB_SC_SC_EEDaS10_S11_SH_SM_EUlS10_E_NS1_11comp_targetILNS1_3genE3ELNS1_11target_archE908ELNS1_3gpuE7ELNS1_3repE0EEENS1_47radix_sort_onesweep_sort_config_static_selectorELNS0_4arch9wavefront6targetE0EEEvSH_.has_recursion, 0
	.set _ZN7rocprim17ROCPRIM_400000_NS6detail17trampoline_kernelINS0_14default_configENS1_35radix_sort_onesweep_config_selectorIiNS0_10empty_typeEEEZZNS1_29radix_sort_onesweep_iterationIS3_Lb0EN6thrust23THRUST_200600_302600_NS10device_ptrIiEESB_PS5_SC_jNS0_19identity_decomposerENS1_16block_id_wrapperIjLb0EEEEE10hipError_tT1_PNSt15iterator_traitsISH_E10value_typeET2_T3_PNSI_ISN_E10value_typeET4_T5_PSS_ST_PNS1_23onesweep_lookback_stateEbbT6_jjT7_P12ihipStream_tbENKUlT_T0_SH_SM_E_clISB_SB_SC_SC_EEDaS10_S11_SH_SM_EUlS10_E_NS1_11comp_targetILNS1_3genE3ELNS1_11target_archE908ELNS1_3gpuE7ELNS1_3repE0EEENS1_47radix_sort_onesweep_sort_config_static_selectorELNS0_4arch9wavefront6targetE0EEEvSH_.has_indirect_call, 0
	.section	.AMDGPU.csdata,"",@progbits
; Kernel info:
; codeLenInByte = 0
; TotalNumSgprs: 0
; NumVgprs: 0
; ScratchSize: 0
; MemoryBound: 0
; FloatMode: 240
; IeeeMode: 1
; LDSByteSize: 0 bytes/workgroup (compile time only)
; SGPRBlocks: 0
; VGPRBlocks: 0
; NumSGPRsForWavesPerEU: 1
; NumVGPRsForWavesPerEU: 1
; Occupancy: 16
; WaveLimiterHint : 0
; COMPUTE_PGM_RSRC2:SCRATCH_EN: 0
; COMPUTE_PGM_RSRC2:USER_SGPR: 6
; COMPUTE_PGM_RSRC2:TRAP_HANDLER: 0
; COMPUTE_PGM_RSRC2:TGID_X_EN: 1
; COMPUTE_PGM_RSRC2:TGID_Y_EN: 0
; COMPUTE_PGM_RSRC2:TGID_Z_EN: 0
; COMPUTE_PGM_RSRC2:TIDIG_COMP_CNT: 0
	.section	.text._ZN7rocprim17ROCPRIM_400000_NS6detail17trampoline_kernelINS0_14default_configENS1_35radix_sort_onesweep_config_selectorIiNS0_10empty_typeEEEZZNS1_29radix_sort_onesweep_iterationIS3_Lb0EN6thrust23THRUST_200600_302600_NS10device_ptrIiEESB_PS5_SC_jNS0_19identity_decomposerENS1_16block_id_wrapperIjLb0EEEEE10hipError_tT1_PNSt15iterator_traitsISH_E10value_typeET2_T3_PNSI_ISN_E10value_typeET4_T5_PSS_ST_PNS1_23onesweep_lookback_stateEbbT6_jjT7_P12ihipStream_tbENKUlT_T0_SH_SM_E_clISB_SB_SC_SC_EEDaS10_S11_SH_SM_EUlS10_E_NS1_11comp_targetILNS1_3genE10ELNS1_11target_archE1201ELNS1_3gpuE5ELNS1_3repE0EEENS1_47radix_sort_onesweep_sort_config_static_selectorELNS0_4arch9wavefront6targetE0EEEvSH_,"axG",@progbits,_ZN7rocprim17ROCPRIM_400000_NS6detail17trampoline_kernelINS0_14default_configENS1_35radix_sort_onesweep_config_selectorIiNS0_10empty_typeEEEZZNS1_29radix_sort_onesweep_iterationIS3_Lb0EN6thrust23THRUST_200600_302600_NS10device_ptrIiEESB_PS5_SC_jNS0_19identity_decomposerENS1_16block_id_wrapperIjLb0EEEEE10hipError_tT1_PNSt15iterator_traitsISH_E10value_typeET2_T3_PNSI_ISN_E10value_typeET4_T5_PSS_ST_PNS1_23onesweep_lookback_stateEbbT6_jjT7_P12ihipStream_tbENKUlT_T0_SH_SM_E_clISB_SB_SC_SC_EEDaS10_S11_SH_SM_EUlS10_E_NS1_11comp_targetILNS1_3genE10ELNS1_11target_archE1201ELNS1_3gpuE5ELNS1_3repE0EEENS1_47radix_sort_onesweep_sort_config_static_selectorELNS0_4arch9wavefront6targetE0EEEvSH_,comdat
	.protected	_ZN7rocprim17ROCPRIM_400000_NS6detail17trampoline_kernelINS0_14default_configENS1_35radix_sort_onesweep_config_selectorIiNS0_10empty_typeEEEZZNS1_29radix_sort_onesweep_iterationIS3_Lb0EN6thrust23THRUST_200600_302600_NS10device_ptrIiEESB_PS5_SC_jNS0_19identity_decomposerENS1_16block_id_wrapperIjLb0EEEEE10hipError_tT1_PNSt15iterator_traitsISH_E10value_typeET2_T3_PNSI_ISN_E10value_typeET4_T5_PSS_ST_PNS1_23onesweep_lookback_stateEbbT6_jjT7_P12ihipStream_tbENKUlT_T0_SH_SM_E_clISB_SB_SC_SC_EEDaS10_S11_SH_SM_EUlS10_E_NS1_11comp_targetILNS1_3genE10ELNS1_11target_archE1201ELNS1_3gpuE5ELNS1_3repE0EEENS1_47radix_sort_onesweep_sort_config_static_selectorELNS0_4arch9wavefront6targetE0EEEvSH_ ; -- Begin function _ZN7rocprim17ROCPRIM_400000_NS6detail17trampoline_kernelINS0_14default_configENS1_35radix_sort_onesweep_config_selectorIiNS0_10empty_typeEEEZZNS1_29radix_sort_onesweep_iterationIS3_Lb0EN6thrust23THRUST_200600_302600_NS10device_ptrIiEESB_PS5_SC_jNS0_19identity_decomposerENS1_16block_id_wrapperIjLb0EEEEE10hipError_tT1_PNSt15iterator_traitsISH_E10value_typeET2_T3_PNSI_ISN_E10value_typeET4_T5_PSS_ST_PNS1_23onesweep_lookback_stateEbbT6_jjT7_P12ihipStream_tbENKUlT_T0_SH_SM_E_clISB_SB_SC_SC_EEDaS10_S11_SH_SM_EUlS10_E_NS1_11comp_targetILNS1_3genE10ELNS1_11target_archE1201ELNS1_3gpuE5ELNS1_3repE0EEENS1_47radix_sort_onesweep_sort_config_static_selectorELNS0_4arch9wavefront6targetE0EEEvSH_
	.globl	_ZN7rocprim17ROCPRIM_400000_NS6detail17trampoline_kernelINS0_14default_configENS1_35radix_sort_onesweep_config_selectorIiNS0_10empty_typeEEEZZNS1_29radix_sort_onesweep_iterationIS3_Lb0EN6thrust23THRUST_200600_302600_NS10device_ptrIiEESB_PS5_SC_jNS0_19identity_decomposerENS1_16block_id_wrapperIjLb0EEEEE10hipError_tT1_PNSt15iterator_traitsISH_E10value_typeET2_T3_PNSI_ISN_E10value_typeET4_T5_PSS_ST_PNS1_23onesweep_lookback_stateEbbT6_jjT7_P12ihipStream_tbENKUlT_T0_SH_SM_E_clISB_SB_SC_SC_EEDaS10_S11_SH_SM_EUlS10_E_NS1_11comp_targetILNS1_3genE10ELNS1_11target_archE1201ELNS1_3gpuE5ELNS1_3repE0EEENS1_47radix_sort_onesweep_sort_config_static_selectorELNS0_4arch9wavefront6targetE0EEEvSH_
	.p2align	8
	.type	_ZN7rocprim17ROCPRIM_400000_NS6detail17trampoline_kernelINS0_14default_configENS1_35radix_sort_onesweep_config_selectorIiNS0_10empty_typeEEEZZNS1_29radix_sort_onesweep_iterationIS3_Lb0EN6thrust23THRUST_200600_302600_NS10device_ptrIiEESB_PS5_SC_jNS0_19identity_decomposerENS1_16block_id_wrapperIjLb0EEEEE10hipError_tT1_PNSt15iterator_traitsISH_E10value_typeET2_T3_PNSI_ISN_E10value_typeET4_T5_PSS_ST_PNS1_23onesweep_lookback_stateEbbT6_jjT7_P12ihipStream_tbENKUlT_T0_SH_SM_E_clISB_SB_SC_SC_EEDaS10_S11_SH_SM_EUlS10_E_NS1_11comp_targetILNS1_3genE10ELNS1_11target_archE1201ELNS1_3gpuE5ELNS1_3repE0EEENS1_47radix_sort_onesweep_sort_config_static_selectorELNS0_4arch9wavefront6targetE0EEEvSH_,@function
_ZN7rocprim17ROCPRIM_400000_NS6detail17trampoline_kernelINS0_14default_configENS1_35radix_sort_onesweep_config_selectorIiNS0_10empty_typeEEEZZNS1_29radix_sort_onesweep_iterationIS3_Lb0EN6thrust23THRUST_200600_302600_NS10device_ptrIiEESB_PS5_SC_jNS0_19identity_decomposerENS1_16block_id_wrapperIjLb0EEEEE10hipError_tT1_PNSt15iterator_traitsISH_E10value_typeET2_T3_PNSI_ISN_E10value_typeET4_T5_PSS_ST_PNS1_23onesweep_lookback_stateEbbT6_jjT7_P12ihipStream_tbENKUlT_T0_SH_SM_E_clISB_SB_SC_SC_EEDaS10_S11_SH_SM_EUlS10_E_NS1_11comp_targetILNS1_3genE10ELNS1_11target_archE1201ELNS1_3gpuE5ELNS1_3repE0EEENS1_47radix_sort_onesweep_sort_config_static_selectorELNS0_4arch9wavefront6targetE0EEEvSH_: ; @_ZN7rocprim17ROCPRIM_400000_NS6detail17trampoline_kernelINS0_14default_configENS1_35radix_sort_onesweep_config_selectorIiNS0_10empty_typeEEEZZNS1_29radix_sort_onesweep_iterationIS3_Lb0EN6thrust23THRUST_200600_302600_NS10device_ptrIiEESB_PS5_SC_jNS0_19identity_decomposerENS1_16block_id_wrapperIjLb0EEEEE10hipError_tT1_PNSt15iterator_traitsISH_E10value_typeET2_T3_PNSI_ISN_E10value_typeET4_T5_PSS_ST_PNS1_23onesweep_lookback_stateEbbT6_jjT7_P12ihipStream_tbENKUlT_T0_SH_SM_E_clISB_SB_SC_SC_EEDaS10_S11_SH_SM_EUlS10_E_NS1_11comp_targetILNS1_3genE10ELNS1_11target_archE1201ELNS1_3gpuE5ELNS1_3repE0EEENS1_47radix_sort_onesweep_sort_config_static_selectorELNS0_4arch9wavefront6targetE0EEEvSH_
; %bb.0:
	.section	.rodata,"a",@progbits
	.p2align	6, 0x0
	.amdhsa_kernel _ZN7rocprim17ROCPRIM_400000_NS6detail17trampoline_kernelINS0_14default_configENS1_35radix_sort_onesweep_config_selectorIiNS0_10empty_typeEEEZZNS1_29radix_sort_onesweep_iterationIS3_Lb0EN6thrust23THRUST_200600_302600_NS10device_ptrIiEESB_PS5_SC_jNS0_19identity_decomposerENS1_16block_id_wrapperIjLb0EEEEE10hipError_tT1_PNSt15iterator_traitsISH_E10value_typeET2_T3_PNSI_ISN_E10value_typeET4_T5_PSS_ST_PNS1_23onesweep_lookback_stateEbbT6_jjT7_P12ihipStream_tbENKUlT_T0_SH_SM_E_clISB_SB_SC_SC_EEDaS10_S11_SH_SM_EUlS10_E_NS1_11comp_targetILNS1_3genE10ELNS1_11target_archE1201ELNS1_3gpuE5ELNS1_3repE0EEENS1_47radix_sort_onesweep_sort_config_static_selectorELNS0_4arch9wavefront6targetE0EEEvSH_
		.amdhsa_group_segment_fixed_size 0
		.amdhsa_private_segment_fixed_size 0
		.amdhsa_kernarg_size 88
		.amdhsa_user_sgpr_count 6
		.amdhsa_user_sgpr_private_segment_buffer 1
		.amdhsa_user_sgpr_dispatch_ptr 0
		.amdhsa_user_sgpr_queue_ptr 0
		.amdhsa_user_sgpr_kernarg_segment_ptr 1
		.amdhsa_user_sgpr_dispatch_id 0
		.amdhsa_user_sgpr_flat_scratch_init 0
		.amdhsa_user_sgpr_private_segment_size 0
		.amdhsa_wavefront_size32 1
		.amdhsa_uses_dynamic_stack 0
		.amdhsa_system_sgpr_private_segment_wavefront_offset 0
		.amdhsa_system_sgpr_workgroup_id_x 1
		.amdhsa_system_sgpr_workgroup_id_y 0
		.amdhsa_system_sgpr_workgroup_id_z 0
		.amdhsa_system_sgpr_workgroup_info 0
		.amdhsa_system_vgpr_workitem_id 0
		.amdhsa_next_free_vgpr 1
		.amdhsa_next_free_sgpr 1
		.amdhsa_reserve_vcc 0
		.amdhsa_reserve_flat_scratch 0
		.amdhsa_float_round_mode_32 0
		.amdhsa_float_round_mode_16_64 0
		.amdhsa_float_denorm_mode_32 3
		.amdhsa_float_denorm_mode_16_64 3
		.amdhsa_dx10_clamp 1
		.amdhsa_ieee_mode 1
		.amdhsa_fp16_overflow 0
		.amdhsa_workgroup_processor_mode 1
		.amdhsa_memory_ordered 1
		.amdhsa_forward_progress 1
		.amdhsa_shared_vgpr_count 0
		.amdhsa_exception_fp_ieee_invalid_op 0
		.amdhsa_exception_fp_denorm_src 0
		.amdhsa_exception_fp_ieee_div_zero 0
		.amdhsa_exception_fp_ieee_overflow 0
		.amdhsa_exception_fp_ieee_underflow 0
		.amdhsa_exception_fp_ieee_inexact 0
		.amdhsa_exception_int_div_zero 0
	.end_amdhsa_kernel
	.section	.text._ZN7rocprim17ROCPRIM_400000_NS6detail17trampoline_kernelINS0_14default_configENS1_35radix_sort_onesweep_config_selectorIiNS0_10empty_typeEEEZZNS1_29radix_sort_onesweep_iterationIS3_Lb0EN6thrust23THRUST_200600_302600_NS10device_ptrIiEESB_PS5_SC_jNS0_19identity_decomposerENS1_16block_id_wrapperIjLb0EEEEE10hipError_tT1_PNSt15iterator_traitsISH_E10value_typeET2_T3_PNSI_ISN_E10value_typeET4_T5_PSS_ST_PNS1_23onesweep_lookback_stateEbbT6_jjT7_P12ihipStream_tbENKUlT_T0_SH_SM_E_clISB_SB_SC_SC_EEDaS10_S11_SH_SM_EUlS10_E_NS1_11comp_targetILNS1_3genE10ELNS1_11target_archE1201ELNS1_3gpuE5ELNS1_3repE0EEENS1_47radix_sort_onesweep_sort_config_static_selectorELNS0_4arch9wavefront6targetE0EEEvSH_,"axG",@progbits,_ZN7rocprim17ROCPRIM_400000_NS6detail17trampoline_kernelINS0_14default_configENS1_35radix_sort_onesweep_config_selectorIiNS0_10empty_typeEEEZZNS1_29radix_sort_onesweep_iterationIS3_Lb0EN6thrust23THRUST_200600_302600_NS10device_ptrIiEESB_PS5_SC_jNS0_19identity_decomposerENS1_16block_id_wrapperIjLb0EEEEE10hipError_tT1_PNSt15iterator_traitsISH_E10value_typeET2_T3_PNSI_ISN_E10value_typeET4_T5_PSS_ST_PNS1_23onesweep_lookback_stateEbbT6_jjT7_P12ihipStream_tbENKUlT_T0_SH_SM_E_clISB_SB_SC_SC_EEDaS10_S11_SH_SM_EUlS10_E_NS1_11comp_targetILNS1_3genE10ELNS1_11target_archE1201ELNS1_3gpuE5ELNS1_3repE0EEENS1_47radix_sort_onesweep_sort_config_static_selectorELNS0_4arch9wavefront6targetE0EEEvSH_,comdat
.Lfunc_end1277:
	.size	_ZN7rocprim17ROCPRIM_400000_NS6detail17trampoline_kernelINS0_14default_configENS1_35radix_sort_onesweep_config_selectorIiNS0_10empty_typeEEEZZNS1_29radix_sort_onesweep_iterationIS3_Lb0EN6thrust23THRUST_200600_302600_NS10device_ptrIiEESB_PS5_SC_jNS0_19identity_decomposerENS1_16block_id_wrapperIjLb0EEEEE10hipError_tT1_PNSt15iterator_traitsISH_E10value_typeET2_T3_PNSI_ISN_E10value_typeET4_T5_PSS_ST_PNS1_23onesweep_lookback_stateEbbT6_jjT7_P12ihipStream_tbENKUlT_T0_SH_SM_E_clISB_SB_SC_SC_EEDaS10_S11_SH_SM_EUlS10_E_NS1_11comp_targetILNS1_3genE10ELNS1_11target_archE1201ELNS1_3gpuE5ELNS1_3repE0EEENS1_47radix_sort_onesweep_sort_config_static_selectorELNS0_4arch9wavefront6targetE0EEEvSH_, .Lfunc_end1277-_ZN7rocprim17ROCPRIM_400000_NS6detail17trampoline_kernelINS0_14default_configENS1_35radix_sort_onesweep_config_selectorIiNS0_10empty_typeEEEZZNS1_29radix_sort_onesweep_iterationIS3_Lb0EN6thrust23THRUST_200600_302600_NS10device_ptrIiEESB_PS5_SC_jNS0_19identity_decomposerENS1_16block_id_wrapperIjLb0EEEEE10hipError_tT1_PNSt15iterator_traitsISH_E10value_typeET2_T3_PNSI_ISN_E10value_typeET4_T5_PSS_ST_PNS1_23onesweep_lookback_stateEbbT6_jjT7_P12ihipStream_tbENKUlT_T0_SH_SM_E_clISB_SB_SC_SC_EEDaS10_S11_SH_SM_EUlS10_E_NS1_11comp_targetILNS1_3genE10ELNS1_11target_archE1201ELNS1_3gpuE5ELNS1_3repE0EEENS1_47radix_sort_onesweep_sort_config_static_selectorELNS0_4arch9wavefront6targetE0EEEvSH_
                                        ; -- End function
	.set _ZN7rocprim17ROCPRIM_400000_NS6detail17trampoline_kernelINS0_14default_configENS1_35radix_sort_onesweep_config_selectorIiNS0_10empty_typeEEEZZNS1_29radix_sort_onesweep_iterationIS3_Lb0EN6thrust23THRUST_200600_302600_NS10device_ptrIiEESB_PS5_SC_jNS0_19identity_decomposerENS1_16block_id_wrapperIjLb0EEEEE10hipError_tT1_PNSt15iterator_traitsISH_E10value_typeET2_T3_PNSI_ISN_E10value_typeET4_T5_PSS_ST_PNS1_23onesweep_lookback_stateEbbT6_jjT7_P12ihipStream_tbENKUlT_T0_SH_SM_E_clISB_SB_SC_SC_EEDaS10_S11_SH_SM_EUlS10_E_NS1_11comp_targetILNS1_3genE10ELNS1_11target_archE1201ELNS1_3gpuE5ELNS1_3repE0EEENS1_47radix_sort_onesweep_sort_config_static_selectorELNS0_4arch9wavefront6targetE0EEEvSH_.num_vgpr, 0
	.set _ZN7rocprim17ROCPRIM_400000_NS6detail17trampoline_kernelINS0_14default_configENS1_35radix_sort_onesweep_config_selectorIiNS0_10empty_typeEEEZZNS1_29radix_sort_onesweep_iterationIS3_Lb0EN6thrust23THRUST_200600_302600_NS10device_ptrIiEESB_PS5_SC_jNS0_19identity_decomposerENS1_16block_id_wrapperIjLb0EEEEE10hipError_tT1_PNSt15iterator_traitsISH_E10value_typeET2_T3_PNSI_ISN_E10value_typeET4_T5_PSS_ST_PNS1_23onesweep_lookback_stateEbbT6_jjT7_P12ihipStream_tbENKUlT_T0_SH_SM_E_clISB_SB_SC_SC_EEDaS10_S11_SH_SM_EUlS10_E_NS1_11comp_targetILNS1_3genE10ELNS1_11target_archE1201ELNS1_3gpuE5ELNS1_3repE0EEENS1_47radix_sort_onesweep_sort_config_static_selectorELNS0_4arch9wavefront6targetE0EEEvSH_.num_agpr, 0
	.set _ZN7rocprim17ROCPRIM_400000_NS6detail17trampoline_kernelINS0_14default_configENS1_35radix_sort_onesweep_config_selectorIiNS0_10empty_typeEEEZZNS1_29radix_sort_onesweep_iterationIS3_Lb0EN6thrust23THRUST_200600_302600_NS10device_ptrIiEESB_PS5_SC_jNS0_19identity_decomposerENS1_16block_id_wrapperIjLb0EEEEE10hipError_tT1_PNSt15iterator_traitsISH_E10value_typeET2_T3_PNSI_ISN_E10value_typeET4_T5_PSS_ST_PNS1_23onesweep_lookback_stateEbbT6_jjT7_P12ihipStream_tbENKUlT_T0_SH_SM_E_clISB_SB_SC_SC_EEDaS10_S11_SH_SM_EUlS10_E_NS1_11comp_targetILNS1_3genE10ELNS1_11target_archE1201ELNS1_3gpuE5ELNS1_3repE0EEENS1_47radix_sort_onesweep_sort_config_static_selectorELNS0_4arch9wavefront6targetE0EEEvSH_.numbered_sgpr, 0
	.set _ZN7rocprim17ROCPRIM_400000_NS6detail17trampoline_kernelINS0_14default_configENS1_35radix_sort_onesweep_config_selectorIiNS0_10empty_typeEEEZZNS1_29radix_sort_onesweep_iterationIS3_Lb0EN6thrust23THRUST_200600_302600_NS10device_ptrIiEESB_PS5_SC_jNS0_19identity_decomposerENS1_16block_id_wrapperIjLb0EEEEE10hipError_tT1_PNSt15iterator_traitsISH_E10value_typeET2_T3_PNSI_ISN_E10value_typeET4_T5_PSS_ST_PNS1_23onesweep_lookback_stateEbbT6_jjT7_P12ihipStream_tbENKUlT_T0_SH_SM_E_clISB_SB_SC_SC_EEDaS10_S11_SH_SM_EUlS10_E_NS1_11comp_targetILNS1_3genE10ELNS1_11target_archE1201ELNS1_3gpuE5ELNS1_3repE0EEENS1_47radix_sort_onesweep_sort_config_static_selectorELNS0_4arch9wavefront6targetE0EEEvSH_.num_named_barrier, 0
	.set _ZN7rocprim17ROCPRIM_400000_NS6detail17trampoline_kernelINS0_14default_configENS1_35radix_sort_onesweep_config_selectorIiNS0_10empty_typeEEEZZNS1_29radix_sort_onesweep_iterationIS3_Lb0EN6thrust23THRUST_200600_302600_NS10device_ptrIiEESB_PS5_SC_jNS0_19identity_decomposerENS1_16block_id_wrapperIjLb0EEEEE10hipError_tT1_PNSt15iterator_traitsISH_E10value_typeET2_T3_PNSI_ISN_E10value_typeET4_T5_PSS_ST_PNS1_23onesweep_lookback_stateEbbT6_jjT7_P12ihipStream_tbENKUlT_T0_SH_SM_E_clISB_SB_SC_SC_EEDaS10_S11_SH_SM_EUlS10_E_NS1_11comp_targetILNS1_3genE10ELNS1_11target_archE1201ELNS1_3gpuE5ELNS1_3repE0EEENS1_47radix_sort_onesweep_sort_config_static_selectorELNS0_4arch9wavefront6targetE0EEEvSH_.private_seg_size, 0
	.set _ZN7rocprim17ROCPRIM_400000_NS6detail17trampoline_kernelINS0_14default_configENS1_35radix_sort_onesweep_config_selectorIiNS0_10empty_typeEEEZZNS1_29radix_sort_onesweep_iterationIS3_Lb0EN6thrust23THRUST_200600_302600_NS10device_ptrIiEESB_PS5_SC_jNS0_19identity_decomposerENS1_16block_id_wrapperIjLb0EEEEE10hipError_tT1_PNSt15iterator_traitsISH_E10value_typeET2_T3_PNSI_ISN_E10value_typeET4_T5_PSS_ST_PNS1_23onesweep_lookback_stateEbbT6_jjT7_P12ihipStream_tbENKUlT_T0_SH_SM_E_clISB_SB_SC_SC_EEDaS10_S11_SH_SM_EUlS10_E_NS1_11comp_targetILNS1_3genE10ELNS1_11target_archE1201ELNS1_3gpuE5ELNS1_3repE0EEENS1_47radix_sort_onesweep_sort_config_static_selectorELNS0_4arch9wavefront6targetE0EEEvSH_.uses_vcc, 0
	.set _ZN7rocprim17ROCPRIM_400000_NS6detail17trampoline_kernelINS0_14default_configENS1_35radix_sort_onesweep_config_selectorIiNS0_10empty_typeEEEZZNS1_29radix_sort_onesweep_iterationIS3_Lb0EN6thrust23THRUST_200600_302600_NS10device_ptrIiEESB_PS5_SC_jNS0_19identity_decomposerENS1_16block_id_wrapperIjLb0EEEEE10hipError_tT1_PNSt15iterator_traitsISH_E10value_typeET2_T3_PNSI_ISN_E10value_typeET4_T5_PSS_ST_PNS1_23onesweep_lookback_stateEbbT6_jjT7_P12ihipStream_tbENKUlT_T0_SH_SM_E_clISB_SB_SC_SC_EEDaS10_S11_SH_SM_EUlS10_E_NS1_11comp_targetILNS1_3genE10ELNS1_11target_archE1201ELNS1_3gpuE5ELNS1_3repE0EEENS1_47radix_sort_onesweep_sort_config_static_selectorELNS0_4arch9wavefront6targetE0EEEvSH_.uses_flat_scratch, 0
	.set _ZN7rocprim17ROCPRIM_400000_NS6detail17trampoline_kernelINS0_14default_configENS1_35radix_sort_onesweep_config_selectorIiNS0_10empty_typeEEEZZNS1_29radix_sort_onesweep_iterationIS3_Lb0EN6thrust23THRUST_200600_302600_NS10device_ptrIiEESB_PS5_SC_jNS0_19identity_decomposerENS1_16block_id_wrapperIjLb0EEEEE10hipError_tT1_PNSt15iterator_traitsISH_E10value_typeET2_T3_PNSI_ISN_E10value_typeET4_T5_PSS_ST_PNS1_23onesweep_lookback_stateEbbT6_jjT7_P12ihipStream_tbENKUlT_T0_SH_SM_E_clISB_SB_SC_SC_EEDaS10_S11_SH_SM_EUlS10_E_NS1_11comp_targetILNS1_3genE10ELNS1_11target_archE1201ELNS1_3gpuE5ELNS1_3repE0EEENS1_47radix_sort_onesweep_sort_config_static_selectorELNS0_4arch9wavefront6targetE0EEEvSH_.has_dyn_sized_stack, 0
	.set _ZN7rocprim17ROCPRIM_400000_NS6detail17trampoline_kernelINS0_14default_configENS1_35radix_sort_onesweep_config_selectorIiNS0_10empty_typeEEEZZNS1_29radix_sort_onesweep_iterationIS3_Lb0EN6thrust23THRUST_200600_302600_NS10device_ptrIiEESB_PS5_SC_jNS0_19identity_decomposerENS1_16block_id_wrapperIjLb0EEEEE10hipError_tT1_PNSt15iterator_traitsISH_E10value_typeET2_T3_PNSI_ISN_E10value_typeET4_T5_PSS_ST_PNS1_23onesweep_lookback_stateEbbT6_jjT7_P12ihipStream_tbENKUlT_T0_SH_SM_E_clISB_SB_SC_SC_EEDaS10_S11_SH_SM_EUlS10_E_NS1_11comp_targetILNS1_3genE10ELNS1_11target_archE1201ELNS1_3gpuE5ELNS1_3repE0EEENS1_47radix_sort_onesweep_sort_config_static_selectorELNS0_4arch9wavefront6targetE0EEEvSH_.has_recursion, 0
	.set _ZN7rocprim17ROCPRIM_400000_NS6detail17trampoline_kernelINS0_14default_configENS1_35radix_sort_onesweep_config_selectorIiNS0_10empty_typeEEEZZNS1_29radix_sort_onesweep_iterationIS3_Lb0EN6thrust23THRUST_200600_302600_NS10device_ptrIiEESB_PS5_SC_jNS0_19identity_decomposerENS1_16block_id_wrapperIjLb0EEEEE10hipError_tT1_PNSt15iterator_traitsISH_E10value_typeET2_T3_PNSI_ISN_E10value_typeET4_T5_PSS_ST_PNS1_23onesweep_lookback_stateEbbT6_jjT7_P12ihipStream_tbENKUlT_T0_SH_SM_E_clISB_SB_SC_SC_EEDaS10_S11_SH_SM_EUlS10_E_NS1_11comp_targetILNS1_3genE10ELNS1_11target_archE1201ELNS1_3gpuE5ELNS1_3repE0EEENS1_47radix_sort_onesweep_sort_config_static_selectorELNS0_4arch9wavefront6targetE0EEEvSH_.has_indirect_call, 0
	.section	.AMDGPU.csdata,"",@progbits
; Kernel info:
; codeLenInByte = 0
; TotalNumSgprs: 0
; NumVgprs: 0
; ScratchSize: 0
; MemoryBound: 0
; FloatMode: 240
; IeeeMode: 1
; LDSByteSize: 0 bytes/workgroup (compile time only)
; SGPRBlocks: 0
; VGPRBlocks: 0
; NumSGPRsForWavesPerEU: 1
; NumVGPRsForWavesPerEU: 1
; Occupancy: 16
; WaveLimiterHint : 0
; COMPUTE_PGM_RSRC2:SCRATCH_EN: 0
; COMPUTE_PGM_RSRC2:USER_SGPR: 6
; COMPUTE_PGM_RSRC2:TRAP_HANDLER: 0
; COMPUTE_PGM_RSRC2:TGID_X_EN: 1
; COMPUTE_PGM_RSRC2:TGID_Y_EN: 0
; COMPUTE_PGM_RSRC2:TGID_Z_EN: 0
; COMPUTE_PGM_RSRC2:TIDIG_COMP_CNT: 0
	.section	.text._ZN7rocprim17ROCPRIM_400000_NS6detail17trampoline_kernelINS0_14default_configENS1_35radix_sort_onesweep_config_selectorIiNS0_10empty_typeEEEZZNS1_29radix_sort_onesweep_iterationIS3_Lb0EN6thrust23THRUST_200600_302600_NS10device_ptrIiEESB_PS5_SC_jNS0_19identity_decomposerENS1_16block_id_wrapperIjLb0EEEEE10hipError_tT1_PNSt15iterator_traitsISH_E10value_typeET2_T3_PNSI_ISN_E10value_typeET4_T5_PSS_ST_PNS1_23onesweep_lookback_stateEbbT6_jjT7_P12ihipStream_tbENKUlT_T0_SH_SM_E_clISB_SB_SC_SC_EEDaS10_S11_SH_SM_EUlS10_E_NS1_11comp_targetILNS1_3genE9ELNS1_11target_archE1100ELNS1_3gpuE3ELNS1_3repE0EEENS1_47radix_sort_onesweep_sort_config_static_selectorELNS0_4arch9wavefront6targetE0EEEvSH_,"axG",@progbits,_ZN7rocprim17ROCPRIM_400000_NS6detail17trampoline_kernelINS0_14default_configENS1_35radix_sort_onesweep_config_selectorIiNS0_10empty_typeEEEZZNS1_29radix_sort_onesweep_iterationIS3_Lb0EN6thrust23THRUST_200600_302600_NS10device_ptrIiEESB_PS5_SC_jNS0_19identity_decomposerENS1_16block_id_wrapperIjLb0EEEEE10hipError_tT1_PNSt15iterator_traitsISH_E10value_typeET2_T3_PNSI_ISN_E10value_typeET4_T5_PSS_ST_PNS1_23onesweep_lookback_stateEbbT6_jjT7_P12ihipStream_tbENKUlT_T0_SH_SM_E_clISB_SB_SC_SC_EEDaS10_S11_SH_SM_EUlS10_E_NS1_11comp_targetILNS1_3genE9ELNS1_11target_archE1100ELNS1_3gpuE3ELNS1_3repE0EEENS1_47radix_sort_onesweep_sort_config_static_selectorELNS0_4arch9wavefront6targetE0EEEvSH_,comdat
	.protected	_ZN7rocprim17ROCPRIM_400000_NS6detail17trampoline_kernelINS0_14default_configENS1_35radix_sort_onesweep_config_selectorIiNS0_10empty_typeEEEZZNS1_29radix_sort_onesweep_iterationIS3_Lb0EN6thrust23THRUST_200600_302600_NS10device_ptrIiEESB_PS5_SC_jNS0_19identity_decomposerENS1_16block_id_wrapperIjLb0EEEEE10hipError_tT1_PNSt15iterator_traitsISH_E10value_typeET2_T3_PNSI_ISN_E10value_typeET4_T5_PSS_ST_PNS1_23onesweep_lookback_stateEbbT6_jjT7_P12ihipStream_tbENKUlT_T0_SH_SM_E_clISB_SB_SC_SC_EEDaS10_S11_SH_SM_EUlS10_E_NS1_11comp_targetILNS1_3genE9ELNS1_11target_archE1100ELNS1_3gpuE3ELNS1_3repE0EEENS1_47radix_sort_onesweep_sort_config_static_selectorELNS0_4arch9wavefront6targetE0EEEvSH_ ; -- Begin function _ZN7rocprim17ROCPRIM_400000_NS6detail17trampoline_kernelINS0_14default_configENS1_35radix_sort_onesweep_config_selectorIiNS0_10empty_typeEEEZZNS1_29radix_sort_onesweep_iterationIS3_Lb0EN6thrust23THRUST_200600_302600_NS10device_ptrIiEESB_PS5_SC_jNS0_19identity_decomposerENS1_16block_id_wrapperIjLb0EEEEE10hipError_tT1_PNSt15iterator_traitsISH_E10value_typeET2_T3_PNSI_ISN_E10value_typeET4_T5_PSS_ST_PNS1_23onesweep_lookback_stateEbbT6_jjT7_P12ihipStream_tbENKUlT_T0_SH_SM_E_clISB_SB_SC_SC_EEDaS10_S11_SH_SM_EUlS10_E_NS1_11comp_targetILNS1_3genE9ELNS1_11target_archE1100ELNS1_3gpuE3ELNS1_3repE0EEENS1_47radix_sort_onesweep_sort_config_static_selectorELNS0_4arch9wavefront6targetE0EEEvSH_
	.globl	_ZN7rocprim17ROCPRIM_400000_NS6detail17trampoline_kernelINS0_14default_configENS1_35radix_sort_onesweep_config_selectorIiNS0_10empty_typeEEEZZNS1_29radix_sort_onesweep_iterationIS3_Lb0EN6thrust23THRUST_200600_302600_NS10device_ptrIiEESB_PS5_SC_jNS0_19identity_decomposerENS1_16block_id_wrapperIjLb0EEEEE10hipError_tT1_PNSt15iterator_traitsISH_E10value_typeET2_T3_PNSI_ISN_E10value_typeET4_T5_PSS_ST_PNS1_23onesweep_lookback_stateEbbT6_jjT7_P12ihipStream_tbENKUlT_T0_SH_SM_E_clISB_SB_SC_SC_EEDaS10_S11_SH_SM_EUlS10_E_NS1_11comp_targetILNS1_3genE9ELNS1_11target_archE1100ELNS1_3gpuE3ELNS1_3repE0EEENS1_47radix_sort_onesweep_sort_config_static_selectorELNS0_4arch9wavefront6targetE0EEEvSH_
	.p2align	8
	.type	_ZN7rocprim17ROCPRIM_400000_NS6detail17trampoline_kernelINS0_14default_configENS1_35radix_sort_onesweep_config_selectorIiNS0_10empty_typeEEEZZNS1_29radix_sort_onesweep_iterationIS3_Lb0EN6thrust23THRUST_200600_302600_NS10device_ptrIiEESB_PS5_SC_jNS0_19identity_decomposerENS1_16block_id_wrapperIjLb0EEEEE10hipError_tT1_PNSt15iterator_traitsISH_E10value_typeET2_T3_PNSI_ISN_E10value_typeET4_T5_PSS_ST_PNS1_23onesweep_lookback_stateEbbT6_jjT7_P12ihipStream_tbENKUlT_T0_SH_SM_E_clISB_SB_SC_SC_EEDaS10_S11_SH_SM_EUlS10_E_NS1_11comp_targetILNS1_3genE9ELNS1_11target_archE1100ELNS1_3gpuE3ELNS1_3repE0EEENS1_47radix_sort_onesweep_sort_config_static_selectorELNS0_4arch9wavefront6targetE0EEEvSH_,@function
_ZN7rocprim17ROCPRIM_400000_NS6detail17trampoline_kernelINS0_14default_configENS1_35radix_sort_onesweep_config_selectorIiNS0_10empty_typeEEEZZNS1_29radix_sort_onesweep_iterationIS3_Lb0EN6thrust23THRUST_200600_302600_NS10device_ptrIiEESB_PS5_SC_jNS0_19identity_decomposerENS1_16block_id_wrapperIjLb0EEEEE10hipError_tT1_PNSt15iterator_traitsISH_E10value_typeET2_T3_PNSI_ISN_E10value_typeET4_T5_PSS_ST_PNS1_23onesweep_lookback_stateEbbT6_jjT7_P12ihipStream_tbENKUlT_T0_SH_SM_E_clISB_SB_SC_SC_EEDaS10_S11_SH_SM_EUlS10_E_NS1_11comp_targetILNS1_3genE9ELNS1_11target_archE1100ELNS1_3gpuE3ELNS1_3repE0EEENS1_47radix_sort_onesweep_sort_config_static_selectorELNS0_4arch9wavefront6targetE0EEEvSH_: ; @_ZN7rocprim17ROCPRIM_400000_NS6detail17trampoline_kernelINS0_14default_configENS1_35radix_sort_onesweep_config_selectorIiNS0_10empty_typeEEEZZNS1_29radix_sort_onesweep_iterationIS3_Lb0EN6thrust23THRUST_200600_302600_NS10device_ptrIiEESB_PS5_SC_jNS0_19identity_decomposerENS1_16block_id_wrapperIjLb0EEEEE10hipError_tT1_PNSt15iterator_traitsISH_E10value_typeET2_T3_PNSI_ISN_E10value_typeET4_T5_PSS_ST_PNS1_23onesweep_lookback_stateEbbT6_jjT7_P12ihipStream_tbENKUlT_T0_SH_SM_E_clISB_SB_SC_SC_EEDaS10_S11_SH_SM_EUlS10_E_NS1_11comp_targetILNS1_3genE9ELNS1_11target_archE1100ELNS1_3gpuE3ELNS1_3repE0EEENS1_47radix_sort_onesweep_sort_config_static_selectorELNS0_4arch9wavefront6targetE0EEEvSH_
; %bb.0:
	.section	.rodata,"a",@progbits
	.p2align	6, 0x0
	.amdhsa_kernel _ZN7rocprim17ROCPRIM_400000_NS6detail17trampoline_kernelINS0_14default_configENS1_35radix_sort_onesweep_config_selectorIiNS0_10empty_typeEEEZZNS1_29radix_sort_onesweep_iterationIS3_Lb0EN6thrust23THRUST_200600_302600_NS10device_ptrIiEESB_PS5_SC_jNS0_19identity_decomposerENS1_16block_id_wrapperIjLb0EEEEE10hipError_tT1_PNSt15iterator_traitsISH_E10value_typeET2_T3_PNSI_ISN_E10value_typeET4_T5_PSS_ST_PNS1_23onesweep_lookback_stateEbbT6_jjT7_P12ihipStream_tbENKUlT_T0_SH_SM_E_clISB_SB_SC_SC_EEDaS10_S11_SH_SM_EUlS10_E_NS1_11comp_targetILNS1_3genE9ELNS1_11target_archE1100ELNS1_3gpuE3ELNS1_3repE0EEENS1_47radix_sort_onesweep_sort_config_static_selectorELNS0_4arch9wavefront6targetE0EEEvSH_
		.amdhsa_group_segment_fixed_size 0
		.amdhsa_private_segment_fixed_size 0
		.amdhsa_kernarg_size 88
		.amdhsa_user_sgpr_count 6
		.amdhsa_user_sgpr_private_segment_buffer 1
		.amdhsa_user_sgpr_dispatch_ptr 0
		.amdhsa_user_sgpr_queue_ptr 0
		.amdhsa_user_sgpr_kernarg_segment_ptr 1
		.amdhsa_user_sgpr_dispatch_id 0
		.amdhsa_user_sgpr_flat_scratch_init 0
		.amdhsa_user_sgpr_private_segment_size 0
		.amdhsa_wavefront_size32 1
		.amdhsa_uses_dynamic_stack 0
		.amdhsa_system_sgpr_private_segment_wavefront_offset 0
		.amdhsa_system_sgpr_workgroup_id_x 1
		.amdhsa_system_sgpr_workgroup_id_y 0
		.amdhsa_system_sgpr_workgroup_id_z 0
		.amdhsa_system_sgpr_workgroup_info 0
		.amdhsa_system_vgpr_workitem_id 0
		.amdhsa_next_free_vgpr 1
		.amdhsa_next_free_sgpr 1
		.amdhsa_reserve_vcc 0
		.amdhsa_reserve_flat_scratch 0
		.amdhsa_float_round_mode_32 0
		.amdhsa_float_round_mode_16_64 0
		.amdhsa_float_denorm_mode_32 3
		.amdhsa_float_denorm_mode_16_64 3
		.amdhsa_dx10_clamp 1
		.amdhsa_ieee_mode 1
		.amdhsa_fp16_overflow 0
		.amdhsa_workgroup_processor_mode 1
		.amdhsa_memory_ordered 1
		.amdhsa_forward_progress 1
		.amdhsa_shared_vgpr_count 0
		.amdhsa_exception_fp_ieee_invalid_op 0
		.amdhsa_exception_fp_denorm_src 0
		.amdhsa_exception_fp_ieee_div_zero 0
		.amdhsa_exception_fp_ieee_overflow 0
		.amdhsa_exception_fp_ieee_underflow 0
		.amdhsa_exception_fp_ieee_inexact 0
		.amdhsa_exception_int_div_zero 0
	.end_amdhsa_kernel
	.section	.text._ZN7rocprim17ROCPRIM_400000_NS6detail17trampoline_kernelINS0_14default_configENS1_35radix_sort_onesweep_config_selectorIiNS0_10empty_typeEEEZZNS1_29radix_sort_onesweep_iterationIS3_Lb0EN6thrust23THRUST_200600_302600_NS10device_ptrIiEESB_PS5_SC_jNS0_19identity_decomposerENS1_16block_id_wrapperIjLb0EEEEE10hipError_tT1_PNSt15iterator_traitsISH_E10value_typeET2_T3_PNSI_ISN_E10value_typeET4_T5_PSS_ST_PNS1_23onesweep_lookback_stateEbbT6_jjT7_P12ihipStream_tbENKUlT_T0_SH_SM_E_clISB_SB_SC_SC_EEDaS10_S11_SH_SM_EUlS10_E_NS1_11comp_targetILNS1_3genE9ELNS1_11target_archE1100ELNS1_3gpuE3ELNS1_3repE0EEENS1_47radix_sort_onesweep_sort_config_static_selectorELNS0_4arch9wavefront6targetE0EEEvSH_,"axG",@progbits,_ZN7rocprim17ROCPRIM_400000_NS6detail17trampoline_kernelINS0_14default_configENS1_35radix_sort_onesweep_config_selectorIiNS0_10empty_typeEEEZZNS1_29radix_sort_onesweep_iterationIS3_Lb0EN6thrust23THRUST_200600_302600_NS10device_ptrIiEESB_PS5_SC_jNS0_19identity_decomposerENS1_16block_id_wrapperIjLb0EEEEE10hipError_tT1_PNSt15iterator_traitsISH_E10value_typeET2_T3_PNSI_ISN_E10value_typeET4_T5_PSS_ST_PNS1_23onesweep_lookback_stateEbbT6_jjT7_P12ihipStream_tbENKUlT_T0_SH_SM_E_clISB_SB_SC_SC_EEDaS10_S11_SH_SM_EUlS10_E_NS1_11comp_targetILNS1_3genE9ELNS1_11target_archE1100ELNS1_3gpuE3ELNS1_3repE0EEENS1_47radix_sort_onesweep_sort_config_static_selectorELNS0_4arch9wavefront6targetE0EEEvSH_,comdat
.Lfunc_end1278:
	.size	_ZN7rocprim17ROCPRIM_400000_NS6detail17trampoline_kernelINS0_14default_configENS1_35radix_sort_onesweep_config_selectorIiNS0_10empty_typeEEEZZNS1_29radix_sort_onesweep_iterationIS3_Lb0EN6thrust23THRUST_200600_302600_NS10device_ptrIiEESB_PS5_SC_jNS0_19identity_decomposerENS1_16block_id_wrapperIjLb0EEEEE10hipError_tT1_PNSt15iterator_traitsISH_E10value_typeET2_T3_PNSI_ISN_E10value_typeET4_T5_PSS_ST_PNS1_23onesweep_lookback_stateEbbT6_jjT7_P12ihipStream_tbENKUlT_T0_SH_SM_E_clISB_SB_SC_SC_EEDaS10_S11_SH_SM_EUlS10_E_NS1_11comp_targetILNS1_3genE9ELNS1_11target_archE1100ELNS1_3gpuE3ELNS1_3repE0EEENS1_47radix_sort_onesweep_sort_config_static_selectorELNS0_4arch9wavefront6targetE0EEEvSH_, .Lfunc_end1278-_ZN7rocprim17ROCPRIM_400000_NS6detail17trampoline_kernelINS0_14default_configENS1_35radix_sort_onesweep_config_selectorIiNS0_10empty_typeEEEZZNS1_29radix_sort_onesweep_iterationIS3_Lb0EN6thrust23THRUST_200600_302600_NS10device_ptrIiEESB_PS5_SC_jNS0_19identity_decomposerENS1_16block_id_wrapperIjLb0EEEEE10hipError_tT1_PNSt15iterator_traitsISH_E10value_typeET2_T3_PNSI_ISN_E10value_typeET4_T5_PSS_ST_PNS1_23onesweep_lookback_stateEbbT6_jjT7_P12ihipStream_tbENKUlT_T0_SH_SM_E_clISB_SB_SC_SC_EEDaS10_S11_SH_SM_EUlS10_E_NS1_11comp_targetILNS1_3genE9ELNS1_11target_archE1100ELNS1_3gpuE3ELNS1_3repE0EEENS1_47radix_sort_onesweep_sort_config_static_selectorELNS0_4arch9wavefront6targetE0EEEvSH_
                                        ; -- End function
	.set _ZN7rocprim17ROCPRIM_400000_NS6detail17trampoline_kernelINS0_14default_configENS1_35radix_sort_onesweep_config_selectorIiNS0_10empty_typeEEEZZNS1_29radix_sort_onesweep_iterationIS3_Lb0EN6thrust23THRUST_200600_302600_NS10device_ptrIiEESB_PS5_SC_jNS0_19identity_decomposerENS1_16block_id_wrapperIjLb0EEEEE10hipError_tT1_PNSt15iterator_traitsISH_E10value_typeET2_T3_PNSI_ISN_E10value_typeET4_T5_PSS_ST_PNS1_23onesweep_lookback_stateEbbT6_jjT7_P12ihipStream_tbENKUlT_T0_SH_SM_E_clISB_SB_SC_SC_EEDaS10_S11_SH_SM_EUlS10_E_NS1_11comp_targetILNS1_3genE9ELNS1_11target_archE1100ELNS1_3gpuE3ELNS1_3repE0EEENS1_47radix_sort_onesweep_sort_config_static_selectorELNS0_4arch9wavefront6targetE0EEEvSH_.num_vgpr, 0
	.set _ZN7rocprim17ROCPRIM_400000_NS6detail17trampoline_kernelINS0_14default_configENS1_35radix_sort_onesweep_config_selectorIiNS0_10empty_typeEEEZZNS1_29radix_sort_onesweep_iterationIS3_Lb0EN6thrust23THRUST_200600_302600_NS10device_ptrIiEESB_PS5_SC_jNS0_19identity_decomposerENS1_16block_id_wrapperIjLb0EEEEE10hipError_tT1_PNSt15iterator_traitsISH_E10value_typeET2_T3_PNSI_ISN_E10value_typeET4_T5_PSS_ST_PNS1_23onesweep_lookback_stateEbbT6_jjT7_P12ihipStream_tbENKUlT_T0_SH_SM_E_clISB_SB_SC_SC_EEDaS10_S11_SH_SM_EUlS10_E_NS1_11comp_targetILNS1_3genE9ELNS1_11target_archE1100ELNS1_3gpuE3ELNS1_3repE0EEENS1_47radix_sort_onesweep_sort_config_static_selectorELNS0_4arch9wavefront6targetE0EEEvSH_.num_agpr, 0
	.set _ZN7rocprim17ROCPRIM_400000_NS6detail17trampoline_kernelINS0_14default_configENS1_35radix_sort_onesweep_config_selectorIiNS0_10empty_typeEEEZZNS1_29radix_sort_onesweep_iterationIS3_Lb0EN6thrust23THRUST_200600_302600_NS10device_ptrIiEESB_PS5_SC_jNS0_19identity_decomposerENS1_16block_id_wrapperIjLb0EEEEE10hipError_tT1_PNSt15iterator_traitsISH_E10value_typeET2_T3_PNSI_ISN_E10value_typeET4_T5_PSS_ST_PNS1_23onesweep_lookback_stateEbbT6_jjT7_P12ihipStream_tbENKUlT_T0_SH_SM_E_clISB_SB_SC_SC_EEDaS10_S11_SH_SM_EUlS10_E_NS1_11comp_targetILNS1_3genE9ELNS1_11target_archE1100ELNS1_3gpuE3ELNS1_3repE0EEENS1_47radix_sort_onesweep_sort_config_static_selectorELNS0_4arch9wavefront6targetE0EEEvSH_.numbered_sgpr, 0
	.set _ZN7rocprim17ROCPRIM_400000_NS6detail17trampoline_kernelINS0_14default_configENS1_35radix_sort_onesweep_config_selectorIiNS0_10empty_typeEEEZZNS1_29radix_sort_onesweep_iterationIS3_Lb0EN6thrust23THRUST_200600_302600_NS10device_ptrIiEESB_PS5_SC_jNS0_19identity_decomposerENS1_16block_id_wrapperIjLb0EEEEE10hipError_tT1_PNSt15iterator_traitsISH_E10value_typeET2_T3_PNSI_ISN_E10value_typeET4_T5_PSS_ST_PNS1_23onesweep_lookback_stateEbbT6_jjT7_P12ihipStream_tbENKUlT_T0_SH_SM_E_clISB_SB_SC_SC_EEDaS10_S11_SH_SM_EUlS10_E_NS1_11comp_targetILNS1_3genE9ELNS1_11target_archE1100ELNS1_3gpuE3ELNS1_3repE0EEENS1_47radix_sort_onesweep_sort_config_static_selectorELNS0_4arch9wavefront6targetE0EEEvSH_.num_named_barrier, 0
	.set _ZN7rocprim17ROCPRIM_400000_NS6detail17trampoline_kernelINS0_14default_configENS1_35radix_sort_onesweep_config_selectorIiNS0_10empty_typeEEEZZNS1_29radix_sort_onesweep_iterationIS3_Lb0EN6thrust23THRUST_200600_302600_NS10device_ptrIiEESB_PS5_SC_jNS0_19identity_decomposerENS1_16block_id_wrapperIjLb0EEEEE10hipError_tT1_PNSt15iterator_traitsISH_E10value_typeET2_T3_PNSI_ISN_E10value_typeET4_T5_PSS_ST_PNS1_23onesweep_lookback_stateEbbT6_jjT7_P12ihipStream_tbENKUlT_T0_SH_SM_E_clISB_SB_SC_SC_EEDaS10_S11_SH_SM_EUlS10_E_NS1_11comp_targetILNS1_3genE9ELNS1_11target_archE1100ELNS1_3gpuE3ELNS1_3repE0EEENS1_47radix_sort_onesweep_sort_config_static_selectorELNS0_4arch9wavefront6targetE0EEEvSH_.private_seg_size, 0
	.set _ZN7rocprim17ROCPRIM_400000_NS6detail17trampoline_kernelINS0_14default_configENS1_35radix_sort_onesweep_config_selectorIiNS0_10empty_typeEEEZZNS1_29radix_sort_onesweep_iterationIS3_Lb0EN6thrust23THRUST_200600_302600_NS10device_ptrIiEESB_PS5_SC_jNS0_19identity_decomposerENS1_16block_id_wrapperIjLb0EEEEE10hipError_tT1_PNSt15iterator_traitsISH_E10value_typeET2_T3_PNSI_ISN_E10value_typeET4_T5_PSS_ST_PNS1_23onesweep_lookback_stateEbbT6_jjT7_P12ihipStream_tbENKUlT_T0_SH_SM_E_clISB_SB_SC_SC_EEDaS10_S11_SH_SM_EUlS10_E_NS1_11comp_targetILNS1_3genE9ELNS1_11target_archE1100ELNS1_3gpuE3ELNS1_3repE0EEENS1_47radix_sort_onesweep_sort_config_static_selectorELNS0_4arch9wavefront6targetE0EEEvSH_.uses_vcc, 0
	.set _ZN7rocprim17ROCPRIM_400000_NS6detail17trampoline_kernelINS0_14default_configENS1_35radix_sort_onesweep_config_selectorIiNS0_10empty_typeEEEZZNS1_29radix_sort_onesweep_iterationIS3_Lb0EN6thrust23THRUST_200600_302600_NS10device_ptrIiEESB_PS5_SC_jNS0_19identity_decomposerENS1_16block_id_wrapperIjLb0EEEEE10hipError_tT1_PNSt15iterator_traitsISH_E10value_typeET2_T3_PNSI_ISN_E10value_typeET4_T5_PSS_ST_PNS1_23onesweep_lookback_stateEbbT6_jjT7_P12ihipStream_tbENKUlT_T0_SH_SM_E_clISB_SB_SC_SC_EEDaS10_S11_SH_SM_EUlS10_E_NS1_11comp_targetILNS1_3genE9ELNS1_11target_archE1100ELNS1_3gpuE3ELNS1_3repE0EEENS1_47radix_sort_onesweep_sort_config_static_selectorELNS0_4arch9wavefront6targetE0EEEvSH_.uses_flat_scratch, 0
	.set _ZN7rocprim17ROCPRIM_400000_NS6detail17trampoline_kernelINS0_14default_configENS1_35radix_sort_onesweep_config_selectorIiNS0_10empty_typeEEEZZNS1_29radix_sort_onesweep_iterationIS3_Lb0EN6thrust23THRUST_200600_302600_NS10device_ptrIiEESB_PS5_SC_jNS0_19identity_decomposerENS1_16block_id_wrapperIjLb0EEEEE10hipError_tT1_PNSt15iterator_traitsISH_E10value_typeET2_T3_PNSI_ISN_E10value_typeET4_T5_PSS_ST_PNS1_23onesweep_lookback_stateEbbT6_jjT7_P12ihipStream_tbENKUlT_T0_SH_SM_E_clISB_SB_SC_SC_EEDaS10_S11_SH_SM_EUlS10_E_NS1_11comp_targetILNS1_3genE9ELNS1_11target_archE1100ELNS1_3gpuE3ELNS1_3repE0EEENS1_47radix_sort_onesweep_sort_config_static_selectorELNS0_4arch9wavefront6targetE0EEEvSH_.has_dyn_sized_stack, 0
	.set _ZN7rocprim17ROCPRIM_400000_NS6detail17trampoline_kernelINS0_14default_configENS1_35radix_sort_onesweep_config_selectorIiNS0_10empty_typeEEEZZNS1_29radix_sort_onesweep_iterationIS3_Lb0EN6thrust23THRUST_200600_302600_NS10device_ptrIiEESB_PS5_SC_jNS0_19identity_decomposerENS1_16block_id_wrapperIjLb0EEEEE10hipError_tT1_PNSt15iterator_traitsISH_E10value_typeET2_T3_PNSI_ISN_E10value_typeET4_T5_PSS_ST_PNS1_23onesweep_lookback_stateEbbT6_jjT7_P12ihipStream_tbENKUlT_T0_SH_SM_E_clISB_SB_SC_SC_EEDaS10_S11_SH_SM_EUlS10_E_NS1_11comp_targetILNS1_3genE9ELNS1_11target_archE1100ELNS1_3gpuE3ELNS1_3repE0EEENS1_47radix_sort_onesweep_sort_config_static_selectorELNS0_4arch9wavefront6targetE0EEEvSH_.has_recursion, 0
	.set _ZN7rocprim17ROCPRIM_400000_NS6detail17trampoline_kernelINS0_14default_configENS1_35radix_sort_onesweep_config_selectorIiNS0_10empty_typeEEEZZNS1_29radix_sort_onesweep_iterationIS3_Lb0EN6thrust23THRUST_200600_302600_NS10device_ptrIiEESB_PS5_SC_jNS0_19identity_decomposerENS1_16block_id_wrapperIjLb0EEEEE10hipError_tT1_PNSt15iterator_traitsISH_E10value_typeET2_T3_PNSI_ISN_E10value_typeET4_T5_PSS_ST_PNS1_23onesweep_lookback_stateEbbT6_jjT7_P12ihipStream_tbENKUlT_T0_SH_SM_E_clISB_SB_SC_SC_EEDaS10_S11_SH_SM_EUlS10_E_NS1_11comp_targetILNS1_3genE9ELNS1_11target_archE1100ELNS1_3gpuE3ELNS1_3repE0EEENS1_47radix_sort_onesweep_sort_config_static_selectorELNS0_4arch9wavefront6targetE0EEEvSH_.has_indirect_call, 0
	.section	.AMDGPU.csdata,"",@progbits
; Kernel info:
; codeLenInByte = 0
; TotalNumSgprs: 0
; NumVgprs: 0
; ScratchSize: 0
; MemoryBound: 0
; FloatMode: 240
; IeeeMode: 1
; LDSByteSize: 0 bytes/workgroup (compile time only)
; SGPRBlocks: 0
; VGPRBlocks: 0
; NumSGPRsForWavesPerEU: 1
; NumVGPRsForWavesPerEU: 1
; Occupancy: 16
; WaveLimiterHint : 0
; COMPUTE_PGM_RSRC2:SCRATCH_EN: 0
; COMPUTE_PGM_RSRC2:USER_SGPR: 6
; COMPUTE_PGM_RSRC2:TRAP_HANDLER: 0
; COMPUTE_PGM_RSRC2:TGID_X_EN: 1
; COMPUTE_PGM_RSRC2:TGID_Y_EN: 0
; COMPUTE_PGM_RSRC2:TGID_Z_EN: 0
; COMPUTE_PGM_RSRC2:TIDIG_COMP_CNT: 0
	.section	.text._ZN7rocprim17ROCPRIM_400000_NS6detail17trampoline_kernelINS0_14default_configENS1_35radix_sort_onesweep_config_selectorIiNS0_10empty_typeEEEZZNS1_29radix_sort_onesweep_iterationIS3_Lb0EN6thrust23THRUST_200600_302600_NS10device_ptrIiEESB_PS5_SC_jNS0_19identity_decomposerENS1_16block_id_wrapperIjLb0EEEEE10hipError_tT1_PNSt15iterator_traitsISH_E10value_typeET2_T3_PNSI_ISN_E10value_typeET4_T5_PSS_ST_PNS1_23onesweep_lookback_stateEbbT6_jjT7_P12ihipStream_tbENKUlT_T0_SH_SM_E_clISB_SB_SC_SC_EEDaS10_S11_SH_SM_EUlS10_E_NS1_11comp_targetILNS1_3genE8ELNS1_11target_archE1030ELNS1_3gpuE2ELNS1_3repE0EEENS1_47radix_sort_onesweep_sort_config_static_selectorELNS0_4arch9wavefront6targetE0EEEvSH_,"axG",@progbits,_ZN7rocprim17ROCPRIM_400000_NS6detail17trampoline_kernelINS0_14default_configENS1_35radix_sort_onesweep_config_selectorIiNS0_10empty_typeEEEZZNS1_29radix_sort_onesweep_iterationIS3_Lb0EN6thrust23THRUST_200600_302600_NS10device_ptrIiEESB_PS5_SC_jNS0_19identity_decomposerENS1_16block_id_wrapperIjLb0EEEEE10hipError_tT1_PNSt15iterator_traitsISH_E10value_typeET2_T3_PNSI_ISN_E10value_typeET4_T5_PSS_ST_PNS1_23onesweep_lookback_stateEbbT6_jjT7_P12ihipStream_tbENKUlT_T0_SH_SM_E_clISB_SB_SC_SC_EEDaS10_S11_SH_SM_EUlS10_E_NS1_11comp_targetILNS1_3genE8ELNS1_11target_archE1030ELNS1_3gpuE2ELNS1_3repE0EEENS1_47radix_sort_onesweep_sort_config_static_selectorELNS0_4arch9wavefront6targetE0EEEvSH_,comdat
	.protected	_ZN7rocprim17ROCPRIM_400000_NS6detail17trampoline_kernelINS0_14default_configENS1_35radix_sort_onesweep_config_selectorIiNS0_10empty_typeEEEZZNS1_29radix_sort_onesweep_iterationIS3_Lb0EN6thrust23THRUST_200600_302600_NS10device_ptrIiEESB_PS5_SC_jNS0_19identity_decomposerENS1_16block_id_wrapperIjLb0EEEEE10hipError_tT1_PNSt15iterator_traitsISH_E10value_typeET2_T3_PNSI_ISN_E10value_typeET4_T5_PSS_ST_PNS1_23onesweep_lookback_stateEbbT6_jjT7_P12ihipStream_tbENKUlT_T0_SH_SM_E_clISB_SB_SC_SC_EEDaS10_S11_SH_SM_EUlS10_E_NS1_11comp_targetILNS1_3genE8ELNS1_11target_archE1030ELNS1_3gpuE2ELNS1_3repE0EEENS1_47radix_sort_onesweep_sort_config_static_selectorELNS0_4arch9wavefront6targetE0EEEvSH_ ; -- Begin function _ZN7rocprim17ROCPRIM_400000_NS6detail17trampoline_kernelINS0_14default_configENS1_35radix_sort_onesweep_config_selectorIiNS0_10empty_typeEEEZZNS1_29radix_sort_onesweep_iterationIS3_Lb0EN6thrust23THRUST_200600_302600_NS10device_ptrIiEESB_PS5_SC_jNS0_19identity_decomposerENS1_16block_id_wrapperIjLb0EEEEE10hipError_tT1_PNSt15iterator_traitsISH_E10value_typeET2_T3_PNSI_ISN_E10value_typeET4_T5_PSS_ST_PNS1_23onesweep_lookback_stateEbbT6_jjT7_P12ihipStream_tbENKUlT_T0_SH_SM_E_clISB_SB_SC_SC_EEDaS10_S11_SH_SM_EUlS10_E_NS1_11comp_targetILNS1_3genE8ELNS1_11target_archE1030ELNS1_3gpuE2ELNS1_3repE0EEENS1_47radix_sort_onesweep_sort_config_static_selectorELNS0_4arch9wavefront6targetE0EEEvSH_
	.globl	_ZN7rocprim17ROCPRIM_400000_NS6detail17trampoline_kernelINS0_14default_configENS1_35radix_sort_onesweep_config_selectorIiNS0_10empty_typeEEEZZNS1_29radix_sort_onesweep_iterationIS3_Lb0EN6thrust23THRUST_200600_302600_NS10device_ptrIiEESB_PS5_SC_jNS0_19identity_decomposerENS1_16block_id_wrapperIjLb0EEEEE10hipError_tT1_PNSt15iterator_traitsISH_E10value_typeET2_T3_PNSI_ISN_E10value_typeET4_T5_PSS_ST_PNS1_23onesweep_lookback_stateEbbT6_jjT7_P12ihipStream_tbENKUlT_T0_SH_SM_E_clISB_SB_SC_SC_EEDaS10_S11_SH_SM_EUlS10_E_NS1_11comp_targetILNS1_3genE8ELNS1_11target_archE1030ELNS1_3gpuE2ELNS1_3repE0EEENS1_47radix_sort_onesweep_sort_config_static_selectorELNS0_4arch9wavefront6targetE0EEEvSH_
	.p2align	8
	.type	_ZN7rocprim17ROCPRIM_400000_NS6detail17trampoline_kernelINS0_14default_configENS1_35radix_sort_onesweep_config_selectorIiNS0_10empty_typeEEEZZNS1_29radix_sort_onesweep_iterationIS3_Lb0EN6thrust23THRUST_200600_302600_NS10device_ptrIiEESB_PS5_SC_jNS0_19identity_decomposerENS1_16block_id_wrapperIjLb0EEEEE10hipError_tT1_PNSt15iterator_traitsISH_E10value_typeET2_T3_PNSI_ISN_E10value_typeET4_T5_PSS_ST_PNS1_23onesweep_lookback_stateEbbT6_jjT7_P12ihipStream_tbENKUlT_T0_SH_SM_E_clISB_SB_SC_SC_EEDaS10_S11_SH_SM_EUlS10_E_NS1_11comp_targetILNS1_3genE8ELNS1_11target_archE1030ELNS1_3gpuE2ELNS1_3repE0EEENS1_47radix_sort_onesweep_sort_config_static_selectorELNS0_4arch9wavefront6targetE0EEEvSH_,@function
_ZN7rocprim17ROCPRIM_400000_NS6detail17trampoline_kernelINS0_14default_configENS1_35radix_sort_onesweep_config_selectorIiNS0_10empty_typeEEEZZNS1_29radix_sort_onesweep_iterationIS3_Lb0EN6thrust23THRUST_200600_302600_NS10device_ptrIiEESB_PS5_SC_jNS0_19identity_decomposerENS1_16block_id_wrapperIjLb0EEEEE10hipError_tT1_PNSt15iterator_traitsISH_E10value_typeET2_T3_PNSI_ISN_E10value_typeET4_T5_PSS_ST_PNS1_23onesweep_lookback_stateEbbT6_jjT7_P12ihipStream_tbENKUlT_T0_SH_SM_E_clISB_SB_SC_SC_EEDaS10_S11_SH_SM_EUlS10_E_NS1_11comp_targetILNS1_3genE8ELNS1_11target_archE1030ELNS1_3gpuE2ELNS1_3repE0EEENS1_47radix_sort_onesweep_sort_config_static_selectorELNS0_4arch9wavefront6targetE0EEEvSH_: ; @_ZN7rocprim17ROCPRIM_400000_NS6detail17trampoline_kernelINS0_14default_configENS1_35radix_sort_onesweep_config_selectorIiNS0_10empty_typeEEEZZNS1_29radix_sort_onesweep_iterationIS3_Lb0EN6thrust23THRUST_200600_302600_NS10device_ptrIiEESB_PS5_SC_jNS0_19identity_decomposerENS1_16block_id_wrapperIjLb0EEEEE10hipError_tT1_PNSt15iterator_traitsISH_E10value_typeET2_T3_PNSI_ISN_E10value_typeET4_T5_PSS_ST_PNS1_23onesweep_lookback_stateEbbT6_jjT7_P12ihipStream_tbENKUlT_T0_SH_SM_E_clISB_SB_SC_SC_EEDaS10_S11_SH_SM_EUlS10_E_NS1_11comp_targetILNS1_3genE8ELNS1_11target_archE1030ELNS1_3gpuE2ELNS1_3repE0EEENS1_47radix_sort_onesweep_sort_config_static_selectorELNS0_4arch9wavefront6targetE0EEEvSH_
; %bb.0:
	s_clause 0x3
	s_load_dwordx4 s[20:23], s[4:5], 0x44
	s_load_dwordx2 s[10:11], s[4:5], 0x38
	s_load_dwordx4 s[16:19], s[4:5], 0x0
	s_load_dwordx4 s[12:15], s[4:5], 0x28
	v_mbcnt_lo_u32_b32 v12, -1, 0
	v_lshlrev_b32_e32 v11, 2, v0
	s_mov_b32 s0, -1
	s_waitcnt lgkmcnt(0)
	s_cmp_ge_u32 s6, s22
	s_cbranch_scc0 .LBB1279_48
; %bb.1:
	s_load_dword s2, s[4:5], 0x20
	s_lshl_b32 s0, s6, 12
	s_mov_b32 s1, 0
	s_lshl_b32 s3, s22, 12
	v_and_b32_e32 v4, 0xf80, v11
	v_lshlrev_b32_e32 v6, 2, v12
	s_lshl_b64 s[0:1], s[0:1], 2
	v_bfrev_b32_e32 v3, -2
	v_lshlrev_b32_e32 v7, 2, v4
	v_or_b32_e32 v9, v12, v4
	v_mov_b32_e32 v4, v3
	v_mov_b32_e32 v5, v3
	s_waitcnt lgkmcnt(0)
	s_sub_i32 s9, s2, s3
	s_add_u32 s0, s16, s0
	s_addc_u32 s1, s17, s1
	v_add_co_u32 v6, s0, s0, v6
	v_add_co_ci_u32_e64 v8, null, s1, 0, s0
	v_add_co_u32 v7, s0, v6, v7
	v_add_co_ci_u32_e64 v8, null, 0, v8, s0
	v_mov_b32_e32 v6, v3
	s_mov_b32 s0, exec_lo
	v_cmpx_gt_u32_e64 s9, v9
	s_cbranch_execz .LBB1279_3
; %bb.2:
	global_load_dword v13, v[7:8], off
	v_mov_b32_e32 v14, v3
	v_mov_b32_e32 v15, v3
	;; [unrolled: 1-line block ×3, first 2 shown]
	s_waitcnt vmcnt(0)
	v_mov_b32_e32 v3, v13
	v_mov_b32_e32 v4, v14
	;; [unrolled: 1-line block ×4, first 2 shown]
.LBB1279_3:
	s_or_b32 exec_lo, exec_lo, s0
	v_or_b32_e32 v10, 32, v9
	s_mov_b32 s0, exec_lo
	v_cmpx_gt_u32_e64 s9, v10
	s_cbranch_execz .LBB1279_5
; %bb.4:
	global_load_dword v4, v[7:8], off offset:128
.LBB1279_5:
	s_or_b32 exec_lo, exec_lo, s0
	v_or_b32_e32 v10, 64, v9
	s_mov_b32 s0, exec_lo
	v_cmpx_gt_u32_e64 s9, v10
	s_cbranch_execz .LBB1279_7
; %bb.6:
	global_load_dword v5, v[7:8], off offset:256
.LBB1279_7:
	;; [unrolled: 8-line block ×3, first 2 shown]
	s_or_b32 exec_lo, exec_lo, s0
	s_clause 0x1
	s_load_dword s0, s[4:5], 0x64
	s_load_dword s22, s[4:5], 0x58
	s_add_u32 s1, s4, 0x58
	s_addc_u32 s2, s5, 0
	v_mov_b32_e32 v10, 0
	v_xor_b32_e32 v13, 0x80000000, v3
	v_lshrrev_b32_e32 v3, s20, v13
	s_waitcnt lgkmcnt(0)
	s_lshr_b32 s3, s0, 16
	s_cmp_lt_u32 s6, s22
	s_cselect_b32 s0, 12, 18
	s_add_u32 s0, s1, s0
	s_addc_u32 s1, s2, 0
	global_load_ushort v7, v10, s[0:1]
	s_lshl_b32 s0, -1, s21
	s_not_b32 s23, s0
	v_and_b32_e32 v3, s23, v3
	v_and_b32_e32 v8, 1, v3
	v_lshlrev_b32_e32 v9, 30, v3
	v_lshlrev_b32_e32 v14, 29, v3
	;; [unrolled: 1-line block ×4, first 2 shown]
	v_add_co_u32 v8, s0, v8, -1
	v_cndmask_b32_e64 v15, 0, 1, s0
	v_not_b32_e32 v19, v9
	v_cmp_gt_i32_e64 s0, 0, v9
	v_not_b32_e32 v9, v14
	v_lshlrev_b32_e32 v18, 26, v3
	v_cmp_ne_u32_e32 vcc_lo, 0, v15
	v_ashrrev_i32_e32 v19, 31, v19
	v_lshlrev_b32_e32 v15, 25, v3
	v_ashrrev_i32_e32 v9, 31, v9
	v_xor_b32_e32 v8, vcc_lo, v8
	v_cmp_gt_i32_e32 vcc_lo, 0, v14
	v_not_b32_e32 v14, v16
	v_xor_b32_e32 v19, s0, v19
	v_cmp_gt_i32_e64 s0, 0, v16
	v_and_b32_e32 v8, exec_lo, v8
	v_not_b32_e32 v16, v17
	v_ashrrev_i32_e32 v14, 31, v14
	v_xor_b32_e32 v9, vcc_lo, v9
	v_cmp_gt_i32_e32 vcc_lo, 0, v17
	v_and_b32_e32 v8, v8, v19
	v_not_b32_e32 v17, v18
	v_ashrrev_i32_e32 v16, 31, v16
	v_xor_b32_e32 v14, s0, v14
	v_cmp_gt_i32_e64 s0, 0, v18
	v_and_b32_e32 v8, v8, v9
	v_not_b32_e32 v9, v15
	v_ashrrev_i32_e32 v17, 31, v17
	v_xor_b32_e32 v16, vcc_lo, v16
	v_cmp_gt_i32_e32 vcc_lo, 0, v15
	v_and_b32_e32 v8, v8, v14
	v_lshlrev_b32_e32 v14, 24, v3
	v_ashrrev_i32_e32 v9, 31, v9
	v_xor_b32_e32 v15, s0, v17
	v_and_b32_e32 v8, v8, v16
	v_not_b32_e32 v16, v14
	v_xor_b32_e32 v9, vcc_lo, v9
	v_cmp_gt_i32_e32 vcc_lo, 0, v14
	v_and_b32_e32 v8, v8, v15
	v_mad_u32_u24 v15, v2, s3, v1
	v_ashrrev_i32_e32 v14, 31, v16
	v_mul_u32_u24_e32 v16, 36, v0
	v_and_b32_e32 v17, v8, v9
	ds_write2_b32 v16, v10, v10 offset0:32 offset1:33
	ds_write2_b32 v16, v10, v10 offset0:34 offset1:35
	;; [unrolled: 1-line block ×4, first 2 shown]
	ds_write_b32 v16, v10 offset:160
	s_waitcnt vmcnt(0) lgkmcnt(0)
	s_barrier
	buffer_gl0_inv
	; wave barrier
	v_mad_u64_u32 v[8:9], null, v15, v7, v[0:1]
	v_xor_b32_e32 v7, vcc_lo, v14
	v_mul_lo_u32 v9, 0x84, v3
	v_and_b32_e32 v7, v17, v7
	v_lshrrev_b32_e32 v8, 3, v8
	v_mbcnt_lo_u32_b32 v14, v7, 0
	v_and_b32_e32 v3, 0x1ffffffc, v8
	v_cmp_ne_u32_e64 s0, 0, v7
	v_cmp_eq_u32_e32 vcc_lo, 0, v14
	v_add_nc_u32_e32 v17, v3, v9
	s_and_b32 s1, s0, vcc_lo
	s_and_saveexec_b32 s0, s1
; %bb.10:
	v_bcnt_u32_b32 v7, v7, 0
	ds_write_b32 v17, v7 offset:128
; %bb.11:
	s_or_b32 exec_lo, exec_lo, s0
	v_xor_b32_e32 v15, 0x80000000, v4
	; wave barrier
	v_lshrrev_b32_e32 v4, s20, v15
	v_and_b32_e32 v4, s23, v4
	v_and_b32_e32 v8, 1, v4
	v_lshlrev_b32_e32 v9, 30, v4
	v_lshlrev_b32_e32 v10, 29, v4
	;; [unrolled: 1-line block ×4, first 2 shown]
	v_add_co_u32 v8, s0, v8, -1
	v_cndmask_b32_e64 v19, 0, 1, s0
	v_not_b32_e32 v23, v9
	v_cmp_gt_i32_e64 s0, 0, v9
	v_not_b32_e32 v9, v10
	v_lshlrev_b32_e32 v21, 26, v4
	v_cmp_ne_u32_e32 vcc_lo, 0, v19
	v_ashrrev_i32_e32 v19, 31, v23
	v_lshlrev_b32_e32 v22, 25, v4
	v_ashrrev_i32_e32 v9, 31, v9
	v_mul_lo_u32 v7, 0x84, v4
	v_xor_b32_e32 v8, vcc_lo, v8
	v_cmp_gt_i32_e32 vcc_lo, 0, v10
	v_not_b32_e32 v10, v18
	v_xor_b32_e32 v19, s0, v19
	v_cmp_gt_i32_e64 s0, 0, v18
	v_and_b32_e32 v8, exec_lo, v8
	v_not_b32_e32 v18, v20
	v_ashrrev_i32_e32 v10, 31, v10
	v_xor_b32_e32 v9, vcc_lo, v9
	v_cmp_gt_i32_e32 vcc_lo, 0, v20
	v_and_b32_e32 v8, v8, v19
	v_not_b32_e32 v19, v21
	v_ashrrev_i32_e32 v18, 31, v18
	v_xor_b32_e32 v10, s0, v10
	v_lshlrev_b32_e32 v4, 24, v4
	v_and_b32_e32 v8, v8, v9
	v_cmp_gt_i32_e64 s0, 0, v21
	v_not_b32_e32 v9, v22
	v_ashrrev_i32_e32 v19, 31, v19
	v_xor_b32_e32 v18, vcc_lo, v18
	v_and_b32_e32 v8, v8, v10
	v_cmp_gt_i32_e32 vcc_lo, 0, v22
	v_not_b32_e32 v10, v4
	v_ashrrev_i32_e32 v9, 31, v9
	v_xor_b32_e32 v19, s0, v19
	v_and_b32_e32 v8, v8, v18
	v_cmp_gt_i32_e64 s0, 0, v4
	v_ashrrev_i32_e32 v4, 31, v10
	v_xor_b32_e32 v9, vcc_lo, v9
	v_add_nc_u32_e32 v21, v3, v7
	v_and_b32_e32 v8, v8, v19
	v_xor_b32_e32 v4, s0, v4
	ds_read_b32 v18, v21 offset:128
	v_and_b32_e32 v7, v8, v9
	; wave barrier
	v_and_b32_e32 v4, v7, v4
	v_mbcnt_lo_u32_b32 v20, v4, 0
	v_cmp_ne_u32_e64 s0, 0, v4
	v_cmp_eq_u32_e32 vcc_lo, 0, v20
	s_and_b32 s1, s0, vcc_lo
	s_and_saveexec_b32 s0, s1
	s_cbranch_execz .LBB1279_13
; %bb.12:
	s_waitcnt lgkmcnt(0)
	v_bcnt_u32_b32 v4, v4, v18
	ds_write_b32 v21, v4 offset:128
.LBB1279_13:
	s_or_b32 exec_lo, exec_lo, s0
	v_xor_b32_e32 v19, 0x80000000, v5
	; wave barrier
	v_lshrrev_b32_e32 v4, s20, v19
	v_and_b32_e32 v4, s23, v4
	v_and_b32_e32 v7, 1, v4
	v_lshlrev_b32_e32 v8, 30, v4
	v_lshlrev_b32_e32 v9, 29, v4
	;; [unrolled: 1-line block ×4, first 2 shown]
	v_add_co_u32 v7, s0, v7, -1
	v_cndmask_b32_e64 v22, 0, 1, s0
	v_not_b32_e32 v26, v8
	v_cmp_gt_i32_e64 s0, 0, v8
	v_not_b32_e32 v8, v9
	v_lshlrev_b32_e32 v24, 26, v4
	v_cmp_ne_u32_e32 vcc_lo, 0, v22
	v_ashrrev_i32_e32 v22, 31, v26
	v_lshlrev_b32_e32 v25, 25, v4
	v_ashrrev_i32_e32 v8, 31, v8
	v_mul_lo_u32 v5, 0x84, v4
	v_xor_b32_e32 v7, vcc_lo, v7
	v_cmp_gt_i32_e32 vcc_lo, 0, v9
	v_not_b32_e32 v9, v10
	v_xor_b32_e32 v22, s0, v22
	v_cmp_gt_i32_e64 s0, 0, v10
	v_and_b32_e32 v7, exec_lo, v7
	v_not_b32_e32 v10, v23
	v_ashrrev_i32_e32 v9, 31, v9
	v_xor_b32_e32 v8, vcc_lo, v8
	v_cmp_gt_i32_e32 vcc_lo, 0, v23
	v_and_b32_e32 v7, v7, v22
	v_not_b32_e32 v22, v24
	v_ashrrev_i32_e32 v10, 31, v10
	v_xor_b32_e32 v9, s0, v9
	v_lshlrev_b32_e32 v4, 24, v4
	v_and_b32_e32 v7, v7, v8
	v_cmp_gt_i32_e64 s0, 0, v24
	v_not_b32_e32 v8, v25
	v_ashrrev_i32_e32 v22, 31, v22
	v_xor_b32_e32 v10, vcc_lo, v10
	v_and_b32_e32 v7, v7, v9
	v_cmp_gt_i32_e32 vcc_lo, 0, v25
	v_not_b32_e32 v9, v4
	v_ashrrev_i32_e32 v8, 31, v8
	v_xor_b32_e32 v22, s0, v22
	v_and_b32_e32 v7, v7, v10
	v_cmp_gt_i32_e64 s0, 0, v4
	v_ashrrev_i32_e32 v4, 31, v9
	v_xor_b32_e32 v8, vcc_lo, v8
	v_add_nc_u32_e32 v25, v3, v5
	v_and_b32_e32 v7, v7, v22
	v_xor_b32_e32 v4, s0, v4
	ds_read_b32 v22, v25 offset:128
	v_and_b32_e32 v5, v7, v8
	; wave barrier
	v_and_b32_e32 v4, v5, v4
	v_mbcnt_lo_u32_b32 v24, v4, 0
	v_cmp_ne_u32_e64 s0, 0, v4
	v_cmp_eq_u32_e32 vcc_lo, 0, v24
	s_and_b32 s1, s0, vcc_lo
	s_and_saveexec_b32 s0, s1
	s_cbranch_execz .LBB1279_15
; %bb.14:
	s_waitcnt lgkmcnt(0)
	v_bcnt_u32_b32 v4, v4, v22
	ds_write_b32 v25, v4 offset:128
.LBB1279_15:
	s_or_b32 exec_lo, exec_lo, s0
	v_xor_b32_e32 v23, 0x80000000, v6
	; wave barrier
	v_lshrrev_b32_e32 v4, s20, v23
	v_and_b32_e32 v4, s23, v4
	v_and_b32_e32 v6, 1, v4
	v_lshlrev_b32_e32 v7, 30, v4
	v_lshlrev_b32_e32 v8, 29, v4
	;; [unrolled: 1-line block ×4, first 2 shown]
	v_add_co_u32 v6, s0, v6, -1
	v_cndmask_b32_e64 v10, 0, 1, s0
	v_not_b32_e32 v29, v7
	v_cmp_gt_i32_e64 s0, 0, v7
	v_not_b32_e32 v7, v8
	v_lshlrev_b32_e32 v27, 26, v4
	v_cmp_ne_u32_e32 vcc_lo, 0, v10
	v_ashrrev_i32_e32 v10, 31, v29
	v_lshlrev_b32_e32 v28, 25, v4
	v_ashrrev_i32_e32 v7, 31, v7
	v_mul_lo_u32 v5, 0x84, v4
	v_xor_b32_e32 v6, vcc_lo, v6
	v_cmp_gt_i32_e32 vcc_lo, 0, v8
	v_not_b32_e32 v8, v9
	v_xor_b32_e32 v10, s0, v10
	v_cmp_gt_i32_e64 s0, 0, v9
	v_and_b32_e32 v6, exec_lo, v6
	v_not_b32_e32 v9, v26
	v_ashrrev_i32_e32 v8, 31, v8
	v_xor_b32_e32 v7, vcc_lo, v7
	v_cmp_gt_i32_e32 vcc_lo, 0, v26
	v_and_b32_e32 v6, v6, v10
	v_not_b32_e32 v10, v27
	v_ashrrev_i32_e32 v9, 31, v9
	v_xor_b32_e32 v8, s0, v8
	v_lshlrev_b32_e32 v4, 24, v4
	v_and_b32_e32 v6, v6, v7
	v_cmp_gt_i32_e64 s0, 0, v27
	v_not_b32_e32 v7, v28
	v_ashrrev_i32_e32 v10, 31, v10
	v_xor_b32_e32 v9, vcc_lo, v9
	v_and_b32_e32 v6, v6, v8
	v_cmp_gt_i32_e32 vcc_lo, 0, v28
	v_not_b32_e32 v8, v4
	v_ashrrev_i32_e32 v7, 31, v7
	v_xor_b32_e32 v10, s0, v10
	v_and_b32_e32 v6, v6, v9
	v_cmp_gt_i32_e64 s0, 0, v4
	v_ashrrev_i32_e32 v4, 31, v8
	v_xor_b32_e32 v7, vcc_lo, v7
	v_add_nc_u32_e32 v28, v3, v5
	v_and_b32_e32 v6, v6, v10
	v_xor_b32_e32 v3, s0, v4
	ds_read_b32 v26, v28 offset:128
	v_and_b32_e32 v4, v6, v7
	; wave barrier
	v_and_b32_e32 v3, v4, v3
	v_mbcnt_lo_u32_b32 v27, v3, 0
	v_cmp_ne_u32_e64 s0, 0, v3
	v_cmp_eq_u32_e32 vcc_lo, 0, v27
	s_and_b32 s1, s0, vcc_lo
	s_and_saveexec_b32 s0, s1
	s_cbranch_execz .LBB1279_17
; %bb.16:
	s_waitcnt lgkmcnt(0)
	v_bcnt_u32_b32 v3, v3, v26
	ds_write_b32 v28, v3 offset:128
.LBB1279_17:
	s_or_b32 exec_lo, exec_lo, s0
	; wave barrier
	s_waitcnt lgkmcnt(0)
	s_barrier
	buffer_gl0_inv
	ds_read2_b32 v[9:10], v16 offset0:32 offset1:33
	ds_read2_b32 v[7:8], v16 offset0:34 offset1:35
	;; [unrolled: 1-line block ×4, first 2 shown]
	ds_read_b32 v29, v16 offset:160
	v_and_b32_e32 v32, 16, v12
	v_and_b32_e32 v33, 31, v0
	s_mov_b32 s8, exec_lo
	v_cmp_eq_u32_e64 s3, 0, v32
	s_waitcnt lgkmcnt(3)
	v_add3_u32 v30, v10, v9, v7
	s_waitcnt lgkmcnt(2)
	v_add3_u32 v30, v30, v8, v5
	;; [unrolled: 2-line block ×4, first 2 shown]
	v_and_b32_e32 v30, 15, v12
	v_mov_b32_dpp v31, v29 row_shr:1 row_mask:0xf bank_mask:0xf
	v_cmp_eq_u32_e32 vcc_lo, 0, v30
	v_cmp_lt_u32_e64 s0, 1, v30
	v_cmp_lt_u32_e64 s1, 3, v30
	;; [unrolled: 1-line block ×3, first 2 shown]
	v_cndmask_b32_e64 v31, v31, 0, vcc_lo
	v_add_nc_u32_e32 v29, v31, v29
	v_mov_b32_dpp v31, v29 row_shr:2 row_mask:0xf bank_mask:0xf
	v_cndmask_b32_e64 v31, 0, v31, s0
	v_add_nc_u32_e32 v29, v29, v31
	v_mov_b32_dpp v31, v29 row_shr:4 row_mask:0xf bank_mask:0xf
	v_cndmask_b32_e64 v31, 0, v31, s1
	;; [unrolled: 3-line block ×3, first 2 shown]
	v_bfe_i32 v31, v12, 4, 1
	v_add_nc_u32_e32 v29, v29, v30
	ds_swizzle_b32 v30, v29 offset:swizzle(BROADCAST,32,15)
	s_waitcnt lgkmcnt(0)
	v_and_b32_e32 v31, v31, v30
	v_lshrrev_b32_e32 v30, 5, v0
	v_add_nc_u32_e32 v29, v29, v31
	v_cmpx_eq_u32_e32 31, v33
; %bb.18:
	v_lshlrev_b32_e32 v31, 2, v30
	ds_write_b32 v31, v29
; %bb.19:
	s_or_b32 exec_lo, exec_lo, s8
	v_cmp_lt_u32_e64 s7, 31, v0
	s_mov_b32 s24, exec_lo
	s_waitcnt lgkmcnt(0)
	s_barrier
	buffer_gl0_inv
	v_cmpx_gt_u32_e32 32, v0
	s_cbranch_execz .LBB1279_21
; %bb.20:
	ds_read_b32 v31, v11
	s_waitcnt lgkmcnt(0)
	v_mov_b32_dpp v32, v31 row_shr:1 row_mask:0xf bank_mask:0xf
	v_cndmask_b32_e64 v32, v32, 0, vcc_lo
	v_add_nc_u32_e32 v31, v32, v31
	v_mov_b32_dpp v32, v31 row_shr:2 row_mask:0xf bank_mask:0xf
	v_cndmask_b32_e64 v32, 0, v32, s0
	v_add_nc_u32_e32 v31, v31, v32
	v_mov_b32_dpp v32, v31 row_shr:4 row_mask:0xf bank_mask:0xf
	v_cndmask_b32_e64 v32, 0, v32, s1
	;; [unrolled: 3-line block ×3, first 2 shown]
	v_add_nc_u32_e32 v31, v31, v32
	ds_swizzle_b32 v32, v31 offset:swizzle(BROADCAST,32,15)
	s_waitcnt lgkmcnt(0)
	v_cndmask_b32_e64 v32, v32, 0, s3
	v_add_nc_u32_e32 v31, v31, v32
	ds_write_b32 v11, v31
.LBB1279_21:
	s_or_b32 exec_lo, exec_lo, s24
	v_mov_b32_e32 v31, 0
	s_waitcnt lgkmcnt(0)
	s_barrier
	buffer_gl0_inv
	s_and_saveexec_b32 s0, s7
; %bb.22:
	v_lshl_add_u32 v30, v30, 2, -4
	ds_read_b32 v31, v30
; %bb.23:
	s_or_b32 exec_lo, exec_lo, s0
	v_sub_co_u32 v30, vcc_lo, v12, 1
	s_waitcnt lgkmcnt(0)
	v_add_nc_u32_e32 v29, v31, v29
	v_cmp_gt_i32_e64 s0, 0, v30
	v_cndmask_b32_e64 v30, v30, v12, s0
	v_cmp_gt_u32_e64 s0, 0x100, v0
	v_lshlrev_b32_e32 v30, 2, v30
	ds_bpermute_b32 v29, v30, v29
	s_waitcnt lgkmcnt(0)
	v_cndmask_b32_e32 v29, v29, v31, vcc_lo
	v_cmp_ne_u32_e32 vcc_lo, 0, v0
	v_cndmask_b32_e32 v29, 0, v29, vcc_lo
	v_cmp_lt_u32_e32 vcc_lo, 0xff, v0
	v_add_nc_u32_e32 v9, v29, v9
	v_add_nc_u32_e32 v10, v9, v10
	;; [unrolled: 1-line block ×8, first 2 shown]
	ds_write2_b32 v16, v29, v9 offset0:32 offset1:33
	ds_write2_b32 v16, v10, v7 offset0:34 offset1:35
	;; [unrolled: 1-line block ×4, first 2 shown]
	ds_write_b32 v16, v4 offset:160
	s_waitcnt lgkmcnt(0)
	s_barrier
	buffer_gl0_inv
	ds_read_b32 v3, v17 offset:128
	ds_read_b32 v6, v21 offset:128
	;; [unrolled: 1-line block ×4, first 2 shown]
                                        ; implicit-def: $vgpr9
                                        ; implicit-def: $vgpr10
	s_and_saveexec_b32 s2, s0
	s_cbranch_execz .LBB1279_27
; %bb.24:
	v_mul_u32_u24_e32 v7, 0x84, v0
	v_add_nc_u32_e32 v8, 1, v0
	s_mov_b32 s3, exec_lo
	ds_read_b32 v9, v7 offset:128
	v_mov_b32_e32 v7, 0x1000
	v_cmpx_ne_u32_e32 0x100, v8
; %bb.25:
	v_mul_u32_u24_e32 v7, 0x84, v8
	ds_read_b32 v7, v7 offset:128
; %bb.26:
	s_or_b32 exec_lo, exec_lo, s3
	s_waitcnt lgkmcnt(0)
	v_sub_nc_u32_e32 v10, v7, v9
.LBB1279_27:
	s_or_b32 exec_lo, exec_lo, s2
	v_lshlrev_b32_e32 v7, 2, v14
	v_lshlrev_b32_e32 v8, 2, v20
	;; [unrolled: 1-line block ×5, first 2 shown]
	s_waitcnt lgkmcnt(0)
	v_lshlrev_b32_e32 v4, 2, v4
	v_lshlrev_b32_e32 v6, 2, v6
	;; [unrolled: 1-line block ×5, first 2 shown]
	v_lshl_add_u32 v3, v3, 2, v7
	v_add3_u32 v7, v18, v20, v4
	v_mov_b32_e32 v4, 0
	v_add3_u32 v6, v8, v14, v6
	v_add3_u32 v5, v16, v17, v5
	s_barrier
	buffer_gl0_inv
	ds_write_b32 v3, v13 offset:1024
	ds_write_b32 v6, v15 offset:1024
	;; [unrolled: 1-line block ×4, first 2 shown]
	s_and_saveexec_b32 s1, s0
	s_cbranch_execz .LBB1279_37
; %bb.28:
	v_lshl_add_u32 v3, s6, 8, v0
	v_mov_b32_e32 v13, 0
	s_mov_b32 s2, 0
	s_mov_b32 s3, s6
	v_lshlrev_b64 v[5:6], 2, v[3:4]
	v_or_b32_e32 v3, 2.0, v10
	v_add_co_u32 v5, s0, s10, v5
	v_add_co_ci_u32_e64 v6, null, s11, v6, s0
                                        ; implicit-def: $sgpr0
	global_store_dword v[5:6], v3, off
	s_branch .LBB1279_31
	.p2align	6
.LBB1279_29:                            ;   in Loop: Header=BB1279_31 Depth=1
	s_or_b32 exec_lo, exec_lo, s8
.LBB1279_30:                            ;   in Loop: Header=BB1279_31 Depth=1
	s_or_b32 exec_lo, exec_lo, s7
	v_and_b32_e32 v7, 0x3fffffff, v3
	v_cmp_gt_i32_e64 s0, -2.0, v3
	v_add_nc_u32_e32 v13, v7, v13
	s_and_b32 s7, exec_lo, s0
	s_or_b32 s2, s7, s2
	s_andn2_b32 exec_lo, exec_lo, s2
	s_cbranch_execz .LBB1279_36
.LBB1279_31:                            ; =>This Loop Header: Depth=1
                                        ;     Child Loop BB1279_34 Depth 2
	s_or_b32 s0, s0, exec_lo
	s_cmp_eq_u32 s3, 0
	s_cbranch_scc1 .LBB1279_35
; %bb.32:                               ;   in Loop: Header=BB1279_31 Depth=1
	s_add_i32 s3, s3, -1
	s_mov_b32 s7, exec_lo
	v_lshl_or_b32 v3, s3, 8, v0
	v_lshlrev_b64 v[7:8], 2, v[3:4]
	v_add_co_u32 v7, s0, s10, v7
	v_add_co_ci_u32_e64 v8, null, s11, v8, s0
	global_load_dword v3, v[7:8], off glc dlc
	s_waitcnt vmcnt(0)
	v_cmpx_gt_u32_e32 2.0, v3
	s_cbranch_execz .LBB1279_30
; %bb.33:                               ;   in Loop: Header=BB1279_31 Depth=1
	s_mov_b32 s8, 0
.LBB1279_34:                            ;   Parent Loop BB1279_31 Depth=1
                                        ; =>  This Inner Loop Header: Depth=2
	global_load_dword v3, v[7:8], off glc dlc
	s_waitcnt vmcnt(0)
	v_cmp_lt_u32_e64 s0, 0x3fffffff, v3
	s_or_b32 s8, s0, s8
	s_andn2_b32 exec_lo, exec_lo, s8
	s_cbranch_execnz .LBB1279_34
	s_branch .LBB1279_29
.LBB1279_35:                            ;   in Loop: Header=BB1279_31 Depth=1
                                        ; implicit-def: $sgpr3
	s_and_b32 s7, exec_lo, s0
	s_or_b32 s2, s7, s2
	s_andn2_b32 exec_lo, exec_lo, s2
	s_cbranch_execnz .LBB1279_31
.LBB1279_36:
	s_or_b32 exec_lo, exec_lo, s2
	v_add_nc_u32_e32 v3, v13, v10
	v_sub_nc_u32_e32 v4, v13, v9
	v_or_b32_e32 v3, 0x80000000, v3
	global_store_dword v[5:6], v3, off
	global_load_dword v3, v11, s[12:13]
	s_waitcnt vmcnt(0)
	v_add_nc_u32_e32 v3, v4, v3
	ds_write_b32 v11, v3
.LBB1279_37:
	s_or_b32 exec_lo, exec_lo, s1
	s_mov_b32 s1, exec_lo
	s_waitcnt lgkmcnt(0)
	s_waitcnt_vscnt null, 0x0
	s_barrier
	buffer_gl0_inv
	v_cmpx_gt_u32_e64 s9, v0
	s_cbranch_execz .LBB1279_39
; %bb.38:
	ds_read_b32 v5, v11 offset:1024
	v_mov_b32_e32 v4, 0
	s_waitcnt lgkmcnt(0)
	v_lshrrev_b32_e32 v3, s20, v5
	v_xor_b32_e32 v5, 0x80000000, v5
	v_and_b32_e32 v3, s23, v3
	v_lshlrev_b32_e32 v3, 2, v3
	ds_read_b32 v3, v3
	s_waitcnt lgkmcnt(0)
	v_add_nc_u32_e32 v3, v3, v0
	v_lshlrev_b64 v[3:4], 2, v[3:4]
	v_add_co_u32 v3, s0, s18, v3
	v_add_co_ci_u32_e64 v4, null, s19, v4, s0
	global_store_dword v[3:4], v5, off
.LBB1279_39:
	s_or_b32 exec_lo, exec_lo, s1
	v_or_b32_e32 v3, 0x400, v0
	s_mov_b32 s1, exec_lo
	v_cmpx_gt_u32_e64 s9, v3
	s_cbranch_execz .LBB1279_41
; %bb.40:
	ds_read_b32 v5, v11 offset:5120
	s_waitcnt lgkmcnt(0)
	v_lshrrev_b32_e32 v4, s20, v5
	v_xor_b32_e32 v5, 0x80000000, v5
	v_and_b32_e32 v4, s23, v4
	v_lshlrev_b32_e32 v4, 2, v4
	ds_read_b32 v6, v4
	v_mov_b32_e32 v4, 0
	s_waitcnt lgkmcnt(0)
	v_add_nc_u32_e32 v3, v6, v3
	v_lshlrev_b64 v[3:4], 2, v[3:4]
	v_add_co_u32 v3, s0, s18, v3
	v_add_co_ci_u32_e64 v4, null, s19, v4, s0
	global_store_dword v[3:4], v5, off
.LBB1279_41:
	s_or_b32 exec_lo, exec_lo, s1
	v_or_b32_e32 v3, 0x800, v0
	s_mov_b32 s1, exec_lo
	v_cmpx_gt_u32_e64 s9, v3
	s_cbranch_execz .LBB1279_43
; %bb.42:
	ds_read_b32 v5, v11 offset:9216
	s_waitcnt lgkmcnt(0)
	v_lshrrev_b32_e32 v4, s20, v5
	v_xor_b32_e32 v5, 0x80000000, v5
	v_and_b32_e32 v4, s23, v4
	v_lshlrev_b32_e32 v4, 2, v4
	ds_read_b32 v6, v4
	v_mov_b32_e32 v4, 0
	s_waitcnt lgkmcnt(0)
	v_add_nc_u32_e32 v3, v6, v3
	v_lshlrev_b64 v[3:4], 2, v[3:4]
	v_add_co_u32 v3, s0, s18, v3
	v_add_co_ci_u32_e64 v4, null, s19, v4, s0
	global_store_dword v[3:4], v5, off
.LBB1279_43:
	;; [unrolled: 21-line block ×3, first 2 shown]
	s_or_b32 exec_lo, exec_lo, s1
	s_add_i32 s22, s22, -1
	s_cmp_eq_u32 s6, s22
	s_cselect_b32 s0, -1, 0
	s_xor_b32 s1, vcc_lo, -1
	s_and_b32 s1, s1, s0
	s_and_saveexec_b32 s0, s1
	s_cbranch_execz .LBB1279_47
; %bb.46:
	ds_read_b32 v3, v11
	s_waitcnt lgkmcnt(0)
	v_add3_u32 v3, v9, v10, v3
	global_store_dword v11, v3, s[14:15]
.LBB1279_47:
	s_or_b32 exec_lo, exec_lo, s0
	s_mov_b32 s0, 0
.LBB1279_48:
	s_and_b32 vcc_lo, exec_lo, s0
	s_cbranch_vccz .LBB1279_79
; %bb.49:
	s_lshl_b32 s0, s6, 12
	s_mov_b32 s1, 0
	v_lshlrev_b32_e32 v3, 4, v0
	v_lshlrev_b32_e32 v4, 2, v12
	s_lshl_b64 s[0:1], s[0:1], 2
	v_mov_b32_e32 v13, 0
	s_add_u32 s0, s16, s0
	s_addc_u32 s1, s17, s1
	v_and_b32_e32 v3, 0x3e00, v3
	v_add_co_u32 v4, s0, s0, v4
	v_add_co_ci_u32_e64 v5, null, s1, 0, s0
	s_add_u32 s1, s4, 0x58
	v_add_co_u32 v6, vcc_lo, v4, v3
	v_add_co_ci_u32_e64 v7, null, 0, v5, vcc_lo
	s_addc_u32 s2, s5, 0
	global_load_dword v8, v[6:7], off
	s_clause 0x1
	s_load_dword s0, s[4:5], 0x64
	s_load_dword s7, s[4:5], 0x58
	s_waitcnt lgkmcnt(0)
	s_lshr_b32 s3, s0, 16
	s_cmp_lt_u32 s6, s7
	v_mad_u32_u24 v1, v2, s3, v1
	s_cselect_b32 s0, 12, 18
	s_add_u32 s0, s1, s0
	s_addc_u32 s1, s2, 0
	global_load_ushort v10, v13, s[0:1]
	s_clause 0x2
	global_load_dword v5, v[6:7], off offset:128
	global_load_dword v4, v[6:7], off offset:256
	;; [unrolled: 1-line block ×3, first 2 shown]
	s_lshl_b32 s0, -1, s21
	s_not_b32 s8, s0
	s_waitcnt vmcnt(4)
	v_xor_b32_e32 v9, 0x80000000, v8
	v_lshrrev_b32_e32 v6, s20, v9
	v_and_b32_e32 v6, s8, v6
	v_and_b32_e32 v7, 1, v6
	v_lshlrev_b32_e32 v8, 30, v6
	v_lshlrev_b32_e32 v14, 29, v6
	;; [unrolled: 1-line block ×4, first 2 shown]
	v_add_co_u32 v7, s0, v7, -1
	v_cndmask_b32_e64 v16, 0, 1, s0
	v_not_b32_e32 v20, v8
	v_cmp_gt_i32_e64 s0, 0, v8
	v_not_b32_e32 v8, v14
	v_lshlrev_b32_e32 v18, 26, v6
	v_cmp_ne_u32_e32 vcc_lo, 0, v16
	v_ashrrev_i32_e32 v20, 31, v20
	v_lshlrev_b32_e32 v19, 25, v6
	v_ashrrev_i32_e32 v8, 31, v8
	v_lshlrev_b32_e32 v16, 24, v6
	v_xor_b32_e32 v7, vcc_lo, v7
	v_cmp_gt_i32_e32 vcc_lo, 0, v14
	v_not_b32_e32 v14, v15
	v_xor_b32_e32 v20, s0, v20
	v_cmp_gt_i32_e64 s0, 0, v15
	v_and_b32_e32 v7, exec_lo, v7
	v_not_b32_e32 v15, v17
	v_ashrrev_i32_e32 v14, 31, v14
	v_xor_b32_e32 v8, vcc_lo, v8
	v_cmp_gt_i32_e32 vcc_lo, 0, v17
	v_and_b32_e32 v7, v7, v20
	v_not_b32_e32 v17, v18
	v_ashrrev_i32_e32 v15, 31, v15
	v_xor_b32_e32 v14, s0, v14
	v_cmp_gt_i32_e64 s0, 0, v18
	v_and_b32_e32 v7, v7, v8
	v_not_b32_e32 v8, v19
	v_ashrrev_i32_e32 v17, 31, v17
	v_xor_b32_e32 v15, vcc_lo, v15
	v_cmp_gt_i32_e32 vcc_lo, 0, v19
	v_and_b32_e32 v7, v7, v14
	v_not_b32_e32 v14, v16
	v_ashrrev_i32_e32 v8, 31, v8
	v_xor_b32_e32 v17, s0, v17
	v_cmp_gt_i32_e64 s0, 0, v16
	v_and_b32_e32 v7, v7, v15
	v_ashrrev_i32_e32 v15, 31, v14
	v_xor_b32_e32 v8, vcc_lo, v8
	s_waitcnt vmcnt(3)
	v_mad_u64_u32 v[1:2], null, v1, v10, v[0:1]
	v_and_b32_e32 v7, v7, v17
	v_xor_b32_e32 v2, s0, v15
	v_mul_lo_u32 v6, 0x84, v6
	v_mul_u32_u24_e32 v14, 36, v0
	v_and_b32_e32 v7, v7, v8
	v_lshrrev_b32_e32 v1, 3, v1
	ds_write2_b32 v14, v13, v13 offset0:32 offset1:33
	ds_write2_b32 v14, v13, v13 offset0:34 offset1:35
	;; [unrolled: 1-line block ×3, first 2 shown]
	v_and_b32_e32 v2, v7, v2
	v_and_b32_e32 v1, 0x1ffffffc, v1
	ds_write2_b32 v14, v13, v13 offset0:38 offset1:39
	ds_write_b32 v14, v13 offset:160
	s_waitcnt vmcnt(0) lgkmcnt(0)
	s_waitcnt_vscnt null, 0x0
	s_barrier
	v_mbcnt_lo_u32_b32 v10, v2, 0
	v_cmp_ne_u32_e64 s0, 0, v2
	v_add_nc_u32_e32 v15, v1, v6
	buffer_gl0_inv
	v_cmp_eq_u32_e32 vcc_lo, 0, v10
	; wave barrier
	s_and_b32 s1, s0, vcc_lo
	s_and_saveexec_b32 s0, s1
; %bb.50:
	v_bcnt_u32_b32 v2, v2, 0
	ds_write_b32 v15, v2 offset:128
; %bb.51:
	s_or_b32 exec_lo, exec_lo, s0
	v_xor_b32_e32 v13, 0x80000000, v5
	; wave barrier
	v_lshrrev_b32_e32 v2, s20, v13
	v_and_b32_e32 v2, s8, v2
	v_and_b32_e32 v6, 1, v2
	v_lshlrev_b32_e32 v7, 30, v2
	v_lshlrev_b32_e32 v8, 29, v2
	;; [unrolled: 1-line block ×4, first 2 shown]
	v_add_co_u32 v6, s0, v6, -1
	v_cndmask_b32_e64 v17, 0, 1, s0
	v_not_b32_e32 v21, v7
	v_cmp_gt_i32_e64 s0, 0, v7
	v_not_b32_e32 v7, v8
	v_lshlrev_b32_e32 v19, 26, v2
	v_cmp_ne_u32_e32 vcc_lo, 0, v17
	v_ashrrev_i32_e32 v17, 31, v21
	v_lshlrev_b32_e32 v20, 25, v2
	v_ashrrev_i32_e32 v7, 31, v7
	v_mul_lo_u32 v5, 0x84, v2
	v_xor_b32_e32 v6, vcc_lo, v6
	v_cmp_gt_i32_e32 vcc_lo, 0, v8
	v_not_b32_e32 v8, v16
	v_xor_b32_e32 v17, s0, v17
	v_cmp_gt_i32_e64 s0, 0, v16
	v_and_b32_e32 v6, exec_lo, v6
	v_not_b32_e32 v16, v18
	v_ashrrev_i32_e32 v8, 31, v8
	v_xor_b32_e32 v7, vcc_lo, v7
	v_cmp_gt_i32_e32 vcc_lo, 0, v18
	v_and_b32_e32 v6, v6, v17
	v_not_b32_e32 v17, v19
	v_ashrrev_i32_e32 v16, 31, v16
	v_xor_b32_e32 v8, s0, v8
	v_lshlrev_b32_e32 v2, 24, v2
	v_and_b32_e32 v6, v6, v7
	v_cmp_gt_i32_e64 s0, 0, v19
	v_not_b32_e32 v7, v20
	v_ashrrev_i32_e32 v17, 31, v17
	v_xor_b32_e32 v16, vcc_lo, v16
	v_and_b32_e32 v6, v6, v8
	v_cmp_gt_i32_e32 vcc_lo, 0, v20
	v_not_b32_e32 v8, v2
	v_ashrrev_i32_e32 v7, 31, v7
	v_xor_b32_e32 v17, s0, v17
	v_and_b32_e32 v6, v6, v16
	v_cmp_gt_i32_e64 s0, 0, v2
	v_ashrrev_i32_e32 v2, 31, v8
	v_xor_b32_e32 v7, vcc_lo, v7
	v_add_nc_u32_e32 v19, v1, v5
	v_and_b32_e32 v6, v6, v17
	v_xor_b32_e32 v2, s0, v2
	ds_read_b32 v16, v19 offset:128
	v_and_b32_e32 v5, v6, v7
	; wave barrier
	v_and_b32_e32 v2, v5, v2
	v_mbcnt_lo_u32_b32 v18, v2, 0
	v_cmp_ne_u32_e64 s0, 0, v2
	v_cmp_eq_u32_e32 vcc_lo, 0, v18
	s_and_b32 s1, s0, vcc_lo
	s_and_saveexec_b32 s0, s1
	s_cbranch_execz .LBB1279_53
; %bb.52:
	s_waitcnt lgkmcnt(0)
	v_bcnt_u32_b32 v2, v2, v16
	ds_write_b32 v19, v2 offset:128
.LBB1279_53:
	s_or_b32 exec_lo, exec_lo, s0
	v_xor_b32_e32 v17, 0x80000000, v4
	; wave barrier
	v_lshrrev_b32_e32 v2, s20, v17
	v_and_b32_e32 v2, s8, v2
	v_and_b32_e32 v5, 1, v2
	v_lshlrev_b32_e32 v6, 30, v2
	v_lshlrev_b32_e32 v7, 29, v2
	v_lshlrev_b32_e32 v8, 28, v2
	v_lshlrev_b32_e32 v21, 27, v2
	v_add_co_u32 v5, s0, v5, -1
	v_cndmask_b32_e64 v20, 0, 1, s0
	v_not_b32_e32 v24, v6
	v_cmp_gt_i32_e64 s0, 0, v6
	v_not_b32_e32 v6, v7
	v_lshlrev_b32_e32 v22, 26, v2
	v_cmp_ne_u32_e32 vcc_lo, 0, v20
	v_ashrrev_i32_e32 v20, 31, v24
	v_lshlrev_b32_e32 v23, 25, v2
	v_ashrrev_i32_e32 v6, 31, v6
	v_mul_lo_u32 v4, 0x84, v2
	v_xor_b32_e32 v5, vcc_lo, v5
	v_cmp_gt_i32_e32 vcc_lo, 0, v7
	v_not_b32_e32 v7, v8
	v_xor_b32_e32 v20, s0, v20
	v_cmp_gt_i32_e64 s0, 0, v8
	v_and_b32_e32 v5, exec_lo, v5
	v_not_b32_e32 v8, v21
	v_ashrrev_i32_e32 v7, 31, v7
	v_xor_b32_e32 v6, vcc_lo, v6
	v_cmp_gt_i32_e32 vcc_lo, 0, v21
	v_and_b32_e32 v5, v5, v20
	v_not_b32_e32 v20, v22
	v_ashrrev_i32_e32 v8, 31, v8
	v_xor_b32_e32 v7, s0, v7
	v_lshlrev_b32_e32 v2, 24, v2
	v_and_b32_e32 v5, v5, v6
	v_cmp_gt_i32_e64 s0, 0, v22
	v_not_b32_e32 v6, v23
	v_ashrrev_i32_e32 v20, 31, v20
	v_xor_b32_e32 v8, vcc_lo, v8
	v_and_b32_e32 v5, v5, v7
	v_cmp_gt_i32_e32 vcc_lo, 0, v23
	v_not_b32_e32 v7, v2
	v_ashrrev_i32_e32 v6, 31, v6
	v_xor_b32_e32 v20, s0, v20
	v_and_b32_e32 v5, v5, v8
	v_cmp_gt_i32_e64 s0, 0, v2
	v_ashrrev_i32_e32 v2, 31, v7
	v_xor_b32_e32 v6, vcc_lo, v6
	v_add_nc_u32_e32 v23, v1, v4
	v_and_b32_e32 v5, v5, v20
	v_xor_b32_e32 v2, s0, v2
	ds_read_b32 v20, v23 offset:128
	v_and_b32_e32 v4, v5, v6
	; wave barrier
	v_and_b32_e32 v2, v4, v2
	v_mbcnt_lo_u32_b32 v22, v2, 0
	v_cmp_ne_u32_e64 s0, 0, v2
	v_cmp_eq_u32_e32 vcc_lo, 0, v22
	s_and_b32 s1, s0, vcc_lo
	s_and_saveexec_b32 s0, s1
	s_cbranch_execz .LBB1279_55
; %bb.54:
	s_waitcnt lgkmcnt(0)
	v_bcnt_u32_b32 v2, v2, v20
	ds_write_b32 v23, v2 offset:128
.LBB1279_55:
	s_or_b32 exec_lo, exec_lo, s0
	v_xor_b32_e32 v21, 0x80000000, v3
	; wave barrier
	v_lshrrev_b32_e32 v2, s20, v21
	v_and_b32_e32 v2, s8, v2
	v_and_b32_e32 v4, 1, v2
	v_lshlrev_b32_e32 v5, 30, v2
	v_lshlrev_b32_e32 v6, 29, v2
	;; [unrolled: 1-line block ×4, first 2 shown]
	v_add_co_u32 v4, s0, v4, -1
	v_cndmask_b32_e64 v8, 0, 1, s0
	v_not_b32_e32 v27, v5
	v_cmp_gt_i32_e64 s0, 0, v5
	v_not_b32_e32 v5, v6
	v_lshlrev_b32_e32 v25, 26, v2
	v_cmp_ne_u32_e32 vcc_lo, 0, v8
	v_ashrrev_i32_e32 v8, 31, v27
	v_lshlrev_b32_e32 v26, 25, v2
	v_ashrrev_i32_e32 v5, 31, v5
	v_mul_lo_u32 v3, 0x84, v2
	v_xor_b32_e32 v4, vcc_lo, v4
	v_cmp_gt_i32_e32 vcc_lo, 0, v6
	v_not_b32_e32 v6, v7
	v_xor_b32_e32 v8, s0, v8
	v_cmp_gt_i32_e64 s0, 0, v7
	v_and_b32_e32 v4, exec_lo, v4
	v_not_b32_e32 v7, v24
	v_ashrrev_i32_e32 v6, 31, v6
	v_xor_b32_e32 v5, vcc_lo, v5
	v_cmp_gt_i32_e32 vcc_lo, 0, v24
	v_and_b32_e32 v4, v4, v8
	v_not_b32_e32 v8, v25
	v_ashrrev_i32_e32 v7, 31, v7
	v_xor_b32_e32 v6, s0, v6
	v_lshlrev_b32_e32 v2, 24, v2
	v_and_b32_e32 v4, v4, v5
	v_cmp_gt_i32_e64 s0, 0, v25
	v_not_b32_e32 v5, v26
	v_ashrrev_i32_e32 v8, 31, v8
	v_xor_b32_e32 v7, vcc_lo, v7
	v_and_b32_e32 v4, v4, v6
	v_cmp_gt_i32_e32 vcc_lo, 0, v26
	v_not_b32_e32 v6, v2
	v_ashrrev_i32_e32 v5, 31, v5
	v_xor_b32_e32 v8, s0, v8
	v_and_b32_e32 v4, v4, v7
	v_cmp_gt_i32_e64 s0, 0, v2
	v_ashrrev_i32_e32 v2, 31, v6
	v_xor_b32_e32 v5, vcc_lo, v5
	v_add_nc_u32_e32 v26, v1, v3
	v_and_b32_e32 v4, v4, v8
	v_xor_b32_e32 v1, s0, v2
	ds_read_b32 v24, v26 offset:128
	v_and_b32_e32 v2, v4, v5
	; wave barrier
	v_and_b32_e32 v1, v2, v1
	v_mbcnt_lo_u32_b32 v25, v1, 0
	v_cmp_ne_u32_e64 s0, 0, v1
	v_cmp_eq_u32_e32 vcc_lo, 0, v25
	s_and_b32 s1, s0, vcc_lo
	s_and_saveexec_b32 s0, s1
	s_cbranch_execz .LBB1279_57
; %bb.56:
	s_waitcnt lgkmcnt(0)
	v_bcnt_u32_b32 v1, v1, v24
	ds_write_b32 v26, v1 offset:128
.LBB1279_57:
	s_or_b32 exec_lo, exec_lo, s0
	; wave barrier
	s_waitcnt lgkmcnt(0)
	s_barrier
	buffer_gl0_inv
	ds_read2_b32 v[7:8], v14 offset0:32 offset1:33
	ds_read2_b32 v[5:6], v14 offset0:34 offset1:35
	;; [unrolled: 1-line block ×4, first 2 shown]
	ds_read_b32 v27, v14 offset:160
	v_and_b32_e32 v30, 16, v12
	v_and_b32_e32 v31, 31, v0
	s_mov_b32 s5, exec_lo
	v_cmp_eq_u32_e64 s3, 0, v30
	s_waitcnt lgkmcnt(3)
	v_add3_u32 v28, v8, v7, v5
	s_waitcnt lgkmcnt(2)
	v_add3_u32 v28, v28, v6, v3
	;; [unrolled: 2-line block ×4, first 2 shown]
	v_and_b32_e32 v28, 15, v12
	v_mov_b32_dpp v29, v27 row_shr:1 row_mask:0xf bank_mask:0xf
	v_cmp_eq_u32_e32 vcc_lo, 0, v28
	v_cmp_lt_u32_e64 s0, 1, v28
	v_cmp_lt_u32_e64 s1, 3, v28
	;; [unrolled: 1-line block ×3, first 2 shown]
	v_cndmask_b32_e64 v29, v29, 0, vcc_lo
	v_add_nc_u32_e32 v27, v29, v27
	v_mov_b32_dpp v29, v27 row_shr:2 row_mask:0xf bank_mask:0xf
	v_cndmask_b32_e64 v29, 0, v29, s0
	v_add_nc_u32_e32 v27, v27, v29
	v_mov_b32_dpp v29, v27 row_shr:4 row_mask:0xf bank_mask:0xf
	v_cndmask_b32_e64 v29, 0, v29, s1
	;; [unrolled: 3-line block ×3, first 2 shown]
	v_bfe_i32 v29, v12, 4, 1
	v_add_nc_u32_e32 v27, v27, v28
	ds_swizzle_b32 v28, v27 offset:swizzle(BROADCAST,32,15)
	s_waitcnt lgkmcnt(0)
	v_and_b32_e32 v29, v29, v28
	v_lshrrev_b32_e32 v28, 5, v0
	v_add_nc_u32_e32 v27, v27, v29
	v_cmpx_eq_u32_e32 31, v31
; %bb.58:
	v_lshlrev_b32_e32 v29, 2, v28
	ds_write_b32 v29, v27
; %bb.59:
	s_or_b32 exec_lo, exec_lo, s5
	v_cmp_lt_u32_e64 s4, 31, v0
	s_mov_b32 s9, exec_lo
	s_waitcnt lgkmcnt(0)
	s_barrier
	buffer_gl0_inv
	v_cmpx_gt_u32_e32 32, v0
	s_cbranch_execz .LBB1279_61
; %bb.60:
	ds_read_b32 v29, v11
	s_waitcnt lgkmcnt(0)
	v_mov_b32_dpp v30, v29 row_shr:1 row_mask:0xf bank_mask:0xf
	v_cndmask_b32_e64 v30, v30, 0, vcc_lo
	v_add_nc_u32_e32 v29, v30, v29
	v_mov_b32_dpp v30, v29 row_shr:2 row_mask:0xf bank_mask:0xf
	v_cndmask_b32_e64 v30, 0, v30, s0
	v_add_nc_u32_e32 v29, v29, v30
	v_mov_b32_dpp v30, v29 row_shr:4 row_mask:0xf bank_mask:0xf
	v_cndmask_b32_e64 v30, 0, v30, s1
	;; [unrolled: 3-line block ×3, first 2 shown]
	v_add_nc_u32_e32 v29, v29, v30
	ds_swizzle_b32 v30, v29 offset:swizzle(BROADCAST,32,15)
	s_waitcnt lgkmcnt(0)
	v_cndmask_b32_e64 v30, v30, 0, s3
	v_add_nc_u32_e32 v29, v29, v30
	ds_write_b32 v11, v29
.LBB1279_61:
	s_or_b32 exec_lo, exec_lo, s9
	v_mov_b32_e32 v29, 0
	s_waitcnt lgkmcnt(0)
	s_barrier
	buffer_gl0_inv
	s_and_saveexec_b32 s0, s4
; %bb.62:
	v_lshl_add_u32 v28, v28, 2, -4
	ds_read_b32 v29, v28
; %bb.63:
	s_or_b32 exec_lo, exec_lo, s0
	v_sub_co_u32 v28, vcc_lo, v12, 1
	s_waitcnt lgkmcnt(0)
	v_add_nc_u32_e32 v27, v29, v27
	v_cmp_gt_i32_e64 s0, 0, v28
	v_cndmask_b32_e64 v12, v28, v12, s0
	v_cmp_gt_u32_e64 s0, 0x100, v0
	v_lshlrev_b32_e32 v12, 2, v12
	ds_bpermute_b32 v12, v12, v27
	s_waitcnt lgkmcnt(0)
	v_cndmask_b32_e32 v12, v12, v29, vcc_lo
	v_cmp_ne_u32_e32 vcc_lo, 0, v0
	v_cndmask_b32_e32 v12, 0, v12, vcc_lo
	v_cmp_lt_u32_e32 vcc_lo, 0xff, v0
	v_add_nc_u32_e32 v7, v12, v7
	v_add_nc_u32_e32 v8, v7, v8
	;; [unrolled: 1-line block ×8, first 2 shown]
	ds_write2_b32 v14, v12, v7 offset0:32 offset1:33
	ds_write2_b32 v14, v8, v5 offset0:34 offset1:35
	;; [unrolled: 1-line block ×4, first 2 shown]
	ds_write_b32 v14, v2 offset:160
	s_waitcnt lgkmcnt(0)
	s_barrier
	buffer_gl0_inv
	ds_read_b32 v1, v15 offset:128
	ds_read_b32 v4, v19 offset:128
	;; [unrolled: 1-line block ×4, first 2 shown]
                                        ; implicit-def: $vgpr7
                                        ; implicit-def: $vgpr8
	s_and_saveexec_b32 s2, s0
	s_cbranch_execz .LBB1279_67
; %bb.64:
	v_mul_u32_u24_e32 v5, 0x84, v0
	v_add_nc_u32_e32 v6, 1, v0
	s_mov_b32 s3, exec_lo
	ds_read_b32 v7, v5 offset:128
	v_mov_b32_e32 v5, 0x1000
	v_cmpx_ne_u32_e32 0x100, v6
; %bb.65:
	v_mul_u32_u24_e32 v5, 0x84, v6
	ds_read_b32 v5, v5 offset:128
; %bb.66:
	s_or_b32 exec_lo, exec_lo, s3
	s_waitcnt lgkmcnt(0)
	v_sub_nc_u32_e32 v8, v5, v7
.LBB1279_67:
	s_or_b32 exec_lo, exec_lo, s2
	v_lshlrev_b32_e32 v5, 2, v10
	v_lshlrev_b32_e32 v10, 2, v16
	;; [unrolled: 1-line block ×4, first 2 shown]
	s_waitcnt lgkmcnt(0)
	v_lshlrev_b32_e32 v2, 2, v2
	v_lshlrev_b32_e32 v6, 2, v18
	;; [unrolled: 1-line block ×6, first 2 shown]
	v_lshl_add_u32 v1, v1, 2, v5
	v_add3_u32 v5, v15, v16, v2
	v_mov_b32_e32 v2, 0
	v_add3_u32 v4, v6, v10, v4
	v_add3_u32 v3, v12, v14, v3
	s_barrier
	buffer_gl0_inv
	ds_write_b32 v1, v9 offset:1024
	ds_write_b32 v4, v13 offset:1024
	;; [unrolled: 1-line block ×4, first 2 shown]
	s_and_saveexec_b32 s1, s0
	s_cbranch_execz .LBB1279_77
; %bb.68:
	v_lshl_add_u32 v1, s6, 8, v0
	v_mov_b32_e32 v9, 0
	s_mov_b32 s2, 0
	s_mov_b32 s3, s6
	v_lshlrev_b64 v[3:4], 2, v[1:2]
	v_or_b32_e32 v1, 2.0, v8
	v_add_co_u32 v3, s0, s10, v3
	v_add_co_ci_u32_e64 v4, null, s11, v4, s0
                                        ; implicit-def: $sgpr0
	global_store_dword v[3:4], v1, off
	s_branch .LBB1279_71
	.p2align	6
.LBB1279_69:                            ;   in Loop: Header=BB1279_71 Depth=1
	s_or_b32 exec_lo, exec_lo, s5
.LBB1279_70:                            ;   in Loop: Header=BB1279_71 Depth=1
	s_or_b32 exec_lo, exec_lo, s4
	v_and_b32_e32 v5, 0x3fffffff, v1
	v_cmp_gt_i32_e64 s0, -2.0, v1
	v_add_nc_u32_e32 v9, v5, v9
	s_and_b32 s4, exec_lo, s0
	s_or_b32 s2, s4, s2
	s_andn2_b32 exec_lo, exec_lo, s2
	s_cbranch_execz .LBB1279_76
.LBB1279_71:                            ; =>This Loop Header: Depth=1
                                        ;     Child Loop BB1279_74 Depth 2
	s_or_b32 s0, s0, exec_lo
	s_cmp_eq_u32 s3, 0
	s_cbranch_scc1 .LBB1279_75
; %bb.72:                               ;   in Loop: Header=BB1279_71 Depth=1
	s_add_i32 s3, s3, -1
	s_mov_b32 s4, exec_lo
	v_lshl_or_b32 v1, s3, 8, v0
	v_lshlrev_b64 v[5:6], 2, v[1:2]
	v_add_co_u32 v5, s0, s10, v5
	v_add_co_ci_u32_e64 v6, null, s11, v6, s0
	global_load_dword v1, v[5:6], off glc dlc
	s_waitcnt vmcnt(0)
	v_cmpx_gt_u32_e32 2.0, v1
	s_cbranch_execz .LBB1279_70
; %bb.73:                               ;   in Loop: Header=BB1279_71 Depth=1
	s_mov_b32 s5, 0
.LBB1279_74:                            ;   Parent Loop BB1279_71 Depth=1
                                        ; =>  This Inner Loop Header: Depth=2
	global_load_dword v1, v[5:6], off glc dlc
	s_waitcnt vmcnt(0)
	v_cmp_lt_u32_e64 s0, 0x3fffffff, v1
	s_or_b32 s5, s0, s5
	s_andn2_b32 exec_lo, exec_lo, s5
	s_cbranch_execnz .LBB1279_74
	s_branch .LBB1279_69
.LBB1279_75:                            ;   in Loop: Header=BB1279_71 Depth=1
                                        ; implicit-def: $sgpr3
	s_and_b32 s4, exec_lo, s0
	s_or_b32 s2, s4, s2
	s_andn2_b32 exec_lo, exec_lo, s2
	s_cbranch_execnz .LBB1279_71
.LBB1279_76:
	s_or_b32 exec_lo, exec_lo, s2
	v_add_nc_u32_e32 v1, v9, v8
	v_sub_nc_u32_e32 v2, v9, v7
	v_or_b32_e32 v1, 0x80000000, v1
	global_store_dword v[3:4], v1, off
	global_load_dword v1, v11, s[12:13]
	s_waitcnt vmcnt(0)
	v_add_nc_u32_e32 v1, v2, v1
	ds_write_b32 v11, v1
.LBB1279_77:
	s_or_b32 exec_lo, exec_lo, s1
	s_waitcnt lgkmcnt(0)
	s_waitcnt_vscnt null, 0x0
	s_barrier
	buffer_gl0_inv
	ds_read2st64_b32 v[1:2], v11 offset0:4 offset1:20
	ds_read2st64_b32 v[3:4], v11 offset0:36 offset1:52
	s_add_i32 s7, s7, -1
	s_cmp_eq_u32 s6, s7
	s_waitcnt lgkmcnt(1)
	v_lshrrev_b32_e32 v5, s20, v1
	v_lshrrev_b32_e32 v6, s20, v2
	s_waitcnt lgkmcnt(0)
	v_lshrrev_b32_e32 v9, s20, v3
	v_lshrrev_b32_e32 v10, s20, v4
	v_xor_b32_e32 v15, 0x80000000, v1
	v_and_b32_e32 v5, s8, v5
	v_and_b32_e32 v6, s8, v6
	;; [unrolled: 1-line block ×3, first 2 shown]
	v_xor_b32_e32 v16, 0x80000000, v2
	v_xor_b32_e32 v4, 0x80000000, v4
	v_lshlrev_b32_e32 v5, 2, v5
	v_lshlrev_b32_e32 v6, 2, v6
	ds_read_b32 v5, v5
	ds_read_b32 v12, v6
	v_lshlrev_b32_e32 v6, 2, v9
	v_and_b32_e32 v9, s8, v10
	ds_read_b32 v13, v6
	v_lshlrev_b32_e32 v6, 2, v9
	ds_read_b32 v14, v6
	v_mov_b32_e32 v6, 0
	s_waitcnt lgkmcnt(3)
	v_add_nc_u32_e32 v5, v5, v0
	v_lshlrev_b64 v[9:10], 2, v[5:6]
	s_waitcnt lgkmcnt(2)
	v_add3_u32 v5, v12, v0, 0x400
	v_lshlrev_b64 v[1:2], 2, v[5:6]
	s_waitcnt lgkmcnt(1)
	v_add3_u32 v5, v13, v0, 0x800
	v_add_co_u32 v9, s0, s18, v9
	v_add_co_ci_u32_e64 v10, null, s19, v10, s0
	v_lshlrev_b64 v[12:13], 2, v[5:6]
	s_waitcnt lgkmcnt(0)
	v_add3_u32 v5, v14, v0, 0xc00
	v_add_co_u32 v0, s0, s18, v1
	v_add_co_ci_u32_e64 v1, null, s19, v2, s0
	v_xor_b32_e32 v14, 0x80000000, v3
	v_lshlrev_b64 v[2:3], 2, v[5:6]
	global_store_dword v[9:10], v15, off
	global_store_dword v[0:1], v16, off
	v_add_co_u32 v0, s0, s18, v12
	v_add_co_ci_u32_e64 v1, null, s19, v13, s0
	v_add_co_u32 v2, s0, s18, v2
	v_add_co_ci_u32_e64 v3, null, s19, v3, s0
	s_cselect_b32 s0, -1, 0
	s_xor_b32 s1, vcc_lo, -1
	global_store_dword v[0:1], v14, off
	s_and_b32 s0, s1, s0
	global_store_dword v[2:3], v4, off
	s_and_saveexec_b32 s1, s0
	s_cbranch_execz .LBB1279_79
; %bb.78:
	ds_read_b32 v0, v11
	s_waitcnt lgkmcnt(0)
	v_add3_u32 v0, v7, v8, v0
	global_store_dword v11, v0, s[14:15]
.LBB1279_79:
	s_endpgm
	.section	.rodata,"a",@progbits
	.p2align	6, 0x0
	.amdhsa_kernel _ZN7rocprim17ROCPRIM_400000_NS6detail17trampoline_kernelINS0_14default_configENS1_35radix_sort_onesweep_config_selectorIiNS0_10empty_typeEEEZZNS1_29radix_sort_onesweep_iterationIS3_Lb0EN6thrust23THRUST_200600_302600_NS10device_ptrIiEESB_PS5_SC_jNS0_19identity_decomposerENS1_16block_id_wrapperIjLb0EEEEE10hipError_tT1_PNSt15iterator_traitsISH_E10value_typeET2_T3_PNSI_ISN_E10value_typeET4_T5_PSS_ST_PNS1_23onesweep_lookback_stateEbbT6_jjT7_P12ihipStream_tbENKUlT_T0_SH_SM_E_clISB_SB_SC_SC_EEDaS10_S11_SH_SM_EUlS10_E_NS1_11comp_targetILNS1_3genE8ELNS1_11target_archE1030ELNS1_3gpuE2ELNS1_3repE0EEENS1_47radix_sort_onesweep_sort_config_static_selectorELNS0_4arch9wavefront6targetE0EEEvSH_
		.amdhsa_group_segment_fixed_size 37000
		.amdhsa_private_segment_fixed_size 0
		.amdhsa_kernarg_size 344
		.amdhsa_user_sgpr_count 6
		.amdhsa_user_sgpr_private_segment_buffer 1
		.amdhsa_user_sgpr_dispatch_ptr 0
		.amdhsa_user_sgpr_queue_ptr 0
		.amdhsa_user_sgpr_kernarg_segment_ptr 1
		.amdhsa_user_sgpr_dispatch_id 0
		.amdhsa_user_sgpr_flat_scratch_init 0
		.amdhsa_user_sgpr_private_segment_size 0
		.amdhsa_wavefront_size32 1
		.amdhsa_uses_dynamic_stack 0
		.amdhsa_system_sgpr_private_segment_wavefront_offset 0
		.amdhsa_system_sgpr_workgroup_id_x 1
		.amdhsa_system_sgpr_workgroup_id_y 0
		.amdhsa_system_sgpr_workgroup_id_z 0
		.amdhsa_system_sgpr_workgroup_info 0
		.amdhsa_system_vgpr_workitem_id 2
		.amdhsa_next_free_vgpr 34
		.amdhsa_next_free_sgpr 25
		.amdhsa_reserve_vcc 1
		.amdhsa_reserve_flat_scratch 0
		.amdhsa_float_round_mode_32 0
		.amdhsa_float_round_mode_16_64 0
		.amdhsa_float_denorm_mode_32 3
		.amdhsa_float_denorm_mode_16_64 3
		.amdhsa_dx10_clamp 1
		.amdhsa_ieee_mode 1
		.amdhsa_fp16_overflow 0
		.amdhsa_workgroup_processor_mode 1
		.amdhsa_memory_ordered 1
		.amdhsa_forward_progress 1
		.amdhsa_shared_vgpr_count 0
		.amdhsa_exception_fp_ieee_invalid_op 0
		.amdhsa_exception_fp_denorm_src 0
		.amdhsa_exception_fp_ieee_div_zero 0
		.amdhsa_exception_fp_ieee_overflow 0
		.amdhsa_exception_fp_ieee_underflow 0
		.amdhsa_exception_fp_ieee_inexact 0
		.amdhsa_exception_int_div_zero 0
	.end_amdhsa_kernel
	.section	.text._ZN7rocprim17ROCPRIM_400000_NS6detail17trampoline_kernelINS0_14default_configENS1_35radix_sort_onesweep_config_selectorIiNS0_10empty_typeEEEZZNS1_29radix_sort_onesweep_iterationIS3_Lb0EN6thrust23THRUST_200600_302600_NS10device_ptrIiEESB_PS5_SC_jNS0_19identity_decomposerENS1_16block_id_wrapperIjLb0EEEEE10hipError_tT1_PNSt15iterator_traitsISH_E10value_typeET2_T3_PNSI_ISN_E10value_typeET4_T5_PSS_ST_PNS1_23onesweep_lookback_stateEbbT6_jjT7_P12ihipStream_tbENKUlT_T0_SH_SM_E_clISB_SB_SC_SC_EEDaS10_S11_SH_SM_EUlS10_E_NS1_11comp_targetILNS1_3genE8ELNS1_11target_archE1030ELNS1_3gpuE2ELNS1_3repE0EEENS1_47radix_sort_onesweep_sort_config_static_selectorELNS0_4arch9wavefront6targetE0EEEvSH_,"axG",@progbits,_ZN7rocprim17ROCPRIM_400000_NS6detail17trampoline_kernelINS0_14default_configENS1_35radix_sort_onesweep_config_selectorIiNS0_10empty_typeEEEZZNS1_29radix_sort_onesweep_iterationIS3_Lb0EN6thrust23THRUST_200600_302600_NS10device_ptrIiEESB_PS5_SC_jNS0_19identity_decomposerENS1_16block_id_wrapperIjLb0EEEEE10hipError_tT1_PNSt15iterator_traitsISH_E10value_typeET2_T3_PNSI_ISN_E10value_typeET4_T5_PSS_ST_PNS1_23onesweep_lookback_stateEbbT6_jjT7_P12ihipStream_tbENKUlT_T0_SH_SM_E_clISB_SB_SC_SC_EEDaS10_S11_SH_SM_EUlS10_E_NS1_11comp_targetILNS1_3genE8ELNS1_11target_archE1030ELNS1_3gpuE2ELNS1_3repE0EEENS1_47radix_sort_onesweep_sort_config_static_selectorELNS0_4arch9wavefront6targetE0EEEvSH_,comdat
.Lfunc_end1279:
	.size	_ZN7rocprim17ROCPRIM_400000_NS6detail17trampoline_kernelINS0_14default_configENS1_35radix_sort_onesweep_config_selectorIiNS0_10empty_typeEEEZZNS1_29radix_sort_onesweep_iterationIS3_Lb0EN6thrust23THRUST_200600_302600_NS10device_ptrIiEESB_PS5_SC_jNS0_19identity_decomposerENS1_16block_id_wrapperIjLb0EEEEE10hipError_tT1_PNSt15iterator_traitsISH_E10value_typeET2_T3_PNSI_ISN_E10value_typeET4_T5_PSS_ST_PNS1_23onesweep_lookback_stateEbbT6_jjT7_P12ihipStream_tbENKUlT_T0_SH_SM_E_clISB_SB_SC_SC_EEDaS10_S11_SH_SM_EUlS10_E_NS1_11comp_targetILNS1_3genE8ELNS1_11target_archE1030ELNS1_3gpuE2ELNS1_3repE0EEENS1_47radix_sort_onesweep_sort_config_static_selectorELNS0_4arch9wavefront6targetE0EEEvSH_, .Lfunc_end1279-_ZN7rocprim17ROCPRIM_400000_NS6detail17trampoline_kernelINS0_14default_configENS1_35radix_sort_onesweep_config_selectorIiNS0_10empty_typeEEEZZNS1_29radix_sort_onesweep_iterationIS3_Lb0EN6thrust23THRUST_200600_302600_NS10device_ptrIiEESB_PS5_SC_jNS0_19identity_decomposerENS1_16block_id_wrapperIjLb0EEEEE10hipError_tT1_PNSt15iterator_traitsISH_E10value_typeET2_T3_PNSI_ISN_E10value_typeET4_T5_PSS_ST_PNS1_23onesweep_lookback_stateEbbT6_jjT7_P12ihipStream_tbENKUlT_T0_SH_SM_E_clISB_SB_SC_SC_EEDaS10_S11_SH_SM_EUlS10_E_NS1_11comp_targetILNS1_3genE8ELNS1_11target_archE1030ELNS1_3gpuE2ELNS1_3repE0EEENS1_47radix_sort_onesweep_sort_config_static_selectorELNS0_4arch9wavefront6targetE0EEEvSH_
                                        ; -- End function
	.set _ZN7rocprim17ROCPRIM_400000_NS6detail17trampoline_kernelINS0_14default_configENS1_35radix_sort_onesweep_config_selectorIiNS0_10empty_typeEEEZZNS1_29radix_sort_onesweep_iterationIS3_Lb0EN6thrust23THRUST_200600_302600_NS10device_ptrIiEESB_PS5_SC_jNS0_19identity_decomposerENS1_16block_id_wrapperIjLb0EEEEE10hipError_tT1_PNSt15iterator_traitsISH_E10value_typeET2_T3_PNSI_ISN_E10value_typeET4_T5_PSS_ST_PNS1_23onesweep_lookback_stateEbbT6_jjT7_P12ihipStream_tbENKUlT_T0_SH_SM_E_clISB_SB_SC_SC_EEDaS10_S11_SH_SM_EUlS10_E_NS1_11comp_targetILNS1_3genE8ELNS1_11target_archE1030ELNS1_3gpuE2ELNS1_3repE0EEENS1_47radix_sort_onesweep_sort_config_static_selectorELNS0_4arch9wavefront6targetE0EEEvSH_.num_vgpr, 34
	.set _ZN7rocprim17ROCPRIM_400000_NS6detail17trampoline_kernelINS0_14default_configENS1_35radix_sort_onesweep_config_selectorIiNS0_10empty_typeEEEZZNS1_29radix_sort_onesweep_iterationIS3_Lb0EN6thrust23THRUST_200600_302600_NS10device_ptrIiEESB_PS5_SC_jNS0_19identity_decomposerENS1_16block_id_wrapperIjLb0EEEEE10hipError_tT1_PNSt15iterator_traitsISH_E10value_typeET2_T3_PNSI_ISN_E10value_typeET4_T5_PSS_ST_PNS1_23onesweep_lookback_stateEbbT6_jjT7_P12ihipStream_tbENKUlT_T0_SH_SM_E_clISB_SB_SC_SC_EEDaS10_S11_SH_SM_EUlS10_E_NS1_11comp_targetILNS1_3genE8ELNS1_11target_archE1030ELNS1_3gpuE2ELNS1_3repE0EEENS1_47radix_sort_onesweep_sort_config_static_selectorELNS0_4arch9wavefront6targetE0EEEvSH_.num_agpr, 0
	.set _ZN7rocprim17ROCPRIM_400000_NS6detail17trampoline_kernelINS0_14default_configENS1_35radix_sort_onesweep_config_selectorIiNS0_10empty_typeEEEZZNS1_29radix_sort_onesweep_iterationIS3_Lb0EN6thrust23THRUST_200600_302600_NS10device_ptrIiEESB_PS5_SC_jNS0_19identity_decomposerENS1_16block_id_wrapperIjLb0EEEEE10hipError_tT1_PNSt15iterator_traitsISH_E10value_typeET2_T3_PNSI_ISN_E10value_typeET4_T5_PSS_ST_PNS1_23onesweep_lookback_stateEbbT6_jjT7_P12ihipStream_tbENKUlT_T0_SH_SM_E_clISB_SB_SC_SC_EEDaS10_S11_SH_SM_EUlS10_E_NS1_11comp_targetILNS1_3genE8ELNS1_11target_archE1030ELNS1_3gpuE2ELNS1_3repE0EEENS1_47radix_sort_onesweep_sort_config_static_selectorELNS0_4arch9wavefront6targetE0EEEvSH_.numbered_sgpr, 25
	.set _ZN7rocprim17ROCPRIM_400000_NS6detail17trampoline_kernelINS0_14default_configENS1_35radix_sort_onesweep_config_selectorIiNS0_10empty_typeEEEZZNS1_29radix_sort_onesweep_iterationIS3_Lb0EN6thrust23THRUST_200600_302600_NS10device_ptrIiEESB_PS5_SC_jNS0_19identity_decomposerENS1_16block_id_wrapperIjLb0EEEEE10hipError_tT1_PNSt15iterator_traitsISH_E10value_typeET2_T3_PNSI_ISN_E10value_typeET4_T5_PSS_ST_PNS1_23onesweep_lookback_stateEbbT6_jjT7_P12ihipStream_tbENKUlT_T0_SH_SM_E_clISB_SB_SC_SC_EEDaS10_S11_SH_SM_EUlS10_E_NS1_11comp_targetILNS1_3genE8ELNS1_11target_archE1030ELNS1_3gpuE2ELNS1_3repE0EEENS1_47radix_sort_onesweep_sort_config_static_selectorELNS0_4arch9wavefront6targetE0EEEvSH_.num_named_barrier, 0
	.set _ZN7rocprim17ROCPRIM_400000_NS6detail17trampoline_kernelINS0_14default_configENS1_35radix_sort_onesweep_config_selectorIiNS0_10empty_typeEEEZZNS1_29radix_sort_onesweep_iterationIS3_Lb0EN6thrust23THRUST_200600_302600_NS10device_ptrIiEESB_PS5_SC_jNS0_19identity_decomposerENS1_16block_id_wrapperIjLb0EEEEE10hipError_tT1_PNSt15iterator_traitsISH_E10value_typeET2_T3_PNSI_ISN_E10value_typeET4_T5_PSS_ST_PNS1_23onesweep_lookback_stateEbbT6_jjT7_P12ihipStream_tbENKUlT_T0_SH_SM_E_clISB_SB_SC_SC_EEDaS10_S11_SH_SM_EUlS10_E_NS1_11comp_targetILNS1_3genE8ELNS1_11target_archE1030ELNS1_3gpuE2ELNS1_3repE0EEENS1_47radix_sort_onesweep_sort_config_static_selectorELNS0_4arch9wavefront6targetE0EEEvSH_.private_seg_size, 0
	.set _ZN7rocprim17ROCPRIM_400000_NS6detail17trampoline_kernelINS0_14default_configENS1_35radix_sort_onesweep_config_selectorIiNS0_10empty_typeEEEZZNS1_29radix_sort_onesweep_iterationIS3_Lb0EN6thrust23THRUST_200600_302600_NS10device_ptrIiEESB_PS5_SC_jNS0_19identity_decomposerENS1_16block_id_wrapperIjLb0EEEEE10hipError_tT1_PNSt15iterator_traitsISH_E10value_typeET2_T3_PNSI_ISN_E10value_typeET4_T5_PSS_ST_PNS1_23onesweep_lookback_stateEbbT6_jjT7_P12ihipStream_tbENKUlT_T0_SH_SM_E_clISB_SB_SC_SC_EEDaS10_S11_SH_SM_EUlS10_E_NS1_11comp_targetILNS1_3genE8ELNS1_11target_archE1030ELNS1_3gpuE2ELNS1_3repE0EEENS1_47radix_sort_onesweep_sort_config_static_selectorELNS0_4arch9wavefront6targetE0EEEvSH_.uses_vcc, 1
	.set _ZN7rocprim17ROCPRIM_400000_NS6detail17trampoline_kernelINS0_14default_configENS1_35radix_sort_onesweep_config_selectorIiNS0_10empty_typeEEEZZNS1_29radix_sort_onesweep_iterationIS3_Lb0EN6thrust23THRUST_200600_302600_NS10device_ptrIiEESB_PS5_SC_jNS0_19identity_decomposerENS1_16block_id_wrapperIjLb0EEEEE10hipError_tT1_PNSt15iterator_traitsISH_E10value_typeET2_T3_PNSI_ISN_E10value_typeET4_T5_PSS_ST_PNS1_23onesweep_lookback_stateEbbT6_jjT7_P12ihipStream_tbENKUlT_T0_SH_SM_E_clISB_SB_SC_SC_EEDaS10_S11_SH_SM_EUlS10_E_NS1_11comp_targetILNS1_3genE8ELNS1_11target_archE1030ELNS1_3gpuE2ELNS1_3repE0EEENS1_47radix_sort_onesweep_sort_config_static_selectorELNS0_4arch9wavefront6targetE0EEEvSH_.uses_flat_scratch, 0
	.set _ZN7rocprim17ROCPRIM_400000_NS6detail17trampoline_kernelINS0_14default_configENS1_35radix_sort_onesweep_config_selectorIiNS0_10empty_typeEEEZZNS1_29radix_sort_onesweep_iterationIS3_Lb0EN6thrust23THRUST_200600_302600_NS10device_ptrIiEESB_PS5_SC_jNS0_19identity_decomposerENS1_16block_id_wrapperIjLb0EEEEE10hipError_tT1_PNSt15iterator_traitsISH_E10value_typeET2_T3_PNSI_ISN_E10value_typeET4_T5_PSS_ST_PNS1_23onesweep_lookback_stateEbbT6_jjT7_P12ihipStream_tbENKUlT_T0_SH_SM_E_clISB_SB_SC_SC_EEDaS10_S11_SH_SM_EUlS10_E_NS1_11comp_targetILNS1_3genE8ELNS1_11target_archE1030ELNS1_3gpuE2ELNS1_3repE0EEENS1_47radix_sort_onesweep_sort_config_static_selectorELNS0_4arch9wavefront6targetE0EEEvSH_.has_dyn_sized_stack, 0
	.set _ZN7rocprim17ROCPRIM_400000_NS6detail17trampoline_kernelINS0_14default_configENS1_35radix_sort_onesweep_config_selectorIiNS0_10empty_typeEEEZZNS1_29radix_sort_onesweep_iterationIS3_Lb0EN6thrust23THRUST_200600_302600_NS10device_ptrIiEESB_PS5_SC_jNS0_19identity_decomposerENS1_16block_id_wrapperIjLb0EEEEE10hipError_tT1_PNSt15iterator_traitsISH_E10value_typeET2_T3_PNSI_ISN_E10value_typeET4_T5_PSS_ST_PNS1_23onesweep_lookback_stateEbbT6_jjT7_P12ihipStream_tbENKUlT_T0_SH_SM_E_clISB_SB_SC_SC_EEDaS10_S11_SH_SM_EUlS10_E_NS1_11comp_targetILNS1_3genE8ELNS1_11target_archE1030ELNS1_3gpuE2ELNS1_3repE0EEENS1_47radix_sort_onesweep_sort_config_static_selectorELNS0_4arch9wavefront6targetE0EEEvSH_.has_recursion, 0
	.set _ZN7rocprim17ROCPRIM_400000_NS6detail17trampoline_kernelINS0_14default_configENS1_35radix_sort_onesweep_config_selectorIiNS0_10empty_typeEEEZZNS1_29radix_sort_onesweep_iterationIS3_Lb0EN6thrust23THRUST_200600_302600_NS10device_ptrIiEESB_PS5_SC_jNS0_19identity_decomposerENS1_16block_id_wrapperIjLb0EEEEE10hipError_tT1_PNSt15iterator_traitsISH_E10value_typeET2_T3_PNSI_ISN_E10value_typeET4_T5_PSS_ST_PNS1_23onesweep_lookback_stateEbbT6_jjT7_P12ihipStream_tbENKUlT_T0_SH_SM_E_clISB_SB_SC_SC_EEDaS10_S11_SH_SM_EUlS10_E_NS1_11comp_targetILNS1_3genE8ELNS1_11target_archE1030ELNS1_3gpuE2ELNS1_3repE0EEENS1_47radix_sort_onesweep_sort_config_static_selectorELNS0_4arch9wavefront6targetE0EEEvSH_.has_indirect_call, 0
	.section	.AMDGPU.csdata,"",@progbits
; Kernel info:
; codeLenInByte = 6652
; TotalNumSgprs: 27
; NumVgprs: 34
; ScratchSize: 0
; MemoryBound: 0
; FloatMode: 240
; IeeeMode: 1
; LDSByteSize: 37000 bytes/workgroup (compile time only)
; SGPRBlocks: 0
; VGPRBlocks: 4
; NumSGPRsForWavesPerEU: 27
; NumVGPRsForWavesPerEU: 34
; Occupancy: 16
; WaveLimiterHint : 1
; COMPUTE_PGM_RSRC2:SCRATCH_EN: 0
; COMPUTE_PGM_RSRC2:USER_SGPR: 6
; COMPUTE_PGM_RSRC2:TRAP_HANDLER: 0
; COMPUTE_PGM_RSRC2:TGID_X_EN: 1
; COMPUTE_PGM_RSRC2:TGID_Y_EN: 0
; COMPUTE_PGM_RSRC2:TGID_Z_EN: 0
; COMPUTE_PGM_RSRC2:TIDIG_COMP_CNT: 2
	.section	.text._ZN7rocprim17ROCPRIM_400000_NS6detail17trampoline_kernelINS0_14default_configENS1_35radix_sort_onesweep_config_selectorIiNS0_10empty_typeEEEZZNS1_29radix_sort_onesweep_iterationIS3_Lb0EN6thrust23THRUST_200600_302600_NS10device_ptrIiEESB_PS5_SC_jNS0_19identity_decomposerENS1_16block_id_wrapperIjLb0EEEEE10hipError_tT1_PNSt15iterator_traitsISH_E10value_typeET2_T3_PNSI_ISN_E10value_typeET4_T5_PSS_ST_PNS1_23onesweep_lookback_stateEbbT6_jjT7_P12ihipStream_tbENKUlT_T0_SH_SM_E_clISB_PiSC_SC_EEDaS10_S11_SH_SM_EUlS10_E_NS1_11comp_targetILNS1_3genE0ELNS1_11target_archE4294967295ELNS1_3gpuE0ELNS1_3repE0EEENS1_47radix_sort_onesweep_sort_config_static_selectorELNS0_4arch9wavefront6targetE0EEEvSH_,"axG",@progbits,_ZN7rocprim17ROCPRIM_400000_NS6detail17trampoline_kernelINS0_14default_configENS1_35radix_sort_onesweep_config_selectorIiNS0_10empty_typeEEEZZNS1_29radix_sort_onesweep_iterationIS3_Lb0EN6thrust23THRUST_200600_302600_NS10device_ptrIiEESB_PS5_SC_jNS0_19identity_decomposerENS1_16block_id_wrapperIjLb0EEEEE10hipError_tT1_PNSt15iterator_traitsISH_E10value_typeET2_T3_PNSI_ISN_E10value_typeET4_T5_PSS_ST_PNS1_23onesweep_lookback_stateEbbT6_jjT7_P12ihipStream_tbENKUlT_T0_SH_SM_E_clISB_PiSC_SC_EEDaS10_S11_SH_SM_EUlS10_E_NS1_11comp_targetILNS1_3genE0ELNS1_11target_archE4294967295ELNS1_3gpuE0ELNS1_3repE0EEENS1_47radix_sort_onesweep_sort_config_static_selectorELNS0_4arch9wavefront6targetE0EEEvSH_,comdat
	.protected	_ZN7rocprim17ROCPRIM_400000_NS6detail17trampoline_kernelINS0_14default_configENS1_35radix_sort_onesweep_config_selectorIiNS0_10empty_typeEEEZZNS1_29radix_sort_onesweep_iterationIS3_Lb0EN6thrust23THRUST_200600_302600_NS10device_ptrIiEESB_PS5_SC_jNS0_19identity_decomposerENS1_16block_id_wrapperIjLb0EEEEE10hipError_tT1_PNSt15iterator_traitsISH_E10value_typeET2_T3_PNSI_ISN_E10value_typeET4_T5_PSS_ST_PNS1_23onesweep_lookback_stateEbbT6_jjT7_P12ihipStream_tbENKUlT_T0_SH_SM_E_clISB_PiSC_SC_EEDaS10_S11_SH_SM_EUlS10_E_NS1_11comp_targetILNS1_3genE0ELNS1_11target_archE4294967295ELNS1_3gpuE0ELNS1_3repE0EEENS1_47radix_sort_onesweep_sort_config_static_selectorELNS0_4arch9wavefront6targetE0EEEvSH_ ; -- Begin function _ZN7rocprim17ROCPRIM_400000_NS6detail17trampoline_kernelINS0_14default_configENS1_35radix_sort_onesweep_config_selectorIiNS0_10empty_typeEEEZZNS1_29radix_sort_onesweep_iterationIS3_Lb0EN6thrust23THRUST_200600_302600_NS10device_ptrIiEESB_PS5_SC_jNS0_19identity_decomposerENS1_16block_id_wrapperIjLb0EEEEE10hipError_tT1_PNSt15iterator_traitsISH_E10value_typeET2_T3_PNSI_ISN_E10value_typeET4_T5_PSS_ST_PNS1_23onesweep_lookback_stateEbbT6_jjT7_P12ihipStream_tbENKUlT_T0_SH_SM_E_clISB_PiSC_SC_EEDaS10_S11_SH_SM_EUlS10_E_NS1_11comp_targetILNS1_3genE0ELNS1_11target_archE4294967295ELNS1_3gpuE0ELNS1_3repE0EEENS1_47radix_sort_onesweep_sort_config_static_selectorELNS0_4arch9wavefront6targetE0EEEvSH_
	.globl	_ZN7rocprim17ROCPRIM_400000_NS6detail17trampoline_kernelINS0_14default_configENS1_35radix_sort_onesweep_config_selectorIiNS0_10empty_typeEEEZZNS1_29radix_sort_onesweep_iterationIS3_Lb0EN6thrust23THRUST_200600_302600_NS10device_ptrIiEESB_PS5_SC_jNS0_19identity_decomposerENS1_16block_id_wrapperIjLb0EEEEE10hipError_tT1_PNSt15iterator_traitsISH_E10value_typeET2_T3_PNSI_ISN_E10value_typeET4_T5_PSS_ST_PNS1_23onesweep_lookback_stateEbbT6_jjT7_P12ihipStream_tbENKUlT_T0_SH_SM_E_clISB_PiSC_SC_EEDaS10_S11_SH_SM_EUlS10_E_NS1_11comp_targetILNS1_3genE0ELNS1_11target_archE4294967295ELNS1_3gpuE0ELNS1_3repE0EEENS1_47radix_sort_onesweep_sort_config_static_selectorELNS0_4arch9wavefront6targetE0EEEvSH_
	.p2align	8
	.type	_ZN7rocprim17ROCPRIM_400000_NS6detail17trampoline_kernelINS0_14default_configENS1_35radix_sort_onesweep_config_selectorIiNS0_10empty_typeEEEZZNS1_29radix_sort_onesweep_iterationIS3_Lb0EN6thrust23THRUST_200600_302600_NS10device_ptrIiEESB_PS5_SC_jNS0_19identity_decomposerENS1_16block_id_wrapperIjLb0EEEEE10hipError_tT1_PNSt15iterator_traitsISH_E10value_typeET2_T3_PNSI_ISN_E10value_typeET4_T5_PSS_ST_PNS1_23onesweep_lookback_stateEbbT6_jjT7_P12ihipStream_tbENKUlT_T0_SH_SM_E_clISB_PiSC_SC_EEDaS10_S11_SH_SM_EUlS10_E_NS1_11comp_targetILNS1_3genE0ELNS1_11target_archE4294967295ELNS1_3gpuE0ELNS1_3repE0EEENS1_47radix_sort_onesweep_sort_config_static_selectorELNS0_4arch9wavefront6targetE0EEEvSH_,@function
_ZN7rocprim17ROCPRIM_400000_NS6detail17trampoline_kernelINS0_14default_configENS1_35radix_sort_onesweep_config_selectorIiNS0_10empty_typeEEEZZNS1_29radix_sort_onesweep_iterationIS3_Lb0EN6thrust23THRUST_200600_302600_NS10device_ptrIiEESB_PS5_SC_jNS0_19identity_decomposerENS1_16block_id_wrapperIjLb0EEEEE10hipError_tT1_PNSt15iterator_traitsISH_E10value_typeET2_T3_PNSI_ISN_E10value_typeET4_T5_PSS_ST_PNS1_23onesweep_lookback_stateEbbT6_jjT7_P12ihipStream_tbENKUlT_T0_SH_SM_E_clISB_PiSC_SC_EEDaS10_S11_SH_SM_EUlS10_E_NS1_11comp_targetILNS1_3genE0ELNS1_11target_archE4294967295ELNS1_3gpuE0ELNS1_3repE0EEENS1_47radix_sort_onesweep_sort_config_static_selectorELNS0_4arch9wavefront6targetE0EEEvSH_: ; @_ZN7rocprim17ROCPRIM_400000_NS6detail17trampoline_kernelINS0_14default_configENS1_35radix_sort_onesweep_config_selectorIiNS0_10empty_typeEEEZZNS1_29radix_sort_onesweep_iterationIS3_Lb0EN6thrust23THRUST_200600_302600_NS10device_ptrIiEESB_PS5_SC_jNS0_19identity_decomposerENS1_16block_id_wrapperIjLb0EEEEE10hipError_tT1_PNSt15iterator_traitsISH_E10value_typeET2_T3_PNSI_ISN_E10value_typeET4_T5_PSS_ST_PNS1_23onesweep_lookback_stateEbbT6_jjT7_P12ihipStream_tbENKUlT_T0_SH_SM_E_clISB_PiSC_SC_EEDaS10_S11_SH_SM_EUlS10_E_NS1_11comp_targetILNS1_3genE0ELNS1_11target_archE4294967295ELNS1_3gpuE0ELNS1_3repE0EEENS1_47radix_sort_onesweep_sort_config_static_selectorELNS0_4arch9wavefront6targetE0EEEvSH_
; %bb.0:
	.section	.rodata,"a",@progbits
	.p2align	6, 0x0
	.amdhsa_kernel _ZN7rocprim17ROCPRIM_400000_NS6detail17trampoline_kernelINS0_14default_configENS1_35radix_sort_onesweep_config_selectorIiNS0_10empty_typeEEEZZNS1_29radix_sort_onesweep_iterationIS3_Lb0EN6thrust23THRUST_200600_302600_NS10device_ptrIiEESB_PS5_SC_jNS0_19identity_decomposerENS1_16block_id_wrapperIjLb0EEEEE10hipError_tT1_PNSt15iterator_traitsISH_E10value_typeET2_T3_PNSI_ISN_E10value_typeET4_T5_PSS_ST_PNS1_23onesweep_lookback_stateEbbT6_jjT7_P12ihipStream_tbENKUlT_T0_SH_SM_E_clISB_PiSC_SC_EEDaS10_S11_SH_SM_EUlS10_E_NS1_11comp_targetILNS1_3genE0ELNS1_11target_archE4294967295ELNS1_3gpuE0ELNS1_3repE0EEENS1_47radix_sort_onesweep_sort_config_static_selectorELNS0_4arch9wavefront6targetE0EEEvSH_
		.amdhsa_group_segment_fixed_size 0
		.amdhsa_private_segment_fixed_size 0
		.amdhsa_kernarg_size 88
		.amdhsa_user_sgpr_count 6
		.amdhsa_user_sgpr_private_segment_buffer 1
		.amdhsa_user_sgpr_dispatch_ptr 0
		.amdhsa_user_sgpr_queue_ptr 0
		.amdhsa_user_sgpr_kernarg_segment_ptr 1
		.amdhsa_user_sgpr_dispatch_id 0
		.amdhsa_user_sgpr_flat_scratch_init 0
		.amdhsa_user_sgpr_private_segment_size 0
		.amdhsa_wavefront_size32 1
		.amdhsa_uses_dynamic_stack 0
		.amdhsa_system_sgpr_private_segment_wavefront_offset 0
		.amdhsa_system_sgpr_workgroup_id_x 1
		.amdhsa_system_sgpr_workgroup_id_y 0
		.amdhsa_system_sgpr_workgroup_id_z 0
		.amdhsa_system_sgpr_workgroup_info 0
		.amdhsa_system_vgpr_workitem_id 0
		.amdhsa_next_free_vgpr 1
		.amdhsa_next_free_sgpr 1
		.amdhsa_reserve_vcc 0
		.amdhsa_reserve_flat_scratch 0
		.amdhsa_float_round_mode_32 0
		.amdhsa_float_round_mode_16_64 0
		.amdhsa_float_denorm_mode_32 3
		.amdhsa_float_denorm_mode_16_64 3
		.amdhsa_dx10_clamp 1
		.amdhsa_ieee_mode 1
		.amdhsa_fp16_overflow 0
		.amdhsa_workgroup_processor_mode 1
		.amdhsa_memory_ordered 1
		.amdhsa_forward_progress 1
		.amdhsa_shared_vgpr_count 0
		.amdhsa_exception_fp_ieee_invalid_op 0
		.amdhsa_exception_fp_denorm_src 0
		.amdhsa_exception_fp_ieee_div_zero 0
		.amdhsa_exception_fp_ieee_overflow 0
		.amdhsa_exception_fp_ieee_underflow 0
		.amdhsa_exception_fp_ieee_inexact 0
		.amdhsa_exception_int_div_zero 0
	.end_amdhsa_kernel
	.section	.text._ZN7rocprim17ROCPRIM_400000_NS6detail17trampoline_kernelINS0_14default_configENS1_35radix_sort_onesweep_config_selectorIiNS0_10empty_typeEEEZZNS1_29radix_sort_onesweep_iterationIS3_Lb0EN6thrust23THRUST_200600_302600_NS10device_ptrIiEESB_PS5_SC_jNS0_19identity_decomposerENS1_16block_id_wrapperIjLb0EEEEE10hipError_tT1_PNSt15iterator_traitsISH_E10value_typeET2_T3_PNSI_ISN_E10value_typeET4_T5_PSS_ST_PNS1_23onesweep_lookback_stateEbbT6_jjT7_P12ihipStream_tbENKUlT_T0_SH_SM_E_clISB_PiSC_SC_EEDaS10_S11_SH_SM_EUlS10_E_NS1_11comp_targetILNS1_3genE0ELNS1_11target_archE4294967295ELNS1_3gpuE0ELNS1_3repE0EEENS1_47radix_sort_onesweep_sort_config_static_selectorELNS0_4arch9wavefront6targetE0EEEvSH_,"axG",@progbits,_ZN7rocprim17ROCPRIM_400000_NS6detail17trampoline_kernelINS0_14default_configENS1_35radix_sort_onesweep_config_selectorIiNS0_10empty_typeEEEZZNS1_29radix_sort_onesweep_iterationIS3_Lb0EN6thrust23THRUST_200600_302600_NS10device_ptrIiEESB_PS5_SC_jNS0_19identity_decomposerENS1_16block_id_wrapperIjLb0EEEEE10hipError_tT1_PNSt15iterator_traitsISH_E10value_typeET2_T3_PNSI_ISN_E10value_typeET4_T5_PSS_ST_PNS1_23onesweep_lookback_stateEbbT6_jjT7_P12ihipStream_tbENKUlT_T0_SH_SM_E_clISB_PiSC_SC_EEDaS10_S11_SH_SM_EUlS10_E_NS1_11comp_targetILNS1_3genE0ELNS1_11target_archE4294967295ELNS1_3gpuE0ELNS1_3repE0EEENS1_47radix_sort_onesweep_sort_config_static_selectorELNS0_4arch9wavefront6targetE0EEEvSH_,comdat
.Lfunc_end1280:
	.size	_ZN7rocprim17ROCPRIM_400000_NS6detail17trampoline_kernelINS0_14default_configENS1_35radix_sort_onesweep_config_selectorIiNS0_10empty_typeEEEZZNS1_29radix_sort_onesweep_iterationIS3_Lb0EN6thrust23THRUST_200600_302600_NS10device_ptrIiEESB_PS5_SC_jNS0_19identity_decomposerENS1_16block_id_wrapperIjLb0EEEEE10hipError_tT1_PNSt15iterator_traitsISH_E10value_typeET2_T3_PNSI_ISN_E10value_typeET4_T5_PSS_ST_PNS1_23onesweep_lookback_stateEbbT6_jjT7_P12ihipStream_tbENKUlT_T0_SH_SM_E_clISB_PiSC_SC_EEDaS10_S11_SH_SM_EUlS10_E_NS1_11comp_targetILNS1_3genE0ELNS1_11target_archE4294967295ELNS1_3gpuE0ELNS1_3repE0EEENS1_47radix_sort_onesweep_sort_config_static_selectorELNS0_4arch9wavefront6targetE0EEEvSH_, .Lfunc_end1280-_ZN7rocprim17ROCPRIM_400000_NS6detail17trampoline_kernelINS0_14default_configENS1_35radix_sort_onesweep_config_selectorIiNS0_10empty_typeEEEZZNS1_29radix_sort_onesweep_iterationIS3_Lb0EN6thrust23THRUST_200600_302600_NS10device_ptrIiEESB_PS5_SC_jNS0_19identity_decomposerENS1_16block_id_wrapperIjLb0EEEEE10hipError_tT1_PNSt15iterator_traitsISH_E10value_typeET2_T3_PNSI_ISN_E10value_typeET4_T5_PSS_ST_PNS1_23onesweep_lookback_stateEbbT6_jjT7_P12ihipStream_tbENKUlT_T0_SH_SM_E_clISB_PiSC_SC_EEDaS10_S11_SH_SM_EUlS10_E_NS1_11comp_targetILNS1_3genE0ELNS1_11target_archE4294967295ELNS1_3gpuE0ELNS1_3repE0EEENS1_47radix_sort_onesweep_sort_config_static_selectorELNS0_4arch9wavefront6targetE0EEEvSH_
                                        ; -- End function
	.set _ZN7rocprim17ROCPRIM_400000_NS6detail17trampoline_kernelINS0_14default_configENS1_35radix_sort_onesweep_config_selectorIiNS0_10empty_typeEEEZZNS1_29radix_sort_onesweep_iterationIS3_Lb0EN6thrust23THRUST_200600_302600_NS10device_ptrIiEESB_PS5_SC_jNS0_19identity_decomposerENS1_16block_id_wrapperIjLb0EEEEE10hipError_tT1_PNSt15iterator_traitsISH_E10value_typeET2_T3_PNSI_ISN_E10value_typeET4_T5_PSS_ST_PNS1_23onesweep_lookback_stateEbbT6_jjT7_P12ihipStream_tbENKUlT_T0_SH_SM_E_clISB_PiSC_SC_EEDaS10_S11_SH_SM_EUlS10_E_NS1_11comp_targetILNS1_3genE0ELNS1_11target_archE4294967295ELNS1_3gpuE0ELNS1_3repE0EEENS1_47radix_sort_onesweep_sort_config_static_selectorELNS0_4arch9wavefront6targetE0EEEvSH_.num_vgpr, 0
	.set _ZN7rocprim17ROCPRIM_400000_NS6detail17trampoline_kernelINS0_14default_configENS1_35radix_sort_onesweep_config_selectorIiNS0_10empty_typeEEEZZNS1_29radix_sort_onesweep_iterationIS3_Lb0EN6thrust23THRUST_200600_302600_NS10device_ptrIiEESB_PS5_SC_jNS0_19identity_decomposerENS1_16block_id_wrapperIjLb0EEEEE10hipError_tT1_PNSt15iterator_traitsISH_E10value_typeET2_T3_PNSI_ISN_E10value_typeET4_T5_PSS_ST_PNS1_23onesweep_lookback_stateEbbT6_jjT7_P12ihipStream_tbENKUlT_T0_SH_SM_E_clISB_PiSC_SC_EEDaS10_S11_SH_SM_EUlS10_E_NS1_11comp_targetILNS1_3genE0ELNS1_11target_archE4294967295ELNS1_3gpuE0ELNS1_3repE0EEENS1_47radix_sort_onesweep_sort_config_static_selectorELNS0_4arch9wavefront6targetE0EEEvSH_.num_agpr, 0
	.set _ZN7rocprim17ROCPRIM_400000_NS6detail17trampoline_kernelINS0_14default_configENS1_35radix_sort_onesweep_config_selectorIiNS0_10empty_typeEEEZZNS1_29radix_sort_onesweep_iterationIS3_Lb0EN6thrust23THRUST_200600_302600_NS10device_ptrIiEESB_PS5_SC_jNS0_19identity_decomposerENS1_16block_id_wrapperIjLb0EEEEE10hipError_tT1_PNSt15iterator_traitsISH_E10value_typeET2_T3_PNSI_ISN_E10value_typeET4_T5_PSS_ST_PNS1_23onesweep_lookback_stateEbbT6_jjT7_P12ihipStream_tbENKUlT_T0_SH_SM_E_clISB_PiSC_SC_EEDaS10_S11_SH_SM_EUlS10_E_NS1_11comp_targetILNS1_3genE0ELNS1_11target_archE4294967295ELNS1_3gpuE0ELNS1_3repE0EEENS1_47radix_sort_onesweep_sort_config_static_selectorELNS0_4arch9wavefront6targetE0EEEvSH_.numbered_sgpr, 0
	.set _ZN7rocprim17ROCPRIM_400000_NS6detail17trampoline_kernelINS0_14default_configENS1_35radix_sort_onesweep_config_selectorIiNS0_10empty_typeEEEZZNS1_29radix_sort_onesweep_iterationIS3_Lb0EN6thrust23THRUST_200600_302600_NS10device_ptrIiEESB_PS5_SC_jNS0_19identity_decomposerENS1_16block_id_wrapperIjLb0EEEEE10hipError_tT1_PNSt15iterator_traitsISH_E10value_typeET2_T3_PNSI_ISN_E10value_typeET4_T5_PSS_ST_PNS1_23onesweep_lookback_stateEbbT6_jjT7_P12ihipStream_tbENKUlT_T0_SH_SM_E_clISB_PiSC_SC_EEDaS10_S11_SH_SM_EUlS10_E_NS1_11comp_targetILNS1_3genE0ELNS1_11target_archE4294967295ELNS1_3gpuE0ELNS1_3repE0EEENS1_47radix_sort_onesweep_sort_config_static_selectorELNS0_4arch9wavefront6targetE0EEEvSH_.num_named_barrier, 0
	.set _ZN7rocprim17ROCPRIM_400000_NS6detail17trampoline_kernelINS0_14default_configENS1_35radix_sort_onesweep_config_selectorIiNS0_10empty_typeEEEZZNS1_29radix_sort_onesweep_iterationIS3_Lb0EN6thrust23THRUST_200600_302600_NS10device_ptrIiEESB_PS5_SC_jNS0_19identity_decomposerENS1_16block_id_wrapperIjLb0EEEEE10hipError_tT1_PNSt15iterator_traitsISH_E10value_typeET2_T3_PNSI_ISN_E10value_typeET4_T5_PSS_ST_PNS1_23onesweep_lookback_stateEbbT6_jjT7_P12ihipStream_tbENKUlT_T0_SH_SM_E_clISB_PiSC_SC_EEDaS10_S11_SH_SM_EUlS10_E_NS1_11comp_targetILNS1_3genE0ELNS1_11target_archE4294967295ELNS1_3gpuE0ELNS1_3repE0EEENS1_47radix_sort_onesweep_sort_config_static_selectorELNS0_4arch9wavefront6targetE0EEEvSH_.private_seg_size, 0
	.set _ZN7rocprim17ROCPRIM_400000_NS6detail17trampoline_kernelINS0_14default_configENS1_35radix_sort_onesweep_config_selectorIiNS0_10empty_typeEEEZZNS1_29radix_sort_onesweep_iterationIS3_Lb0EN6thrust23THRUST_200600_302600_NS10device_ptrIiEESB_PS5_SC_jNS0_19identity_decomposerENS1_16block_id_wrapperIjLb0EEEEE10hipError_tT1_PNSt15iterator_traitsISH_E10value_typeET2_T3_PNSI_ISN_E10value_typeET4_T5_PSS_ST_PNS1_23onesweep_lookback_stateEbbT6_jjT7_P12ihipStream_tbENKUlT_T0_SH_SM_E_clISB_PiSC_SC_EEDaS10_S11_SH_SM_EUlS10_E_NS1_11comp_targetILNS1_3genE0ELNS1_11target_archE4294967295ELNS1_3gpuE0ELNS1_3repE0EEENS1_47radix_sort_onesweep_sort_config_static_selectorELNS0_4arch9wavefront6targetE0EEEvSH_.uses_vcc, 0
	.set _ZN7rocprim17ROCPRIM_400000_NS6detail17trampoline_kernelINS0_14default_configENS1_35radix_sort_onesweep_config_selectorIiNS0_10empty_typeEEEZZNS1_29radix_sort_onesweep_iterationIS3_Lb0EN6thrust23THRUST_200600_302600_NS10device_ptrIiEESB_PS5_SC_jNS0_19identity_decomposerENS1_16block_id_wrapperIjLb0EEEEE10hipError_tT1_PNSt15iterator_traitsISH_E10value_typeET2_T3_PNSI_ISN_E10value_typeET4_T5_PSS_ST_PNS1_23onesweep_lookback_stateEbbT6_jjT7_P12ihipStream_tbENKUlT_T0_SH_SM_E_clISB_PiSC_SC_EEDaS10_S11_SH_SM_EUlS10_E_NS1_11comp_targetILNS1_3genE0ELNS1_11target_archE4294967295ELNS1_3gpuE0ELNS1_3repE0EEENS1_47radix_sort_onesweep_sort_config_static_selectorELNS0_4arch9wavefront6targetE0EEEvSH_.uses_flat_scratch, 0
	.set _ZN7rocprim17ROCPRIM_400000_NS6detail17trampoline_kernelINS0_14default_configENS1_35radix_sort_onesweep_config_selectorIiNS0_10empty_typeEEEZZNS1_29radix_sort_onesweep_iterationIS3_Lb0EN6thrust23THRUST_200600_302600_NS10device_ptrIiEESB_PS5_SC_jNS0_19identity_decomposerENS1_16block_id_wrapperIjLb0EEEEE10hipError_tT1_PNSt15iterator_traitsISH_E10value_typeET2_T3_PNSI_ISN_E10value_typeET4_T5_PSS_ST_PNS1_23onesweep_lookback_stateEbbT6_jjT7_P12ihipStream_tbENKUlT_T0_SH_SM_E_clISB_PiSC_SC_EEDaS10_S11_SH_SM_EUlS10_E_NS1_11comp_targetILNS1_3genE0ELNS1_11target_archE4294967295ELNS1_3gpuE0ELNS1_3repE0EEENS1_47radix_sort_onesweep_sort_config_static_selectorELNS0_4arch9wavefront6targetE0EEEvSH_.has_dyn_sized_stack, 0
	.set _ZN7rocprim17ROCPRIM_400000_NS6detail17trampoline_kernelINS0_14default_configENS1_35radix_sort_onesweep_config_selectorIiNS0_10empty_typeEEEZZNS1_29radix_sort_onesweep_iterationIS3_Lb0EN6thrust23THRUST_200600_302600_NS10device_ptrIiEESB_PS5_SC_jNS0_19identity_decomposerENS1_16block_id_wrapperIjLb0EEEEE10hipError_tT1_PNSt15iterator_traitsISH_E10value_typeET2_T3_PNSI_ISN_E10value_typeET4_T5_PSS_ST_PNS1_23onesweep_lookback_stateEbbT6_jjT7_P12ihipStream_tbENKUlT_T0_SH_SM_E_clISB_PiSC_SC_EEDaS10_S11_SH_SM_EUlS10_E_NS1_11comp_targetILNS1_3genE0ELNS1_11target_archE4294967295ELNS1_3gpuE0ELNS1_3repE0EEENS1_47radix_sort_onesweep_sort_config_static_selectorELNS0_4arch9wavefront6targetE0EEEvSH_.has_recursion, 0
	.set _ZN7rocprim17ROCPRIM_400000_NS6detail17trampoline_kernelINS0_14default_configENS1_35radix_sort_onesweep_config_selectorIiNS0_10empty_typeEEEZZNS1_29radix_sort_onesweep_iterationIS3_Lb0EN6thrust23THRUST_200600_302600_NS10device_ptrIiEESB_PS5_SC_jNS0_19identity_decomposerENS1_16block_id_wrapperIjLb0EEEEE10hipError_tT1_PNSt15iterator_traitsISH_E10value_typeET2_T3_PNSI_ISN_E10value_typeET4_T5_PSS_ST_PNS1_23onesweep_lookback_stateEbbT6_jjT7_P12ihipStream_tbENKUlT_T0_SH_SM_E_clISB_PiSC_SC_EEDaS10_S11_SH_SM_EUlS10_E_NS1_11comp_targetILNS1_3genE0ELNS1_11target_archE4294967295ELNS1_3gpuE0ELNS1_3repE0EEENS1_47radix_sort_onesweep_sort_config_static_selectorELNS0_4arch9wavefront6targetE0EEEvSH_.has_indirect_call, 0
	.section	.AMDGPU.csdata,"",@progbits
; Kernel info:
; codeLenInByte = 0
; TotalNumSgprs: 0
; NumVgprs: 0
; ScratchSize: 0
; MemoryBound: 0
; FloatMode: 240
; IeeeMode: 1
; LDSByteSize: 0 bytes/workgroup (compile time only)
; SGPRBlocks: 0
; VGPRBlocks: 0
; NumSGPRsForWavesPerEU: 1
; NumVGPRsForWavesPerEU: 1
; Occupancy: 16
; WaveLimiterHint : 0
; COMPUTE_PGM_RSRC2:SCRATCH_EN: 0
; COMPUTE_PGM_RSRC2:USER_SGPR: 6
; COMPUTE_PGM_RSRC2:TRAP_HANDLER: 0
; COMPUTE_PGM_RSRC2:TGID_X_EN: 1
; COMPUTE_PGM_RSRC2:TGID_Y_EN: 0
; COMPUTE_PGM_RSRC2:TGID_Z_EN: 0
; COMPUTE_PGM_RSRC2:TIDIG_COMP_CNT: 0
	.section	.text._ZN7rocprim17ROCPRIM_400000_NS6detail17trampoline_kernelINS0_14default_configENS1_35radix_sort_onesweep_config_selectorIiNS0_10empty_typeEEEZZNS1_29radix_sort_onesweep_iterationIS3_Lb0EN6thrust23THRUST_200600_302600_NS10device_ptrIiEESB_PS5_SC_jNS0_19identity_decomposerENS1_16block_id_wrapperIjLb0EEEEE10hipError_tT1_PNSt15iterator_traitsISH_E10value_typeET2_T3_PNSI_ISN_E10value_typeET4_T5_PSS_ST_PNS1_23onesweep_lookback_stateEbbT6_jjT7_P12ihipStream_tbENKUlT_T0_SH_SM_E_clISB_PiSC_SC_EEDaS10_S11_SH_SM_EUlS10_E_NS1_11comp_targetILNS1_3genE6ELNS1_11target_archE950ELNS1_3gpuE13ELNS1_3repE0EEENS1_47radix_sort_onesweep_sort_config_static_selectorELNS0_4arch9wavefront6targetE0EEEvSH_,"axG",@progbits,_ZN7rocprim17ROCPRIM_400000_NS6detail17trampoline_kernelINS0_14default_configENS1_35radix_sort_onesweep_config_selectorIiNS0_10empty_typeEEEZZNS1_29radix_sort_onesweep_iterationIS3_Lb0EN6thrust23THRUST_200600_302600_NS10device_ptrIiEESB_PS5_SC_jNS0_19identity_decomposerENS1_16block_id_wrapperIjLb0EEEEE10hipError_tT1_PNSt15iterator_traitsISH_E10value_typeET2_T3_PNSI_ISN_E10value_typeET4_T5_PSS_ST_PNS1_23onesweep_lookback_stateEbbT6_jjT7_P12ihipStream_tbENKUlT_T0_SH_SM_E_clISB_PiSC_SC_EEDaS10_S11_SH_SM_EUlS10_E_NS1_11comp_targetILNS1_3genE6ELNS1_11target_archE950ELNS1_3gpuE13ELNS1_3repE0EEENS1_47radix_sort_onesweep_sort_config_static_selectorELNS0_4arch9wavefront6targetE0EEEvSH_,comdat
	.protected	_ZN7rocprim17ROCPRIM_400000_NS6detail17trampoline_kernelINS0_14default_configENS1_35radix_sort_onesweep_config_selectorIiNS0_10empty_typeEEEZZNS1_29radix_sort_onesweep_iterationIS3_Lb0EN6thrust23THRUST_200600_302600_NS10device_ptrIiEESB_PS5_SC_jNS0_19identity_decomposerENS1_16block_id_wrapperIjLb0EEEEE10hipError_tT1_PNSt15iterator_traitsISH_E10value_typeET2_T3_PNSI_ISN_E10value_typeET4_T5_PSS_ST_PNS1_23onesweep_lookback_stateEbbT6_jjT7_P12ihipStream_tbENKUlT_T0_SH_SM_E_clISB_PiSC_SC_EEDaS10_S11_SH_SM_EUlS10_E_NS1_11comp_targetILNS1_3genE6ELNS1_11target_archE950ELNS1_3gpuE13ELNS1_3repE0EEENS1_47radix_sort_onesweep_sort_config_static_selectorELNS0_4arch9wavefront6targetE0EEEvSH_ ; -- Begin function _ZN7rocprim17ROCPRIM_400000_NS6detail17trampoline_kernelINS0_14default_configENS1_35radix_sort_onesweep_config_selectorIiNS0_10empty_typeEEEZZNS1_29radix_sort_onesweep_iterationIS3_Lb0EN6thrust23THRUST_200600_302600_NS10device_ptrIiEESB_PS5_SC_jNS0_19identity_decomposerENS1_16block_id_wrapperIjLb0EEEEE10hipError_tT1_PNSt15iterator_traitsISH_E10value_typeET2_T3_PNSI_ISN_E10value_typeET4_T5_PSS_ST_PNS1_23onesweep_lookback_stateEbbT6_jjT7_P12ihipStream_tbENKUlT_T0_SH_SM_E_clISB_PiSC_SC_EEDaS10_S11_SH_SM_EUlS10_E_NS1_11comp_targetILNS1_3genE6ELNS1_11target_archE950ELNS1_3gpuE13ELNS1_3repE0EEENS1_47radix_sort_onesweep_sort_config_static_selectorELNS0_4arch9wavefront6targetE0EEEvSH_
	.globl	_ZN7rocprim17ROCPRIM_400000_NS6detail17trampoline_kernelINS0_14default_configENS1_35radix_sort_onesweep_config_selectorIiNS0_10empty_typeEEEZZNS1_29radix_sort_onesweep_iterationIS3_Lb0EN6thrust23THRUST_200600_302600_NS10device_ptrIiEESB_PS5_SC_jNS0_19identity_decomposerENS1_16block_id_wrapperIjLb0EEEEE10hipError_tT1_PNSt15iterator_traitsISH_E10value_typeET2_T3_PNSI_ISN_E10value_typeET4_T5_PSS_ST_PNS1_23onesweep_lookback_stateEbbT6_jjT7_P12ihipStream_tbENKUlT_T0_SH_SM_E_clISB_PiSC_SC_EEDaS10_S11_SH_SM_EUlS10_E_NS1_11comp_targetILNS1_3genE6ELNS1_11target_archE950ELNS1_3gpuE13ELNS1_3repE0EEENS1_47radix_sort_onesweep_sort_config_static_selectorELNS0_4arch9wavefront6targetE0EEEvSH_
	.p2align	8
	.type	_ZN7rocprim17ROCPRIM_400000_NS6detail17trampoline_kernelINS0_14default_configENS1_35radix_sort_onesweep_config_selectorIiNS0_10empty_typeEEEZZNS1_29radix_sort_onesweep_iterationIS3_Lb0EN6thrust23THRUST_200600_302600_NS10device_ptrIiEESB_PS5_SC_jNS0_19identity_decomposerENS1_16block_id_wrapperIjLb0EEEEE10hipError_tT1_PNSt15iterator_traitsISH_E10value_typeET2_T3_PNSI_ISN_E10value_typeET4_T5_PSS_ST_PNS1_23onesweep_lookback_stateEbbT6_jjT7_P12ihipStream_tbENKUlT_T0_SH_SM_E_clISB_PiSC_SC_EEDaS10_S11_SH_SM_EUlS10_E_NS1_11comp_targetILNS1_3genE6ELNS1_11target_archE950ELNS1_3gpuE13ELNS1_3repE0EEENS1_47radix_sort_onesweep_sort_config_static_selectorELNS0_4arch9wavefront6targetE0EEEvSH_,@function
_ZN7rocprim17ROCPRIM_400000_NS6detail17trampoline_kernelINS0_14default_configENS1_35radix_sort_onesweep_config_selectorIiNS0_10empty_typeEEEZZNS1_29radix_sort_onesweep_iterationIS3_Lb0EN6thrust23THRUST_200600_302600_NS10device_ptrIiEESB_PS5_SC_jNS0_19identity_decomposerENS1_16block_id_wrapperIjLb0EEEEE10hipError_tT1_PNSt15iterator_traitsISH_E10value_typeET2_T3_PNSI_ISN_E10value_typeET4_T5_PSS_ST_PNS1_23onesweep_lookback_stateEbbT6_jjT7_P12ihipStream_tbENKUlT_T0_SH_SM_E_clISB_PiSC_SC_EEDaS10_S11_SH_SM_EUlS10_E_NS1_11comp_targetILNS1_3genE6ELNS1_11target_archE950ELNS1_3gpuE13ELNS1_3repE0EEENS1_47radix_sort_onesweep_sort_config_static_selectorELNS0_4arch9wavefront6targetE0EEEvSH_: ; @_ZN7rocprim17ROCPRIM_400000_NS6detail17trampoline_kernelINS0_14default_configENS1_35radix_sort_onesweep_config_selectorIiNS0_10empty_typeEEEZZNS1_29radix_sort_onesweep_iterationIS3_Lb0EN6thrust23THRUST_200600_302600_NS10device_ptrIiEESB_PS5_SC_jNS0_19identity_decomposerENS1_16block_id_wrapperIjLb0EEEEE10hipError_tT1_PNSt15iterator_traitsISH_E10value_typeET2_T3_PNSI_ISN_E10value_typeET4_T5_PSS_ST_PNS1_23onesweep_lookback_stateEbbT6_jjT7_P12ihipStream_tbENKUlT_T0_SH_SM_E_clISB_PiSC_SC_EEDaS10_S11_SH_SM_EUlS10_E_NS1_11comp_targetILNS1_3genE6ELNS1_11target_archE950ELNS1_3gpuE13ELNS1_3repE0EEENS1_47radix_sort_onesweep_sort_config_static_selectorELNS0_4arch9wavefront6targetE0EEEvSH_
; %bb.0:
	.section	.rodata,"a",@progbits
	.p2align	6, 0x0
	.amdhsa_kernel _ZN7rocprim17ROCPRIM_400000_NS6detail17trampoline_kernelINS0_14default_configENS1_35radix_sort_onesweep_config_selectorIiNS0_10empty_typeEEEZZNS1_29radix_sort_onesweep_iterationIS3_Lb0EN6thrust23THRUST_200600_302600_NS10device_ptrIiEESB_PS5_SC_jNS0_19identity_decomposerENS1_16block_id_wrapperIjLb0EEEEE10hipError_tT1_PNSt15iterator_traitsISH_E10value_typeET2_T3_PNSI_ISN_E10value_typeET4_T5_PSS_ST_PNS1_23onesweep_lookback_stateEbbT6_jjT7_P12ihipStream_tbENKUlT_T0_SH_SM_E_clISB_PiSC_SC_EEDaS10_S11_SH_SM_EUlS10_E_NS1_11comp_targetILNS1_3genE6ELNS1_11target_archE950ELNS1_3gpuE13ELNS1_3repE0EEENS1_47radix_sort_onesweep_sort_config_static_selectorELNS0_4arch9wavefront6targetE0EEEvSH_
		.amdhsa_group_segment_fixed_size 0
		.amdhsa_private_segment_fixed_size 0
		.amdhsa_kernarg_size 88
		.amdhsa_user_sgpr_count 6
		.amdhsa_user_sgpr_private_segment_buffer 1
		.amdhsa_user_sgpr_dispatch_ptr 0
		.amdhsa_user_sgpr_queue_ptr 0
		.amdhsa_user_sgpr_kernarg_segment_ptr 1
		.amdhsa_user_sgpr_dispatch_id 0
		.amdhsa_user_sgpr_flat_scratch_init 0
		.amdhsa_user_sgpr_private_segment_size 0
		.amdhsa_wavefront_size32 1
		.amdhsa_uses_dynamic_stack 0
		.amdhsa_system_sgpr_private_segment_wavefront_offset 0
		.amdhsa_system_sgpr_workgroup_id_x 1
		.amdhsa_system_sgpr_workgroup_id_y 0
		.amdhsa_system_sgpr_workgroup_id_z 0
		.amdhsa_system_sgpr_workgroup_info 0
		.amdhsa_system_vgpr_workitem_id 0
		.amdhsa_next_free_vgpr 1
		.amdhsa_next_free_sgpr 1
		.amdhsa_reserve_vcc 0
		.amdhsa_reserve_flat_scratch 0
		.amdhsa_float_round_mode_32 0
		.amdhsa_float_round_mode_16_64 0
		.amdhsa_float_denorm_mode_32 3
		.amdhsa_float_denorm_mode_16_64 3
		.amdhsa_dx10_clamp 1
		.amdhsa_ieee_mode 1
		.amdhsa_fp16_overflow 0
		.amdhsa_workgroup_processor_mode 1
		.amdhsa_memory_ordered 1
		.amdhsa_forward_progress 1
		.amdhsa_shared_vgpr_count 0
		.amdhsa_exception_fp_ieee_invalid_op 0
		.amdhsa_exception_fp_denorm_src 0
		.amdhsa_exception_fp_ieee_div_zero 0
		.amdhsa_exception_fp_ieee_overflow 0
		.amdhsa_exception_fp_ieee_underflow 0
		.amdhsa_exception_fp_ieee_inexact 0
		.amdhsa_exception_int_div_zero 0
	.end_amdhsa_kernel
	.section	.text._ZN7rocprim17ROCPRIM_400000_NS6detail17trampoline_kernelINS0_14default_configENS1_35radix_sort_onesweep_config_selectorIiNS0_10empty_typeEEEZZNS1_29radix_sort_onesweep_iterationIS3_Lb0EN6thrust23THRUST_200600_302600_NS10device_ptrIiEESB_PS5_SC_jNS0_19identity_decomposerENS1_16block_id_wrapperIjLb0EEEEE10hipError_tT1_PNSt15iterator_traitsISH_E10value_typeET2_T3_PNSI_ISN_E10value_typeET4_T5_PSS_ST_PNS1_23onesweep_lookback_stateEbbT6_jjT7_P12ihipStream_tbENKUlT_T0_SH_SM_E_clISB_PiSC_SC_EEDaS10_S11_SH_SM_EUlS10_E_NS1_11comp_targetILNS1_3genE6ELNS1_11target_archE950ELNS1_3gpuE13ELNS1_3repE0EEENS1_47radix_sort_onesweep_sort_config_static_selectorELNS0_4arch9wavefront6targetE0EEEvSH_,"axG",@progbits,_ZN7rocprim17ROCPRIM_400000_NS6detail17trampoline_kernelINS0_14default_configENS1_35radix_sort_onesweep_config_selectorIiNS0_10empty_typeEEEZZNS1_29radix_sort_onesweep_iterationIS3_Lb0EN6thrust23THRUST_200600_302600_NS10device_ptrIiEESB_PS5_SC_jNS0_19identity_decomposerENS1_16block_id_wrapperIjLb0EEEEE10hipError_tT1_PNSt15iterator_traitsISH_E10value_typeET2_T3_PNSI_ISN_E10value_typeET4_T5_PSS_ST_PNS1_23onesweep_lookback_stateEbbT6_jjT7_P12ihipStream_tbENKUlT_T0_SH_SM_E_clISB_PiSC_SC_EEDaS10_S11_SH_SM_EUlS10_E_NS1_11comp_targetILNS1_3genE6ELNS1_11target_archE950ELNS1_3gpuE13ELNS1_3repE0EEENS1_47radix_sort_onesweep_sort_config_static_selectorELNS0_4arch9wavefront6targetE0EEEvSH_,comdat
.Lfunc_end1281:
	.size	_ZN7rocprim17ROCPRIM_400000_NS6detail17trampoline_kernelINS0_14default_configENS1_35radix_sort_onesweep_config_selectorIiNS0_10empty_typeEEEZZNS1_29radix_sort_onesweep_iterationIS3_Lb0EN6thrust23THRUST_200600_302600_NS10device_ptrIiEESB_PS5_SC_jNS0_19identity_decomposerENS1_16block_id_wrapperIjLb0EEEEE10hipError_tT1_PNSt15iterator_traitsISH_E10value_typeET2_T3_PNSI_ISN_E10value_typeET4_T5_PSS_ST_PNS1_23onesweep_lookback_stateEbbT6_jjT7_P12ihipStream_tbENKUlT_T0_SH_SM_E_clISB_PiSC_SC_EEDaS10_S11_SH_SM_EUlS10_E_NS1_11comp_targetILNS1_3genE6ELNS1_11target_archE950ELNS1_3gpuE13ELNS1_3repE0EEENS1_47radix_sort_onesweep_sort_config_static_selectorELNS0_4arch9wavefront6targetE0EEEvSH_, .Lfunc_end1281-_ZN7rocprim17ROCPRIM_400000_NS6detail17trampoline_kernelINS0_14default_configENS1_35radix_sort_onesweep_config_selectorIiNS0_10empty_typeEEEZZNS1_29radix_sort_onesweep_iterationIS3_Lb0EN6thrust23THRUST_200600_302600_NS10device_ptrIiEESB_PS5_SC_jNS0_19identity_decomposerENS1_16block_id_wrapperIjLb0EEEEE10hipError_tT1_PNSt15iterator_traitsISH_E10value_typeET2_T3_PNSI_ISN_E10value_typeET4_T5_PSS_ST_PNS1_23onesweep_lookback_stateEbbT6_jjT7_P12ihipStream_tbENKUlT_T0_SH_SM_E_clISB_PiSC_SC_EEDaS10_S11_SH_SM_EUlS10_E_NS1_11comp_targetILNS1_3genE6ELNS1_11target_archE950ELNS1_3gpuE13ELNS1_3repE0EEENS1_47radix_sort_onesweep_sort_config_static_selectorELNS0_4arch9wavefront6targetE0EEEvSH_
                                        ; -- End function
	.set _ZN7rocprim17ROCPRIM_400000_NS6detail17trampoline_kernelINS0_14default_configENS1_35radix_sort_onesweep_config_selectorIiNS0_10empty_typeEEEZZNS1_29radix_sort_onesweep_iterationIS3_Lb0EN6thrust23THRUST_200600_302600_NS10device_ptrIiEESB_PS5_SC_jNS0_19identity_decomposerENS1_16block_id_wrapperIjLb0EEEEE10hipError_tT1_PNSt15iterator_traitsISH_E10value_typeET2_T3_PNSI_ISN_E10value_typeET4_T5_PSS_ST_PNS1_23onesweep_lookback_stateEbbT6_jjT7_P12ihipStream_tbENKUlT_T0_SH_SM_E_clISB_PiSC_SC_EEDaS10_S11_SH_SM_EUlS10_E_NS1_11comp_targetILNS1_3genE6ELNS1_11target_archE950ELNS1_3gpuE13ELNS1_3repE0EEENS1_47radix_sort_onesweep_sort_config_static_selectorELNS0_4arch9wavefront6targetE0EEEvSH_.num_vgpr, 0
	.set _ZN7rocprim17ROCPRIM_400000_NS6detail17trampoline_kernelINS0_14default_configENS1_35radix_sort_onesweep_config_selectorIiNS0_10empty_typeEEEZZNS1_29radix_sort_onesweep_iterationIS3_Lb0EN6thrust23THRUST_200600_302600_NS10device_ptrIiEESB_PS5_SC_jNS0_19identity_decomposerENS1_16block_id_wrapperIjLb0EEEEE10hipError_tT1_PNSt15iterator_traitsISH_E10value_typeET2_T3_PNSI_ISN_E10value_typeET4_T5_PSS_ST_PNS1_23onesweep_lookback_stateEbbT6_jjT7_P12ihipStream_tbENKUlT_T0_SH_SM_E_clISB_PiSC_SC_EEDaS10_S11_SH_SM_EUlS10_E_NS1_11comp_targetILNS1_3genE6ELNS1_11target_archE950ELNS1_3gpuE13ELNS1_3repE0EEENS1_47radix_sort_onesweep_sort_config_static_selectorELNS0_4arch9wavefront6targetE0EEEvSH_.num_agpr, 0
	.set _ZN7rocprim17ROCPRIM_400000_NS6detail17trampoline_kernelINS0_14default_configENS1_35radix_sort_onesweep_config_selectorIiNS0_10empty_typeEEEZZNS1_29radix_sort_onesweep_iterationIS3_Lb0EN6thrust23THRUST_200600_302600_NS10device_ptrIiEESB_PS5_SC_jNS0_19identity_decomposerENS1_16block_id_wrapperIjLb0EEEEE10hipError_tT1_PNSt15iterator_traitsISH_E10value_typeET2_T3_PNSI_ISN_E10value_typeET4_T5_PSS_ST_PNS1_23onesweep_lookback_stateEbbT6_jjT7_P12ihipStream_tbENKUlT_T0_SH_SM_E_clISB_PiSC_SC_EEDaS10_S11_SH_SM_EUlS10_E_NS1_11comp_targetILNS1_3genE6ELNS1_11target_archE950ELNS1_3gpuE13ELNS1_3repE0EEENS1_47radix_sort_onesweep_sort_config_static_selectorELNS0_4arch9wavefront6targetE0EEEvSH_.numbered_sgpr, 0
	.set _ZN7rocprim17ROCPRIM_400000_NS6detail17trampoline_kernelINS0_14default_configENS1_35radix_sort_onesweep_config_selectorIiNS0_10empty_typeEEEZZNS1_29radix_sort_onesweep_iterationIS3_Lb0EN6thrust23THRUST_200600_302600_NS10device_ptrIiEESB_PS5_SC_jNS0_19identity_decomposerENS1_16block_id_wrapperIjLb0EEEEE10hipError_tT1_PNSt15iterator_traitsISH_E10value_typeET2_T3_PNSI_ISN_E10value_typeET4_T5_PSS_ST_PNS1_23onesweep_lookback_stateEbbT6_jjT7_P12ihipStream_tbENKUlT_T0_SH_SM_E_clISB_PiSC_SC_EEDaS10_S11_SH_SM_EUlS10_E_NS1_11comp_targetILNS1_3genE6ELNS1_11target_archE950ELNS1_3gpuE13ELNS1_3repE0EEENS1_47radix_sort_onesweep_sort_config_static_selectorELNS0_4arch9wavefront6targetE0EEEvSH_.num_named_barrier, 0
	.set _ZN7rocprim17ROCPRIM_400000_NS6detail17trampoline_kernelINS0_14default_configENS1_35radix_sort_onesweep_config_selectorIiNS0_10empty_typeEEEZZNS1_29radix_sort_onesweep_iterationIS3_Lb0EN6thrust23THRUST_200600_302600_NS10device_ptrIiEESB_PS5_SC_jNS0_19identity_decomposerENS1_16block_id_wrapperIjLb0EEEEE10hipError_tT1_PNSt15iterator_traitsISH_E10value_typeET2_T3_PNSI_ISN_E10value_typeET4_T5_PSS_ST_PNS1_23onesweep_lookback_stateEbbT6_jjT7_P12ihipStream_tbENKUlT_T0_SH_SM_E_clISB_PiSC_SC_EEDaS10_S11_SH_SM_EUlS10_E_NS1_11comp_targetILNS1_3genE6ELNS1_11target_archE950ELNS1_3gpuE13ELNS1_3repE0EEENS1_47radix_sort_onesweep_sort_config_static_selectorELNS0_4arch9wavefront6targetE0EEEvSH_.private_seg_size, 0
	.set _ZN7rocprim17ROCPRIM_400000_NS6detail17trampoline_kernelINS0_14default_configENS1_35radix_sort_onesweep_config_selectorIiNS0_10empty_typeEEEZZNS1_29radix_sort_onesweep_iterationIS3_Lb0EN6thrust23THRUST_200600_302600_NS10device_ptrIiEESB_PS5_SC_jNS0_19identity_decomposerENS1_16block_id_wrapperIjLb0EEEEE10hipError_tT1_PNSt15iterator_traitsISH_E10value_typeET2_T3_PNSI_ISN_E10value_typeET4_T5_PSS_ST_PNS1_23onesweep_lookback_stateEbbT6_jjT7_P12ihipStream_tbENKUlT_T0_SH_SM_E_clISB_PiSC_SC_EEDaS10_S11_SH_SM_EUlS10_E_NS1_11comp_targetILNS1_3genE6ELNS1_11target_archE950ELNS1_3gpuE13ELNS1_3repE0EEENS1_47radix_sort_onesweep_sort_config_static_selectorELNS0_4arch9wavefront6targetE0EEEvSH_.uses_vcc, 0
	.set _ZN7rocprim17ROCPRIM_400000_NS6detail17trampoline_kernelINS0_14default_configENS1_35radix_sort_onesweep_config_selectorIiNS0_10empty_typeEEEZZNS1_29radix_sort_onesweep_iterationIS3_Lb0EN6thrust23THRUST_200600_302600_NS10device_ptrIiEESB_PS5_SC_jNS0_19identity_decomposerENS1_16block_id_wrapperIjLb0EEEEE10hipError_tT1_PNSt15iterator_traitsISH_E10value_typeET2_T3_PNSI_ISN_E10value_typeET4_T5_PSS_ST_PNS1_23onesweep_lookback_stateEbbT6_jjT7_P12ihipStream_tbENKUlT_T0_SH_SM_E_clISB_PiSC_SC_EEDaS10_S11_SH_SM_EUlS10_E_NS1_11comp_targetILNS1_3genE6ELNS1_11target_archE950ELNS1_3gpuE13ELNS1_3repE0EEENS1_47radix_sort_onesweep_sort_config_static_selectorELNS0_4arch9wavefront6targetE0EEEvSH_.uses_flat_scratch, 0
	.set _ZN7rocprim17ROCPRIM_400000_NS6detail17trampoline_kernelINS0_14default_configENS1_35radix_sort_onesweep_config_selectorIiNS0_10empty_typeEEEZZNS1_29radix_sort_onesweep_iterationIS3_Lb0EN6thrust23THRUST_200600_302600_NS10device_ptrIiEESB_PS5_SC_jNS0_19identity_decomposerENS1_16block_id_wrapperIjLb0EEEEE10hipError_tT1_PNSt15iterator_traitsISH_E10value_typeET2_T3_PNSI_ISN_E10value_typeET4_T5_PSS_ST_PNS1_23onesweep_lookback_stateEbbT6_jjT7_P12ihipStream_tbENKUlT_T0_SH_SM_E_clISB_PiSC_SC_EEDaS10_S11_SH_SM_EUlS10_E_NS1_11comp_targetILNS1_3genE6ELNS1_11target_archE950ELNS1_3gpuE13ELNS1_3repE0EEENS1_47radix_sort_onesweep_sort_config_static_selectorELNS0_4arch9wavefront6targetE0EEEvSH_.has_dyn_sized_stack, 0
	.set _ZN7rocprim17ROCPRIM_400000_NS6detail17trampoline_kernelINS0_14default_configENS1_35radix_sort_onesweep_config_selectorIiNS0_10empty_typeEEEZZNS1_29radix_sort_onesweep_iterationIS3_Lb0EN6thrust23THRUST_200600_302600_NS10device_ptrIiEESB_PS5_SC_jNS0_19identity_decomposerENS1_16block_id_wrapperIjLb0EEEEE10hipError_tT1_PNSt15iterator_traitsISH_E10value_typeET2_T3_PNSI_ISN_E10value_typeET4_T5_PSS_ST_PNS1_23onesweep_lookback_stateEbbT6_jjT7_P12ihipStream_tbENKUlT_T0_SH_SM_E_clISB_PiSC_SC_EEDaS10_S11_SH_SM_EUlS10_E_NS1_11comp_targetILNS1_3genE6ELNS1_11target_archE950ELNS1_3gpuE13ELNS1_3repE0EEENS1_47radix_sort_onesweep_sort_config_static_selectorELNS0_4arch9wavefront6targetE0EEEvSH_.has_recursion, 0
	.set _ZN7rocprim17ROCPRIM_400000_NS6detail17trampoline_kernelINS0_14default_configENS1_35radix_sort_onesweep_config_selectorIiNS0_10empty_typeEEEZZNS1_29radix_sort_onesweep_iterationIS3_Lb0EN6thrust23THRUST_200600_302600_NS10device_ptrIiEESB_PS5_SC_jNS0_19identity_decomposerENS1_16block_id_wrapperIjLb0EEEEE10hipError_tT1_PNSt15iterator_traitsISH_E10value_typeET2_T3_PNSI_ISN_E10value_typeET4_T5_PSS_ST_PNS1_23onesweep_lookback_stateEbbT6_jjT7_P12ihipStream_tbENKUlT_T0_SH_SM_E_clISB_PiSC_SC_EEDaS10_S11_SH_SM_EUlS10_E_NS1_11comp_targetILNS1_3genE6ELNS1_11target_archE950ELNS1_3gpuE13ELNS1_3repE0EEENS1_47radix_sort_onesweep_sort_config_static_selectorELNS0_4arch9wavefront6targetE0EEEvSH_.has_indirect_call, 0
	.section	.AMDGPU.csdata,"",@progbits
; Kernel info:
; codeLenInByte = 0
; TotalNumSgprs: 0
; NumVgprs: 0
; ScratchSize: 0
; MemoryBound: 0
; FloatMode: 240
; IeeeMode: 1
; LDSByteSize: 0 bytes/workgroup (compile time only)
; SGPRBlocks: 0
; VGPRBlocks: 0
; NumSGPRsForWavesPerEU: 1
; NumVGPRsForWavesPerEU: 1
; Occupancy: 16
; WaveLimiterHint : 0
; COMPUTE_PGM_RSRC2:SCRATCH_EN: 0
; COMPUTE_PGM_RSRC2:USER_SGPR: 6
; COMPUTE_PGM_RSRC2:TRAP_HANDLER: 0
; COMPUTE_PGM_RSRC2:TGID_X_EN: 1
; COMPUTE_PGM_RSRC2:TGID_Y_EN: 0
; COMPUTE_PGM_RSRC2:TGID_Z_EN: 0
; COMPUTE_PGM_RSRC2:TIDIG_COMP_CNT: 0
	.section	.text._ZN7rocprim17ROCPRIM_400000_NS6detail17trampoline_kernelINS0_14default_configENS1_35radix_sort_onesweep_config_selectorIiNS0_10empty_typeEEEZZNS1_29radix_sort_onesweep_iterationIS3_Lb0EN6thrust23THRUST_200600_302600_NS10device_ptrIiEESB_PS5_SC_jNS0_19identity_decomposerENS1_16block_id_wrapperIjLb0EEEEE10hipError_tT1_PNSt15iterator_traitsISH_E10value_typeET2_T3_PNSI_ISN_E10value_typeET4_T5_PSS_ST_PNS1_23onesweep_lookback_stateEbbT6_jjT7_P12ihipStream_tbENKUlT_T0_SH_SM_E_clISB_PiSC_SC_EEDaS10_S11_SH_SM_EUlS10_E_NS1_11comp_targetILNS1_3genE5ELNS1_11target_archE942ELNS1_3gpuE9ELNS1_3repE0EEENS1_47radix_sort_onesweep_sort_config_static_selectorELNS0_4arch9wavefront6targetE0EEEvSH_,"axG",@progbits,_ZN7rocprim17ROCPRIM_400000_NS6detail17trampoline_kernelINS0_14default_configENS1_35radix_sort_onesweep_config_selectorIiNS0_10empty_typeEEEZZNS1_29radix_sort_onesweep_iterationIS3_Lb0EN6thrust23THRUST_200600_302600_NS10device_ptrIiEESB_PS5_SC_jNS0_19identity_decomposerENS1_16block_id_wrapperIjLb0EEEEE10hipError_tT1_PNSt15iterator_traitsISH_E10value_typeET2_T3_PNSI_ISN_E10value_typeET4_T5_PSS_ST_PNS1_23onesweep_lookback_stateEbbT6_jjT7_P12ihipStream_tbENKUlT_T0_SH_SM_E_clISB_PiSC_SC_EEDaS10_S11_SH_SM_EUlS10_E_NS1_11comp_targetILNS1_3genE5ELNS1_11target_archE942ELNS1_3gpuE9ELNS1_3repE0EEENS1_47radix_sort_onesweep_sort_config_static_selectorELNS0_4arch9wavefront6targetE0EEEvSH_,comdat
	.protected	_ZN7rocprim17ROCPRIM_400000_NS6detail17trampoline_kernelINS0_14default_configENS1_35radix_sort_onesweep_config_selectorIiNS0_10empty_typeEEEZZNS1_29radix_sort_onesweep_iterationIS3_Lb0EN6thrust23THRUST_200600_302600_NS10device_ptrIiEESB_PS5_SC_jNS0_19identity_decomposerENS1_16block_id_wrapperIjLb0EEEEE10hipError_tT1_PNSt15iterator_traitsISH_E10value_typeET2_T3_PNSI_ISN_E10value_typeET4_T5_PSS_ST_PNS1_23onesweep_lookback_stateEbbT6_jjT7_P12ihipStream_tbENKUlT_T0_SH_SM_E_clISB_PiSC_SC_EEDaS10_S11_SH_SM_EUlS10_E_NS1_11comp_targetILNS1_3genE5ELNS1_11target_archE942ELNS1_3gpuE9ELNS1_3repE0EEENS1_47radix_sort_onesweep_sort_config_static_selectorELNS0_4arch9wavefront6targetE0EEEvSH_ ; -- Begin function _ZN7rocprim17ROCPRIM_400000_NS6detail17trampoline_kernelINS0_14default_configENS1_35radix_sort_onesweep_config_selectorIiNS0_10empty_typeEEEZZNS1_29radix_sort_onesweep_iterationIS3_Lb0EN6thrust23THRUST_200600_302600_NS10device_ptrIiEESB_PS5_SC_jNS0_19identity_decomposerENS1_16block_id_wrapperIjLb0EEEEE10hipError_tT1_PNSt15iterator_traitsISH_E10value_typeET2_T3_PNSI_ISN_E10value_typeET4_T5_PSS_ST_PNS1_23onesweep_lookback_stateEbbT6_jjT7_P12ihipStream_tbENKUlT_T0_SH_SM_E_clISB_PiSC_SC_EEDaS10_S11_SH_SM_EUlS10_E_NS1_11comp_targetILNS1_3genE5ELNS1_11target_archE942ELNS1_3gpuE9ELNS1_3repE0EEENS1_47radix_sort_onesweep_sort_config_static_selectorELNS0_4arch9wavefront6targetE0EEEvSH_
	.globl	_ZN7rocprim17ROCPRIM_400000_NS6detail17trampoline_kernelINS0_14default_configENS1_35radix_sort_onesweep_config_selectorIiNS0_10empty_typeEEEZZNS1_29radix_sort_onesweep_iterationIS3_Lb0EN6thrust23THRUST_200600_302600_NS10device_ptrIiEESB_PS5_SC_jNS0_19identity_decomposerENS1_16block_id_wrapperIjLb0EEEEE10hipError_tT1_PNSt15iterator_traitsISH_E10value_typeET2_T3_PNSI_ISN_E10value_typeET4_T5_PSS_ST_PNS1_23onesweep_lookback_stateEbbT6_jjT7_P12ihipStream_tbENKUlT_T0_SH_SM_E_clISB_PiSC_SC_EEDaS10_S11_SH_SM_EUlS10_E_NS1_11comp_targetILNS1_3genE5ELNS1_11target_archE942ELNS1_3gpuE9ELNS1_3repE0EEENS1_47radix_sort_onesweep_sort_config_static_selectorELNS0_4arch9wavefront6targetE0EEEvSH_
	.p2align	8
	.type	_ZN7rocprim17ROCPRIM_400000_NS6detail17trampoline_kernelINS0_14default_configENS1_35radix_sort_onesweep_config_selectorIiNS0_10empty_typeEEEZZNS1_29radix_sort_onesweep_iterationIS3_Lb0EN6thrust23THRUST_200600_302600_NS10device_ptrIiEESB_PS5_SC_jNS0_19identity_decomposerENS1_16block_id_wrapperIjLb0EEEEE10hipError_tT1_PNSt15iterator_traitsISH_E10value_typeET2_T3_PNSI_ISN_E10value_typeET4_T5_PSS_ST_PNS1_23onesweep_lookback_stateEbbT6_jjT7_P12ihipStream_tbENKUlT_T0_SH_SM_E_clISB_PiSC_SC_EEDaS10_S11_SH_SM_EUlS10_E_NS1_11comp_targetILNS1_3genE5ELNS1_11target_archE942ELNS1_3gpuE9ELNS1_3repE0EEENS1_47radix_sort_onesweep_sort_config_static_selectorELNS0_4arch9wavefront6targetE0EEEvSH_,@function
_ZN7rocprim17ROCPRIM_400000_NS6detail17trampoline_kernelINS0_14default_configENS1_35radix_sort_onesweep_config_selectorIiNS0_10empty_typeEEEZZNS1_29radix_sort_onesweep_iterationIS3_Lb0EN6thrust23THRUST_200600_302600_NS10device_ptrIiEESB_PS5_SC_jNS0_19identity_decomposerENS1_16block_id_wrapperIjLb0EEEEE10hipError_tT1_PNSt15iterator_traitsISH_E10value_typeET2_T3_PNSI_ISN_E10value_typeET4_T5_PSS_ST_PNS1_23onesweep_lookback_stateEbbT6_jjT7_P12ihipStream_tbENKUlT_T0_SH_SM_E_clISB_PiSC_SC_EEDaS10_S11_SH_SM_EUlS10_E_NS1_11comp_targetILNS1_3genE5ELNS1_11target_archE942ELNS1_3gpuE9ELNS1_3repE0EEENS1_47radix_sort_onesweep_sort_config_static_selectorELNS0_4arch9wavefront6targetE0EEEvSH_: ; @_ZN7rocprim17ROCPRIM_400000_NS6detail17trampoline_kernelINS0_14default_configENS1_35radix_sort_onesweep_config_selectorIiNS0_10empty_typeEEEZZNS1_29radix_sort_onesweep_iterationIS3_Lb0EN6thrust23THRUST_200600_302600_NS10device_ptrIiEESB_PS5_SC_jNS0_19identity_decomposerENS1_16block_id_wrapperIjLb0EEEEE10hipError_tT1_PNSt15iterator_traitsISH_E10value_typeET2_T3_PNSI_ISN_E10value_typeET4_T5_PSS_ST_PNS1_23onesweep_lookback_stateEbbT6_jjT7_P12ihipStream_tbENKUlT_T0_SH_SM_E_clISB_PiSC_SC_EEDaS10_S11_SH_SM_EUlS10_E_NS1_11comp_targetILNS1_3genE5ELNS1_11target_archE942ELNS1_3gpuE9ELNS1_3repE0EEENS1_47radix_sort_onesweep_sort_config_static_selectorELNS0_4arch9wavefront6targetE0EEEvSH_
; %bb.0:
	.section	.rodata,"a",@progbits
	.p2align	6, 0x0
	.amdhsa_kernel _ZN7rocprim17ROCPRIM_400000_NS6detail17trampoline_kernelINS0_14default_configENS1_35radix_sort_onesweep_config_selectorIiNS0_10empty_typeEEEZZNS1_29radix_sort_onesweep_iterationIS3_Lb0EN6thrust23THRUST_200600_302600_NS10device_ptrIiEESB_PS5_SC_jNS0_19identity_decomposerENS1_16block_id_wrapperIjLb0EEEEE10hipError_tT1_PNSt15iterator_traitsISH_E10value_typeET2_T3_PNSI_ISN_E10value_typeET4_T5_PSS_ST_PNS1_23onesweep_lookback_stateEbbT6_jjT7_P12ihipStream_tbENKUlT_T0_SH_SM_E_clISB_PiSC_SC_EEDaS10_S11_SH_SM_EUlS10_E_NS1_11comp_targetILNS1_3genE5ELNS1_11target_archE942ELNS1_3gpuE9ELNS1_3repE0EEENS1_47radix_sort_onesweep_sort_config_static_selectorELNS0_4arch9wavefront6targetE0EEEvSH_
		.amdhsa_group_segment_fixed_size 0
		.amdhsa_private_segment_fixed_size 0
		.amdhsa_kernarg_size 88
		.amdhsa_user_sgpr_count 6
		.amdhsa_user_sgpr_private_segment_buffer 1
		.amdhsa_user_sgpr_dispatch_ptr 0
		.amdhsa_user_sgpr_queue_ptr 0
		.amdhsa_user_sgpr_kernarg_segment_ptr 1
		.amdhsa_user_sgpr_dispatch_id 0
		.amdhsa_user_sgpr_flat_scratch_init 0
		.amdhsa_user_sgpr_private_segment_size 0
		.amdhsa_wavefront_size32 1
		.amdhsa_uses_dynamic_stack 0
		.amdhsa_system_sgpr_private_segment_wavefront_offset 0
		.amdhsa_system_sgpr_workgroup_id_x 1
		.amdhsa_system_sgpr_workgroup_id_y 0
		.amdhsa_system_sgpr_workgroup_id_z 0
		.amdhsa_system_sgpr_workgroup_info 0
		.amdhsa_system_vgpr_workitem_id 0
		.amdhsa_next_free_vgpr 1
		.amdhsa_next_free_sgpr 1
		.amdhsa_reserve_vcc 0
		.amdhsa_reserve_flat_scratch 0
		.amdhsa_float_round_mode_32 0
		.amdhsa_float_round_mode_16_64 0
		.amdhsa_float_denorm_mode_32 3
		.amdhsa_float_denorm_mode_16_64 3
		.amdhsa_dx10_clamp 1
		.amdhsa_ieee_mode 1
		.amdhsa_fp16_overflow 0
		.amdhsa_workgroup_processor_mode 1
		.amdhsa_memory_ordered 1
		.amdhsa_forward_progress 1
		.amdhsa_shared_vgpr_count 0
		.amdhsa_exception_fp_ieee_invalid_op 0
		.amdhsa_exception_fp_denorm_src 0
		.amdhsa_exception_fp_ieee_div_zero 0
		.amdhsa_exception_fp_ieee_overflow 0
		.amdhsa_exception_fp_ieee_underflow 0
		.amdhsa_exception_fp_ieee_inexact 0
		.amdhsa_exception_int_div_zero 0
	.end_amdhsa_kernel
	.section	.text._ZN7rocprim17ROCPRIM_400000_NS6detail17trampoline_kernelINS0_14default_configENS1_35radix_sort_onesweep_config_selectorIiNS0_10empty_typeEEEZZNS1_29radix_sort_onesweep_iterationIS3_Lb0EN6thrust23THRUST_200600_302600_NS10device_ptrIiEESB_PS5_SC_jNS0_19identity_decomposerENS1_16block_id_wrapperIjLb0EEEEE10hipError_tT1_PNSt15iterator_traitsISH_E10value_typeET2_T3_PNSI_ISN_E10value_typeET4_T5_PSS_ST_PNS1_23onesweep_lookback_stateEbbT6_jjT7_P12ihipStream_tbENKUlT_T0_SH_SM_E_clISB_PiSC_SC_EEDaS10_S11_SH_SM_EUlS10_E_NS1_11comp_targetILNS1_3genE5ELNS1_11target_archE942ELNS1_3gpuE9ELNS1_3repE0EEENS1_47radix_sort_onesweep_sort_config_static_selectorELNS0_4arch9wavefront6targetE0EEEvSH_,"axG",@progbits,_ZN7rocprim17ROCPRIM_400000_NS6detail17trampoline_kernelINS0_14default_configENS1_35radix_sort_onesweep_config_selectorIiNS0_10empty_typeEEEZZNS1_29radix_sort_onesweep_iterationIS3_Lb0EN6thrust23THRUST_200600_302600_NS10device_ptrIiEESB_PS5_SC_jNS0_19identity_decomposerENS1_16block_id_wrapperIjLb0EEEEE10hipError_tT1_PNSt15iterator_traitsISH_E10value_typeET2_T3_PNSI_ISN_E10value_typeET4_T5_PSS_ST_PNS1_23onesweep_lookback_stateEbbT6_jjT7_P12ihipStream_tbENKUlT_T0_SH_SM_E_clISB_PiSC_SC_EEDaS10_S11_SH_SM_EUlS10_E_NS1_11comp_targetILNS1_3genE5ELNS1_11target_archE942ELNS1_3gpuE9ELNS1_3repE0EEENS1_47radix_sort_onesweep_sort_config_static_selectorELNS0_4arch9wavefront6targetE0EEEvSH_,comdat
.Lfunc_end1282:
	.size	_ZN7rocprim17ROCPRIM_400000_NS6detail17trampoline_kernelINS0_14default_configENS1_35radix_sort_onesweep_config_selectorIiNS0_10empty_typeEEEZZNS1_29radix_sort_onesweep_iterationIS3_Lb0EN6thrust23THRUST_200600_302600_NS10device_ptrIiEESB_PS5_SC_jNS0_19identity_decomposerENS1_16block_id_wrapperIjLb0EEEEE10hipError_tT1_PNSt15iterator_traitsISH_E10value_typeET2_T3_PNSI_ISN_E10value_typeET4_T5_PSS_ST_PNS1_23onesweep_lookback_stateEbbT6_jjT7_P12ihipStream_tbENKUlT_T0_SH_SM_E_clISB_PiSC_SC_EEDaS10_S11_SH_SM_EUlS10_E_NS1_11comp_targetILNS1_3genE5ELNS1_11target_archE942ELNS1_3gpuE9ELNS1_3repE0EEENS1_47radix_sort_onesweep_sort_config_static_selectorELNS0_4arch9wavefront6targetE0EEEvSH_, .Lfunc_end1282-_ZN7rocprim17ROCPRIM_400000_NS6detail17trampoline_kernelINS0_14default_configENS1_35radix_sort_onesweep_config_selectorIiNS0_10empty_typeEEEZZNS1_29radix_sort_onesweep_iterationIS3_Lb0EN6thrust23THRUST_200600_302600_NS10device_ptrIiEESB_PS5_SC_jNS0_19identity_decomposerENS1_16block_id_wrapperIjLb0EEEEE10hipError_tT1_PNSt15iterator_traitsISH_E10value_typeET2_T3_PNSI_ISN_E10value_typeET4_T5_PSS_ST_PNS1_23onesweep_lookback_stateEbbT6_jjT7_P12ihipStream_tbENKUlT_T0_SH_SM_E_clISB_PiSC_SC_EEDaS10_S11_SH_SM_EUlS10_E_NS1_11comp_targetILNS1_3genE5ELNS1_11target_archE942ELNS1_3gpuE9ELNS1_3repE0EEENS1_47radix_sort_onesweep_sort_config_static_selectorELNS0_4arch9wavefront6targetE0EEEvSH_
                                        ; -- End function
	.set _ZN7rocprim17ROCPRIM_400000_NS6detail17trampoline_kernelINS0_14default_configENS1_35radix_sort_onesweep_config_selectorIiNS0_10empty_typeEEEZZNS1_29radix_sort_onesweep_iterationIS3_Lb0EN6thrust23THRUST_200600_302600_NS10device_ptrIiEESB_PS5_SC_jNS0_19identity_decomposerENS1_16block_id_wrapperIjLb0EEEEE10hipError_tT1_PNSt15iterator_traitsISH_E10value_typeET2_T3_PNSI_ISN_E10value_typeET4_T5_PSS_ST_PNS1_23onesweep_lookback_stateEbbT6_jjT7_P12ihipStream_tbENKUlT_T0_SH_SM_E_clISB_PiSC_SC_EEDaS10_S11_SH_SM_EUlS10_E_NS1_11comp_targetILNS1_3genE5ELNS1_11target_archE942ELNS1_3gpuE9ELNS1_3repE0EEENS1_47radix_sort_onesweep_sort_config_static_selectorELNS0_4arch9wavefront6targetE0EEEvSH_.num_vgpr, 0
	.set _ZN7rocprim17ROCPRIM_400000_NS6detail17trampoline_kernelINS0_14default_configENS1_35radix_sort_onesweep_config_selectorIiNS0_10empty_typeEEEZZNS1_29radix_sort_onesweep_iterationIS3_Lb0EN6thrust23THRUST_200600_302600_NS10device_ptrIiEESB_PS5_SC_jNS0_19identity_decomposerENS1_16block_id_wrapperIjLb0EEEEE10hipError_tT1_PNSt15iterator_traitsISH_E10value_typeET2_T3_PNSI_ISN_E10value_typeET4_T5_PSS_ST_PNS1_23onesweep_lookback_stateEbbT6_jjT7_P12ihipStream_tbENKUlT_T0_SH_SM_E_clISB_PiSC_SC_EEDaS10_S11_SH_SM_EUlS10_E_NS1_11comp_targetILNS1_3genE5ELNS1_11target_archE942ELNS1_3gpuE9ELNS1_3repE0EEENS1_47radix_sort_onesweep_sort_config_static_selectorELNS0_4arch9wavefront6targetE0EEEvSH_.num_agpr, 0
	.set _ZN7rocprim17ROCPRIM_400000_NS6detail17trampoline_kernelINS0_14default_configENS1_35radix_sort_onesweep_config_selectorIiNS0_10empty_typeEEEZZNS1_29radix_sort_onesweep_iterationIS3_Lb0EN6thrust23THRUST_200600_302600_NS10device_ptrIiEESB_PS5_SC_jNS0_19identity_decomposerENS1_16block_id_wrapperIjLb0EEEEE10hipError_tT1_PNSt15iterator_traitsISH_E10value_typeET2_T3_PNSI_ISN_E10value_typeET4_T5_PSS_ST_PNS1_23onesweep_lookback_stateEbbT6_jjT7_P12ihipStream_tbENKUlT_T0_SH_SM_E_clISB_PiSC_SC_EEDaS10_S11_SH_SM_EUlS10_E_NS1_11comp_targetILNS1_3genE5ELNS1_11target_archE942ELNS1_3gpuE9ELNS1_3repE0EEENS1_47radix_sort_onesweep_sort_config_static_selectorELNS0_4arch9wavefront6targetE0EEEvSH_.numbered_sgpr, 0
	.set _ZN7rocprim17ROCPRIM_400000_NS6detail17trampoline_kernelINS0_14default_configENS1_35radix_sort_onesweep_config_selectorIiNS0_10empty_typeEEEZZNS1_29radix_sort_onesweep_iterationIS3_Lb0EN6thrust23THRUST_200600_302600_NS10device_ptrIiEESB_PS5_SC_jNS0_19identity_decomposerENS1_16block_id_wrapperIjLb0EEEEE10hipError_tT1_PNSt15iterator_traitsISH_E10value_typeET2_T3_PNSI_ISN_E10value_typeET4_T5_PSS_ST_PNS1_23onesweep_lookback_stateEbbT6_jjT7_P12ihipStream_tbENKUlT_T0_SH_SM_E_clISB_PiSC_SC_EEDaS10_S11_SH_SM_EUlS10_E_NS1_11comp_targetILNS1_3genE5ELNS1_11target_archE942ELNS1_3gpuE9ELNS1_3repE0EEENS1_47radix_sort_onesweep_sort_config_static_selectorELNS0_4arch9wavefront6targetE0EEEvSH_.num_named_barrier, 0
	.set _ZN7rocprim17ROCPRIM_400000_NS6detail17trampoline_kernelINS0_14default_configENS1_35radix_sort_onesweep_config_selectorIiNS0_10empty_typeEEEZZNS1_29radix_sort_onesweep_iterationIS3_Lb0EN6thrust23THRUST_200600_302600_NS10device_ptrIiEESB_PS5_SC_jNS0_19identity_decomposerENS1_16block_id_wrapperIjLb0EEEEE10hipError_tT1_PNSt15iterator_traitsISH_E10value_typeET2_T3_PNSI_ISN_E10value_typeET4_T5_PSS_ST_PNS1_23onesweep_lookback_stateEbbT6_jjT7_P12ihipStream_tbENKUlT_T0_SH_SM_E_clISB_PiSC_SC_EEDaS10_S11_SH_SM_EUlS10_E_NS1_11comp_targetILNS1_3genE5ELNS1_11target_archE942ELNS1_3gpuE9ELNS1_3repE0EEENS1_47radix_sort_onesweep_sort_config_static_selectorELNS0_4arch9wavefront6targetE0EEEvSH_.private_seg_size, 0
	.set _ZN7rocprim17ROCPRIM_400000_NS6detail17trampoline_kernelINS0_14default_configENS1_35radix_sort_onesweep_config_selectorIiNS0_10empty_typeEEEZZNS1_29radix_sort_onesweep_iterationIS3_Lb0EN6thrust23THRUST_200600_302600_NS10device_ptrIiEESB_PS5_SC_jNS0_19identity_decomposerENS1_16block_id_wrapperIjLb0EEEEE10hipError_tT1_PNSt15iterator_traitsISH_E10value_typeET2_T3_PNSI_ISN_E10value_typeET4_T5_PSS_ST_PNS1_23onesweep_lookback_stateEbbT6_jjT7_P12ihipStream_tbENKUlT_T0_SH_SM_E_clISB_PiSC_SC_EEDaS10_S11_SH_SM_EUlS10_E_NS1_11comp_targetILNS1_3genE5ELNS1_11target_archE942ELNS1_3gpuE9ELNS1_3repE0EEENS1_47radix_sort_onesweep_sort_config_static_selectorELNS0_4arch9wavefront6targetE0EEEvSH_.uses_vcc, 0
	.set _ZN7rocprim17ROCPRIM_400000_NS6detail17trampoline_kernelINS0_14default_configENS1_35radix_sort_onesweep_config_selectorIiNS0_10empty_typeEEEZZNS1_29radix_sort_onesweep_iterationIS3_Lb0EN6thrust23THRUST_200600_302600_NS10device_ptrIiEESB_PS5_SC_jNS0_19identity_decomposerENS1_16block_id_wrapperIjLb0EEEEE10hipError_tT1_PNSt15iterator_traitsISH_E10value_typeET2_T3_PNSI_ISN_E10value_typeET4_T5_PSS_ST_PNS1_23onesweep_lookback_stateEbbT6_jjT7_P12ihipStream_tbENKUlT_T0_SH_SM_E_clISB_PiSC_SC_EEDaS10_S11_SH_SM_EUlS10_E_NS1_11comp_targetILNS1_3genE5ELNS1_11target_archE942ELNS1_3gpuE9ELNS1_3repE0EEENS1_47radix_sort_onesweep_sort_config_static_selectorELNS0_4arch9wavefront6targetE0EEEvSH_.uses_flat_scratch, 0
	.set _ZN7rocprim17ROCPRIM_400000_NS6detail17trampoline_kernelINS0_14default_configENS1_35radix_sort_onesweep_config_selectorIiNS0_10empty_typeEEEZZNS1_29radix_sort_onesweep_iterationIS3_Lb0EN6thrust23THRUST_200600_302600_NS10device_ptrIiEESB_PS5_SC_jNS0_19identity_decomposerENS1_16block_id_wrapperIjLb0EEEEE10hipError_tT1_PNSt15iterator_traitsISH_E10value_typeET2_T3_PNSI_ISN_E10value_typeET4_T5_PSS_ST_PNS1_23onesweep_lookback_stateEbbT6_jjT7_P12ihipStream_tbENKUlT_T0_SH_SM_E_clISB_PiSC_SC_EEDaS10_S11_SH_SM_EUlS10_E_NS1_11comp_targetILNS1_3genE5ELNS1_11target_archE942ELNS1_3gpuE9ELNS1_3repE0EEENS1_47radix_sort_onesweep_sort_config_static_selectorELNS0_4arch9wavefront6targetE0EEEvSH_.has_dyn_sized_stack, 0
	.set _ZN7rocprim17ROCPRIM_400000_NS6detail17trampoline_kernelINS0_14default_configENS1_35radix_sort_onesweep_config_selectorIiNS0_10empty_typeEEEZZNS1_29radix_sort_onesweep_iterationIS3_Lb0EN6thrust23THRUST_200600_302600_NS10device_ptrIiEESB_PS5_SC_jNS0_19identity_decomposerENS1_16block_id_wrapperIjLb0EEEEE10hipError_tT1_PNSt15iterator_traitsISH_E10value_typeET2_T3_PNSI_ISN_E10value_typeET4_T5_PSS_ST_PNS1_23onesweep_lookback_stateEbbT6_jjT7_P12ihipStream_tbENKUlT_T0_SH_SM_E_clISB_PiSC_SC_EEDaS10_S11_SH_SM_EUlS10_E_NS1_11comp_targetILNS1_3genE5ELNS1_11target_archE942ELNS1_3gpuE9ELNS1_3repE0EEENS1_47radix_sort_onesweep_sort_config_static_selectorELNS0_4arch9wavefront6targetE0EEEvSH_.has_recursion, 0
	.set _ZN7rocprim17ROCPRIM_400000_NS6detail17trampoline_kernelINS0_14default_configENS1_35radix_sort_onesweep_config_selectorIiNS0_10empty_typeEEEZZNS1_29radix_sort_onesweep_iterationIS3_Lb0EN6thrust23THRUST_200600_302600_NS10device_ptrIiEESB_PS5_SC_jNS0_19identity_decomposerENS1_16block_id_wrapperIjLb0EEEEE10hipError_tT1_PNSt15iterator_traitsISH_E10value_typeET2_T3_PNSI_ISN_E10value_typeET4_T5_PSS_ST_PNS1_23onesweep_lookback_stateEbbT6_jjT7_P12ihipStream_tbENKUlT_T0_SH_SM_E_clISB_PiSC_SC_EEDaS10_S11_SH_SM_EUlS10_E_NS1_11comp_targetILNS1_3genE5ELNS1_11target_archE942ELNS1_3gpuE9ELNS1_3repE0EEENS1_47radix_sort_onesweep_sort_config_static_selectorELNS0_4arch9wavefront6targetE0EEEvSH_.has_indirect_call, 0
	.section	.AMDGPU.csdata,"",@progbits
; Kernel info:
; codeLenInByte = 0
; TotalNumSgprs: 0
; NumVgprs: 0
; ScratchSize: 0
; MemoryBound: 0
; FloatMode: 240
; IeeeMode: 1
; LDSByteSize: 0 bytes/workgroup (compile time only)
; SGPRBlocks: 0
; VGPRBlocks: 0
; NumSGPRsForWavesPerEU: 1
; NumVGPRsForWavesPerEU: 1
; Occupancy: 16
; WaveLimiterHint : 0
; COMPUTE_PGM_RSRC2:SCRATCH_EN: 0
; COMPUTE_PGM_RSRC2:USER_SGPR: 6
; COMPUTE_PGM_RSRC2:TRAP_HANDLER: 0
; COMPUTE_PGM_RSRC2:TGID_X_EN: 1
; COMPUTE_PGM_RSRC2:TGID_Y_EN: 0
; COMPUTE_PGM_RSRC2:TGID_Z_EN: 0
; COMPUTE_PGM_RSRC2:TIDIG_COMP_CNT: 0
	.section	.text._ZN7rocprim17ROCPRIM_400000_NS6detail17trampoline_kernelINS0_14default_configENS1_35radix_sort_onesweep_config_selectorIiNS0_10empty_typeEEEZZNS1_29radix_sort_onesweep_iterationIS3_Lb0EN6thrust23THRUST_200600_302600_NS10device_ptrIiEESB_PS5_SC_jNS0_19identity_decomposerENS1_16block_id_wrapperIjLb0EEEEE10hipError_tT1_PNSt15iterator_traitsISH_E10value_typeET2_T3_PNSI_ISN_E10value_typeET4_T5_PSS_ST_PNS1_23onesweep_lookback_stateEbbT6_jjT7_P12ihipStream_tbENKUlT_T0_SH_SM_E_clISB_PiSC_SC_EEDaS10_S11_SH_SM_EUlS10_E_NS1_11comp_targetILNS1_3genE2ELNS1_11target_archE906ELNS1_3gpuE6ELNS1_3repE0EEENS1_47radix_sort_onesweep_sort_config_static_selectorELNS0_4arch9wavefront6targetE0EEEvSH_,"axG",@progbits,_ZN7rocprim17ROCPRIM_400000_NS6detail17trampoline_kernelINS0_14default_configENS1_35radix_sort_onesweep_config_selectorIiNS0_10empty_typeEEEZZNS1_29radix_sort_onesweep_iterationIS3_Lb0EN6thrust23THRUST_200600_302600_NS10device_ptrIiEESB_PS5_SC_jNS0_19identity_decomposerENS1_16block_id_wrapperIjLb0EEEEE10hipError_tT1_PNSt15iterator_traitsISH_E10value_typeET2_T3_PNSI_ISN_E10value_typeET4_T5_PSS_ST_PNS1_23onesweep_lookback_stateEbbT6_jjT7_P12ihipStream_tbENKUlT_T0_SH_SM_E_clISB_PiSC_SC_EEDaS10_S11_SH_SM_EUlS10_E_NS1_11comp_targetILNS1_3genE2ELNS1_11target_archE906ELNS1_3gpuE6ELNS1_3repE0EEENS1_47radix_sort_onesweep_sort_config_static_selectorELNS0_4arch9wavefront6targetE0EEEvSH_,comdat
	.protected	_ZN7rocprim17ROCPRIM_400000_NS6detail17trampoline_kernelINS0_14default_configENS1_35radix_sort_onesweep_config_selectorIiNS0_10empty_typeEEEZZNS1_29radix_sort_onesweep_iterationIS3_Lb0EN6thrust23THRUST_200600_302600_NS10device_ptrIiEESB_PS5_SC_jNS0_19identity_decomposerENS1_16block_id_wrapperIjLb0EEEEE10hipError_tT1_PNSt15iterator_traitsISH_E10value_typeET2_T3_PNSI_ISN_E10value_typeET4_T5_PSS_ST_PNS1_23onesweep_lookback_stateEbbT6_jjT7_P12ihipStream_tbENKUlT_T0_SH_SM_E_clISB_PiSC_SC_EEDaS10_S11_SH_SM_EUlS10_E_NS1_11comp_targetILNS1_3genE2ELNS1_11target_archE906ELNS1_3gpuE6ELNS1_3repE0EEENS1_47radix_sort_onesweep_sort_config_static_selectorELNS0_4arch9wavefront6targetE0EEEvSH_ ; -- Begin function _ZN7rocprim17ROCPRIM_400000_NS6detail17trampoline_kernelINS0_14default_configENS1_35radix_sort_onesweep_config_selectorIiNS0_10empty_typeEEEZZNS1_29radix_sort_onesweep_iterationIS3_Lb0EN6thrust23THRUST_200600_302600_NS10device_ptrIiEESB_PS5_SC_jNS0_19identity_decomposerENS1_16block_id_wrapperIjLb0EEEEE10hipError_tT1_PNSt15iterator_traitsISH_E10value_typeET2_T3_PNSI_ISN_E10value_typeET4_T5_PSS_ST_PNS1_23onesweep_lookback_stateEbbT6_jjT7_P12ihipStream_tbENKUlT_T0_SH_SM_E_clISB_PiSC_SC_EEDaS10_S11_SH_SM_EUlS10_E_NS1_11comp_targetILNS1_3genE2ELNS1_11target_archE906ELNS1_3gpuE6ELNS1_3repE0EEENS1_47radix_sort_onesweep_sort_config_static_selectorELNS0_4arch9wavefront6targetE0EEEvSH_
	.globl	_ZN7rocprim17ROCPRIM_400000_NS6detail17trampoline_kernelINS0_14default_configENS1_35radix_sort_onesweep_config_selectorIiNS0_10empty_typeEEEZZNS1_29radix_sort_onesweep_iterationIS3_Lb0EN6thrust23THRUST_200600_302600_NS10device_ptrIiEESB_PS5_SC_jNS0_19identity_decomposerENS1_16block_id_wrapperIjLb0EEEEE10hipError_tT1_PNSt15iterator_traitsISH_E10value_typeET2_T3_PNSI_ISN_E10value_typeET4_T5_PSS_ST_PNS1_23onesweep_lookback_stateEbbT6_jjT7_P12ihipStream_tbENKUlT_T0_SH_SM_E_clISB_PiSC_SC_EEDaS10_S11_SH_SM_EUlS10_E_NS1_11comp_targetILNS1_3genE2ELNS1_11target_archE906ELNS1_3gpuE6ELNS1_3repE0EEENS1_47radix_sort_onesweep_sort_config_static_selectorELNS0_4arch9wavefront6targetE0EEEvSH_
	.p2align	8
	.type	_ZN7rocprim17ROCPRIM_400000_NS6detail17trampoline_kernelINS0_14default_configENS1_35radix_sort_onesweep_config_selectorIiNS0_10empty_typeEEEZZNS1_29radix_sort_onesweep_iterationIS3_Lb0EN6thrust23THRUST_200600_302600_NS10device_ptrIiEESB_PS5_SC_jNS0_19identity_decomposerENS1_16block_id_wrapperIjLb0EEEEE10hipError_tT1_PNSt15iterator_traitsISH_E10value_typeET2_T3_PNSI_ISN_E10value_typeET4_T5_PSS_ST_PNS1_23onesweep_lookback_stateEbbT6_jjT7_P12ihipStream_tbENKUlT_T0_SH_SM_E_clISB_PiSC_SC_EEDaS10_S11_SH_SM_EUlS10_E_NS1_11comp_targetILNS1_3genE2ELNS1_11target_archE906ELNS1_3gpuE6ELNS1_3repE0EEENS1_47radix_sort_onesweep_sort_config_static_selectorELNS0_4arch9wavefront6targetE0EEEvSH_,@function
_ZN7rocprim17ROCPRIM_400000_NS6detail17trampoline_kernelINS0_14default_configENS1_35radix_sort_onesweep_config_selectorIiNS0_10empty_typeEEEZZNS1_29radix_sort_onesweep_iterationIS3_Lb0EN6thrust23THRUST_200600_302600_NS10device_ptrIiEESB_PS5_SC_jNS0_19identity_decomposerENS1_16block_id_wrapperIjLb0EEEEE10hipError_tT1_PNSt15iterator_traitsISH_E10value_typeET2_T3_PNSI_ISN_E10value_typeET4_T5_PSS_ST_PNS1_23onesweep_lookback_stateEbbT6_jjT7_P12ihipStream_tbENKUlT_T0_SH_SM_E_clISB_PiSC_SC_EEDaS10_S11_SH_SM_EUlS10_E_NS1_11comp_targetILNS1_3genE2ELNS1_11target_archE906ELNS1_3gpuE6ELNS1_3repE0EEENS1_47radix_sort_onesweep_sort_config_static_selectorELNS0_4arch9wavefront6targetE0EEEvSH_: ; @_ZN7rocprim17ROCPRIM_400000_NS6detail17trampoline_kernelINS0_14default_configENS1_35radix_sort_onesweep_config_selectorIiNS0_10empty_typeEEEZZNS1_29radix_sort_onesweep_iterationIS3_Lb0EN6thrust23THRUST_200600_302600_NS10device_ptrIiEESB_PS5_SC_jNS0_19identity_decomposerENS1_16block_id_wrapperIjLb0EEEEE10hipError_tT1_PNSt15iterator_traitsISH_E10value_typeET2_T3_PNSI_ISN_E10value_typeET4_T5_PSS_ST_PNS1_23onesweep_lookback_stateEbbT6_jjT7_P12ihipStream_tbENKUlT_T0_SH_SM_E_clISB_PiSC_SC_EEDaS10_S11_SH_SM_EUlS10_E_NS1_11comp_targetILNS1_3genE2ELNS1_11target_archE906ELNS1_3gpuE6ELNS1_3repE0EEENS1_47radix_sort_onesweep_sort_config_static_selectorELNS0_4arch9wavefront6targetE0EEEvSH_
; %bb.0:
	.section	.rodata,"a",@progbits
	.p2align	6, 0x0
	.amdhsa_kernel _ZN7rocprim17ROCPRIM_400000_NS6detail17trampoline_kernelINS0_14default_configENS1_35radix_sort_onesweep_config_selectorIiNS0_10empty_typeEEEZZNS1_29radix_sort_onesweep_iterationIS3_Lb0EN6thrust23THRUST_200600_302600_NS10device_ptrIiEESB_PS5_SC_jNS0_19identity_decomposerENS1_16block_id_wrapperIjLb0EEEEE10hipError_tT1_PNSt15iterator_traitsISH_E10value_typeET2_T3_PNSI_ISN_E10value_typeET4_T5_PSS_ST_PNS1_23onesweep_lookback_stateEbbT6_jjT7_P12ihipStream_tbENKUlT_T0_SH_SM_E_clISB_PiSC_SC_EEDaS10_S11_SH_SM_EUlS10_E_NS1_11comp_targetILNS1_3genE2ELNS1_11target_archE906ELNS1_3gpuE6ELNS1_3repE0EEENS1_47radix_sort_onesweep_sort_config_static_selectorELNS0_4arch9wavefront6targetE0EEEvSH_
		.amdhsa_group_segment_fixed_size 0
		.amdhsa_private_segment_fixed_size 0
		.amdhsa_kernarg_size 88
		.amdhsa_user_sgpr_count 6
		.amdhsa_user_sgpr_private_segment_buffer 1
		.amdhsa_user_sgpr_dispatch_ptr 0
		.amdhsa_user_sgpr_queue_ptr 0
		.amdhsa_user_sgpr_kernarg_segment_ptr 1
		.amdhsa_user_sgpr_dispatch_id 0
		.amdhsa_user_sgpr_flat_scratch_init 0
		.amdhsa_user_sgpr_private_segment_size 0
		.amdhsa_wavefront_size32 1
		.amdhsa_uses_dynamic_stack 0
		.amdhsa_system_sgpr_private_segment_wavefront_offset 0
		.amdhsa_system_sgpr_workgroup_id_x 1
		.amdhsa_system_sgpr_workgroup_id_y 0
		.amdhsa_system_sgpr_workgroup_id_z 0
		.amdhsa_system_sgpr_workgroup_info 0
		.amdhsa_system_vgpr_workitem_id 0
		.amdhsa_next_free_vgpr 1
		.amdhsa_next_free_sgpr 1
		.amdhsa_reserve_vcc 0
		.amdhsa_reserve_flat_scratch 0
		.amdhsa_float_round_mode_32 0
		.amdhsa_float_round_mode_16_64 0
		.amdhsa_float_denorm_mode_32 3
		.amdhsa_float_denorm_mode_16_64 3
		.amdhsa_dx10_clamp 1
		.amdhsa_ieee_mode 1
		.amdhsa_fp16_overflow 0
		.amdhsa_workgroup_processor_mode 1
		.amdhsa_memory_ordered 1
		.amdhsa_forward_progress 1
		.amdhsa_shared_vgpr_count 0
		.amdhsa_exception_fp_ieee_invalid_op 0
		.amdhsa_exception_fp_denorm_src 0
		.amdhsa_exception_fp_ieee_div_zero 0
		.amdhsa_exception_fp_ieee_overflow 0
		.amdhsa_exception_fp_ieee_underflow 0
		.amdhsa_exception_fp_ieee_inexact 0
		.amdhsa_exception_int_div_zero 0
	.end_amdhsa_kernel
	.section	.text._ZN7rocprim17ROCPRIM_400000_NS6detail17trampoline_kernelINS0_14default_configENS1_35radix_sort_onesweep_config_selectorIiNS0_10empty_typeEEEZZNS1_29radix_sort_onesweep_iterationIS3_Lb0EN6thrust23THRUST_200600_302600_NS10device_ptrIiEESB_PS5_SC_jNS0_19identity_decomposerENS1_16block_id_wrapperIjLb0EEEEE10hipError_tT1_PNSt15iterator_traitsISH_E10value_typeET2_T3_PNSI_ISN_E10value_typeET4_T5_PSS_ST_PNS1_23onesweep_lookback_stateEbbT6_jjT7_P12ihipStream_tbENKUlT_T0_SH_SM_E_clISB_PiSC_SC_EEDaS10_S11_SH_SM_EUlS10_E_NS1_11comp_targetILNS1_3genE2ELNS1_11target_archE906ELNS1_3gpuE6ELNS1_3repE0EEENS1_47radix_sort_onesweep_sort_config_static_selectorELNS0_4arch9wavefront6targetE0EEEvSH_,"axG",@progbits,_ZN7rocprim17ROCPRIM_400000_NS6detail17trampoline_kernelINS0_14default_configENS1_35radix_sort_onesweep_config_selectorIiNS0_10empty_typeEEEZZNS1_29radix_sort_onesweep_iterationIS3_Lb0EN6thrust23THRUST_200600_302600_NS10device_ptrIiEESB_PS5_SC_jNS0_19identity_decomposerENS1_16block_id_wrapperIjLb0EEEEE10hipError_tT1_PNSt15iterator_traitsISH_E10value_typeET2_T3_PNSI_ISN_E10value_typeET4_T5_PSS_ST_PNS1_23onesweep_lookback_stateEbbT6_jjT7_P12ihipStream_tbENKUlT_T0_SH_SM_E_clISB_PiSC_SC_EEDaS10_S11_SH_SM_EUlS10_E_NS1_11comp_targetILNS1_3genE2ELNS1_11target_archE906ELNS1_3gpuE6ELNS1_3repE0EEENS1_47radix_sort_onesweep_sort_config_static_selectorELNS0_4arch9wavefront6targetE0EEEvSH_,comdat
.Lfunc_end1283:
	.size	_ZN7rocprim17ROCPRIM_400000_NS6detail17trampoline_kernelINS0_14default_configENS1_35radix_sort_onesweep_config_selectorIiNS0_10empty_typeEEEZZNS1_29radix_sort_onesweep_iterationIS3_Lb0EN6thrust23THRUST_200600_302600_NS10device_ptrIiEESB_PS5_SC_jNS0_19identity_decomposerENS1_16block_id_wrapperIjLb0EEEEE10hipError_tT1_PNSt15iterator_traitsISH_E10value_typeET2_T3_PNSI_ISN_E10value_typeET4_T5_PSS_ST_PNS1_23onesweep_lookback_stateEbbT6_jjT7_P12ihipStream_tbENKUlT_T0_SH_SM_E_clISB_PiSC_SC_EEDaS10_S11_SH_SM_EUlS10_E_NS1_11comp_targetILNS1_3genE2ELNS1_11target_archE906ELNS1_3gpuE6ELNS1_3repE0EEENS1_47radix_sort_onesweep_sort_config_static_selectorELNS0_4arch9wavefront6targetE0EEEvSH_, .Lfunc_end1283-_ZN7rocprim17ROCPRIM_400000_NS6detail17trampoline_kernelINS0_14default_configENS1_35radix_sort_onesweep_config_selectorIiNS0_10empty_typeEEEZZNS1_29radix_sort_onesweep_iterationIS3_Lb0EN6thrust23THRUST_200600_302600_NS10device_ptrIiEESB_PS5_SC_jNS0_19identity_decomposerENS1_16block_id_wrapperIjLb0EEEEE10hipError_tT1_PNSt15iterator_traitsISH_E10value_typeET2_T3_PNSI_ISN_E10value_typeET4_T5_PSS_ST_PNS1_23onesweep_lookback_stateEbbT6_jjT7_P12ihipStream_tbENKUlT_T0_SH_SM_E_clISB_PiSC_SC_EEDaS10_S11_SH_SM_EUlS10_E_NS1_11comp_targetILNS1_3genE2ELNS1_11target_archE906ELNS1_3gpuE6ELNS1_3repE0EEENS1_47radix_sort_onesweep_sort_config_static_selectorELNS0_4arch9wavefront6targetE0EEEvSH_
                                        ; -- End function
	.set _ZN7rocprim17ROCPRIM_400000_NS6detail17trampoline_kernelINS0_14default_configENS1_35radix_sort_onesweep_config_selectorIiNS0_10empty_typeEEEZZNS1_29radix_sort_onesweep_iterationIS3_Lb0EN6thrust23THRUST_200600_302600_NS10device_ptrIiEESB_PS5_SC_jNS0_19identity_decomposerENS1_16block_id_wrapperIjLb0EEEEE10hipError_tT1_PNSt15iterator_traitsISH_E10value_typeET2_T3_PNSI_ISN_E10value_typeET4_T5_PSS_ST_PNS1_23onesweep_lookback_stateEbbT6_jjT7_P12ihipStream_tbENKUlT_T0_SH_SM_E_clISB_PiSC_SC_EEDaS10_S11_SH_SM_EUlS10_E_NS1_11comp_targetILNS1_3genE2ELNS1_11target_archE906ELNS1_3gpuE6ELNS1_3repE0EEENS1_47radix_sort_onesweep_sort_config_static_selectorELNS0_4arch9wavefront6targetE0EEEvSH_.num_vgpr, 0
	.set _ZN7rocprim17ROCPRIM_400000_NS6detail17trampoline_kernelINS0_14default_configENS1_35radix_sort_onesweep_config_selectorIiNS0_10empty_typeEEEZZNS1_29radix_sort_onesweep_iterationIS3_Lb0EN6thrust23THRUST_200600_302600_NS10device_ptrIiEESB_PS5_SC_jNS0_19identity_decomposerENS1_16block_id_wrapperIjLb0EEEEE10hipError_tT1_PNSt15iterator_traitsISH_E10value_typeET2_T3_PNSI_ISN_E10value_typeET4_T5_PSS_ST_PNS1_23onesweep_lookback_stateEbbT6_jjT7_P12ihipStream_tbENKUlT_T0_SH_SM_E_clISB_PiSC_SC_EEDaS10_S11_SH_SM_EUlS10_E_NS1_11comp_targetILNS1_3genE2ELNS1_11target_archE906ELNS1_3gpuE6ELNS1_3repE0EEENS1_47radix_sort_onesweep_sort_config_static_selectorELNS0_4arch9wavefront6targetE0EEEvSH_.num_agpr, 0
	.set _ZN7rocprim17ROCPRIM_400000_NS6detail17trampoline_kernelINS0_14default_configENS1_35radix_sort_onesweep_config_selectorIiNS0_10empty_typeEEEZZNS1_29radix_sort_onesweep_iterationIS3_Lb0EN6thrust23THRUST_200600_302600_NS10device_ptrIiEESB_PS5_SC_jNS0_19identity_decomposerENS1_16block_id_wrapperIjLb0EEEEE10hipError_tT1_PNSt15iterator_traitsISH_E10value_typeET2_T3_PNSI_ISN_E10value_typeET4_T5_PSS_ST_PNS1_23onesweep_lookback_stateEbbT6_jjT7_P12ihipStream_tbENKUlT_T0_SH_SM_E_clISB_PiSC_SC_EEDaS10_S11_SH_SM_EUlS10_E_NS1_11comp_targetILNS1_3genE2ELNS1_11target_archE906ELNS1_3gpuE6ELNS1_3repE0EEENS1_47radix_sort_onesweep_sort_config_static_selectorELNS0_4arch9wavefront6targetE0EEEvSH_.numbered_sgpr, 0
	.set _ZN7rocprim17ROCPRIM_400000_NS6detail17trampoline_kernelINS0_14default_configENS1_35radix_sort_onesweep_config_selectorIiNS0_10empty_typeEEEZZNS1_29radix_sort_onesweep_iterationIS3_Lb0EN6thrust23THRUST_200600_302600_NS10device_ptrIiEESB_PS5_SC_jNS0_19identity_decomposerENS1_16block_id_wrapperIjLb0EEEEE10hipError_tT1_PNSt15iterator_traitsISH_E10value_typeET2_T3_PNSI_ISN_E10value_typeET4_T5_PSS_ST_PNS1_23onesweep_lookback_stateEbbT6_jjT7_P12ihipStream_tbENKUlT_T0_SH_SM_E_clISB_PiSC_SC_EEDaS10_S11_SH_SM_EUlS10_E_NS1_11comp_targetILNS1_3genE2ELNS1_11target_archE906ELNS1_3gpuE6ELNS1_3repE0EEENS1_47radix_sort_onesweep_sort_config_static_selectorELNS0_4arch9wavefront6targetE0EEEvSH_.num_named_barrier, 0
	.set _ZN7rocprim17ROCPRIM_400000_NS6detail17trampoline_kernelINS0_14default_configENS1_35radix_sort_onesweep_config_selectorIiNS0_10empty_typeEEEZZNS1_29radix_sort_onesweep_iterationIS3_Lb0EN6thrust23THRUST_200600_302600_NS10device_ptrIiEESB_PS5_SC_jNS0_19identity_decomposerENS1_16block_id_wrapperIjLb0EEEEE10hipError_tT1_PNSt15iterator_traitsISH_E10value_typeET2_T3_PNSI_ISN_E10value_typeET4_T5_PSS_ST_PNS1_23onesweep_lookback_stateEbbT6_jjT7_P12ihipStream_tbENKUlT_T0_SH_SM_E_clISB_PiSC_SC_EEDaS10_S11_SH_SM_EUlS10_E_NS1_11comp_targetILNS1_3genE2ELNS1_11target_archE906ELNS1_3gpuE6ELNS1_3repE0EEENS1_47radix_sort_onesweep_sort_config_static_selectorELNS0_4arch9wavefront6targetE0EEEvSH_.private_seg_size, 0
	.set _ZN7rocprim17ROCPRIM_400000_NS6detail17trampoline_kernelINS0_14default_configENS1_35radix_sort_onesweep_config_selectorIiNS0_10empty_typeEEEZZNS1_29radix_sort_onesweep_iterationIS3_Lb0EN6thrust23THRUST_200600_302600_NS10device_ptrIiEESB_PS5_SC_jNS0_19identity_decomposerENS1_16block_id_wrapperIjLb0EEEEE10hipError_tT1_PNSt15iterator_traitsISH_E10value_typeET2_T3_PNSI_ISN_E10value_typeET4_T5_PSS_ST_PNS1_23onesweep_lookback_stateEbbT6_jjT7_P12ihipStream_tbENKUlT_T0_SH_SM_E_clISB_PiSC_SC_EEDaS10_S11_SH_SM_EUlS10_E_NS1_11comp_targetILNS1_3genE2ELNS1_11target_archE906ELNS1_3gpuE6ELNS1_3repE0EEENS1_47radix_sort_onesweep_sort_config_static_selectorELNS0_4arch9wavefront6targetE0EEEvSH_.uses_vcc, 0
	.set _ZN7rocprim17ROCPRIM_400000_NS6detail17trampoline_kernelINS0_14default_configENS1_35radix_sort_onesweep_config_selectorIiNS0_10empty_typeEEEZZNS1_29radix_sort_onesweep_iterationIS3_Lb0EN6thrust23THRUST_200600_302600_NS10device_ptrIiEESB_PS5_SC_jNS0_19identity_decomposerENS1_16block_id_wrapperIjLb0EEEEE10hipError_tT1_PNSt15iterator_traitsISH_E10value_typeET2_T3_PNSI_ISN_E10value_typeET4_T5_PSS_ST_PNS1_23onesweep_lookback_stateEbbT6_jjT7_P12ihipStream_tbENKUlT_T0_SH_SM_E_clISB_PiSC_SC_EEDaS10_S11_SH_SM_EUlS10_E_NS1_11comp_targetILNS1_3genE2ELNS1_11target_archE906ELNS1_3gpuE6ELNS1_3repE0EEENS1_47radix_sort_onesweep_sort_config_static_selectorELNS0_4arch9wavefront6targetE0EEEvSH_.uses_flat_scratch, 0
	.set _ZN7rocprim17ROCPRIM_400000_NS6detail17trampoline_kernelINS0_14default_configENS1_35radix_sort_onesweep_config_selectorIiNS0_10empty_typeEEEZZNS1_29radix_sort_onesweep_iterationIS3_Lb0EN6thrust23THRUST_200600_302600_NS10device_ptrIiEESB_PS5_SC_jNS0_19identity_decomposerENS1_16block_id_wrapperIjLb0EEEEE10hipError_tT1_PNSt15iterator_traitsISH_E10value_typeET2_T3_PNSI_ISN_E10value_typeET4_T5_PSS_ST_PNS1_23onesweep_lookback_stateEbbT6_jjT7_P12ihipStream_tbENKUlT_T0_SH_SM_E_clISB_PiSC_SC_EEDaS10_S11_SH_SM_EUlS10_E_NS1_11comp_targetILNS1_3genE2ELNS1_11target_archE906ELNS1_3gpuE6ELNS1_3repE0EEENS1_47radix_sort_onesweep_sort_config_static_selectorELNS0_4arch9wavefront6targetE0EEEvSH_.has_dyn_sized_stack, 0
	.set _ZN7rocprim17ROCPRIM_400000_NS6detail17trampoline_kernelINS0_14default_configENS1_35radix_sort_onesweep_config_selectorIiNS0_10empty_typeEEEZZNS1_29radix_sort_onesweep_iterationIS3_Lb0EN6thrust23THRUST_200600_302600_NS10device_ptrIiEESB_PS5_SC_jNS0_19identity_decomposerENS1_16block_id_wrapperIjLb0EEEEE10hipError_tT1_PNSt15iterator_traitsISH_E10value_typeET2_T3_PNSI_ISN_E10value_typeET4_T5_PSS_ST_PNS1_23onesweep_lookback_stateEbbT6_jjT7_P12ihipStream_tbENKUlT_T0_SH_SM_E_clISB_PiSC_SC_EEDaS10_S11_SH_SM_EUlS10_E_NS1_11comp_targetILNS1_3genE2ELNS1_11target_archE906ELNS1_3gpuE6ELNS1_3repE0EEENS1_47radix_sort_onesweep_sort_config_static_selectorELNS0_4arch9wavefront6targetE0EEEvSH_.has_recursion, 0
	.set _ZN7rocprim17ROCPRIM_400000_NS6detail17trampoline_kernelINS0_14default_configENS1_35radix_sort_onesweep_config_selectorIiNS0_10empty_typeEEEZZNS1_29radix_sort_onesweep_iterationIS3_Lb0EN6thrust23THRUST_200600_302600_NS10device_ptrIiEESB_PS5_SC_jNS0_19identity_decomposerENS1_16block_id_wrapperIjLb0EEEEE10hipError_tT1_PNSt15iterator_traitsISH_E10value_typeET2_T3_PNSI_ISN_E10value_typeET4_T5_PSS_ST_PNS1_23onesweep_lookback_stateEbbT6_jjT7_P12ihipStream_tbENKUlT_T0_SH_SM_E_clISB_PiSC_SC_EEDaS10_S11_SH_SM_EUlS10_E_NS1_11comp_targetILNS1_3genE2ELNS1_11target_archE906ELNS1_3gpuE6ELNS1_3repE0EEENS1_47radix_sort_onesweep_sort_config_static_selectorELNS0_4arch9wavefront6targetE0EEEvSH_.has_indirect_call, 0
	.section	.AMDGPU.csdata,"",@progbits
; Kernel info:
; codeLenInByte = 0
; TotalNumSgprs: 0
; NumVgprs: 0
; ScratchSize: 0
; MemoryBound: 0
; FloatMode: 240
; IeeeMode: 1
; LDSByteSize: 0 bytes/workgroup (compile time only)
; SGPRBlocks: 0
; VGPRBlocks: 0
; NumSGPRsForWavesPerEU: 1
; NumVGPRsForWavesPerEU: 1
; Occupancy: 16
; WaveLimiterHint : 0
; COMPUTE_PGM_RSRC2:SCRATCH_EN: 0
; COMPUTE_PGM_RSRC2:USER_SGPR: 6
; COMPUTE_PGM_RSRC2:TRAP_HANDLER: 0
; COMPUTE_PGM_RSRC2:TGID_X_EN: 1
; COMPUTE_PGM_RSRC2:TGID_Y_EN: 0
; COMPUTE_PGM_RSRC2:TGID_Z_EN: 0
; COMPUTE_PGM_RSRC2:TIDIG_COMP_CNT: 0
	.section	.text._ZN7rocprim17ROCPRIM_400000_NS6detail17trampoline_kernelINS0_14default_configENS1_35radix_sort_onesweep_config_selectorIiNS0_10empty_typeEEEZZNS1_29radix_sort_onesweep_iterationIS3_Lb0EN6thrust23THRUST_200600_302600_NS10device_ptrIiEESB_PS5_SC_jNS0_19identity_decomposerENS1_16block_id_wrapperIjLb0EEEEE10hipError_tT1_PNSt15iterator_traitsISH_E10value_typeET2_T3_PNSI_ISN_E10value_typeET4_T5_PSS_ST_PNS1_23onesweep_lookback_stateEbbT6_jjT7_P12ihipStream_tbENKUlT_T0_SH_SM_E_clISB_PiSC_SC_EEDaS10_S11_SH_SM_EUlS10_E_NS1_11comp_targetILNS1_3genE4ELNS1_11target_archE910ELNS1_3gpuE8ELNS1_3repE0EEENS1_47radix_sort_onesweep_sort_config_static_selectorELNS0_4arch9wavefront6targetE0EEEvSH_,"axG",@progbits,_ZN7rocprim17ROCPRIM_400000_NS6detail17trampoline_kernelINS0_14default_configENS1_35radix_sort_onesweep_config_selectorIiNS0_10empty_typeEEEZZNS1_29radix_sort_onesweep_iterationIS3_Lb0EN6thrust23THRUST_200600_302600_NS10device_ptrIiEESB_PS5_SC_jNS0_19identity_decomposerENS1_16block_id_wrapperIjLb0EEEEE10hipError_tT1_PNSt15iterator_traitsISH_E10value_typeET2_T3_PNSI_ISN_E10value_typeET4_T5_PSS_ST_PNS1_23onesweep_lookback_stateEbbT6_jjT7_P12ihipStream_tbENKUlT_T0_SH_SM_E_clISB_PiSC_SC_EEDaS10_S11_SH_SM_EUlS10_E_NS1_11comp_targetILNS1_3genE4ELNS1_11target_archE910ELNS1_3gpuE8ELNS1_3repE0EEENS1_47radix_sort_onesweep_sort_config_static_selectorELNS0_4arch9wavefront6targetE0EEEvSH_,comdat
	.protected	_ZN7rocprim17ROCPRIM_400000_NS6detail17trampoline_kernelINS0_14default_configENS1_35radix_sort_onesweep_config_selectorIiNS0_10empty_typeEEEZZNS1_29radix_sort_onesweep_iterationIS3_Lb0EN6thrust23THRUST_200600_302600_NS10device_ptrIiEESB_PS5_SC_jNS0_19identity_decomposerENS1_16block_id_wrapperIjLb0EEEEE10hipError_tT1_PNSt15iterator_traitsISH_E10value_typeET2_T3_PNSI_ISN_E10value_typeET4_T5_PSS_ST_PNS1_23onesweep_lookback_stateEbbT6_jjT7_P12ihipStream_tbENKUlT_T0_SH_SM_E_clISB_PiSC_SC_EEDaS10_S11_SH_SM_EUlS10_E_NS1_11comp_targetILNS1_3genE4ELNS1_11target_archE910ELNS1_3gpuE8ELNS1_3repE0EEENS1_47radix_sort_onesweep_sort_config_static_selectorELNS0_4arch9wavefront6targetE0EEEvSH_ ; -- Begin function _ZN7rocprim17ROCPRIM_400000_NS6detail17trampoline_kernelINS0_14default_configENS1_35radix_sort_onesweep_config_selectorIiNS0_10empty_typeEEEZZNS1_29radix_sort_onesweep_iterationIS3_Lb0EN6thrust23THRUST_200600_302600_NS10device_ptrIiEESB_PS5_SC_jNS0_19identity_decomposerENS1_16block_id_wrapperIjLb0EEEEE10hipError_tT1_PNSt15iterator_traitsISH_E10value_typeET2_T3_PNSI_ISN_E10value_typeET4_T5_PSS_ST_PNS1_23onesweep_lookback_stateEbbT6_jjT7_P12ihipStream_tbENKUlT_T0_SH_SM_E_clISB_PiSC_SC_EEDaS10_S11_SH_SM_EUlS10_E_NS1_11comp_targetILNS1_3genE4ELNS1_11target_archE910ELNS1_3gpuE8ELNS1_3repE0EEENS1_47radix_sort_onesweep_sort_config_static_selectorELNS0_4arch9wavefront6targetE0EEEvSH_
	.globl	_ZN7rocprim17ROCPRIM_400000_NS6detail17trampoline_kernelINS0_14default_configENS1_35radix_sort_onesweep_config_selectorIiNS0_10empty_typeEEEZZNS1_29radix_sort_onesweep_iterationIS3_Lb0EN6thrust23THRUST_200600_302600_NS10device_ptrIiEESB_PS5_SC_jNS0_19identity_decomposerENS1_16block_id_wrapperIjLb0EEEEE10hipError_tT1_PNSt15iterator_traitsISH_E10value_typeET2_T3_PNSI_ISN_E10value_typeET4_T5_PSS_ST_PNS1_23onesweep_lookback_stateEbbT6_jjT7_P12ihipStream_tbENKUlT_T0_SH_SM_E_clISB_PiSC_SC_EEDaS10_S11_SH_SM_EUlS10_E_NS1_11comp_targetILNS1_3genE4ELNS1_11target_archE910ELNS1_3gpuE8ELNS1_3repE0EEENS1_47radix_sort_onesweep_sort_config_static_selectorELNS0_4arch9wavefront6targetE0EEEvSH_
	.p2align	8
	.type	_ZN7rocprim17ROCPRIM_400000_NS6detail17trampoline_kernelINS0_14default_configENS1_35radix_sort_onesweep_config_selectorIiNS0_10empty_typeEEEZZNS1_29radix_sort_onesweep_iterationIS3_Lb0EN6thrust23THRUST_200600_302600_NS10device_ptrIiEESB_PS5_SC_jNS0_19identity_decomposerENS1_16block_id_wrapperIjLb0EEEEE10hipError_tT1_PNSt15iterator_traitsISH_E10value_typeET2_T3_PNSI_ISN_E10value_typeET4_T5_PSS_ST_PNS1_23onesweep_lookback_stateEbbT6_jjT7_P12ihipStream_tbENKUlT_T0_SH_SM_E_clISB_PiSC_SC_EEDaS10_S11_SH_SM_EUlS10_E_NS1_11comp_targetILNS1_3genE4ELNS1_11target_archE910ELNS1_3gpuE8ELNS1_3repE0EEENS1_47radix_sort_onesweep_sort_config_static_selectorELNS0_4arch9wavefront6targetE0EEEvSH_,@function
_ZN7rocprim17ROCPRIM_400000_NS6detail17trampoline_kernelINS0_14default_configENS1_35radix_sort_onesweep_config_selectorIiNS0_10empty_typeEEEZZNS1_29radix_sort_onesweep_iterationIS3_Lb0EN6thrust23THRUST_200600_302600_NS10device_ptrIiEESB_PS5_SC_jNS0_19identity_decomposerENS1_16block_id_wrapperIjLb0EEEEE10hipError_tT1_PNSt15iterator_traitsISH_E10value_typeET2_T3_PNSI_ISN_E10value_typeET4_T5_PSS_ST_PNS1_23onesweep_lookback_stateEbbT6_jjT7_P12ihipStream_tbENKUlT_T0_SH_SM_E_clISB_PiSC_SC_EEDaS10_S11_SH_SM_EUlS10_E_NS1_11comp_targetILNS1_3genE4ELNS1_11target_archE910ELNS1_3gpuE8ELNS1_3repE0EEENS1_47radix_sort_onesweep_sort_config_static_selectorELNS0_4arch9wavefront6targetE0EEEvSH_: ; @_ZN7rocprim17ROCPRIM_400000_NS6detail17trampoline_kernelINS0_14default_configENS1_35radix_sort_onesweep_config_selectorIiNS0_10empty_typeEEEZZNS1_29radix_sort_onesweep_iterationIS3_Lb0EN6thrust23THRUST_200600_302600_NS10device_ptrIiEESB_PS5_SC_jNS0_19identity_decomposerENS1_16block_id_wrapperIjLb0EEEEE10hipError_tT1_PNSt15iterator_traitsISH_E10value_typeET2_T3_PNSI_ISN_E10value_typeET4_T5_PSS_ST_PNS1_23onesweep_lookback_stateEbbT6_jjT7_P12ihipStream_tbENKUlT_T0_SH_SM_E_clISB_PiSC_SC_EEDaS10_S11_SH_SM_EUlS10_E_NS1_11comp_targetILNS1_3genE4ELNS1_11target_archE910ELNS1_3gpuE8ELNS1_3repE0EEENS1_47radix_sort_onesweep_sort_config_static_selectorELNS0_4arch9wavefront6targetE0EEEvSH_
; %bb.0:
	.section	.rodata,"a",@progbits
	.p2align	6, 0x0
	.amdhsa_kernel _ZN7rocprim17ROCPRIM_400000_NS6detail17trampoline_kernelINS0_14default_configENS1_35radix_sort_onesweep_config_selectorIiNS0_10empty_typeEEEZZNS1_29radix_sort_onesweep_iterationIS3_Lb0EN6thrust23THRUST_200600_302600_NS10device_ptrIiEESB_PS5_SC_jNS0_19identity_decomposerENS1_16block_id_wrapperIjLb0EEEEE10hipError_tT1_PNSt15iterator_traitsISH_E10value_typeET2_T3_PNSI_ISN_E10value_typeET4_T5_PSS_ST_PNS1_23onesweep_lookback_stateEbbT6_jjT7_P12ihipStream_tbENKUlT_T0_SH_SM_E_clISB_PiSC_SC_EEDaS10_S11_SH_SM_EUlS10_E_NS1_11comp_targetILNS1_3genE4ELNS1_11target_archE910ELNS1_3gpuE8ELNS1_3repE0EEENS1_47radix_sort_onesweep_sort_config_static_selectorELNS0_4arch9wavefront6targetE0EEEvSH_
		.amdhsa_group_segment_fixed_size 0
		.amdhsa_private_segment_fixed_size 0
		.amdhsa_kernarg_size 88
		.amdhsa_user_sgpr_count 6
		.amdhsa_user_sgpr_private_segment_buffer 1
		.amdhsa_user_sgpr_dispatch_ptr 0
		.amdhsa_user_sgpr_queue_ptr 0
		.amdhsa_user_sgpr_kernarg_segment_ptr 1
		.amdhsa_user_sgpr_dispatch_id 0
		.amdhsa_user_sgpr_flat_scratch_init 0
		.amdhsa_user_sgpr_private_segment_size 0
		.amdhsa_wavefront_size32 1
		.amdhsa_uses_dynamic_stack 0
		.amdhsa_system_sgpr_private_segment_wavefront_offset 0
		.amdhsa_system_sgpr_workgroup_id_x 1
		.amdhsa_system_sgpr_workgroup_id_y 0
		.amdhsa_system_sgpr_workgroup_id_z 0
		.amdhsa_system_sgpr_workgroup_info 0
		.amdhsa_system_vgpr_workitem_id 0
		.amdhsa_next_free_vgpr 1
		.amdhsa_next_free_sgpr 1
		.amdhsa_reserve_vcc 0
		.amdhsa_reserve_flat_scratch 0
		.amdhsa_float_round_mode_32 0
		.amdhsa_float_round_mode_16_64 0
		.amdhsa_float_denorm_mode_32 3
		.amdhsa_float_denorm_mode_16_64 3
		.amdhsa_dx10_clamp 1
		.amdhsa_ieee_mode 1
		.amdhsa_fp16_overflow 0
		.amdhsa_workgroup_processor_mode 1
		.amdhsa_memory_ordered 1
		.amdhsa_forward_progress 1
		.amdhsa_shared_vgpr_count 0
		.amdhsa_exception_fp_ieee_invalid_op 0
		.amdhsa_exception_fp_denorm_src 0
		.amdhsa_exception_fp_ieee_div_zero 0
		.amdhsa_exception_fp_ieee_overflow 0
		.amdhsa_exception_fp_ieee_underflow 0
		.amdhsa_exception_fp_ieee_inexact 0
		.amdhsa_exception_int_div_zero 0
	.end_amdhsa_kernel
	.section	.text._ZN7rocprim17ROCPRIM_400000_NS6detail17trampoline_kernelINS0_14default_configENS1_35radix_sort_onesweep_config_selectorIiNS0_10empty_typeEEEZZNS1_29radix_sort_onesweep_iterationIS3_Lb0EN6thrust23THRUST_200600_302600_NS10device_ptrIiEESB_PS5_SC_jNS0_19identity_decomposerENS1_16block_id_wrapperIjLb0EEEEE10hipError_tT1_PNSt15iterator_traitsISH_E10value_typeET2_T3_PNSI_ISN_E10value_typeET4_T5_PSS_ST_PNS1_23onesweep_lookback_stateEbbT6_jjT7_P12ihipStream_tbENKUlT_T0_SH_SM_E_clISB_PiSC_SC_EEDaS10_S11_SH_SM_EUlS10_E_NS1_11comp_targetILNS1_3genE4ELNS1_11target_archE910ELNS1_3gpuE8ELNS1_3repE0EEENS1_47radix_sort_onesweep_sort_config_static_selectorELNS0_4arch9wavefront6targetE0EEEvSH_,"axG",@progbits,_ZN7rocprim17ROCPRIM_400000_NS6detail17trampoline_kernelINS0_14default_configENS1_35radix_sort_onesweep_config_selectorIiNS0_10empty_typeEEEZZNS1_29radix_sort_onesweep_iterationIS3_Lb0EN6thrust23THRUST_200600_302600_NS10device_ptrIiEESB_PS5_SC_jNS0_19identity_decomposerENS1_16block_id_wrapperIjLb0EEEEE10hipError_tT1_PNSt15iterator_traitsISH_E10value_typeET2_T3_PNSI_ISN_E10value_typeET4_T5_PSS_ST_PNS1_23onesweep_lookback_stateEbbT6_jjT7_P12ihipStream_tbENKUlT_T0_SH_SM_E_clISB_PiSC_SC_EEDaS10_S11_SH_SM_EUlS10_E_NS1_11comp_targetILNS1_3genE4ELNS1_11target_archE910ELNS1_3gpuE8ELNS1_3repE0EEENS1_47radix_sort_onesweep_sort_config_static_selectorELNS0_4arch9wavefront6targetE0EEEvSH_,comdat
.Lfunc_end1284:
	.size	_ZN7rocprim17ROCPRIM_400000_NS6detail17trampoline_kernelINS0_14default_configENS1_35radix_sort_onesweep_config_selectorIiNS0_10empty_typeEEEZZNS1_29radix_sort_onesweep_iterationIS3_Lb0EN6thrust23THRUST_200600_302600_NS10device_ptrIiEESB_PS5_SC_jNS0_19identity_decomposerENS1_16block_id_wrapperIjLb0EEEEE10hipError_tT1_PNSt15iterator_traitsISH_E10value_typeET2_T3_PNSI_ISN_E10value_typeET4_T5_PSS_ST_PNS1_23onesweep_lookback_stateEbbT6_jjT7_P12ihipStream_tbENKUlT_T0_SH_SM_E_clISB_PiSC_SC_EEDaS10_S11_SH_SM_EUlS10_E_NS1_11comp_targetILNS1_3genE4ELNS1_11target_archE910ELNS1_3gpuE8ELNS1_3repE0EEENS1_47radix_sort_onesweep_sort_config_static_selectorELNS0_4arch9wavefront6targetE0EEEvSH_, .Lfunc_end1284-_ZN7rocprim17ROCPRIM_400000_NS6detail17trampoline_kernelINS0_14default_configENS1_35radix_sort_onesweep_config_selectorIiNS0_10empty_typeEEEZZNS1_29radix_sort_onesweep_iterationIS3_Lb0EN6thrust23THRUST_200600_302600_NS10device_ptrIiEESB_PS5_SC_jNS0_19identity_decomposerENS1_16block_id_wrapperIjLb0EEEEE10hipError_tT1_PNSt15iterator_traitsISH_E10value_typeET2_T3_PNSI_ISN_E10value_typeET4_T5_PSS_ST_PNS1_23onesweep_lookback_stateEbbT6_jjT7_P12ihipStream_tbENKUlT_T0_SH_SM_E_clISB_PiSC_SC_EEDaS10_S11_SH_SM_EUlS10_E_NS1_11comp_targetILNS1_3genE4ELNS1_11target_archE910ELNS1_3gpuE8ELNS1_3repE0EEENS1_47radix_sort_onesweep_sort_config_static_selectorELNS0_4arch9wavefront6targetE0EEEvSH_
                                        ; -- End function
	.set _ZN7rocprim17ROCPRIM_400000_NS6detail17trampoline_kernelINS0_14default_configENS1_35radix_sort_onesweep_config_selectorIiNS0_10empty_typeEEEZZNS1_29radix_sort_onesweep_iterationIS3_Lb0EN6thrust23THRUST_200600_302600_NS10device_ptrIiEESB_PS5_SC_jNS0_19identity_decomposerENS1_16block_id_wrapperIjLb0EEEEE10hipError_tT1_PNSt15iterator_traitsISH_E10value_typeET2_T3_PNSI_ISN_E10value_typeET4_T5_PSS_ST_PNS1_23onesweep_lookback_stateEbbT6_jjT7_P12ihipStream_tbENKUlT_T0_SH_SM_E_clISB_PiSC_SC_EEDaS10_S11_SH_SM_EUlS10_E_NS1_11comp_targetILNS1_3genE4ELNS1_11target_archE910ELNS1_3gpuE8ELNS1_3repE0EEENS1_47radix_sort_onesweep_sort_config_static_selectorELNS0_4arch9wavefront6targetE0EEEvSH_.num_vgpr, 0
	.set _ZN7rocprim17ROCPRIM_400000_NS6detail17trampoline_kernelINS0_14default_configENS1_35radix_sort_onesweep_config_selectorIiNS0_10empty_typeEEEZZNS1_29radix_sort_onesweep_iterationIS3_Lb0EN6thrust23THRUST_200600_302600_NS10device_ptrIiEESB_PS5_SC_jNS0_19identity_decomposerENS1_16block_id_wrapperIjLb0EEEEE10hipError_tT1_PNSt15iterator_traitsISH_E10value_typeET2_T3_PNSI_ISN_E10value_typeET4_T5_PSS_ST_PNS1_23onesweep_lookback_stateEbbT6_jjT7_P12ihipStream_tbENKUlT_T0_SH_SM_E_clISB_PiSC_SC_EEDaS10_S11_SH_SM_EUlS10_E_NS1_11comp_targetILNS1_3genE4ELNS1_11target_archE910ELNS1_3gpuE8ELNS1_3repE0EEENS1_47radix_sort_onesweep_sort_config_static_selectorELNS0_4arch9wavefront6targetE0EEEvSH_.num_agpr, 0
	.set _ZN7rocprim17ROCPRIM_400000_NS6detail17trampoline_kernelINS0_14default_configENS1_35radix_sort_onesweep_config_selectorIiNS0_10empty_typeEEEZZNS1_29radix_sort_onesweep_iterationIS3_Lb0EN6thrust23THRUST_200600_302600_NS10device_ptrIiEESB_PS5_SC_jNS0_19identity_decomposerENS1_16block_id_wrapperIjLb0EEEEE10hipError_tT1_PNSt15iterator_traitsISH_E10value_typeET2_T3_PNSI_ISN_E10value_typeET4_T5_PSS_ST_PNS1_23onesweep_lookback_stateEbbT6_jjT7_P12ihipStream_tbENKUlT_T0_SH_SM_E_clISB_PiSC_SC_EEDaS10_S11_SH_SM_EUlS10_E_NS1_11comp_targetILNS1_3genE4ELNS1_11target_archE910ELNS1_3gpuE8ELNS1_3repE0EEENS1_47radix_sort_onesweep_sort_config_static_selectorELNS0_4arch9wavefront6targetE0EEEvSH_.numbered_sgpr, 0
	.set _ZN7rocprim17ROCPRIM_400000_NS6detail17trampoline_kernelINS0_14default_configENS1_35radix_sort_onesweep_config_selectorIiNS0_10empty_typeEEEZZNS1_29radix_sort_onesweep_iterationIS3_Lb0EN6thrust23THRUST_200600_302600_NS10device_ptrIiEESB_PS5_SC_jNS0_19identity_decomposerENS1_16block_id_wrapperIjLb0EEEEE10hipError_tT1_PNSt15iterator_traitsISH_E10value_typeET2_T3_PNSI_ISN_E10value_typeET4_T5_PSS_ST_PNS1_23onesweep_lookback_stateEbbT6_jjT7_P12ihipStream_tbENKUlT_T0_SH_SM_E_clISB_PiSC_SC_EEDaS10_S11_SH_SM_EUlS10_E_NS1_11comp_targetILNS1_3genE4ELNS1_11target_archE910ELNS1_3gpuE8ELNS1_3repE0EEENS1_47radix_sort_onesweep_sort_config_static_selectorELNS0_4arch9wavefront6targetE0EEEvSH_.num_named_barrier, 0
	.set _ZN7rocprim17ROCPRIM_400000_NS6detail17trampoline_kernelINS0_14default_configENS1_35radix_sort_onesweep_config_selectorIiNS0_10empty_typeEEEZZNS1_29radix_sort_onesweep_iterationIS3_Lb0EN6thrust23THRUST_200600_302600_NS10device_ptrIiEESB_PS5_SC_jNS0_19identity_decomposerENS1_16block_id_wrapperIjLb0EEEEE10hipError_tT1_PNSt15iterator_traitsISH_E10value_typeET2_T3_PNSI_ISN_E10value_typeET4_T5_PSS_ST_PNS1_23onesweep_lookback_stateEbbT6_jjT7_P12ihipStream_tbENKUlT_T0_SH_SM_E_clISB_PiSC_SC_EEDaS10_S11_SH_SM_EUlS10_E_NS1_11comp_targetILNS1_3genE4ELNS1_11target_archE910ELNS1_3gpuE8ELNS1_3repE0EEENS1_47radix_sort_onesweep_sort_config_static_selectorELNS0_4arch9wavefront6targetE0EEEvSH_.private_seg_size, 0
	.set _ZN7rocprim17ROCPRIM_400000_NS6detail17trampoline_kernelINS0_14default_configENS1_35radix_sort_onesweep_config_selectorIiNS0_10empty_typeEEEZZNS1_29radix_sort_onesweep_iterationIS3_Lb0EN6thrust23THRUST_200600_302600_NS10device_ptrIiEESB_PS5_SC_jNS0_19identity_decomposerENS1_16block_id_wrapperIjLb0EEEEE10hipError_tT1_PNSt15iterator_traitsISH_E10value_typeET2_T3_PNSI_ISN_E10value_typeET4_T5_PSS_ST_PNS1_23onesweep_lookback_stateEbbT6_jjT7_P12ihipStream_tbENKUlT_T0_SH_SM_E_clISB_PiSC_SC_EEDaS10_S11_SH_SM_EUlS10_E_NS1_11comp_targetILNS1_3genE4ELNS1_11target_archE910ELNS1_3gpuE8ELNS1_3repE0EEENS1_47radix_sort_onesweep_sort_config_static_selectorELNS0_4arch9wavefront6targetE0EEEvSH_.uses_vcc, 0
	.set _ZN7rocprim17ROCPRIM_400000_NS6detail17trampoline_kernelINS0_14default_configENS1_35radix_sort_onesweep_config_selectorIiNS0_10empty_typeEEEZZNS1_29radix_sort_onesweep_iterationIS3_Lb0EN6thrust23THRUST_200600_302600_NS10device_ptrIiEESB_PS5_SC_jNS0_19identity_decomposerENS1_16block_id_wrapperIjLb0EEEEE10hipError_tT1_PNSt15iterator_traitsISH_E10value_typeET2_T3_PNSI_ISN_E10value_typeET4_T5_PSS_ST_PNS1_23onesweep_lookback_stateEbbT6_jjT7_P12ihipStream_tbENKUlT_T0_SH_SM_E_clISB_PiSC_SC_EEDaS10_S11_SH_SM_EUlS10_E_NS1_11comp_targetILNS1_3genE4ELNS1_11target_archE910ELNS1_3gpuE8ELNS1_3repE0EEENS1_47radix_sort_onesweep_sort_config_static_selectorELNS0_4arch9wavefront6targetE0EEEvSH_.uses_flat_scratch, 0
	.set _ZN7rocprim17ROCPRIM_400000_NS6detail17trampoline_kernelINS0_14default_configENS1_35radix_sort_onesweep_config_selectorIiNS0_10empty_typeEEEZZNS1_29radix_sort_onesweep_iterationIS3_Lb0EN6thrust23THRUST_200600_302600_NS10device_ptrIiEESB_PS5_SC_jNS0_19identity_decomposerENS1_16block_id_wrapperIjLb0EEEEE10hipError_tT1_PNSt15iterator_traitsISH_E10value_typeET2_T3_PNSI_ISN_E10value_typeET4_T5_PSS_ST_PNS1_23onesweep_lookback_stateEbbT6_jjT7_P12ihipStream_tbENKUlT_T0_SH_SM_E_clISB_PiSC_SC_EEDaS10_S11_SH_SM_EUlS10_E_NS1_11comp_targetILNS1_3genE4ELNS1_11target_archE910ELNS1_3gpuE8ELNS1_3repE0EEENS1_47radix_sort_onesweep_sort_config_static_selectorELNS0_4arch9wavefront6targetE0EEEvSH_.has_dyn_sized_stack, 0
	.set _ZN7rocprim17ROCPRIM_400000_NS6detail17trampoline_kernelINS0_14default_configENS1_35radix_sort_onesweep_config_selectorIiNS0_10empty_typeEEEZZNS1_29radix_sort_onesweep_iterationIS3_Lb0EN6thrust23THRUST_200600_302600_NS10device_ptrIiEESB_PS5_SC_jNS0_19identity_decomposerENS1_16block_id_wrapperIjLb0EEEEE10hipError_tT1_PNSt15iterator_traitsISH_E10value_typeET2_T3_PNSI_ISN_E10value_typeET4_T5_PSS_ST_PNS1_23onesweep_lookback_stateEbbT6_jjT7_P12ihipStream_tbENKUlT_T0_SH_SM_E_clISB_PiSC_SC_EEDaS10_S11_SH_SM_EUlS10_E_NS1_11comp_targetILNS1_3genE4ELNS1_11target_archE910ELNS1_3gpuE8ELNS1_3repE0EEENS1_47radix_sort_onesweep_sort_config_static_selectorELNS0_4arch9wavefront6targetE0EEEvSH_.has_recursion, 0
	.set _ZN7rocprim17ROCPRIM_400000_NS6detail17trampoline_kernelINS0_14default_configENS1_35radix_sort_onesweep_config_selectorIiNS0_10empty_typeEEEZZNS1_29radix_sort_onesweep_iterationIS3_Lb0EN6thrust23THRUST_200600_302600_NS10device_ptrIiEESB_PS5_SC_jNS0_19identity_decomposerENS1_16block_id_wrapperIjLb0EEEEE10hipError_tT1_PNSt15iterator_traitsISH_E10value_typeET2_T3_PNSI_ISN_E10value_typeET4_T5_PSS_ST_PNS1_23onesweep_lookback_stateEbbT6_jjT7_P12ihipStream_tbENKUlT_T0_SH_SM_E_clISB_PiSC_SC_EEDaS10_S11_SH_SM_EUlS10_E_NS1_11comp_targetILNS1_3genE4ELNS1_11target_archE910ELNS1_3gpuE8ELNS1_3repE0EEENS1_47radix_sort_onesweep_sort_config_static_selectorELNS0_4arch9wavefront6targetE0EEEvSH_.has_indirect_call, 0
	.section	.AMDGPU.csdata,"",@progbits
; Kernel info:
; codeLenInByte = 0
; TotalNumSgprs: 0
; NumVgprs: 0
; ScratchSize: 0
; MemoryBound: 0
; FloatMode: 240
; IeeeMode: 1
; LDSByteSize: 0 bytes/workgroup (compile time only)
; SGPRBlocks: 0
; VGPRBlocks: 0
; NumSGPRsForWavesPerEU: 1
; NumVGPRsForWavesPerEU: 1
; Occupancy: 16
; WaveLimiterHint : 0
; COMPUTE_PGM_RSRC2:SCRATCH_EN: 0
; COMPUTE_PGM_RSRC2:USER_SGPR: 6
; COMPUTE_PGM_RSRC2:TRAP_HANDLER: 0
; COMPUTE_PGM_RSRC2:TGID_X_EN: 1
; COMPUTE_PGM_RSRC2:TGID_Y_EN: 0
; COMPUTE_PGM_RSRC2:TGID_Z_EN: 0
; COMPUTE_PGM_RSRC2:TIDIG_COMP_CNT: 0
	.section	.text._ZN7rocprim17ROCPRIM_400000_NS6detail17trampoline_kernelINS0_14default_configENS1_35radix_sort_onesweep_config_selectorIiNS0_10empty_typeEEEZZNS1_29radix_sort_onesweep_iterationIS3_Lb0EN6thrust23THRUST_200600_302600_NS10device_ptrIiEESB_PS5_SC_jNS0_19identity_decomposerENS1_16block_id_wrapperIjLb0EEEEE10hipError_tT1_PNSt15iterator_traitsISH_E10value_typeET2_T3_PNSI_ISN_E10value_typeET4_T5_PSS_ST_PNS1_23onesweep_lookback_stateEbbT6_jjT7_P12ihipStream_tbENKUlT_T0_SH_SM_E_clISB_PiSC_SC_EEDaS10_S11_SH_SM_EUlS10_E_NS1_11comp_targetILNS1_3genE3ELNS1_11target_archE908ELNS1_3gpuE7ELNS1_3repE0EEENS1_47radix_sort_onesweep_sort_config_static_selectorELNS0_4arch9wavefront6targetE0EEEvSH_,"axG",@progbits,_ZN7rocprim17ROCPRIM_400000_NS6detail17trampoline_kernelINS0_14default_configENS1_35radix_sort_onesweep_config_selectorIiNS0_10empty_typeEEEZZNS1_29radix_sort_onesweep_iterationIS3_Lb0EN6thrust23THRUST_200600_302600_NS10device_ptrIiEESB_PS5_SC_jNS0_19identity_decomposerENS1_16block_id_wrapperIjLb0EEEEE10hipError_tT1_PNSt15iterator_traitsISH_E10value_typeET2_T3_PNSI_ISN_E10value_typeET4_T5_PSS_ST_PNS1_23onesweep_lookback_stateEbbT6_jjT7_P12ihipStream_tbENKUlT_T0_SH_SM_E_clISB_PiSC_SC_EEDaS10_S11_SH_SM_EUlS10_E_NS1_11comp_targetILNS1_3genE3ELNS1_11target_archE908ELNS1_3gpuE7ELNS1_3repE0EEENS1_47radix_sort_onesweep_sort_config_static_selectorELNS0_4arch9wavefront6targetE0EEEvSH_,comdat
	.protected	_ZN7rocprim17ROCPRIM_400000_NS6detail17trampoline_kernelINS0_14default_configENS1_35radix_sort_onesweep_config_selectorIiNS0_10empty_typeEEEZZNS1_29radix_sort_onesweep_iterationIS3_Lb0EN6thrust23THRUST_200600_302600_NS10device_ptrIiEESB_PS5_SC_jNS0_19identity_decomposerENS1_16block_id_wrapperIjLb0EEEEE10hipError_tT1_PNSt15iterator_traitsISH_E10value_typeET2_T3_PNSI_ISN_E10value_typeET4_T5_PSS_ST_PNS1_23onesweep_lookback_stateEbbT6_jjT7_P12ihipStream_tbENKUlT_T0_SH_SM_E_clISB_PiSC_SC_EEDaS10_S11_SH_SM_EUlS10_E_NS1_11comp_targetILNS1_3genE3ELNS1_11target_archE908ELNS1_3gpuE7ELNS1_3repE0EEENS1_47radix_sort_onesweep_sort_config_static_selectorELNS0_4arch9wavefront6targetE0EEEvSH_ ; -- Begin function _ZN7rocprim17ROCPRIM_400000_NS6detail17trampoline_kernelINS0_14default_configENS1_35radix_sort_onesweep_config_selectorIiNS0_10empty_typeEEEZZNS1_29radix_sort_onesweep_iterationIS3_Lb0EN6thrust23THRUST_200600_302600_NS10device_ptrIiEESB_PS5_SC_jNS0_19identity_decomposerENS1_16block_id_wrapperIjLb0EEEEE10hipError_tT1_PNSt15iterator_traitsISH_E10value_typeET2_T3_PNSI_ISN_E10value_typeET4_T5_PSS_ST_PNS1_23onesweep_lookback_stateEbbT6_jjT7_P12ihipStream_tbENKUlT_T0_SH_SM_E_clISB_PiSC_SC_EEDaS10_S11_SH_SM_EUlS10_E_NS1_11comp_targetILNS1_3genE3ELNS1_11target_archE908ELNS1_3gpuE7ELNS1_3repE0EEENS1_47radix_sort_onesweep_sort_config_static_selectorELNS0_4arch9wavefront6targetE0EEEvSH_
	.globl	_ZN7rocprim17ROCPRIM_400000_NS6detail17trampoline_kernelINS0_14default_configENS1_35radix_sort_onesweep_config_selectorIiNS0_10empty_typeEEEZZNS1_29radix_sort_onesweep_iterationIS3_Lb0EN6thrust23THRUST_200600_302600_NS10device_ptrIiEESB_PS5_SC_jNS0_19identity_decomposerENS1_16block_id_wrapperIjLb0EEEEE10hipError_tT1_PNSt15iterator_traitsISH_E10value_typeET2_T3_PNSI_ISN_E10value_typeET4_T5_PSS_ST_PNS1_23onesweep_lookback_stateEbbT6_jjT7_P12ihipStream_tbENKUlT_T0_SH_SM_E_clISB_PiSC_SC_EEDaS10_S11_SH_SM_EUlS10_E_NS1_11comp_targetILNS1_3genE3ELNS1_11target_archE908ELNS1_3gpuE7ELNS1_3repE0EEENS1_47radix_sort_onesweep_sort_config_static_selectorELNS0_4arch9wavefront6targetE0EEEvSH_
	.p2align	8
	.type	_ZN7rocprim17ROCPRIM_400000_NS6detail17trampoline_kernelINS0_14default_configENS1_35radix_sort_onesweep_config_selectorIiNS0_10empty_typeEEEZZNS1_29radix_sort_onesweep_iterationIS3_Lb0EN6thrust23THRUST_200600_302600_NS10device_ptrIiEESB_PS5_SC_jNS0_19identity_decomposerENS1_16block_id_wrapperIjLb0EEEEE10hipError_tT1_PNSt15iterator_traitsISH_E10value_typeET2_T3_PNSI_ISN_E10value_typeET4_T5_PSS_ST_PNS1_23onesweep_lookback_stateEbbT6_jjT7_P12ihipStream_tbENKUlT_T0_SH_SM_E_clISB_PiSC_SC_EEDaS10_S11_SH_SM_EUlS10_E_NS1_11comp_targetILNS1_3genE3ELNS1_11target_archE908ELNS1_3gpuE7ELNS1_3repE0EEENS1_47radix_sort_onesweep_sort_config_static_selectorELNS0_4arch9wavefront6targetE0EEEvSH_,@function
_ZN7rocprim17ROCPRIM_400000_NS6detail17trampoline_kernelINS0_14default_configENS1_35radix_sort_onesweep_config_selectorIiNS0_10empty_typeEEEZZNS1_29radix_sort_onesweep_iterationIS3_Lb0EN6thrust23THRUST_200600_302600_NS10device_ptrIiEESB_PS5_SC_jNS0_19identity_decomposerENS1_16block_id_wrapperIjLb0EEEEE10hipError_tT1_PNSt15iterator_traitsISH_E10value_typeET2_T3_PNSI_ISN_E10value_typeET4_T5_PSS_ST_PNS1_23onesweep_lookback_stateEbbT6_jjT7_P12ihipStream_tbENKUlT_T0_SH_SM_E_clISB_PiSC_SC_EEDaS10_S11_SH_SM_EUlS10_E_NS1_11comp_targetILNS1_3genE3ELNS1_11target_archE908ELNS1_3gpuE7ELNS1_3repE0EEENS1_47radix_sort_onesweep_sort_config_static_selectorELNS0_4arch9wavefront6targetE0EEEvSH_: ; @_ZN7rocprim17ROCPRIM_400000_NS6detail17trampoline_kernelINS0_14default_configENS1_35radix_sort_onesweep_config_selectorIiNS0_10empty_typeEEEZZNS1_29radix_sort_onesweep_iterationIS3_Lb0EN6thrust23THRUST_200600_302600_NS10device_ptrIiEESB_PS5_SC_jNS0_19identity_decomposerENS1_16block_id_wrapperIjLb0EEEEE10hipError_tT1_PNSt15iterator_traitsISH_E10value_typeET2_T3_PNSI_ISN_E10value_typeET4_T5_PSS_ST_PNS1_23onesweep_lookback_stateEbbT6_jjT7_P12ihipStream_tbENKUlT_T0_SH_SM_E_clISB_PiSC_SC_EEDaS10_S11_SH_SM_EUlS10_E_NS1_11comp_targetILNS1_3genE3ELNS1_11target_archE908ELNS1_3gpuE7ELNS1_3repE0EEENS1_47radix_sort_onesweep_sort_config_static_selectorELNS0_4arch9wavefront6targetE0EEEvSH_
; %bb.0:
	.section	.rodata,"a",@progbits
	.p2align	6, 0x0
	.amdhsa_kernel _ZN7rocprim17ROCPRIM_400000_NS6detail17trampoline_kernelINS0_14default_configENS1_35radix_sort_onesweep_config_selectorIiNS0_10empty_typeEEEZZNS1_29radix_sort_onesweep_iterationIS3_Lb0EN6thrust23THRUST_200600_302600_NS10device_ptrIiEESB_PS5_SC_jNS0_19identity_decomposerENS1_16block_id_wrapperIjLb0EEEEE10hipError_tT1_PNSt15iterator_traitsISH_E10value_typeET2_T3_PNSI_ISN_E10value_typeET4_T5_PSS_ST_PNS1_23onesweep_lookback_stateEbbT6_jjT7_P12ihipStream_tbENKUlT_T0_SH_SM_E_clISB_PiSC_SC_EEDaS10_S11_SH_SM_EUlS10_E_NS1_11comp_targetILNS1_3genE3ELNS1_11target_archE908ELNS1_3gpuE7ELNS1_3repE0EEENS1_47radix_sort_onesweep_sort_config_static_selectorELNS0_4arch9wavefront6targetE0EEEvSH_
		.amdhsa_group_segment_fixed_size 0
		.amdhsa_private_segment_fixed_size 0
		.amdhsa_kernarg_size 88
		.amdhsa_user_sgpr_count 6
		.amdhsa_user_sgpr_private_segment_buffer 1
		.amdhsa_user_sgpr_dispatch_ptr 0
		.amdhsa_user_sgpr_queue_ptr 0
		.amdhsa_user_sgpr_kernarg_segment_ptr 1
		.amdhsa_user_sgpr_dispatch_id 0
		.amdhsa_user_sgpr_flat_scratch_init 0
		.amdhsa_user_sgpr_private_segment_size 0
		.amdhsa_wavefront_size32 1
		.amdhsa_uses_dynamic_stack 0
		.amdhsa_system_sgpr_private_segment_wavefront_offset 0
		.amdhsa_system_sgpr_workgroup_id_x 1
		.amdhsa_system_sgpr_workgroup_id_y 0
		.amdhsa_system_sgpr_workgroup_id_z 0
		.amdhsa_system_sgpr_workgroup_info 0
		.amdhsa_system_vgpr_workitem_id 0
		.amdhsa_next_free_vgpr 1
		.amdhsa_next_free_sgpr 1
		.amdhsa_reserve_vcc 0
		.amdhsa_reserve_flat_scratch 0
		.amdhsa_float_round_mode_32 0
		.amdhsa_float_round_mode_16_64 0
		.amdhsa_float_denorm_mode_32 3
		.amdhsa_float_denorm_mode_16_64 3
		.amdhsa_dx10_clamp 1
		.amdhsa_ieee_mode 1
		.amdhsa_fp16_overflow 0
		.amdhsa_workgroup_processor_mode 1
		.amdhsa_memory_ordered 1
		.amdhsa_forward_progress 1
		.amdhsa_shared_vgpr_count 0
		.amdhsa_exception_fp_ieee_invalid_op 0
		.amdhsa_exception_fp_denorm_src 0
		.amdhsa_exception_fp_ieee_div_zero 0
		.amdhsa_exception_fp_ieee_overflow 0
		.amdhsa_exception_fp_ieee_underflow 0
		.amdhsa_exception_fp_ieee_inexact 0
		.amdhsa_exception_int_div_zero 0
	.end_amdhsa_kernel
	.section	.text._ZN7rocprim17ROCPRIM_400000_NS6detail17trampoline_kernelINS0_14default_configENS1_35radix_sort_onesweep_config_selectorIiNS0_10empty_typeEEEZZNS1_29radix_sort_onesweep_iterationIS3_Lb0EN6thrust23THRUST_200600_302600_NS10device_ptrIiEESB_PS5_SC_jNS0_19identity_decomposerENS1_16block_id_wrapperIjLb0EEEEE10hipError_tT1_PNSt15iterator_traitsISH_E10value_typeET2_T3_PNSI_ISN_E10value_typeET4_T5_PSS_ST_PNS1_23onesweep_lookback_stateEbbT6_jjT7_P12ihipStream_tbENKUlT_T0_SH_SM_E_clISB_PiSC_SC_EEDaS10_S11_SH_SM_EUlS10_E_NS1_11comp_targetILNS1_3genE3ELNS1_11target_archE908ELNS1_3gpuE7ELNS1_3repE0EEENS1_47radix_sort_onesweep_sort_config_static_selectorELNS0_4arch9wavefront6targetE0EEEvSH_,"axG",@progbits,_ZN7rocprim17ROCPRIM_400000_NS6detail17trampoline_kernelINS0_14default_configENS1_35radix_sort_onesweep_config_selectorIiNS0_10empty_typeEEEZZNS1_29radix_sort_onesweep_iterationIS3_Lb0EN6thrust23THRUST_200600_302600_NS10device_ptrIiEESB_PS5_SC_jNS0_19identity_decomposerENS1_16block_id_wrapperIjLb0EEEEE10hipError_tT1_PNSt15iterator_traitsISH_E10value_typeET2_T3_PNSI_ISN_E10value_typeET4_T5_PSS_ST_PNS1_23onesweep_lookback_stateEbbT6_jjT7_P12ihipStream_tbENKUlT_T0_SH_SM_E_clISB_PiSC_SC_EEDaS10_S11_SH_SM_EUlS10_E_NS1_11comp_targetILNS1_3genE3ELNS1_11target_archE908ELNS1_3gpuE7ELNS1_3repE0EEENS1_47radix_sort_onesweep_sort_config_static_selectorELNS0_4arch9wavefront6targetE0EEEvSH_,comdat
.Lfunc_end1285:
	.size	_ZN7rocprim17ROCPRIM_400000_NS6detail17trampoline_kernelINS0_14default_configENS1_35radix_sort_onesweep_config_selectorIiNS0_10empty_typeEEEZZNS1_29radix_sort_onesweep_iterationIS3_Lb0EN6thrust23THRUST_200600_302600_NS10device_ptrIiEESB_PS5_SC_jNS0_19identity_decomposerENS1_16block_id_wrapperIjLb0EEEEE10hipError_tT1_PNSt15iterator_traitsISH_E10value_typeET2_T3_PNSI_ISN_E10value_typeET4_T5_PSS_ST_PNS1_23onesweep_lookback_stateEbbT6_jjT7_P12ihipStream_tbENKUlT_T0_SH_SM_E_clISB_PiSC_SC_EEDaS10_S11_SH_SM_EUlS10_E_NS1_11comp_targetILNS1_3genE3ELNS1_11target_archE908ELNS1_3gpuE7ELNS1_3repE0EEENS1_47radix_sort_onesweep_sort_config_static_selectorELNS0_4arch9wavefront6targetE0EEEvSH_, .Lfunc_end1285-_ZN7rocprim17ROCPRIM_400000_NS6detail17trampoline_kernelINS0_14default_configENS1_35radix_sort_onesweep_config_selectorIiNS0_10empty_typeEEEZZNS1_29radix_sort_onesweep_iterationIS3_Lb0EN6thrust23THRUST_200600_302600_NS10device_ptrIiEESB_PS5_SC_jNS0_19identity_decomposerENS1_16block_id_wrapperIjLb0EEEEE10hipError_tT1_PNSt15iterator_traitsISH_E10value_typeET2_T3_PNSI_ISN_E10value_typeET4_T5_PSS_ST_PNS1_23onesweep_lookback_stateEbbT6_jjT7_P12ihipStream_tbENKUlT_T0_SH_SM_E_clISB_PiSC_SC_EEDaS10_S11_SH_SM_EUlS10_E_NS1_11comp_targetILNS1_3genE3ELNS1_11target_archE908ELNS1_3gpuE7ELNS1_3repE0EEENS1_47radix_sort_onesweep_sort_config_static_selectorELNS0_4arch9wavefront6targetE0EEEvSH_
                                        ; -- End function
	.set _ZN7rocprim17ROCPRIM_400000_NS6detail17trampoline_kernelINS0_14default_configENS1_35radix_sort_onesweep_config_selectorIiNS0_10empty_typeEEEZZNS1_29radix_sort_onesweep_iterationIS3_Lb0EN6thrust23THRUST_200600_302600_NS10device_ptrIiEESB_PS5_SC_jNS0_19identity_decomposerENS1_16block_id_wrapperIjLb0EEEEE10hipError_tT1_PNSt15iterator_traitsISH_E10value_typeET2_T3_PNSI_ISN_E10value_typeET4_T5_PSS_ST_PNS1_23onesweep_lookback_stateEbbT6_jjT7_P12ihipStream_tbENKUlT_T0_SH_SM_E_clISB_PiSC_SC_EEDaS10_S11_SH_SM_EUlS10_E_NS1_11comp_targetILNS1_3genE3ELNS1_11target_archE908ELNS1_3gpuE7ELNS1_3repE0EEENS1_47radix_sort_onesweep_sort_config_static_selectorELNS0_4arch9wavefront6targetE0EEEvSH_.num_vgpr, 0
	.set _ZN7rocprim17ROCPRIM_400000_NS6detail17trampoline_kernelINS0_14default_configENS1_35radix_sort_onesweep_config_selectorIiNS0_10empty_typeEEEZZNS1_29radix_sort_onesweep_iterationIS3_Lb0EN6thrust23THRUST_200600_302600_NS10device_ptrIiEESB_PS5_SC_jNS0_19identity_decomposerENS1_16block_id_wrapperIjLb0EEEEE10hipError_tT1_PNSt15iterator_traitsISH_E10value_typeET2_T3_PNSI_ISN_E10value_typeET4_T5_PSS_ST_PNS1_23onesweep_lookback_stateEbbT6_jjT7_P12ihipStream_tbENKUlT_T0_SH_SM_E_clISB_PiSC_SC_EEDaS10_S11_SH_SM_EUlS10_E_NS1_11comp_targetILNS1_3genE3ELNS1_11target_archE908ELNS1_3gpuE7ELNS1_3repE0EEENS1_47radix_sort_onesweep_sort_config_static_selectorELNS0_4arch9wavefront6targetE0EEEvSH_.num_agpr, 0
	.set _ZN7rocprim17ROCPRIM_400000_NS6detail17trampoline_kernelINS0_14default_configENS1_35radix_sort_onesweep_config_selectorIiNS0_10empty_typeEEEZZNS1_29radix_sort_onesweep_iterationIS3_Lb0EN6thrust23THRUST_200600_302600_NS10device_ptrIiEESB_PS5_SC_jNS0_19identity_decomposerENS1_16block_id_wrapperIjLb0EEEEE10hipError_tT1_PNSt15iterator_traitsISH_E10value_typeET2_T3_PNSI_ISN_E10value_typeET4_T5_PSS_ST_PNS1_23onesweep_lookback_stateEbbT6_jjT7_P12ihipStream_tbENKUlT_T0_SH_SM_E_clISB_PiSC_SC_EEDaS10_S11_SH_SM_EUlS10_E_NS1_11comp_targetILNS1_3genE3ELNS1_11target_archE908ELNS1_3gpuE7ELNS1_3repE0EEENS1_47radix_sort_onesweep_sort_config_static_selectorELNS0_4arch9wavefront6targetE0EEEvSH_.numbered_sgpr, 0
	.set _ZN7rocprim17ROCPRIM_400000_NS6detail17trampoline_kernelINS0_14default_configENS1_35radix_sort_onesweep_config_selectorIiNS0_10empty_typeEEEZZNS1_29radix_sort_onesweep_iterationIS3_Lb0EN6thrust23THRUST_200600_302600_NS10device_ptrIiEESB_PS5_SC_jNS0_19identity_decomposerENS1_16block_id_wrapperIjLb0EEEEE10hipError_tT1_PNSt15iterator_traitsISH_E10value_typeET2_T3_PNSI_ISN_E10value_typeET4_T5_PSS_ST_PNS1_23onesweep_lookback_stateEbbT6_jjT7_P12ihipStream_tbENKUlT_T0_SH_SM_E_clISB_PiSC_SC_EEDaS10_S11_SH_SM_EUlS10_E_NS1_11comp_targetILNS1_3genE3ELNS1_11target_archE908ELNS1_3gpuE7ELNS1_3repE0EEENS1_47radix_sort_onesweep_sort_config_static_selectorELNS0_4arch9wavefront6targetE0EEEvSH_.num_named_barrier, 0
	.set _ZN7rocprim17ROCPRIM_400000_NS6detail17trampoline_kernelINS0_14default_configENS1_35radix_sort_onesweep_config_selectorIiNS0_10empty_typeEEEZZNS1_29radix_sort_onesweep_iterationIS3_Lb0EN6thrust23THRUST_200600_302600_NS10device_ptrIiEESB_PS5_SC_jNS0_19identity_decomposerENS1_16block_id_wrapperIjLb0EEEEE10hipError_tT1_PNSt15iterator_traitsISH_E10value_typeET2_T3_PNSI_ISN_E10value_typeET4_T5_PSS_ST_PNS1_23onesweep_lookback_stateEbbT6_jjT7_P12ihipStream_tbENKUlT_T0_SH_SM_E_clISB_PiSC_SC_EEDaS10_S11_SH_SM_EUlS10_E_NS1_11comp_targetILNS1_3genE3ELNS1_11target_archE908ELNS1_3gpuE7ELNS1_3repE0EEENS1_47radix_sort_onesweep_sort_config_static_selectorELNS0_4arch9wavefront6targetE0EEEvSH_.private_seg_size, 0
	.set _ZN7rocprim17ROCPRIM_400000_NS6detail17trampoline_kernelINS0_14default_configENS1_35radix_sort_onesweep_config_selectorIiNS0_10empty_typeEEEZZNS1_29radix_sort_onesweep_iterationIS3_Lb0EN6thrust23THRUST_200600_302600_NS10device_ptrIiEESB_PS5_SC_jNS0_19identity_decomposerENS1_16block_id_wrapperIjLb0EEEEE10hipError_tT1_PNSt15iterator_traitsISH_E10value_typeET2_T3_PNSI_ISN_E10value_typeET4_T5_PSS_ST_PNS1_23onesweep_lookback_stateEbbT6_jjT7_P12ihipStream_tbENKUlT_T0_SH_SM_E_clISB_PiSC_SC_EEDaS10_S11_SH_SM_EUlS10_E_NS1_11comp_targetILNS1_3genE3ELNS1_11target_archE908ELNS1_3gpuE7ELNS1_3repE0EEENS1_47radix_sort_onesweep_sort_config_static_selectorELNS0_4arch9wavefront6targetE0EEEvSH_.uses_vcc, 0
	.set _ZN7rocprim17ROCPRIM_400000_NS6detail17trampoline_kernelINS0_14default_configENS1_35radix_sort_onesweep_config_selectorIiNS0_10empty_typeEEEZZNS1_29radix_sort_onesweep_iterationIS3_Lb0EN6thrust23THRUST_200600_302600_NS10device_ptrIiEESB_PS5_SC_jNS0_19identity_decomposerENS1_16block_id_wrapperIjLb0EEEEE10hipError_tT1_PNSt15iterator_traitsISH_E10value_typeET2_T3_PNSI_ISN_E10value_typeET4_T5_PSS_ST_PNS1_23onesweep_lookback_stateEbbT6_jjT7_P12ihipStream_tbENKUlT_T0_SH_SM_E_clISB_PiSC_SC_EEDaS10_S11_SH_SM_EUlS10_E_NS1_11comp_targetILNS1_3genE3ELNS1_11target_archE908ELNS1_3gpuE7ELNS1_3repE0EEENS1_47radix_sort_onesweep_sort_config_static_selectorELNS0_4arch9wavefront6targetE0EEEvSH_.uses_flat_scratch, 0
	.set _ZN7rocprim17ROCPRIM_400000_NS6detail17trampoline_kernelINS0_14default_configENS1_35radix_sort_onesweep_config_selectorIiNS0_10empty_typeEEEZZNS1_29radix_sort_onesweep_iterationIS3_Lb0EN6thrust23THRUST_200600_302600_NS10device_ptrIiEESB_PS5_SC_jNS0_19identity_decomposerENS1_16block_id_wrapperIjLb0EEEEE10hipError_tT1_PNSt15iterator_traitsISH_E10value_typeET2_T3_PNSI_ISN_E10value_typeET4_T5_PSS_ST_PNS1_23onesweep_lookback_stateEbbT6_jjT7_P12ihipStream_tbENKUlT_T0_SH_SM_E_clISB_PiSC_SC_EEDaS10_S11_SH_SM_EUlS10_E_NS1_11comp_targetILNS1_3genE3ELNS1_11target_archE908ELNS1_3gpuE7ELNS1_3repE0EEENS1_47radix_sort_onesweep_sort_config_static_selectorELNS0_4arch9wavefront6targetE0EEEvSH_.has_dyn_sized_stack, 0
	.set _ZN7rocprim17ROCPRIM_400000_NS6detail17trampoline_kernelINS0_14default_configENS1_35radix_sort_onesweep_config_selectorIiNS0_10empty_typeEEEZZNS1_29radix_sort_onesweep_iterationIS3_Lb0EN6thrust23THRUST_200600_302600_NS10device_ptrIiEESB_PS5_SC_jNS0_19identity_decomposerENS1_16block_id_wrapperIjLb0EEEEE10hipError_tT1_PNSt15iterator_traitsISH_E10value_typeET2_T3_PNSI_ISN_E10value_typeET4_T5_PSS_ST_PNS1_23onesweep_lookback_stateEbbT6_jjT7_P12ihipStream_tbENKUlT_T0_SH_SM_E_clISB_PiSC_SC_EEDaS10_S11_SH_SM_EUlS10_E_NS1_11comp_targetILNS1_3genE3ELNS1_11target_archE908ELNS1_3gpuE7ELNS1_3repE0EEENS1_47radix_sort_onesweep_sort_config_static_selectorELNS0_4arch9wavefront6targetE0EEEvSH_.has_recursion, 0
	.set _ZN7rocprim17ROCPRIM_400000_NS6detail17trampoline_kernelINS0_14default_configENS1_35radix_sort_onesweep_config_selectorIiNS0_10empty_typeEEEZZNS1_29radix_sort_onesweep_iterationIS3_Lb0EN6thrust23THRUST_200600_302600_NS10device_ptrIiEESB_PS5_SC_jNS0_19identity_decomposerENS1_16block_id_wrapperIjLb0EEEEE10hipError_tT1_PNSt15iterator_traitsISH_E10value_typeET2_T3_PNSI_ISN_E10value_typeET4_T5_PSS_ST_PNS1_23onesweep_lookback_stateEbbT6_jjT7_P12ihipStream_tbENKUlT_T0_SH_SM_E_clISB_PiSC_SC_EEDaS10_S11_SH_SM_EUlS10_E_NS1_11comp_targetILNS1_3genE3ELNS1_11target_archE908ELNS1_3gpuE7ELNS1_3repE0EEENS1_47radix_sort_onesweep_sort_config_static_selectorELNS0_4arch9wavefront6targetE0EEEvSH_.has_indirect_call, 0
	.section	.AMDGPU.csdata,"",@progbits
; Kernel info:
; codeLenInByte = 0
; TotalNumSgprs: 0
; NumVgprs: 0
; ScratchSize: 0
; MemoryBound: 0
; FloatMode: 240
; IeeeMode: 1
; LDSByteSize: 0 bytes/workgroup (compile time only)
; SGPRBlocks: 0
; VGPRBlocks: 0
; NumSGPRsForWavesPerEU: 1
; NumVGPRsForWavesPerEU: 1
; Occupancy: 16
; WaveLimiterHint : 0
; COMPUTE_PGM_RSRC2:SCRATCH_EN: 0
; COMPUTE_PGM_RSRC2:USER_SGPR: 6
; COMPUTE_PGM_RSRC2:TRAP_HANDLER: 0
; COMPUTE_PGM_RSRC2:TGID_X_EN: 1
; COMPUTE_PGM_RSRC2:TGID_Y_EN: 0
; COMPUTE_PGM_RSRC2:TGID_Z_EN: 0
; COMPUTE_PGM_RSRC2:TIDIG_COMP_CNT: 0
	.section	.text._ZN7rocprim17ROCPRIM_400000_NS6detail17trampoline_kernelINS0_14default_configENS1_35radix_sort_onesweep_config_selectorIiNS0_10empty_typeEEEZZNS1_29radix_sort_onesweep_iterationIS3_Lb0EN6thrust23THRUST_200600_302600_NS10device_ptrIiEESB_PS5_SC_jNS0_19identity_decomposerENS1_16block_id_wrapperIjLb0EEEEE10hipError_tT1_PNSt15iterator_traitsISH_E10value_typeET2_T3_PNSI_ISN_E10value_typeET4_T5_PSS_ST_PNS1_23onesweep_lookback_stateEbbT6_jjT7_P12ihipStream_tbENKUlT_T0_SH_SM_E_clISB_PiSC_SC_EEDaS10_S11_SH_SM_EUlS10_E_NS1_11comp_targetILNS1_3genE10ELNS1_11target_archE1201ELNS1_3gpuE5ELNS1_3repE0EEENS1_47radix_sort_onesweep_sort_config_static_selectorELNS0_4arch9wavefront6targetE0EEEvSH_,"axG",@progbits,_ZN7rocprim17ROCPRIM_400000_NS6detail17trampoline_kernelINS0_14default_configENS1_35radix_sort_onesweep_config_selectorIiNS0_10empty_typeEEEZZNS1_29radix_sort_onesweep_iterationIS3_Lb0EN6thrust23THRUST_200600_302600_NS10device_ptrIiEESB_PS5_SC_jNS0_19identity_decomposerENS1_16block_id_wrapperIjLb0EEEEE10hipError_tT1_PNSt15iterator_traitsISH_E10value_typeET2_T3_PNSI_ISN_E10value_typeET4_T5_PSS_ST_PNS1_23onesweep_lookback_stateEbbT6_jjT7_P12ihipStream_tbENKUlT_T0_SH_SM_E_clISB_PiSC_SC_EEDaS10_S11_SH_SM_EUlS10_E_NS1_11comp_targetILNS1_3genE10ELNS1_11target_archE1201ELNS1_3gpuE5ELNS1_3repE0EEENS1_47radix_sort_onesweep_sort_config_static_selectorELNS0_4arch9wavefront6targetE0EEEvSH_,comdat
	.protected	_ZN7rocprim17ROCPRIM_400000_NS6detail17trampoline_kernelINS0_14default_configENS1_35radix_sort_onesweep_config_selectorIiNS0_10empty_typeEEEZZNS1_29radix_sort_onesweep_iterationIS3_Lb0EN6thrust23THRUST_200600_302600_NS10device_ptrIiEESB_PS5_SC_jNS0_19identity_decomposerENS1_16block_id_wrapperIjLb0EEEEE10hipError_tT1_PNSt15iterator_traitsISH_E10value_typeET2_T3_PNSI_ISN_E10value_typeET4_T5_PSS_ST_PNS1_23onesweep_lookback_stateEbbT6_jjT7_P12ihipStream_tbENKUlT_T0_SH_SM_E_clISB_PiSC_SC_EEDaS10_S11_SH_SM_EUlS10_E_NS1_11comp_targetILNS1_3genE10ELNS1_11target_archE1201ELNS1_3gpuE5ELNS1_3repE0EEENS1_47radix_sort_onesweep_sort_config_static_selectorELNS0_4arch9wavefront6targetE0EEEvSH_ ; -- Begin function _ZN7rocprim17ROCPRIM_400000_NS6detail17trampoline_kernelINS0_14default_configENS1_35radix_sort_onesweep_config_selectorIiNS0_10empty_typeEEEZZNS1_29radix_sort_onesweep_iterationIS3_Lb0EN6thrust23THRUST_200600_302600_NS10device_ptrIiEESB_PS5_SC_jNS0_19identity_decomposerENS1_16block_id_wrapperIjLb0EEEEE10hipError_tT1_PNSt15iterator_traitsISH_E10value_typeET2_T3_PNSI_ISN_E10value_typeET4_T5_PSS_ST_PNS1_23onesweep_lookback_stateEbbT6_jjT7_P12ihipStream_tbENKUlT_T0_SH_SM_E_clISB_PiSC_SC_EEDaS10_S11_SH_SM_EUlS10_E_NS1_11comp_targetILNS1_3genE10ELNS1_11target_archE1201ELNS1_3gpuE5ELNS1_3repE0EEENS1_47radix_sort_onesweep_sort_config_static_selectorELNS0_4arch9wavefront6targetE0EEEvSH_
	.globl	_ZN7rocprim17ROCPRIM_400000_NS6detail17trampoline_kernelINS0_14default_configENS1_35radix_sort_onesweep_config_selectorIiNS0_10empty_typeEEEZZNS1_29radix_sort_onesweep_iterationIS3_Lb0EN6thrust23THRUST_200600_302600_NS10device_ptrIiEESB_PS5_SC_jNS0_19identity_decomposerENS1_16block_id_wrapperIjLb0EEEEE10hipError_tT1_PNSt15iterator_traitsISH_E10value_typeET2_T3_PNSI_ISN_E10value_typeET4_T5_PSS_ST_PNS1_23onesweep_lookback_stateEbbT6_jjT7_P12ihipStream_tbENKUlT_T0_SH_SM_E_clISB_PiSC_SC_EEDaS10_S11_SH_SM_EUlS10_E_NS1_11comp_targetILNS1_3genE10ELNS1_11target_archE1201ELNS1_3gpuE5ELNS1_3repE0EEENS1_47radix_sort_onesweep_sort_config_static_selectorELNS0_4arch9wavefront6targetE0EEEvSH_
	.p2align	8
	.type	_ZN7rocprim17ROCPRIM_400000_NS6detail17trampoline_kernelINS0_14default_configENS1_35radix_sort_onesweep_config_selectorIiNS0_10empty_typeEEEZZNS1_29radix_sort_onesweep_iterationIS3_Lb0EN6thrust23THRUST_200600_302600_NS10device_ptrIiEESB_PS5_SC_jNS0_19identity_decomposerENS1_16block_id_wrapperIjLb0EEEEE10hipError_tT1_PNSt15iterator_traitsISH_E10value_typeET2_T3_PNSI_ISN_E10value_typeET4_T5_PSS_ST_PNS1_23onesweep_lookback_stateEbbT6_jjT7_P12ihipStream_tbENKUlT_T0_SH_SM_E_clISB_PiSC_SC_EEDaS10_S11_SH_SM_EUlS10_E_NS1_11comp_targetILNS1_3genE10ELNS1_11target_archE1201ELNS1_3gpuE5ELNS1_3repE0EEENS1_47radix_sort_onesweep_sort_config_static_selectorELNS0_4arch9wavefront6targetE0EEEvSH_,@function
_ZN7rocprim17ROCPRIM_400000_NS6detail17trampoline_kernelINS0_14default_configENS1_35radix_sort_onesweep_config_selectorIiNS0_10empty_typeEEEZZNS1_29radix_sort_onesweep_iterationIS3_Lb0EN6thrust23THRUST_200600_302600_NS10device_ptrIiEESB_PS5_SC_jNS0_19identity_decomposerENS1_16block_id_wrapperIjLb0EEEEE10hipError_tT1_PNSt15iterator_traitsISH_E10value_typeET2_T3_PNSI_ISN_E10value_typeET4_T5_PSS_ST_PNS1_23onesweep_lookback_stateEbbT6_jjT7_P12ihipStream_tbENKUlT_T0_SH_SM_E_clISB_PiSC_SC_EEDaS10_S11_SH_SM_EUlS10_E_NS1_11comp_targetILNS1_3genE10ELNS1_11target_archE1201ELNS1_3gpuE5ELNS1_3repE0EEENS1_47radix_sort_onesweep_sort_config_static_selectorELNS0_4arch9wavefront6targetE0EEEvSH_: ; @_ZN7rocprim17ROCPRIM_400000_NS6detail17trampoline_kernelINS0_14default_configENS1_35radix_sort_onesweep_config_selectorIiNS0_10empty_typeEEEZZNS1_29radix_sort_onesweep_iterationIS3_Lb0EN6thrust23THRUST_200600_302600_NS10device_ptrIiEESB_PS5_SC_jNS0_19identity_decomposerENS1_16block_id_wrapperIjLb0EEEEE10hipError_tT1_PNSt15iterator_traitsISH_E10value_typeET2_T3_PNSI_ISN_E10value_typeET4_T5_PSS_ST_PNS1_23onesweep_lookback_stateEbbT6_jjT7_P12ihipStream_tbENKUlT_T0_SH_SM_E_clISB_PiSC_SC_EEDaS10_S11_SH_SM_EUlS10_E_NS1_11comp_targetILNS1_3genE10ELNS1_11target_archE1201ELNS1_3gpuE5ELNS1_3repE0EEENS1_47radix_sort_onesweep_sort_config_static_selectorELNS0_4arch9wavefront6targetE0EEEvSH_
; %bb.0:
	.section	.rodata,"a",@progbits
	.p2align	6, 0x0
	.amdhsa_kernel _ZN7rocprim17ROCPRIM_400000_NS6detail17trampoline_kernelINS0_14default_configENS1_35radix_sort_onesweep_config_selectorIiNS0_10empty_typeEEEZZNS1_29radix_sort_onesweep_iterationIS3_Lb0EN6thrust23THRUST_200600_302600_NS10device_ptrIiEESB_PS5_SC_jNS0_19identity_decomposerENS1_16block_id_wrapperIjLb0EEEEE10hipError_tT1_PNSt15iterator_traitsISH_E10value_typeET2_T3_PNSI_ISN_E10value_typeET4_T5_PSS_ST_PNS1_23onesweep_lookback_stateEbbT6_jjT7_P12ihipStream_tbENKUlT_T0_SH_SM_E_clISB_PiSC_SC_EEDaS10_S11_SH_SM_EUlS10_E_NS1_11comp_targetILNS1_3genE10ELNS1_11target_archE1201ELNS1_3gpuE5ELNS1_3repE0EEENS1_47radix_sort_onesweep_sort_config_static_selectorELNS0_4arch9wavefront6targetE0EEEvSH_
		.amdhsa_group_segment_fixed_size 0
		.amdhsa_private_segment_fixed_size 0
		.amdhsa_kernarg_size 88
		.amdhsa_user_sgpr_count 6
		.amdhsa_user_sgpr_private_segment_buffer 1
		.amdhsa_user_sgpr_dispatch_ptr 0
		.amdhsa_user_sgpr_queue_ptr 0
		.amdhsa_user_sgpr_kernarg_segment_ptr 1
		.amdhsa_user_sgpr_dispatch_id 0
		.amdhsa_user_sgpr_flat_scratch_init 0
		.amdhsa_user_sgpr_private_segment_size 0
		.amdhsa_wavefront_size32 1
		.amdhsa_uses_dynamic_stack 0
		.amdhsa_system_sgpr_private_segment_wavefront_offset 0
		.amdhsa_system_sgpr_workgroup_id_x 1
		.amdhsa_system_sgpr_workgroup_id_y 0
		.amdhsa_system_sgpr_workgroup_id_z 0
		.amdhsa_system_sgpr_workgroup_info 0
		.amdhsa_system_vgpr_workitem_id 0
		.amdhsa_next_free_vgpr 1
		.amdhsa_next_free_sgpr 1
		.amdhsa_reserve_vcc 0
		.amdhsa_reserve_flat_scratch 0
		.amdhsa_float_round_mode_32 0
		.amdhsa_float_round_mode_16_64 0
		.amdhsa_float_denorm_mode_32 3
		.amdhsa_float_denorm_mode_16_64 3
		.amdhsa_dx10_clamp 1
		.amdhsa_ieee_mode 1
		.amdhsa_fp16_overflow 0
		.amdhsa_workgroup_processor_mode 1
		.amdhsa_memory_ordered 1
		.amdhsa_forward_progress 1
		.amdhsa_shared_vgpr_count 0
		.amdhsa_exception_fp_ieee_invalid_op 0
		.amdhsa_exception_fp_denorm_src 0
		.amdhsa_exception_fp_ieee_div_zero 0
		.amdhsa_exception_fp_ieee_overflow 0
		.amdhsa_exception_fp_ieee_underflow 0
		.amdhsa_exception_fp_ieee_inexact 0
		.amdhsa_exception_int_div_zero 0
	.end_amdhsa_kernel
	.section	.text._ZN7rocprim17ROCPRIM_400000_NS6detail17trampoline_kernelINS0_14default_configENS1_35radix_sort_onesweep_config_selectorIiNS0_10empty_typeEEEZZNS1_29radix_sort_onesweep_iterationIS3_Lb0EN6thrust23THRUST_200600_302600_NS10device_ptrIiEESB_PS5_SC_jNS0_19identity_decomposerENS1_16block_id_wrapperIjLb0EEEEE10hipError_tT1_PNSt15iterator_traitsISH_E10value_typeET2_T3_PNSI_ISN_E10value_typeET4_T5_PSS_ST_PNS1_23onesweep_lookback_stateEbbT6_jjT7_P12ihipStream_tbENKUlT_T0_SH_SM_E_clISB_PiSC_SC_EEDaS10_S11_SH_SM_EUlS10_E_NS1_11comp_targetILNS1_3genE10ELNS1_11target_archE1201ELNS1_3gpuE5ELNS1_3repE0EEENS1_47radix_sort_onesweep_sort_config_static_selectorELNS0_4arch9wavefront6targetE0EEEvSH_,"axG",@progbits,_ZN7rocprim17ROCPRIM_400000_NS6detail17trampoline_kernelINS0_14default_configENS1_35radix_sort_onesweep_config_selectorIiNS0_10empty_typeEEEZZNS1_29radix_sort_onesweep_iterationIS3_Lb0EN6thrust23THRUST_200600_302600_NS10device_ptrIiEESB_PS5_SC_jNS0_19identity_decomposerENS1_16block_id_wrapperIjLb0EEEEE10hipError_tT1_PNSt15iterator_traitsISH_E10value_typeET2_T3_PNSI_ISN_E10value_typeET4_T5_PSS_ST_PNS1_23onesweep_lookback_stateEbbT6_jjT7_P12ihipStream_tbENKUlT_T0_SH_SM_E_clISB_PiSC_SC_EEDaS10_S11_SH_SM_EUlS10_E_NS1_11comp_targetILNS1_3genE10ELNS1_11target_archE1201ELNS1_3gpuE5ELNS1_3repE0EEENS1_47radix_sort_onesweep_sort_config_static_selectorELNS0_4arch9wavefront6targetE0EEEvSH_,comdat
.Lfunc_end1286:
	.size	_ZN7rocprim17ROCPRIM_400000_NS6detail17trampoline_kernelINS0_14default_configENS1_35radix_sort_onesweep_config_selectorIiNS0_10empty_typeEEEZZNS1_29radix_sort_onesweep_iterationIS3_Lb0EN6thrust23THRUST_200600_302600_NS10device_ptrIiEESB_PS5_SC_jNS0_19identity_decomposerENS1_16block_id_wrapperIjLb0EEEEE10hipError_tT1_PNSt15iterator_traitsISH_E10value_typeET2_T3_PNSI_ISN_E10value_typeET4_T5_PSS_ST_PNS1_23onesweep_lookback_stateEbbT6_jjT7_P12ihipStream_tbENKUlT_T0_SH_SM_E_clISB_PiSC_SC_EEDaS10_S11_SH_SM_EUlS10_E_NS1_11comp_targetILNS1_3genE10ELNS1_11target_archE1201ELNS1_3gpuE5ELNS1_3repE0EEENS1_47radix_sort_onesweep_sort_config_static_selectorELNS0_4arch9wavefront6targetE0EEEvSH_, .Lfunc_end1286-_ZN7rocprim17ROCPRIM_400000_NS6detail17trampoline_kernelINS0_14default_configENS1_35radix_sort_onesweep_config_selectorIiNS0_10empty_typeEEEZZNS1_29radix_sort_onesweep_iterationIS3_Lb0EN6thrust23THRUST_200600_302600_NS10device_ptrIiEESB_PS5_SC_jNS0_19identity_decomposerENS1_16block_id_wrapperIjLb0EEEEE10hipError_tT1_PNSt15iterator_traitsISH_E10value_typeET2_T3_PNSI_ISN_E10value_typeET4_T5_PSS_ST_PNS1_23onesweep_lookback_stateEbbT6_jjT7_P12ihipStream_tbENKUlT_T0_SH_SM_E_clISB_PiSC_SC_EEDaS10_S11_SH_SM_EUlS10_E_NS1_11comp_targetILNS1_3genE10ELNS1_11target_archE1201ELNS1_3gpuE5ELNS1_3repE0EEENS1_47radix_sort_onesweep_sort_config_static_selectorELNS0_4arch9wavefront6targetE0EEEvSH_
                                        ; -- End function
	.set _ZN7rocprim17ROCPRIM_400000_NS6detail17trampoline_kernelINS0_14default_configENS1_35radix_sort_onesweep_config_selectorIiNS0_10empty_typeEEEZZNS1_29radix_sort_onesweep_iterationIS3_Lb0EN6thrust23THRUST_200600_302600_NS10device_ptrIiEESB_PS5_SC_jNS0_19identity_decomposerENS1_16block_id_wrapperIjLb0EEEEE10hipError_tT1_PNSt15iterator_traitsISH_E10value_typeET2_T3_PNSI_ISN_E10value_typeET4_T5_PSS_ST_PNS1_23onesweep_lookback_stateEbbT6_jjT7_P12ihipStream_tbENKUlT_T0_SH_SM_E_clISB_PiSC_SC_EEDaS10_S11_SH_SM_EUlS10_E_NS1_11comp_targetILNS1_3genE10ELNS1_11target_archE1201ELNS1_3gpuE5ELNS1_3repE0EEENS1_47radix_sort_onesweep_sort_config_static_selectorELNS0_4arch9wavefront6targetE0EEEvSH_.num_vgpr, 0
	.set _ZN7rocprim17ROCPRIM_400000_NS6detail17trampoline_kernelINS0_14default_configENS1_35radix_sort_onesweep_config_selectorIiNS0_10empty_typeEEEZZNS1_29radix_sort_onesweep_iterationIS3_Lb0EN6thrust23THRUST_200600_302600_NS10device_ptrIiEESB_PS5_SC_jNS0_19identity_decomposerENS1_16block_id_wrapperIjLb0EEEEE10hipError_tT1_PNSt15iterator_traitsISH_E10value_typeET2_T3_PNSI_ISN_E10value_typeET4_T5_PSS_ST_PNS1_23onesweep_lookback_stateEbbT6_jjT7_P12ihipStream_tbENKUlT_T0_SH_SM_E_clISB_PiSC_SC_EEDaS10_S11_SH_SM_EUlS10_E_NS1_11comp_targetILNS1_3genE10ELNS1_11target_archE1201ELNS1_3gpuE5ELNS1_3repE0EEENS1_47radix_sort_onesweep_sort_config_static_selectorELNS0_4arch9wavefront6targetE0EEEvSH_.num_agpr, 0
	.set _ZN7rocprim17ROCPRIM_400000_NS6detail17trampoline_kernelINS0_14default_configENS1_35radix_sort_onesweep_config_selectorIiNS0_10empty_typeEEEZZNS1_29radix_sort_onesweep_iterationIS3_Lb0EN6thrust23THRUST_200600_302600_NS10device_ptrIiEESB_PS5_SC_jNS0_19identity_decomposerENS1_16block_id_wrapperIjLb0EEEEE10hipError_tT1_PNSt15iterator_traitsISH_E10value_typeET2_T3_PNSI_ISN_E10value_typeET4_T5_PSS_ST_PNS1_23onesweep_lookback_stateEbbT6_jjT7_P12ihipStream_tbENKUlT_T0_SH_SM_E_clISB_PiSC_SC_EEDaS10_S11_SH_SM_EUlS10_E_NS1_11comp_targetILNS1_3genE10ELNS1_11target_archE1201ELNS1_3gpuE5ELNS1_3repE0EEENS1_47radix_sort_onesweep_sort_config_static_selectorELNS0_4arch9wavefront6targetE0EEEvSH_.numbered_sgpr, 0
	.set _ZN7rocprim17ROCPRIM_400000_NS6detail17trampoline_kernelINS0_14default_configENS1_35radix_sort_onesweep_config_selectorIiNS0_10empty_typeEEEZZNS1_29radix_sort_onesweep_iterationIS3_Lb0EN6thrust23THRUST_200600_302600_NS10device_ptrIiEESB_PS5_SC_jNS0_19identity_decomposerENS1_16block_id_wrapperIjLb0EEEEE10hipError_tT1_PNSt15iterator_traitsISH_E10value_typeET2_T3_PNSI_ISN_E10value_typeET4_T5_PSS_ST_PNS1_23onesweep_lookback_stateEbbT6_jjT7_P12ihipStream_tbENKUlT_T0_SH_SM_E_clISB_PiSC_SC_EEDaS10_S11_SH_SM_EUlS10_E_NS1_11comp_targetILNS1_3genE10ELNS1_11target_archE1201ELNS1_3gpuE5ELNS1_3repE0EEENS1_47radix_sort_onesweep_sort_config_static_selectorELNS0_4arch9wavefront6targetE0EEEvSH_.num_named_barrier, 0
	.set _ZN7rocprim17ROCPRIM_400000_NS6detail17trampoline_kernelINS0_14default_configENS1_35radix_sort_onesweep_config_selectorIiNS0_10empty_typeEEEZZNS1_29radix_sort_onesweep_iterationIS3_Lb0EN6thrust23THRUST_200600_302600_NS10device_ptrIiEESB_PS5_SC_jNS0_19identity_decomposerENS1_16block_id_wrapperIjLb0EEEEE10hipError_tT1_PNSt15iterator_traitsISH_E10value_typeET2_T3_PNSI_ISN_E10value_typeET4_T5_PSS_ST_PNS1_23onesweep_lookback_stateEbbT6_jjT7_P12ihipStream_tbENKUlT_T0_SH_SM_E_clISB_PiSC_SC_EEDaS10_S11_SH_SM_EUlS10_E_NS1_11comp_targetILNS1_3genE10ELNS1_11target_archE1201ELNS1_3gpuE5ELNS1_3repE0EEENS1_47radix_sort_onesweep_sort_config_static_selectorELNS0_4arch9wavefront6targetE0EEEvSH_.private_seg_size, 0
	.set _ZN7rocprim17ROCPRIM_400000_NS6detail17trampoline_kernelINS0_14default_configENS1_35radix_sort_onesweep_config_selectorIiNS0_10empty_typeEEEZZNS1_29radix_sort_onesweep_iterationIS3_Lb0EN6thrust23THRUST_200600_302600_NS10device_ptrIiEESB_PS5_SC_jNS0_19identity_decomposerENS1_16block_id_wrapperIjLb0EEEEE10hipError_tT1_PNSt15iterator_traitsISH_E10value_typeET2_T3_PNSI_ISN_E10value_typeET4_T5_PSS_ST_PNS1_23onesweep_lookback_stateEbbT6_jjT7_P12ihipStream_tbENKUlT_T0_SH_SM_E_clISB_PiSC_SC_EEDaS10_S11_SH_SM_EUlS10_E_NS1_11comp_targetILNS1_3genE10ELNS1_11target_archE1201ELNS1_3gpuE5ELNS1_3repE0EEENS1_47radix_sort_onesweep_sort_config_static_selectorELNS0_4arch9wavefront6targetE0EEEvSH_.uses_vcc, 0
	.set _ZN7rocprim17ROCPRIM_400000_NS6detail17trampoline_kernelINS0_14default_configENS1_35radix_sort_onesweep_config_selectorIiNS0_10empty_typeEEEZZNS1_29radix_sort_onesweep_iterationIS3_Lb0EN6thrust23THRUST_200600_302600_NS10device_ptrIiEESB_PS5_SC_jNS0_19identity_decomposerENS1_16block_id_wrapperIjLb0EEEEE10hipError_tT1_PNSt15iterator_traitsISH_E10value_typeET2_T3_PNSI_ISN_E10value_typeET4_T5_PSS_ST_PNS1_23onesweep_lookback_stateEbbT6_jjT7_P12ihipStream_tbENKUlT_T0_SH_SM_E_clISB_PiSC_SC_EEDaS10_S11_SH_SM_EUlS10_E_NS1_11comp_targetILNS1_3genE10ELNS1_11target_archE1201ELNS1_3gpuE5ELNS1_3repE0EEENS1_47radix_sort_onesweep_sort_config_static_selectorELNS0_4arch9wavefront6targetE0EEEvSH_.uses_flat_scratch, 0
	.set _ZN7rocprim17ROCPRIM_400000_NS6detail17trampoline_kernelINS0_14default_configENS1_35radix_sort_onesweep_config_selectorIiNS0_10empty_typeEEEZZNS1_29radix_sort_onesweep_iterationIS3_Lb0EN6thrust23THRUST_200600_302600_NS10device_ptrIiEESB_PS5_SC_jNS0_19identity_decomposerENS1_16block_id_wrapperIjLb0EEEEE10hipError_tT1_PNSt15iterator_traitsISH_E10value_typeET2_T3_PNSI_ISN_E10value_typeET4_T5_PSS_ST_PNS1_23onesweep_lookback_stateEbbT6_jjT7_P12ihipStream_tbENKUlT_T0_SH_SM_E_clISB_PiSC_SC_EEDaS10_S11_SH_SM_EUlS10_E_NS1_11comp_targetILNS1_3genE10ELNS1_11target_archE1201ELNS1_3gpuE5ELNS1_3repE0EEENS1_47radix_sort_onesweep_sort_config_static_selectorELNS0_4arch9wavefront6targetE0EEEvSH_.has_dyn_sized_stack, 0
	.set _ZN7rocprim17ROCPRIM_400000_NS6detail17trampoline_kernelINS0_14default_configENS1_35radix_sort_onesweep_config_selectorIiNS0_10empty_typeEEEZZNS1_29radix_sort_onesweep_iterationIS3_Lb0EN6thrust23THRUST_200600_302600_NS10device_ptrIiEESB_PS5_SC_jNS0_19identity_decomposerENS1_16block_id_wrapperIjLb0EEEEE10hipError_tT1_PNSt15iterator_traitsISH_E10value_typeET2_T3_PNSI_ISN_E10value_typeET4_T5_PSS_ST_PNS1_23onesweep_lookback_stateEbbT6_jjT7_P12ihipStream_tbENKUlT_T0_SH_SM_E_clISB_PiSC_SC_EEDaS10_S11_SH_SM_EUlS10_E_NS1_11comp_targetILNS1_3genE10ELNS1_11target_archE1201ELNS1_3gpuE5ELNS1_3repE0EEENS1_47radix_sort_onesweep_sort_config_static_selectorELNS0_4arch9wavefront6targetE0EEEvSH_.has_recursion, 0
	.set _ZN7rocprim17ROCPRIM_400000_NS6detail17trampoline_kernelINS0_14default_configENS1_35radix_sort_onesweep_config_selectorIiNS0_10empty_typeEEEZZNS1_29radix_sort_onesweep_iterationIS3_Lb0EN6thrust23THRUST_200600_302600_NS10device_ptrIiEESB_PS5_SC_jNS0_19identity_decomposerENS1_16block_id_wrapperIjLb0EEEEE10hipError_tT1_PNSt15iterator_traitsISH_E10value_typeET2_T3_PNSI_ISN_E10value_typeET4_T5_PSS_ST_PNS1_23onesweep_lookback_stateEbbT6_jjT7_P12ihipStream_tbENKUlT_T0_SH_SM_E_clISB_PiSC_SC_EEDaS10_S11_SH_SM_EUlS10_E_NS1_11comp_targetILNS1_3genE10ELNS1_11target_archE1201ELNS1_3gpuE5ELNS1_3repE0EEENS1_47radix_sort_onesweep_sort_config_static_selectorELNS0_4arch9wavefront6targetE0EEEvSH_.has_indirect_call, 0
	.section	.AMDGPU.csdata,"",@progbits
; Kernel info:
; codeLenInByte = 0
; TotalNumSgprs: 0
; NumVgprs: 0
; ScratchSize: 0
; MemoryBound: 0
; FloatMode: 240
; IeeeMode: 1
; LDSByteSize: 0 bytes/workgroup (compile time only)
; SGPRBlocks: 0
; VGPRBlocks: 0
; NumSGPRsForWavesPerEU: 1
; NumVGPRsForWavesPerEU: 1
; Occupancy: 16
; WaveLimiterHint : 0
; COMPUTE_PGM_RSRC2:SCRATCH_EN: 0
; COMPUTE_PGM_RSRC2:USER_SGPR: 6
; COMPUTE_PGM_RSRC2:TRAP_HANDLER: 0
; COMPUTE_PGM_RSRC2:TGID_X_EN: 1
; COMPUTE_PGM_RSRC2:TGID_Y_EN: 0
; COMPUTE_PGM_RSRC2:TGID_Z_EN: 0
; COMPUTE_PGM_RSRC2:TIDIG_COMP_CNT: 0
	.section	.text._ZN7rocprim17ROCPRIM_400000_NS6detail17trampoline_kernelINS0_14default_configENS1_35radix_sort_onesweep_config_selectorIiNS0_10empty_typeEEEZZNS1_29radix_sort_onesweep_iterationIS3_Lb0EN6thrust23THRUST_200600_302600_NS10device_ptrIiEESB_PS5_SC_jNS0_19identity_decomposerENS1_16block_id_wrapperIjLb0EEEEE10hipError_tT1_PNSt15iterator_traitsISH_E10value_typeET2_T3_PNSI_ISN_E10value_typeET4_T5_PSS_ST_PNS1_23onesweep_lookback_stateEbbT6_jjT7_P12ihipStream_tbENKUlT_T0_SH_SM_E_clISB_PiSC_SC_EEDaS10_S11_SH_SM_EUlS10_E_NS1_11comp_targetILNS1_3genE9ELNS1_11target_archE1100ELNS1_3gpuE3ELNS1_3repE0EEENS1_47radix_sort_onesweep_sort_config_static_selectorELNS0_4arch9wavefront6targetE0EEEvSH_,"axG",@progbits,_ZN7rocprim17ROCPRIM_400000_NS6detail17trampoline_kernelINS0_14default_configENS1_35radix_sort_onesweep_config_selectorIiNS0_10empty_typeEEEZZNS1_29radix_sort_onesweep_iterationIS3_Lb0EN6thrust23THRUST_200600_302600_NS10device_ptrIiEESB_PS5_SC_jNS0_19identity_decomposerENS1_16block_id_wrapperIjLb0EEEEE10hipError_tT1_PNSt15iterator_traitsISH_E10value_typeET2_T3_PNSI_ISN_E10value_typeET4_T5_PSS_ST_PNS1_23onesweep_lookback_stateEbbT6_jjT7_P12ihipStream_tbENKUlT_T0_SH_SM_E_clISB_PiSC_SC_EEDaS10_S11_SH_SM_EUlS10_E_NS1_11comp_targetILNS1_3genE9ELNS1_11target_archE1100ELNS1_3gpuE3ELNS1_3repE0EEENS1_47radix_sort_onesweep_sort_config_static_selectorELNS0_4arch9wavefront6targetE0EEEvSH_,comdat
	.protected	_ZN7rocprim17ROCPRIM_400000_NS6detail17trampoline_kernelINS0_14default_configENS1_35radix_sort_onesweep_config_selectorIiNS0_10empty_typeEEEZZNS1_29radix_sort_onesweep_iterationIS3_Lb0EN6thrust23THRUST_200600_302600_NS10device_ptrIiEESB_PS5_SC_jNS0_19identity_decomposerENS1_16block_id_wrapperIjLb0EEEEE10hipError_tT1_PNSt15iterator_traitsISH_E10value_typeET2_T3_PNSI_ISN_E10value_typeET4_T5_PSS_ST_PNS1_23onesweep_lookback_stateEbbT6_jjT7_P12ihipStream_tbENKUlT_T0_SH_SM_E_clISB_PiSC_SC_EEDaS10_S11_SH_SM_EUlS10_E_NS1_11comp_targetILNS1_3genE9ELNS1_11target_archE1100ELNS1_3gpuE3ELNS1_3repE0EEENS1_47radix_sort_onesweep_sort_config_static_selectorELNS0_4arch9wavefront6targetE0EEEvSH_ ; -- Begin function _ZN7rocprim17ROCPRIM_400000_NS6detail17trampoline_kernelINS0_14default_configENS1_35radix_sort_onesweep_config_selectorIiNS0_10empty_typeEEEZZNS1_29radix_sort_onesweep_iterationIS3_Lb0EN6thrust23THRUST_200600_302600_NS10device_ptrIiEESB_PS5_SC_jNS0_19identity_decomposerENS1_16block_id_wrapperIjLb0EEEEE10hipError_tT1_PNSt15iterator_traitsISH_E10value_typeET2_T3_PNSI_ISN_E10value_typeET4_T5_PSS_ST_PNS1_23onesweep_lookback_stateEbbT6_jjT7_P12ihipStream_tbENKUlT_T0_SH_SM_E_clISB_PiSC_SC_EEDaS10_S11_SH_SM_EUlS10_E_NS1_11comp_targetILNS1_3genE9ELNS1_11target_archE1100ELNS1_3gpuE3ELNS1_3repE0EEENS1_47radix_sort_onesweep_sort_config_static_selectorELNS0_4arch9wavefront6targetE0EEEvSH_
	.globl	_ZN7rocprim17ROCPRIM_400000_NS6detail17trampoline_kernelINS0_14default_configENS1_35radix_sort_onesweep_config_selectorIiNS0_10empty_typeEEEZZNS1_29radix_sort_onesweep_iterationIS3_Lb0EN6thrust23THRUST_200600_302600_NS10device_ptrIiEESB_PS5_SC_jNS0_19identity_decomposerENS1_16block_id_wrapperIjLb0EEEEE10hipError_tT1_PNSt15iterator_traitsISH_E10value_typeET2_T3_PNSI_ISN_E10value_typeET4_T5_PSS_ST_PNS1_23onesweep_lookback_stateEbbT6_jjT7_P12ihipStream_tbENKUlT_T0_SH_SM_E_clISB_PiSC_SC_EEDaS10_S11_SH_SM_EUlS10_E_NS1_11comp_targetILNS1_3genE9ELNS1_11target_archE1100ELNS1_3gpuE3ELNS1_3repE0EEENS1_47radix_sort_onesweep_sort_config_static_selectorELNS0_4arch9wavefront6targetE0EEEvSH_
	.p2align	8
	.type	_ZN7rocprim17ROCPRIM_400000_NS6detail17trampoline_kernelINS0_14default_configENS1_35radix_sort_onesweep_config_selectorIiNS0_10empty_typeEEEZZNS1_29radix_sort_onesweep_iterationIS3_Lb0EN6thrust23THRUST_200600_302600_NS10device_ptrIiEESB_PS5_SC_jNS0_19identity_decomposerENS1_16block_id_wrapperIjLb0EEEEE10hipError_tT1_PNSt15iterator_traitsISH_E10value_typeET2_T3_PNSI_ISN_E10value_typeET4_T5_PSS_ST_PNS1_23onesweep_lookback_stateEbbT6_jjT7_P12ihipStream_tbENKUlT_T0_SH_SM_E_clISB_PiSC_SC_EEDaS10_S11_SH_SM_EUlS10_E_NS1_11comp_targetILNS1_3genE9ELNS1_11target_archE1100ELNS1_3gpuE3ELNS1_3repE0EEENS1_47radix_sort_onesweep_sort_config_static_selectorELNS0_4arch9wavefront6targetE0EEEvSH_,@function
_ZN7rocprim17ROCPRIM_400000_NS6detail17trampoline_kernelINS0_14default_configENS1_35radix_sort_onesweep_config_selectorIiNS0_10empty_typeEEEZZNS1_29radix_sort_onesweep_iterationIS3_Lb0EN6thrust23THRUST_200600_302600_NS10device_ptrIiEESB_PS5_SC_jNS0_19identity_decomposerENS1_16block_id_wrapperIjLb0EEEEE10hipError_tT1_PNSt15iterator_traitsISH_E10value_typeET2_T3_PNSI_ISN_E10value_typeET4_T5_PSS_ST_PNS1_23onesweep_lookback_stateEbbT6_jjT7_P12ihipStream_tbENKUlT_T0_SH_SM_E_clISB_PiSC_SC_EEDaS10_S11_SH_SM_EUlS10_E_NS1_11comp_targetILNS1_3genE9ELNS1_11target_archE1100ELNS1_3gpuE3ELNS1_3repE0EEENS1_47radix_sort_onesweep_sort_config_static_selectorELNS0_4arch9wavefront6targetE0EEEvSH_: ; @_ZN7rocprim17ROCPRIM_400000_NS6detail17trampoline_kernelINS0_14default_configENS1_35radix_sort_onesweep_config_selectorIiNS0_10empty_typeEEEZZNS1_29radix_sort_onesweep_iterationIS3_Lb0EN6thrust23THRUST_200600_302600_NS10device_ptrIiEESB_PS5_SC_jNS0_19identity_decomposerENS1_16block_id_wrapperIjLb0EEEEE10hipError_tT1_PNSt15iterator_traitsISH_E10value_typeET2_T3_PNSI_ISN_E10value_typeET4_T5_PSS_ST_PNS1_23onesweep_lookback_stateEbbT6_jjT7_P12ihipStream_tbENKUlT_T0_SH_SM_E_clISB_PiSC_SC_EEDaS10_S11_SH_SM_EUlS10_E_NS1_11comp_targetILNS1_3genE9ELNS1_11target_archE1100ELNS1_3gpuE3ELNS1_3repE0EEENS1_47radix_sort_onesweep_sort_config_static_selectorELNS0_4arch9wavefront6targetE0EEEvSH_
; %bb.0:
	.section	.rodata,"a",@progbits
	.p2align	6, 0x0
	.amdhsa_kernel _ZN7rocprim17ROCPRIM_400000_NS6detail17trampoline_kernelINS0_14default_configENS1_35radix_sort_onesweep_config_selectorIiNS0_10empty_typeEEEZZNS1_29radix_sort_onesweep_iterationIS3_Lb0EN6thrust23THRUST_200600_302600_NS10device_ptrIiEESB_PS5_SC_jNS0_19identity_decomposerENS1_16block_id_wrapperIjLb0EEEEE10hipError_tT1_PNSt15iterator_traitsISH_E10value_typeET2_T3_PNSI_ISN_E10value_typeET4_T5_PSS_ST_PNS1_23onesweep_lookback_stateEbbT6_jjT7_P12ihipStream_tbENKUlT_T0_SH_SM_E_clISB_PiSC_SC_EEDaS10_S11_SH_SM_EUlS10_E_NS1_11comp_targetILNS1_3genE9ELNS1_11target_archE1100ELNS1_3gpuE3ELNS1_3repE0EEENS1_47radix_sort_onesweep_sort_config_static_selectorELNS0_4arch9wavefront6targetE0EEEvSH_
		.amdhsa_group_segment_fixed_size 0
		.amdhsa_private_segment_fixed_size 0
		.amdhsa_kernarg_size 88
		.amdhsa_user_sgpr_count 6
		.amdhsa_user_sgpr_private_segment_buffer 1
		.amdhsa_user_sgpr_dispatch_ptr 0
		.amdhsa_user_sgpr_queue_ptr 0
		.amdhsa_user_sgpr_kernarg_segment_ptr 1
		.amdhsa_user_sgpr_dispatch_id 0
		.amdhsa_user_sgpr_flat_scratch_init 0
		.amdhsa_user_sgpr_private_segment_size 0
		.amdhsa_wavefront_size32 1
		.amdhsa_uses_dynamic_stack 0
		.amdhsa_system_sgpr_private_segment_wavefront_offset 0
		.amdhsa_system_sgpr_workgroup_id_x 1
		.amdhsa_system_sgpr_workgroup_id_y 0
		.amdhsa_system_sgpr_workgroup_id_z 0
		.amdhsa_system_sgpr_workgroup_info 0
		.amdhsa_system_vgpr_workitem_id 0
		.amdhsa_next_free_vgpr 1
		.amdhsa_next_free_sgpr 1
		.amdhsa_reserve_vcc 0
		.amdhsa_reserve_flat_scratch 0
		.amdhsa_float_round_mode_32 0
		.amdhsa_float_round_mode_16_64 0
		.amdhsa_float_denorm_mode_32 3
		.amdhsa_float_denorm_mode_16_64 3
		.amdhsa_dx10_clamp 1
		.amdhsa_ieee_mode 1
		.amdhsa_fp16_overflow 0
		.amdhsa_workgroup_processor_mode 1
		.amdhsa_memory_ordered 1
		.amdhsa_forward_progress 1
		.amdhsa_shared_vgpr_count 0
		.amdhsa_exception_fp_ieee_invalid_op 0
		.amdhsa_exception_fp_denorm_src 0
		.amdhsa_exception_fp_ieee_div_zero 0
		.amdhsa_exception_fp_ieee_overflow 0
		.amdhsa_exception_fp_ieee_underflow 0
		.amdhsa_exception_fp_ieee_inexact 0
		.amdhsa_exception_int_div_zero 0
	.end_amdhsa_kernel
	.section	.text._ZN7rocprim17ROCPRIM_400000_NS6detail17trampoline_kernelINS0_14default_configENS1_35radix_sort_onesweep_config_selectorIiNS0_10empty_typeEEEZZNS1_29radix_sort_onesweep_iterationIS3_Lb0EN6thrust23THRUST_200600_302600_NS10device_ptrIiEESB_PS5_SC_jNS0_19identity_decomposerENS1_16block_id_wrapperIjLb0EEEEE10hipError_tT1_PNSt15iterator_traitsISH_E10value_typeET2_T3_PNSI_ISN_E10value_typeET4_T5_PSS_ST_PNS1_23onesweep_lookback_stateEbbT6_jjT7_P12ihipStream_tbENKUlT_T0_SH_SM_E_clISB_PiSC_SC_EEDaS10_S11_SH_SM_EUlS10_E_NS1_11comp_targetILNS1_3genE9ELNS1_11target_archE1100ELNS1_3gpuE3ELNS1_3repE0EEENS1_47radix_sort_onesweep_sort_config_static_selectorELNS0_4arch9wavefront6targetE0EEEvSH_,"axG",@progbits,_ZN7rocprim17ROCPRIM_400000_NS6detail17trampoline_kernelINS0_14default_configENS1_35radix_sort_onesweep_config_selectorIiNS0_10empty_typeEEEZZNS1_29radix_sort_onesweep_iterationIS3_Lb0EN6thrust23THRUST_200600_302600_NS10device_ptrIiEESB_PS5_SC_jNS0_19identity_decomposerENS1_16block_id_wrapperIjLb0EEEEE10hipError_tT1_PNSt15iterator_traitsISH_E10value_typeET2_T3_PNSI_ISN_E10value_typeET4_T5_PSS_ST_PNS1_23onesweep_lookback_stateEbbT6_jjT7_P12ihipStream_tbENKUlT_T0_SH_SM_E_clISB_PiSC_SC_EEDaS10_S11_SH_SM_EUlS10_E_NS1_11comp_targetILNS1_3genE9ELNS1_11target_archE1100ELNS1_3gpuE3ELNS1_3repE0EEENS1_47radix_sort_onesweep_sort_config_static_selectorELNS0_4arch9wavefront6targetE0EEEvSH_,comdat
.Lfunc_end1287:
	.size	_ZN7rocprim17ROCPRIM_400000_NS6detail17trampoline_kernelINS0_14default_configENS1_35radix_sort_onesweep_config_selectorIiNS0_10empty_typeEEEZZNS1_29radix_sort_onesweep_iterationIS3_Lb0EN6thrust23THRUST_200600_302600_NS10device_ptrIiEESB_PS5_SC_jNS0_19identity_decomposerENS1_16block_id_wrapperIjLb0EEEEE10hipError_tT1_PNSt15iterator_traitsISH_E10value_typeET2_T3_PNSI_ISN_E10value_typeET4_T5_PSS_ST_PNS1_23onesweep_lookback_stateEbbT6_jjT7_P12ihipStream_tbENKUlT_T0_SH_SM_E_clISB_PiSC_SC_EEDaS10_S11_SH_SM_EUlS10_E_NS1_11comp_targetILNS1_3genE9ELNS1_11target_archE1100ELNS1_3gpuE3ELNS1_3repE0EEENS1_47radix_sort_onesweep_sort_config_static_selectorELNS0_4arch9wavefront6targetE0EEEvSH_, .Lfunc_end1287-_ZN7rocprim17ROCPRIM_400000_NS6detail17trampoline_kernelINS0_14default_configENS1_35radix_sort_onesweep_config_selectorIiNS0_10empty_typeEEEZZNS1_29radix_sort_onesweep_iterationIS3_Lb0EN6thrust23THRUST_200600_302600_NS10device_ptrIiEESB_PS5_SC_jNS0_19identity_decomposerENS1_16block_id_wrapperIjLb0EEEEE10hipError_tT1_PNSt15iterator_traitsISH_E10value_typeET2_T3_PNSI_ISN_E10value_typeET4_T5_PSS_ST_PNS1_23onesweep_lookback_stateEbbT6_jjT7_P12ihipStream_tbENKUlT_T0_SH_SM_E_clISB_PiSC_SC_EEDaS10_S11_SH_SM_EUlS10_E_NS1_11comp_targetILNS1_3genE9ELNS1_11target_archE1100ELNS1_3gpuE3ELNS1_3repE0EEENS1_47radix_sort_onesweep_sort_config_static_selectorELNS0_4arch9wavefront6targetE0EEEvSH_
                                        ; -- End function
	.set _ZN7rocprim17ROCPRIM_400000_NS6detail17trampoline_kernelINS0_14default_configENS1_35radix_sort_onesweep_config_selectorIiNS0_10empty_typeEEEZZNS1_29radix_sort_onesweep_iterationIS3_Lb0EN6thrust23THRUST_200600_302600_NS10device_ptrIiEESB_PS5_SC_jNS0_19identity_decomposerENS1_16block_id_wrapperIjLb0EEEEE10hipError_tT1_PNSt15iterator_traitsISH_E10value_typeET2_T3_PNSI_ISN_E10value_typeET4_T5_PSS_ST_PNS1_23onesweep_lookback_stateEbbT6_jjT7_P12ihipStream_tbENKUlT_T0_SH_SM_E_clISB_PiSC_SC_EEDaS10_S11_SH_SM_EUlS10_E_NS1_11comp_targetILNS1_3genE9ELNS1_11target_archE1100ELNS1_3gpuE3ELNS1_3repE0EEENS1_47radix_sort_onesweep_sort_config_static_selectorELNS0_4arch9wavefront6targetE0EEEvSH_.num_vgpr, 0
	.set _ZN7rocprim17ROCPRIM_400000_NS6detail17trampoline_kernelINS0_14default_configENS1_35radix_sort_onesweep_config_selectorIiNS0_10empty_typeEEEZZNS1_29radix_sort_onesweep_iterationIS3_Lb0EN6thrust23THRUST_200600_302600_NS10device_ptrIiEESB_PS5_SC_jNS0_19identity_decomposerENS1_16block_id_wrapperIjLb0EEEEE10hipError_tT1_PNSt15iterator_traitsISH_E10value_typeET2_T3_PNSI_ISN_E10value_typeET4_T5_PSS_ST_PNS1_23onesweep_lookback_stateEbbT6_jjT7_P12ihipStream_tbENKUlT_T0_SH_SM_E_clISB_PiSC_SC_EEDaS10_S11_SH_SM_EUlS10_E_NS1_11comp_targetILNS1_3genE9ELNS1_11target_archE1100ELNS1_3gpuE3ELNS1_3repE0EEENS1_47radix_sort_onesweep_sort_config_static_selectorELNS0_4arch9wavefront6targetE0EEEvSH_.num_agpr, 0
	.set _ZN7rocprim17ROCPRIM_400000_NS6detail17trampoline_kernelINS0_14default_configENS1_35radix_sort_onesweep_config_selectorIiNS0_10empty_typeEEEZZNS1_29radix_sort_onesweep_iterationIS3_Lb0EN6thrust23THRUST_200600_302600_NS10device_ptrIiEESB_PS5_SC_jNS0_19identity_decomposerENS1_16block_id_wrapperIjLb0EEEEE10hipError_tT1_PNSt15iterator_traitsISH_E10value_typeET2_T3_PNSI_ISN_E10value_typeET4_T5_PSS_ST_PNS1_23onesweep_lookback_stateEbbT6_jjT7_P12ihipStream_tbENKUlT_T0_SH_SM_E_clISB_PiSC_SC_EEDaS10_S11_SH_SM_EUlS10_E_NS1_11comp_targetILNS1_3genE9ELNS1_11target_archE1100ELNS1_3gpuE3ELNS1_3repE0EEENS1_47radix_sort_onesweep_sort_config_static_selectorELNS0_4arch9wavefront6targetE0EEEvSH_.numbered_sgpr, 0
	.set _ZN7rocprim17ROCPRIM_400000_NS6detail17trampoline_kernelINS0_14default_configENS1_35radix_sort_onesweep_config_selectorIiNS0_10empty_typeEEEZZNS1_29radix_sort_onesweep_iterationIS3_Lb0EN6thrust23THRUST_200600_302600_NS10device_ptrIiEESB_PS5_SC_jNS0_19identity_decomposerENS1_16block_id_wrapperIjLb0EEEEE10hipError_tT1_PNSt15iterator_traitsISH_E10value_typeET2_T3_PNSI_ISN_E10value_typeET4_T5_PSS_ST_PNS1_23onesweep_lookback_stateEbbT6_jjT7_P12ihipStream_tbENKUlT_T0_SH_SM_E_clISB_PiSC_SC_EEDaS10_S11_SH_SM_EUlS10_E_NS1_11comp_targetILNS1_3genE9ELNS1_11target_archE1100ELNS1_3gpuE3ELNS1_3repE0EEENS1_47radix_sort_onesweep_sort_config_static_selectorELNS0_4arch9wavefront6targetE0EEEvSH_.num_named_barrier, 0
	.set _ZN7rocprim17ROCPRIM_400000_NS6detail17trampoline_kernelINS0_14default_configENS1_35radix_sort_onesweep_config_selectorIiNS0_10empty_typeEEEZZNS1_29radix_sort_onesweep_iterationIS3_Lb0EN6thrust23THRUST_200600_302600_NS10device_ptrIiEESB_PS5_SC_jNS0_19identity_decomposerENS1_16block_id_wrapperIjLb0EEEEE10hipError_tT1_PNSt15iterator_traitsISH_E10value_typeET2_T3_PNSI_ISN_E10value_typeET4_T5_PSS_ST_PNS1_23onesweep_lookback_stateEbbT6_jjT7_P12ihipStream_tbENKUlT_T0_SH_SM_E_clISB_PiSC_SC_EEDaS10_S11_SH_SM_EUlS10_E_NS1_11comp_targetILNS1_3genE9ELNS1_11target_archE1100ELNS1_3gpuE3ELNS1_3repE0EEENS1_47radix_sort_onesweep_sort_config_static_selectorELNS0_4arch9wavefront6targetE0EEEvSH_.private_seg_size, 0
	.set _ZN7rocprim17ROCPRIM_400000_NS6detail17trampoline_kernelINS0_14default_configENS1_35radix_sort_onesweep_config_selectorIiNS0_10empty_typeEEEZZNS1_29radix_sort_onesweep_iterationIS3_Lb0EN6thrust23THRUST_200600_302600_NS10device_ptrIiEESB_PS5_SC_jNS0_19identity_decomposerENS1_16block_id_wrapperIjLb0EEEEE10hipError_tT1_PNSt15iterator_traitsISH_E10value_typeET2_T3_PNSI_ISN_E10value_typeET4_T5_PSS_ST_PNS1_23onesweep_lookback_stateEbbT6_jjT7_P12ihipStream_tbENKUlT_T0_SH_SM_E_clISB_PiSC_SC_EEDaS10_S11_SH_SM_EUlS10_E_NS1_11comp_targetILNS1_3genE9ELNS1_11target_archE1100ELNS1_3gpuE3ELNS1_3repE0EEENS1_47radix_sort_onesweep_sort_config_static_selectorELNS0_4arch9wavefront6targetE0EEEvSH_.uses_vcc, 0
	.set _ZN7rocprim17ROCPRIM_400000_NS6detail17trampoline_kernelINS0_14default_configENS1_35radix_sort_onesweep_config_selectorIiNS0_10empty_typeEEEZZNS1_29radix_sort_onesweep_iterationIS3_Lb0EN6thrust23THRUST_200600_302600_NS10device_ptrIiEESB_PS5_SC_jNS0_19identity_decomposerENS1_16block_id_wrapperIjLb0EEEEE10hipError_tT1_PNSt15iterator_traitsISH_E10value_typeET2_T3_PNSI_ISN_E10value_typeET4_T5_PSS_ST_PNS1_23onesweep_lookback_stateEbbT6_jjT7_P12ihipStream_tbENKUlT_T0_SH_SM_E_clISB_PiSC_SC_EEDaS10_S11_SH_SM_EUlS10_E_NS1_11comp_targetILNS1_3genE9ELNS1_11target_archE1100ELNS1_3gpuE3ELNS1_3repE0EEENS1_47radix_sort_onesweep_sort_config_static_selectorELNS0_4arch9wavefront6targetE0EEEvSH_.uses_flat_scratch, 0
	.set _ZN7rocprim17ROCPRIM_400000_NS6detail17trampoline_kernelINS0_14default_configENS1_35radix_sort_onesweep_config_selectorIiNS0_10empty_typeEEEZZNS1_29radix_sort_onesweep_iterationIS3_Lb0EN6thrust23THRUST_200600_302600_NS10device_ptrIiEESB_PS5_SC_jNS0_19identity_decomposerENS1_16block_id_wrapperIjLb0EEEEE10hipError_tT1_PNSt15iterator_traitsISH_E10value_typeET2_T3_PNSI_ISN_E10value_typeET4_T5_PSS_ST_PNS1_23onesweep_lookback_stateEbbT6_jjT7_P12ihipStream_tbENKUlT_T0_SH_SM_E_clISB_PiSC_SC_EEDaS10_S11_SH_SM_EUlS10_E_NS1_11comp_targetILNS1_3genE9ELNS1_11target_archE1100ELNS1_3gpuE3ELNS1_3repE0EEENS1_47radix_sort_onesweep_sort_config_static_selectorELNS0_4arch9wavefront6targetE0EEEvSH_.has_dyn_sized_stack, 0
	.set _ZN7rocprim17ROCPRIM_400000_NS6detail17trampoline_kernelINS0_14default_configENS1_35radix_sort_onesweep_config_selectorIiNS0_10empty_typeEEEZZNS1_29radix_sort_onesweep_iterationIS3_Lb0EN6thrust23THRUST_200600_302600_NS10device_ptrIiEESB_PS5_SC_jNS0_19identity_decomposerENS1_16block_id_wrapperIjLb0EEEEE10hipError_tT1_PNSt15iterator_traitsISH_E10value_typeET2_T3_PNSI_ISN_E10value_typeET4_T5_PSS_ST_PNS1_23onesweep_lookback_stateEbbT6_jjT7_P12ihipStream_tbENKUlT_T0_SH_SM_E_clISB_PiSC_SC_EEDaS10_S11_SH_SM_EUlS10_E_NS1_11comp_targetILNS1_3genE9ELNS1_11target_archE1100ELNS1_3gpuE3ELNS1_3repE0EEENS1_47radix_sort_onesweep_sort_config_static_selectorELNS0_4arch9wavefront6targetE0EEEvSH_.has_recursion, 0
	.set _ZN7rocprim17ROCPRIM_400000_NS6detail17trampoline_kernelINS0_14default_configENS1_35radix_sort_onesweep_config_selectorIiNS0_10empty_typeEEEZZNS1_29radix_sort_onesweep_iterationIS3_Lb0EN6thrust23THRUST_200600_302600_NS10device_ptrIiEESB_PS5_SC_jNS0_19identity_decomposerENS1_16block_id_wrapperIjLb0EEEEE10hipError_tT1_PNSt15iterator_traitsISH_E10value_typeET2_T3_PNSI_ISN_E10value_typeET4_T5_PSS_ST_PNS1_23onesweep_lookback_stateEbbT6_jjT7_P12ihipStream_tbENKUlT_T0_SH_SM_E_clISB_PiSC_SC_EEDaS10_S11_SH_SM_EUlS10_E_NS1_11comp_targetILNS1_3genE9ELNS1_11target_archE1100ELNS1_3gpuE3ELNS1_3repE0EEENS1_47radix_sort_onesweep_sort_config_static_selectorELNS0_4arch9wavefront6targetE0EEEvSH_.has_indirect_call, 0
	.section	.AMDGPU.csdata,"",@progbits
; Kernel info:
; codeLenInByte = 0
; TotalNumSgprs: 0
; NumVgprs: 0
; ScratchSize: 0
; MemoryBound: 0
; FloatMode: 240
; IeeeMode: 1
; LDSByteSize: 0 bytes/workgroup (compile time only)
; SGPRBlocks: 0
; VGPRBlocks: 0
; NumSGPRsForWavesPerEU: 1
; NumVGPRsForWavesPerEU: 1
; Occupancy: 16
; WaveLimiterHint : 0
; COMPUTE_PGM_RSRC2:SCRATCH_EN: 0
; COMPUTE_PGM_RSRC2:USER_SGPR: 6
; COMPUTE_PGM_RSRC2:TRAP_HANDLER: 0
; COMPUTE_PGM_RSRC2:TGID_X_EN: 1
; COMPUTE_PGM_RSRC2:TGID_Y_EN: 0
; COMPUTE_PGM_RSRC2:TGID_Z_EN: 0
; COMPUTE_PGM_RSRC2:TIDIG_COMP_CNT: 0
	.section	.text._ZN7rocprim17ROCPRIM_400000_NS6detail17trampoline_kernelINS0_14default_configENS1_35radix_sort_onesweep_config_selectorIiNS0_10empty_typeEEEZZNS1_29radix_sort_onesweep_iterationIS3_Lb0EN6thrust23THRUST_200600_302600_NS10device_ptrIiEESB_PS5_SC_jNS0_19identity_decomposerENS1_16block_id_wrapperIjLb0EEEEE10hipError_tT1_PNSt15iterator_traitsISH_E10value_typeET2_T3_PNSI_ISN_E10value_typeET4_T5_PSS_ST_PNS1_23onesweep_lookback_stateEbbT6_jjT7_P12ihipStream_tbENKUlT_T0_SH_SM_E_clISB_PiSC_SC_EEDaS10_S11_SH_SM_EUlS10_E_NS1_11comp_targetILNS1_3genE8ELNS1_11target_archE1030ELNS1_3gpuE2ELNS1_3repE0EEENS1_47radix_sort_onesweep_sort_config_static_selectorELNS0_4arch9wavefront6targetE0EEEvSH_,"axG",@progbits,_ZN7rocprim17ROCPRIM_400000_NS6detail17trampoline_kernelINS0_14default_configENS1_35radix_sort_onesweep_config_selectorIiNS0_10empty_typeEEEZZNS1_29radix_sort_onesweep_iterationIS3_Lb0EN6thrust23THRUST_200600_302600_NS10device_ptrIiEESB_PS5_SC_jNS0_19identity_decomposerENS1_16block_id_wrapperIjLb0EEEEE10hipError_tT1_PNSt15iterator_traitsISH_E10value_typeET2_T3_PNSI_ISN_E10value_typeET4_T5_PSS_ST_PNS1_23onesweep_lookback_stateEbbT6_jjT7_P12ihipStream_tbENKUlT_T0_SH_SM_E_clISB_PiSC_SC_EEDaS10_S11_SH_SM_EUlS10_E_NS1_11comp_targetILNS1_3genE8ELNS1_11target_archE1030ELNS1_3gpuE2ELNS1_3repE0EEENS1_47radix_sort_onesweep_sort_config_static_selectorELNS0_4arch9wavefront6targetE0EEEvSH_,comdat
	.protected	_ZN7rocprim17ROCPRIM_400000_NS6detail17trampoline_kernelINS0_14default_configENS1_35radix_sort_onesweep_config_selectorIiNS0_10empty_typeEEEZZNS1_29radix_sort_onesweep_iterationIS3_Lb0EN6thrust23THRUST_200600_302600_NS10device_ptrIiEESB_PS5_SC_jNS0_19identity_decomposerENS1_16block_id_wrapperIjLb0EEEEE10hipError_tT1_PNSt15iterator_traitsISH_E10value_typeET2_T3_PNSI_ISN_E10value_typeET4_T5_PSS_ST_PNS1_23onesweep_lookback_stateEbbT6_jjT7_P12ihipStream_tbENKUlT_T0_SH_SM_E_clISB_PiSC_SC_EEDaS10_S11_SH_SM_EUlS10_E_NS1_11comp_targetILNS1_3genE8ELNS1_11target_archE1030ELNS1_3gpuE2ELNS1_3repE0EEENS1_47radix_sort_onesweep_sort_config_static_selectorELNS0_4arch9wavefront6targetE0EEEvSH_ ; -- Begin function _ZN7rocprim17ROCPRIM_400000_NS6detail17trampoline_kernelINS0_14default_configENS1_35radix_sort_onesweep_config_selectorIiNS0_10empty_typeEEEZZNS1_29radix_sort_onesweep_iterationIS3_Lb0EN6thrust23THRUST_200600_302600_NS10device_ptrIiEESB_PS5_SC_jNS0_19identity_decomposerENS1_16block_id_wrapperIjLb0EEEEE10hipError_tT1_PNSt15iterator_traitsISH_E10value_typeET2_T3_PNSI_ISN_E10value_typeET4_T5_PSS_ST_PNS1_23onesweep_lookback_stateEbbT6_jjT7_P12ihipStream_tbENKUlT_T0_SH_SM_E_clISB_PiSC_SC_EEDaS10_S11_SH_SM_EUlS10_E_NS1_11comp_targetILNS1_3genE8ELNS1_11target_archE1030ELNS1_3gpuE2ELNS1_3repE0EEENS1_47radix_sort_onesweep_sort_config_static_selectorELNS0_4arch9wavefront6targetE0EEEvSH_
	.globl	_ZN7rocprim17ROCPRIM_400000_NS6detail17trampoline_kernelINS0_14default_configENS1_35radix_sort_onesweep_config_selectorIiNS0_10empty_typeEEEZZNS1_29radix_sort_onesweep_iterationIS3_Lb0EN6thrust23THRUST_200600_302600_NS10device_ptrIiEESB_PS5_SC_jNS0_19identity_decomposerENS1_16block_id_wrapperIjLb0EEEEE10hipError_tT1_PNSt15iterator_traitsISH_E10value_typeET2_T3_PNSI_ISN_E10value_typeET4_T5_PSS_ST_PNS1_23onesweep_lookback_stateEbbT6_jjT7_P12ihipStream_tbENKUlT_T0_SH_SM_E_clISB_PiSC_SC_EEDaS10_S11_SH_SM_EUlS10_E_NS1_11comp_targetILNS1_3genE8ELNS1_11target_archE1030ELNS1_3gpuE2ELNS1_3repE0EEENS1_47radix_sort_onesweep_sort_config_static_selectorELNS0_4arch9wavefront6targetE0EEEvSH_
	.p2align	8
	.type	_ZN7rocprim17ROCPRIM_400000_NS6detail17trampoline_kernelINS0_14default_configENS1_35radix_sort_onesweep_config_selectorIiNS0_10empty_typeEEEZZNS1_29radix_sort_onesweep_iterationIS3_Lb0EN6thrust23THRUST_200600_302600_NS10device_ptrIiEESB_PS5_SC_jNS0_19identity_decomposerENS1_16block_id_wrapperIjLb0EEEEE10hipError_tT1_PNSt15iterator_traitsISH_E10value_typeET2_T3_PNSI_ISN_E10value_typeET4_T5_PSS_ST_PNS1_23onesweep_lookback_stateEbbT6_jjT7_P12ihipStream_tbENKUlT_T0_SH_SM_E_clISB_PiSC_SC_EEDaS10_S11_SH_SM_EUlS10_E_NS1_11comp_targetILNS1_3genE8ELNS1_11target_archE1030ELNS1_3gpuE2ELNS1_3repE0EEENS1_47radix_sort_onesweep_sort_config_static_selectorELNS0_4arch9wavefront6targetE0EEEvSH_,@function
_ZN7rocprim17ROCPRIM_400000_NS6detail17trampoline_kernelINS0_14default_configENS1_35radix_sort_onesweep_config_selectorIiNS0_10empty_typeEEEZZNS1_29radix_sort_onesweep_iterationIS3_Lb0EN6thrust23THRUST_200600_302600_NS10device_ptrIiEESB_PS5_SC_jNS0_19identity_decomposerENS1_16block_id_wrapperIjLb0EEEEE10hipError_tT1_PNSt15iterator_traitsISH_E10value_typeET2_T3_PNSI_ISN_E10value_typeET4_T5_PSS_ST_PNS1_23onesweep_lookback_stateEbbT6_jjT7_P12ihipStream_tbENKUlT_T0_SH_SM_E_clISB_PiSC_SC_EEDaS10_S11_SH_SM_EUlS10_E_NS1_11comp_targetILNS1_3genE8ELNS1_11target_archE1030ELNS1_3gpuE2ELNS1_3repE0EEENS1_47radix_sort_onesweep_sort_config_static_selectorELNS0_4arch9wavefront6targetE0EEEvSH_: ; @_ZN7rocprim17ROCPRIM_400000_NS6detail17trampoline_kernelINS0_14default_configENS1_35radix_sort_onesweep_config_selectorIiNS0_10empty_typeEEEZZNS1_29radix_sort_onesweep_iterationIS3_Lb0EN6thrust23THRUST_200600_302600_NS10device_ptrIiEESB_PS5_SC_jNS0_19identity_decomposerENS1_16block_id_wrapperIjLb0EEEEE10hipError_tT1_PNSt15iterator_traitsISH_E10value_typeET2_T3_PNSI_ISN_E10value_typeET4_T5_PSS_ST_PNS1_23onesweep_lookback_stateEbbT6_jjT7_P12ihipStream_tbENKUlT_T0_SH_SM_E_clISB_PiSC_SC_EEDaS10_S11_SH_SM_EUlS10_E_NS1_11comp_targetILNS1_3genE8ELNS1_11target_archE1030ELNS1_3gpuE2ELNS1_3repE0EEENS1_47radix_sort_onesweep_sort_config_static_selectorELNS0_4arch9wavefront6targetE0EEEvSH_
; %bb.0:
	s_clause 0x3
	s_load_dwordx4 s[20:23], s[4:5], 0x44
	s_load_dwordx2 s[10:11], s[4:5], 0x38
	s_load_dwordx4 s[16:19], s[4:5], 0x0
	s_load_dwordx4 s[12:15], s[4:5], 0x28
	v_mbcnt_lo_u32_b32 v12, -1, 0
	v_lshlrev_b32_e32 v11, 2, v0
	s_mov_b32 s0, -1
	s_waitcnt lgkmcnt(0)
	s_cmp_ge_u32 s6, s22
	s_cbranch_scc0 .LBB1288_48
; %bb.1:
	s_load_dword s2, s[4:5], 0x20
	s_lshl_b32 s0, s6, 12
	s_mov_b32 s1, 0
	s_lshl_b32 s3, s22, 12
	v_and_b32_e32 v4, 0xf80, v11
	v_lshlrev_b32_e32 v6, 2, v12
	s_lshl_b64 s[0:1], s[0:1], 2
	v_bfrev_b32_e32 v3, -2
	v_lshlrev_b32_e32 v7, 2, v4
	v_or_b32_e32 v9, v12, v4
	v_mov_b32_e32 v4, v3
	v_mov_b32_e32 v5, v3
	s_waitcnt lgkmcnt(0)
	s_sub_i32 s9, s2, s3
	s_add_u32 s0, s16, s0
	s_addc_u32 s1, s17, s1
	v_add_co_u32 v6, s0, s0, v6
	v_add_co_ci_u32_e64 v8, null, s1, 0, s0
	v_add_co_u32 v7, s0, v6, v7
	v_add_co_ci_u32_e64 v8, null, 0, v8, s0
	v_mov_b32_e32 v6, v3
	s_mov_b32 s0, exec_lo
	v_cmpx_gt_u32_e64 s9, v9
	s_cbranch_execz .LBB1288_3
; %bb.2:
	global_load_dword v13, v[7:8], off
	v_mov_b32_e32 v14, v3
	v_mov_b32_e32 v15, v3
	;; [unrolled: 1-line block ×3, first 2 shown]
	s_waitcnt vmcnt(0)
	v_mov_b32_e32 v3, v13
	v_mov_b32_e32 v4, v14
	;; [unrolled: 1-line block ×4, first 2 shown]
.LBB1288_3:
	s_or_b32 exec_lo, exec_lo, s0
	v_or_b32_e32 v10, 32, v9
	s_mov_b32 s0, exec_lo
	v_cmpx_gt_u32_e64 s9, v10
	s_cbranch_execz .LBB1288_5
; %bb.4:
	global_load_dword v4, v[7:8], off offset:128
.LBB1288_5:
	s_or_b32 exec_lo, exec_lo, s0
	v_or_b32_e32 v10, 64, v9
	s_mov_b32 s0, exec_lo
	v_cmpx_gt_u32_e64 s9, v10
	s_cbranch_execz .LBB1288_7
; %bb.6:
	global_load_dword v5, v[7:8], off offset:256
.LBB1288_7:
	;; [unrolled: 8-line block ×3, first 2 shown]
	s_or_b32 exec_lo, exec_lo, s0
	s_clause 0x1
	s_load_dword s0, s[4:5], 0x64
	s_load_dword s22, s[4:5], 0x58
	s_add_u32 s1, s4, 0x58
	s_addc_u32 s2, s5, 0
	v_mov_b32_e32 v10, 0
	v_xor_b32_e32 v13, 0x80000000, v3
	v_lshrrev_b32_e32 v3, s20, v13
	s_waitcnt lgkmcnt(0)
	s_lshr_b32 s3, s0, 16
	s_cmp_lt_u32 s6, s22
	s_cselect_b32 s0, 12, 18
	s_add_u32 s0, s1, s0
	s_addc_u32 s1, s2, 0
	global_load_ushort v7, v10, s[0:1]
	s_lshl_b32 s0, -1, s21
	s_not_b32 s23, s0
	v_and_b32_e32 v3, s23, v3
	v_and_b32_e32 v8, 1, v3
	v_lshlrev_b32_e32 v9, 30, v3
	v_lshlrev_b32_e32 v14, 29, v3
	;; [unrolled: 1-line block ×4, first 2 shown]
	v_add_co_u32 v8, s0, v8, -1
	v_cndmask_b32_e64 v15, 0, 1, s0
	v_not_b32_e32 v19, v9
	v_cmp_gt_i32_e64 s0, 0, v9
	v_not_b32_e32 v9, v14
	v_lshlrev_b32_e32 v18, 26, v3
	v_cmp_ne_u32_e32 vcc_lo, 0, v15
	v_ashrrev_i32_e32 v19, 31, v19
	v_lshlrev_b32_e32 v15, 25, v3
	v_ashrrev_i32_e32 v9, 31, v9
	v_xor_b32_e32 v8, vcc_lo, v8
	v_cmp_gt_i32_e32 vcc_lo, 0, v14
	v_not_b32_e32 v14, v16
	v_xor_b32_e32 v19, s0, v19
	v_cmp_gt_i32_e64 s0, 0, v16
	v_and_b32_e32 v8, exec_lo, v8
	v_not_b32_e32 v16, v17
	v_ashrrev_i32_e32 v14, 31, v14
	v_xor_b32_e32 v9, vcc_lo, v9
	v_cmp_gt_i32_e32 vcc_lo, 0, v17
	v_and_b32_e32 v8, v8, v19
	v_not_b32_e32 v17, v18
	v_ashrrev_i32_e32 v16, 31, v16
	v_xor_b32_e32 v14, s0, v14
	v_cmp_gt_i32_e64 s0, 0, v18
	v_and_b32_e32 v8, v8, v9
	v_not_b32_e32 v9, v15
	v_ashrrev_i32_e32 v17, 31, v17
	v_xor_b32_e32 v16, vcc_lo, v16
	v_cmp_gt_i32_e32 vcc_lo, 0, v15
	v_and_b32_e32 v8, v8, v14
	v_lshlrev_b32_e32 v14, 24, v3
	v_ashrrev_i32_e32 v9, 31, v9
	v_xor_b32_e32 v15, s0, v17
	v_and_b32_e32 v8, v8, v16
	v_not_b32_e32 v16, v14
	v_xor_b32_e32 v9, vcc_lo, v9
	v_cmp_gt_i32_e32 vcc_lo, 0, v14
	v_and_b32_e32 v8, v8, v15
	v_mad_u32_u24 v15, v2, s3, v1
	v_ashrrev_i32_e32 v14, 31, v16
	v_mul_u32_u24_e32 v16, 36, v0
	v_and_b32_e32 v17, v8, v9
	ds_write2_b32 v16, v10, v10 offset0:32 offset1:33
	ds_write2_b32 v16, v10, v10 offset0:34 offset1:35
	;; [unrolled: 1-line block ×4, first 2 shown]
	ds_write_b32 v16, v10 offset:160
	s_waitcnt vmcnt(0) lgkmcnt(0)
	s_barrier
	buffer_gl0_inv
	; wave barrier
	v_mad_u64_u32 v[8:9], null, v15, v7, v[0:1]
	v_xor_b32_e32 v7, vcc_lo, v14
	v_mul_lo_u32 v9, 0x84, v3
	v_and_b32_e32 v7, v17, v7
	v_lshrrev_b32_e32 v8, 3, v8
	v_mbcnt_lo_u32_b32 v14, v7, 0
	v_and_b32_e32 v3, 0x1ffffffc, v8
	v_cmp_ne_u32_e64 s0, 0, v7
	v_cmp_eq_u32_e32 vcc_lo, 0, v14
	v_add_nc_u32_e32 v17, v3, v9
	s_and_b32 s1, s0, vcc_lo
	s_and_saveexec_b32 s0, s1
; %bb.10:
	v_bcnt_u32_b32 v7, v7, 0
	ds_write_b32 v17, v7 offset:128
; %bb.11:
	s_or_b32 exec_lo, exec_lo, s0
	v_xor_b32_e32 v15, 0x80000000, v4
	; wave barrier
	v_lshrrev_b32_e32 v4, s20, v15
	v_and_b32_e32 v4, s23, v4
	v_and_b32_e32 v8, 1, v4
	v_lshlrev_b32_e32 v9, 30, v4
	v_lshlrev_b32_e32 v10, 29, v4
	;; [unrolled: 1-line block ×4, first 2 shown]
	v_add_co_u32 v8, s0, v8, -1
	v_cndmask_b32_e64 v19, 0, 1, s0
	v_not_b32_e32 v23, v9
	v_cmp_gt_i32_e64 s0, 0, v9
	v_not_b32_e32 v9, v10
	v_lshlrev_b32_e32 v21, 26, v4
	v_cmp_ne_u32_e32 vcc_lo, 0, v19
	v_ashrrev_i32_e32 v19, 31, v23
	v_lshlrev_b32_e32 v22, 25, v4
	v_ashrrev_i32_e32 v9, 31, v9
	v_mul_lo_u32 v7, 0x84, v4
	v_xor_b32_e32 v8, vcc_lo, v8
	v_cmp_gt_i32_e32 vcc_lo, 0, v10
	v_not_b32_e32 v10, v18
	v_xor_b32_e32 v19, s0, v19
	v_cmp_gt_i32_e64 s0, 0, v18
	v_and_b32_e32 v8, exec_lo, v8
	v_not_b32_e32 v18, v20
	v_ashrrev_i32_e32 v10, 31, v10
	v_xor_b32_e32 v9, vcc_lo, v9
	v_cmp_gt_i32_e32 vcc_lo, 0, v20
	v_and_b32_e32 v8, v8, v19
	v_not_b32_e32 v19, v21
	v_ashrrev_i32_e32 v18, 31, v18
	v_xor_b32_e32 v10, s0, v10
	v_lshlrev_b32_e32 v4, 24, v4
	v_and_b32_e32 v8, v8, v9
	v_cmp_gt_i32_e64 s0, 0, v21
	v_not_b32_e32 v9, v22
	v_ashrrev_i32_e32 v19, 31, v19
	v_xor_b32_e32 v18, vcc_lo, v18
	v_and_b32_e32 v8, v8, v10
	v_cmp_gt_i32_e32 vcc_lo, 0, v22
	v_not_b32_e32 v10, v4
	v_ashrrev_i32_e32 v9, 31, v9
	v_xor_b32_e32 v19, s0, v19
	v_and_b32_e32 v8, v8, v18
	v_cmp_gt_i32_e64 s0, 0, v4
	v_ashrrev_i32_e32 v4, 31, v10
	v_xor_b32_e32 v9, vcc_lo, v9
	v_add_nc_u32_e32 v21, v3, v7
	v_and_b32_e32 v8, v8, v19
	v_xor_b32_e32 v4, s0, v4
	ds_read_b32 v18, v21 offset:128
	v_and_b32_e32 v7, v8, v9
	; wave barrier
	v_and_b32_e32 v4, v7, v4
	v_mbcnt_lo_u32_b32 v20, v4, 0
	v_cmp_ne_u32_e64 s0, 0, v4
	v_cmp_eq_u32_e32 vcc_lo, 0, v20
	s_and_b32 s1, s0, vcc_lo
	s_and_saveexec_b32 s0, s1
	s_cbranch_execz .LBB1288_13
; %bb.12:
	s_waitcnt lgkmcnt(0)
	v_bcnt_u32_b32 v4, v4, v18
	ds_write_b32 v21, v4 offset:128
.LBB1288_13:
	s_or_b32 exec_lo, exec_lo, s0
	v_xor_b32_e32 v19, 0x80000000, v5
	; wave barrier
	v_lshrrev_b32_e32 v4, s20, v19
	v_and_b32_e32 v4, s23, v4
	v_and_b32_e32 v7, 1, v4
	v_lshlrev_b32_e32 v8, 30, v4
	v_lshlrev_b32_e32 v9, 29, v4
	;; [unrolled: 1-line block ×4, first 2 shown]
	v_add_co_u32 v7, s0, v7, -1
	v_cndmask_b32_e64 v22, 0, 1, s0
	v_not_b32_e32 v26, v8
	v_cmp_gt_i32_e64 s0, 0, v8
	v_not_b32_e32 v8, v9
	v_lshlrev_b32_e32 v24, 26, v4
	v_cmp_ne_u32_e32 vcc_lo, 0, v22
	v_ashrrev_i32_e32 v22, 31, v26
	v_lshlrev_b32_e32 v25, 25, v4
	v_ashrrev_i32_e32 v8, 31, v8
	v_mul_lo_u32 v5, 0x84, v4
	v_xor_b32_e32 v7, vcc_lo, v7
	v_cmp_gt_i32_e32 vcc_lo, 0, v9
	v_not_b32_e32 v9, v10
	v_xor_b32_e32 v22, s0, v22
	v_cmp_gt_i32_e64 s0, 0, v10
	v_and_b32_e32 v7, exec_lo, v7
	v_not_b32_e32 v10, v23
	v_ashrrev_i32_e32 v9, 31, v9
	v_xor_b32_e32 v8, vcc_lo, v8
	v_cmp_gt_i32_e32 vcc_lo, 0, v23
	v_and_b32_e32 v7, v7, v22
	v_not_b32_e32 v22, v24
	v_ashrrev_i32_e32 v10, 31, v10
	v_xor_b32_e32 v9, s0, v9
	v_lshlrev_b32_e32 v4, 24, v4
	v_and_b32_e32 v7, v7, v8
	v_cmp_gt_i32_e64 s0, 0, v24
	v_not_b32_e32 v8, v25
	v_ashrrev_i32_e32 v22, 31, v22
	v_xor_b32_e32 v10, vcc_lo, v10
	v_and_b32_e32 v7, v7, v9
	v_cmp_gt_i32_e32 vcc_lo, 0, v25
	v_not_b32_e32 v9, v4
	v_ashrrev_i32_e32 v8, 31, v8
	v_xor_b32_e32 v22, s0, v22
	v_and_b32_e32 v7, v7, v10
	v_cmp_gt_i32_e64 s0, 0, v4
	v_ashrrev_i32_e32 v4, 31, v9
	v_xor_b32_e32 v8, vcc_lo, v8
	v_add_nc_u32_e32 v25, v3, v5
	v_and_b32_e32 v7, v7, v22
	v_xor_b32_e32 v4, s0, v4
	ds_read_b32 v22, v25 offset:128
	v_and_b32_e32 v5, v7, v8
	; wave barrier
	v_and_b32_e32 v4, v5, v4
	v_mbcnt_lo_u32_b32 v24, v4, 0
	v_cmp_ne_u32_e64 s0, 0, v4
	v_cmp_eq_u32_e32 vcc_lo, 0, v24
	s_and_b32 s1, s0, vcc_lo
	s_and_saveexec_b32 s0, s1
	s_cbranch_execz .LBB1288_15
; %bb.14:
	s_waitcnt lgkmcnt(0)
	v_bcnt_u32_b32 v4, v4, v22
	ds_write_b32 v25, v4 offset:128
.LBB1288_15:
	s_or_b32 exec_lo, exec_lo, s0
	v_xor_b32_e32 v23, 0x80000000, v6
	; wave barrier
	v_lshrrev_b32_e32 v4, s20, v23
	v_and_b32_e32 v4, s23, v4
	v_and_b32_e32 v6, 1, v4
	v_lshlrev_b32_e32 v7, 30, v4
	v_lshlrev_b32_e32 v8, 29, v4
	;; [unrolled: 1-line block ×4, first 2 shown]
	v_add_co_u32 v6, s0, v6, -1
	v_cndmask_b32_e64 v10, 0, 1, s0
	v_not_b32_e32 v29, v7
	v_cmp_gt_i32_e64 s0, 0, v7
	v_not_b32_e32 v7, v8
	v_lshlrev_b32_e32 v27, 26, v4
	v_cmp_ne_u32_e32 vcc_lo, 0, v10
	v_ashrrev_i32_e32 v10, 31, v29
	v_lshlrev_b32_e32 v28, 25, v4
	v_ashrrev_i32_e32 v7, 31, v7
	v_mul_lo_u32 v5, 0x84, v4
	v_xor_b32_e32 v6, vcc_lo, v6
	v_cmp_gt_i32_e32 vcc_lo, 0, v8
	v_not_b32_e32 v8, v9
	v_xor_b32_e32 v10, s0, v10
	v_cmp_gt_i32_e64 s0, 0, v9
	v_and_b32_e32 v6, exec_lo, v6
	v_not_b32_e32 v9, v26
	v_ashrrev_i32_e32 v8, 31, v8
	v_xor_b32_e32 v7, vcc_lo, v7
	v_cmp_gt_i32_e32 vcc_lo, 0, v26
	v_and_b32_e32 v6, v6, v10
	v_not_b32_e32 v10, v27
	v_ashrrev_i32_e32 v9, 31, v9
	v_xor_b32_e32 v8, s0, v8
	v_lshlrev_b32_e32 v4, 24, v4
	v_and_b32_e32 v6, v6, v7
	v_cmp_gt_i32_e64 s0, 0, v27
	v_not_b32_e32 v7, v28
	v_ashrrev_i32_e32 v10, 31, v10
	v_xor_b32_e32 v9, vcc_lo, v9
	v_and_b32_e32 v6, v6, v8
	v_cmp_gt_i32_e32 vcc_lo, 0, v28
	v_not_b32_e32 v8, v4
	v_ashrrev_i32_e32 v7, 31, v7
	v_xor_b32_e32 v10, s0, v10
	v_and_b32_e32 v6, v6, v9
	v_cmp_gt_i32_e64 s0, 0, v4
	v_ashrrev_i32_e32 v4, 31, v8
	v_xor_b32_e32 v7, vcc_lo, v7
	v_add_nc_u32_e32 v28, v3, v5
	v_and_b32_e32 v6, v6, v10
	v_xor_b32_e32 v3, s0, v4
	ds_read_b32 v26, v28 offset:128
	v_and_b32_e32 v4, v6, v7
	; wave barrier
	v_and_b32_e32 v3, v4, v3
	v_mbcnt_lo_u32_b32 v27, v3, 0
	v_cmp_ne_u32_e64 s0, 0, v3
	v_cmp_eq_u32_e32 vcc_lo, 0, v27
	s_and_b32 s1, s0, vcc_lo
	s_and_saveexec_b32 s0, s1
	s_cbranch_execz .LBB1288_17
; %bb.16:
	s_waitcnt lgkmcnt(0)
	v_bcnt_u32_b32 v3, v3, v26
	ds_write_b32 v28, v3 offset:128
.LBB1288_17:
	s_or_b32 exec_lo, exec_lo, s0
	; wave barrier
	s_waitcnt lgkmcnt(0)
	s_barrier
	buffer_gl0_inv
	ds_read2_b32 v[9:10], v16 offset0:32 offset1:33
	ds_read2_b32 v[7:8], v16 offset0:34 offset1:35
	;; [unrolled: 1-line block ×4, first 2 shown]
	ds_read_b32 v29, v16 offset:160
	v_and_b32_e32 v32, 16, v12
	v_and_b32_e32 v33, 31, v0
	s_mov_b32 s8, exec_lo
	v_cmp_eq_u32_e64 s3, 0, v32
	s_waitcnt lgkmcnt(3)
	v_add3_u32 v30, v10, v9, v7
	s_waitcnt lgkmcnt(2)
	v_add3_u32 v30, v30, v8, v5
	;; [unrolled: 2-line block ×4, first 2 shown]
	v_and_b32_e32 v30, 15, v12
	v_mov_b32_dpp v31, v29 row_shr:1 row_mask:0xf bank_mask:0xf
	v_cmp_eq_u32_e32 vcc_lo, 0, v30
	v_cmp_lt_u32_e64 s0, 1, v30
	v_cmp_lt_u32_e64 s1, 3, v30
	;; [unrolled: 1-line block ×3, first 2 shown]
	v_cndmask_b32_e64 v31, v31, 0, vcc_lo
	v_add_nc_u32_e32 v29, v31, v29
	v_mov_b32_dpp v31, v29 row_shr:2 row_mask:0xf bank_mask:0xf
	v_cndmask_b32_e64 v31, 0, v31, s0
	v_add_nc_u32_e32 v29, v29, v31
	v_mov_b32_dpp v31, v29 row_shr:4 row_mask:0xf bank_mask:0xf
	v_cndmask_b32_e64 v31, 0, v31, s1
	;; [unrolled: 3-line block ×3, first 2 shown]
	v_bfe_i32 v31, v12, 4, 1
	v_add_nc_u32_e32 v29, v29, v30
	ds_swizzle_b32 v30, v29 offset:swizzle(BROADCAST,32,15)
	s_waitcnt lgkmcnt(0)
	v_and_b32_e32 v31, v31, v30
	v_lshrrev_b32_e32 v30, 5, v0
	v_add_nc_u32_e32 v29, v29, v31
	v_cmpx_eq_u32_e32 31, v33
; %bb.18:
	v_lshlrev_b32_e32 v31, 2, v30
	ds_write_b32 v31, v29
; %bb.19:
	s_or_b32 exec_lo, exec_lo, s8
	v_cmp_lt_u32_e64 s7, 31, v0
	s_mov_b32 s24, exec_lo
	s_waitcnt lgkmcnt(0)
	s_barrier
	buffer_gl0_inv
	v_cmpx_gt_u32_e32 32, v0
	s_cbranch_execz .LBB1288_21
; %bb.20:
	ds_read_b32 v31, v11
	s_waitcnt lgkmcnt(0)
	v_mov_b32_dpp v32, v31 row_shr:1 row_mask:0xf bank_mask:0xf
	v_cndmask_b32_e64 v32, v32, 0, vcc_lo
	v_add_nc_u32_e32 v31, v32, v31
	v_mov_b32_dpp v32, v31 row_shr:2 row_mask:0xf bank_mask:0xf
	v_cndmask_b32_e64 v32, 0, v32, s0
	v_add_nc_u32_e32 v31, v31, v32
	v_mov_b32_dpp v32, v31 row_shr:4 row_mask:0xf bank_mask:0xf
	v_cndmask_b32_e64 v32, 0, v32, s1
	;; [unrolled: 3-line block ×3, first 2 shown]
	v_add_nc_u32_e32 v31, v31, v32
	ds_swizzle_b32 v32, v31 offset:swizzle(BROADCAST,32,15)
	s_waitcnt lgkmcnt(0)
	v_cndmask_b32_e64 v32, v32, 0, s3
	v_add_nc_u32_e32 v31, v31, v32
	ds_write_b32 v11, v31
.LBB1288_21:
	s_or_b32 exec_lo, exec_lo, s24
	v_mov_b32_e32 v31, 0
	s_waitcnt lgkmcnt(0)
	s_barrier
	buffer_gl0_inv
	s_and_saveexec_b32 s0, s7
; %bb.22:
	v_lshl_add_u32 v30, v30, 2, -4
	ds_read_b32 v31, v30
; %bb.23:
	s_or_b32 exec_lo, exec_lo, s0
	v_sub_co_u32 v30, vcc_lo, v12, 1
	s_waitcnt lgkmcnt(0)
	v_add_nc_u32_e32 v29, v31, v29
	v_cmp_gt_i32_e64 s0, 0, v30
	v_cndmask_b32_e64 v30, v30, v12, s0
	v_cmp_gt_u32_e64 s0, 0x100, v0
	v_lshlrev_b32_e32 v30, 2, v30
	ds_bpermute_b32 v29, v30, v29
	s_waitcnt lgkmcnt(0)
	v_cndmask_b32_e32 v29, v29, v31, vcc_lo
	v_cmp_ne_u32_e32 vcc_lo, 0, v0
	v_cndmask_b32_e32 v29, 0, v29, vcc_lo
	v_cmp_lt_u32_e32 vcc_lo, 0xff, v0
	v_add_nc_u32_e32 v9, v29, v9
	v_add_nc_u32_e32 v10, v9, v10
	;; [unrolled: 1-line block ×8, first 2 shown]
	ds_write2_b32 v16, v29, v9 offset0:32 offset1:33
	ds_write2_b32 v16, v10, v7 offset0:34 offset1:35
	;; [unrolled: 1-line block ×4, first 2 shown]
	ds_write_b32 v16, v4 offset:160
	s_waitcnt lgkmcnt(0)
	s_barrier
	buffer_gl0_inv
	ds_read_b32 v3, v17 offset:128
	ds_read_b32 v6, v21 offset:128
	;; [unrolled: 1-line block ×4, first 2 shown]
                                        ; implicit-def: $vgpr9
                                        ; implicit-def: $vgpr10
	s_and_saveexec_b32 s2, s0
	s_cbranch_execz .LBB1288_27
; %bb.24:
	v_mul_u32_u24_e32 v7, 0x84, v0
	v_add_nc_u32_e32 v8, 1, v0
	s_mov_b32 s3, exec_lo
	ds_read_b32 v9, v7 offset:128
	v_mov_b32_e32 v7, 0x1000
	v_cmpx_ne_u32_e32 0x100, v8
; %bb.25:
	v_mul_u32_u24_e32 v7, 0x84, v8
	ds_read_b32 v7, v7 offset:128
; %bb.26:
	s_or_b32 exec_lo, exec_lo, s3
	s_waitcnt lgkmcnt(0)
	v_sub_nc_u32_e32 v10, v7, v9
.LBB1288_27:
	s_or_b32 exec_lo, exec_lo, s2
	v_lshlrev_b32_e32 v7, 2, v14
	v_lshlrev_b32_e32 v8, 2, v20
	;; [unrolled: 1-line block ×5, first 2 shown]
	s_waitcnt lgkmcnt(0)
	v_lshlrev_b32_e32 v4, 2, v4
	v_lshlrev_b32_e32 v6, 2, v6
	;; [unrolled: 1-line block ×5, first 2 shown]
	v_lshl_add_u32 v3, v3, 2, v7
	v_add3_u32 v7, v18, v20, v4
	v_mov_b32_e32 v4, 0
	v_add3_u32 v6, v8, v14, v6
	v_add3_u32 v5, v16, v17, v5
	s_barrier
	buffer_gl0_inv
	ds_write_b32 v3, v13 offset:1024
	ds_write_b32 v6, v15 offset:1024
	;; [unrolled: 1-line block ×4, first 2 shown]
	s_and_saveexec_b32 s1, s0
	s_cbranch_execz .LBB1288_37
; %bb.28:
	v_lshl_add_u32 v3, s6, 8, v0
	v_mov_b32_e32 v13, 0
	s_mov_b32 s2, 0
	s_mov_b32 s3, s6
	v_lshlrev_b64 v[5:6], 2, v[3:4]
	v_or_b32_e32 v3, 2.0, v10
	v_add_co_u32 v5, s0, s10, v5
	v_add_co_ci_u32_e64 v6, null, s11, v6, s0
                                        ; implicit-def: $sgpr0
	global_store_dword v[5:6], v3, off
	s_branch .LBB1288_31
	.p2align	6
.LBB1288_29:                            ;   in Loop: Header=BB1288_31 Depth=1
	s_or_b32 exec_lo, exec_lo, s8
.LBB1288_30:                            ;   in Loop: Header=BB1288_31 Depth=1
	s_or_b32 exec_lo, exec_lo, s7
	v_and_b32_e32 v7, 0x3fffffff, v3
	v_cmp_gt_i32_e64 s0, -2.0, v3
	v_add_nc_u32_e32 v13, v7, v13
	s_and_b32 s7, exec_lo, s0
	s_or_b32 s2, s7, s2
	s_andn2_b32 exec_lo, exec_lo, s2
	s_cbranch_execz .LBB1288_36
.LBB1288_31:                            ; =>This Loop Header: Depth=1
                                        ;     Child Loop BB1288_34 Depth 2
	s_or_b32 s0, s0, exec_lo
	s_cmp_eq_u32 s3, 0
	s_cbranch_scc1 .LBB1288_35
; %bb.32:                               ;   in Loop: Header=BB1288_31 Depth=1
	s_add_i32 s3, s3, -1
	s_mov_b32 s7, exec_lo
	v_lshl_or_b32 v3, s3, 8, v0
	v_lshlrev_b64 v[7:8], 2, v[3:4]
	v_add_co_u32 v7, s0, s10, v7
	v_add_co_ci_u32_e64 v8, null, s11, v8, s0
	global_load_dword v3, v[7:8], off glc dlc
	s_waitcnt vmcnt(0)
	v_cmpx_gt_u32_e32 2.0, v3
	s_cbranch_execz .LBB1288_30
; %bb.33:                               ;   in Loop: Header=BB1288_31 Depth=1
	s_mov_b32 s8, 0
.LBB1288_34:                            ;   Parent Loop BB1288_31 Depth=1
                                        ; =>  This Inner Loop Header: Depth=2
	global_load_dword v3, v[7:8], off glc dlc
	s_waitcnt vmcnt(0)
	v_cmp_lt_u32_e64 s0, 0x3fffffff, v3
	s_or_b32 s8, s0, s8
	s_andn2_b32 exec_lo, exec_lo, s8
	s_cbranch_execnz .LBB1288_34
	s_branch .LBB1288_29
.LBB1288_35:                            ;   in Loop: Header=BB1288_31 Depth=1
                                        ; implicit-def: $sgpr3
	s_and_b32 s7, exec_lo, s0
	s_or_b32 s2, s7, s2
	s_andn2_b32 exec_lo, exec_lo, s2
	s_cbranch_execnz .LBB1288_31
.LBB1288_36:
	s_or_b32 exec_lo, exec_lo, s2
	v_add_nc_u32_e32 v3, v13, v10
	v_sub_nc_u32_e32 v4, v13, v9
	v_or_b32_e32 v3, 0x80000000, v3
	global_store_dword v[5:6], v3, off
	global_load_dword v3, v11, s[12:13]
	s_waitcnt vmcnt(0)
	v_add_nc_u32_e32 v3, v4, v3
	ds_write_b32 v11, v3
.LBB1288_37:
	s_or_b32 exec_lo, exec_lo, s1
	s_mov_b32 s1, exec_lo
	s_waitcnt lgkmcnt(0)
	s_waitcnt_vscnt null, 0x0
	s_barrier
	buffer_gl0_inv
	v_cmpx_gt_u32_e64 s9, v0
	s_cbranch_execz .LBB1288_39
; %bb.38:
	ds_read_b32 v5, v11 offset:1024
	v_mov_b32_e32 v4, 0
	s_waitcnt lgkmcnt(0)
	v_lshrrev_b32_e32 v3, s20, v5
	v_xor_b32_e32 v5, 0x80000000, v5
	v_and_b32_e32 v3, s23, v3
	v_lshlrev_b32_e32 v3, 2, v3
	ds_read_b32 v3, v3
	s_waitcnt lgkmcnt(0)
	v_add_nc_u32_e32 v3, v3, v0
	v_lshlrev_b64 v[3:4], 2, v[3:4]
	v_add_co_u32 v3, s0, s18, v3
	v_add_co_ci_u32_e64 v4, null, s19, v4, s0
	global_store_dword v[3:4], v5, off
.LBB1288_39:
	s_or_b32 exec_lo, exec_lo, s1
	v_or_b32_e32 v3, 0x400, v0
	s_mov_b32 s1, exec_lo
	v_cmpx_gt_u32_e64 s9, v3
	s_cbranch_execz .LBB1288_41
; %bb.40:
	ds_read_b32 v5, v11 offset:5120
	s_waitcnt lgkmcnt(0)
	v_lshrrev_b32_e32 v4, s20, v5
	v_xor_b32_e32 v5, 0x80000000, v5
	v_and_b32_e32 v4, s23, v4
	v_lshlrev_b32_e32 v4, 2, v4
	ds_read_b32 v6, v4
	v_mov_b32_e32 v4, 0
	s_waitcnt lgkmcnt(0)
	v_add_nc_u32_e32 v3, v6, v3
	v_lshlrev_b64 v[3:4], 2, v[3:4]
	v_add_co_u32 v3, s0, s18, v3
	v_add_co_ci_u32_e64 v4, null, s19, v4, s0
	global_store_dword v[3:4], v5, off
.LBB1288_41:
	s_or_b32 exec_lo, exec_lo, s1
	v_or_b32_e32 v3, 0x800, v0
	s_mov_b32 s1, exec_lo
	v_cmpx_gt_u32_e64 s9, v3
	s_cbranch_execz .LBB1288_43
; %bb.42:
	ds_read_b32 v5, v11 offset:9216
	s_waitcnt lgkmcnt(0)
	v_lshrrev_b32_e32 v4, s20, v5
	v_xor_b32_e32 v5, 0x80000000, v5
	v_and_b32_e32 v4, s23, v4
	v_lshlrev_b32_e32 v4, 2, v4
	ds_read_b32 v6, v4
	v_mov_b32_e32 v4, 0
	s_waitcnt lgkmcnt(0)
	v_add_nc_u32_e32 v3, v6, v3
	v_lshlrev_b64 v[3:4], 2, v[3:4]
	v_add_co_u32 v3, s0, s18, v3
	v_add_co_ci_u32_e64 v4, null, s19, v4, s0
	global_store_dword v[3:4], v5, off
.LBB1288_43:
	;; [unrolled: 21-line block ×3, first 2 shown]
	s_or_b32 exec_lo, exec_lo, s1
	s_add_i32 s22, s22, -1
	s_cmp_eq_u32 s6, s22
	s_cselect_b32 s0, -1, 0
	s_xor_b32 s1, vcc_lo, -1
	s_and_b32 s1, s1, s0
	s_and_saveexec_b32 s0, s1
	s_cbranch_execz .LBB1288_47
; %bb.46:
	ds_read_b32 v3, v11
	s_waitcnt lgkmcnt(0)
	v_add3_u32 v3, v9, v10, v3
	global_store_dword v11, v3, s[14:15]
.LBB1288_47:
	s_or_b32 exec_lo, exec_lo, s0
	s_mov_b32 s0, 0
.LBB1288_48:
	s_and_b32 vcc_lo, exec_lo, s0
	s_cbranch_vccz .LBB1288_79
; %bb.49:
	s_lshl_b32 s0, s6, 12
	s_mov_b32 s1, 0
	v_lshlrev_b32_e32 v3, 4, v0
	v_lshlrev_b32_e32 v4, 2, v12
	s_lshl_b64 s[0:1], s[0:1], 2
	v_mov_b32_e32 v13, 0
	s_add_u32 s0, s16, s0
	s_addc_u32 s1, s17, s1
	v_and_b32_e32 v3, 0x3e00, v3
	v_add_co_u32 v4, s0, s0, v4
	v_add_co_ci_u32_e64 v5, null, s1, 0, s0
	s_add_u32 s1, s4, 0x58
	v_add_co_u32 v6, vcc_lo, v4, v3
	v_add_co_ci_u32_e64 v7, null, 0, v5, vcc_lo
	s_addc_u32 s2, s5, 0
	global_load_dword v8, v[6:7], off
	s_clause 0x1
	s_load_dword s0, s[4:5], 0x64
	s_load_dword s7, s[4:5], 0x58
	s_waitcnt lgkmcnt(0)
	s_lshr_b32 s3, s0, 16
	s_cmp_lt_u32 s6, s7
	v_mad_u32_u24 v1, v2, s3, v1
	s_cselect_b32 s0, 12, 18
	s_add_u32 s0, s1, s0
	s_addc_u32 s1, s2, 0
	global_load_ushort v10, v13, s[0:1]
	s_clause 0x2
	global_load_dword v5, v[6:7], off offset:128
	global_load_dword v4, v[6:7], off offset:256
	global_load_dword v3, v[6:7], off offset:384
	s_lshl_b32 s0, -1, s21
	s_not_b32 s8, s0
	s_waitcnt vmcnt(4)
	v_xor_b32_e32 v9, 0x80000000, v8
	v_lshrrev_b32_e32 v6, s20, v9
	v_and_b32_e32 v6, s8, v6
	v_and_b32_e32 v7, 1, v6
	v_lshlrev_b32_e32 v8, 30, v6
	v_lshlrev_b32_e32 v14, 29, v6
	;; [unrolled: 1-line block ×4, first 2 shown]
	v_add_co_u32 v7, s0, v7, -1
	v_cndmask_b32_e64 v16, 0, 1, s0
	v_not_b32_e32 v20, v8
	v_cmp_gt_i32_e64 s0, 0, v8
	v_not_b32_e32 v8, v14
	v_lshlrev_b32_e32 v18, 26, v6
	v_cmp_ne_u32_e32 vcc_lo, 0, v16
	v_ashrrev_i32_e32 v20, 31, v20
	v_lshlrev_b32_e32 v19, 25, v6
	v_ashrrev_i32_e32 v8, 31, v8
	v_lshlrev_b32_e32 v16, 24, v6
	v_xor_b32_e32 v7, vcc_lo, v7
	v_cmp_gt_i32_e32 vcc_lo, 0, v14
	v_not_b32_e32 v14, v15
	v_xor_b32_e32 v20, s0, v20
	v_cmp_gt_i32_e64 s0, 0, v15
	v_and_b32_e32 v7, exec_lo, v7
	v_not_b32_e32 v15, v17
	v_ashrrev_i32_e32 v14, 31, v14
	v_xor_b32_e32 v8, vcc_lo, v8
	v_cmp_gt_i32_e32 vcc_lo, 0, v17
	v_and_b32_e32 v7, v7, v20
	v_not_b32_e32 v17, v18
	v_ashrrev_i32_e32 v15, 31, v15
	v_xor_b32_e32 v14, s0, v14
	v_cmp_gt_i32_e64 s0, 0, v18
	v_and_b32_e32 v7, v7, v8
	v_not_b32_e32 v8, v19
	v_ashrrev_i32_e32 v17, 31, v17
	v_xor_b32_e32 v15, vcc_lo, v15
	v_cmp_gt_i32_e32 vcc_lo, 0, v19
	v_and_b32_e32 v7, v7, v14
	v_not_b32_e32 v14, v16
	v_ashrrev_i32_e32 v8, 31, v8
	v_xor_b32_e32 v17, s0, v17
	v_cmp_gt_i32_e64 s0, 0, v16
	v_and_b32_e32 v7, v7, v15
	v_ashrrev_i32_e32 v15, 31, v14
	v_xor_b32_e32 v8, vcc_lo, v8
	s_waitcnt vmcnt(3)
	v_mad_u64_u32 v[1:2], null, v1, v10, v[0:1]
	v_and_b32_e32 v7, v7, v17
	v_xor_b32_e32 v2, s0, v15
	v_mul_lo_u32 v6, 0x84, v6
	v_mul_u32_u24_e32 v14, 36, v0
	v_and_b32_e32 v7, v7, v8
	v_lshrrev_b32_e32 v1, 3, v1
	ds_write2_b32 v14, v13, v13 offset0:32 offset1:33
	ds_write2_b32 v14, v13, v13 offset0:34 offset1:35
	ds_write2_b32 v14, v13, v13 offset0:36 offset1:37
	v_and_b32_e32 v2, v7, v2
	v_and_b32_e32 v1, 0x1ffffffc, v1
	ds_write2_b32 v14, v13, v13 offset0:38 offset1:39
	ds_write_b32 v14, v13 offset:160
	s_waitcnt vmcnt(0) lgkmcnt(0)
	s_waitcnt_vscnt null, 0x0
	s_barrier
	v_mbcnt_lo_u32_b32 v10, v2, 0
	v_cmp_ne_u32_e64 s0, 0, v2
	v_add_nc_u32_e32 v15, v1, v6
	buffer_gl0_inv
	v_cmp_eq_u32_e32 vcc_lo, 0, v10
	; wave barrier
	s_and_b32 s1, s0, vcc_lo
	s_and_saveexec_b32 s0, s1
; %bb.50:
	v_bcnt_u32_b32 v2, v2, 0
	ds_write_b32 v15, v2 offset:128
; %bb.51:
	s_or_b32 exec_lo, exec_lo, s0
	v_xor_b32_e32 v13, 0x80000000, v5
	; wave barrier
	v_lshrrev_b32_e32 v2, s20, v13
	v_and_b32_e32 v2, s8, v2
	v_and_b32_e32 v6, 1, v2
	v_lshlrev_b32_e32 v7, 30, v2
	v_lshlrev_b32_e32 v8, 29, v2
	;; [unrolled: 1-line block ×4, first 2 shown]
	v_add_co_u32 v6, s0, v6, -1
	v_cndmask_b32_e64 v17, 0, 1, s0
	v_not_b32_e32 v21, v7
	v_cmp_gt_i32_e64 s0, 0, v7
	v_not_b32_e32 v7, v8
	v_lshlrev_b32_e32 v19, 26, v2
	v_cmp_ne_u32_e32 vcc_lo, 0, v17
	v_ashrrev_i32_e32 v17, 31, v21
	v_lshlrev_b32_e32 v20, 25, v2
	v_ashrrev_i32_e32 v7, 31, v7
	v_mul_lo_u32 v5, 0x84, v2
	v_xor_b32_e32 v6, vcc_lo, v6
	v_cmp_gt_i32_e32 vcc_lo, 0, v8
	v_not_b32_e32 v8, v16
	v_xor_b32_e32 v17, s0, v17
	v_cmp_gt_i32_e64 s0, 0, v16
	v_and_b32_e32 v6, exec_lo, v6
	v_not_b32_e32 v16, v18
	v_ashrrev_i32_e32 v8, 31, v8
	v_xor_b32_e32 v7, vcc_lo, v7
	v_cmp_gt_i32_e32 vcc_lo, 0, v18
	v_and_b32_e32 v6, v6, v17
	v_not_b32_e32 v17, v19
	v_ashrrev_i32_e32 v16, 31, v16
	v_xor_b32_e32 v8, s0, v8
	v_lshlrev_b32_e32 v2, 24, v2
	v_and_b32_e32 v6, v6, v7
	v_cmp_gt_i32_e64 s0, 0, v19
	v_not_b32_e32 v7, v20
	v_ashrrev_i32_e32 v17, 31, v17
	v_xor_b32_e32 v16, vcc_lo, v16
	v_and_b32_e32 v6, v6, v8
	v_cmp_gt_i32_e32 vcc_lo, 0, v20
	v_not_b32_e32 v8, v2
	v_ashrrev_i32_e32 v7, 31, v7
	v_xor_b32_e32 v17, s0, v17
	v_and_b32_e32 v6, v6, v16
	v_cmp_gt_i32_e64 s0, 0, v2
	v_ashrrev_i32_e32 v2, 31, v8
	v_xor_b32_e32 v7, vcc_lo, v7
	v_add_nc_u32_e32 v19, v1, v5
	v_and_b32_e32 v6, v6, v17
	v_xor_b32_e32 v2, s0, v2
	ds_read_b32 v16, v19 offset:128
	v_and_b32_e32 v5, v6, v7
	; wave barrier
	v_and_b32_e32 v2, v5, v2
	v_mbcnt_lo_u32_b32 v18, v2, 0
	v_cmp_ne_u32_e64 s0, 0, v2
	v_cmp_eq_u32_e32 vcc_lo, 0, v18
	s_and_b32 s1, s0, vcc_lo
	s_and_saveexec_b32 s0, s1
	s_cbranch_execz .LBB1288_53
; %bb.52:
	s_waitcnt lgkmcnt(0)
	v_bcnt_u32_b32 v2, v2, v16
	ds_write_b32 v19, v2 offset:128
.LBB1288_53:
	s_or_b32 exec_lo, exec_lo, s0
	v_xor_b32_e32 v17, 0x80000000, v4
	; wave barrier
	v_lshrrev_b32_e32 v2, s20, v17
	v_and_b32_e32 v2, s8, v2
	v_and_b32_e32 v5, 1, v2
	v_lshlrev_b32_e32 v6, 30, v2
	v_lshlrev_b32_e32 v7, 29, v2
	;; [unrolled: 1-line block ×4, first 2 shown]
	v_add_co_u32 v5, s0, v5, -1
	v_cndmask_b32_e64 v20, 0, 1, s0
	v_not_b32_e32 v24, v6
	v_cmp_gt_i32_e64 s0, 0, v6
	v_not_b32_e32 v6, v7
	v_lshlrev_b32_e32 v22, 26, v2
	v_cmp_ne_u32_e32 vcc_lo, 0, v20
	v_ashrrev_i32_e32 v20, 31, v24
	v_lshlrev_b32_e32 v23, 25, v2
	v_ashrrev_i32_e32 v6, 31, v6
	v_mul_lo_u32 v4, 0x84, v2
	v_xor_b32_e32 v5, vcc_lo, v5
	v_cmp_gt_i32_e32 vcc_lo, 0, v7
	v_not_b32_e32 v7, v8
	v_xor_b32_e32 v20, s0, v20
	v_cmp_gt_i32_e64 s0, 0, v8
	v_and_b32_e32 v5, exec_lo, v5
	v_not_b32_e32 v8, v21
	v_ashrrev_i32_e32 v7, 31, v7
	v_xor_b32_e32 v6, vcc_lo, v6
	v_cmp_gt_i32_e32 vcc_lo, 0, v21
	v_and_b32_e32 v5, v5, v20
	v_not_b32_e32 v20, v22
	v_ashrrev_i32_e32 v8, 31, v8
	v_xor_b32_e32 v7, s0, v7
	v_lshlrev_b32_e32 v2, 24, v2
	v_and_b32_e32 v5, v5, v6
	v_cmp_gt_i32_e64 s0, 0, v22
	v_not_b32_e32 v6, v23
	v_ashrrev_i32_e32 v20, 31, v20
	v_xor_b32_e32 v8, vcc_lo, v8
	v_and_b32_e32 v5, v5, v7
	v_cmp_gt_i32_e32 vcc_lo, 0, v23
	v_not_b32_e32 v7, v2
	v_ashrrev_i32_e32 v6, 31, v6
	v_xor_b32_e32 v20, s0, v20
	v_and_b32_e32 v5, v5, v8
	v_cmp_gt_i32_e64 s0, 0, v2
	v_ashrrev_i32_e32 v2, 31, v7
	v_xor_b32_e32 v6, vcc_lo, v6
	v_add_nc_u32_e32 v23, v1, v4
	v_and_b32_e32 v5, v5, v20
	v_xor_b32_e32 v2, s0, v2
	ds_read_b32 v20, v23 offset:128
	v_and_b32_e32 v4, v5, v6
	; wave barrier
	v_and_b32_e32 v2, v4, v2
	v_mbcnt_lo_u32_b32 v22, v2, 0
	v_cmp_ne_u32_e64 s0, 0, v2
	v_cmp_eq_u32_e32 vcc_lo, 0, v22
	s_and_b32 s1, s0, vcc_lo
	s_and_saveexec_b32 s0, s1
	s_cbranch_execz .LBB1288_55
; %bb.54:
	s_waitcnt lgkmcnt(0)
	v_bcnt_u32_b32 v2, v2, v20
	ds_write_b32 v23, v2 offset:128
.LBB1288_55:
	s_or_b32 exec_lo, exec_lo, s0
	v_xor_b32_e32 v21, 0x80000000, v3
	; wave barrier
	v_lshrrev_b32_e32 v2, s20, v21
	v_and_b32_e32 v2, s8, v2
	v_and_b32_e32 v4, 1, v2
	v_lshlrev_b32_e32 v5, 30, v2
	v_lshlrev_b32_e32 v6, 29, v2
	;; [unrolled: 1-line block ×4, first 2 shown]
	v_add_co_u32 v4, s0, v4, -1
	v_cndmask_b32_e64 v8, 0, 1, s0
	v_not_b32_e32 v27, v5
	v_cmp_gt_i32_e64 s0, 0, v5
	v_not_b32_e32 v5, v6
	v_lshlrev_b32_e32 v25, 26, v2
	v_cmp_ne_u32_e32 vcc_lo, 0, v8
	v_ashrrev_i32_e32 v8, 31, v27
	v_lshlrev_b32_e32 v26, 25, v2
	v_ashrrev_i32_e32 v5, 31, v5
	v_mul_lo_u32 v3, 0x84, v2
	v_xor_b32_e32 v4, vcc_lo, v4
	v_cmp_gt_i32_e32 vcc_lo, 0, v6
	v_not_b32_e32 v6, v7
	v_xor_b32_e32 v8, s0, v8
	v_cmp_gt_i32_e64 s0, 0, v7
	v_and_b32_e32 v4, exec_lo, v4
	v_not_b32_e32 v7, v24
	v_ashrrev_i32_e32 v6, 31, v6
	v_xor_b32_e32 v5, vcc_lo, v5
	v_cmp_gt_i32_e32 vcc_lo, 0, v24
	v_and_b32_e32 v4, v4, v8
	v_not_b32_e32 v8, v25
	v_ashrrev_i32_e32 v7, 31, v7
	v_xor_b32_e32 v6, s0, v6
	v_lshlrev_b32_e32 v2, 24, v2
	v_and_b32_e32 v4, v4, v5
	v_cmp_gt_i32_e64 s0, 0, v25
	v_not_b32_e32 v5, v26
	v_ashrrev_i32_e32 v8, 31, v8
	v_xor_b32_e32 v7, vcc_lo, v7
	v_and_b32_e32 v4, v4, v6
	v_cmp_gt_i32_e32 vcc_lo, 0, v26
	v_not_b32_e32 v6, v2
	v_ashrrev_i32_e32 v5, 31, v5
	v_xor_b32_e32 v8, s0, v8
	v_and_b32_e32 v4, v4, v7
	v_cmp_gt_i32_e64 s0, 0, v2
	v_ashrrev_i32_e32 v2, 31, v6
	v_xor_b32_e32 v5, vcc_lo, v5
	v_add_nc_u32_e32 v26, v1, v3
	v_and_b32_e32 v4, v4, v8
	v_xor_b32_e32 v1, s0, v2
	ds_read_b32 v24, v26 offset:128
	v_and_b32_e32 v2, v4, v5
	; wave barrier
	v_and_b32_e32 v1, v2, v1
	v_mbcnt_lo_u32_b32 v25, v1, 0
	v_cmp_ne_u32_e64 s0, 0, v1
	v_cmp_eq_u32_e32 vcc_lo, 0, v25
	s_and_b32 s1, s0, vcc_lo
	s_and_saveexec_b32 s0, s1
	s_cbranch_execz .LBB1288_57
; %bb.56:
	s_waitcnt lgkmcnt(0)
	v_bcnt_u32_b32 v1, v1, v24
	ds_write_b32 v26, v1 offset:128
.LBB1288_57:
	s_or_b32 exec_lo, exec_lo, s0
	; wave barrier
	s_waitcnt lgkmcnt(0)
	s_barrier
	buffer_gl0_inv
	ds_read2_b32 v[7:8], v14 offset0:32 offset1:33
	ds_read2_b32 v[5:6], v14 offset0:34 offset1:35
	ds_read2_b32 v[3:4], v14 offset0:36 offset1:37
	ds_read2_b32 v[1:2], v14 offset0:38 offset1:39
	ds_read_b32 v27, v14 offset:160
	v_and_b32_e32 v30, 16, v12
	v_and_b32_e32 v31, 31, v0
	s_mov_b32 s5, exec_lo
	v_cmp_eq_u32_e64 s3, 0, v30
	s_waitcnt lgkmcnt(3)
	v_add3_u32 v28, v8, v7, v5
	s_waitcnt lgkmcnt(2)
	v_add3_u32 v28, v28, v6, v3
	;; [unrolled: 2-line block ×4, first 2 shown]
	v_and_b32_e32 v28, 15, v12
	v_mov_b32_dpp v29, v27 row_shr:1 row_mask:0xf bank_mask:0xf
	v_cmp_eq_u32_e32 vcc_lo, 0, v28
	v_cmp_lt_u32_e64 s0, 1, v28
	v_cmp_lt_u32_e64 s1, 3, v28
	;; [unrolled: 1-line block ×3, first 2 shown]
	v_cndmask_b32_e64 v29, v29, 0, vcc_lo
	v_add_nc_u32_e32 v27, v29, v27
	v_mov_b32_dpp v29, v27 row_shr:2 row_mask:0xf bank_mask:0xf
	v_cndmask_b32_e64 v29, 0, v29, s0
	v_add_nc_u32_e32 v27, v27, v29
	v_mov_b32_dpp v29, v27 row_shr:4 row_mask:0xf bank_mask:0xf
	v_cndmask_b32_e64 v29, 0, v29, s1
	;; [unrolled: 3-line block ×3, first 2 shown]
	v_bfe_i32 v29, v12, 4, 1
	v_add_nc_u32_e32 v27, v27, v28
	ds_swizzle_b32 v28, v27 offset:swizzle(BROADCAST,32,15)
	s_waitcnt lgkmcnt(0)
	v_and_b32_e32 v29, v29, v28
	v_lshrrev_b32_e32 v28, 5, v0
	v_add_nc_u32_e32 v27, v27, v29
	v_cmpx_eq_u32_e32 31, v31
; %bb.58:
	v_lshlrev_b32_e32 v29, 2, v28
	ds_write_b32 v29, v27
; %bb.59:
	s_or_b32 exec_lo, exec_lo, s5
	v_cmp_lt_u32_e64 s4, 31, v0
	s_mov_b32 s9, exec_lo
	s_waitcnt lgkmcnt(0)
	s_barrier
	buffer_gl0_inv
	v_cmpx_gt_u32_e32 32, v0
	s_cbranch_execz .LBB1288_61
; %bb.60:
	ds_read_b32 v29, v11
	s_waitcnt lgkmcnt(0)
	v_mov_b32_dpp v30, v29 row_shr:1 row_mask:0xf bank_mask:0xf
	v_cndmask_b32_e64 v30, v30, 0, vcc_lo
	v_add_nc_u32_e32 v29, v30, v29
	v_mov_b32_dpp v30, v29 row_shr:2 row_mask:0xf bank_mask:0xf
	v_cndmask_b32_e64 v30, 0, v30, s0
	v_add_nc_u32_e32 v29, v29, v30
	v_mov_b32_dpp v30, v29 row_shr:4 row_mask:0xf bank_mask:0xf
	v_cndmask_b32_e64 v30, 0, v30, s1
	;; [unrolled: 3-line block ×3, first 2 shown]
	v_add_nc_u32_e32 v29, v29, v30
	ds_swizzle_b32 v30, v29 offset:swizzle(BROADCAST,32,15)
	s_waitcnt lgkmcnt(0)
	v_cndmask_b32_e64 v30, v30, 0, s3
	v_add_nc_u32_e32 v29, v29, v30
	ds_write_b32 v11, v29
.LBB1288_61:
	s_or_b32 exec_lo, exec_lo, s9
	v_mov_b32_e32 v29, 0
	s_waitcnt lgkmcnt(0)
	s_barrier
	buffer_gl0_inv
	s_and_saveexec_b32 s0, s4
; %bb.62:
	v_lshl_add_u32 v28, v28, 2, -4
	ds_read_b32 v29, v28
; %bb.63:
	s_or_b32 exec_lo, exec_lo, s0
	v_sub_co_u32 v28, vcc_lo, v12, 1
	s_waitcnt lgkmcnt(0)
	v_add_nc_u32_e32 v27, v29, v27
	v_cmp_gt_i32_e64 s0, 0, v28
	v_cndmask_b32_e64 v12, v28, v12, s0
	v_cmp_gt_u32_e64 s0, 0x100, v0
	v_lshlrev_b32_e32 v12, 2, v12
	ds_bpermute_b32 v12, v12, v27
	s_waitcnt lgkmcnt(0)
	v_cndmask_b32_e32 v12, v12, v29, vcc_lo
	v_cmp_ne_u32_e32 vcc_lo, 0, v0
	v_cndmask_b32_e32 v12, 0, v12, vcc_lo
	v_cmp_lt_u32_e32 vcc_lo, 0xff, v0
	v_add_nc_u32_e32 v7, v12, v7
	v_add_nc_u32_e32 v8, v7, v8
	;; [unrolled: 1-line block ×8, first 2 shown]
	ds_write2_b32 v14, v12, v7 offset0:32 offset1:33
	ds_write2_b32 v14, v8, v5 offset0:34 offset1:35
	;; [unrolled: 1-line block ×4, first 2 shown]
	ds_write_b32 v14, v2 offset:160
	s_waitcnt lgkmcnt(0)
	s_barrier
	buffer_gl0_inv
	ds_read_b32 v1, v15 offset:128
	ds_read_b32 v4, v19 offset:128
	;; [unrolled: 1-line block ×4, first 2 shown]
                                        ; implicit-def: $vgpr7
                                        ; implicit-def: $vgpr8
	s_and_saveexec_b32 s2, s0
	s_cbranch_execz .LBB1288_67
; %bb.64:
	v_mul_u32_u24_e32 v5, 0x84, v0
	v_add_nc_u32_e32 v6, 1, v0
	s_mov_b32 s3, exec_lo
	ds_read_b32 v7, v5 offset:128
	v_mov_b32_e32 v5, 0x1000
	v_cmpx_ne_u32_e32 0x100, v6
; %bb.65:
	v_mul_u32_u24_e32 v5, 0x84, v6
	ds_read_b32 v5, v5 offset:128
; %bb.66:
	s_or_b32 exec_lo, exec_lo, s3
	s_waitcnt lgkmcnt(0)
	v_sub_nc_u32_e32 v8, v5, v7
.LBB1288_67:
	s_or_b32 exec_lo, exec_lo, s2
	v_lshlrev_b32_e32 v5, 2, v10
	v_lshlrev_b32_e32 v10, 2, v16
	;; [unrolled: 1-line block ×4, first 2 shown]
	s_waitcnt lgkmcnt(0)
	v_lshlrev_b32_e32 v2, 2, v2
	v_lshlrev_b32_e32 v6, 2, v18
	;; [unrolled: 1-line block ×6, first 2 shown]
	v_lshl_add_u32 v1, v1, 2, v5
	v_add3_u32 v5, v15, v16, v2
	v_mov_b32_e32 v2, 0
	v_add3_u32 v4, v6, v10, v4
	v_add3_u32 v3, v12, v14, v3
	s_barrier
	buffer_gl0_inv
	ds_write_b32 v1, v9 offset:1024
	ds_write_b32 v4, v13 offset:1024
	;; [unrolled: 1-line block ×4, first 2 shown]
	s_and_saveexec_b32 s1, s0
	s_cbranch_execz .LBB1288_77
; %bb.68:
	v_lshl_add_u32 v1, s6, 8, v0
	v_mov_b32_e32 v9, 0
	s_mov_b32 s2, 0
	s_mov_b32 s3, s6
	v_lshlrev_b64 v[3:4], 2, v[1:2]
	v_or_b32_e32 v1, 2.0, v8
	v_add_co_u32 v3, s0, s10, v3
	v_add_co_ci_u32_e64 v4, null, s11, v4, s0
                                        ; implicit-def: $sgpr0
	global_store_dword v[3:4], v1, off
	s_branch .LBB1288_71
	.p2align	6
.LBB1288_69:                            ;   in Loop: Header=BB1288_71 Depth=1
	s_or_b32 exec_lo, exec_lo, s5
.LBB1288_70:                            ;   in Loop: Header=BB1288_71 Depth=1
	s_or_b32 exec_lo, exec_lo, s4
	v_and_b32_e32 v5, 0x3fffffff, v1
	v_cmp_gt_i32_e64 s0, -2.0, v1
	v_add_nc_u32_e32 v9, v5, v9
	s_and_b32 s4, exec_lo, s0
	s_or_b32 s2, s4, s2
	s_andn2_b32 exec_lo, exec_lo, s2
	s_cbranch_execz .LBB1288_76
.LBB1288_71:                            ; =>This Loop Header: Depth=1
                                        ;     Child Loop BB1288_74 Depth 2
	s_or_b32 s0, s0, exec_lo
	s_cmp_eq_u32 s3, 0
	s_cbranch_scc1 .LBB1288_75
; %bb.72:                               ;   in Loop: Header=BB1288_71 Depth=1
	s_add_i32 s3, s3, -1
	s_mov_b32 s4, exec_lo
	v_lshl_or_b32 v1, s3, 8, v0
	v_lshlrev_b64 v[5:6], 2, v[1:2]
	v_add_co_u32 v5, s0, s10, v5
	v_add_co_ci_u32_e64 v6, null, s11, v6, s0
	global_load_dword v1, v[5:6], off glc dlc
	s_waitcnt vmcnt(0)
	v_cmpx_gt_u32_e32 2.0, v1
	s_cbranch_execz .LBB1288_70
; %bb.73:                               ;   in Loop: Header=BB1288_71 Depth=1
	s_mov_b32 s5, 0
.LBB1288_74:                            ;   Parent Loop BB1288_71 Depth=1
                                        ; =>  This Inner Loop Header: Depth=2
	global_load_dword v1, v[5:6], off glc dlc
	s_waitcnt vmcnt(0)
	v_cmp_lt_u32_e64 s0, 0x3fffffff, v1
	s_or_b32 s5, s0, s5
	s_andn2_b32 exec_lo, exec_lo, s5
	s_cbranch_execnz .LBB1288_74
	s_branch .LBB1288_69
.LBB1288_75:                            ;   in Loop: Header=BB1288_71 Depth=1
                                        ; implicit-def: $sgpr3
	s_and_b32 s4, exec_lo, s0
	s_or_b32 s2, s4, s2
	s_andn2_b32 exec_lo, exec_lo, s2
	s_cbranch_execnz .LBB1288_71
.LBB1288_76:
	s_or_b32 exec_lo, exec_lo, s2
	v_add_nc_u32_e32 v1, v9, v8
	v_sub_nc_u32_e32 v2, v9, v7
	v_or_b32_e32 v1, 0x80000000, v1
	global_store_dword v[3:4], v1, off
	global_load_dword v1, v11, s[12:13]
	s_waitcnt vmcnt(0)
	v_add_nc_u32_e32 v1, v2, v1
	ds_write_b32 v11, v1
.LBB1288_77:
	s_or_b32 exec_lo, exec_lo, s1
	s_waitcnt lgkmcnt(0)
	s_waitcnt_vscnt null, 0x0
	s_barrier
	buffer_gl0_inv
	ds_read2st64_b32 v[1:2], v11 offset0:4 offset1:20
	ds_read2st64_b32 v[3:4], v11 offset0:36 offset1:52
	s_add_i32 s7, s7, -1
	s_cmp_eq_u32 s6, s7
	s_waitcnt lgkmcnt(1)
	v_lshrrev_b32_e32 v5, s20, v1
	v_lshrrev_b32_e32 v6, s20, v2
	s_waitcnt lgkmcnt(0)
	v_lshrrev_b32_e32 v9, s20, v3
	v_lshrrev_b32_e32 v10, s20, v4
	v_xor_b32_e32 v15, 0x80000000, v1
	v_and_b32_e32 v5, s8, v5
	v_and_b32_e32 v6, s8, v6
	;; [unrolled: 1-line block ×3, first 2 shown]
	v_xor_b32_e32 v16, 0x80000000, v2
	v_xor_b32_e32 v4, 0x80000000, v4
	v_lshlrev_b32_e32 v5, 2, v5
	v_lshlrev_b32_e32 v6, 2, v6
	ds_read_b32 v5, v5
	ds_read_b32 v12, v6
	v_lshlrev_b32_e32 v6, 2, v9
	v_and_b32_e32 v9, s8, v10
	ds_read_b32 v13, v6
	v_lshlrev_b32_e32 v6, 2, v9
	ds_read_b32 v14, v6
	v_mov_b32_e32 v6, 0
	s_waitcnt lgkmcnt(3)
	v_add_nc_u32_e32 v5, v5, v0
	v_lshlrev_b64 v[9:10], 2, v[5:6]
	s_waitcnt lgkmcnt(2)
	v_add3_u32 v5, v12, v0, 0x400
	v_lshlrev_b64 v[1:2], 2, v[5:6]
	s_waitcnt lgkmcnt(1)
	v_add3_u32 v5, v13, v0, 0x800
	v_add_co_u32 v9, s0, s18, v9
	v_add_co_ci_u32_e64 v10, null, s19, v10, s0
	v_lshlrev_b64 v[12:13], 2, v[5:6]
	s_waitcnt lgkmcnt(0)
	v_add3_u32 v5, v14, v0, 0xc00
	v_add_co_u32 v0, s0, s18, v1
	v_add_co_ci_u32_e64 v1, null, s19, v2, s0
	v_xor_b32_e32 v14, 0x80000000, v3
	v_lshlrev_b64 v[2:3], 2, v[5:6]
	global_store_dword v[9:10], v15, off
	global_store_dword v[0:1], v16, off
	v_add_co_u32 v0, s0, s18, v12
	v_add_co_ci_u32_e64 v1, null, s19, v13, s0
	v_add_co_u32 v2, s0, s18, v2
	v_add_co_ci_u32_e64 v3, null, s19, v3, s0
	s_cselect_b32 s0, -1, 0
	s_xor_b32 s1, vcc_lo, -1
	global_store_dword v[0:1], v14, off
	s_and_b32 s0, s1, s0
	global_store_dword v[2:3], v4, off
	s_and_saveexec_b32 s1, s0
	s_cbranch_execz .LBB1288_79
; %bb.78:
	ds_read_b32 v0, v11
	s_waitcnt lgkmcnt(0)
	v_add3_u32 v0, v7, v8, v0
	global_store_dword v11, v0, s[14:15]
.LBB1288_79:
	s_endpgm
	.section	.rodata,"a",@progbits
	.p2align	6, 0x0
	.amdhsa_kernel _ZN7rocprim17ROCPRIM_400000_NS6detail17trampoline_kernelINS0_14default_configENS1_35radix_sort_onesweep_config_selectorIiNS0_10empty_typeEEEZZNS1_29radix_sort_onesweep_iterationIS3_Lb0EN6thrust23THRUST_200600_302600_NS10device_ptrIiEESB_PS5_SC_jNS0_19identity_decomposerENS1_16block_id_wrapperIjLb0EEEEE10hipError_tT1_PNSt15iterator_traitsISH_E10value_typeET2_T3_PNSI_ISN_E10value_typeET4_T5_PSS_ST_PNS1_23onesweep_lookback_stateEbbT6_jjT7_P12ihipStream_tbENKUlT_T0_SH_SM_E_clISB_PiSC_SC_EEDaS10_S11_SH_SM_EUlS10_E_NS1_11comp_targetILNS1_3genE8ELNS1_11target_archE1030ELNS1_3gpuE2ELNS1_3repE0EEENS1_47radix_sort_onesweep_sort_config_static_selectorELNS0_4arch9wavefront6targetE0EEEvSH_
		.amdhsa_group_segment_fixed_size 37000
		.amdhsa_private_segment_fixed_size 0
		.amdhsa_kernarg_size 344
		.amdhsa_user_sgpr_count 6
		.amdhsa_user_sgpr_private_segment_buffer 1
		.amdhsa_user_sgpr_dispatch_ptr 0
		.amdhsa_user_sgpr_queue_ptr 0
		.amdhsa_user_sgpr_kernarg_segment_ptr 1
		.amdhsa_user_sgpr_dispatch_id 0
		.amdhsa_user_sgpr_flat_scratch_init 0
		.amdhsa_user_sgpr_private_segment_size 0
		.amdhsa_wavefront_size32 1
		.amdhsa_uses_dynamic_stack 0
		.amdhsa_system_sgpr_private_segment_wavefront_offset 0
		.amdhsa_system_sgpr_workgroup_id_x 1
		.amdhsa_system_sgpr_workgroup_id_y 0
		.amdhsa_system_sgpr_workgroup_id_z 0
		.amdhsa_system_sgpr_workgroup_info 0
		.amdhsa_system_vgpr_workitem_id 2
		.amdhsa_next_free_vgpr 34
		.amdhsa_next_free_sgpr 25
		.amdhsa_reserve_vcc 1
		.amdhsa_reserve_flat_scratch 0
		.amdhsa_float_round_mode_32 0
		.amdhsa_float_round_mode_16_64 0
		.amdhsa_float_denorm_mode_32 3
		.amdhsa_float_denorm_mode_16_64 3
		.amdhsa_dx10_clamp 1
		.amdhsa_ieee_mode 1
		.amdhsa_fp16_overflow 0
		.amdhsa_workgroup_processor_mode 1
		.amdhsa_memory_ordered 1
		.amdhsa_forward_progress 1
		.amdhsa_shared_vgpr_count 0
		.amdhsa_exception_fp_ieee_invalid_op 0
		.amdhsa_exception_fp_denorm_src 0
		.amdhsa_exception_fp_ieee_div_zero 0
		.amdhsa_exception_fp_ieee_overflow 0
		.amdhsa_exception_fp_ieee_underflow 0
		.amdhsa_exception_fp_ieee_inexact 0
		.amdhsa_exception_int_div_zero 0
	.end_amdhsa_kernel
	.section	.text._ZN7rocprim17ROCPRIM_400000_NS6detail17trampoline_kernelINS0_14default_configENS1_35radix_sort_onesweep_config_selectorIiNS0_10empty_typeEEEZZNS1_29radix_sort_onesweep_iterationIS3_Lb0EN6thrust23THRUST_200600_302600_NS10device_ptrIiEESB_PS5_SC_jNS0_19identity_decomposerENS1_16block_id_wrapperIjLb0EEEEE10hipError_tT1_PNSt15iterator_traitsISH_E10value_typeET2_T3_PNSI_ISN_E10value_typeET4_T5_PSS_ST_PNS1_23onesweep_lookback_stateEbbT6_jjT7_P12ihipStream_tbENKUlT_T0_SH_SM_E_clISB_PiSC_SC_EEDaS10_S11_SH_SM_EUlS10_E_NS1_11comp_targetILNS1_3genE8ELNS1_11target_archE1030ELNS1_3gpuE2ELNS1_3repE0EEENS1_47radix_sort_onesweep_sort_config_static_selectorELNS0_4arch9wavefront6targetE0EEEvSH_,"axG",@progbits,_ZN7rocprim17ROCPRIM_400000_NS6detail17trampoline_kernelINS0_14default_configENS1_35radix_sort_onesweep_config_selectorIiNS0_10empty_typeEEEZZNS1_29radix_sort_onesweep_iterationIS3_Lb0EN6thrust23THRUST_200600_302600_NS10device_ptrIiEESB_PS5_SC_jNS0_19identity_decomposerENS1_16block_id_wrapperIjLb0EEEEE10hipError_tT1_PNSt15iterator_traitsISH_E10value_typeET2_T3_PNSI_ISN_E10value_typeET4_T5_PSS_ST_PNS1_23onesweep_lookback_stateEbbT6_jjT7_P12ihipStream_tbENKUlT_T0_SH_SM_E_clISB_PiSC_SC_EEDaS10_S11_SH_SM_EUlS10_E_NS1_11comp_targetILNS1_3genE8ELNS1_11target_archE1030ELNS1_3gpuE2ELNS1_3repE0EEENS1_47radix_sort_onesweep_sort_config_static_selectorELNS0_4arch9wavefront6targetE0EEEvSH_,comdat
.Lfunc_end1288:
	.size	_ZN7rocprim17ROCPRIM_400000_NS6detail17trampoline_kernelINS0_14default_configENS1_35radix_sort_onesweep_config_selectorIiNS0_10empty_typeEEEZZNS1_29radix_sort_onesweep_iterationIS3_Lb0EN6thrust23THRUST_200600_302600_NS10device_ptrIiEESB_PS5_SC_jNS0_19identity_decomposerENS1_16block_id_wrapperIjLb0EEEEE10hipError_tT1_PNSt15iterator_traitsISH_E10value_typeET2_T3_PNSI_ISN_E10value_typeET4_T5_PSS_ST_PNS1_23onesweep_lookback_stateEbbT6_jjT7_P12ihipStream_tbENKUlT_T0_SH_SM_E_clISB_PiSC_SC_EEDaS10_S11_SH_SM_EUlS10_E_NS1_11comp_targetILNS1_3genE8ELNS1_11target_archE1030ELNS1_3gpuE2ELNS1_3repE0EEENS1_47radix_sort_onesweep_sort_config_static_selectorELNS0_4arch9wavefront6targetE0EEEvSH_, .Lfunc_end1288-_ZN7rocprim17ROCPRIM_400000_NS6detail17trampoline_kernelINS0_14default_configENS1_35radix_sort_onesweep_config_selectorIiNS0_10empty_typeEEEZZNS1_29radix_sort_onesweep_iterationIS3_Lb0EN6thrust23THRUST_200600_302600_NS10device_ptrIiEESB_PS5_SC_jNS0_19identity_decomposerENS1_16block_id_wrapperIjLb0EEEEE10hipError_tT1_PNSt15iterator_traitsISH_E10value_typeET2_T3_PNSI_ISN_E10value_typeET4_T5_PSS_ST_PNS1_23onesweep_lookback_stateEbbT6_jjT7_P12ihipStream_tbENKUlT_T0_SH_SM_E_clISB_PiSC_SC_EEDaS10_S11_SH_SM_EUlS10_E_NS1_11comp_targetILNS1_3genE8ELNS1_11target_archE1030ELNS1_3gpuE2ELNS1_3repE0EEENS1_47radix_sort_onesweep_sort_config_static_selectorELNS0_4arch9wavefront6targetE0EEEvSH_
                                        ; -- End function
	.set _ZN7rocprim17ROCPRIM_400000_NS6detail17trampoline_kernelINS0_14default_configENS1_35radix_sort_onesweep_config_selectorIiNS0_10empty_typeEEEZZNS1_29radix_sort_onesweep_iterationIS3_Lb0EN6thrust23THRUST_200600_302600_NS10device_ptrIiEESB_PS5_SC_jNS0_19identity_decomposerENS1_16block_id_wrapperIjLb0EEEEE10hipError_tT1_PNSt15iterator_traitsISH_E10value_typeET2_T3_PNSI_ISN_E10value_typeET4_T5_PSS_ST_PNS1_23onesweep_lookback_stateEbbT6_jjT7_P12ihipStream_tbENKUlT_T0_SH_SM_E_clISB_PiSC_SC_EEDaS10_S11_SH_SM_EUlS10_E_NS1_11comp_targetILNS1_3genE8ELNS1_11target_archE1030ELNS1_3gpuE2ELNS1_3repE0EEENS1_47radix_sort_onesweep_sort_config_static_selectorELNS0_4arch9wavefront6targetE0EEEvSH_.num_vgpr, 34
	.set _ZN7rocprim17ROCPRIM_400000_NS6detail17trampoline_kernelINS0_14default_configENS1_35radix_sort_onesweep_config_selectorIiNS0_10empty_typeEEEZZNS1_29radix_sort_onesweep_iterationIS3_Lb0EN6thrust23THRUST_200600_302600_NS10device_ptrIiEESB_PS5_SC_jNS0_19identity_decomposerENS1_16block_id_wrapperIjLb0EEEEE10hipError_tT1_PNSt15iterator_traitsISH_E10value_typeET2_T3_PNSI_ISN_E10value_typeET4_T5_PSS_ST_PNS1_23onesweep_lookback_stateEbbT6_jjT7_P12ihipStream_tbENKUlT_T0_SH_SM_E_clISB_PiSC_SC_EEDaS10_S11_SH_SM_EUlS10_E_NS1_11comp_targetILNS1_3genE8ELNS1_11target_archE1030ELNS1_3gpuE2ELNS1_3repE0EEENS1_47radix_sort_onesweep_sort_config_static_selectorELNS0_4arch9wavefront6targetE0EEEvSH_.num_agpr, 0
	.set _ZN7rocprim17ROCPRIM_400000_NS6detail17trampoline_kernelINS0_14default_configENS1_35radix_sort_onesweep_config_selectorIiNS0_10empty_typeEEEZZNS1_29radix_sort_onesweep_iterationIS3_Lb0EN6thrust23THRUST_200600_302600_NS10device_ptrIiEESB_PS5_SC_jNS0_19identity_decomposerENS1_16block_id_wrapperIjLb0EEEEE10hipError_tT1_PNSt15iterator_traitsISH_E10value_typeET2_T3_PNSI_ISN_E10value_typeET4_T5_PSS_ST_PNS1_23onesweep_lookback_stateEbbT6_jjT7_P12ihipStream_tbENKUlT_T0_SH_SM_E_clISB_PiSC_SC_EEDaS10_S11_SH_SM_EUlS10_E_NS1_11comp_targetILNS1_3genE8ELNS1_11target_archE1030ELNS1_3gpuE2ELNS1_3repE0EEENS1_47radix_sort_onesweep_sort_config_static_selectorELNS0_4arch9wavefront6targetE0EEEvSH_.numbered_sgpr, 25
	.set _ZN7rocprim17ROCPRIM_400000_NS6detail17trampoline_kernelINS0_14default_configENS1_35radix_sort_onesweep_config_selectorIiNS0_10empty_typeEEEZZNS1_29radix_sort_onesweep_iterationIS3_Lb0EN6thrust23THRUST_200600_302600_NS10device_ptrIiEESB_PS5_SC_jNS0_19identity_decomposerENS1_16block_id_wrapperIjLb0EEEEE10hipError_tT1_PNSt15iterator_traitsISH_E10value_typeET2_T3_PNSI_ISN_E10value_typeET4_T5_PSS_ST_PNS1_23onesweep_lookback_stateEbbT6_jjT7_P12ihipStream_tbENKUlT_T0_SH_SM_E_clISB_PiSC_SC_EEDaS10_S11_SH_SM_EUlS10_E_NS1_11comp_targetILNS1_3genE8ELNS1_11target_archE1030ELNS1_3gpuE2ELNS1_3repE0EEENS1_47radix_sort_onesweep_sort_config_static_selectorELNS0_4arch9wavefront6targetE0EEEvSH_.num_named_barrier, 0
	.set _ZN7rocprim17ROCPRIM_400000_NS6detail17trampoline_kernelINS0_14default_configENS1_35radix_sort_onesweep_config_selectorIiNS0_10empty_typeEEEZZNS1_29radix_sort_onesweep_iterationIS3_Lb0EN6thrust23THRUST_200600_302600_NS10device_ptrIiEESB_PS5_SC_jNS0_19identity_decomposerENS1_16block_id_wrapperIjLb0EEEEE10hipError_tT1_PNSt15iterator_traitsISH_E10value_typeET2_T3_PNSI_ISN_E10value_typeET4_T5_PSS_ST_PNS1_23onesweep_lookback_stateEbbT6_jjT7_P12ihipStream_tbENKUlT_T0_SH_SM_E_clISB_PiSC_SC_EEDaS10_S11_SH_SM_EUlS10_E_NS1_11comp_targetILNS1_3genE8ELNS1_11target_archE1030ELNS1_3gpuE2ELNS1_3repE0EEENS1_47radix_sort_onesweep_sort_config_static_selectorELNS0_4arch9wavefront6targetE0EEEvSH_.private_seg_size, 0
	.set _ZN7rocprim17ROCPRIM_400000_NS6detail17trampoline_kernelINS0_14default_configENS1_35radix_sort_onesweep_config_selectorIiNS0_10empty_typeEEEZZNS1_29radix_sort_onesweep_iterationIS3_Lb0EN6thrust23THRUST_200600_302600_NS10device_ptrIiEESB_PS5_SC_jNS0_19identity_decomposerENS1_16block_id_wrapperIjLb0EEEEE10hipError_tT1_PNSt15iterator_traitsISH_E10value_typeET2_T3_PNSI_ISN_E10value_typeET4_T5_PSS_ST_PNS1_23onesweep_lookback_stateEbbT6_jjT7_P12ihipStream_tbENKUlT_T0_SH_SM_E_clISB_PiSC_SC_EEDaS10_S11_SH_SM_EUlS10_E_NS1_11comp_targetILNS1_3genE8ELNS1_11target_archE1030ELNS1_3gpuE2ELNS1_3repE0EEENS1_47radix_sort_onesweep_sort_config_static_selectorELNS0_4arch9wavefront6targetE0EEEvSH_.uses_vcc, 1
	.set _ZN7rocprim17ROCPRIM_400000_NS6detail17trampoline_kernelINS0_14default_configENS1_35radix_sort_onesweep_config_selectorIiNS0_10empty_typeEEEZZNS1_29radix_sort_onesweep_iterationIS3_Lb0EN6thrust23THRUST_200600_302600_NS10device_ptrIiEESB_PS5_SC_jNS0_19identity_decomposerENS1_16block_id_wrapperIjLb0EEEEE10hipError_tT1_PNSt15iterator_traitsISH_E10value_typeET2_T3_PNSI_ISN_E10value_typeET4_T5_PSS_ST_PNS1_23onesweep_lookback_stateEbbT6_jjT7_P12ihipStream_tbENKUlT_T0_SH_SM_E_clISB_PiSC_SC_EEDaS10_S11_SH_SM_EUlS10_E_NS1_11comp_targetILNS1_3genE8ELNS1_11target_archE1030ELNS1_3gpuE2ELNS1_3repE0EEENS1_47radix_sort_onesweep_sort_config_static_selectorELNS0_4arch9wavefront6targetE0EEEvSH_.uses_flat_scratch, 0
	.set _ZN7rocprim17ROCPRIM_400000_NS6detail17trampoline_kernelINS0_14default_configENS1_35radix_sort_onesweep_config_selectorIiNS0_10empty_typeEEEZZNS1_29radix_sort_onesweep_iterationIS3_Lb0EN6thrust23THRUST_200600_302600_NS10device_ptrIiEESB_PS5_SC_jNS0_19identity_decomposerENS1_16block_id_wrapperIjLb0EEEEE10hipError_tT1_PNSt15iterator_traitsISH_E10value_typeET2_T3_PNSI_ISN_E10value_typeET4_T5_PSS_ST_PNS1_23onesweep_lookback_stateEbbT6_jjT7_P12ihipStream_tbENKUlT_T0_SH_SM_E_clISB_PiSC_SC_EEDaS10_S11_SH_SM_EUlS10_E_NS1_11comp_targetILNS1_3genE8ELNS1_11target_archE1030ELNS1_3gpuE2ELNS1_3repE0EEENS1_47radix_sort_onesweep_sort_config_static_selectorELNS0_4arch9wavefront6targetE0EEEvSH_.has_dyn_sized_stack, 0
	.set _ZN7rocprim17ROCPRIM_400000_NS6detail17trampoline_kernelINS0_14default_configENS1_35radix_sort_onesweep_config_selectorIiNS0_10empty_typeEEEZZNS1_29radix_sort_onesweep_iterationIS3_Lb0EN6thrust23THRUST_200600_302600_NS10device_ptrIiEESB_PS5_SC_jNS0_19identity_decomposerENS1_16block_id_wrapperIjLb0EEEEE10hipError_tT1_PNSt15iterator_traitsISH_E10value_typeET2_T3_PNSI_ISN_E10value_typeET4_T5_PSS_ST_PNS1_23onesweep_lookback_stateEbbT6_jjT7_P12ihipStream_tbENKUlT_T0_SH_SM_E_clISB_PiSC_SC_EEDaS10_S11_SH_SM_EUlS10_E_NS1_11comp_targetILNS1_3genE8ELNS1_11target_archE1030ELNS1_3gpuE2ELNS1_3repE0EEENS1_47radix_sort_onesweep_sort_config_static_selectorELNS0_4arch9wavefront6targetE0EEEvSH_.has_recursion, 0
	.set _ZN7rocprim17ROCPRIM_400000_NS6detail17trampoline_kernelINS0_14default_configENS1_35radix_sort_onesweep_config_selectorIiNS0_10empty_typeEEEZZNS1_29radix_sort_onesweep_iterationIS3_Lb0EN6thrust23THRUST_200600_302600_NS10device_ptrIiEESB_PS5_SC_jNS0_19identity_decomposerENS1_16block_id_wrapperIjLb0EEEEE10hipError_tT1_PNSt15iterator_traitsISH_E10value_typeET2_T3_PNSI_ISN_E10value_typeET4_T5_PSS_ST_PNS1_23onesweep_lookback_stateEbbT6_jjT7_P12ihipStream_tbENKUlT_T0_SH_SM_E_clISB_PiSC_SC_EEDaS10_S11_SH_SM_EUlS10_E_NS1_11comp_targetILNS1_3genE8ELNS1_11target_archE1030ELNS1_3gpuE2ELNS1_3repE0EEENS1_47radix_sort_onesweep_sort_config_static_selectorELNS0_4arch9wavefront6targetE0EEEvSH_.has_indirect_call, 0
	.section	.AMDGPU.csdata,"",@progbits
; Kernel info:
; codeLenInByte = 6652
; TotalNumSgprs: 27
; NumVgprs: 34
; ScratchSize: 0
; MemoryBound: 0
; FloatMode: 240
; IeeeMode: 1
; LDSByteSize: 37000 bytes/workgroup (compile time only)
; SGPRBlocks: 0
; VGPRBlocks: 4
; NumSGPRsForWavesPerEU: 27
; NumVGPRsForWavesPerEU: 34
; Occupancy: 16
; WaveLimiterHint : 1
; COMPUTE_PGM_RSRC2:SCRATCH_EN: 0
; COMPUTE_PGM_RSRC2:USER_SGPR: 6
; COMPUTE_PGM_RSRC2:TRAP_HANDLER: 0
; COMPUTE_PGM_RSRC2:TGID_X_EN: 1
; COMPUTE_PGM_RSRC2:TGID_Y_EN: 0
; COMPUTE_PGM_RSRC2:TGID_Z_EN: 0
; COMPUTE_PGM_RSRC2:TIDIG_COMP_CNT: 2
	.section	.text._ZN7rocprim17ROCPRIM_400000_NS6detail17trampoline_kernelINS0_14default_configENS1_35radix_sort_onesweep_config_selectorIiNS0_10empty_typeEEEZZNS1_29radix_sort_onesweep_iterationIS3_Lb0EN6thrust23THRUST_200600_302600_NS10device_ptrIiEESB_PS5_SC_jNS0_19identity_decomposerENS1_16block_id_wrapperIjLb0EEEEE10hipError_tT1_PNSt15iterator_traitsISH_E10value_typeET2_T3_PNSI_ISN_E10value_typeET4_T5_PSS_ST_PNS1_23onesweep_lookback_stateEbbT6_jjT7_P12ihipStream_tbENKUlT_T0_SH_SM_E_clIPiSB_SC_SC_EEDaS10_S11_SH_SM_EUlS10_E_NS1_11comp_targetILNS1_3genE0ELNS1_11target_archE4294967295ELNS1_3gpuE0ELNS1_3repE0EEENS1_47radix_sort_onesweep_sort_config_static_selectorELNS0_4arch9wavefront6targetE0EEEvSH_,"axG",@progbits,_ZN7rocprim17ROCPRIM_400000_NS6detail17trampoline_kernelINS0_14default_configENS1_35radix_sort_onesweep_config_selectorIiNS0_10empty_typeEEEZZNS1_29radix_sort_onesweep_iterationIS3_Lb0EN6thrust23THRUST_200600_302600_NS10device_ptrIiEESB_PS5_SC_jNS0_19identity_decomposerENS1_16block_id_wrapperIjLb0EEEEE10hipError_tT1_PNSt15iterator_traitsISH_E10value_typeET2_T3_PNSI_ISN_E10value_typeET4_T5_PSS_ST_PNS1_23onesweep_lookback_stateEbbT6_jjT7_P12ihipStream_tbENKUlT_T0_SH_SM_E_clIPiSB_SC_SC_EEDaS10_S11_SH_SM_EUlS10_E_NS1_11comp_targetILNS1_3genE0ELNS1_11target_archE4294967295ELNS1_3gpuE0ELNS1_3repE0EEENS1_47radix_sort_onesweep_sort_config_static_selectorELNS0_4arch9wavefront6targetE0EEEvSH_,comdat
	.protected	_ZN7rocprim17ROCPRIM_400000_NS6detail17trampoline_kernelINS0_14default_configENS1_35radix_sort_onesweep_config_selectorIiNS0_10empty_typeEEEZZNS1_29radix_sort_onesweep_iterationIS3_Lb0EN6thrust23THRUST_200600_302600_NS10device_ptrIiEESB_PS5_SC_jNS0_19identity_decomposerENS1_16block_id_wrapperIjLb0EEEEE10hipError_tT1_PNSt15iterator_traitsISH_E10value_typeET2_T3_PNSI_ISN_E10value_typeET4_T5_PSS_ST_PNS1_23onesweep_lookback_stateEbbT6_jjT7_P12ihipStream_tbENKUlT_T0_SH_SM_E_clIPiSB_SC_SC_EEDaS10_S11_SH_SM_EUlS10_E_NS1_11comp_targetILNS1_3genE0ELNS1_11target_archE4294967295ELNS1_3gpuE0ELNS1_3repE0EEENS1_47radix_sort_onesweep_sort_config_static_selectorELNS0_4arch9wavefront6targetE0EEEvSH_ ; -- Begin function _ZN7rocprim17ROCPRIM_400000_NS6detail17trampoline_kernelINS0_14default_configENS1_35radix_sort_onesweep_config_selectorIiNS0_10empty_typeEEEZZNS1_29radix_sort_onesweep_iterationIS3_Lb0EN6thrust23THRUST_200600_302600_NS10device_ptrIiEESB_PS5_SC_jNS0_19identity_decomposerENS1_16block_id_wrapperIjLb0EEEEE10hipError_tT1_PNSt15iterator_traitsISH_E10value_typeET2_T3_PNSI_ISN_E10value_typeET4_T5_PSS_ST_PNS1_23onesweep_lookback_stateEbbT6_jjT7_P12ihipStream_tbENKUlT_T0_SH_SM_E_clIPiSB_SC_SC_EEDaS10_S11_SH_SM_EUlS10_E_NS1_11comp_targetILNS1_3genE0ELNS1_11target_archE4294967295ELNS1_3gpuE0ELNS1_3repE0EEENS1_47radix_sort_onesweep_sort_config_static_selectorELNS0_4arch9wavefront6targetE0EEEvSH_
	.globl	_ZN7rocprim17ROCPRIM_400000_NS6detail17trampoline_kernelINS0_14default_configENS1_35radix_sort_onesweep_config_selectorIiNS0_10empty_typeEEEZZNS1_29radix_sort_onesweep_iterationIS3_Lb0EN6thrust23THRUST_200600_302600_NS10device_ptrIiEESB_PS5_SC_jNS0_19identity_decomposerENS1_16block_id_wrapperIjLb0EEEEE10hipError_tT1_PNSt15iterator_traitsISH_E10value_typeET2_T3_PNSI_ISN_E10value_typeET4_T5_PSS_ST_PNS1_23onesweep_lookback_stateEbbT6_jjT7_P12ihipStream_tbENKUlT_T0_SH_SM_E_clIPiSB_SC_SC_EEDaS10_S11_SH_SM_EUlS10_E_NS1_11comp_targetILNS1_3genE0ELNS1_11target_archE4294967295ELNS1_3gpuE0ELNS1_3repE0EEENS1_47radix_sort_onesweep_sort_config_static_selectorELNS0_4arch9wavefront6targetE0EEEvSH_
	.p2align	8
	.type	_ZN7rocprim17ROCPRIM_400000_NS6detail17trampoline_kernelINS0_14default_configENS1_35radix_sort_onesweep_config_selectorIiNS0_10empty_typeEEEZZNS1_29radix_sort_onesweep_iterationIS3_Lb0EN6thrust23THRUST_200600_302600_NS10device_ptrIiEESB_PS5_SC_jNS0_19identity_decomposerENS1_16block_id_wrapperIjLb0EEEEE10hipError_tT1_PNSt15iterator_traitsISH_E10value_typeET2_T3_PNSI_ISN_E10value_typeET4_T5_PSS_ST_PNS1_23onesweep_lookback_stateEbbT6_jjT7_P12ihipStream_tbENKUlT_T0_SH_SM_E_clIPiSB_SC_SC_EEDaS10_S11_SH_SM_EUlS10_E_NS1_11comp_targetILNS1_3genE0ELNS1_11target_archE4294967295ELNS1_3gpuE0ELNS1_3repE0EEENS1_47radix_sort_onesweep_sort_config_static_selectorELNS0_4arch9wavefront6targetE0EEEvSH_,@function
_ZN7rocprim17ROCPRIM_400000_NS6detail17trampoline_kernelINS0_14default_configENS1_35radix_sort_onesweep_config_selectorIiNS0_10empty_typeEEEZZNS1_29radix_sort_onesweep_iterationIS3_Lb0EN6thrust23THRUST_200600_302600_NS10device_ptrIiEESB_PS5_SC_jNS0_19identity_decomposerENS1_16block_id_wrapperIjLb0EEEEE10hipError_tT1_PNSt15iterator_traitsISH_E10value_typeET2_T3_PNSI_ISN_E10value_typeET4_T5_PSS_ST_PNS1_23onesweep_lookback_stateEbbT6_jjT7_P12ihipStream_tbENKUlT_T0_SH_SM_E_clIPiSB_SC_SC_EEDaS10_S11_SH_SM_EUlS10_E_NS1_11comp_targetILNS1_3genE0ELNS1_11target_archE4294967295ELNS1_3gpuE0ELNS1_3repE0EEENS1_47radix_sort_onesweep_sort_config_static_selectorELNS0_4arch9wavefront6targetE0EEEvSH_: ; @_ZN7rocprim17ROCPRIM_400000_NS6detail17trampoline_kernelINS0_14default_configENS1_35radix_sort_onesweep_config_selectorIiNS0_10empty_typeEEEZZNS1_29radix_sort_onesweep_iterationIS3_Lb0EN6thrust23THRUST_200600_302600_NS10device_ptrIiEESB_PS5_SC_jNS0_19identity_decomposerENS1_16block_id_wrapperIjLb0EEEEE10hipError_tT1_PNSt15iterator_traitsISH_E10value_typeET2_T3_PNSI_ISN_E10value_typeET4_T5_PSS_ST_PNS1_23onesweep_lookback_stateEbbT6_jjT7_P12ihipStream_tbENKUlT_T0_SH_SM_E_clIPiSB_SC_SC_EEDaS10_S11_SH_SM_EUlS10_E_NS1_11comp_targetILNS1_3genE0ELNS1_11target_archE4294967295ELNS1_3gpuE0ELNS1_3repE0EEENS1_47radix_sort_onesweep_sort_config_static_selectorELNS0_4arch9wavefront6targetE0EEEvSH_
; %bb.0:
	.section	.rodata,"a",@progbits
	.p2align	6, 0x0
	.amdhsa_kernel _ZN7rocprim17ROCPRIM_400000_NS6detail17trampoline_kernelINS0_14default_configENS1_35radix_sort_onesweep_config_selectorIiNS0_10empty_typeEEEZZNS1_29radix_sort_onesweep_iterationIS3_Lb0EN6thrust23THRUST_200600_302600_NS10device_ptrIiEESB_PS5_SC_jNS0_19identity_decomposerENS1_16block_id_wrapperIjLb0EEEEE10hipError_tT1_PNSt15iterator_traitsISH_E10value_typeET2_T3_PNSI_ISN_E10value_typeET4_T5_PSS_ST_PNS1_23onesweep_lookback_stateEbbT6_jjT7_P12ihipStream_tbENKUlT_T0_SH_SM_E_clIPiSB_SC_SC_EEDaS10_S11_SH_SM_EUlS10_E_NS1_11comp_targetILNS1_3genE0ELNS1_11target_archE4294967295ELNS1_3gpuE0ELNS1_3repE0EEENS1_47radix_sort_onesweep_sort_config_static_selectorELNS0_4arch9wavefront6targetE0EEEvSH_
		.amdhsa_group_segment_fixed_size 0
		.amdhsa_private_segment_fixed_size 0
		.amdhsa_kernarg_size 88
		.amdhsa_user_sgpr_count 6
		.amdhsa_user_sgpr_private_segment_buffer 1
		.amdhsa_user_sgpr_dispatch_ptr 0
		.amdhsa_user_sgpr_queue_ptr 0
		.amdhsa_user_sgpr_kernarg_segment_ptr 1
		.amdhsa_user_sgpr_dispatch_id 0
		.amdhsa_user_sgpr_flat_scratch_init 0
		.amdhsa_user_sgpr_private_segment_size 0
		.amdhsa_wavefront_size32 1
		.amdhsa_uses_dynamic_stack 0
		.amdhsa_system_sgpr_private_segment_wavefront_offset 0
		.amdhsa_system_sgpr_workgroup_id_x 1
		.amdhsa_system_sgpr_workgroup_id_y 0
		.amdhsa_system_sgpr_workgroup_id_z 0
		.amdhsa_system_sgpr_workgroup_info 0
		.amdhsa_system_vgpr_workitem_id 0
		.amdhsa_next_free_vgpr 1
		.amdhsa_next_free_sgpr 1
		.amdhsa_reserve_vcc 0
		.amdhsa_reserve_flat_scratch 0
		.amdhsa_float_round_mode_32 0
		.amdhsa_float_round_mode_16_64 0
		.amdhsa_float_denorm_mode_32 3
		.amdhsa_float_denorm_mode_16_64 3
		.amdhsa_dx10_clamp 1
		.amdhsa_ieee_mode 1
		.amdhsa_fp16_overflow 0
		.amdhsa_workgroup_processor_mode 1
		.amdhsa_memory_ordered 1
		.amdhsa_forward_progress 1
		.amdhsa_shared_vgpr_count 0
		.amdhsa_exception_fp_ieee_invalid_op 0
		.amdhsa_exception_fp_denorm_src 0
		.amdhsa_exception_fp_ieee_div_zero 0
		.amdhsa_exception_fp_ieee_overflow 0
		.amdhsa_exception_fp_ieee_underflow 0
		.amdhsa_exception_fp_ieee_inexact 0
		.amdhsa_exception_int_div_zero 0
	.end_amdhsa_kernel
	.section	.text._ZN7rocprim17ROCPRIM_400000_NS6detail17trampoline_kernelINS0_14default_configENS1_35radix_sort_onesweep_config_selectorIiNS0_10empty_typeEEEZZNS1_29radix_sort_onesweep_iterationIS3_Lb0EN6thrust23THRUST_200600_302600_NS10device_ptrIiEESB_PS5_SC_jNS0_19identity_decomposerENS1_16block_id_wrapperIjLb0EEEEE10hipError_tT1_PNSt15iterator_traitsISH_E10value_typeET2_T3_PNSI_ISN_E10value_typeET4_T5_PSS_ST_PNS1_23onesweep_lookback_stateEbbT6_jjT7_P12ihipStream_tbENKUlT_T0_SH_SM_E_clIPiSB_SC_SC_EEDaS10_S11_SH_SM_EUlS10_E_NS1_11comp_targetILNS1_3genE0ELNS1_11target_archE4294967295ELNS1_3gpuE0ELNS1_3repE0EEENS1_47radix_sort_onesweep_sort_config_static_selectorELNS0_4arch9wavefront6targetE0EEEvSH_,"axG",@progbits,_ZN7rocprim17ROCPRIM_400000_NS6detail17trampoline_kernelINS0_14default_configENS1_35radix_sort_onesweep_config_selectorIiNS0_10empty_typeEEEZZNS1_29radix_sort_onesweep_iterationIS3_Lb0EN6thrust23THRUST_200600_302600_NS10device_ptrIiEESB_PS5_SC_jNS0_19identity_decomposerENS1_16block_id_wrapperIjLb0EEEEE10hipError_tT1_PNSt15iterator_traitsISH_E10value_typeET2_T3_PNSI_ISN_E10value_typeET4_T5_PSS_ST_PNS1_23onesweep_lookback_stateEbbT6_jjT7_P12ihipStream_tbENKUlT_T0_SH_SM_E_clIPiSB_SC_SC_EEDaS10_S11_SH_SM_EUlS10_E_NS1_11comp_targetILNS1_3genE0ELNS1_11target_archE4294967295ELNS1_3gpuE0ELNS1_3repE0EEENS1_47radix_sort_onesweep_sort_config_static_selectorELNS0_4arch9wavefront6targetE0EEEvSH_,comdat
.Lfunc_end1289:
	.size	_ZN7rocprim17ROCPRIM_400000_NS6detail17trampoline_kernelINS0_14default_configENS1_35radix_sort_onesweep_config_selectorIiNS0_10empty_typeEEEZZNS1_29radix_sort_onesweep_iterationIS3_Lb0EN6thrust23THRUST_200600_302600_NS10device_ptrIiEESB_PS5_SC_jNS0_19identity_decomposerENS1_16block_id_wrapperIjLb0EEEEE10hipError_tT1_PNSt15iterator_traitsISH_E10value_typeET2_T3_PNSI_ISN_E10value_typeET4_T5_PSS_ST_PNS1_23onesweep_lookback_stateEbbT6_jjT7_P12ihipStream_tbENKUlT_T0_SH_SM_E_clIPiSB_SC_SC_EEDaS10_S11_SH_SM_EUlS10_E_NS1_11comp_targetILNS1_3genE0ELNS1_11target_archE4294967295ELNS1_3gpuE0ELNS1_3repE0EEENS1_47radix_sort_onesweep_sort_config_static_selectorELNS0_4arch9wavefront6targetE0EEEvSH_, .Lfunc_end1289-_ZN7rocprim17ROCPRIM_400000_NS6detail17trampoline_kernelINS0_14default_configENS1_35radix_sort_onesweep_config_selectorIiNS0_10empty_typeEEEZZNS1_29radix_sort_onesweep_iterationIS3_Lb0EN6thrust23THRUST_200600_302600_NS10device_ptrIiEESB_PS5_SC_jNS0_19identity_decomposerENS1_16block_id_wrapperIjLb0EEEEE10hipError_tT1_PNSt15iterator_traitsISH_E10value_typeET2_T3_PNSI_ISN_E10value_typeET4_T5_PSS_ST_PNS1_23onesweep_lookback_stateEbbT6_jjT7_P12ihipStream_tbENKUlT_T0_SH_SM_E_clIPiSB_SC_SC_EEDaS10_S11_SH_SM_EUlS10_E_NS1_11comp_targetILNS1_3genE0ELNS1_11target_archE4294967295ELNS1_3gpuE0ELNS1_3repE0EEENS1_47radix_sort_onesweep_sort_config_static_selectorELNS0_4arch9wavefront6targetE0EEEvSH_
                                        ; -- End function
	.set _ZN7rocprim17ROCPRIM_400000_NS6detail17trampoline_kernelINS0_14default_configENS1_35radix_sort_onesweep_config_selectorIiNS0_10empty_typeEEEZZNS1_29radix_sort_onesweep_iterationIS3_Lb0EN6thrust23THRUST_200600_302600_NS10device_ptrIiEESB_PS5_SC_jNS0_19identity_decomposerENS1_16block_id_wrapperIjLb0EEEEE10hipError_tT1_PNSt15iterator_traitsISH_E10value_typeET2_T3_PNSI_ISN_E10value_typeET4_T5_PSS_ST_PNS1_23onesweep_lookback_stateEbbT6_jjT7_P12ihipStream_tbENKUlT_T0_SH_SM_E_clIPiSB_SC_SC_EEDaS10_S11_SH_SM_EUlS10_E_NS1_11comp_targetILNS1_3genE0ELNS1_11target_archE4294967295ELNS1_3gpuE0ELNS1_3repE0EEENS1_47radix_sort_onesweep_sort_config_static_selectorELNS0_4arch9wavefront6targetE0EEEvSH_.num_vgpr, 0
	.set _ZN7rocprim17ROCPRIM_400000_NS6detail17trampoline_kernelINS0_14default_configENS1_35radix_sort_onesweep_config_selectorIiNS0_10empty_typeEEEZZNS1_29radix_sort_onesweep_iterationIS3_Lb0EN6thrust23THRUST_200600_302600_NS10device_ptrIiEESB_PS5_SC_jNS0_19identity_decomposerENS1_16block_id_wrapperIjLb0EEEEE10hipError_tT1_PNSt15iterator_traitsISH_E10value_typeET2_T3_PNSI_ISN_E10value_typeET4_T5_PSS_ST_PNS1_23onesweep_lookback_stateEbbT6_jjT7_P12ihipStream_tbENKUlT_T0_SH_SM_E_clIPiSB_SC_SC_EEDaS10_S11_SH_SM_EUlS10_E_NS1_11comp_targetILNS1_3genE0ELNS1_11target_archE4294967295ELNS1_3gpuE0ELNS1_3repE0EEENS1_47radix_sort_onesweep_sort_config_static_selectorELNS0_4arch9wavefront6targetE0EEEvSH_.num_agpr, 0
	.set _ZN7rocprim17ROCPRIM_400000_NS6detail17trampoline_kernelINS0_14default_configENS1_35radix_sort_onesweep_config_selectorIiNS0_10empty_typeEEEZZNS1_29radix_sort_onesweep_iterationIS3_Lb0EN6thrust23THRUST_200600_302600_NS10device_ptrIiEESB_PS5_SC_jNS0_19identity_decomposerENS1_16block_id_wrapperIjLb0EEEEE10hipError_tT1_PNSt15iterator_traitsISH_E10value_typeET2_T3_PNSI_ISN_E10value_typeET4_T5_PSS_ST_PNS1_23onesweep_lookback_stateEbbT6_jjT7_P12ihipStream_tbENKUlT_T0_SH_SM_E_clIPiSB_SC_SC_EEDaS10_S11_SH_SM_EUlS10_E_NS1_11comp_targetILNS1_3genE0ELNS1_11target_archE4294967295ELNS1_3gpuE0ELNS1_3repE0EEENS1_47radix_sort_onesweep_sort_config_static_selectorELNS0_4arch9wavefront6targetE0EEEvSH_.numbered_sgpr, 0
	.set _ZN7rocprim17ROCPRIM_400000_NS6detail17trampoline_kernelINS0_14default_configENS1_35radix_sort_onesweep_config_selectorIiNS0_10empty_typeEEEZZNS1_29radix_sort_onesweep_iterationIS3_Lb0EN6thrust23THRUST_200600_302600_NS10device_ptrIiEESB_PS5_SC_jNS0_19identity_decomposerENS1_16block_id_wrapperIjLb0EEEEE10hipError_tT1_PNSt15iterator_traitsISH_E10value_typeET2_T3_PNSI_ISN_E10value_typeET4_T5_PSS_ST_PNS1_23onesweep_lookback_stateEbbT6_jjT7_P12ihipStream_tbENKUlT_T0_SH_SM_E_clIPiSB_SC_SC_EEDaS10_S11_SH_SM_EUlS10_E_NS1_11comp_targetILNS1_3genE0ELNS1_11target_archE4294967295ELNS1_3gpuE0ELNS1_3repE0EEENS1_47radix_sort_onesweep_sort_config_static_selectorELNS0_4arch9wavefront6targetE0EEEvSH_.num_named_barrier, 0
	.set _ZN7rocprim17ROCPRIM_400000_NS6detail17trampoline_kernelINS0_14default_configENS1_35radix_sort_onesweep_config_selectorIiNS0_10empty_typeEEEZZNS1_29radix_sort_onesweep_iterationIS3_Lb0EN6thrust23THRUST_200600_302600_NS10device_ptrIiEESB_PS5_SC_jNS0_19identity_decomposerENS1_16block_id_wrapperIjLb0EEEEE10hipError_tT1_PNSt15iterator_traitsISH_E10value_typeET2_T3_PNSI_ISN_E10value_typeET4_T5_PSS_ST_PNS1_23onesweep_lookback_stateEbbT6_jjT7_P12ihipStream_tbENKUlT_T0_SH_SM_E_clIPiSB_SC_SC_EEDaS10_S11_SH_SM_EUlS10_E_NS1_11comp_targetILNS1_3genE0ELNS1_11target_archE4294967295ELNS1_3gpuE0ELNS1_3repE0EEENS1_47radix_sort_onesweep_sort_config_static_selectorELNS0_4arch9wavefront6targetE0EEEvSH_.private_seg_size, 0
	.set _ZN7rocprim17ROCPRIM_400000_NS6detail17trampoline_kernelINS0_14default_configENS1_35radix_sort_onesweep_config_selectorIiNS0_10empty_typeEEEZZNS1_29radix_sort_onesweep_iterationIS3_Lb0EN6thrust23THRUST_200600_302600_NS10device_ptrIiEESB_PS5_SC_jNS0_19identity_decomposerENS1_16block_id_wrapperIjLb0EEEEE10hipError_tT1_PNSt15iterator_traitsISH_E10value_typeET2_T3_PNSI_ISN_E10value_typeET4_T5_PSS_ST_PNS1_23onesweep_lookback_stateEbbT6_jjT7_P12ihipStream_tbENKUlT_T0_SH_SM_E_clIPiSB_SC_SC_EEDaS10_S11_SH_SM_EUlS10_E_NS1_11comp_targetILNS1_3genE0ELNS1_11target_archE4294967295ELNS1_3gpuE0ELNS1_3repE0EEENS1_47radix_sort_onesweep_sort_config_static_selectorELNS0_4arch9wavefront6targetE0EEEvSH_.uses_vcc, 0
	.set _ZN7rocprim17ROCPRIM_400000_NS6detail17trampoline_kernelINS0_14default_configENS1_35radix_sort_onesweep_config_selectorIiNS0_10empty_typeEEEZZNS1_29radix_sort_onesweep_iterationIS3_Lb0EN6thrust23THRUST_200600_302600_NS10device_ptrIiEESB_PS5_SC_jNS0_19identity_decomposerENS1_16block_id_wrapperIjLb0EEEEE10hipError_tT1_PNSt15iterator_traitsISH_E10value_typeET2_T3_PNSI_ISN_E10value_typeET4_T5_PSS_ST_PNS1_23onesweep_lookback_stateEbbT6_jjT7_P12ihipStream_tbENKUlT_T0_SH_SM_E_clIPiSB_SC_SC_EEDaS10_S11_SH_SM_EUlS10_E_NS1_11comp_targetILNS1_3genE0ELNS1_11target_archE4294967295ELNS1_3gpuE0ELNS1_3repE0EEENS1_47radix_sort_onesweep_sort_config_static_selectorELNS0_4arch9wavefront6targetE0EEEvSH_.uses_flat_scratch, 0
	.set _ZN7rocprim17ROCPRIM_400000_NS6detail17trampoline_kernelINS0_14default_configENS1_35radix_sort_onesweep_config_selectorIiNS0_10empty_typeEEEZZNS1_29radix_sort_onesweep_iterationIS3_Lb0EN6thrust23THRUST_200600_302600_NS10device_ptrIiEESB_PS5_SC_jNS0_19identity_decomposerENS1_16block_id_wrapperIjLb0EEEEE10hipError_tT1_PNSt15iterator_traitsISH_E10value_typeET2_T3_PNSI_ISN_E10value_typeET4_T5_PSS_ST_PNS1_23onesweep_lookback_stateEbbT6_jjT7_P12ihipStream_tbENKUlT_T0_SH_SM_E_clIPiSB_SC_SC_EEDaS10_S11_SH_SM_EUlS10_E_NS1_11comp_targetILNS1_3genE0ELNS1_11target_archE4294967295ELNS1_3gpuE0ELNS1_3repE0EEENS1_47radix_sort_onesweep_sort_config_static_selectorELNS0_4arch9wavefront6targetE0EEEvSH_.has_dyn_sized_stack, 0
	.set _ZN7rocprim17ROCPRIM_400000_NS6detail17trampoline_kernelINS0_14default_configENS1_35radix_sort_onesweep_config_selectorIiNS0_10empty_typeEEEZZNS1_29radix_sort_onesweep_iterationIS3_Lb0EN6thrust23THRUST_200600_302600_NS10device_ptrIiEESB_PS5_SC_jNS0_19identity_decomposerENS1_16block_id_wrapperIjLb0EEEEE10hipError_tT1_PNSt15iterator_traitsISH_E10value_typeET2_T3_PNSI_ISN_E10value_typeET4_T5_PSS_ST_PNS1_23onesweep_lookback_stateEbbT6_jjT7_P12ihipStream_tbENKUlT_T0_SH_SM_E_clIPiSB_SC_SC_EEDaS10_S11_SH_SM_EUlS10_E_NS1_11comp_targetILNS1_3genE0ELNS1_11target_archE4294967295ELNS1_3gpuE0ELNS1_3repE0EEENS1_47radix_sort_onesweep_sort_config_static_selectorELNS0_4arch9wavefront6targetE0EEEvSH_.has_recursion, 0
	.set _ZN7rocprim17ROCPRIM_400000_NS6detail17trampoline_kernelINS0_14default_configENS1_35radix_sort_onesweep_config_selectorIiNS0_10empty_typeEEEZZNS1_29radix_sort_onesweep_iterationIS3_Lb0EN6thrust23THRUST_200600_302600_NS10device_ptrIiEESB_PS5_SC_jNS0_19identity_decomposerENS1_16block_id_wrapperIjLb0EEEEE10hipError_tT1_PNSt15iterator_traitsISH_E10value_typeET2_T3_PNSI_ISN_E10value_typeET4_T5_PSS_ST_PNS1_23onesweep_lookback_stateEbbT6_jjT7_P12ihipStream_tbENKUlT_T0_SH_SM_E_clIPiSB_SC_SC_EEDaS10_S11_SH_SM_EUlS10_E_NS1_11comp_targetILNS1_3genE0ELNS1_11target_archE4294967295ELNS1_3gpuE0ELNS1_3repE0EEENS1_47radix_sort_onesweep_sort_config_static_selectorELNS0_4arch9wavefront6targetE0EEEvSH_.has_indirect_call, 0
	.section	.AMDGPU.csdata,"",@progbits
; Kernel info:
; codeLenInByte = 0
; TotalNumSgprs: 0
; NumVgprs: 0
; ScratchSize: 0
; MemoryBound: 0
; FloatMode: 240
; IeeeMode: 1
; LDSByteSize: 0 bytes/workgroup (compile time only)
; SGPRBlocks: 0
; VGPRBlocks: 0
; NumSGPRsForWavesPerEU: 1
; NumVGPRsForWavesPerEU: 1
; Occupancy: 16
; WaveLimiterHint : 0
; COMPUTE_PGM_RSRC2:SCRATCH_EN: 0
; COMPUTE_PGM_RSRC2:USER_SGPR: 6
; COMPUTE_PGM_RSRC2:TRAP_HANDLER: 0
; COMPUTE_PGM_RSRC2:TGID_X_EN: 1
; COMPUTE_PGM_RSRC2:TGID_Y_EN: 0
; COMPUTE_PGM_RSRC2:TGID_Z_EN: 0
; COMPUTE_PGM_RSRC2:TIDIG_COMP_CNT: 0
	.section	.text._ZN7rocprim17ROCPRIM_400000_NS6detail17trampoline_kernelINS0_14default_configENS1_35radix_sort_onesweep_config_selectorIiNS0_10empty_typeEEEZZNS1_29radix_sort_onesweep_iterationIS3_Lb0EN6thrust23THRUST_200600_302600_NS10device_ptrIiEESB_PS5_SC_jNS0_19identity_decomposerENS1_16block_id_wrapperIjLb0EEEEE10hipError_tT1_PNSt15iterator_traitsISH_E10value_typeET2_T3_PNSI_ISN_E10value_typeET4_T5_PSS_ST_PNS1_23onesweep_lookback_stateEbbT6_jjT7_P12ihipStream_tbENKUlT_T0_SH_SM_E_clIPiSB_SC_SC_EEDaS10_S11_SH_SM_EUlS10_E_NS1_11comp_targetILNS1_3genE6ELNS1_11target_archE950ELNS1_3gpuE13ELNS1_3repE0EEENS1_47radix_sort_onesweep_sort_config_static_selectorELNS0_4arch9wavefront6targetE0EEEvSH_,"axG",@progbits,_ZN7rocprim17ROCPRIM_400000_NS6detail17trampoline_kernelINS0_14default_configENS1_35radix_sort_onesweep_config_selectorIiNS0_10empty_typeEEEZZNS1_29radix_sort_onesweep_iterationIS3_Lb0EN6thrust23THRUST_200600_302600_NS10device_ptrIiEESB_PS5_SC_jNS0_19identity_decomposerENS1_16block_id_wrapperIjLb0EEEEE10hipError_tT1_PNSt15iterator_traitsISH_E10value_typeET2_T3_PNSI_ISN_E10value_typeET4_T5_PSS_ST_PNS1_23onesweep_lookback_stateEbbT6_jjT7_P12ihipStream_tbENKUlT_T0_SH_SM_E_clIPiSB_SC_SC_EEDaS10_S11_SH_SM_EUlS10_E_NS1_11comp_targetILNS1_3genE6ELNS1_11target_archE950ELNS1_3gpuE13ELNS1_3repE0EEENS1_47radix_sort_onesweep_sort_config_static_selectorELNS0_4arch9wavefront6targetE0EEEvSH_,comdat
	.protected	_ZN7rocprim17ROCPRIM_400000_NS6detail17trampoline_kernelINS0_14default_configENS1_35radix_sort_onesweep_config_selectorIiNS0_10empty_typeEEEZZNS1_29radix_sort_onesweep_iterationIS3_Lb0EN6thrust23THRUST_200600_302600_NS10device_ptrIiEESB_PS5_SC_jNS0_19identity_decomposerENS1_16block_id_wrapperIjLb0EEEEE10hipError_tT1_PNSt15iterator_traitsISH_E10value_typeET2_T3_PNSI_ISN_E10value_typeET4_T5_PSS_ST_PNS1_23onesweep_lookback_stateEbbT6_jjT7_P12ihipStream_tbENKUlT_T0_SH_SM_E_clIPiSB_SC_SC_EEDaS10_S11_SH_SM_EUlS10_E_NS1_11comp_targetILNS1_3genE6ELNS1_11target_archE950ELNS1_3gpuE13ELNS1_3repE0EEENS1_47radix_sort_onesweep_sort_config_static_selectorELNS0_4arch9wavefront6targetE0EEEvSH_ ; -- Begin function _ZN7rocprim17ROCPRIM_400000_NS6detail17trampoline_kernelINS0_14default_configENS1_35radix_sort_onesweep_config_selectorIiNS0_10empty_typeEEEZZNS1_29radix_sort_onesweep_iterationIS3_Lb0EN6thrust23THRUST_200600_302600_NS10device_ptrIiEESB_PS5_SC_jNS0_19identity_decomposerENS1_16block_id_wrapperIjLb0EEEEE10hipError_tT1_PNSt15iterator_traitsISH_E10value_typeET2_T3_PNSI_ISN_E10value_typeET4_T5_PSS_ST_PNS1_23onesweep_lookback_stateEbbT6_jjT7_P12ihipStream_tbENKUlT_T0_SH_SM_E_clIPiSB_SC_SC_EEDaS10_S11_SH_SM_EUlS10_E_NS1_11comp_targetILNS1_3genE6ELNS1_11target_archE950ELNS1_3gpuE13ELNS1_3repE0EEENS1_47radix_sort_onesweep_sort_config_static_selectorELNS0_4arch9wavefront6targetE0EEEvSH_
	.globl	_ZN7rocprim17ROCPRIM_400000_NS6detail17trampoline_kernelINS0_14default_configENS1_35radix_sort_onesweep_config_selectorIiNS0_10empty_typeEEEZZNS1_29radix_sort_onesweep_iterationIS3_Lb0EN6thrust23THRUST_200600_302600_NS10device_ptrIiEESB_PS5_SC_jNS0_19identity_decomposerENS1_16block_id_wrapperIjLb0EEEEE10hipError_tT1_PNSt15iterator_traitsISH_E10value_typeET2_T3_PNSI_ISN_E10value_typeET4_T5_PSS_ST_PNS1_23onesweep_lookback_stateEbbT6_jjT7_P12ihipStream_tbENKUlT_T0_SH_SM_E_clIPiSB_SC_SC_EEDaS10_S11_SH_SM_EUlS10_E_NS1_11comp_targetILNS1_3genE6ELNS1_11target_archE950ELNS1_3gpuE13ELNS1_3repE0EEENS1_47radix_sort_onesweep_sort_config_static_selectorELNS0_4arch9wavefront6targetE0EEEvSH_
	.p2align	8
	.type	_ZN7rocprim17ROCPRIM_400000_NS6detail17trampoline_kernelINS0_14default_configENS1_35radix_sort_onesweep_config_selectorIiNS0_10empty_typeEEEZZNS1_29radix_sort_onesweep_iterationIS3_Lb0EN6thrust23THRUST_200600_302600_NS10device_ptrIiEESB_PS5_SC_jNS0_19identity_decomposerENS1_16block_id_wrapperIjLb0EEEEE10hipError_tT1_PNSt15iterator_traitsISH_E10value_typeET2_T3_PNSI_ISN_E10value_typeET4_T5_PSS_ST_PNS1_23onesweep_lookback_stateEbbT6_jjT7_P12ihipStream_tbENKUlT_T0_SH_SM_E_clIPiSB_SC_SC_EEDaS10_S11_SH_SM_EUlS10_E_NS1_11comp_targetILNS1_3genE6ELNS1_11target_archE950ELNS1_3gpuE13ELNS1_3repE0EEENS1_47radix_sort_onesweep_sort_config_static_selectorELNS0_4arch9wavefront6targetE0EEEvSH_,@function
_ZN7rocprim17ROCPRIM_400000_NS6detail17trampoline_kernelINS0_14default_configENS1_35radix_sort_onesweep_config_selectorIiNS0_10empty_typeEEEZZNS1_29radix_sort_onesweep_iterationIS3_Lb0EN6thrust23THRUST_200600_302600_NS10device_ptrIiEESB_PS5_SC_jNS0_19identity_decomposerENS1_16block_id_wrapperIjLb0EEEEE10hipError_tT1_PNSt15iterator_traitsISH_E10value_typeET2_T3_PNSI_ISN_E10value_typeET4_T5_PSS_ST_PNS1_23onesweep_lookback_stateEbbT6_jjT7_P12ihipStream_tbENKUlT_T0_SH_SM_E_clIPiSB_SC_SC_EEDaS10_S11_SH_SM_EUlS10_E_NS1_11comp_targetILNS1_3genE6ELNS1_11target_archE950ELNS1_3gpuE13ELNS1_3repE0EEENS1_47radix_sort_onesweep_sort_config_static_selectorELNS0_4arch9wavefront6targetE0EEEvSH_: ; @_ZN7rocprim17ROCPRIM_400000_NS6detail17trampoline_kernelINS0_14default_configENS1_35radix_sort_onesweep_config_selectorIiNS0_10empty_typeEEEZZNS1_29radix_sort_onesweep_iterationIS3_Lb0EN6thrust23THRUST_200600_302600_NS10device_ptrIiEESB_PS5_SC_jNS0_19identity_decomposerENS1_16block_id_wrapperIjLb0EEEEE10hipError_tT1_PNSt15iterator_traitsISH_E10value_typeET2_T3_PNSI_ISN_E10value_typeET4_T5_PSS_ST_PNS1_23onesweep_lookback_stateEbbT6_jjT7_P12ihipStream_tbENKUlT_T0_SH_SM_E_clIPiSB_SC_SC_EEDaS10_S11_SH_SM_EUlS10_E_NS1_11comp_targetILNS1_3genE6ELNS1_11target_archE950ELNS1_3gpuE13ELNS1_3repE0EEENS1_47radix_sort_onesweep_sort_config_static_selectorELNS0_4arch9wavefront6targetE0EEEvSH_
; %bb.0:
	.section	.rodata,"a",@progbits
	.p2align	6, 0x0
	.amdhsa_kernel _ZN7rocprim17ROCPRIM_400000_NS6detail17trampoline_kernelINS0_14default_configENS1_35radix_sort_onesweep_config_selectorIiNS0_10empty_typeEEEZZNS1_29radix_sort_onesweep_iterationIS3_Lb0EN6thrust23THRUST_200600_302600_NS10device_ptrIiEESB_PS5_SC_jNS0_19identity_decomposerENS1_16block_id_wrapperIjLb0EEEEE10hipError_tT1_PNSt15iterator_traitsISH_E10value_typeET2_T3_PNSI_ISN_E10value_typeET4_T5_PSS_ST_PNS1_23onesweep_lookback_stateEbbT6_jjT7_P12ihipStream_tbENKUlT_T0_SH_SM_E_clIPiSB_SC_SC_EEDaS10_S11_SH_SM_EUlS10_E_NS1_11comp_targetILNS1_3genE6ELNS1_11target_archE950ELNS1_3gpuE13ELNS1_3repE0EEENS1_47radix_sort_onesweep_sort_config_static_selectorELNS0_4arch9wavefront6targetE0EEEvSH_
		.amdhsa_group_segment_fixed_size 0
		.amdhsa_private_segment_fixed_size 0
		.amdhsa_kernarg_size 88
		.amdhsa_user_sgpr_count 6
		.amdhsa_user_sgpr_private_segment_buffer 1
		.amdhsa_user_sgpr_dispatch_ptr 0
		.amdhsa_user_sgpr_queue_ptr 0
		.amdhsa_user_sgpr_kernarg_segment_ptr 1
		.amdhsa_user_sgpr_dispatch_id 0
		.amdhsa_user_sgpr_flat_scratch_init 0
		.amdhsa_user_sgpr_private_segment_size 0
		.amdhsa_wavefront_size32 1
		.amdhsa_uses_dynamic_stack 0
		.amdhsa_system_sgpr_private_segment_wavefront_offset 0
		.amdhsa_system_sgpr_workgroup_id_x 1
		.amdhsa_system_sgpr_workgroup_id_y 0
		.amdhsa_system_sgpr_workgroup_id_z 0
		.amdhsa_system_sgpr_workgroup_info 0
		.amdhsa_system_vgpr_workitem_id 0
		.amdhsa_next_free_vgpr 1
		.amdhsa_next_free_sgpr 1
		.amdhsa_reserve_vcc 0
		.amdhsa_reserve_flat_scratch 0
		.amdhsa_float_round_mode_32 0
		.amdhsa_float_round_mode_16_64 0
		.amdhsa_float_denorm_mode_32 3
		.amdhsa_float_denorm_mode_16_64 3
		.amdhsa_dx10_clamp 1
		.amdhsa_ieee_mode 1
		.amdhsa_fp16_overflow 0
		.amdhsa_workgroup_processor_mode 1
		.amdhsa_memory_ordered 1
		.amdhsa_forward_progress 1
		.amdhsa_shared_vgpr_count 0
		.amdhsa_exception_fp_ieee_invalid_op 0
		.amdhsa_exception_fp_denorm_src 0
		.amdhsa_exception_fp_ieee_div_zero 0
		.amdhsa_exception_fp_ieee_overflow 0
		.amdhsa_exception_fp_ieee_underflow 0
		.amdhsa_exception_fp_ieee_inexact 0
		.amdhsa_exception_int_div_zero 0
	.end_amdhsa_kernel
	.section	.text._ZN7rocprim17ROCPRIM_400000_NS6detail17trampoline_kernelINS0_14default_configENS1_35radix_sort_onesweep_config_selectorIiNS0_10empty_typeEEEZZNS1_29radix_sort_onesweep_iterationIS3_Lb0EN6thrust23THRUST_200600_302600_NS10device_ptrIiEESB_PS5_SC_jNS0_19identity_decomposerENS1_16block_id_wrapperIjLb0EEEEE10hipError_tT1_PNSt15iterator_traitsISH_E10value_typeET2_T3_PNSI_ISN_E10value_typeET4_T5_PSS_ST_PNS1_23onesweep_lookback_stateEbbT6_jjT7_P12ihipStream_tbENKUlT_T0_SH_SM_E_clIPiSB_SC_SC_EEDaS10_S11_SH_SM_EUlS10_E_NS1_11comp_targetILNS1_3genE6ELNS1_11target_archE950ELNS1_3gpuE13ELNS1_3repE0EEENS1_47radix_sort_onesweep_sort_config_static_selectorELNS0_4arch9wavefront6targetE0EEEvSH_,"axG",@progbits,_ZN7rocprim17ROCPRIM_400000_NS6detail17trampoline_kernelINS0_14default_configENS1_35radix_sort_onesweep_config_selectorIiNS0_10empty_typeEEEZZNS1_29radix_sort_onesweep_iterationIS3_Lb0EN6thrust23THRUST_200600_302600_NS10device_ptrIiEESB_PS5_SC_jNS0_19identity_decomposerENS1_16block_id_wrapperIjLb0EEEEE10hipError_tT1_PNSt15iterator_traitsISH_E10value_typeET2_T3_PNSI_ISN_E10value_typeET4_T5_PSS_ST_PNS1_23onesweep_lookback_stateEbbT6_jjT7_P12ihipStream_tbENKUlT_T0_SH_SM_E_clIPiSB_SC_SC_EEDaS10_S11_SH_SM_EUlS10_E_NS1_11comp_targetILNS1_3genE6ELNS1_11target_archE950ELNS1_3gpuE13ELNS1_3repE0EEENS1_47radix_sort_onesweep_sort_config_static_selectorELNS0_4arch9wavefront6targetE0EEEvSH_,comdat
.Lfunc_end1290:
	.size	_ZN7rocprim17ROCPRIM_400000_NS6detail17trampoline_kernelINS0_14default_configENS1_35radix_sort_onesweep_config_selectorIiNS0_10empty_typeEEEZZNS1_29radix_sort_onesweep_iterationIS3_Lb0EN6thrust23THRUST_200600_302600_NS10device_ptrIiEESB_PS5_SC_jNS0_19identity_decomposerENS1_16block_id_wrapperIjLb0EEEEE10hipError_tT1_PNSt15iterator_traitsISH_E10value_typeET2_T3_PNSI_ISN_E10value_typeET4_T5_PSS_ST_PNS1_23onesweep_lookback_stateEbbT6_jjT7_P12ihipStream_tbENKUlT_T0_SH_SM_E_clIPiSB_SC_SC_EEDaS10_S11_SH_SM_EUlS10_E_NS1_11comp_targetILNS1_3genE6ELNS1_11target_archE950ELNS1_3gpuE13ELNS1_3repE0EEENS1_47radix_sort_onesweep_sort_config_static_selectorELNS0_4arch9wavefront6targetE0EEEvSH_, .Lfunc_end1290-_ZN7rocprim17ROCPRIM_400000_NS6detail17trampoline_kernelINS0_14default_configENS1_35radix_sort_onesweep_config_selectorIiNS0_10empty_typeEEEZZNS1_29radix_sort_onesweep_iterationIS3_Lb0EN6thrust23THRUST_200600_302600_NS10device_ptrIiEESB_PS5_SC_jNS0_19identity_decomposerENS1_16block_id_wrapperIjLb0EEEEE10hipError_tT1_PNSt15iterator_traitsISH_E10value_typeET2_T3_PNSI_ISN_E10value_typeET4_T5_PSS_ST_PNS1_23onesweep_lookback_stateEbbT6_jjT7_P12ihipStream_tbENKUlT_T0_SH_SM_E_clIPiSB_SC_SC_EEDaS10_S11_SH_SM_EUlS10_E_NS1_11comp_targetILNS1_3genE6ELNS1_11target_archE950ELNS1_3gpuE13ELNS1_3repE0EEENS1_47radix_sort_onesweep_sort_config_static_selectorELNS0_4arch9wavefront6targetE0EEEvSH_
                                        ; -- End function
	.set _ZN7rocprim17ROCPRIM_400000_NS6detail17trampoline_kernelINS0_14default_configENS1_35radix_sort_onesweep_config_selectorIiNS0_10empty_typeEEEZZNS1_29radix_sort_onesweep_iterationIS3_Lb0EN6thrust23THRUST_200600_302600_NS10device_ptrIiEESB_PS5_SC_jNS0_19identity_decomposerENS1_16block_id_wrapperIjLb0EEEEE10hipError_tT1_PNSt15iterator_traitsISH_E10value_typeET2_T3_PNSI_ISN_E10value_typeET4_T5_PSS_ST_PNS1_23onesweep_lookback_stateEbbT6_jjT7_P12ihipStream_tbENKUlT_T0_SH_SM_E_clIPiSB_SC_SC_EEDaS10_S11_SH_SM_EUlS10_E_NS1_11comp_targetILNS1_3genE6ELNS1_11target_archE950ELNS1_3gpuE13ELNS1_3repE0EEENS1_47radix_sort_onesweep_sort_config_static_selectorELNS0_4arch9wavefront6targetE0EEEvSH_.num_vgpr, 0
	.set _ZN7rocprim17ROCPRIM_400000_NS6detail17trampoline_kernelINS0_14default_configENS1_35radix_sort_onesweep_config_selectorIiNS0_10empty_typeEEEZZNS1_29radix_sort_onesweep_iterationIS3_Lb0EN6thrust23THRUST_200600_302600_NS10device_ptrIiEESB_PS5_SC_jNS0_19identity_decomposerENS1_16block_id_wrapperIjLb0EEEEE10hipError_tT1_PNSt15iterator_traitsISH_E10value_typeET2_T3_PNSI_ISN_E10value_typeET4_T5_PSS_ST_PNS1_23onesweep_lookback_stateEbbT6_jjT7_P12ihipStream_tbENKUlT_T0_SH_SM_E_clIPiSB_SC_SC_EEDaS10_S11_SH_SM_EUlS10_E_NS1_11comp_targetILNS1_3genE6ELNS1_11target_archE950ELNS1_3gpuE13ELNS1_3repE0EEENS1_47radix_sort_onesweep_sort_config_static_selectorELNS0_4arch9wavefront6targetE0EEEvSH_.num_agpr, 0
	.set _ZN7rocprim17ROCPRIM_400000_NS6detail17trampoline_kernelINS0_14default_configENS1_35radix_sort_onesweep_config_selectorIiNS0_10empty_typeEEEZZNS1_29radix_sort_onesweep_iterationIS3_Lb0EN6thrust23THRUST_200600_302600_NS10device_ptrIiEESB_PS5_SC_jNS0_19identity_decomposerENS1_16block_id_wrapperIjLb0EEEEE10hipError_tT1_PNSt15iterator_traitsISH_E10value_typeET2_T3_PNSI_ISN_E10value_typeET4_T5_PSS_ST_PNS1_23onesweep_lookback_stateEbbT6_jjT7_P12ihipStream_tbENKUlT_T0_SH_SM_E_clIPiSB_SC_SC_EEDaS10_S11_SH_SM_EUlS10_E_NS1_11comp_targetILNS1_3genE6ELNS1_11target_archE950ELNS1_3gpuE13ELNS1_3repE0EEENS1_47radix_sort_onesweep_sort_config_static_selectorELNS0_4arch9wavefront6targetE0EEEvSH_.numbered_sgpr, 0
	.set _ZN7rocprim17ROCPRIM_400000_NS6detail17trampoline_kernelINS0_14default_configENS1_35radix_sort_onesweep_config_selectorIiNS0_10empty_typeEEEZZNS1_29radix_sort_onesweep_iterationIS3_Lb0EN6thrust23THRUST_200600_302600_NS10device_ptrIiEESB_PS5_SC_jNS0_19identity_decomposerENS1_16block_id_wrapperIjLb0EEEEE10hipError_tT1_PNSt15iterator_traitsISH_E10value_typeET2_T3_PNSI_ISN_E10value_typeET4_T5_PSS_ST_PNS1_23onesweep_lookback_stateEbbT6_jjT7_P12ihipStream_tbENKUlT_T0_SH_SM_E_clIPiSB_SC_SC_EEDaS10_S11_SH_SM_EUlS10_E_NS1_11comp_targetILNS1_3genE6ELNS1_11target_archE950ELNS1_3gpuE13ELNS1_3repE0EEENS1_47radix_sort_onesweep_sort_config_static_selectorELNS0_4arch9wavefront6targetE0EEEvSH_.num_named_barrier, 0
	.set _ZN7rocprim17ROCPRIM_400000_NS6detail17trampoline_kernelINS0_14default_configENS1_35radix_sort_onesweep_config_selectorIiNS0_10empty_typeEEEZZNS1_29radix_sort_onesweep_iterationIS3_Lb0EN6thrust23THRUST_200600_302600_NS10device_ptrIiEESB_PS5_SC_jNS0_19identity_decomposerENS1_16block_id_wrapperIjLb0EEEEE10hipError_tT1_PNSt15iterator_traitsISH_E10value_typeET2_T3_PNSI_ISN_E10value_typeET4_T5_PSS_ST_PNS1_23onesweep_lookback_stateEbbT6_jjT7_P12ihipStream_tbENKUlT_T0_SH_SM_E_clIPiSB_SC_SC_EEDaS10_S11_SH_SM_EUlS10_E_NS1_11comp_targetILNS1_3genE6ELNS1_11target_archE950ELNS1_3gpuE13ELNS1_3repE0EEENS1_47radix_sort_onesweep_sort_config_static_selectorELNS0_4arch9wavefront6targetE0EEEvSH_.private_seg_size, 0
	.set _ZN7rocprim17ROCPRIM_400000_NS6detail17trampoline_kernelINS0_14default_configENS1_35radix_sort_onesweep_config_selectorIiNS0_10empty_typeEEEZZNS1_29radix_sort_onesweep_iterationIS3_Lb0EN6thrust23THRUST_200600_302600_NS10device_ptrIiEESB_PS5_SC_jNS0_19identity_decomposerENS1_16block_id_wrapperIjLb0EEEEE10hipError_tT1_PNSt15iterator_traitsISH_E10value_typeET2_T3_PNSI_ISN_E10value_typeET4_T5_PSS_ST_PNS1_23onesweep_lookback_stateEbbT6_jjT7_P12ihipStream_tbENKUlT_T0_SH_SM_E_clIPiSB_SC_SC_EEDaS10_S11_SH_SM_EUlS10_E_NS1_11comp_targetILNS1_3genE6ELNS1_11target_archE950ELNS1_3gpuE13ELNS1_3repE0EEENS1_47radix_sort_onesweep_sort_config_static_selectorELNS0_4arch9wavefront6targetE0EEEvSH_.uses_vcc, 0
	.set _ZN7rocprim17ROCPRIM_400000_NS6detail17trampoline_kernelINS0_14default_configENS1_35radix_sort_onesweep_config_selectorIiNS0_10empty_typeEEEZZNS1_29radix_sort_onesweep_iterationIS3_Lb0EN6thrust23THRUST_200600_302600_NS10device_ptrIiEESB_PS5_SC_jNS0_19identity_decomposerENS1_16block_id_wrapperIjLb0EEEEE10hipError_tT1_PNSt15iterator_traitsISH_E10value_typeET2_T3_PNSI_ISN_E10value_typeET4_T5_PSS_ST_PNS1_23onesweep_lookback_stateEbbT6_jjT7_P12ihipStream_tbENKUlT_T0_SH_SM_E_clIPiSB_SC_SC_EEDaS10_S11_SH_SM_EUlS10_E_NS1_11comp_targetILNS1_3genE6ELNS1_11target_archE950ELNS1_3gpuE13ELNS1_3repE0EEENS1_47radix_sort_onesweep_sort_config_static_selectorELNS0_4arch9wavefront6targetE0EEEvSH_.uses_flat_scratch, 0
	.set _ZN7rocprim17ROCPRIM_400000_NS6detail17trampoline_kernelINS0_14default_configENS1_35radix_sort_onesweep_config_selectorIiNS0_10empty_typeEEEZZNS1_29radix_sort_onesweep_iterationIS3_Lb0EN6thrust23THRUST_200600_302600_NS10device_ptrIiEESB_PS5_SC_jNS0_19identity_decomposerENS1_16block_id_wrapperIjLb0EEEEE10hipError_tT1_PNSt15iterator_traitsISH_E10value_typeET2_T3_PNSI_ISN_E10value_typeET4_T5_PSS_ST_PNS1_23onesweep_lookback_stateEbbT6_jjT7_P12ihipStream_tbENKUlT_T0_SH_SM_E_clIPiSB_SC_SC_EEDaS10_S11_SH_SM_EUlS10_E_NS1_11comp_targetILNS1_3genE6ELNS1_11target_archE950ELNS1_3gpuE13ELNS1_3repE0EEENS1_47radix_sort_onesweep_sort_config_static_selectorELNS0_4arch9wavefront6targetE0EEEvSH_.has_dyn_sized_stack, 0
	.set _ZN7rocprim17ROCPRIM_400000_NS6detail17trampoline_kernelINS0_14default_configENS1_35radix_sort_onesweep_config_selectorIiNS0_10empty_typeEEEZZNS1_29radix_sort_onesweep_iterationIS3_Lb0EN6thrust23THRUST_200600_302600_NS10device_ptrIiEESB_PS5_SC_jNS0_19identity_decomposerENS1_16block_id_wrapperIjLb0EEEEE10hipError_tT1_PNSt15iterator_traitsISH_E10value_typeET2_T3_PNSI_ISN_E10value_typeET4_T5_PSS_ST_PNS1_23onesweep_lookback_stateEbbT6_jjT7_P12ihipStream_tbENKUlT_T0_SH_SM_E_clIPiSB_SC_SC_EEDaS10_S11_SH_SM_EUlS10_E_NS1_11comp_targetILNS1_3genE6ELNS1_11target_archE950ELNS1_3gpuE13ELNS1_3repE0EEENS1_47radix_sort_onesweep_sort_config_static_selectorELNS0_4arch9wavefront6targetE0EEEvSH_.has_recursion, 0
	.set _ZN7rocprim17ROCPRIM_400000_NS6detail17trampoline_kernelINS0_14default_configENS1_35radix_sort_onesweep_config_selectorIiNS0_10empty_typeEEEZZNS1_29radix_sort_onesweep_iterationIS3_Lb0EN6thrust23THRUST_200600_302600_NS10device_ptrIiEESB_PS5_SC_jNS0_19identity_decomposerENS1_16block_id_wrapperIjLb0EEEEE10hipError_tT1_PNSt15iterator_traitsISH_E10value_typeET2_T3_PNSI_ISN_E10value_typeET4_T5_PSS_ST_PNS1_23onesweep_lookback_stateEbbT6_jjT7_P12ihipStream_tbENKUlT_T0_SH_SM_E_clIPiSB_SC_SC_EEDaS10_S11_SH_SM_EUlS10_E_NS1_11comp_targetILNS1_3genE6ELNS1_11target_archE950ELNS1_3gpuE13ELNS1_3repE0EEENS1_47radix_sort_onesweep_sort_config_static_selectorELNS0_4arch9wavefront6targetE0EEEvSH_.has_indirect_call, 0
	.section	.AMDGPU.csdata,"",@progbits
; Kernel info:
; codeLenInByte = 0
; TotalNumSgprs: 0
; NumVgprs: 0
; ScratchSize: 0
; MemoryBound: 0
; FloatMode: 240
; IeeeMode: 1
; LDSByteSize: 0 bytes/workgroup (compile time only)
; SGPRBlocks: 0
; VGPRBlocks: 0
; NumSGPRsForWavesPerEU: 1
; NumVGPRsForWavesPerEU: 1
; Occupancy: 16
; WaveLimiterHint : 0
; COMPUTE_PGM_RSRC2:SCRATCH_EN: 0
; COMPUTE_PGM_RSRC2:USER_SGPR: 6
; COMPUTE_PGM_RSRC2:TRAP_HANDLER: 0
; COMPUTE_PGM_RSRC2:TGID_X_EN: 1
; COMPUTE_PGM_RSRC2:TGID_Y_EN: 0
; COMPUTE_PGM_RSRC2:TGID_Z_EN: 0
; COMPUTE_PGM_RSRC2:TIDIG_COMP_CNT: 0
	.section	.text._ZN7rocprim17ROCPRIM_400000_NS6detail17trampoline_kernelINS0_14default_configENS1_35radix_sort_onesweep_config_selectorIiNS0_10empty_typeEEEZZNS1_29radix_sort_onesweep_iterationIS3_Lb0EN6thrust23THRUST_200600_302600_NS10device_ptrIiEESB_PS5_SC_jNS0_19identity_decomposerENS1_16block_id_wrapperIjLb0EEEEE10hipError_tT1_PNSt15iterator_traitsISH_E10value_typeET2_T3_PNSI_ISN_E10value_typeET4_T5_PSS_ST_PNS1_23onesweep_lookback_stateEbbT6_jjT7_P12ihipStream_tbENKUlT_T0_SH_SM_E_clIPiSB_SC_SC_EEDaS10_S11_SH_SM_EUlS10_E_NS1_11comp_targetILNS1_3genE5ELNS1_11target_archE942ELNS1_3gpuE9ELNS1_3repE0EEENS1_47radix_sort_onesweep_sort_config_static_selectorELNS0_4arch9wavefront6targetE0EEEvSH_,"axG",@progbits,_ZN7rocprim17ROCPRIM_400000_NS6detail17trampoline_kernelINS0_14default_configENS1_35radix_sort_onesweep_config_selectorIiNS0_10empty_typeEEEZZNS1_29radix_sort_onesweep_iterationIS3_Lb0EN6thrust23THRUST_200600_302600_NS10device_ptrIiEESB_PS5_SC_jNS0_19identity_decomposerENS1_16block_id_wrapperIjLb0EEEEE10hipError_tT1_PNSt15iterator_traitsISH_E10value_typeET2_T3_PNSI_ISN_E10value_typeET4_T5_PSS_ST_PNS1_23onesweep_lookback_stateEbbT6_jjT7_P12ihipStream_tbENKUlT_T0_SH_SM_E_clIPiSB_SC_SC_EEDaS10_S11_SH_SM_EUlS10_E_NS1_11comp_targetILNS1_3genE5ELNS1_11target_archE942ELNS1_3gpuE9ELNS1_3repE0EEENS1_47radix_sort_onesweep_sort_config_static_selectorELNS0_4arch9wavefront6targetE0EEEvSH_,comdat
	.protected	_ZN7rocprim17ROCPRIM_400000_NS6detail17trampoline_kernelINS0_14default_configENS1_35radix_sort_onesweep_config_selectorIiNS0_10empty_typeEEEZZNS1_29radix_sort_onesweep_iterationIS3_Lb0EN6thrust23THRUST_200600_302600_NS10device_ptrIiEESB_PS5_SC_jNS0_19identity_decomposerENS1_16block_id_wrapperIjLb0EEEEE10hipError_tT1_PNSt15iterator_traitsISH_E10value_typeET2_T3_PNSI_ISN_E10value_typeET4_T5_PSS_ST_PNS1_23onesweep_lookback_stateEbbT6_jjT7_P12ihipStream_tbENKUlT_T0_SH_SM_E_clIPiSB_SC_SC_EEDaS10_S11_SH_SM_EUlS10_E_NS1_11comp_targetILNS1_3genE5ELNS1_11target_archE942ELNS1_3gpuE9ELNS1_3repE0EEENS1_47radix_sort_onesweep_sort_config_static_selectorELNS0_4arch9wavefront6targetE0EEEvSH_ ; -- Begin function _ZN7rocprim17ROCPRIM_400000_NS6detail17trampoline_kernelINS0_14default_configENS1_35radix_sort_onesweep_config_selectorIiNS0_10empty_typeEEEZZNS1_29radix_sort_onesweep_iterationIS3_Lb0EN6thrust23THRUST_200600_302600_NS10device_ptrIiEESB_PS5_SC_jNS0_19identity_decomposerENS1_16block_id_wrapperIjLb0EEEEE10hipError_tT1_PNSt15iterator_traitsISH_E10value_typeET2_T3_PNSI_ISN_E10value_typeET4_T5_PSS_ST_PNS1_23onesweep_lookback_stateEbbT6_jjT7_P12ihipStream_tbENKUlT_T0_SH_SM_E_clIPiSB_SC_SC_EEDaS10_S11_SH_SM_EUlS10_E_NS1_11comp_targetILNS1_3genE5ELNS1_11target_archE942ELNS1_3gpuE9ELNS1_3repE0EEENS1_47radix_sort_onesweep_sort_config_static_selectorELNS0_4arch9wavefront6targetE0EEEvSH_
	.globl	_ZN7rocprim17ROCPRIM_400000_NS6detail17trampoline_kernelINS0_14default_configENS1_35radix_sort_onesweep_config_selectorIiNS0_10empty_typeEEEZZNS1_29radix_sort_onesweep_iterationIS3_Lb0EN6thrust23THRUST_200600_302600_NS10device_ptrIiEESB_PS5_SC_jNS0_19identity_decomposerENS1_16block_id_wrapperIjLb0EEEEE10hipError_tT1_PNSt15iterator_traitsISH_E10value_typeET2_T3_PNSI_ISN_E10value_typeET4_T5_PSS_ST_PNS1_23onesweep_lookback_stateEbbT6_jjT7_P12ihipStream_tbENKUlT_T0_SH_SM_E_clIPiSB_SC_SC_EEDaS10_S11_SH_SM_EUlS10_E_NS1_11comp_targetILNS1_3genE5ELNS1_11target_archE942ELNS1_3gpuE9ELNS1_3repE0EEENS1_47radix_sort_onesweep_sort_config_static_selectorELNS0_4arch9wavefront6targetE0EEEvSH_
	.p2align	8
	.type	_ZN7rocprim17ROCPRIM_400000_NS6detail17trampoline_kernelINS0_14default_configENS1_35radix_sort_onesweep_config_selectorIiNS0_10empty_typeEEEZZNS1_29radix_sort_onesweep_iterationIS3_Lb0EN6thrust23THRUST_200600_302600_NS10device_ptrIiEESB_PS5_SC_jNS0_19identity_decomposerENS1_16block_id_wrapperIjLb0EEEEE10hipError_tT1_PNSt15iterator_traitsISH_E10value_typeET2_T3_PNSI_ISN_E10value_typeET4_T5_PSS_ST_PNS1_23onesweep_lookback_stateEbbT6_jjT7_P12ihipStream_tbENKUlT_T0_SH_SM_E_clIPiSB_SC_SC_EEDaS10_S11_SH_SM_EUlS10_E_NS1_11comp_targetILNS1_3genE5ELNS1_11target_archE942ELNS1_3gpuE9ELNS1_3repE0EEENS1_47radix_sort_onesweep_sort_config_static_selectorELNS0_4arch9wavefront6targetE0EEEvSH_,@function
_ZN7rocprim17ROCPRIM_400000_NS6detail17trampoline_kernelINS0_14default_configENS1_35radix_sort_onesweep_config_selectorIiNS0_10empty_typeEEEZZNS1_29radix_sort_onesweep_iterationIS3_Lb0EN6thrust23THRUST_200600_302600_NS10device_ptrIiEESB_PS5_SC_jNS0_19identity_decomposerENS1_16block_id_wrapperIjLb0EEEEE10hipError_tT1_PNSt15iterator_traitsISH_E10value_typeET2_T3_PNSI_ISN_E10value_typeET4_T5_PSS_ST_PNS1_23onesweep_lookback_stateEbbT6_jjT7_P12ihipStream_tbENKUlT_T0_SH_SM_E_clIPiSB_SC_SC_EEDaS10_S11_SH_SM_EUlS10_E_NS1_11comp_targetILNS1_3genE5ELNS1_11target_archE942ELNS1_3gpuE9ELNS1_3repE0EEENS1_47radix_sort_onesweep_sort_config_static_selectorELNS0_4arch9wavefront6targetE0EEEvSH_: ; @_ZN7rocprim17ROCPRIM_400000_NS6detail17trampoline_kernelINS0_14default_configENS1_35radix_sort_onesweep_config_selectorIiNS0_10empty_typeEEEZZNS1_29radix_sort_onesweep_iterationIS3_Lb0EN6thrust23THRUST_200600_302600_NS10device_ptrIiEESB_PS5_SC_jNS0_19identity_decomposerENS1_16block_id_wrapperIjLb0EEEEE10hipError_tT1_PNSt15iterator_traitsISH_E10value_typeET2_T3_PNSI_ISN_E10value_typeET4_T5_PSS_ST_PNS1_23onesweep_lookback_stateEbbT6_jjT7_P12ihipStream_tbENKUlT_T0_SH_SM_E_clIPiSB_SC_SC_EEDaS10_S11_SH_SM_EUlS10_E_NS1_11comp_targetILNS1_3genE5ELNS1_11target_archE942ELNS1_3gpuE9ELNS1_3repE0EEENS1_47radix_sort_onesweep_sort_config_static_selectorELNS0_4arch9wavefront6targetE0EEEvSH_
; %bb.0:
	.section	.rodata,"a",@progbits
	.p2align	6, 0x0
	.amdhsa_kernel _ZN7rocprim17ROCPRIM_400000_NS6detail17trampoline_kernelINS0_14default_configENS1_35radix_sort_onesweep_config_selectorIiNS0_10empty_typeEEEZZNS1_29radix_sort_onesweep_iterationIS3_Lb0EN6thrust23THRUST_200600_302600_NS10device_ptrIiEESB_PS5_SC_jNS0_19identity_decomposerENS1_16block_id_wrapperIjLb0EEEEE10hipError_tT1_PNSt15iterator_traitsISH_E10value_typeET2_T3_PNSI_ISN_E10value_typeET4_T5_PSS_ST_PNS1_23onesweep_lookback_stateEbbT6_jjT7_P12ihipStream_tbENKUlT_T0_SH_SM_E_clIPiSB_SC_SC_EEDaS10_S11_SH_SM_EUlS10_E_NS1_11comp_targetILNS1_3genE5ELNS1_11target_archE942ELNS1_3gpuE9ELNS1_3repE0EEENS1_47radix_sort_onesweep_sort_config_static_selectorELNS0_4arch9wavefront6targetE0EEEvSH_
		.amdhsa_group_segment_fixed_size 0
		.amdhsa_private_segment_fixed_size 0
		.amdhsa_kernarg_size 88
		.amdhsa_user_sgpr_count 6
		.amdhsa_user_sgpr_private_segment_buffer 1
		.amdhsa_user_sgpr_dispatch_ptr 0
		.amdhsa_user_sgpr_queue_ptr 0
		.amdhsa_user_sgpr_kernarg_segment_ptr 1
		.amdhsa_user_sgpr_dispatch_id 0
		.amdhsa_user_sgpr_flat_scratch_init 0
		.amdhsa_user_sgpr_private_segment_size 0
		.amdhsa_wavefront_size32 1
		.amdhsa_uses_dynamic_stack 0
		.amdhsa_system_sgpr_private_segment_wavefront_offset 0
		.amdhsa_system_sgpr_workgroup_id_x 1
		.amdhsa_system_sgpr_workgroup_id_y 0
		.amdhsa_system_sgpr_workgroup_id_z 0
		.amdhsa_system_sgpr_workgroup_info 0
		.amdhsa_system_vgpr_workitem_id 0
		.amdhsa_next_free_vgpr 1
		.amdhsa_next_free_sgpr 1
		.amdhsa_reserve_vcc 0
		.amdhsa_reserve_flat_scratch 0
		.amdhsa_float_round_mode_32 0
		.amdhsa_float_round_mode_16_64 0
		.amdhsa_float_denorm_mode_32 3
		.amdhsa_float_denorm_mode_16_64 3
		.amdhsa_dx10_clamp 1
		.amdhsa_ieee_mode 1
		.amdhsa_fp16_overflow 0
		.amdhsa_workgroup_processor_mode 1
		.amdhsa_memory_ordered 1
		.amdhsa_forward_progress 1
		.amdhsa_shared_vgpr_count 0
		.amdhsa_exception_fp_ieee_invalid_op 0
		.amdhsa_exception_fp_denorm_src 0
		.amdhsa_exception_fp_ieee_div_zero 0
		.amdhsa_exception_fp_ieee_overflow 0
		.amdhsa_exception_fp_ieee_underflow 0
		.amdhsa_exception_fp_ieee_inexact 0
		.amdhsa_exception_int_div_zero 0
	.end_amdhsa_kernel
	.section	.text._ZN7rocprim17ROCPRIM_400000_NS6detail17trampoline_kernelINS0_14default_configENS1_35radix_sort_onesweep_config_selectorIiNS0_10empty_typeEEEZZNS1_29radix_sort_onesweep_iterationIS3_Lb0EN6thrust23THRUST_200600_302600_NS10device_ptrIiEESB_PS5_SC_jNS0_19identity_decomposerENS1_16block_id_wrapperIjLb0EEEEE10hipError_tT1_PNSt15iterator_traitsISH_E10value_typeET2_T3_PNSI_ISN_E10value_typeET4_T5_PSS_ST_PNS1_23onesweep_lookback_stateEbbT6_jjT7_P12ihipStream_tbENKUlT_T0_SH_SM_E_clIPiSB_SC_SC_EEDaS10_S11_SH_SM_EUlS10_E_NS1_11comp_targetILNS1_3genE5ELNS1_11target_archE942ELNS1_3gpuE9ELNS1_3repE0EEENS1_47radix_sort_onesweep_sort_config_static_selectorELNS0_4arch9wavefront6targetE0EEEvSH_,"axG",@progbits,_ZN7rocprim17ROCPRIM_400000_NS6detail17trampoline_kernelINS0_14default_configENS1_35radix_sort_onesweep_config_selectorIiNS0_10empty_typeEEEZZNS1_29radix_sort_onesweep_iterationIS3_Lb0EN6thrust23THRUST_200600_302600_NS10device_ptrIiEESB_PS5_SC_jNS0_19identity_decomposerENS1_16block_id_wrapperIjLb0EEEEE10hipError_tT1_PNSt15iterator_traitsISH_E10value_typeET2_T3_PNSI_ISN_E10value_typeET4_T5_PSS_ST_PNS1_23onesweep_lookback_stateEbbT6_jjT7_P12ihipStream_tbENKUlT_T0_SH_SM_E_clIPiSB_SC_SC_EEDaS10_S11_SH_SM_EUlS10_E_NS1_11comp_targetILNS1_3genE5ELNS1_11target_archE942ELNS1_3gpuE9ELNS1_3repE0EEENS1_47radix_sort_onesweep_sort_config_static_selectorELNS0_4arch9wavefront6targetE0EEEvSH_,comdat
.Lfunc_end1291:
	.size	_ZN7rocprim17ROCPRIM_400000_NS6detail17trampoline_kernelINS0_14default_configENS1_35radix_sort_onesweep_config_selectorIiNS0_10empty_typeEEEZZNS1_29radix_sort_onesweep_iterationIS3_Lb0EN6thrust23THRUST_200600_302600_NS10device_ptrIiEESB_PS5_SC_jNS0_19identity_decomposerENS1_16block_id_wrapperIjLb0EEEEE10hipError_tT1_PNSt15iterator_traitsISH_E10value_typeET2_T3_PNSI_ISN_E10value_typeET4_T5_PSS_ST_PNS1_23onesweep_lookback_stateEbbT6_jjT7_P12ihipStream_tbENKUlT_T0_SH_SM_E_clIPiSB_SC_SC_EEDaS10_S11_SH_SM_EUlS10_E_NS1_11comp_targetILNS1_3genE5ELNS1_11target_archE942ELNS1_3gpuE9ELNS1_3repE0EEENS1_47radix_sort_onesweep_sort_config_static_selectorELNS0_4arch9wavefront6targetE0EEEvSH_, .Lfunc_end1291-_ZN7rocprim17ROCPRIM_400000_NS6detail17trampoline_kernelINS0_14default_configENS1_35radix_sort_onesweep_config_selectorIiNS0_10empty_typeEEEZZNS1_29radix_sort_onesweep_iterationIS3_Lb0EN6thrust23THRUST_200600_302600_NS10device_ptrIiEESB_PS5_SC_jNS0_19identity_decomposerENS1_16block_id_wrapperIjLb0EEEEE10hipError_tT1_PNSt15iterator_traitsISH_E10value_typeET2_T3_PNSI_ISN_E10value_typeET4_T5_PSS_ST_PNS1_23onesweep_lookback_stateEbbT6_jjT7_P12ihipStream_tbENKUlT_T0_SH_SM_E_clIPiSB_SC_SC_EEDaS10_S11_SH_SM_EUlS10_E_NS1_11comp_targetILNS1_3genE5ELNS1_11target_archE942ELNS1_3gpuE9ELNS1_3repE0EEENS1_47radix_sort_onesweep_sort_config_static_selectorELNS0_4arch9wavefront6targetE0EEEvSH_
                                        ; -- End function
	.set _ZN7rocprim17ROCPRIM_400000_NS6detail17trampoline_kernelINS0_14default_configENS1_35radix_sort_onesweep_config_selectorIiNS0_10empty_typeEEEZZNS1_29radix_sort_onesweep_iterationIS3_Lb0EN6thrust23THRUST_200600_302600_NS10device_ptrIiEESB_PS5_SC_jNS0_19identity_decomposerENS1_16block_id_wrapperIjLb0EEEEE10hipError_tT1_PNSt15iterator_traitsISH_E10value_typeET2_T3_PNSI_ISN_E10value_typeET4_T5_PSS_ST_PNS1_23onesweep_lookback_stateEbbT6_jjT7_P12ihipStream_tbENKUlT_T0_SH_SM_E_clIPiSB_SC_SC_EEDaS10_S11_SH_SM_EUlS10_E_NS1_11comp_targetILNS1_3genE5ELNS1_11target_archE942ELNS1_3gpuE9ELNS1_3repE0EEENS1_47radix_sort_onesweep_sort_config_static_selectorELNS0_4arch9wavefront6targetE0EEEvSH_.num_vgpr, 0
	.set _ZN7rocprim17ROCPRIM_400000_NS6detail17trampoline_kernelINS0_14default_configENS1_35radix_sort_onesweep_config_selectorIiNS0_10empty_typeEEEZZNS1_29radix_sort_onesweep_iterationIS3_Lb0EN6thrust23THRUST_200600_302600_NS10device_ptrIiEESB_PS5_SC_jNS0_19identity_decomposerENS1_16block_id_wrapperIjLb0EEEEE10hipError_tT1_PNSt15iterator_traitsISH_E10value_typeET2_T3_PNSI_ISN_E10value_typeET4_T5_PSS_ST_PNS1_23onesweep_lookback_stateEbbT6_jjT7_P12ihipStream_tbENKUlT_T0_SH_SM_E_clIPiSB_SC_SC_EEDaS10_S11_SH_SM_EUlS10_E_NS1_11comp_targetILNS1_3genE5ELNS1_11target_archE942ELNS1_3gpuE9ELNS1_3repE0EEENS1_47radix_sort_onesweep_sort_config_static_selectorELNS0_4arch9wavefront6targetE0EEEvSH_.num_agpr, 0
	.set _ZN7rocprim17ROCPRIM_400000_NS6detail17trampoline_kernelINS0_14default_configENS1_35radix_sort_onesweep_config_selectorIiNS0_10empty_typeEEEZZNS1_29radix_sort_onesweep_iterationIS3_Lb0EN6thrust23THRUST_200600_302600_NS10device_ptrIiEESB_PS5_SC_jNS0_19identity_decomposerENS1_16block_id_wrapperIjLb0EEEEE10hipError_tT1_PNSt15iterator_traitsISH_E10value_typeET2_T3_PNSI_ISN_E10value_typeET4_T5_PSS_ST_PNS1_23onesweep_lookback_stateEbbT6_jjT7_P12ihipStream_tbENKUlT_T0_SH_SM_E_clIPiSB_SC_SC_EEDaS10_S11_SH_SM_EUlS10_E_NS1_11comp_targetILNS1_3genE5ELNS1_11target_archE942ELNS1_3gpuE9ELNS1_3repE0EEENS1_47radix_sort_onesweep_sort_config_static_selectorELNS0_4arch9wavefront6targetE0EEEvSH_.numbered_sgpr, 0
	.set _ZN7rocprim17ROCPRIM_400000_NS6detail17trampoline_kernelINS0_14default_configENS1_35radix_sort_onesweep_config_selectorIiNS0_10empty_typeEEEZZNS1_29radix_sort_onesweep_iterationIS3_Lb0EN6thrust23THRUST_200600_302600_NS10device_ptrIiEESB_PS5_SC_jNS0_19identity_decomposerENS1_16block_id_wrapperIjLb0EEEEE10hipError_tT1_PNSt15iterator_traitsISH_E10value_typeET2_T3_PNSI_ISN_E10value_typeET4_T5_PSS_ST_PNS1_23onesweep_lookback_stateEbbT6_jjT7_P12ihipStream_tbENKUlT_T0_SH_SM_E_clIPiSB_SC_SC_EEDaS10_S11_SH_SM_EUlS10_E_NS1_11comp_targetILNS1_3genE5ELNS1_11target_archE942ELNS1_3gpuE9ELNS1_3repE0EEENS1_47radix_sort_onesweep_sort_config_static_selectorELNS0_4arch9wavefront6targetE0EEEvSH_.num_named_barrier, 0
	.set _ZN7rocprim17ROCPRIM_400000_NS6detail17trampoline_kernelINS0_14default_configENS1_35radix_sort_onesweep_config_selectorIiNS0_10empty_typeEEEZZNS1_29radix_sort_onesweep_iterationIS3_Lb0EN6thrust23THRUST_200600_302600_NS10device_ptrIiEESB_PS5_SC_jNS0_19identity_decomposerENS1_16block_id_wrapperIjLb0EEEEE10hipError_tT1_PNSt15iterator_traitsISH_E10value_typeET2_T3_PNSI_ISN_E10value_typeET4_T5_PSS_ST_PNS1_23onesweep_lookback_stateEbbT6_jjT7_P12ihipStream_tbENKUlT_T0_SH_SM_E_clIPiSB_SC_SC_EEDaS10_S11_SH_SM_EUlS10_E_NS1_11comp_targetILNS1_3genE5ELNS1_11target_archE942ELNS1_3gpuE9ELNS1_3repE0EEENS1_47radix_sort_onesweep_sort_config_static_selectorELNS0_4arch9wavefront6targetE0EEEvSH_.private_seg_size, 0
	.set _ZN7rocprim17ROCPRIM_400000_NS6detail17trampoline_kernelINS0_14default_configENS1_35radix_sort_onesweep_config_selectorIiNS0_10empty_typeEEEZZNS1_29radix_sort_onesweep_iterationIS3_Lb0EN6thrust23THRUST_200600_302600_NS10device_ptrIiEESB_PS5_SC_jNS0_19identity_decomposerENS1_16block_id_wrapperIjLb0EEEEE10hipError_tT1_PNSt15iterator_traitsISH_E10value_typeET2_T3_PNSI_ISN_E10value_typeET4_T5_PSS_ST_PNS1_23onesweep_lookback_stateEbbT6_jjT7_P12ihipStream_tbENKUlT_T0_SH_SM_E_clIPiSB_SC_SC_EEDaS10_S11_SH_SM_EUlS10_E_NS1_11comp_targetILNS1_3genE5ELNS1_11target_archE942ELNS1_3gpuE9ELNS1_3repE0EEENS1_47radix_sort_onesweep_sort_config_static_selectorELNS0_4arch9wavefront6targetE0EEEvSH_.uses_vcc, 0
	.set _ZN7rocprim17ROCPRIM_400000_NS6detail17trampoline_kernelINS0_14default_configENS1_35radix_sort_onesweep_config_selectorIiNS0_10empty_typeEEEZZNS1_29radix_sort_onesweep_iterationIS3_Lb0EN6thrust23THRUST_200600_302600_NS10device_ptrIiEESB_PS5_SC_jNS0_19identity_decomposerENS1_16block_id_wrapperIjLb0EEEEE10hipError_tT1_PNSt15iterator_traitsISH_E10value_typeET2_T3_PNSI_ISN_E10value_typeET4_T5_PSS_ST_PNS1_23onesweep_lookback_stateEbbT6_jjT7_P12ihipStream_tbENKUlT_T0_SH_SM_E_clIPiSB_SC_SC_EEDaS10_S11_SH_SM_EUlS10_E_NS1_11comp_targetILNS1_3genE5ELNS1_11target_archE942ELNS1_3gpuE9ELNS1_3repE0EEENS1_47radix_sort_onesweep_sort_config_static_selectorELNS0_4arch9wavefront6targetE0EEEvSH_.uses_flat_scratch, 0
	.set _ZN7rocprim17ROCPRIM_400000_NS6detail17trampoline_kernelINS0_14default_configENS1_35radix_sort_onesweep_config_selectorIiNS0_10empty_typeEEEZZNS1_29radix_sort_onesweep_iterationIS3_Lb0EN6thrust23THRUST_200600_302600_NS10device_ptrIiEESB_PS5_SC_jNS0_19identity_decomposerENS1_16block_id_wrapperIjLb0EEEEE10hipError_tT1_PNSt15iterator_traitsISH_E10value_typeET2_T3_PNSI_ISN_E10value_typeET4_T5_PSS_ST_PNS1_23onesweep_lookback_stateEbbT6_jjT7_P12ihipStream_tbENKUlT_T0_SH_SM_E_clIPiSB_SC_SC_EEDaS10_S11_SH_SM_EUlS10_E_NS1_11comp_targetILNS1_3genE5ELNS1_11target_archE942ELNS1_3gpuE9ELNS1_3repE0EEENS1_47radix_sort_onesweep_sort_config_static_selectorELNS0_4arch9wavefront6targetE0EEEvSH_.has_dyn_sized_stack, 0
	.set _ZN7rocprim17ROCPRIM_400000_NS6detail17trampoline_kernelINS0_14default_configENS1_35radix_sort_onesweep_config_selectorIiNS0_10empty_typeEEEZZNS1_29radix_sort_onesweep_iterationIS3_Lb0EN6thrust23THRUST_200600_302600_NS10device_ptrIiEESB_PS5_SC_jNS0_19identity_decomposerENS1_16block_id_wrapperIjLb0EEEEE10hipError_tT1_PNSt15iterator_traitsISH_E10value_typeET2_T3_PNSI_ISN_E10value_typeET4_T5_PSS_ST_PNS1_23onesweep_lookback_stateEbbT6_jjT7_P12ihipStream_tbENKUlT_T0_SH_SM_E_clIPiSB_SC_SC_EEDaS10_S11_SH_SM_EUlS10_E_NS1_11comp_targetILNS1_3genE5ELNS1_11target_archE942ELNS1_3gpuE9ELNS1_3repE0EEENS1_47radix_sort_onesweep_sort_config_static_selectorELNS0_4arch9wavefront6targetE0EEEvSH_.has_recursion, 0
	.set _ZN7rocprim17ROCPRIM_400000_NS6detail17trampoline_kernelINS0_14default_configENS1_35radix_sort_onesweep_config_selectorIiNS0_10empty_typeEEEZZNS1_29radix_sort_onesweep_iterationIS3_Lb0EN6thrust23THRUST_200600_302600_NS10device_ptrIiEESB_PS5_SC_jNS0_19identity_decomposerENS1_16block_id_wrapperIjLb0EEEEE10hipError_tT1_PNSt15iterator_traitsISH_E10value_typeET2_T3_PNSI_ISN_E10value_typeET4_T5_PSS_ST_PNS1_23onesweep_lookback_stateEbbT6_jjT7_P12ihipStream_tbENKUlT_T0_SH_SM_E_clIPiSB_SC_SC_EEDaS10_S11_SH_SM_EUlS10_E_NS1_11comp_targetILNS1_3genE5ELNS1_11target_archE942ELNS1_3gpuE9ELNS1_3repE0EEENS1_47radix_sort_onesweep_sort_config_static_selectorELNS0_4arch9wavefront6targetE0EEEvSH_.has_indirect_call, 0
	.section	.AMDGPU.csdata,"",@progbits
; Kernel info:
; codeLenInByte = 0
; TotalNumSgprs: 0
; NumVgprs: 0
; ScratchSize: 0
; MemoryBound: 0
; FloatMode: 240
; IeeeMode: 1
; LDSByteSize: 0 bytes/workgroup (compile time only)
; SGPRBlocks: 0
; VGPRBlocks: 0
; NumSGPRsForWavesPerEU: 1
; NumVGPRsForWavesPerEU: 1
; Occupancy: 16
; WaveLimiterHint : 0
; COMPUTE_PGM_RSRC2:SCRATCH_EN: 0
; COMPUTE_PGM_RSRC2:USER_SGPR: 6
; COMPUTE_PGM_RSRC2:TRAP_HANDLER: 0
; COMPUTE_PGM_RSRC2:TGID_X_EN: 1
; COMPUTE_PGM_RSRC2:TGID_Y_EN: 0
; COMPUTE_PGM_RSRC2:TGID_Z_EN: 0
; COMPUTE_PGM_RSRC2:TIDIG_COMP_CNT: 0
	.section	.text._ZN7rocprim17ROCPRIM_400000_NS6detail17trampoline_kernelINS0_14default_configENS1_35radix_sort_onesweep_config_selectorIiNS0_10empty_typeEEEZZNS1_29radix_sort_onesweep_iterationIS3_Lb0EN6thrust23THRUST_200600_302600_NS10device_ptrIiEESB_PS5_SC_jNS0_19identity_decomposerENS1_16block_id_wrapperIjLb0EEEEE10hipError_tT1_PNSt15iterator_traitsISH_E10value_typeET2_T3_PNSI_ISN_E10value_typeET4_T5_PSS_ST_PNS1_23onesweep_lookback_stateEbbT6_jjT7_P12ihipStream_tbENKUlT_T0_SH_SM_E_clIPiSB_SC_SC_EEDaS10_S11_SH_SM_EUlS10_E_NS1_11comp_targetILNS1_3genE2ELNS1_11target_archE906ELNS1_3gpuE6ELNS1_3repE0EEENS1_47radix_sort_onesweep_sort_config_static_selectorELNS0_4arch9wavefront6targetE0EEEvSH_,"axG",@progbits,_ZN7rocprim17ROCPRIM_400000_NS6detail17trampoline_kernelINS0_14default_configENS1_35radix_sort_onesweep_config_selectorIiNS0_10empty_typeEEEZZNS1_29radix_sort_onesweep_iterationIS3_Lb0EN6thrust23THRUST_200600_302600_NS10device_ptrIiEESB_PS5_SC_jNS0_19identity_decomposerENS1_16block_id_wrapperIjLb0EEEEE10hipError_tT1_PNSt15iterator_traitsISH_E10value_typeET2_T3_PNSI_ISN_E10value_typeET4_T5_PSS_ST_PNS1_23onesweep_lookback_stateEbbT6_jjT7_P12ihipStream_tbENKUlT_T0_SH_SM_E_clIPiSB_SC_SC_EEDaS10_S11_SH_SM_EUlS10_E_NS1_11comp_targetILNS1_3genE2ELNS1_11target_archE906ELNS1_3gpuE6ELNS1_3repE0EEENS1_47radix_sort_onesweep_sort_config_static_selectorELNS0_4arch9wavefront6targetE0EEEvSH_,comdat
	.protected	_ZN7rocprim17ROCPRIM_400000_NS6detail17trampoline_kernelINS0_14default_configENS1_35radix_sort_onesweep_config_selectorIiNS0_10empty_typeEEEZZNS1_29radix_sort_onesweep_iterationIS3_Lb0EN6thrust23THRUST_200600_302600_NS10device_ptrIiEESB_PS5_SC_jNS0_19identity_decomposerENS1_16block_id_wrapperIjLb0EEEEE10hipError_tT1_PNSt15iterator_traitsISH_E10value_typeET2_T3_PNSI_ISN_E10value_typeET4_T5_PSS_ST_PNS1_23onesweep_lookback_stateEbbT6_jjT7_P12ihipStream_tbENKUlT_T0_SH_SM_E_clIPiSB_SC_SC_EEDaS10_S11_SH_SM_EUlS10_E_NS1_11comp_targetILNS1_3genE2ELNS1_11target_archE906ELNS1_3gpuE6ELNS1_3repE0EEENS1_47radix_sort_onesweep_sort_config_static_selectorELNS0_4arch9wavefront6targetE0EEEvSH_ ; -- Begin function _ZN7rocprim17ROCPRIM_400000_NS6detail17trampoline_kernelINS0_14default_configENS1_35radix_sort_onesweep_config_selectorIiNS0_10empty_typeEEEZZNS1_29radix_sort_onesweep_iterationIS3_Lb0EN6thrust23THRUST_200600_302600_NS10device_ptrIiEESB_PS5_SC_jNS0_19identity_decomposerENS1_16block_id_wrapperIjLb0EEEEE10hipError_tT1_PNSt15iterator_traitsISH_E10value_typeET2_T3_PNSI_ISN_E10value_typeET4_T5_PSS_ST_PNS1_23onesweep_lookback_stateEbbT6_jjT7_P12ihipStream_tbENKUlT_T0_SH_SM_E_clIPiSB_SC_SC_EEDaS10_S11_SH_SM_EUlS10_E_NS1_11comp_targetILNS1_3genE2ELNS1_11target_archE906ELNS1_3gpuE6ELNS1_3repE0EEENS1_47radix_sort_onesweep_sort_config_static_selectorELNS0_4arch9wavefront6targetE0EEEvSH_
	.globl	_ZN7rocprim17ROCPRIM_400000_NS6detail17trampoline_kernelINS0_14default_configENS1_35radix_sort_onesweep_config_selectorIiNS0_10empty_typeEEEZZNS1_29radix_sort_onesweep_iterationIS3_Lb0EN6thrust23THRUST_200600_302600_NS10device_ptrIiEESB_PS5_SC_jNS0_19identity_decomposerENS1_16block_id_wrapperIjLb0EEEEE10hipError_tT1_PNSt15iterator_traitsISH_E10value_typeET2_T3_PNSI_ISN_E10value_typeET4_T5_PSS_ST_PNS1_23onesweep_lookback_stateEbbT6_jjT7_P12ihipStream_tbENKUlT_T0_SH_SM_E_clIPiSB_SC_SC_EEDaS10_S11_SH_SM_EUlS10_E_NS1_11comp_targetILNS1_3genE2ELNS1_11target_archE906ELNS1_3gpuE6ELNS1_3repE0EEENS1_47radix_sort_onesweep_sort_config_static_selectorELNS0_4arch9wavefront6targetE0EEEvSH_
	.p2align	8
	.type	_ZN7rocprim17ROCPRIM_400000_NS6detail17trampoline_kernelINS0_14default_configENS1_35radix_sort_onesweep_config_selectorIiNS0_10empty_typeEEEZZNS1_29radix_sort_onesweep_iterationIS3_Lb0EN6thrust23THRUST_200600_302600_NS10device_ptrIiEESB_PS5_SC_jNS0_19identity_decomposerENS1_16block_id_wrapperIjLb0EEEEE10hipError_tT1_PNSt15iterator_traitsISH_E10value_typeET2_T3_PNSI_ISN_E10value_typeET4_T5_PSS_ST_PNS1_23onesweep_lookback_stateEbbT6_jjT7_P12ihipStream_tbENKUlT_T0_SH_SM_E_clIPiSB_SC_SC_EEDaS10_S11_SH_SM_EUlS10_E_NS1_11comp_targetILNS1_3genE2ELNS1_11target_archE906ELNS1_3gpuE6ELNS1_3repE0EEENS1_47radix_sort_onesweep_sort_config_static_selectorELNS0_4arch9wavefront6targetE0EEEvSH_,@function
_ZN7rocprim17ROCPRIM_400000_NS6detail17trampoline_kernelINS0_14default_configENS1_35radix_sort_onesweep_config_selectorIiNS0_10empty_typeEEEZZNS1_29radix_sort_onesweep_iterationIS3_Lb0EN6thrust23THRUST_200600_302600_NS10device_ptrIiEESB_PS5_SC_jNS0_19identity_decomposerENS1_16block_id_wrapperIjLb0EEEEE10hipError_tT1_PNSt15iterator_traitsISH_E10value_typeET2_T3_PNSI_ISN_E10value_typeET4_T5_PSS_ST_PNS1_23onesweep_lookback_stateEbbT6_jjT7_P12ihipStream_tbENKUlT_T0_SH_SM_E_clIPiSB_SC_SC_EEDaS10_S11_SH_SM_EUlS10_E_NS1_11comp_targetILNS1_3genE2ELNS1_11target_archE906ELNS1_3gpuE6ELNS1_3repE0EEENS1_47radix_sort_onesweep_sort_config_static_selectorELNS0_4arch9wavefront6targetE0EEEvSH_: ; @_ZN7rocprim17ROCPRIM_400000_NS6detail17trampoline_kernelINS0_14default_configENS1_35radix_sort_onesweep_config_selectorIiNS0_10empty_typeEEEZZNS1_29radix_sort_onesweep_iterationIS3_Lb0EN6thrust23THRUST_200600_302600_NS10device_ptrIiEESB_PS5_SC_jNS0_19identity_decomposerENS1_16block_id_wrapperIjLb0EEEEE10hipError_tT1_PNSt15iterator_traitsISH_E10value_typeET2_T3_PNSI_ISN_E10value_typeET4_T5_PSS_ST_PNS1_23onesweep_lookback_stateEbbT6_jjT7_P12ihipStream_tbENKUlT_T0_SH_SM_E_clIPiSB_SC_SC_EEDaS10_S11_SH_SM_EUlS10_E_NS1_11comp_targetILNS1_3genE2ELNS1_11target_archE906ELNS1_3gpuE6ELNS1_3repE0EEENS1_47radix_sort_onesweep_sort_config_static_selectorELNS0_4arch9wavefront6targetE0EEEvSH_
; %bb.0:
	.section	.rodata,"a",@progbits
	.p2align	6, 0x0
	.amdhsa_kernel _ZN7rocprim17ROCPRIM_400000_NS6detail17trampoline_kernelINS0_14default_configENS1_35radix_sort_onesweep_config_selectorIiNS0_10empty_typeEEEZZNS1_29radix_sort_onesweep_iterationIS3_Lb0EN6thrust23THRUST_200600_302600_NS10device_ptrIiEESB_PS5_SC_jNS0_19identity_decomposerENS1_16block_id_wrapperIjLb0EEEEE10hipError_tT1_PNSt15iterator_traitsISH_E10value_typeET2_T3_PNSI_ISN_E10value_typeET4_T5_PSS_ST_PNS1_23onesweep_lookback_stateEbbT6_jjT7_P12ihipStream_tbENKUlT_T0_SH_SM_E_clIPiSB_SC_SC_EEDaS10_S11_SH_SM_EUlS10_E_NS1_11comp_targetILNS1_3genE2ELNS1_11target_archE906ELNS1_3gpuE6ELNS1_3repE0EEENS1_47radix_sort_onesweep_sort_config_static_selectorELNS0_4arch9wavefront6targetE0EEEvSH_
		.amdhsa_group_segment_fixed_size 0
		.amdhsa_private_segment_fixed_size 0
		.amdhsa_kernarg_size 88
		.amdhsa_user_sgpr_count 6
		.amdhsa_user_sgpr_private_segment_buffer 1
		.amdhsa_user_sgpr_dispatch_ptr 0
		.amdhsa_user_sgpr_queue_ptr 0
		.amdhsa_user_sgpr_kernarg_segment_ptr 1
		.amdhsa_user_sgpr_dispatch_id 0
		.amdhsa_user_sgpr_flat_scratch_init 0
		.amdhsa_user_sgpr_private_segment_size 0
		.amdhsa_wavefront_size32 1
		.amdhsa_uses_dynamic_stack 0
		.amdhsa_system_sgpr_private_segment_wavefront_offset 0
		.amdhsa_system_sgpr_workgroup_id_x 1
		.amdhsa_system_sgpr_workgroup_id_y 0
		.amdhsa_system_sgpr_workgroup_id_z 0
		.amdhsa_system_sgpr_workgroup_info 0
		.amdhsa_system_vgpr_workitem_id 0
		.amdhsa_next_free_vgpr 1
		.amdhsa_next_free_sgpr 1
		.amdhsa_reserve_vcc 0
		.amdhsa_reserve_flat_scratch 0
		.amdhsa_float_round_mode_32 0
		.amdhsa_float_round_mode_16_64 0
		.amdhsa_float_denorm_mode_32 3
		.amdhsa_float_denorm_mode_16_64 3
		.amdhsa_dx10_clamp 1
		.amdhsa_ieee_mode 1
		.amdhsa_fp16_overflow 0
		.amdhsa_workgroup_processor_mode 1
		.amdhsa_memory_ordered 1
		.amdhsa_forward_progress 1
		.amdhsa_shared_vgpr_count 0
		.amdhsa_exception_fp_ieee_invalid_op 0
		.amdhsa_exception_fp_denorm_src 0
		.amdhsa_exception_fp_ieee_div_zero 0
		.amdhsa_exception_fp_ieee_overflow 0
		.amdhsa_exception_fp_ieee_underflow 0
		.amdhsa_exception_fp_ieee_inexact 0
		.amdhsa_exception_int_div_zero 0
	.end_amdhsa_kernel
	.section	.text._ZN7rocprim17ROCPRIM_400000_NS6detail17trampoline_kernelINS0_14default_configENS1_35radix_sort_onesweep_config_selectorIiNS0_10empty_typeEEEZZNS1_29radix_sort_onesweep_iterationIS3_Lb0EN6thrust23THRUST_200600_302600_NS10device_ptrIiEESB_PS5_SC_jNS0_19identity_decomposerENS1_16block_id_wrapperIjLb0EEEEE10hipError_tT1_PNSt15iterator_traitsISH_E10value_typeET2_T3_PNSI_ISN_E10value_typeET4_T5_PSS_ST_PNS1_23onesweep_lookback_stateEbbT6_jjT7_P12ihipStream_tbENKUlT_T0_SH_SM_E_clIPiSB_SC_SC_EEDaS10_S11_SH_SM_EUlS10_E_NS1_11comp_targetILNS1_3genE2ELNS1_11target_archE906ELNS1_3gpuE6ELNS1_3repE0EEENS1_47radix_sort_onesweep_sort_config_static_selectorELNS0_4arch9wavefront6targetE0EEEvSH_,"axG",@progbits,_ZN7rocprim17ROCPRIM_400000_NS6detail17trampoline_kernelINS0_14default_configENS1_35radix_sort_onesweep_config_selectorIiNS0_10empty_typeEEEZZNS1_29radix_sort_onesweep_iterationIS3_Lb0EN6thrust23THRUST_200600_302600_NS10device_ptrIiEESB_PS5_SC_jNS0_19identity_decomposerENS1_16block_id_wrapperIjLb0EEEEE10hipError_tT1_PNSt15iterator_traitsISH_E10value_typeET2_T3_PNSI_ISN_E10value_typeET4_T5_PSS_ST_PNS1_23onesweep_lookback_stateEbbT6_jjT7_P12ihipStream_tbENKUlT_T0_SH_SM_E_clIPiSB_SC_SC_EEDaS10_S11_SH_SM_EUlS10_E_NS1_11comp_targetILNS1_3genE2ELNS1_11target_archE906ELNS1_3gpuE6ELNS1_3repE0EEENS1_47radix_sort_onesweep_sort_config_static_selectorELNS0_4arch9wavefront6targetE0EEEvSH_,comdat
.Lfunc_end1292:
	.size	_ZN7rocprim17ROCPRIM_400000_NS6detail17trampoline_kernelINS0_14default_configENS1_35radix_sort_onesweep_config_selectorIiNS0_10empty_typeEEEZZNS1_29radix_sort_onesweep_iterationIS3_Lb0EN6thrust23THRUST_200600_302600_NS10device_ptrIiEESB_PS5_SC_jNS0_19identity_decomposerENS1_16block_id_wrapperIjLb0EEEEE10hipError_tT1_PNSt15iterator_traitsISH_E10value_typeET2_T3_PNSI_ISN_E10value_typeET4_T5_PSS_ST_PNS1_23onesweep_lookback_stateEbbT6_jjT7_P12ihipStream_tbENKUlT_T0_SH_SM_E_clIPiSB_SC_SC_EEDaS10_S11_SH_SM_EUlS10_E_NS1_11comp_targetILNS1_3genE2ELNS1_11target_archE906ELNS1_3gpuE6ELNS1_3repE0EEENS1_47radix_sort_onesweep_sort_config_static_selectorELNS0_4arch9wavefront6targetE0EEEvSH_, .Lfunc_end1292-_ZN7rocprim17ROCPRIM_400000_NS6detail17trampoline_kernelINS0_14default_configENS1_35radix_sort_onesweep_config_selectorIiNS0_10empty_typeEEEZZNS1_29radix_sort_onesweep_iterationIS3_Lb0EN6thrust23THRUST_200600_302600_NS10device_ptrIiEESB_PS5_SC_jNS0_19identity_decomposerENS1_16block_id_wrapperIjLb0EEEEE10hipError_tT1_PNSt15iterator_traitsISH_E10value_typeET2_T3_PNSI_ISN_E10value_typeET4_T5_PSS_ST_PNS1_23onesweep_lookback_stateEbbT6_jjT7_P12ihipStream_tbENKUlT_T0_SH_SM_E_clIPiSB_SC_SC_EEDaS10_S11_SH_SM_EUlS10_E_NS1_11comp_targetILNS1_3genE2ELNS1_11target_archE906ELNS1_3gpuE6ELNS1_3repE0EEENS1_47radix_sort_onesweep_sort_config_static_selectorELNS0_4arch9wavefront6targetE0EEEvSH_
                                        ; -- End function
	.set _ZN7rocprim17ROCPRIM_400000_NS6detail17trampoline_kernelINS0_14default_configENS1_35radix_sort_onesweep_config_selectorIiNS0_10empty_typeEEEZZNS1_29radix_sort_onesweep_iterationIS3_Lb0EN6thrust23THRUST_200600_302600_NS10device_ptrIiEESB_PS5_SC_jNS0_19identity_decomposerENS1_16block_id_wrapperIjLb0EEEEE10hipError_tT1_PNSt15iterator_traitsISH_E10value_typeET2_T3_PNSI_ISN_E10value_typeET4_T5_PSS_ST_PNS1_23onesweep_lookback_stateEbbT6_jjT7_P12ihipStream_tbENKUlT_T0_SH_SM_E_clIPiSB_SC_SC_EEDaS10_S11_SH_SM_EUlS10_E_NS1_11comp_targetILNS1_3genE2ELNS1_11target_archE906ELNS1_3gpuE6ELNS1_3repE0EEENS1_47radix_sort_onesweep_sort_config_static_selectorELNS0_4arch9wavefront6targetE0EEEvSH_.num_vgpr, 0
	.set _ZN7rocprim17ROCPRIM_400000_NS6detail17trampoline_kernelINS0_14default_configENS1_35radix_sort_onesweep_config_selectorIiNS0_10empty_typeEEEZZNS1_29radix_sort_onesweep_iterationIS3_Lb0EN6thrust23THRUST_200600_302600_NS10device_ptrIiEESB_PS5_SC_jNS0_19identity_decomposerENS1_16block_id_wrapperIjLb0EEEEE10hipError_tT1_PNSt15iterator_traitsISH_E10value_typeET2_T3_PNSI_ISN_E10value_typeET4_T5_PSS_ST_PNS1_23onesweep_lookback_stateEbbT6_jjT7_P12ihipStream_tbENKUlT_T0_SH_SM_E_clIPiSB_SC_SC_EEDaS10_S11_SH_SM_EUlS10_E_NS1_11comp_targetILNS1_3genE2ELNS1_11target_archE906ELNS1_3gpuE6ELNS1_3repE0EEENS1_47radix_sort_onesweep_sort_config_static_selectorELNS0_4arch9wavefront6targetE0EEEvSH_.num_agpr, 0
	.set _ZN7rocprim17ROCPRIM_400000_NS6detail17trampoline_kernelINS0_14default_configENS1_35radix_sort_onesweep_config_selectorIiNS0_10empty_typeEEEZZNS1_29radix_sort_onesweep_iterationIS3_Lb0EN6thrust23THRUST_200600_302600_NS10device_ptrIiEESB_PS5_SC_jNS0_19identity_decomposerENS1_16block_id_wrapperIjLb0EEEEE10hipError_tT1_PNSt15iterator_traitsISH_E10value_typeET2_T3_PNSI_ISN_E10value_typeET4_T5_PSS_ST_PNS1_23onesweep_lookback_stateEbbT6_jjT7_P12ihipStream_tbENKUlT_T0_SH_SM_E_clIPiSB_SC_SC_EEDaS10_S11_SH_SM_EUlS10_E_NS1_11comp_targetILNS1_3genE2ELNS1_11target_archE906ELNS1_3gpuE6ELNS1_3repE0EEENS1_47radix_sort_onesweep_sort_config_static_selectorELNS0_4arch9wavefront6targetE0EEEvSH_.numbered_sgpr, 0
	.set _ZN7rocprim17ROCPRIM_400000_NS6detail17trampoline_kernelINS0_14default_configENS1_35radix_sort_onesweep_config_selectorIiNS0_10empty_typeEEEZZNS1_29radix_sort_onesweep_iterationIS3_Lb0EN6thrust23THRUST_200600_302600_NS10device_ptrIiEESB_PS5_SC_jNS0_19identity_decomposerENS1_16block_id_wrapperIjLb0EEEEE10hipError_tT1_PNSt15iterator_traitsISH_E10value_typeET2_T3_PNSI_ISN_E10value_typeET4_T5_PSS_ST_PNS1_23onesweep_lookback_stateEbbT6_jjT7_P12ihipStream_tbENKUlT_T0_SH_SM_E_clIPiSB_SC_SC_EEDaS10_S11_SH_SM_EUlS10_E_NS1_11comp_targetILNS1_3genE2ELNS1_11target_archE906ELNS1_3gpuE6ELNS1_3repE0EEENS1_47radix_sort_onesweep_sort_config_static_selectorELNS0_4arch9wavefront6targetE0EEEvSH_.num_named_barrier, 0
	.set _ZN7rocprim17ROCPRIM_400000_NS6detail17trampoline_kernelINS0_14default_configENS1_35radix_sort_onesweep_config_selectorIiNS0_10empty_typeEEEZZNS1_29radix_sort_onesweep_iterationIS3_Lb0EN6thrust23THRUST_200600_302600_NS10device_ptrIiEESB_PS5_SC_jNS0_19identity_decomposerENS1_16block_id_wrapperIjLb0EEEEE10hipError_tT1_PNSt15iterator_traitsISH_E10value_typeET2_T3_PNSI_ISN_E10value_typeET4_T5_PSS_ST_PNS1_23onesweep_lookback_stateEbbT6_jjT7_P12ihipStream_tbENKUlT_T0_SH_SM_E_clIPiSB_SC_SC_EEDaS10_S11_SH_SM_EUlS10_E_NS1_11comp_targetILNS1_3genE2ELNS1_11target_archE906ELNS1_3gpuE6ELNS1_3repE0EEENS1_47radix_sort_onesweep_sort_config_static_selectorELNS0_4arch9wavefront6targetE0EEEvSH_.private_seg_size, 0
	.set _ZN7rocprim17ROCPRIM_400000_NS6detail17trampoline_kernelINS0_14default_configENS1_35radix_sort_onesweep_config_selectorIiNS0_10empty_typeEEEZZNS1_29radix_sort_onesweep_iterationIS3_Lb0EN6thrust23THRUST_200600_302600_NS10device_ptrIiEESB_PS5_SC_jNS0_19identity_decomposerENS1_16block_id_wrapperIjLb0EEEEE10hipError_tT1_PNSt15iterator_traitsISH_E10value_typeET2_T3_PNSI_ISN_E10value_typeET4_T5_PSS_ST_PNS1_23onesweep_lookback_stateEbbT6_jjT7_P12ihipStream_tbENKUlT_T0_SH_SM_E_clIPiSB_SC_SC_EEDaS10_S11_SH_SM_EUlS10_E_NS1_11comp_targetILNS1_3genE2ELNS1_11target_archE906ELNS1_3gpuE6ELNS1_3repE0EEENS1_47radix_sort_onesweep_sort_config_static_selectorELNS0_4arch9wavefront6targetE0EEEvSH_.uses_vcc, 0
	.set _ZN7rocprim17ROCPRIM_400000_NS6detail17trampoline_kernelINS0_14default_configENS1_35radix_sort_onesweep_config_selectorIiNS0_10empty_typeEEEZZNS1_29radix_sort_onesweep_iterationIS3_Lb0EN6thrust23THRUST_200600_302600_NS10device_ptrIiEESB_PS5_SC_jNS0_19identity_decomposerENS1_16block_id_wrapperIjLb0EEEEE10hipError_tT1_PNSt15iterator_traitsISH_E10value_typeET2_T3_PNSI_ISN_E10value_typeET4_T5_PSS_ST_PNS1_23onesweep_lookback_stateEbbT6_jjT7_P12ihipStream_tbENKUlT_T0_SH_SM_E_clIPiSB_SC_SC_EEDaS10_S11_SH_SM_EUlS10_E_NS1_11comp_targetILNS1_3genE2ELNS1_11target_archE906ELNS1_3gpuE6ELNS1_3repE0EEENS1_47radix_sort_onesweep_sort_config_static_selectorELNS0_4arch9wavefront6targetE0EEEvSH_.uses_flat_scratch, 0
	.set _ZN7rocprim17ROCPRIM_400000_NS6detail17trampoline_kernelINS0_14default_configENS1_35radix_sort_onesweep_config_selectorIiNS0_10empty_typeEEEZZNS1_29radix_sort_onesweep_iterationIS3_Lb0EN6thrust23THRUST_200600_302600_NS10device_ptrIiEESB_PS5_SC_jNS0_19identity_decomposerENS1_16block_id_wrapperIjLb0EEEEE10hipError_tT1_PNSt15iterator_traitsISH_E10value_typeET2_T3_PNSI_ISN_E10value_typeET4_T5_PSS_ST_PNS1_23onesweep_lookback_stateEbbT6_jjT7_P12ihipStream_tbENKUlT_T0_SH_SM_E_clIPiSB_SC_SC_EEDaS10_S11_SH_SM_EUlS10_E_NS1_11comp_targetILNS1_3genE2ELNS1_11target_archE906ELNS1_3gpuE6ELNS1_3repE0EEENS1_47radix_sort_onesweep_sort_config_static_selectorELNS0_4arch9wavefront6targetE0EEEvSH_.has_dyn_sized_stack, 0
	.set _ZN7rocprim17ROCPRIM_400000_NS6detail17trampoline_kernelINS0_14default_configENS1_35radix_sort_onesweep_config_selectorIiNS0_10empty_typeEEEZZNS1_29radix_sort_onesweep_iterationIS3_Lb0EN6thrust23THRUST_200600_302600_NS10device_ptrIiEESB_PS5_SC_jNS0_19identity_decomposerENS1_16block_id_wrapperIjLb0EEEEE10hipError_tT1_PNSt15iterator_traitsISH_E10value_typeET2_T3_PNSI_ISN_E10value_typeET4_T5_PSS_ST_PNS1_23onesweep_lookback_stateEbbT6_jjT7_P12ihipStream_tbENKUlT_T0_SH_SM_E_clIPiSB_SC_SC_EEDaS10_S11_SH_SM_EUlS10_E_NS1_11comp_targetILNS1_3genE2ELNS1_11target_archE906ELNS1_3gpuE6ELNS1_3repE0EEENS1_47radix_sort_onesweep_sort_config_static_selectorELNS0_4arch9wavefront6targetE0EEEvSH_.has_recursion, 0
	.set _ZN7rocprim17ROCPRIM_400000_NS6detail17trampoline_kernelINS0_14default_configENS1_35radix_sort_onesweep_config_selectorIiNS0_10empty_typeEEEZZNS1_29radix_sort_onesweep_iterationIS3_Lb0EN6thrust23THRUST_200600_302600_NS10device_ptrIiEESB_PS5_SC_jNS0_19identity_decomposerENS1_16block_id_wrapperIjLb0EEEEE10hipError_tT1_PNSt15iterator_traitsISH_E10value_typeET2_T3_PNSI_ISN_E10value_typeET4_T5_PSS_ST_PNS1_23onesweep_lookback_stateEbbT6_jjT7_P12ihipStream_tbENKUlT_T0_SH_SM_E_clIPiSB_SC_SC_EEDaS10_S11_SH_SM_EUlS10_E_NS1_11comp_targetILNS1_3genE2ELNS1_11target_archE906ELNS1_3gpuE6ELNS1_3repE0EEENS1_47radix_sort_onesweep_sort_config_static_selectorELNS0_4arch9wavefront6targetE0EEEvSH_.has_indirect_call, 0
	.section	.AMDGPU.csdata,"",@progbits
; Kernel info:
; codeLenInByte = 0
; TotalNumSgprs: 0
; NumVgprs: 0
; ScratchSize: 0
; MemoryBound: 0
; FloatMode: 240
; IeeeMode: 1
; LDSByteSize: 0 bytes/workgroup (compile time only)
; SGPRBlocks: 0
; VGPRBlocks: 0
; NumSGPRsForWavesPerEU: 1
; NumVGPRsForWavesPerEU: 1
; Occupancy: 16
; WaveLimiterHint : 0
; COMPUTE_PGM_RSRC2:SCRATCH_EN: 0
; COMPUTE_PGM_RSRC2:USER_SGPR: 6
; COMPUTE_PGM_RSRC2:TRAP_HANDLER: 0
; COMPUTE_PGM_RSRC2:TGID_X_EN: 1
; COMPUTE_PGM_RSRC2:TGID_Y_EN: 0
; COMPUTE_PGM_RSRC2:TGID_Z_EN: 0
; COMPUTE_PGM_RSRC2:TIDIG_COMP_CNT: 0
	.section	.text._ZN7rocprim17ROCPRIM_400000_NS6detail17trampoline_kernelINS0_14default_configENS1_35radix_sort_onesweep_config_selectorIiNS0_10empty_typeEEEZZNS1_29radix_sort_onesweep_iterationIS3_Lb0EN6thrust23THRUST_200600_302600_NS10device_ptrIiEESB_PS5_SC_jNS0_19identity_decomposerENS1_16block_id_wrapperIjLb0EEEEE10hipError_tT1_PNSt15iterator_traitsISH_E10value_typeET2_T3_PNSI_ISN_E10value_typeET4_T5_PSS_ST_PNS1_23onesweep_lookback_stateEbbT6_jjT7_P12ihipStream_tbENKUlT_T0_SH_SM_E_clIPiSB_SC_SC_EEDaS10_S11_SH_SM_EUlS10_E_NS1_11comp_targetILNS1_3genE4ELNS1_11target_archE910ELNS1_3gpuE8ELNS1_3repE0EEENS1_47radix_sort_onesweep_sort_config_static_selectorELNS0_4arch9wavefront6targetE0EEEvSH_,"axG",@progbits,_ZN7rocprim17ROCPRIM_400000_NS6detail17trampoline_kernelINS0_14default_configENS1_35radix_sort_onesweep_config_selectorIiNS0_10empty_typeEEEZZNS1_29radix_sort_onesweep_iterationIS3_Lb0EN6thrust23THRUST_200600_302600_NS10device_ptrIiEESB_PS5_SC_jNS0_19identity_decomposerENS1_16block_id_wrapperIjLb0EEEEE10hipError_tT1_PNSt15iterator_traitsISH_E10value_typeET2_T3_PNSI_ISN_E10value_typeET4_T5_PSS_ST_PNS1_23onesweep_lookback_stateEbbT6_jjT7_P12ihipStream_tbENKUlT_T0_SH_SM_E_clIPiSB_SC_SC_EEDaS10_S11_SH_SM_EUlS10_E_NS1_11comp_targetILNS1_3genE4ELNS1_11target_archE910ELNS1_3gpuE8ELNS1_3repE0EEENS1_47radix_sort_onesweep_sort_config_static_selectorELNS0_4arch9wavefront6targetE0EEEvSH_,comdat
	.protected	_ZN7rocprim17ROCPRIM_400000_NS6detail17trampoline_kernelINS0_14default_configENS1_35radix_sort_onesweep_config_selectorIiNS0_10empty_typeEEEZZNS1_29radix_sort_onesweep_iterationIS3_Lb0EN6thrust23THRUST_200600_302600_NS10device_ptrIiEESB_PS5_SC_jNS0_19identity_decomposerENS1_16block_id_wrapperIjLb0EEEEE10hipError_tT1_PNSt15iterator_traitsISH_E10value_typeET2_T3_PNSI_ISN_E10value_typeET4_T5_PSS_ST_PNS1_23onesweep_lookback_stateEbbT6_jjT7_P12ihipStream_tbENKUlT_T0_SH_SM_E_clIPiSB_SC_SC_EEDaS10_S11_SH_SM_EUlS10_E_NS1_11comp_targetILNS1_3genE4ELNS1_11target_archE910ELNS1_3gpuE8ELNS1_3repE0EEENS1_47radix_sort_onesweep_sort_config_static_selectorELNS0_4arch9wavefront6targetE0EEEvSH_ ; -- Begin function _ZN7rocprim17ROCPRIM_400000_NS6detail17trampoline_kernelINS0_14default_configENS1_35radix_sort_onesweep_config_selectorIiNS0_10empty_typeEEEZZNS1_29radix_sort_onesweep_iterationIS3_Lb0EN6thrust23THRUST_200600_302600_NS10device_ptrIiEESB_PS5_SC_jNS0_19identity_decomposerENS1_16block_id_wrapperIjLb0EEEEE10hipError_tT1_PNSt15iterator_traitsISH_E10value_typeET2_T3_PNSI_ISN_E10value_typeET4_T5_PSS_ST_PNS1_23onesweep_lookback_stateEbbT6_jjT7_P12ihipStream_tbENKUlT_T0_SH_SM_E_clIPiSB_SC_SC_EEDaS10_S11_SH_SM_EUlS10_E_NS1_11comp_targetILNS1_3genE4ELNS1_11target_archE910ELNS1_3gpuE8ELNS1_3repE0EEENS1_47radix_sort_onesweep_sort_config_static_selectorELNS0_4arch9wavefront6targetE0EEEvSH_
	.globl	_ZN7rocprim17ROCPRIM_400000_NS6detail17trampoline_kernelINS0_14default_configENS1_35radix_sort_onesweep_config_selectorIiNS0_10empty_typeEEEZZNS1_29radix_sort_onesweep_iterationIS3_Lb0EN6thrust23THRUST_200600_302600_NS10device_ptrIiEESB_PS5_SC_jNS0_19identity_decomposerENS1_16block_id_wrapperIjLb0EEEEE10hipError_tT1_PNSt15iterator_traitsISH_E10value_typeET2_T3_PNSI_ISN_E10value_typeET4_T5_PSS_ST_PNS1_23onesweep_lookback_stateEbbT6_jjT7_P12ihipStream_tbENKUlT_T0_SH_SM_E_clIPiSB_SC_SC_EEDaS10_S11_SH_SM_EUlS10_E_NS1_11comp_targetILNS1_3genE4ELNS1_11target_archE910ELNS1_3gpuE8ELNS1_3repE0EEENS1_47radix_sort_onesweep_sort_config_static_selectorELNS0_4arch9wavefront6targetE0EEEvSH_
	.p2align	8
	.type	_ZN7rocprim17ROCPRIM_400000_NS6detail17trampoline_kernelINS0_14default_configENS1_35radix_sort_onesweep_config_selectorIiNS0_10empty_typeEEEZZNS1_29radix_sort_onesweep_iterationIS3_Lb0EN6thrust23THRUST_200600_302600_NS10device_ptrIiEESB_PS5_SC_jNS0_19identity_decomposerENS1_16block_id_wrapperIjLb0EEEEE10hipError_tT1_PNSt15iterator_traitsISH_E10value_typeET2_T3_PNSI_ISN_E10value_typeET4_T5_PSS_ST_PNS1_23onesweep_lookback_stateEbbT6_jjT7_P12ihipStream_tbENKUlT_T0_SH_SM_E_clIPiSB_SC_SC_EEDaS10_S11_SH_SM_EUlS10_E_NS1_11comp_targetILNS1_3genE4ELNS1_11target_archE910ELNS1_3gpuE8ELNS1_3repE0EEENS1_47radix_sort_onesweep_sort_config_static_selectorELNS0_4arch9wavefront6targetE0EEEvSH_,@function
_ZN7rocprim17ROCPRIM_400000_NS6detail17trampoline_kernelINS0_14default_configENS1_35radix_sort_onesweep_config_selectorIiNS0_10empty_typeEEEZZNS1_29radix_sort_onesweep_iterationIS3_Lb0EN6thrust23THRUST_200600_302600_NS10device_ptrIiEESB_PS5_SC_jNS0_19identity_decomposerENS1_16block_id_wrapperIjLb0EEEEE10hipError_tT1_PNSt15iterator_traitsISH_E10value_typeET2_T3_PNSI_ISN_E10value_typeET4_T5_PSS_ST_PNS1_23onesweep_lookback_stateEbbT6_jjT7_P12ihipStream_tbENKUlT_T0_SH_SM_E_clIPiSB_SC_SC_EEDaS10_S11_SH_SM_EUlS10_E_NS1_11comp_targetILNS1_3genE4ELNS1_11target_archE910ELNS1_3gpuE8ELNS1_3repE0EEENS1_47radix_sort_onesweep_sort_config_static_selectorELNS0_4arch9wavefront6targetE0EEEvSH_: ; @_ZN7rocprim17ROCPRIM_400000_NS6detail17trampoline_kernelINS0_14default_configENS1_35radix_sort_onesweep_config_selectorIiNS0_10empty_typeEEEZZNS1_29radix_sort_onesweep_iterationIS3_Lb0EN6thrust23THRUST_200600_302600_NS10device_ptrIiEESB_PS5_SC_jNS0_19identity_decomposerENS1_16block_id_wrapperIjLb0EEEEE10hipError_tT1_PNSt15iterator_traitsISH_E10value_typeET2_T3_PNSI_ISN_E10value_typeET4_T5_PSS_ST_PNS1_23onesweep_lookback_stateEbbT6_jjT7_P12ihipStream_tbENKUlT_T0_SH_SM_E_clIPiSB_SC_SC_EEDaS10_S11_SH_SM_EUlS10_E_NS1_11comp_targetILNS1_3genE4ELNS1_11target_archE910ELNS1_3gpuE8ELNS1_3repE0EEENS1_47radix_sort_onesweep_sort_config_static_selectorELNS0_4arch9wavefront6targetE0EEEvSH_
; %bb.0:
	.section	.rodata,"a",@progbits
	.p2align	6, 0x0
	.amdhsa_kernel _ZN7rocprim17ROCPRIM_400000_NS6detail17trampoline_kernelINS0_14default_configENS1_35radix_sort_onesweep_config_selectorIiNS0_10empty_typeEEEZZNS1_29radix_sort_onesweep_iterationIS3_Lb0EN6thrust23THRUST_200600_302600_NS10device_ptrIiEESB_PS5_SC_jNS0_19identity_decomposerENS1_16block_id_wrapperIjLb0EEEEE10hipError_tT1_PNSt15iterator_traitsISH_E10value_typeET2_T3_PNSI_ISN_E10value_typeET4_T5_PSS_ST_PNS1_23onesweep_lookback_stateEbbT6_jjT7_P12ihipStream_tbENKUlT_T0_SH_SM_E_clIPiSB_SC_SC_EEDaS10_S11_SH_SM_EUlS10_E_NS1_11comp_targetILNS1_3genE4ELNS1_11target_archE910ELNS1_3gpuE8ELNS1_3repE0EEENS1_47radix_sort_onesweep_sort_config_static_selectorELNS0_4arch9wavefront6targetE0EEEvSH_
		.amdhsa_group_segment_fixed_size 0
		.amdhsa_private_segment_fixed_size 0
		.amdhsa_kernarg_size 88
		.amdhsa_user_sgpr_count 6
		.amdhsa_user_sgpr_private_segment_buffer 1
		.amdhsa_user_sgpr_dispatch_ptr 0
		.amdhsa_user_sgpr_queue_ptr 0
		.amdhsa_user_sgpr_kernarg_segment_ptr 1
		.amdhsa_user_sgpr_dispatch_id 0
		.amdhsa_user_sgpr_flat_scratch_init 0
		.amdhsa_user_sgpr_private_segment_size 0
		.amdhsa_wavefront_size32 1
		.amdhsa_uses_dynamic_stack 0
		.amdhsa_system_sgpr_private_segment_wavefront_offset 0
		.amdhsa_system_sgpr_workgroup_id_x 1
		.amdhsa_system_sgpr_workgroup_id_y 0
		.amdhsa_system_sgpr_workgroup_id_z 0
		.amdhsa_system_sgpr_workgroup_info 0
		.amdhsa_system_vgpr_workitem_id 0
		.amdhsa_next_free_vgpr 1
		.amdhsa_next_free_sgpr 1
		.amdhsa_reserve_vcc 0
		.amdhsa_reserve_flat_scratch 0
		.amdhsa_float_round_mode_32 0
		.amdhsa_float_round_mode_16_64 0
		.amdhsa_float_denorm_mode_32 3
		.amdhsa_float_denorm_mode_16_64 3
		.amdhsa_dx10_clamp 1
		.amdhsa_ieee_mode 1
		.amdhsa_fp16_overflow 0
		.amdhsa_workgroup_processor_mode 1
		.amdhsa_memory_ordered 1
		.amdhsa_forward_progress 1
		.amdhsa_shared_vgpr_count 0
		.amdhsa_exception_fp_ieee_invalid_op 0
		.amdhsa_exception_fp_denorm_src 0
		.amdhsa_exception_fp_ieee_div_zero 0
		.amdhsa_exception_fp_ieee_overflow 0
		.amdhsa_exception_fp_ieee_underflow 0
		.amdhsa_exception_fp_ieee_inexact 0
		.amdhsa_exception_int_div_zero 0
	.end_amdhsa_kernel
	.section	.text._ZN7rocprim17ROCPRIM_400000_NS6detail17trampoline_kernelINS0_14default_configENS1_35radix_sort_onesweep_config_selectorIiNS0_10empty_typeEEEZZNS1_29radix_sort_onesweep_iterationIS3_Lb0EN6thrust23THRUST_200600_302600_NS10device_ptrIiEESB_PS5_SC_jNS0_19identity_decomposerENS1_16block_id_wrapperIjLb0EEEEE10hipError_tT1_PNSt15iterator_traitsISH_E10value_typeET2_T3_PNSI_ISN_E10value_typeET4_T5_PSS_ST_PNS1_23onesweep_lookback_stateEbbT6_jjT7_P12ihipStream_tbENKUlT_T0_SH_SM_E_clIPiSB_SC_SC_EEDaS10_S11_SH_SM_EUlS10_E_NS1_11comp_targetILNS1_3genE4ELNS1_11target_archE910ELNS1_3gpuE8ELNS1_3repE0EEENS1_47radix_sort_onesweep_sort_config_static_selectorELNS0_4arch9wavefront6targetE0EEEvSH_,"axG",@progbits,_ZN7rocprim17ROCPRIM_400000_NS6detail17trampoline_kernelINS0_14default_configENS1_35radix_sort_onesweep_config_selectorIiNS0_10empty_typeEEEZZNS1_29radix_sort_onesweep_iterationIS3_Lb0EN6thrust23THRUST_200600_302600_NS10device_ptrIiEESB_PS5_SC_jNS0_19identity_decomposerENS1_16block_id_wrapperIjLb0EEEEE10hipError_tT1_PNSt15iterator_traitsISH_E10value_typeET2_T3_PNSI_ISN_E10value_typeET4_T5_PSS_ST_PNS1_23onesweep_lookback_stateEbbT6_jjT7_P12ihipStream_tbENKUlT_T0_SH_SM_E_clIPiSB_SC_SC_EEDaS10_S11_SH_SM_EUlS10_E_NS1_11comp_targetILNS1_3genE4ELNS1_11target_archE910ELNS1_3gpuE8ELNS1_3repE0EEENS1_47radix_sort_onesweep_sort_config_static_selectorELNS0_4arch9wavefront6targetE0EEEvSH_,comdat
.Lfunc_end1293:
	.size	_ZN7rocprim17ROCPRIM_400000_NS6detail17trampoline_kernelINS0_14default_configENS1_35radix_sort_onesweep_config_selectorIiNS0_10empty_typeEEEZZNS1_29radix_sort_onesweep_iterationIS3_Lb0EN6thrust23THRUST_200600_302600_NS10device_ptrIiEESB_PS5_SC_jNS0_19identity_decomposerENS1_16block_id_wrapperIjLb0EEEEE10hipError_tT1_PNSt15iterator_traitsISH_E10value_typeET2_T3_PNSI_ISN_E10value_typeET4_T5_PSS_ST_PNS1_23onesweep_lookback_stateEbbT6_jjT7_P12ihipStream_tbENKUlT_T0_SH_SM_E_clIPiSB_SC_SC_EEDaS10_S11_SH_SM_EUlS10_E_NS1_11comp_targetILNS1_3genE4ELNS1_11target_archE910ELNS1_3gpuE8ELNS1_3repE0EEENS1_47radix_sort_onesweep_sort_config_static_selectorELNS0_4arch9wavefront6targetE0EEEvSH_, .Lfunc_end1293-_ZN7rocprim17ROCPRIM_400000_NS6detail17trampoline_kernelINS0_14default_configENS1_35radix_sort_onesweep_config_selectorIiNS0_10empty_typeEEEZZNS1_29radix_sort_onesweep_iterationIS3_Lb0EN6thrust23THRUST_200600_302600_NS10device_ptrIiEESB_PS5_SC_jNS0_19identity_decomposerENS1_16block_id_wrapperIjLb0EEEEE10hipError_tT1_PNSt15iterator_traitsISH_E10value_typeET2_T3_PNSI_ISN_E10value_typeET4_T5_PSS_ST_PNS1_23onesweep_lookback_stateEbbT6_jjT7_P12ihipStream_tbENKUlT_T0_SH_SM_E_clIPiSB_SC_SC_EEDaS10_S11_SH_SM_EUlS10_E_NS1_11comp_targetILNS1_3genE4ELNS1_11target_archE910ELNS1_3gpuE8ELNS1_3repE0EEENS1_47radix_sort_onesweep_sort_config_static_selectorELNS0_4arch9wavefront6targetE0EEEvSH_
                                        ; -- End function
	.set _ZN7rocprim17ROCPRIM_400000_NS6detail17trampoline_kernelINS0_14default_configENS1_35radix_sort_onesweep_config_selectorIiNS0_10empty_typeEEEZZNS1_29radix_sort_onesweep_iterationIS3_Lb0EN6thrust23THRUST_200600_302600_NS10device_ptrIiEESB_PS5_SC_jNS0_19identity_decomposerENS1_16block_id_wrapperIjLb0EEEEE10hipError_tT1_PNSt15iterator_traitsISH_E10value_typeET2_T3_PNSI_ISN_E10value_typeET4_T5_PSS_ST_PNS1_23onesweep_lookback_stateEbbT6_jjT7_P12ihipStream_tbENKUlT_T0_SH_SM_E_clIPiSB_SC_SC_EEDaS10_S11_SH_SM_EUlS10_E_NS1_11comp_targetILNS1_3genE4ELNS1_11target_archE910ELNS1_3gpuE8ELNS1_3repE0EEENS1_47radix_sort_onesweep_sort_config_static_selectorELNS0_4arch9wavefront6targetE0EEEvSH_.num_vgpr, 0
	.set _ZN7rocprim17ROCPRIM_400000_NS6detail17trampoline_kernelINS0_14default_configENS1_35radix_sort_onesweep_config_selectorIiNS0_10empty_typeEEEZZNS1_29radix_sort_onesweep_iterationIS3_Lb0EN6thrust23THRUST_200600_302600_NS10device_ptrIiEESB_PS5_SC_jNS0_19identity_decomposerENS1_16block_id_wrapperIjLb0EEEEE10hipError_tT1_PNSt15iterator_traitsISH_E10value_typeET2_T3_PNSI_ISN_E10value_typeET4_T5_PSS_ST_PNS1_23onesweep_lookback_stateEbbT6_jjT7_P12ihipStream_tbENKUlT_T0_SH_SM_E_clIPiSB_SC_SC_EEDaS10_S11_SH_SM_EUlS10_E_NS1_11comp_targetILNS1_3genE4ELNS1_11target_archE910ELNS1_3gpuE8ELNS1_3repE0EEENS1_47radix_sort_onesweep_sort_config_static_selectorELNS0_4arch9wavefront6targetE0EEEvSH_.num_agpr, 0
	.set _ZN7rocprim17ROCPRIM_400000_NS6detail17trampoline_kernelINS0_14default_configENS1_35radix_sort_onesweep_config_selectorIiNS0_10empty_typeEEEZZNS1_29radix_sort_onesweep_iterationIS3_Lb0EN6thrust23THRUST_200600_302600_NS10device_ptrIiEESB_PS5_SC_jNS0_19identity_decomposerENS1_16block_id_wrapperIjLb0EEEEE10hipError_tT1_PNSt15iterator_traitsISH_E10value_typeET2_T3_PNSI_ISN_E10value_typeET4_T5_PSS_ST_PNS1_23onesweep_lookback_stateEbbT6_jjT7_P12ihipStream_tbENKUlT_T0_SH_SM_E_clIPiSB_SC_SC_EEDaS10_S11_SH_SM_EUlS10_E_NS1_11comp_targetILNS1_3genE4ELNS1_11target_archE910ELNS1_3gpuE8ELNS1_3repE0EEENS1_47radix_sort_onesweep_sort_config_static_selectorELNS0_4arch9wavefront6targetE0EEEvSH_.numbered_sgpr, 0
	.set _ZN7rocprim17ROCPRIM_400000_NS6detail17trampoline_kernelINS0_14default_configENS1_35radix_sort_onesweep_config_selectorIiNS0_10empty_typeEEEZZNS1_29radix_sort_onesweep_iterationIS3_Lb0EN6thrust23THRUST_200600_302600_NS10device_ptrIiEESB_PS5_SC_jNS0_19identity_decomposerENS1_16block_id_wrapperIjLb0EEEEE10hipError_tT1_PNSt15iterator_traitsISH_E10value_typeET2_T3_PNSI_ISN_E10value_typeET4_T5_PSS_ST_PNS1_23onesweep_lookback_stateEbbT6_jjT7_P12ihipStream_tbENKUlT_T0_SH_SM_E_clIPiSB_SC_SC_EEDaS10_S11_SH_SM_EUlS10_E_NS1_11comp_targetILNS1_3genE4ELNS1_11target_archE910ELNS1_3gpuE8ELNS1_3repE0EEENS1_47radix_sort_onesweep_sort_config_static_selectorELNS0_4arch9wavefront6targetE0EEEvSH_.num_named_barrier, 0
	.set _ZN7rocprim17ROCPRIM_400000_NS6detail17trampoline_kernelINS0_14default_configENS1_35radix_sort_onesweep_config_selectorIiNS0_10empty_typeEEEZZNS1_29radix_sort_onesweep_iterationIS3_Lb0EN6thrust23THRUST_200600_302600_NS10device_ptrIiEESB_PS5_SC_jNS0_19identity_decomposerENS1_16block_id_wrapperIjLb0EEEEE10hipError_tT1_PNSt15iterator_traitsISH_E10value_typeET2_T3_PNSI_ISN_E10value_typeET4_T5_PSS_ST_PNS1_23onesweep_lookback_stateEbbT6_jjT7_P12ihipStream_tbENKUlT_T0_SH_SM_E_clIPiSB_SC_SC_EEDaS10_S11_SH_SM_EUlS10_E_NS1_11comp_targetILNS1_3genE4ELNS1_11target_archE910ELNS1_3gpuE8ELNS1_3repE0EEENS1_47radix_sort_onesweep_sort_config_static_selectorELNS0_4arch9wavefront6targetE0EEEvSH_.private_seg_size, 0
	.set _ZN7rocprim17ROCPRIM_400000_NS6detail17trampoline_kernelINS0_14default_configENS1_35radix_sort_onesweep_config_selectorIiNS0_10empty_typeEEEZZNS1_29radix_sort_onesweep_iterationIS3_Lb0EN6thrust23THRUST_200600_302600_NS10device_ptrIiEESB_PS5_SC_jNS0_19identity_decomposerENS1_16block_id_wrapperIjLb0EEEEE10hipError_tT1_PNSt15iterator_traitsISH_E10value_typeET2_T3_PNSI_ISN_E10value_typeET4_T5_PSS_ST_PNS1_23onesweep_lookback_stateEbbT6_jjT7_P12ihipStream_tbENKUlT_T0_SH_SM_E_clIPiSB_SC_SC_EEDaS10_S11_SH_SM_EUlS10_E_NS1_11comp_targetILNS1_3genE4ELNS1_11target_archE910ELNS1_3gpuE8ELNS1_3repE0EEENS1_47radix_sort_onesweep_sort_config_static_selectorELNS0_4arch9wavefront6targetE0EEEvSH_.uses_vcc, 0
	.set _ZN7rocprim17ROCPRIM_400000_NS6detail17trampoline_kernelINS0_14default_configENS1_35radix_sort_onesweep_config_selectorIiNS0_10empty_typeEEEZZNS1_29radix_sort_onesweep_iterationIS3_Lb0EN6thrust23THRUST_200600_302600_NS10device_ptrIiEESB_PS5_SC_jNS0_19identity_decomposerENS1_16block_id_wrapperIjLb0EEEEE10hipError_tT1_PNSt15iterator_traitsISH_E10value_typeET2_T3_PNSI_ISN_E10value_typeET4_T5_PSS_ST_PNS1_23onesweep_lookback_stateEbbT6_jjT7_P12ihipStream_tbENKUlT_T0_SH_SM_E_clIPiSB_SC_SC_EEDaS10_S11_SH_SM_EUlS10_E_NS1_11comp_targetILNS1_3genE4ELNS1_11target_archE910ELNS1_3gpuE8ELNS1_3repE0EEENS1_47radix_sort_onesweep_sort_config_static_selectorELNS0_4arch9wavefront6targetE0EEEvSH_.uses_flat_scratch, 0
	.set _ZN7rocprim17ROCPRIM_400000_NS6detail17trampoline_kernelINS0_14default_configENS1_35radix_sort_onesweep_config_selectorIiNS0_10empty_typeEEEZZNS1_29radix_sort_onesweep_iterationIS3_Lb0EN6thrust23THRUST_200600_302600_NS10device_ptrIiEESB_PS5_SC_jNS0_19identity_decomposerENS1_16block_id_wrapperIjLb0EEEEE10hipError_tT1_PNSt15iterator_traitsISH_E10value_typeET2_T3_PNSI_ISN_E10value_typeET4_T5_PSS_ST_PNS1_23onesweep_lookback_stateEbbT6_jjT7_P12ihipStream_tbENKUlT_T0_SH_SM_E_clIPiSB_SC_SC_EEDaS10_S11_SH_SM_EUlS10_E_NS1_11comp_targetILNS1_3genE4ELNS1_11target_archE910ELNS1_3gpuE8ELNS1_3repE0EEENS1_47radix_sort_onesweep_sort_config_static_selectorELNS0_4arch9wavefront6targetE0EEEvSH_.has_dyn_sized_stack, 0
	.set _ZN7rocprim17ROCPRIM_400000_NS6detail17trampoline_kernelINS0_14default_configENS1_35radix_sort_onesweep_config_selectorIiNS0_10empty_typeEEEZZNS1_29radix_sort_onesweep_iterationIS3_Lb0EN6thrust23THRUST_200600_302600_NS10device_ptrIiEESB_PS5_SC_jNS0_19identity_decomposerENS1_16block_id_wrapperIjLb0EEEEE10hipError_tT1_PNSt15iterator_traitsISH_E10value_typeET2_T3_PNSI_ISN_E10value_typeET4_T5_PSS_ST_PNS1_23onesweep_lookback_stateEbbT6_jjT7_P12ihipStream_tbENKUlT_T0_SH_SM_E_clIPiSB_SC_SC_EEDaS10_S11_SH_SM_EUlS10_E_NS1_11comp_targetILNS1_3genE4ELNS1_11target_archE910ELNS1_3gpuE8ELNS1_3repE0EEENS1_47radix_sort_onesweep_sort_config_static_selectorELNS0_4arch9wavefront6targetE0EEEvSH_.has_recursion, 0
	.set _ZN7rocprim17ROCPRIM_400000_NS6detail17trampoline_kernelINS0_14default_configENS1_35radix_sort_onesweep_config_selectorIiNS0_10empty_typeEEEZZNS1_29radix_sort_onesweep_iterationIS3_Lb0EN6thrust23THRUST_200600_302600_NS10device_ptrIiEESB_PS5_SC_jNS0_19identity_decomposerENS1_16block_id_wrapperIjLb0EEEEE10hipError_tT1_PNSt15iterator_traitsISH_E10value_typeET2_T3_PNSI_ISN_E10value_typeET4_T5_PSS_ST_PNS1_23onesweep_lookback_stateEbbT6_jjT7_P12ihipStream_tbENKUlT_T0_SH_SM_E_clIPiSB_SC_SC_EEDaS10_S11_SH_SM_EUlS10_E_NS1_11comp_targetILNS1_3genE4ELNS1_11target_archE910ELNS1_3gpuE8ELNS1_3repE0EEENS1_47radix_sort_onesweep_sort_config_static_selectorELNS0_4arch9wavefront6targetE0EEEvSH_.has_indirect_call, 0
	.section	.AMDGPU.csdata,"",@progbits
; Kernel info:
; codeLenInByte = 0
; TotalNumSgprs: 0
; NumVgprs: 0
; ScratchSize: 0
; MemoryBound: 0
; FloatMode: 240
; IeeeMode: 1
; LDSByteSize: 0 bytes/workgroup (compile time only)
; SGPRBlocks: 0
; VGPRBlocks: 0
; NumSGPRsForWavesPerEU: 1
; NumVGPRsForWavesPerEU: 1
; Occupancy: 16
; WaveLimiterHint : 0
; COMPUTE_PGM_RSRC2:SCRATCH_EN: 0
; COMPUTE_PGM_RSRC2:USER_SGPR: 6
; COMPUTE_PGM_RSRC2:TRAP_HANDLER: 0
; COMPUTE_PGM_RSRC2:TGID_X_EN: 1
; COMPUTE_PGM_RSRC2:TGID_Y_EN: 0
; COMPUTE_PGM_RSRC2:TGID_Z_EN: 0
; COMPUTE_PGM_RSRC2:TIDIG_COMP_CNT: 0
	.section	.text._ZN7rocprim17ROCPRIM_400000_NS6detail17trampoline_kernelINS0_14default_configENS1_35radix_sort_onesweep_config_selectorIiNS0_10empty_typeEEEZZNS1_29radix_sort_onesweep_iterationIS3_Lb0EN6thrust23THRUST_200600_302600_NS10device_ptrIiEESB_PS5_SC_jNS0_19identity_decomposerENS1_16block_id_wrapperIjLb0EEEEE10hipError_tT1_PNSt15iterator_traitsISH_E10value_typeET2_T3_PNSI_ISN_E10value_typeET4_T5_PSS_ST_PNS1_23onesweep_lookback_stateEbbT6_jjT7_P12ihipStream_tbENKUlT_T0_SH_SM_E_clIPiSB_SC_SC_EEDaS10_S11_SH_SM_EUlS10_E_NS1_11comp_targetILNS1_3genE3ELNS1_11target_archE908ELNS1_3gpuE7ELNS1_3repE0EEENS1_47radix_sort_onesweep_sort_config_static_selectorELNS0_4arch9wavefront6targetE0EEEvSH_,"axG",@progbits,_ZN7rocprim17ROCPRIM_400000_NS6detail17trampoline_kernelINS0_14default_configENS1_35radix_sort_onesweep_config_selectorIiNS0_10empty_typeEEEZZNS1_29radix_sort_onesweep_iterationIS3_Lb0EN6thrust23THRUST_200600_302600_NS10device_ptrIiEESB_PS5_SC_jNS0_19identity_decomposerENS1_16block_id_wrapperIjLb0EEEEE10hipError_tT1_PNSt15iterator_traitsISH_E10value_typeET2_T3_PNSI_ISN_E10value_typeET4_T5_PSS_ST_PNS1_23onesweep_lookback_stateEbbT6_jjT7_P12ihipStream_tbENKUlT_T0_SH_SM_E_clIPiSB_SC_SC_EEDaS10_S11_SH_SM_EUlS10_E_NS1_11comp_targetILNS1_3genE3ELNS1_11target_archE908ELNS1_3gpuE7ELNS1_3repE0EEENS1_47radix_sort_onesweep_sort_config_static_selectorELNS0_4arch9wavefront6targetE0EEEvSH_,comdat
	.protected	_ZN7rocprim17ROCPRIM_400000_NS6detail17trampoline_kernelINS0_14default_configENS1_35radix_sort_onesweep_config_selectorIiNS0_10empty_typeEEEZZNS1_29radix_sort_onesweep_iterationIS3_Lb0EN6thrust23THRUST_200600_302600_NS10device_ptrIiEESB_PS5_SC_jNS0_19identity_decomposerENS1_16block_id_wrapperIjLb0EEEEE10hipError_tT1_PNSt15iterator_traitsISH_E10value_typeET2_T3_PNSI_ISN_E10value_typeET4_T5_PSS_ST_PNS1_23onesweep_lookback_stateEbbT6_jjT7_P12ihipStream_tbENKUlT_T0_SH_SM_E_clIPiSB_SC_SC_EEDaS10_S11_SH_SM_EUlS10_E_NS1_11comp_targetILNS1_3genE3ELNS1_11target_archE908ELNS1_3gpuE7ELNS1_3repE0EEENS1_47radix_sort_onesweep_sort_config_static_selectorELNS0_4arch9wavefront6targetE0EEEvSH_ ; -- Begin function _ZN7rocprim17ROCPRIM_400000_NS6detail17trampoline_kernelINS0_14default_configENS1_35radix_sort_onesweep_config_selectorIiNS0_10empty_typeEEEZZNS1_29radix_sort_onesweep_iterationIS3_Lb0EN6thrust23THRUST_200600_302600_NS10device_ptrIiEESB_PS5_SC_jNS0_19identity_decomposerENS1_16block_id_wrapperIjLb0EEEEE10hipError_tT1_PNSt15iterator_traitsISH_E10value_typeET2_T3_PNSI_ISN_E10value_typeET4_T5_PSS_ST_PNS1_23onesweep_lookback_stateEbbT6_jjT7_P12ihipStream_tbENKUlT_T0_SH_SM_E_clIPiSB_SC_SC_EEDaS10_S11_SH_SM_EUlS10_E_NS1_11comp_targetILNS1_3genE3ELNS1_11target_archE908ELNS1_3gpuE7ELNS1_3repE0EEENS1_47radix_sort_onesweep_sort_config_static_selectorELNS0_4arch9wavefront6targetE0EEEvSH_
	.globl	_ZN7rocprim17ROCPRIM_400000_NS6detail17trampoline_kernelINS0_14default_configENS1_35radix_sort_onesweep_config_selectorIiNS0_10empty_typeEEEZZNS1_29radix_sort_onesweep_iterationIS3_Lb0EN6thrust23THRUST_200600_302600_NS10device_ptrIiEESB_PS5_SC_jNS0_19identity_decomposerENS1_16block_id_wrapperIjLb0EEEEE10hipError_tT1_PNSt15iterator_traitsISH_E10value_typeET2_T3_PNSI_ISN_E10value_typeET4_T5_PSS_ST_PNS1_23onesweep_lookback_stateEbbT6_jjT7_P12ihipStream_tbENKUlT_T0_SH_SM_E_clIPiSB_SC_SC_EEDaS10_S11_SH_SM_EUlS10_E_NS1_11comp_targetILNS1_3genE3ELNS1_11target_archE908ELNS1_3gpuE7ELNS1_3repE0EEENS1_47radix_sort_onesweep_sort_config_static_selectorELNS0_4arch9wavefront6targetE0EEEvSH_
	.p2align	8
	.type	_ZN7rocprim17ROCPRIM_400000_NS6detail17trampoline_kernelINS0_14default_configENS1_35radix_sort_onesweep_config_selectorIiNS0_10empty_typeEEEZZNS1_29radix_sort_onesweep_iterationIS3_Lb0EN6thrust23THRUST_200600_302600_NS10device_ptrIiEESB_PS5_SC_jNS0_19identity_decomposerENS1_16block_id_wrapperIjLb0EEEEE10hipError_tT1_PNSt15iterator_traitsISH_E10value_typeET2_T3_PNSI_ISN_E10value_typeET4_T5_PSS_ST_PNS1_23onesweep_lookback_stateEbbT6_jjT7_P12ihipStream_tbENKUlT_T0_SH_SM_E_clIPiSB_SC_SC_EEDaS10_S11_SH_SM_EUlS10_E_NS1_11comp_targetILNS1_3genE3ELNS1_11target_archE908ELNS1_3gpuE7ELNS1_3repE0EEENS1_47radix_sort_onesweep_sort_config_static_selectorELNS0_4arch9wavefront6targetE0EEEvSH_,@function
_ZN7rocprim17ROCPRIM_400000_NS6detail17trampoline_kernelINS0_14default_configENS1_35radix_sort_onesweep_config_selectorIiNS0_10empty_typeEEEZZNS1_29radix_sort_onesweep_iterationIS3_Lb0EN6thrust23THRUST_200600_302600_NS10device_ptrIiEESB_PS5_SC_jNS0_19identity_decomposerENS1_16block_id_wrapperIjLb0EEEEE10hipError_tT1_PNSt15iterator_traitsISH_E10value_typeET2_T3_PNSI_ISN_E10value_typeET4_T5_PSS_ST_PNS1_23onesweep_lookback_stateEbbT6_jjT7_P12ihipStream_tbENKUlT_T0_SH_SM_E_clIPiSB_SC_SC_EEDaS10_S11_SH_SM_EUlS10_E_NS1_11comp_targetILNS1_3genE3ELNS1_11target_archE908ELNS1_3gpuE7ELNS1_3repE0EEENS1_47radix_sort_onesweep_sort_config_static_selectorELNS0_4arch9wavefront6targetE0EEEvSH_: ; @_ZN7rocprim17ROCPRIM_400000_NS6detail17trampoline_kernelINS0_14default_configENS1_35radix_sort_onesweep_config_selectorIiNS0_10empty_typeEEEZZNS1_29radix_sort_onesweep_iterationIS3_Lb0EN6thrust23THRUST_200600_302600_NS10device_ptrIiEESB_PS5_SC_jNS0_19identity_decomposerENS1_16block_id_wrapperIjLb0EEEEE10hipError_tT1_PNSt15iterator_traitsISH_E10value_typeET2_T3_PNSI_ISN_E10value_typeET4_T5_PSS_ST_PNS1_23onesweep_lookback_stateEbbT6_jjT7_P12ihipStream_tbENKUlT_T0_SH_SM_E_clIPiSB_SC_SC_EEDaS10_S11_SH_SM_EUlS10_E_NS1_11comp_targetILNS1_3genE3ELNS1_11target_archE908ELNS1_3gpuE7ELNS1_3repE0EEENS1_47radix_sort_onesweep_sort_config_static_selectorELNS0_4arch9wavefront6targetE0EEEvSH_
; %bb.0:
	.section	.rodata,"a",@progbits
	.p2align	6, 0x0
	.amdhsa_kernel _ZN7rocprim17ROCPRIM_400000_NS6detail17trampoline_kernelINS0_14default_configENS1_35radix_sort_onesweep_config_selectorIiNS0_10empty_typeEEEZZNS1_29radix_sort_onesweep_iterationIS3_Lb0EN6thrust23THRUST_200600_302600_NS10device_ptrIiEESB_PS5_SC_jNS0_19identity_decomposerENS1_16block_id_wrapperIjLb0EEEEE10hipError_tT1_PNSt15iterator_traitsISH_E10value_typeET2_T3_PNSI_ISN_E10value_typeET4_T5_PSS_ST_PNS1_23onesweep_lookback_stateEbbT6_jjT7_P12ihipStream_tbENKUlT_T0_SH_SM_E_clIPiSB_SC_SC_EEDaS10_S11_SH_SM_EUlS10_E_NS1_11comp_targetILNS1_3genE3ELNS1_11target_archE908ELNS1_3gpuE7ELNS1_3repE0EEENS1_47radix_sort_onesweep_sort_config_static_selectorELNS0_4arch9wavefront6targetE0EEEvSH_
		.amdhsa_group_segment_fixed_size 0
		.amdhsa_private_segment_fixed_size 0
		.amdhsa_kernarg_size 88
		.amdhsa_user_sgpr_count 6
		.amdhsa_user_sgpr_private_segment_buffer 1
		.amdhsa_user_sgpr_dispatch_ptr 0
		.amdhsa_user_sgpr_queue_ptr 0
		.amdhsa_user_sgpr_kernarg_segment_ptr 1
		.amdhsa_user_sgpr_dispatch_id 0
		.amdhsa_user_sgpr_flat_scratch_init 0
		.amdhsa_user_sgpr_private_segment_size 0
		.amdhsa_wavefront_size32 1
		.amdhsa_uses_dynamic_stack 0
		.amdhsa_system_sgpr_private_segment_wavefront_offset 0
		.amdhsa_system_sgpr_workgroup_id_x 1
		.amdhsa_system_sgpr_workgroup_id_y 0
		.amdhsa_system_sgpr_workgroup_id_z 0
		.amdhsa_system_sgpr_workgroup_info 0
		.amdhsa_system_vgpr_workitem_id 0
		.amdhsa_next_free_vgpr 1
		.amdhsa_next_free_sgpr 1
		.amdhsa_reserve_vcc 0
		.amdhsa_reserve_flat_scratch 0
		.amdhsa_float_round_mode_32 0
		.amdhsa_float_round_mode_16_64 0
		.amdhsa_float_denorm_mode_32 3
		.amdhsa_float_denorm_mode_16_64 3
		.amdhsa_dx10_clamp 1
		.amdhsa_ieee_mode 1
		.amdhsa_fp16_overflow 0
		.amdhsa_workgroup_processor_mode 1
		.amdhsa_memory_ordered 1
		.amdhsa_forward_progress 1
		.amdhsa_shared_vgpr_count 0
		.amdhsa_exception_fp_ieee_invalid_op 0
		.amdhsa_exception_fp_denorm_src 0
		.amdhsa_exception_fp_ieee_div_zero 0
		.amdhsa_exception_fp_ieee_overflow 0
		.amdhsa_exception_fp_ieee_underflow 0
		.amdhsa_exception_fp_ieee_inexact 0
		.amdhsa_exception_int_div_zero 0
	.end_amdhsa_kernel
	.section	.text._ZN7rocprim17ROCPRIM_400000_NS6detail17trampoline_kernelINS0_14default_configENS1_35radix_sort_onesweep_config_selectorIiNS0_10empty_typeEEEZZNS1_29radix_sort_onesweep_iterationIS3_Lb0EN6thrust23THRUST_200600_302600_NS10device_ptrIiEESB_PS5_SC_jNS0_19identity_decomposerENS1_16block_id_wrapperIjLb0EEEEE10hipError_tT1_PNSt15iterator_traitsISH_E10value_typeET2_T3_PNSI_ISN_E10value_typeET4_T5_PSS_ST_PNS1_23onesweep_lookback_stateEbbT6_jjT7_P12ihipStream_tbENKUlT_T0_SH_SM_E_clIPiSB_SC_SC_EEDaS10_S11_SH_SM_EUlS10_E_NS1_11comp_targetILNS1_3genE3ELNS1_11target_archE908ELNS1_3gpuE7ELNS1_3repE0EEENS1_47radix_sort_onesweep_sort_config_static_selectorELNS0_4arch9wavefront6targetE0EEEvSH_,"axG",@progbits,_ZN7rocprim17ROCPRIM_400000_NS6detail17trampoline_kernelINS0_14default_configENS1_35radix_sort_onesweep_config_selectorIiNS0_10empty_typeEEEZZNS1_29radix_sort_onesweep_iterationIS3_Lb0EN6thrust23THRUST_200600_302600_NS10device_ptrIiEESB_PS5_SC_jNS0_19identity_decomposerENS1_16block_id_wrapperIjLb0EEEEE10hipError_tT1_PNSt15iterator_traitsISH_E10value_typeET2_T3_PNSI_ISN_E10value_typeET4_T5_PSS_ST_PNS1_23onesweep_lookback_stateEbbT6_jjT7_P12ihipStream_tbENKUlT_T0_SH_SM_E_clIPiSB_SC_SC_EEDaS10_S11_SH_SM_EUlS10_E_NS1_11comp_targetILNS1_3genE3ELNS1_11target_archE908ELNS1_3gpuE7ELNS1_3repE0EEENS1_47radix_sort_onesweep_sort_config_static_selectorELNS0_4arch9wavefront6targetE0EEEvSH_,comdat
.Lfunc_end1294:
	.size	_ZN7rocprim17ROCPRIM_400000_NS6detail17trampoline_kernelINS0_14default_configENS1_35radix_sort_onesweep_config_selectorIiNS0_10empty_typeEEEZZNS1_29radix_sort_onesweep_iterationIS3_Lb0EN6thrust23THRUST_200600_302600_NS10device_ptrIiEESB_PS5_SC_jNS0_19identity_decomposerENS1_16block_id_wrapperIjLb0EEEEE10hipError_tT1_PNSt15iterator_traitsISH_E10value_typeET2_T3_PNSI_ISN_E10value_typeET4_T5_PSS_ST_PNS1_23onesweep_lookback_stateEbbT6_jjT7_P12ihipStream_tbENKUlT_T0_SH_SM_E_clIPiSB_SC_SC_EEDaS10_S11_SH_SM_EUlS10_E_NS1_11comp_targetILNS1_3genE3ELNS1_11target_archE908ELNS1_3gpuE7ELNS1_3repE0EEENS1_47radix_sort_onesweep_sort_config_static_selectorELNS0_4arch9wavefront6targetE0EEEvSH_, .Lfunc_end1294-_ZN7rocprim17ROCPRIM_400000_NS6detail17trampoline_kernelINS0_14default_configENS1_35radix_sort_onesweep_config_selectorIiNS0_10empty_typeEEEZZNS1_29radix_sort_onesweep_iterationIS3_Lb0EN6thrust23THRUST_200600_302600_NS10device_ptrIiEESB_PS5_SC_jNS0_19identity_decomposerENS1_16block_id_wrapperIjLb0EEEEE10hipError_tT1_PNSt15iterator_traitsISH_E10value_typeET2_T3_PNSI_ISN_E10value_typeET4_T5_PSS_ST_PNS1_23onesweep_lookback_stateEbbT6_jjT7_P12ihipStream_tbENKUlT_T0_SH_SM_E_clIPiSB_SC_SC_EEDaS10_S11_SH_SM_EUlS10_E_NS1_11comp_targetILNS1_3genE3ELNS1_11target_archE908ELNS1_3gpuE7ELNS1_3repE0EEENS1_47radix_sort_onesweep_sort_config_static_selectorELNS0_4arch9wavefront6targetE0EEEvSH_
                                        ; -- End function
	.set _ZN7rocprim17ROCPRIM_400000_NS6detail17trampoline_kernelINS0_14default_configENS1_35radix_sort_onesweep_config_selectorIiNS0_10empty_typeEEEZZNS1_29radix_sort_onesweep_iterationIS3_Lb0EN6thrust23THRUST_200600_302600_NS10device_ptrIiEESB_PS5_SC_jNS0_19identity_decomposerENS1_16block_id_wrapperIjLb0EEEEE10hipError_tT1_PNSt15iterator_traitsISH_E10value_typeET2_T3_PNSI_ISN_E10value_typeET4_T5_PSS_ST_PNS1_23onesweep_lookback_stateEbbT6_jjT7_P12ihipStream_tbENKUlT_T0_SH_SM_E_clIPiSB_SC_SC_EEDaS10_S11_SH_SM_EUlS10_E_NS1_11comp_targetILNS1_3genE3ELNS1_11target_archE908ELNS1_3gpuE7ELNS1_3repE0EEENS1_47radix_sort_onesweep_sort_config_static_selectorELNS0_4arch9wavefront6targetE0EEEvSH_.num_vgpr, 0
	.set _ZN7rocprim17ROCPRIM_400000_NS6detail17trampoline_kernelINS0_14default_configENS1_35radix_sort_onesweep_config_selectorIiNS0_10empty_typeEEEZZNS1_29radix_sort_onesweep_iterationIS3_Lb0EN6thrust23THRUST_200600_302600_NS10device_ptrIiEESB_PS5_SC_jNS0_19identity_decomposerENS1_16block_id_wrapperIjLb0EEEEE10hipError_tT1_PNSt15iterator_traitsISH_E10value_typeET2_T3_PNSI_ISN_E10value_typeET4_T5_PSS_ST_PNS1_23onesweep_lookback_stateEbbT6_jjT7_P12ihipStream_tbENKUlT_T0_SH_SM_E_clIPiSB_SC_SC_EEDaS10_S11_SH_SM_EUlS10_E_NS1_11comp_targetILNS1_3genE3ELNS1_11target_archE908ELNS1_3gpuE7ELNS1_3repE0EEENS1_47radix_sort_onesweep_sort_config_static_selectorELNS0_4arch9wavefront6targetE0EEEvSH_.num_agpr, 0
	.set _ZN7rocprim17ROCPRIM_400000_NS6detail17trampoline_kernelINS0_14default_configENS1_35radix_sort_onesweep_config_selectorIiNS0_10empty_typeEEEZZNS1_29radix_sort_onesweep_iterationIS3_Lb0EN6thrust23THRUST_200600_302600_NS10device_ptrIiEESB_PS5_SC_jNS0_19identity_decomposerENS1_16block_id_wrapperIjLb0EEEEE10hipError_tT1_PNSt15iterator_traitsISH_E10value_typeET2_T3_PNSI_ISN_E10value_typeET4_T5_PSS_ST_PNS1_23onesweep_lookback_stateEbbT6_jjT7_P12ihipStream_tbENKUlT_T0_SH_SM_E_clIPiSB_SC_SC_EEDaS10_S11_SH_SM_EUlS10_E_NS1_11comp_targetILNS1_3genE3ELNS1_11target_archE908ELNS1_3gpuE7ELNS1_3repE0EEENS1_47radix_sort_onesweep_sort_config_static_selectorELNS0_4arch9wavefront6targetE0EEEvSH_.numbered_sgpr, 0
	.set _ZN7rocprim17ROCPRIM_400000_NS6detail17trampoline_kernelINS0_14default_configENS1_35radix_sort_onesweep_config_selectorIiNS0_10empty_typeEEEZZNS1_29radix_sort_onesweep_iterationIS3_Lb0EN6thrust23THRUST_200600_302600_NS10device_ptrIiEESB_PS5_SC_jNS0_19identity_decomposerENS1_16block_id_wrapperIjLb0EEEEE10hipError_tT1_PNSt15iterator_traitsISH_E10value_typeET2_T3_PNSI_ISN_E10value_typeET4_T5_PSS_ST_PNS1_23onesweep_lookback_stateEbbT6_jjT7_P12ihipStream_tbENKUlT_T0_SH_SM_E_clIPiSB_SC_SC_EEDaS10_S11_SH_SM_EUlS10_E_NS1_11comp_targetILNS1_3genE3ELNS1_11target_archE908ELNS1_3gpuE7ELNS1_3repE0EEENS1_47radix_sort_onesweep_sort_config_static_selectorELNS0_4arch9wavefront6targetE0EEEvSH_.num_named_barrier, 0
	.set _ZN7rocprim17ROCPRIM_400000_NS6detail17trampoline_kernelINS0_14default_configENS1_35radix_sort_onesweep_config_selectorIiNS0_10empty_typeEEEZZNS1_29radix_sort_onesweep_iterationIS3_Lb0EN6thrust23THRUST_200600_302600_NS10device_ptrIiEESB_PS5_SC_jNS0_19identity_decomposerENS1_16block_id_wrapperIjLb0EEEEE10hipError_tT1_PNSt15iterator_traitsISH_E10value_typeET2_T3_PNSI_ISN_E10value_typeET4_T5_PSS_ST_PNS1_23onesweep_lookback_stateEbbT6_jjT7_P12ihipStream_tbENKUlT_T0_SH_SM_E_clIPiSB_SC_SC_EEDaS10_S11_SH_SM_EUlS10_E_NS1_11comp_targetILNS1_3genE3ELNS1_11target_archE908ELNS1_3gpuE7ELNS1_3repE0EEENS1_47radix_sort_onesweep_sort_config_static_selectorELNS0_4arch9wavefront6targetE0EEEvSH_.private_seg_size, 0
	.set _ZN7rocprim17ROCPRIM_400000_NS6detail17trampoline_kernelINS0_14default_configENS1_35radix_sort_onesweep_config_selectorIiNS0_10empty_typeEEEZZNS1_29radix_sort_onesweep_iterationIS3_Lb0EN6thrust23THRUST_200600_302600_NS10device_ptrIiEESB_PS5_SC_jNS0_19identity_decomposerENS1_16block_id_wrapperIjLb0EEEEE10hipError_tT1_PNSt15iterator_traitsISH_E10value_typeET2_T3_PNSI_ISN_E10value_typeET4_T5_PSS_ST_PNS1_23onesweep_lookback_stateEbbT6_jjT7_P12ihipStream_tbENKUlT_T0_SH_SM_E_clIPiSB_SC_SC_EEDaS10_S11_SH_SM_EUlS10_E_NS1_11comp_targetILNS1_3genE3ELNS1_11target_archE908ELNS1_3gpuE7ELNS1_3repE0EEENS1_47radix_sort_onesweep_sort_config_static_selectorELNS0_4arch9wavefront6targetE0EEEvSH_.uses_vcc, 0
	.set _ZN7rocprim17ROCPRIM_400000_NS6detail17trampoline_kernelINS0_14default_configENS1_35radix_sort_onesweep_config_selectorIiNS0_10empty_typeEEEZZNS1_29radix_sort_onesweep_iterationIS3_Lb0EN6thrust23THRUST_200600_302600_NS10device_ptrIiEESB_PS5_SC_jNS0_19identity_decomposerENS1_16block_id_wrapperIjLb0EEEEE10hipError_tT1_PNSt15iterator_traitsISH_E10value_typeET2_T3_PNSI_ISN_E10value_typeET4_T5_PSS_ST_PNS1_23onesweep_lookback_stateEbbT6_jjT7_P12ihipStream_tbENKUlT_T0_SH_SM_E_clIPiSB_SC_SC_EEDaS10_S11_SH_SM_EUlS10_E_NS1_11comp_targetILNS1_3genE3ELNS1_11target_archE908ELNS1_3gpuE7ELNS1_3repE0EEENS1_47radix_sort_onesweep_sort_config_static_selectorELNS0_4arch9wavefront6targetE0EEEvSH_.uses_flat_scratch, 0
	.set _ZN7rocprim17ROCPRIM_400000_NS6detail17trampoline_kernelINS0_14default_configENS1_35radix_sort_onesweep_config_selectorIiNS0_10empty_typeEEEZZNS1_29radix_sort_onesweep_iterationIS3_Lb0EN6thrust23THRUST_200600_302600_NS10device_ptrIiEESB_PS5_SC_jNS0_19identity_decomposerENS1_16block_id_wrapperIjLb0EEEEE10hipError_tT1_PNSt15iterator_traitsISH_E10value_typeET2_T3_PNSI_ISN_E10value_typeET4_T5_PSS_ST_PNS1_23onesweep_lookback_stateEbbT6_jjT7_P12ihipStream_tbENKUlT_T0_SH_SM_E_clIPiSB_SC_SC_EEDaS10_S11_SH_SM_EUlS10_E_NS1_11comp_targetILNS1_3genE3ELNS1_11target_archE908ELNS1_3gpuE7ELNS1_3repE0EEENS1_47radix_sort_onesweep_sort_config_static_selectorELNS0_4arch9wavefront6targetE0EEEvSH_.has_dyn_sized_stack, 0
	.set _ZN7rocprim17ROCPRIM_400000_NS6detail17trampoline_kernelINS0_14default_configENS1_35radix_sort_onesweep_config_selectorIiNS0_10empty_typeEEEZZNS1_29radix_sort_onesweep_iterationIS3_Lb0EN6thrust23THRUST_200600_302600_NS10device_ptrIiEESB_PS5_SC_jNS0_19identity_decomposerENS1_16block_id_wrapperIjLb0EEEEE10hipError_tT1_PNSt15iterator_traitsISH_E10value_typeET2_T3_PNSI_ISN_E10value_typeET4_T5_PSS_ST_PNS1_23onesweep_lookback_stateEbbT6_jjT7_P12ihipStream_tbENKUlT_T0_SH_SM_E_clIPiSB_SC_SC_EEDaS10_S11_SH_SM_EUlS10_E_NS1_11comp_targetILNS1_3genE3ELNS1_11target_archE908ELNS1_3gpuE7ELNS1_3repE0EEENS1_47radix_sort_onesweep_sort_config_static_selectorELNS0_4arch9wavefront6targetE0EEEvSH_.has_recursion, 0
	.set _ZN7rocprim17ROCPRIM_400000_NS6detail17trampoline_kernelINS0_14default_configENS1_35radix_sort_onesweep_config_selectorIiNS0_10empty_typeEEEZZNS1_29radix_sort_onesweep_iterationIS3_Lb0EN6thrust23THRUST_200600_302600_NS10device_ptrIiEESB_PS5_SC_jNS0_19identity_decomposerENS1_16block_id_wrapperIjLb0EEEEE10hipError_tT1_PNSt15iterator_traitsISH_E10value_typeET2_T3_PNSI_ISN_E10value_typeET4_T5_PSS_ST_PNS1_23onesweep_lookback_stateEbbT6_jjT7_P12ihipStream_tbENKUlT_T0_SH_SM_E_clIPiSB_SC_SC_EEDaS10_S11_SH_SM_EUlS10_E_NS1_11comp_targetILNS1_3genE3ELNS1_11target_archE908ELNS1_3gpuE7ELNS1_3repE0EEENS1_47radix_sort_onesweep_sort_config_static_selectorELNS0_4arch9wavefront6targetE0EEEvSH_.has_indirect_call, 0
	.section	.AMDGPU.csdata,"",@progbits
; Kernel info:
; codeLenInByte = 0
; TotalNumSgprs: 0
; NumVgprs: 0
; ScratchSize: 0
; MemoryBound: 0
; FloatMode: 240
; IeeeMode: 1
; LDSByteSize: 0 bytes/workgroup (compile time only)
; SGPRBlocks: 0
; VGPRBlocks: 0
; NumSGPRsForWavesPerEU: 1
; NumVGPRsForWavesPerEU: 1
; Occupancy: 16
; WaveLimiterHint : 0
; COMPUTE_PGM_RSRC2:SCRATCH_EN: 0
; COMPUTE_PGM_RSRC2:USER_SGPR: 6
; COMPUTE_PGM_RSRC2:TRAP_HANDLER: 0
; COMPUTE_PGM_RSRC2:TGID_X_EN: 1
; COMPUTE_PGM_RSRC2:TGID_Y_EN: 0
; COMPUTE_PGM_RSRC2:TGID_Z_EN: 0
; COMPUTE_PGM_RSRC2:TIDIG_COMP_CNT: 0
	.section	.text._ZN7rocprim17ROCPRIM_400000_NS6detail17trampoline_kernelINS0_14default_configENS1_35radix_sort_onesweep_config_selectorIiNS0_10empty_typeEEEZZNS1_29radix_sort_onesweep_iterationIS3_Lb0EN6thrust23THRUST_200600_302600_NS10device_ptrIiEESB_PS5_SC_jNS0_19identity_decomposerENS1_16block_id_wrapperIjLb0EEEEE10hipError_tT1_PNSt15iterator_traitsISH_E10value_typeET2_T3_PNSI_ISN_E10value_typeET4_T5_PSS_ST_PNS1_23onesweep_lookback_stateEbbT6_jjT7_P12ihipStream_tbENKUlT_T0_SH_SM_E_clIPiSB_SC_SC_EEDaS10_S11_SH_SM_EUlS10_E_NS1_11comp_targetILNS1_3genE10ELNS1_11target_archE1201ELNS1_3gpuE5ELNS1_3repE0EEENS1_47radix_sort_onesweep_sort_config_static_selectorELNS0_4arch9wavefront6targetE0EEEvSH_,"axG",@progbits,_ZN7rocprim17ROCPRIM_400000_NS6detail17trampoline_kernelINS0_14default_configENS1_35radix_sort_onesweep_config_selectorIiNS0_10empty_typeEEEZZNS1_29radix_sort_onesweep_iterationIS3_Lb0EN6thrust23THRUST_200600_302600_NS10device_ptrIiEESB_PS5_SC_jNS0_19identity_decomposerENS1_16block_id_wrapperIjLb0EEEEE10hipError_tT1_PNSt15iterator_traitsISH_E10value_typeET2_T3_PNSI_ISN_E10value_typeET4_T5_PSS_ST_PNS1_23onesweep_lookback_stateEbbT6_jjT7_P12ihipStream_tbENKUlT_T0_SH_SM_E_clIPiSB_SC_SC_EEDaS10_S11_SH_SM_EUlS10_E_NS1_11comp_targetILNS1_3genE10ELNS1_11target_archE1201ELNS1_3gpuE5ELNS1_3repE0EEENS1_47radix_sort_onesweep_sort_config_static_selectorELNS0_4arch9wavefront6targetE0EEEvSH_,comdat
	.protected	_ZN7rocprim17ROCPRIM_400000_NS6detail17trampoline_kernelINS0_14default_configENS1_35radix_sort_onesweep_config_selectorIiNS0_10empty_typeEEEZZNS1_29radix_sort_onesweep_iterationIS3_Lb0EN6thrust23THRUST_200600_302600_NS10device_ptrIiEESB_PS5_SC_jNS0_19identity_decomposerENS1_16block_id_wrapperIjLb0EEEEE10hipError_tT1_PNSt15iterator_traitsISH_E10value_typeET2_T3_PNSI_ISN_E10value_typeET4_T5_PSS_ST_PNS1_23onesweep_lookback_stateEbbT6_jjT7_P12ihipStream_tbENKUlT_T0_SH_SM_E_clIPiSB_SC_SC_EEDaS10_S11_SH_SM_EUlS10_E_NS1_11comp_targetILNS1_3genE10ELNS1_11target_archE1201ELNS1_3gpuE5ELNS1_3repE0EEENS1_47radix_sort_onesweep_sort_config_static_selectorELNS0_4arch9wavefront6targetE0EEEvSH_ ; -- Begin function _ZN7rocprim17ROCPRIM_400000_NS6detail17trampoline_kernelINS0_14default_configENS1_35radix_sort_onesweep_config_selectorIiNS0_10empty_typeEEEZZNS1_29radix_sort_onesweep_iterationIS3_Lb0EN6thrust23THRUST_200600_302600_NS10device_ptrIiEESB_PS5_SC_jNS0_19identity_decomposerENS1_16block_id_wrapperIjLb0EEEEE10hipError_tT1_PNSt15iterator_traitsISH_E10value_typeET2_T3_PNSI_ISN_E10value_typeET4_T5_PSS_ST_PNS1_23onesweep_lookback_stateEbbT6_jjT7_P12ihipStream_tbENKUlT_T0_SH_SM_E_clIPiSB_SC_SC_EEDaS10_S11_SH_SM_EUlS10_E_NS1_11comp_targetILNS1_3genE10ELNS1_11target_archE1201ELNS1_3gpuE5ELNS1_3repE0EEENS1_47radix_sort_onesweep_sort_config_static_selectorELNS0_4arch9wavefront6targetE0EEEvSH_
	.globl	_ZN7rocprim17ROCPRIM_400000_NS6detail17trampoline_kernelINS0_14default_configENS1_35radix_sort_onesweep_config_selectorIiNS0_10empty_typeEEEZZNS1_29radix_sort_onesweep_iterationIS3_Lb0EN6thrust23THRUST_200600_302600_NS10device_ptrIiEESB_PS5_SC_jNS0_19identity_decomposerENS1_16block_id_wrapperIjLb0EEEEE10hipError_tT1_PNSt15iterator_traitsISH_E10value_typeET2_T3_PNSI_ISN_E10value_typeET4_T5_PSS_ST_PNS1_23onesweep_lookback_stateEbbT6_jjT7_P12ihipStream_tbENKUlT_T0_SH_SM_E_clIPiSB_SC_SC_EEDaS10_S11_SH_SM_EUlS10_E_NS1_11comp_targetILNS1_3genE10ELNS1_11target_archE1201ELNS1_3gpuE5ELNS1_3repE0EEENS1_47radix_sort_onesweep_sort_config_static_selectorELNS0_4arch9wavefront6targetE0EEEvSH_
	.p2align	8
	.type	_ZN7rocprim17ROCPRIM_400000_NS6detail17trampoline_kernelINS0_14default_configENS1_35radix_sort_onesweep_config_selectorIiNS0_10empty_typeEEEZZNS1_29radix_sort_onesweep_iterationIS3_Lb0EN6thrust23THRUST_200600_302600_NS10device_ptrIiEESB_PS5_SC_jNS0_19identity_decomposerENS1_16block_id_wrapperIjLb0EEEEE10hipError_tT1_PNSt15iterator_traitsISH_E10value_typeET2_T3_PNSI_ISN_E10value_typeET4_T5_PSS_ST_PNS1_23onesweep_lookback_stateEbbT6_jjT7_P12ihipStream_tbENKUlT_T0_SH_SM_E_clIPiSB_SC_SC_EEDaS10_S11_SH_SM_EUlS10_E_NS1_11comp_targetILNS1_3genE10ELNS1_11target_archE1201ELNS1_3gpuE5ELNS1_3repE0EEENS1_47radix_sort_onesweep_sort_config_static_selectorELNS0_4arch9wavefront6targetE0EEEvSH_,@function
_ZN7rocprim17ROCPRIM_400000_NS6detail17trampoline_kernelINS0_14default_configENS1_35radix_sort_onesweep_config_selectorIiNS0_10empty_typeEEEZZNS1_29radix_sort_onesweep_iterationIS3_Lb0EN6thrust23THRUST_200600_302600_NS10device_ptrIiEESB_PS5_SC_jNS0_19identity_decomposerENS1_16block_id_wrapperIjLb0EEEEE10hipError_tT1_PNSt15iterator_traitsISH_E10value_typeET2_T3_PNSI_ISN_E10value_typeET4_T5_PSS_ST_PNS1_23onesweep_lookback_stateEbbT6_jjT7_P12ihipStream_tbENKUlT_T0_SH_SM_E_clIPiSB_SC_SC_EEDaS10_S11_SH_SM_EUlS10_E_NS1_11comp_targetILNS1_3genE10ELNS1_11target_archE1201ELNS1_3gpuE5ELNS1_3repE0EEENS1_47radix_sort_onesweep_sort_config_static_selectorELNS0_4arch9wavefront6targetE0EEEvSH_: ; @_ZN7rocprim17ROCPRIM_400000_NS6detail17trampoline_kernelINS0_14default_configENS1_35radix_sort_onesweep_config_selectorIiNS0_10empty_typeEEEZZNS1_29radix_sort_onesweep_iterationIS3_Lb0EN6thrust23THRUST_200600_302600_NS10device_ptrIiEESB_PS5_SC_jNS0_19identity_decomposerENS1_16block_id_wrapperIjLb0EEEEE10hipError_tT1_PNSt15iterator_traitsISH_E10value_typeET2_T3_PNSI_ISN_E10value_typeET4_T5_PSS_ST_PNS1_23onesweep_lookback_stateEbbT6_jjT7_P12ihipStream_tbENKUlT_T0_SH_SM_E_clIPiSB_SC_SC_EEDaS10_S11_SH_SM_EUlS10_E_NS1_11comp_targetILNS1_3genE10ELNS1_11target_archE1201ELNS1_3gpuE5ELNS1_3repE0EEENS1_47radix_sort_onesweep_sort_config_static_selectorELNS0_4arch9wavefront6targetE0EEEvSH_
; %bb.0:
	.section	.rodata,"a",@progbits
	.p2align	6, 0x0
	.amdhsa_kernel _ZN7rocprim17ROCPRIM_400000_NS6detail17trampoline_kernelINS0_14default_configENS1_35radix_sort_onesweep_config_selectorIiNS0_10empty_typeEEEZZNS1_29radix_sort_onesweep_iterationIS3_Lb0EN6thrust23THRUST_200600_302600_NS10device_ptrIiEESB_PS5_SC_jNS0_19identity_decomposerENS1_16block_id_wrapperIjLb0EEEEE10hipError_tT1_PNSt15iterator_traitsISH_E10value_typeET2_T3_PNSI_ISN_E10value_typeET4_T5_PSS_ST_PNS1_23onesweep_lookback_stateEbbT6_jjT7_P12ihipStream_tbENKUlT_T0_SH_SM_E_clIPiSB_SC_SC_EEDaS10_S11_SH_SM_EUlS10_E_NS1_11comp_targetILNS1_3genE10ELNS1_11target_archE1201ELNS1_3gpuE5ELNS1_3repE0EEENS1_47radix_sort_onesweep_sort_config_static_selectorELNS0_4arch9wavefront6targetE0EEEvSH_
		.amdhsa_group_segment_fixed_size 0
		.amdhsa_private_segment_fixed_size 0
		.amdhsa_kernarg_size 88
		.amdhsa_user_sgpr_count 6
		.amdhsa_user_sgpr_private_segment_buffer 1
		.amdhsa_user_sgpr_dispatch_ptr 0
		.amdhsa_user_sgpr_queue_ptr 0
		.amdhsa_user_sgpr_kernarg_segment_ptr 1
		.amdhsa_user_sgpr_dispatch_id 0
		.amdhsa_user_sgpr_flat_scratch_init 0
		.amdhsa_user_sgpr_private_segment_size 0
		.amdhsa_wavefront_size32 1
		.amdhsa_uses_dynamic_stack 0
		.amdhsa_system_sgpr_private_segment_wavefront_offset 0
		.amdhsa_system_sgpr_workgroup_id_x 1
		.amdhsa_system_sgpr_workgroup_id_y 0
		.amdhsa_system_sgpr_workgroup_id_z 0
		.amdhsa_system_sgpr_workgroup_info 0
		.amdhsa_system_vgpr_workitem_id 0
		.amdhsa_next_free_vgpr 1
		.amdhsa_next_free_sgpr 1
		.amdhsa_reserve_vcc 0
		.amdhsa_reserve_flat_scratch 0
		.amdhsa_float_round_mode_32 0
		.amdhsa_float_round_mode_16_64 0
		.amdhsa_float_denorm_mode_32 3
		.amdhsa_float_denorm_mode_16_64 3
		.amdhsa_dx10_clamp 1
		.amdhsa_ieee_mode 1
		.amdhsa_fp16_overflow 0
		.amdhsa_workgroup_processor_mode 1
		.amdhsa_memory_ordered 1
		.amdhsa_forward_progress 1
		.amdhsa_shared_vgpr_count 0
		.amdhsa_exception_fp_ieee_invalid_op 0
		.amdhsa_exception_fp_denorm_src 0
		.amdhsa_exception_fp_ieee_div_zero 0
		.amdhsa_exception_fp_ieee_overflow 0
		.amdhsa_exception_fp_ieee_underflow 0
		.amdhsa_exception_fp_ieee_inexact 0
		.amdhsa_exception_int_div_zero 0
	.end_amdhsa_kernel
	.section	.text._ZN7rocprim17ROCPRIM_400000_NS6detail17trampoline_kernelINS0_14default_configENS1_35radix_sort_onesweep_config_selectorIiNS0_10empty_typeEEEZZNS1_29radix_sort_onesweep_iterationIS3_Lb0EN6thrust23THRUST_200600_302600_NS10device_ptrIiEESB_PS5_SC_jNS0_19identity_decomposerENS1_16block_id_wrapperIjLb0EEEEE10hipError_tT1_PNSt15iterator_traitsISH_E10value_typeET2_T3_PNSI_ISN_E10value_typeET4_T5_PSS_ST_PNS1_23onesweep_lookback_stateEbbT6_jjT7_P12ihipStream_tbENKUlT_T0_SH_SM_E_clIPiSB_SC_SC_EEDaS10_S11_SH_SM_EUlS10_E_NS1_11comp_targetILNS1_3genE10ELNS1_11target_archE1201ELNS1_3gpuE5ELNS1_3repE0EEENS1_47radix_sort_onesweep_sort_config_static_selectorELNS0_4arch9wavefront6targetE0EEEvSH_,"axG",@progbits,_ZN7rocprim17ROCPRIM_400000_NS6detail17trampoline_kernelINS0_14default_configENS1_35radix_sort_onesweep_config_selectorIiNS0_10empty_typeEEEZZNS1_29radix_sort_onesweep_iterationIS3_Lb0EN6thrust23THRUST_200600_302600_NS10device_ptrIiEESB_PS5_SC_jNS0_19identity_decomposerENS1_16block_id_wrapperIjLb0EEEEE10hipError_tT1_PNSt15iterator_traitsISH_E10value_typeET2_T3_PNSI_ISN_E10value_typeET4_T5_PSS_ST_PNS1_23onesweep_lookback_stateEbbT6_jjT7_P12ihipStream_tbENKUlT_T0_SH_SM_E_clIPiSB_SC_SC_EEDaS10_S11_SH_SM_EUlS10_E_NS1_11comp_targetILNS1_3genE10ELNS1_11target_archE1201ELNS1_3gpuE5ELNS1_3repE0EEENS1_47radix_sort_onesweep_sort_config_static_selectorELNS0_4arch9wavefront6targetE0EEEvSH_,comdat
.Lfunc_end1295:
	.size	_ZN7rocprim17ROCPRIM_400000_NS6detail17trampoline_kernelINS0_14default_configENS1_35radix_sort_onesweep_config_selectorIiNS0_10empty_typeEEEZZNS1_29radix_sort_onesweep_iterationIS3_Lb0EN6thrust23THRUST_200600_302600_NS10device_ptrIiEESB_PS5_SC_jNS0_19identity_decomposerENS1_16block_id_wrapperIjLb0EEEEE10hipError_tT1_PNSt15iterator_traitsISH_E10value_typeET2_T3_PNSI_ISN_E10value_typeET4_T5_PSS_ST_PNS1_23onesweep_lookback_stateEbbT6_jjT7_P12ihipStream_tbENKUlT_T0_SH_SM_E_clIPiSB_SC_SC_EEDaS10_S11_SH_SM_EUlS10_E_NS1_11comp_targetILNS1_3genE10ELNS1_11target_archE1201ELNS1_3gpuE5ELNS1_3repE0EEENS1_47radix_sort_onesweep_sort_config_static_selectorELNS0_4arch9wavefront6targetE0EEEvSH_, .Lfunc_end1295-_ZN7rocprim17ROCPRIM_400000_NS6detail17trampoline_kernelINS0_14default_configENS1_35radix_sort_onesweep_config_selectorIiNS0_10empty_typeEEEZZNS1_29radix_sort_onesweep_iterationIS3_Lb0EN6thrust23THRUST_200600_302600_NS10device_ptrIiEESB_PS5_SC_jNS0_19identity_decomposerENS1_16block_id_wrapperIjLb0EEEEE10hipError_tT1_PNSt15iterator_traitsISH_E10value_typeET2_T3_PNSI_ISN_E10value_typeET4_T5_PSS_ST_PNS1_23onesweep_lookback_stateEbbT6_jjT7_P12ihipStream_tbENKUlT_T0_SH_SM_E_clIPiSB_SC_SC_EEDaS10_S11_SH_SM_EUlS10_E_NS1_11comp_targetILNS1_3genE10ELNS1_11target_archE1201ELNS1_3gpuE5ELNS1_3repE0EEENS1_47radix_sort_onesweep_sort_config_static_selectorELNS0_4arch9wavefront6targetE0EEEvSH_
                                        ; -- End function
	.set _ZN7rocprim17ROCPRIM_400000_NS6detail17trampoline_kernelINS0_14default_configENS1_35radix_sort_onesweep_config_selectorIiNS0_10empty_typeEEEZZNS1_29radix_sort_onesweep_iterationIS3_Lb0EN6thrust23THRUST_200600_302600_NS10device_ptrIiEESB_PS5_SC_jNS0_19identity_decomposerENS1_16block_id_wrapperIjLb0EEEEE10hipError_tT1_PNSt15iterator_traitsISH_E10value_typeET2_T3_PNSI_ISN_E10value_typeET4_T5_PSS_ST_PNS1_23onesweep_lookback_stateEbbT6_jjT7_P12ihipStream_tbENKUlT_T0_SH_SM_E_clIPiSB_SC_SC_EEDaS10_S11_SH_SM_EUlS10_E_NS1_11comp_targetILNS1_3genE10ELNS1_11target_archE1201ELNS1_3gpuE5ELNS1_3repE0EEENS1_47radix_sort_onesweep_sort_config_static_selectorELNS0_4arch9wavefront6targetE0EEEvSH_.num_vgpr, 0
	.set _ZN7rocprim17ROCPRIM_400000_NS6detail17trampoline_kernelINS0_14default_configENS1_35radix_sort_onesweep_config_selectorIiNS0_10empty_typeEEEZZNS1_29radix_sort_onesweep_iterationIS3_Lb0EN6thrust23THRUST_200600_302600_NS10device_ptrIiEESB_PS5_SC_jNS0_19identity_decomposerENS1_16block_id_wrapperIjLb0EEEEE10hipError_tT1_PNSt15iterator_traitsISH_E10value_typeET2_T3_PNSI_ISN_E10value_typeET4_T5_PSS_ST_PNS1_23onesweep_lookback_stateEbbT6_jjT7_P12ihipStream_tbENKUlT_T0_SH_SM_E_clIPiSB_SC_SC_EEDaS10_S11_SH_SM_EUlS10_E_NS1_11comp_targetILNS1_3genE10ELNS1_11target_archE1201ELNS1_3gpuE5ELNS1_3repE0EEENS1_47radix_sort_onesweep_sort_config_static_selectorELNS0_4arch9wavefront6targetE0EEEvSH_.num_agpr, 0
	.set _ZN7rocprim17ROCPRIM_400000_NS6detail17trampoline_kernelINS0_14default_configENS1_35radix_sort_onesweep_config_selectorIiNS0_10empty_typeEEEZZNS1_29radix_sort_onesweep_iterationIS3_Lb0EN6thrust23THRUST_200600_302600_NS10device_ptrIiEESB_PS5_SC_jNS0_19identity_decomposerENS1_16block_id_wrapperIjLb0EEEEE10hipError_tT1_PNSt15iterator_traitsISH_E10value_typeET2_T3_PNSI_ISN_E10value_typeET4_T5_PSS_ST_PNS1_23onesweep_lookback_stateEbbT6_jjT7_P12ihipStream_tbENKUlT_T0_SH_SM_E_clIPiSB_SC_SC_EEDaS10_S11_SH_SM_EUlS10_E_NS1_11comp_targetILNS1_3genE10ELNS1_11target_archE1201ELNS1_3gpuE5ELNS1_3repE0EEENS1_47radix_sort_onesweep_sort_config_static_selectorELNS0_4arch9wavefront6targetE0EEEvSH_.numbered_sgpr, 0
	.set _ZN7rocprim17ROCPRIM_400000_NS6detail17trampoline_kernelINS0_14default_configENS1_35radix_sort_onesweep_config_selectorIiNS0_10empty_typeEEEZZNS1_29radix_sort_onesweep_iterationIS3_Lb0EN6thrust23THRUST_200600_302600_NS10device_ptrIiEESB_PS5_SC_jNS0_19identity_decomposerENS1_16block_id_wrapperIjLb0EEEEE10hipError_tT1_PNSt15iterator_traitsISH_E10value_typeET2_T3_PNSI_ISN_E10value_typeET4_T5_PSS_ST_PNS1_23onesweep_lookback_stateEbbT6_jjT7_P12ihipStream_tbENKUlT_T0_SH_SM_E_clIPiSB_SC_SC_EEDaS10_S11_SH_SM_EUlS10_E_NS1_11comp_targetILNS1_3genE10ELNS1_11target_archE1201ELNS1_3gpuE5ELNS1_3repE0EEENS1_47radix_sort_onesweep_sort_config_static_selectorELNS0_4arch9wavefront6targetE0EEEvSH_.num_named_barrier, 0
	.set _ZN7rocprim17ROCPRIM_400000_NS6detail17trampoline_kernelINS0_14default_configENS1_35radix_sort_onesweep_config_selectorIiNS0_10empty_typeEEEZZNS1_29radix_sort_onesweep_iterationIS3_Lb0EN6thrust23THRUST_200600_302600_NS10device_ptrIiEESB_PS5_SC_jNS0_19identity_decomposerENS1_16block_id_wrapperIjLb0EEEEE10hipError_tT1_PNSt15iterator_traitsISH_E10value_typeET2_T3_PNSI_ISN_E10value_typeET4_T5_PSS_ST_PNS1_23onesweep_lookback_stateEbbT6_jjT7_P12ihipStream_tbENKUlT_T0_SH_SM_E_clIPiSB_SC_SC_EEDaS10_S11_SH_SM_EUlS10_E_NS1_11comp_targetILNS1_3genE10ELNS1_11target_archE1201ELNS1_3gpuE5ELNS1_3repE0EEENS1_47radix_sort_onesweep_sort_config_static_selectorELNS0_4arch9wavefront6targetE0EEEvSH_.private_seg_size, 0
	.set _ZN7rocprim17ROCPRIM_400000_NS6detail17trampoline_kernelINS0_14default_configENS1_35radix_sort_onesweep_config_selectorIiNS0_10empty_typeEEEZZNS1_29radix_sort_onesweep_iterationIS3_Lb0EN6thrust23THRUST_200600_302600_NS10device_ptrIiEESB_PS5_SC_jNS0_19identity_decomposerENS1_16block_id_wrapperIjLb0EEEEE10hipError_tT1_PNSt15iterator_traitsISH_E10value_typeET2_T3_PNSI_ISN_E10value_typeET4_T5_PSS_ST_PNS1_23onesweep_lookback_stateEbbT6_jjT7_P12ihipStream_tbENKUlT_T0_SH_SM_E_clIPiSB_SC_SC_EEDaS10_S11_SH_SM_EUlS10_E_NS1_11comp_targetILNS1_3genE10ELNS1_11target_archE1201ELNS1_3gpuE5ELNS1_3repE0EEENS1_47radix_sort_onesweep_sort_config_static_selectorELNS0_4arch9wavefront6targetE0EEEvSH_.uses_vcc, 0
	.set _ZN7rocprim17ROCPRIM_400000_NS6detail17trampoline_kernelINS0_14default_configENS1_35radix_sort_onesweep_config_selectorIiNS0_10empty_typeEEEZZNS1_29radix_sort_onesweep_iterationIS3_Lb0EN6thrust23THRUST_200600_302600_NS10device_ptrIiEESB_PS5_SC_jNS0_19identity_decomposerENS1_16block_id_wrapperIjLb0EEEEE10hipError_tT1_PNSt15iterator_traitsISH_E10value_typeET2_T3_PNSI_ISN_E10value_typeET4_T5_PSS_ST_PNS1_23onesweep_lookback_stateEbbT6_jjT7_P12ihipStream_tbENKUlT_T0_SH_SM_E_clIPiSB_SC_SC_EEDaS10_S11_SH_SM_EUlS10_E_NS1_11comp_targetILNS1_3genE10ELNS1_11target_archE1201ELNS1_3gpuE5ELNS1_3repE0EEENS1_47radix_sort_onesweep_sort_config_static_selectorELNS0_4arch9wavefront6targetE0EEEvSH_.uses_flat_scratch, 0
	.set _ZN7rocprim17ROCPRIM_400000_NS6detail17trampoline_kernelINS0_14default_configENS1_35radix_sort_onesweep_config_selectorIiNS0_10empty_typeEEEZZNS1_29radix_sort_onesweep_iterationIS3_Lb0EN6thrust23THRUST_200600_302600_NS10device_ptrIiEESB_PS5_SC_jNS0_19identity_decomposerENS1_16block_id_wrapperIjLb0EEEEE10hipError_tT1_PNSt15iterator_traitsISH_E10value_typeET2_T3_PNSI_ISN_E10value_typeET4_T5_PSS_ST_PNS1_23onesweep_lookback_stateEbbT6_jjT7_P12ihipStream_tbENKUlT_T0_SH_SM_E_clIPiSB_SC_SC_EEDaS10_S11_SH_SM_EUlS10_E_NS1_11comp_targetILNS1_3genE10ELNS1_11target_archE1201ELNS1_3gpuE5ELNS1_3repE0EEENS1_47radix_sort_onesweep_sort_config_static_selectorELNS0_4arch9wavefront6targetE0EEEvSH_.has_dyn_sized_stack, 0
	.set _ZN7rocprim17ROCPRIM_400000_NS6detail17trampoline_kernelINS0_14default_configENS1_35radix_sort_onesweep_config_selectorIiNS0_10empty_typeEEEZZNS1_29radix_sort_onesweep_iterationIS3_Lb0EN6thrust23THRUST_200600_302600_NS10device_ptrIiEESB_PS5_SC_jNS0_19identity_decomposerENS1_16block_id_wrapperIjLb0EEEEE10hipError_tT1_PNSt15iterator_traitsISH_E10value_typeET2_T3_PNSI_ISN_E10value_typeET4_T5_PSS_ST_PNS1_23onesweep_lookback_stateEbbT6_jjT7_P12ihipStream_tbENKUlT_T0_SH_SM_E_clIPiSB_SC_SC_EEDaS10_S11_SH_SM_EUlS10_E_NS1_11comp_targetILNS1_3genE10ELNS1_11target_archE1201ELNS1_3gpuE5ELNS1_3repE0EEENS1_47radix_sort_onesweep_sort_config_static_selectorELNS0_4arch9wavefront6targetE0EEEvSH_.has_recursion, 0
	.set _ZN7rocprim17ROCPRIM_400000_NS6detail17trampoline_kernelINS0_14default_configENS1_35radix_sort_onesweep_config_selectorIiNS0_10empty_typeEEEZZNS1_29radix_sort_onesweep_iterationIS3_Lb0EN6thrust23THRUST_200600_302600_NS10device_ptrIiEESB_PS5_SC_jNS0_19identity_decomposerENS1_16block_id_wrapperIjLb0EEEEE10hipError_tT1_PNSt15iterator_traitsISH_E10value_typeET2_T3_PNSI_ISN_E10value_typeET4_T5_PSS_ST_PNS1_23onesweep_lookback_stateEbbT6_jjT7_P12ihipStream_tbENKUlT_T0_SH_SM_E_clIPiSB_SC_SC_EEDaS10_S11_SH_SM_EUlS10_E_NS1_11comp_targetILNS1_3genE10ELNS1_11target_archE1201ELNS1_3gpuE5ELNS1_3repE0EEENS1_47radix_sort_onesweep_sort_config_static_selectorELNS0_4arch9wavefront6targetE0EEEvSH_.has_indirect_call, 0
	.section	.AMDGPU.csdata,"",@progbits
; Kernel info:
; codeLenInByte = 0
; TotalNumSgprs: 0
; NumVgprs: 0
; ScratchSize: 0
; MemoryBound: 0
; FloatMode: 240
; IeeeMode: 1
; LDSByteSize: 0 bytes/workgroup (compile time only)
; SGPRBlocks: 0
; VGPRBlocks: 0
; NumSGPRsForWavesPerEU: 1
; NumVGPRsForWavesPerEU: 1
; Occupancy: 16
; WaveLimiterHint : 0
; COMPUTE_PGM_RSRC2:SCRATCH_EN: 0
; COMPUTE_PGM_RSRC2:USER_SGPR: 6
; COMPUTE_PGM_RSRC2:TRAP_HANDLER: 0
; COMPUTE_PGM_RSRC2:TGID_X_EN: 1
; COMPUTE_PGM_RSRC2:TGID_Y_EN: 0
; COMPUTE_PGM_RSRC2:TGID_Z_EN: 0
; COMPUTE_PGM_RSRC2:TIDIG_COMP_CNT: 0
	.section	.text._ZN7rocprim17ROCPRIM_400000_NS6detail17trampoline_kernelINS0_14default_configENS1_35radix_sort_onesweep_config_selectorIiNS0_10empty_typeEEEZZNS1_29radix_sort_onesweep_iterationIS3_Lb0EN6thrust23THRUST_200600_302600_NS10device_ptrIiEESB_PS5_SC_jNS0_19identity_decomposerENS1_16block_id_wrapperIjLb0EEEEE10hipError_tT1_PNSt15iterator_traitsISH_E10value_typeET2_T3_PNSI_ISN_E10value_typeET4_T5_PSS_ST_PNS1_23onesweep_lookback_stateEbbT6_jjT7_P12ihipStream_tbENKUlT_T0_SH_SM_E_clIPiSB_SC_SC_EEDaS10_S11_SH_SM_EUlS10_E_NS1_11comp_targetILNS1_3genE9ELNS1_11target_archE1100ELNS1_3gpuE3ELNS1_3repE0EEENS1_47radix_sort_onesweep_sort_config_static_selectorELNS0_4arch9wavefront6targetE0EEEvSH_,"axG",@progbits,_ZN7rocprim17ROCPRIM_400000_NS6detail17trampoline_kernelINS0_14default_configENS1_35radix_sort_onesweep_config_selectorIiNS0_10empty_typeEEEZZNS1_29radix_sort_onesweep_iterationIS3_Lb0EN6thrust23THRUST_200600_302600_NS10device_ptrIiEESB_PS5_SC_jNS0_19identity_decomposerENS1_16block_id_wrapperIjLb0EEEEE10hipError_tT1_PNSt15iterator_traitsISH_E10value_typeET2_T3_PNSI_ISN_E10value_typeET4_T5_PSS_ST_PNS1_23onesweep_lookback_stateEbbT6_jjT7_P12ihipStream_tbENKUlT_T0_SH_SM_E_clIPiSB_SC_SC_EEDaS10_S11_SH_SM_EUlS10_E_NS1_11comp_targetILNS1_3genE9ELNS1_11target_archE1100ELNS1_3gpuE3ELNS1_3repE0EEENS1_47radix_sort_onesweep_sort_config_static_selectorELNS0_4arch9wavefront6targetE0EEEvSH_,comdat
	.protected	_ZN7rocprim17ROCPRIM_400000_NS6detail17trampoline_kernelINS0_14default_configENS1_35radix_sort_onesweep_config_selectorIiNS0_10empty_typeEEEZZNS1_29radix_sort_onesweep_iterationIS3_Lb0EN6thrust23THRUST_200600_302600_NS10device_ptrIiEESB_PS5_SC_jNS0_19identity_decomposerENS1_16block_id_wrapperIjLb0EEEEE10hipError_tT1_PNSt15iterator_traitsISH_E10value_typeET2_T3_PNSI_ISN_E10value_typeET4_T5_PSS_ST_PNS1_23onesweep_lookback_stateEbbT6_jjT7_P12ihipStream_tbENKUlT_T0_SH_SM_E_clIPiSB_SC_SC_EEDaS10_S11_SH_SM_EUlS10_E_NS1_11comp_targetILNS1_3genE9ELNS1_11target_archE1100ELNS1_3gpuE3ELNS1_3repE0EEENS1_47radix_sort_onesweep_sort_config_static_selectorELNS0_4arch9wavefront6targetE0EEEvSH_ ; -- Begin function _ZN7rocprim17ROCPRIM_400000_NS6detail17trampoline_kernelINS0_14default_configENS1_35radix_sort_onesweep_config_selectorIiNS0_10empty_typeEEEZZNS1_29radix_sort_onesweep_iterationIS3_Lb0EN6thrust23THRUST_200600_302600_NS10device_ptrIiEESB_PS5_SC_jNS0_19identity_decomposerENS1_16block_id_wrapperIjLb0EEEEE10hipError_tT1_PNSt15iterator_traitsISH_E10value_typeET2_T3_PNSI_ISN_E10value_typeET4_T5_PSS_ST_PNS1_23onesweep_lookback_stateEbbT6_jjT7_P12ihipStream_tbENKUlT_T0_SH_SM_E_clIPiSB_SC_SC_EEDaS10_S11_SH_SM_EUlS10_E_NS1_11comp_targetILNS1_3genE9ELNS1_11target_archE1100ELNS1_3gpuE3ELNS1_3repE0EEENS1_47radix_sort_onesweep_sort_config_static_selectorELNS0_4arch9wavefront6targetE0EEEvSH_
	.globl	_ZN7rocprim17ROCPRIM_400000_NS6detail17trampoline_kernelINS0_14default_configENS1_35radix_sort_onesweep_config_selectorIiNS0_10empty_typeEEEZZNS1_29radix_sort_onesweep_iterationIS3_Lb0EN6thrust23THRUST_200600_302600_NS10device_ptrIiEESB_PS5_SC_jNS0_19identity_decomposerENS1_16block_id_wrapperIjLb0EEEEE10hipError_tT1_PNSt15iterator_traitsISH_E10value_typeET2_T3_PNSI_ISN_E10value_typeET4_T5_PSS_ST_PNS1_23onesweep_lookback_stateEbbT6_jjT7_P12ihipStream_tbENKUlT_T0_SH_SM_E_clIPiSB_SC_SC_EEDaS10_S11_SH_SM_EUlS10_E_NS1_11comp_targetILNS1_3genE9ELNS1_11target_archE1100ELNS1_3gpuE3ELNS1_3repE0EEENS1_47radix_sort_onesweep_sort_config_static_selectorELNS0_4arch9wavefront6targetE0EEEvSH_
	.p2align	8
	.type	_ZN7rocprim17ROCPRIM_400000_NS6detail17trampoline_kernelINS0_14default_configENS1_35radix_sort_onesweep_config_selectorIiNS0_10empty_typeEEEZZNS1_29radix_sort_onesweep_iterationIS3_Lb0EN6thrust23THRUST_200600_302600_NS10device_ptrIiEESB_PS5_SC_jNS0_19identity_decomposerENS1_16block_id_wrapperIjLb0EEEEE10hipError_tT1_PNSt15iterator_traitsISH_E10value_typeET2_T3_PNSI_ISN_E10value_typeET4_T5_PSS_ST_PNS1_23onesweep_lookback_stateEbbT6_jjT7_P12ihipStream_tbENKUlT_T0_SH_SM_E_clIPiSB_SC_SC_EEDaS10_S11_SH_SM_EUlS10_E_NS1_11comp_targetILNS1_3genE9ELNS1_11target_archE1100ELNS1_3gpuE3ELNS1_3repE0EEENS1_47radix_sort_onesweep_sort_config_static_selectorELNS0_4arch9wavefront6targetE0EEEvSH_,@function
_ZN7rocprim17ROCPRIM_400000_NS6detail17trampoline_kernelINS0_14default_configENS1_35radix_sort_onesweep_config_selectorIiNS0_10empty_typeEEEZZNS1_29radix_sort_onesweep_iterationIS3_Lb0EN6thrust23THRUST_200600_302600_NS10device_ptrIiEESB_PS5_SC_jNS0_19identity_decomposerENS1_16block_id_wrapperIjLb0EEEEE10hipError_tT1_PNSt15iterator_traitsISH_E10value_typeET2_T3_PNSI_ISN_E10value_typeET4_T5_PSS_ST_PNS1_23onesweep_lookback_stateEbbT6_jjT7_P12ihipStream_tbENKUlT_T0_SH_SM_E_clIPiSB_SC_SC_EEDaS10_S11_SH_SM_EUlS10_E_NS1_11comp_targetILNS1_3genE9ELNS1_11target_archE1100ELNS1_3gpuE3ELNS1_3repE0EEENS1_47radix_sort_onesweep_sort_config_static_selectorELNS0_4arch9wavefront6targetE0EEEvSH_: ; @_ZN7rocprim17ROCPRIM_400000_NS6detail17trampoline_kernelINS0_14default_configENS1_35radix_sort_onesweep_config_selectorIiNS0_10empty_typeEEEZZNS1_29radix_sort_onesweep_iterationIS3_Lb0EN6thrust23THRUST_200600_302600_NS10device_ptrIiEESB_PS5_SC_jNS0_19identity_decomposerENS1_16block_id_wrapperIjLb0EEEEE10hipError_tT1_PNSt15iterator_traitsISH_E10value_typeET2_T3_PNSI_ISN_E10value_typeET4_T5_PSS_ST_PNS1_23onesweep_lookback_stateEbbT6_jjT7_P12ihipStream_tbENKUlT_T0_SH_SM_E_clIPiSB_SC_SC_EEDaS10_S11_SH_SM_EUlS10_E_NS1_11comp_targetILNS1_3genE9ELNS1_11target_archE1100ELNS1_3gpuE3ELNS1_3repE0EEENS1_47radix_sort_onesweep_sort_config_static_selectorELNS0_4arch9wavefront6targetE0EEEvSH_
; %bb.0:
	.section	.rodata,"a",@progbits
	.p2align	6, 0x0
	.amdhsa_kernel _ZN7rocprim17ROCPRIM_400000_NS6detail17trampoline_kernelINS0_14default_configENS1_35radix_sort_onesweep_config_selectorIiNS0_10empty_typeEEEZZNS1_29radix_sort_onesweep_iterationIS3_Lb0EN6thrust23THRUST_200600_302600_NS10device_ptrIiEESB_PS5_SC_jNS0_19identity_decomposerENS1_16block_id_wrapperIjLb0EEEEE10hipError_tT1_PNSt15iterator_traitsISH_E10value_typeET2_T3_PNSI_ISN_E10value_typeET4_T5_PSS_ST_PNS1_23onesweep_lookback_stateEbbT6_jjT7_P12ihipStream_tbENKUlT_T0_SH_SM_E_clIPiSB_SC_SC_EEDaS10_S11_SH_SM_EUlS10_E_NS1_11comp_targetILNS1_3genE9ELNS1_11target_archE1100ELNS1_3gpuE3ELNS1_3repE0EEENS1_47radix_sort_onesweep_sort_config_static_selectorELNS0_4arch9wavefront6targetE0EEEvSH_
		.amdhsa_group_segment_fixed_size 0
		.amdhsa_private_segment_fixed_size 0
		.amdhsa_kernarg_size 88
		.amdhsa_user_sgpr_count 6
		.amdhsa_user_sgpr_private_segment_buffer 1
		.amdhsa_user_sgpr_dispatch_ptr 0
		.amdhsa_user_sgpr_queue_ptr 0
		.amdhsa_user_sgpr_kernarg_segment_ptr 1
		.amdhsa_user_sgpr_dispatch_id 0
		.amdhsa_user_sgpr_flat_scratch_init 0
		.amdhsa_user_sgpr_private_segment_size 0
		.amdhsa_wavefront_size32 1
		.amdhsa_uses_dynamic_stack 0
		.amdhsa_system_sgpr_private_segment_wavefront_offset 0
		.amdhsa_system_sgpr_workgroup_id_x 1
		.amdhsa_system_sgpr_workgroup_id_y 0
		.amdhsa_system_sgpr_workgroup_id_z 0
		.amdhsa_system_sgpr_workgroup_info 0
		.amdhsa_system_vgpr_workitem_id 0
		.amdhsa_next_free_vgpr 1
		.amdhsa_next_free_sgpr 1
		.amdhsa_reserve_vcc 0
		.amdhsa_reserve_flat_scratch 0
		.amdhsa_float_round_mode_32 0
		.amdhsa_float_round_mode_16_64 0
		.amdhsa_float_denorm_mode_32 3
		.amdhsa_float_denorm_mode_16_64 3
		.amdhsa_dx10_clamp 1
		.amdhsa_ieee_mode 1
		.amdhsa_fp16_overflow 0
		.amdhsa_workgroup_processor_mode 1
		.amdhsa_memory_ordered 1
		.amdhsa_forward_progress 1
		.amdhsa_shared_vgpr_count 0
		.amdhsa_exception_fp_ieee_invalid_op 0
		.amdhsa_exception_fp_denorm_src 0
		.amdhsa_exception_fp_ieee_div_zero 0
		.amdhsa_exception_fp_ieee_overflow 0
		.amdhsa_exception_fp_ieee_underflow 0
		.amdhsa_exception_fp_ieee_inexact 0
		.amdhsa_exception_int_div_zero 0
	.end_amdhsa_kernel
	.section	.text._ZN7rocprim17ROCPRIM_400000_NS6detail17trampoline_kernelINS0_14default_configENS1_35radix_sort_onesweep_config_selectorIiNS0_10empty_typeEEEZZNS1_29radix_sort_onesweep_iterationIS3_Lb0EN6thrust23THRUST_200600_302600_NS10device_ptrIiEESB_PS5_SC_jNS0_19identity_decomposerENS1_16block_id_wrapperIjLb0EEEEE10hipError_tT1_PNSt15iterator_traitsISH_E10value_typeET2_T3_PNSI_ISN_E10value_typeET4_T5_PSS_ST_PNS1_23onesweep_lookback_stateEbbT6_jjT7_P12ihipStream_tbENKUlT_T0_SH_SM_E_clIPiSB_SC_SC_EEDaS10_S11_SH_SM_EUlS10_E_NS1_11comp_targetILNS1_3genE9ELNS1_11target_archE1100ELNS1_3gpuE3ELNS1_3repE0EEENS1_47radix_sort_onesweep_sort_config_static_selectorELNS0_4arch9wavefront6targetE0EEEvSH_,"axG",@progbits,_ZN7rocprim17ROCPRIM_400000_NS6detail17trampoline_kernelINS0_14default_configENS1_35radix_sort_onesweep_config_selectorIiNS0_10empty_typeEEEZZNS1_29radix_sort_onesweep_iterationIS3_Lb0EN6thrust23THRUST_200600_302600_NS10device_ptrIiEESB_PS5_SC_jNS0_19identity_decomposerENS1_16block_id_wrapperIjLb0EEEEE10hipError_tT1_PNSt15iterator_traitsISH_E10value_typeET2_T3_PNSI_ISN_E10value_typeET4_T5_PSS_ST_PNS1_23onesweep_lookback_stateEbbT6_jjT7_P12ihipStream_tbENKUlT_T0_SH_SM_E_clIPiSB_SC_SC_EEDaS10_S11_SH_SM_EUlS10_E_NS1_11comp_targetILNS1_3genE9ELNS1_11target_archE1100ELNS1_3gpuE3ELNS1_3repE0EEENS1_47radix_sort_onesweep_sort_config_static_selectorELNS0_4arch9wavefront6targetE0EEEvSH_,comdat
.Lfunc_end1296:
	.size	_ZN7rocprim17ROCPRIM_400000_NS6detail17trampoline_kernelINS0_14default_configENS1_35radix_sort_onesweep_config_selectorIiNS0_10empty_typeEEEZZNS1_29radix_sort_onesweep_iterationIS3_Lb0EN6thrust23THRUST_200600_302600_NS10device_ptrIiEESB_PS5_SC_jNS0_19identity_decomposerENS1_16block_id_wrapperIjLb0EEEEE10hipError_tT1_PNSt15iterator_traitsISH_E10value_typeET2_T3_PNSI_ISN_E10value_typeET4_T5_PSS_ST_PNS1_23onesweep_lookback_stateEbbT6_jjT7_P12ihipStream_tbENKUlT_T0_SH_SM_E_clIPiSB_SC_SC_EEDaS10_S11_SH_SM_EUlS10_E_NS1_11comp_targetILNS1_3genE9ELNS1_11target_archE1100ELNS1_3gpuE3ELNS1_3repE0EEENS1_47radix_sort_onesweep_sort_config_static_selectorELNS0_4arch9wavefront6targetE0EEEvSH_, .Lfunc_end1296-_ZN7rocprim17ROCPRIM_400000_NS6detail17trampoline_kernelINS0_14default_configENS1_35radix_sort_onesweep_config_selectorIiNS0_10empty_typeEEEZZNS1_29radix_sort_onesweep_iterationIS3_Lb0EN6thrust23THRUST_200600_302600_NS10device_ptrIiEESB_PS5_SC_jNS0_19identity_decomposerENS1_16block_id_wrapperIjLb0EEEEE10hipError_tT1_PNSt15iterator_traitsISH_E10value_typeET2_T3_PNSI_ISN_E10value_typeET4_T5_PSS_ST_PNS1_23onesweep_lookback_stateEbbT6_jjT7_P12ihipStream_tbENKUlT_T0_SH_SM_E_clIPiSB_SC_SC_EEDaS10_S11_SH_SM_EUlS10_E_NS1_11comp_targetILNS1_3genE9ELNS1_11target_archE1100ELNS1_3gpuE3ELNS1_3repE0EEENS1_47radix_sort_onesweep_sort_config_static_selectorELNS0_4arch9wavefront6targetE0EEEvSH_
                                        ; -- End function
	.set _ZN7rocprim17ROCPRIM_400000_NS6detail17trampoline_kernelINS0_14default_configENS1_35radix_sort_onesweep_config_selectorIiNS0_10empty_typeEEEZZNS1_29radix_sort_onesweep_iterationIS3_Lb0EN6thrust23THRUST_200600_302600_NS10device_ptrIiEESB_PS5_SC_jNS0_19identity_decomposerENS1_16block_id_wrapperIjLb0EEEEE10hipError_tT1_PNSt15iterator_traitsISH_E10value_typeET2_T3_PNSI_ISN_E10value_typeET4_T5_PSS_ST_PNS1_23onesweep_lookback_stateEbbT6_jjT7_P12ihipStream_tbENKUlT_T0_SH_SM_E_clIPiSB_SC_SC_EEDaS10_S11_SH_SM_EUlS10_E_NS1_11comp_targetILNS1_3genE9ELNS1_11target_archE1100ELNS1_3gpuE3ELNS1_3repE0EEENS1_47radix_sort_onesweep_sort_config_static_selectorELNS0_4arch9wavefront6targetE0EEEvSH_.num_vgpr, 0
	.set _ZN7rocprim17ROCPRIM_400000_NS6detail17trampoline_kernelINS0_14default_configENS1_35radix_sort_onesweep_config_selectorIiNS0_10empty_typeEEEZZNS1_29radix_sort_onesweep_iterationIS3_Lb0EN6thrust23THRUST_200600_302600_NS10device_ptrIiEESB_PS5_SC_jNS0_19identity_decomposerENS1_16block_id_wrapperIjLb0EEEEE10hipError_tT1_PNSt15iterator_traitsISH_E10value_typeET2_T3_PNSI_ISN_E10value_typeET4_T5_PSS_ST_PNS1_23onesweep_lookback_stateEbbT6_jjT7_P12ihipStream_tbENKUlT_T0_SH_SM_E_clIPiSB_SC_SC_EEDaS10_S11_SH_SM_EUlS10_E_NS1_11comp_targetILNS1_3genE9ELNS1_11target_archE1100ELNS1_3gpuE3ELNS1_3repE0EEENS1_47radix_sort_onesweep_sort_config_static_selectorELNS0_4arch9wavefront6targetE0EEEvSH_.num_agpr, 0
	.set _ZN7rocprim17ROCPRIM_400000_NS6detail17trampoline_kernelINS0_14default_configENS1_35radix_sort_onesweep_config_selectorIiNS0_10empty_typeEEEZZNS1_29radix_sort_onesweep_iterationIS3_Lb0EN6thrust23THRUST_200600_302600_NS10device_ptrIiEESB_PS5_SC_jNS0_19identity_decomposerENS1_16block_id_wrapperIjLb0EEEEE10hipError_tT1_PNSt15iterator_traitsISH_E10value_typeET2_T3_PNSI_ISN_E10value_typeET4_T5_PSS_ST_PNS1_23onesweep_lookback_stateEbbT6_jjT7_P12ihipStream_tbENKUlT_T0_SH_SM_E_clIPiSB_SC_SC_EEDaS10_S11_SH_SM_EUlS10_E_NS1_11comp_targetILNS1_3genE9ELNS1_11target_archE1100ELNS1_3gpuE3ELNS1_3repE0EEENS1_47radix_sort_onesweep_sort_config_static_selectorELNS0_4arch9wavefront6targetE0EEEvSH_.numbered_sgpr, 0
	.set _ZN7rocprim17ROCPRIM_400000_NS6detail17trampoline_kernelINS0_14default_configENS1_35radix_sort_onesweep_config_selectorIiNS0_10empty_typeEEEZZNS1_29radix_sort_onesweep_iterationIS3_Lb0EN6thrust23THRUST_200600_302600_NS10device_ptrIiEESB_PS5_SC_jNS0_19identity_decomposerENS1_16block_id_wrapperIjLb0EEEEE10hipError_tT1_PNSt15iterator_traitsISH_E10value_typeET2_T3_PNSI_ISN_E10value_typeET4_T5_PSS_ST_PNS1_23onesweep_lookback_stateEbbT6_jjT7_P12ihipStream_tbENKUlT_T0_SH_SM_E_clIPiSB_SC_SC_EEDaS10_S11_SH_SM_EUlS10_E_NS1_11comp_targetILNS1_3genE9ELNS1_11target_archE1100ELNS1_3gpuE3ELNS1_3repE0EEENS1_47radix_sort_onesweep_sort_config_static_selectorELNS0_4arch9wavefront6targetE0EEEvSH_.num_named_barrier, 0
	.set _ZN7rocprim17ROCPRIM_400000_NS6detail17trampoline_kernelINS0_14default_configENS1_35radix_sort_onesweep_config_selectorIiNS0_10empty_typeEEEZZNS1_29radix_sort_onesweep_iterationIS3_Lb0EN6thrust23THRUST_200600_302600_NS10device_ptrIiEESB_PS5_SC_jNS0_19identity_decomposerENS1_16block_id_wrapperIjLb0EEEEE10hipError_tT1_PNSt15iterator_traitsISH_E10value_typeET2_T3_PNSI_ISN_E10value_typeET4_T5_PSS_ST_PNS1_23onesweep_lookback_stateEbbT6_jjT7_P12ihipStream_tbENKUlT_T0_SH_SM_E_clIPiSB_SC_SC_EEDaS10_S11_SH_SM_EUlS10_E_NS1_11comp_targetILNS1_3genE9ELNS1_11target_archE1100ELNS1_3gpuE3ELNS1_3repE0EEENS1_47radix_sort_onesweep_sort_config_static_selectorELNS0_4arch9wavefront6targetE0EEEvSH_.private_seg_size, 0
	.set _ZN7rocprim17ROCPRIM_400000_NS6detail17trampoline_kernelINS0_14default_configENS1_35radix_sort_onesweep_config_selectorIiNS0_10empty_typeEEEZZNS1_29radix_sort_onesweep_iterationIS3_Lb0EN6thrust23THRUST_200600_302600_NS10device_ptrIiEESB_PS5_SC_jNS0_19identity_decomposerENS1_16block_id_wrapperIjLb0EEEEE10hipError_tT1_PNSt15iterator_traitsISH_E10value_typeET2_T3_PNSI_ISN_E10value_typeET4_T5_PSS_ST_PNS1_23onesweep_lookback_stateEbbT6_jjT7_P12ihipStream_tbENKUlT_T0_SH_SM_E_clIPiSB_SC_SC_EEDaS10_S11_SH_SM_EUlS10_E_NS1_11comp_targetILNS1_3genE9ELNS1_11target_archE1100ELNS1_3gpuE3ELNS1_3repE0EEENS1_47radix_sort_onesweep_sort_config_static_selectorELNS0_4arch9wavefront6targetE0EEEvSH_.uses_vcc, 0
	.set _ZN7rocprim17ROCPRIM_400000_NS6detail17trampoline_kernelINS0_14default_configENS1_35radix_sort_onesweep_config_selectorIiNS0_10empty_typeEEEZZNS1_29radix_sort_onesweep_iterationIS3_Lb0EN6thrust23THRUST_200600_302600_NS10device_ptrIiEESB_PS5_SC_jNS0_19identity_decomposerENS1_16block_id_wrapperIjLb0EEEEE10hipError_tT1_PNSt15iterator_traitsISH_E10value_typeET2_T3_PNSI_ISN_E10value_typeET4_T5_PSS_ST_PNS1_23onesweep_lookback_stateEbbT6_jjT7_P12ihipStream_tbENKUlT_T0_SH_SM_E_clIPiSB_SC_SC_EEDaS10_S11_SH_SM_EUlS10_E_NS1_11comp_targetILNS1_3genE9ELNS1_11target_archE1100ELNS1_3gpuE3ELNS1_3repE0EEENS1_47radix_sort_onesweep_sort_config_static_selectorELNS0_4arch9wavefront6targetE0EEEvSH_.uses_flat_scratch, 0
	.set _ZN7rocprim17ROCPRIM_400000_NS6detail17trampoline_kernelINS0_14default_configENS1_35radix_sort_onesweep_config_selectorIiNS0_10empty_typeEEEZZNS1_29radix_sort_onesweep_iterationIS3_Lb0EN6thrust23THRUST_200600_302600_NS10device_ptrIiEESB_PS5_SC_jNS0_19identity_decomposerENS1_16block_id_wrapperIjLb0EEEEE10hipError_tT1_PNSt15iterator_traitsISH_E10value_typeET2_T3_PNSI_ISN_E10value_typeET4_T5_PSS_ST_PNS1_23onesweep_lookback_stateEbbT6_jjT7_P12ihipStream_tbENKUlT_T0_SH_SM_E_clIPiSB_SC_SC_EEDaS10_S11_SH_SM_EUlS10_E_NS1_11comp_targetILNS1_3genE9ELNS1_11target_archE1100ELNS1_3gpuE3ELNS1_3repE0EEENS1_47radix_sort_onesweep_sort_config_static_selectorELNS0_4arch9wavefront6targetE0EEEvSH_.has_dyn_sized_stack, 0
	.set _ZN7rocprim17ROCPRIM_400000_NS6detail17trampoline_kernelINS0_14default_configENS1_35radix_sort_onesweep_config_selectorIiNS0_10empty_typeEEEZZNS1_29radix_sort_onesweep_iterationIS3_Lb0EN6thrust23THRUST_200600_302600_NS10device_ptrIiEESB_PS5_SC_jNS0_19identity_decomposerENS1_16block_id_wrapperIjLb0EEEEE10hipError_tT1_PNSt15iterator_traitsISH_E10value_typeET2_T3_PNSI_ISN_E10value_typeET4_T5_PSS_ST_PNS1_23onesweep_lookback_stateEbbT6_jjT7_P12ihipStream_tbENKUlT_T0_SH_SM_E_clIPiSB_SC_SC_EEDaS10_S11_SH_SM_EUlS10_E_NS1_11comp_targetILNS1_3genE9ELNS1_11target_archE1100ELNS1_3gpuE3ELNS1_3repE0EEENS1_47radix_sort_onesweep_sort_config_static_selectorELNS0_4arch9wavefront6targetE0EEEvSH_.has_recursion, 0
	.set _ZN7rocprim17ROCPRIM_400000_NS6detail17trampoline_kernelINS0_14default_configENS1_35radix_sort_onesweep_config_selectorIiNS0_10empty_typeEEEZZNS1_29radix_sort_onesweep_iterationIS3_Lb0EN6thrust23THRUST_200600_302600_NS10device_ptrIiEESB_PS5_SC_jNS0_19identity_decomposerENS1_16block_id_wrapperIjLb0EEEEE10hipError_tT1_PNSt15iterator_traitsISH_E10value_typeET2_T3_PNSI_ISN_E10value_typeET4_T5_PSS_ST_PNS1_23onesweep_lookback_stateEbbT6_jjT7_P12ihipStream_tbENKUlT_T0_SH_SM_E_clIPiSB_SC_SC_EEDaS10_S11_SH_SM_EUlS10_E_NS1_11comp_targetILNS1_3genE9ELNS1_11target_archE1100ELNS1_3gpuE3ELNS1_3repE0EEENS1_47radix_sort_onesweep_sort_config_static_selectorELNS0_4arch9wavefront6targetE0EEEvSH_.has_indirect_call, 0
	.section	.AMDGPU.csdata,"",@progbits
; Kernel info:
; codeLenInByte = 0
; TotalNumSgprs: 0
; NumVgprs: 0
; ScratchSize: 0
; MemoryBound: 0
; FloatMode: 240
; IeeeMode: 1
; LDSByteSize: 0 bytes/workgroup (compile time only)
; SGPRBlocks: 0
; VGPRBlocks: 0
; NumSGPRsForWavesPerEU: 1
; NumVGPRsForWavesPerEU: 1
; Occupancy: 16
; WaveLimiterHint : 0
; COMPUTE_PGM_RSRC2:SCRATCH_EN: 0
; COMPUTE_PGM_RSRC2:USER_SGPR: 6
; COMPUTE_PGM_RSRC2:TRAP_HANDLER: 0
; COMPUTE_PGM_RSRC2:TGID_X_EN: 1
; COMPUTE_PGM_RSRC2:TGID_Y_EN: 0
; COMPUTE_PGM_RSRC2:TGID_Z_EN: 0
; COMPUTE_PGM_RSRC2:TIDIG_COMP_CNT: 0
	.section	.text._ZN7rocprim17ROCPRIM_400000_NS6detail17trampoline_kernelINS0_14default_configENS1_35radix_sort_onesweep_config_selectorIiNS0_10empty_typeEEEZZNS1_29radix_sort_onesweep_iterationIS3_Lb0EN6thrust23THRUST_200600_302600_NS10device_ptrIiEESB_PS5_SC_jNS0_19identity_decomposerENS1_16block_id_wrapperIjLb0EEEEE10hipError_tT1_PNSt15iterator_traitsISH_E10value_typeET2_T3_PNSI_ISN_E10value_typeET4_T5_PSS_ST_PNS1_23onesweep_lookback_stateEbbT6_jjT7_P12ihipStream_tbENKUlT_T0_SH_SM_E_clIPiSB_SC_SC_EEDaS10_S11_SH_SM_EUlS10_E_NS1_11comp_targetILNS1_3genE8ELNS1_11target_archE1030ELNS1_3gpuE2ELNS1_3repE0EEENS1_47radix_sort_onesweep_sort_config_static_selectorELNS0_4arch9wavefront6targetE0EEEvSH_,"axG",@progbits,_ZN7rocprim17ROCPRIM_400000_NS6detail17trampoline_kernelINS0_14default_configENS1_35radix_sort_onesweep_config_selectorIiNS0_10empty_typeEEEZZNS1_29radix_sort_onesweep_iterationIS3_Lb0EN6thrust23THRUST_200600_302600_NS10device_ptrIiEESB_PS5_SC_jNS0_19identity_decomposerENS1_16block_id_wrapperIjLb0EEEEE10hipError_tT1_PNSt15iterator_traitsISH_E10value_typeET2_T3_PNSI_ISN_E10value_typeET4_T5_PSS_ST_PNS1_23onesweep_lookback_stateEbbT6_jjT7_P12ihipStream_tbENKUlT_T0_SH_SM_E_clIPiSB_SC_SC_EEDaS10_S11_SH_SM_EUlS10_E_NS1_11comp_targetILNS1_3genE8ELNS1_11target_archE1030ELNS1_3gpuE2ELNS1_3repE0EEENS1_47radix_sort_onesweep_sort_config_static_selectorELNS0_4arch9wavefront6targetE0EEEvSH_,comdat
	.protected	_ZN7rocprim17ROCPRIM_400000_NS6detail17trampoline_kernelINS0_14default_configENS1_35radix_sort_onesweep_config_selectorIiNS0_10empty_typeEEEZZNS1_29radix_sort_onesweep_iterationIS3_Lb0EN6thrust23THRUST_200600_302600_NS10device_ptrIiEESB_PS5_SC_jNS0_19identity_decomposerENS1_16block_id_wrapperIjLb0EEEEE10hipError_tT1_PNSt15iterator_traitsISH_E10value_typeET2_T3_PNSI_ISN_E10value_typeET4_T5_PSS_ST_PNS1_23onesweep_lookback_stateEbbT6_jjT7_P12ihipStream_tbENKUlT_T0_SH_SM_E_clIPiSB_SC_SC_EEDaS10_S11_SH_SM_EUlS10_E_NS1_11comp_targetILNS1_3genE8ELNS1_11target_archE1030ELNS1_3gpuE2ELNS1_3repE0EEENS1_47radix_sort_onesweep_sort_config_static_selectorELNS0_4arch9wavefront6targetE0EEEvSH_ ; -- Begin function _ZN7rocprim17ROCPRIM_400000_NS6detail17trampoline_kernelINS0_14default_configENS1_35radix_sort_onesweep_config_selectorIiNS0_10empty_typeEEEZZNS1_29radix_sort_onesweep_iterationIS3_Lb0EN6thrust23THRUST_200600_302600_NS10device_ptrIiEESB_PS5_SC_jNS0_19identity_decomposerENS1_16block_id_wrapperIjLb0EEEEE10hipError_tT1_PNSt15iterator_traitsISH_E10value_typeET2_T3_PNSI_ISN_E10value_typeET4_T5_PSS_ST_PNS1_23onesweep_lookback_stateEbbT6_jjT7_P12ihipStream_tbENKUlT_T0_SH_SM_E_clIPiSB_SC_SC_EEDaS10_S11_SH_SM_EUlS10_E_NS1_11comp_targetILNS1_3genE8ELNS1_11target_archE1030ELNS1_3gpuE2ELNS1_3repE0EEENS1_47radix_sort_onesweep_sort_config_static_selectorELNS0_4arch9wavefront6targetE0EEEvSH_
	.globl	_ZN7rocprim17ROCPRIM_400000_NS6detail17trampoline_kernelINS0_14default_configENS1_35radix_sort_onesweep_config_selectorIiNS0_10empty_typeEEEZZNS1_29radix_sort_onesweep_iterationIS3_Lb0EN6thrust23THRUST_200600_302600_NS10device_ptrIiEESB_PS5_SC_jNS0_19identity_decomposerENS1_16block_id_wrapperIjLb0EEEEE10hipError_tT1_PNSt15iterator_traitsISH_E10value_typeET2_T3_PNSI_ISN_E10value_typeET4_T5_PSS_ST_PNS1_23onesweep_lookback_stateEbbT6_jjT7_P12ihipStream_tbENKUlT_T0_SH_SM_E_clIPiSB_SC_SC_EEDaS10_S11_SH_SM_EUlS10_E_NS1_11comp_targetILNS1_3genE8ELNS1_11target_archE1030ELNS1_3gpuE2ELNS1_3repE0EEENS1_47radix_sort_onesweep_sort_config_static_selectorELNS0_4arch9wavefront6targetE0EEEvSH_
	.p2align	8
	.type	_ZN7rocprim17ROCPRIM_400000_NS6detail17trampoline_kernelINS0_14default_configENS1_35radix_sort_onesweep_config_selectorIiNS0_10empty_typeEEEZZNS1_29radix_sort_onesweep_iterationIS3_Lb0EN6thrust23THRUST_200600_302600_NS10device_ptrIiEESB_PS5_SC_jNS0_19identity_decomposerENS1_16block_id_wrapperIjLb0EEEEE10hipError_tT1_PNSt15iterator_traitsISH_E10value_typeET2_T3_PNSI_ISN_E10value_typeET4_T5_PSS_ST_PNS1_23onesweep_lookback_stateEbbT6_jjT7_P12ihipStream_tbENKUlT_T0_SH_SM_E_clIPiSB_SC_SC_EEDaS10_S11_SH_SM_EUlS10_E_NS1_11comp_targetILNS1_3genE8ELNS1_11target_archE1030ELNS1_3gpuE2ELNS1_3repE0EEENS1_47radix_sort_onesweep_sort_config_static_selectorELNS0_4arch9wavefront6targetE0EEEvSH_,@function
_ZN7rocprim17ROCPRIM_400000_NS6detail17trampoline_kernelINS0_14default_configENS1_35radix_sort_onesweep_config_selectorIiNS0_10empty_typeEEEZZNS1_29radix_sort_onesweep_iterationIS3_Lb0EN6thrust23THRUST_200600_302600_NS10device_ptrIiEESB_PS5_SC_jNS0_19identity_decomposerENS1_16block_id_wrapperIjLb0EEEEE10hipError_tT1_PNSt15iterator_traitsISH_E10value_typeET2_T3_PNSI_ISN_E10value_typeET4_T5_PSS_ST_PNS1_23onesweep_lookback_stateEbbT6_jjT7_P12ihipStream_tbENKUlT_T0_SH_SM_E_clIPiSB_SC_SC_EEDaS10_S11_SH_SM_EUlS10_E_NS1_11comp_targetILNS1_3genE8ELNS1_11target_archE1030ELNS1_3gpuE2ELNS1_3repE0EEENS1_47radix_sort_onesweep_sort_config_static_selectorELNS0_4arch9wavefront6targetE0EEEvSH_: ; @_ZN7rocprim17ROCPRIM_400000_NS6detail17trampoline_kernelINS0_14default_configENS1_35radix_sort_onesweep_config_selectorIiNS0_10empty_typeEEEZZNS1_29radix_sort_onesweep_iterationIS3_Lb0EN6thrust23THRUST_200600_302600_NS10device_ptrIiEESB_PS5_SC_jNS0_19identity_decomposerENS1_16block_id_wrapperIjLb0EEEEE10hipError_tT1_PNSt15iterator_traitsISH_E10value_typeET2_T3_PNSI_ISN_E10value_typeET4_T5_PSS_ST_PNS1_23onesweep_lookback_stateEbbT6_jjT7_P12ihipStream_tbENKUlT_T0_SH_SM_E_clIPiSB_SC_SC_EEDaS10_S11_SH_SM_EUlS10_E_NS1_11comp_targetILNS1_3genE8ELNS1_11target_archE1030ELNS1_3gpuE2ELNS1_3repE0EEENS1_47radix_sort_onesweep_sort_config_static_selectorELNS0_4arch9wavefront6targetE0EEEvSH_
; %bb.0:
	s_clause 0x3
	s_load_dwordx4 s[20:23], s[4:5], 0x44
	s_load_dwordx2 s[10:11], s[4:5], 0x38
	s_load_dwordx4 s[16:19], s[4:5], 0x0
	s_load_dwordx4 s[12:15], s[4:5], 0x28
	v_mbcnt_lo_u32_b32 v12, -1, 0
	v_lshlrev_b32_e32 v11, 2, v0
	s_mov_b32 s0, -1
	s_waitcnt lgkmcnt(0)
	s_cmp_ge_u32 s6, s22
	s_cbranch_scc0 .LBB1297_48
; %bb.1:
	s_load_dword s2, s[4:5], 0x20
	s_lshl_b32 s0, s6, 12
	s_mov_b32 s1, 0
	s_lshl_b32 s3, s22, 12
	v_and_b32_e32 v4, 0xf80, v11
	v_lshlrev_b32_e32 v6, 2, v12
	s_lshl_b64 s[0:1], s[0:1], 2
	v_bfrev_b32_e32 v3, -2
	v_lshlrev_b32_e32 v7, 2, v4
	v_or_b32_e32 v9, v12, v4
	v_mov_b32_e32 v4, v3
	v_mov_b32_e32 v5, v3
	s_waitcnt lgkmcnt(0)
	s_sub_i32 s9, s2, s3
	s_add_u32 s0, s16, s0
	s_addc_u32 s1, s17, s1
	v_add_co_u32 v6, s0, s0, v6
	v_add_co_ci_u32_e64 v8, null, s1, 0, s0
	v_add_co_u32 v7, s0, v6, v7
	v_add_co_ci_u32_e64 v8, null, 0, v8, s0
	v_mov_b32_e32 v6, v3
	s_mov_b32 s0, exec_lo
	v_cmpx_gt_u32_e64 s9, v9
	s_cbranch_execz .LBB1297_3
; %bb.2:
	global_load_dword v13, v[7:8], off
	v_mov_b32_e32 v14, v3
	v_mov_b32_e32 v15, v3
	;; [unrolled: 1-line block ×3, first 2 shown]
	s_waitcnt vmcnt(0)
	v_mov_b32_e32 v3, v13
	v_mov_b32_e32 v4, v14
	;; [unrolled: 1-line block ×4, first 2 shown]
.LBB1297_3:
	s_or_b32 exec_lo, exec_lo, s0
	v_or_b32_e32 v10, 32, v9
	s_mov_b32 s0, exec_lo
	v_cmpx_gt_u32_e64 s9, v10
	s_cbranch_execz .LBB1297_5
; %bb.4:
	global_load_dword v4, v[7:8], off offset:128
.LBB1297_5:
	s_or_b32 exec_lo, exec_lo, s0
	v_or_b32_e32 v10, 64, v9
	s_mov_b32 s0, exec_lo
	v_cmpx_gt_u32_e64 s9, v10
	s_cbranch_execz .LBB1297_7
; %bb.6:
	global_load_dword v5, v[7:8], off offset:256
.LBB1297_7:
	;; [unrolled: 8-line block ×3, first 2 shown]
	s_or_b32 exec_lo, exec_lo, s0
	s_clause 0x1
	s_load_dword s0, s[4:5], 0x64
	s_load_dword s22, s[4:5], 0x58
	s_add_u32 s1, s4, 0x58
	s_addc_u32 s2, s5, 0
	v_mov_b32_e32 v10, 0
	v_xor_b32_e32 v13, 0x80000000, v3
	v_lshrrev_b32_e32 v3, s20, v13
	s_waitcnt lgkmcnt(0)
	s_lshr_b32 s3, s0, 16
	s_cmp_lt_u32 s6, s22
	s_cselect_b32 s0, 12, 18
	s_add_u32 s0, s1, s0
	s_addc_u32 s1, s2, 0
	global_load_ushort v7, v10, s[0:1]
	s_lshl_b32 s0, -1, s21
	s_not_b32 s23, s0
	v_and_b32_e32 v3, s23, v3
	v_and_b32_e32 v8, 1, v3
	v_lshlrev_b32_e32 v9, 30, v3
	v_lshlrev_b32_e32 v14, 29, v3
	;; [unrolled: 1-line block ×4, first 2 shown]
	v_add_co_u32 v8, s0, v8, -1
	v_cndmask_b32_e64 v15, 0, 1, s0
	v_not_b32_e32 v19, v9
	v_cmp_gt_i32_e64 s0, 0, v9
	v_not_b32_e32 v9, v14
	v_lshlrev_b32_e32 v18, 26, v3
	v_cmp_ne_u32_e32 vcc_lo, 0, v15
	v_ashrrev_i32_e32 v19, 31, v19
	v_lshlrev_b32_e32 v15, 25, v3
	v_ashrrev_i32_e32 v9, 31, v9
	v_xor_b32_e32 v8, vcc_lo, v8
	v_cmp_gt_i32_e32 vcc_lo, 0, v14
	v_not_b32_e32 v14, v16
	v_xor_b32_e32 v19, s0, v19
	v_cmp_gt_i32_e64 s0, 0, v16
	v_and_b32_e32 v8, exec_lo, v8
	v_not_b32_e32 v16, v17
	v_ashrrev_i32_e32 v14, 31, v14
	v_xor_b32_e32 v9, vcc_lo, v9
	v_cmp_gt_i32_e32 vcc_lo, 0, v17
	v_and_b32_e32 v8, v8, v19
	v_not_b32_e32 v17, v18
	v_ashrrev_i32_e32 v16, 31, v16
	v_xor_b32_e32 v14, s0, v14
	v_cmp_gt_i32_e64 s0, 0, v18
	v_and_b32_e32 v8, v8, v9
	v_not_b32_e32 v9, v15
	v_ashrrev_i32_e32 v17, 31, v17
	v_xor_b32_e32 v16, vcc_lo, v16
	v_cmp_gt_i32_e32 vcc_lo, 0, v15
	v_and_b32_e32 v8, v8, v14
	v_lshlrev_b32_e32 v14, 24, v3
	v_ashrrev_i32_e32 v9, 31, v9
	v_xor_b32_e32 v15, s0, v17
	v_and_b32_e32 v8, v8, v16
	v_not_b32_e32 v16, v14
	v_xor_b32_e32 v9, vcc_lo, v9
	v_cmp_gt_i32_e32 vcc_lo, 0, v14
	v_and_b32_e32 v8, v8, v15
	v_mad_u32_u24 v15, v2, s3, v1
	v_ashrrev_i32_e32 v14, 31, v16
	v_mul_u32_u24_e32 v16, 36, v0
	v_and_b32_e32 v17, v8, v9
	ds_write2_b32 v16, v10, v10 offset0:32 offset1:33
	ds_write2_b32 v16, v10, v10 offset0:34 offset1:35
	;; [unrolled: 1-line block ×4, first 2 shown]
	ds_write_b32 v16, v10 offset:160
	s_waitcnt vmcnt(0) lgkmcnt(0)
	s_barrier
	buffer_gl0_inv
	; wave barrier
	v_mad_u64_u32 v[8:9], null, v15, v7, v[0:1]
	v_xor_b32_e32 v7, vcc_lo, v14
	v_mul_lo_u32 v9, 0x84, v3
	v_and_b32_e32 v7, v17, v7
	v_lshrrev_b32_e32 v8, 3, v8
	v_mbcnt_lo_u32_b32 v14, v7, 0
	v_and_b32_e32 v3, 0x1ffffffc, v8
	v_cmp_ne_u32_e64 s0, 0, v7
	v_cmp_eq_u32_e32 vcc_lo, 0, v14
	v_add_nc_u32_e32 v17, v3, v9
	s_and_b32 s1, s0, vcc_lo
	s_and_saveexec_b32 s0, s1
; %bb.10:
	v_bcnt_u32_b32 v7, v7, 0
	ds_write_b32 v17, v7 offset:128
; %bb.11:
	s_or_b32 exec_lo, exec_lo, s0
	v_xor_b32_e32 v15, 0x80000000, v4
	; wave barrier
	v_lshrrev_b32_e32 v4, s20, v15
	v_and_b32_e32 v4, s23, v4
	v_and_b32_e32 v8, 1, v4
	v_lshlrev_b32_e32 v9, 30, v4
	v_lshlrev_b32_e32 v10, 29, v4
	;; [unrolled: 1-line block ×4, first 2 shown]
	v_add_co_u32 v8, s0, v8, -1
	v_cndmask_b32_e64 v19, 0, 1, s0
	v_not_b32_e32 v23, v9
	v_cmp_gt_i32_e64 s0, 0, v9
	v_not_b32_e32 v9, v10
	v_lshlrev_b32_e32 v21, 26, v4
	v_cmp_ne_u32_e32 vcc_lo, 0, v19
	v_ashrrev_i32_e32 v19, 31, v23
	v_lshlrev_b32_e32 v22, 25, v4
	v_ashrrev_i32_e32 v9, 31, v9
	v_mul_lo_u32 v7, 0x84, v4
	v_xor_b32_e32 v8, vcc_lo, v8
	v_cmp_gt_i32_e32 vcc_lo, 0, v10
	v_not_b32_e32 v10, v18
	v_xor_b32_e32 v19, s0, v19
	v_cmp_gt_i32_e64 s0, 0, v18
	v_and_b32_e32 v8, exec_lo, v8
	v_not_b32_e32 v18, v20
	v_ashrrev_i32_e32 v10, 31, v10
	v_xor_b32_e32 v9, vcc_lo, v9
	v_cmp_gt_i32_e32 vcc_lo, 0, v20
	v_and_b32_e32 v8, v8, v19
	v_not_b32_e32 v19, v21
	v_ashrrev_i32_e32 v18, 31, v18
	v_xor_b32_e32 v10, s0, v10
	v_lshlrev_b32_e32 v4, 24, v4
	v_and_b32_e32 v8, v8, v9
	v_cmp_gt_i32_e64 s0, 0, v21
	v_not_b32_e32 v9, v22
	v_ashrrev_i32_e32 v19, 31, v19
	v_xor_b32_e32 v18, vcc_lo, v18
	v_and_b32_e32 v8, v8, v10
	v_cmp_gt_i32_e32 vcc_lo, 0, v22
	v_not_b32_e32 v10, v4
	v_ashrrev_i32_e32 v9, 31, v9
	v_xor_b32_e32 v19, s0, v19
	v_and_b32_e32 v8, v8, v18
	v_cmp_gt_i32_e64 s0, 0, v4
	v_ashrrev_i32_e32 v4, 31, v10
	v_xor_b32_e32 v9, vcc_lo, v9
	v_add_nc_u32_e32 v21, v3, v7
	v_and_b32_e32 v8, v8, v19
	v_xor_b32_e32 v4, s0, v4
	ds_read_b32 v18, v21 offset:128
	v_and_b32_e32 v7, v8, v9
	; wave barrier
	v_and_b32_e32 v4, v7, v4
	v_mbcnt_lo_u32_b32 v20, v4, 0
	v_cmp_ne_u32_e64 s0, 0, v4
	v_cmp_eq_u32_e32 vcc_lo, 0, v20
	s_and_b32 s1, s0, vcc_lo
	s_and_saveexec_b32 s0, s1
	s_cbranch_execz .LBB1297_13
; %bb.12:
	s_waitcnt lgkmcnt(0)
	v_bcnt_u32_b32 v4, v4, v18
	ds_write_b32 v21, v4 offset:128
.LBB1297_13:
	s_or_b32 exec_lo, exec_lo, s0
	v_xor_b32_e32 v19, 0x80000000, v5
	; wave barrier
	v_lshrrev_b32_e32 v4, s20, v19
	v_and_b32_e32 v4, s23, v4
	v_and_b32_e32 v7, 1, v4
	v_lshlrev_b32_e32 v8, 30, v4
	v_lshlrev_b32_e32 v9, 29, v4
	;; [unrolled: 1-line block ×4, first 2 shown]
	v_add_co_u32 v7, s0, v7, -1
	v_cndmask_b32_e64 v22, 0, 1, s0
	v_not_b32_e32 v26, v8
	v_cmp_gt_i32_e64 s0, 0, v8
	v_not_b32_e32 v8, v9
	v_lshlrev_b32_e32 v24, 26, v4
	v_cmp_ne_u32_e32 vcc_lo, 0, v22
	v_ashrrev_i32_e32 v22, 31, v26
	v_lshlrev_b32_e32 v25, 25, v4
	v_ashrrev_i32_e32 v8, 31, v8
	v_mul_lo_u32 v5, 0x84, v4
	v_xor_b32_e32 v7, vcc_lo, v7
	v_cmp_gt_i32_e32 vcc_lo, 0, v9
	v_not_b32_e32 v9, v10
	v_xor_b32_e32 v22, s0, v22
	v_cmp_gt_i32_e64 s0, 0, v10
	v_and_b32_e32 v7, exec_lo, v7
	v_not_b32_e32 v10, v23
	v_ashrrev_i32_e32 v9, 31, v9
	v_xor_b32_e32 v8, vcc_lo, v8
	v_cmp_gt_i32_e32 vcc_lo, 0, v23
	v_and_b32_e32 v7, v7, v22
	v_not_b32_e32 v22, v24
	v_ashrrev_i32_e32 v10, 31, v10
	v_xor_b32_e32 v9, s0, v9
	v_lshlrev_b32_e32 v4, 24, v4
	v_and_b32_e32 v7, v7, v8
	v_cmp_gt_i32_e64 s0, 0, v24
	v_not_b32_e32 v8, v25
	v_ashrrev_i32_e32 v22, 31, v22
	v_xor_b32_e32 v10, vcc_lo, v10
	v_and_b32_e32 v7, v7, v9
	v_cmp_gt_i32_e32 vcc_lo, 0, v25
	v_not_b32_e32 v9, v4
	v_ashrrev_i32_e32 v8, 31, v8
	v_xor_b32_e32 v22, s0, v22
	v_and_b32_e32 v7, v7, v10
	v_cmp_gt_i32_e64 s0, 0, v4
	v_ashrrev_i32_e32 v4, 31, v9
	v_xor_b32_e32 v8, vcc_lo, v8
	v_add_nc_u32_e32 v25, v3, v5
	v_and_b32_e32 v7, v7, v22
	v_xor_b32_e32 v4, s0, v4
	ds_read_b32 v22, v25 offset:128
	v_and_b32_e32 v5, v7, v8
	; wave barrier
	v_and_b32_e32 v4, v5, v4
	v_mbcnt_lo_u32_b32 v24, v4, 0
	v_cmp_ne_u32_e64 s0, 0, v4
	v_cmp_eq_u32_e32 vcc_lo, 0, v24
	s_and_b32 s1, s0, vcc_lo
	s_and_saveexec_b32 s0, s1
	s_cbranch_execz .LBB1297_15
; %bb.14:
	s_waitcnt lgkmcnt(0)
	v_bcnt_u32_b32 v4, v4, v22
	ds_write_b32 v25, v4 offset:128
.LBB1297_15:
	s_or_b32 exec_lo, exec_lo, s0
	v_xor_b32_e32 v23, 0x80000000, v6
	; wave barrier
	v_lshrrev_b32_e32 v4, s20, v23
	v_and_b32_e32 v4, s23, v4
	v_and_b32_e32 v6, 1, v4
	v_lshlrev_b32_e32 v7, 30, v4
	v_lshlrev_b32_e32 v8, 29, v4
	;; [unrolled: 1-line block ×4, first 2 shown]
	v_add_co_u32 v6, s0, v6, -1
	v_cndmask_b32_e64 v10, 0, 1, s0
	v_not_b32_e32 v29, v7
	v_cmp_gt_i32_e64 s0, 0, v7
	v_not_b32_e32 v7, v8
	v_lshlrev_b32_e32 v27, 26, v4
	v_cmp_ne_u32_e32 vcc_lo, 0, v10
	v_ashrrev_i32_e32 v10, 31, v29
	v_lshlrev_b32_e32 v28, 25, v4
	v_ashrrev_i32_e32 v7, 31, v7
	v_mul_lo_u32 v5, 0x84, v4
	v_xor_b32_e32 v6, vcc_lo, v6
	v_cmp_gt_i32_e32 vcc_lo, 0, v8
	v_not_b32_e32 v8, v9
	v_xor_b32_e32 v10, s0, v10
	v_cmp_gt_i32_e64 s0, 0, v9
	v_and_b32_e32 v6, exec_lo, v6
	v_not_b32_e32 v9, v26
	v_ashrrev_i32_e32 v8, 31, v8
	v_xor_b32_e32 v7, vcc_lo, v7
	v_cmp_gt_i32_e32 vcc_lo, 0, v26
	v_and_b32_e32 v6, v6, v10
	v_not_b32_e32 v10, v27
	v_ashrrev_i32_e32 v9, 31, v9
	v_xor_b32_e32 v8, s0, v8
	v_lshlrev_b32_e32 v4, 24, v4
	v_and_b32_e32 v6, v6, v7
	v_cmp_gt_i32_e64 s0, 0, v27
	v_not_b32_e32 v7, v28
	v_ashrrev_i32_e32 v10, 31, v10
	v_xor_b32_e32 v9, vcc_lo, v9
	v_and_b32_e32 v6, v6, v8
	v_cmp_gt_i32_e32 vcc_lo, 0, v28
	v_not_b32_e32 v8, v4
	v_ashrrev_i32_e32 v7, 31, v7
	v_xor_b32_e32 v10, s0, v10
	v_and_b32_e32 v6, v6, v9
	v_cmp_gt_i32_e64 s0, 0, v4
	v_ashrrev_i32_e32 v4, 31, v8
	v_xor_b32_e32 v7, vcc_lo, v7
	v_add_nc_u32_e32 v28, v3, v5
	v_and_b32_e32 v6, v6, v10
	v_xor_b32_e32 v3, s0, v4
	ds_read_b32 v26, v28 offset:128
	v_and_b32_e32 v4, v6, v7
	; wave barrier
	v_and_b32_e32 v3, v4, v3
	v_mbcnt_lo_u32_b32 v27, v3, 0
	v_cmp_ne_u32_e64 s0, 0, v3
	v_cmp_eq_u32_e32 vcc_lo, 0, v27
	s_and_b32 s1, s0, vcc_lo
	s_and_saveexec_b32 s0, s1
	s_cbranch_execz .LBB1297_17
; %bb.16:
	s_waitcnt lgkmcnt(0)
	v_bcnt_u32_b32 v3, v3, v26
	ds_write_b32 v28, v3 offset:128
.LBB1297_17:
	s_or_b32 exec_lo, exec_lo, s0
	; wave barrier
	s_waitcnt lgkmcnt(0)
	s_barrier
	buffer_gl0_inv
	ds_read2_b32 v[9:10], v16 offset0:32 offset1:33
	ds_read2_b32 v[7:8], v16 offset0:34 offset1:35
	ds_read2_b32 v[5:6], v16 offset0:36 offset1:37
	ds_read2_b32 v[3:4], v16 offset0:38 offset1:39
	ds_read_b32 v29, v16 offset:160
	v_and_b32_e32 v32, 16, v12
	v_and_b32_e32 v33, 31, v0
	s_mov_b32 s8, exec_lo
	v_cmp_eq_u32_e64 s3, 0, v32
	s_waitcnt lgkmcnt(3)
	v_add3_u32 v30, v10, v9, v7
	s_waitcnt lgkmcnt(2)
	v_add3_u32 v30, v30, v8, v5
	;; [unrolled: 2-line block ×4, first 2 shown]
	v_and_b32_e32 v30, 15, v12
	v_mov_b32_dpp v31, v29 row_shr:1 row_mask:0xf bank_mask:0xf
	v_cmp_eq_u32_e32 vcc_lo, 0, v30
	v_cmp_lt_u32_e64 s0, 1, v30
	v_cmp_lt_u32_e64 s1, 3, v30
	;; [unrolled: 1-line block ×3, first 2 shown]
	v_cndmask_b32_e64 v31, v31, 0, vcc_lo
	v_add_nc_u32_e32 v29, v31, v29
	v_mov_b32_dpp v31, v29 row_shr:2 row_mask:0xf bank_mask:0xf
	v_cndmask_b32_e64 v31, 0, v31, s0
	v_add_nc_u32_e32 v29, v29, v31
	v_mov_b32_dpp v31, v29 row_shr:4 row_mask:0xf bank_mask:0xf
	v_cndmask_b32_e64 v31, 0, v31, s1
	;; [unrolled: 3-line block ×3, first 2 shown]
	v_bfe_i32 v31, v12, 4, 1
	v_add_nc_u32_e32 v29, v29, v30
	ds_swizzle_b32 v30, v29 offset:swizzle(BROADCAST,32,15)
	s_waitcnt lgkmcnt(0)
	v_and_b32_e32 v31, v31, v30
	v_lshrrev_b32_e32 v30, 5, v0
	v_add_nc_u32_e32 v29, v29, v31
	v_cmpx_eq_u32_e32 31, v33
; %bb.18:
	v_lshlrev_b32_e32 v31, 2, v30
	ds_write_b32 v31, v29
; %bb.19:
	s_or_b32 exec_lo, exec_lo, s8
	v_cmp_lt_u32_e64 s7, 31, v0
	s_mov_b32 s24, exec_lo
	s_waitcnt lgkmcnt(0)
	s_barrier
	buffer_gl0_inv
	v_cmpx_gt_u32_e32 32, v0
	s_cbranch_execz .LBB1297_21
; %bb.20:
	ds_read_b32 v31, v11
	s_waitcnt lgkmcnt(0)
	v_mov_b32_dpp v32, v31 row_shr:1 row_mask:0xf bank_mask:0xf
	v_cndmask_b32_e64 v32, v32, 0, vcc_lo
	v_add_nc_u32_e32 v31, v32, v31
	v_mov_b32_dpp v32, v31 row_shr:2 row_mask:0xf bank_mask:0xf
	v_cndmask_b32_e64 v32, 0, v32, s0
	v_add_nc_u32_e32 v31, v31, v32
	v_mov_b32_dpp v32, v31 row_shr:4 row_mask:0xf bank_mask:0xf
	v_cndmask_b32_e64 v32, 0, v32, s1
	;; [unrolled: 3-line block ×3, first 2 shown]
	v_add_nc_u32_e32 v31, v31, v32
	ds_swizzle_b32 v32, v31 offset:swizzle(BROADCAST,32,15)
	s_waitcnt lgkmcnt(0)
	v_cndmask_b32_e64 v32, v32, 0, s3
	v_add_nc_u32_e32 v31, v31, v32
	ds_write_b32 v11, v31
.LBB1297_21:
	s_or_b32 exec_lo, exec_lo, s24
	v_mov_b32_e32 v31, 0
	s_waitcnt lgkmcnt(0)
	s_barrier
	buffer_gl0_inv
	s_and_saveexec_b32 s0, s7
; %bb.22:
	v_lshl_add_u32 v30, v30, 2, -4
	ds_read_b32 v31, v30
; %bb.23:
	s_or_b32 exec_lo, exec_lo, s0
	v_sub_co_u32 v30, vcc_lo, v12, 1
	s_waitcnt lgkmcnt(0)
	v_add_nc_u32_e32 v29, v31, v29
	v_cmp_gt_i32_e64 s0, 0, v30
	v_cndmask_b32_e64 v30, v30, v12, s0
	v_cmp_gt_u32_e64 s0, 0x100, v0
	v_lshlrev_b32_e32 v30, 2, v30
	ds_bpermute_b32 v29, v30, v29
	s_waitcnt lgkmcnt(0)
	v_cndmask_b32_e32 v29, v29, v31, vcc_lo
	v_cmp_ne_u32_e32 vcc_lo, 0, v0
	v_cndmask_b32_e32 v29, 0, v29, vcc_lo
	v_cmp_lt_u32_e32 vcc_lo, 0xff, v0
	v_add_nc_u32_e32 v9, v29, v9
	v_add_nc_u32_e32 v10, v9, v10
	;; [unrolled: 1-line block ×8, first 2 shown]
	ds_write2_b32 v16, v29, v9 offset0:32 offset1:33
	ds_write2_b32 v16, v10, v7 offset0:34 offset1:35
	;; [unrolled: 1-line block ×4, first 2 shown]
	ds_write_b32 v16, v4 offset:160
	s_waitcnt lgkmcnt(0)
	s_barrier
	buffer_gl0_inv
	ds_read_b32 v3, v17 offset:128
	ds_read_b32 v6, v21 offset:128
	;; [unrolled: 1-line block ×4, first 2 shown]
                                        ; implicit-def: $vgpr9
                                        ; implicit-def: $vgpr10
	s_and_saveexec_b32 s2, s0
	s_cbranch_execz .LBB1297_27
; %bb.24:
	v_mul_u32_u24_e32 v7, 0x84, v0
	v_add_nc_u32_e32 v8, 1, v0
	s_mov_b32 s3, exec_lo
	ds_read_b32 v9, v7 offset:128
	v_mov_b32_e32 v7, 0x1000
	v_cmpx_ne_u32_e32 0x100, v8
; %bb.25:
	v_mul_u32_u24_e32 v7, 0x84, v8
	ds_read_b32 v7, v7 offset:128
; %bb.26:
	s_or_b32 exec_lo, exec_lo, s3
	s_waitcnt lgkmcnt(0)
	v_sub_nc_u32_e32 v10, v7, v9
.LBB1297_27:
	s_or_b32 exec_lo, exec_lo, s2
	v_lshlrev_b32_e32 v7, 2, v14
	v_lshlrev_b32_e32 v8, 2, v20
	;; [unrolled: 1-line block ×5, first 2 shown]
	s_waitcnt lgkmcnt(0)
	v_lshlrev_b32_e32 v4, 2, v4
	v_lshlrev_b32_e32 v6, 2, v6
	;; [unrolled: 1-line block ×5, first 2 shown]
	v_lshl_add_u32 v3, v3, 2, v7
	v_add3_u32 v7, v18, v20, v4
	v_mov_b32_e32 v4, 0
	v_add3_u32 v6, v8, v14, v6
	v_add3_u32 v5, v16, v17, v5
	s_barrier
	buffer_gl0_inv
	ds_write_b32 v3, v13 offset:1024
	ds_write_b32 v6, v15 offset:1024
	;; [unrolled: 1-line block ×4, first 2 shown]
	s_and_saveexec_b32 s1, s0
	s_cbranch_execz .LBB1297_37
; %bb.28:
	v_lshl_add_u32 v3, s6, 8, v0
	v_mov_b32_e32 v13, 0
	s_mov_b32 s2, 0
	s_mov_b32 s3, s6
	v_lshlrev_b64 v[5:6], 2, v[3:4]
	v_or_b32_e32 v3, 2.0, v10
	v_add_co_u32 v5, s0, s10, v5
	v_add_co_ci_u32_e64 v6, null, s11, v6, s0
                                        ; implicit-def: $sgpr0
	global_store_dword v[5:6], v3, off
	s_branch .LBB1297_31
	.p2align	6
.LBB1297_29:                            ;   in Loop: Header=BB1297_31 Depth=1
	s_or_b32 exec_lo, exec_lo, s8
.LBB1297_30:                            ;   in Loop: Header=BB1297_31 Depth=1
	s_or_b32 exec_lo, exec_lo, s7
	v_and_b32_e32 v7, 0x3fffffff, v3
	v_cmp_gt_i32_e64 s0, -2.0, v3
	v_add_nc_u32_e32 v13, v7, v13
	s_and_b32 s7, exec_lo, s0
	s_or_b32 s2, s7, s2
	s_andn2_b32 exec_lo, exec_lo, s2
	s_cbranch_execz .LBB1297_36
.LBB1297_31:                            ; =>This Loop Header: Depth=1
                                        ;     Child Loop BB1297_34 Depth 2
	s_or_b32 s0, s0, exec_lo
	s_cmp_eq_u32 s3, 0
	s_cbranch_scc1 .LBB1297_35
; %bb.32:                               ;   in Loop: Header=BB1297_31 Depth=1
	s_add_i32 s3, s3, -1
	s_mov_b32 s7, exec_lo
	v_lshl_or_b32 v3, s3, 8, v0
	v_lshlrev_b64 v[7:8], 2, v[3:4]
	v_add_co_u32 v7, s0, s10, v7
	v_add_co_ci_u32_e64 v8, null, s11, v8, s0
	global_load_dword v3, v[7:8], off glc dlc
	s_waitcnt vmcnt(0)
	v_cmpx_gt_u32_e32 2.0, v3
	s_cbranch_execz .LBB1297_30
; %bb.33:                               ;   in Loop: Header=BB1297_31 Depth=1
	s_mov_b32 s8, 0
.LBB1297_34:                            ;   Parent Loop BB1297_31 Depth=1
                                        ; =>  This Inner Loop Header: Depth=2
	global_load_dword v3, v[7:8], off glc dlc
	s_waitcnt vmcnt(0)
	v_cmp_lt_u32_e64 s0, 0x3fffffff, v3
	s_or_b32 s8, s0, s8
	s_andn2_b32 exec_lo, exec_lo, s8
	s_cbranch_execnz .LBB1297_34
	s_branch .LBB1297_29
.LBB1297_35:                            ;   in Loop: Header=BB1297_31 Depth=1
                                        ; implicit-def: $sgpr3
	s_and_b32 s7, exec_lo, s0
	s_or_b32 s2, s7, s2
	s_andn2_b32 exec_lo, exec_lo, s2
	s_cbranch_execnz .LBB1297_31
.LBB1297_36:
	s_or_b32 exec_lo, exec_lo, s2
	v_add_nc_u32_e32 v3, v13, v10
	v_sub_nc_u32_e32 v4, v13, v9
	v_or_b32_e32 v3, 0x80000000, v3
	global_store_dword v[5:6], v3, off
	global_load_dword v3, v11, s[12:13]
	s_waitcnt vmcnt(0)
	v_add_nc_u32_e32 v3, v4, v3
	ds_write_b32 v11, v3
.LBB1297_37:
	s_or_b32 exec_lo, exec_lo, s1
	s_mov_b32 s1, exec_lo
	s_waitcnt lgkmcnt(0)
	s_waitcnt_vscnt null, 0x0
	s_barrier
	buffer_gl0_inv
	v_cmpx_gt_u32_e64 s9, v0
	s_cbranch_execz .LBB1297_39
; %bb.38:
	ds_read_b32 v5, v11 offset:1024
	v_mov_b32_e32 v4, 0
	s_waitcnt lgkmcnt(0)
	v_lshrrev_b32_e32 v3, s20, v5
	v_xor_b32_e32 v5, 0x80000000, v5
	v_and_b32_e32 v3, s23, v3
	v_lshlrev_b32_e32 v3, 2, v3
	ds_read_b32 v3, v3
	s_waitcnt lgkmcnt(0)
	v_add_nc_u32_e32 v3, v3, v0
	v_lshlrev_b64 v[3:4], 2, v[3:4]
	v_add_co_u32 v3, s0, s18, v3
	v_add_co_ci_u32_e64 v4, null, s19, v4, s0
	global_store_dword v[3:4], v5, off
.LBB1297_39:
	s_or_b32 exec_lo, exec_lo, s1
	v_or_b32_e32 v3, 0x400, v0
	s_mov_b32 s1, exec_lo
	v_cmpx_gt_u32_e64 s9, v3
	s_cbranch_execz .LBB1297_41
; %bb.40:
	ds_read_b32 v5, v11 offset:5120
	s_waitcnt lgkmcnt(0)
	v_lshrrev_b32_e32 v4, s20, v5
	v_xor_b32_e32 v5, 0x80000000, v5
	v_and_b32_e32 v4, s23, v4
	v_lshlrev_b32_e32 v4, 2, v4
	ds_read_b32 v6, v4
	v_mov_b32_e32 v4, 0
	s_waitcnt lgkmcnt(0)
	v_add_nc_u32_e32 v3, v6, v3
	v_lshlrev_b64 v[3:4], 2, v[3:4]
	v_add_co_u32 v3, s0, s18, v3
	v_add_co_ci_u32_e64 v4, null, s19, v4, s0
	global_store_dword v[3:4], v5, off
.LBB1297_41:
	s_or_b32 exec_lo, exec_lo, s1
	v_or_b32_e32 v3, 0x800, v0
	s_mov_b32 s1, exec_lo
	v_cmpx_gt_u32_e64 s9, v3
	s_cbranch_execz .LBB1297_43
; %bb.42:
	ds_read_b32 v5, v11 offset:9216
	s_waitcnt lgkmcnt(0)
	v_lshrrev_b32_e32 v4, s20, v5
	v_xor_b32_e32 v5, 0x80000000, v5
	v_and_b32_e32 v4, s23, v4
	v_lshlrev_b32_e32 v4, 2, v4
	ds_read_b32 v6, v4
	v_mov_b32_e32 v4, 0
	s_waitcnt lgkmcnt(0)
	v_add_nc_u32_e32 v3, v6, v3
	v_lshlrev_b64 v[3:4], 2, v[3:4]
	v_add_co_u32 v3, s0, s18, v3
	v_add_co_ci_u32_e64 v4, null, s19, v4, s0
	global_store_dword v[3:4], v5, off
.LBB1297_43:
	;; [unrolled: 21-line block ×3, first 2 shown]
	s_or_b32 exec_lo, exec_lo, s1
	s_add_i32 s22, s22, -1
	s_cmp_eq_u32 s6, s22
	s_cselect_b32 s0, -1, 0
	s_xor_b32 s1, vcc_lo, -1
	s_and_b32 s1, s1, s0
	s_and_saveexec_b32 s0, s1
	s_cbranch_execz .LBB1297_47
; %bb.46:
	ds_read_b32 v3, v11
	s_waitcnt lgkmcnt(0)
	v_add3_u32 v3, v9, v10, v3
	global_store_dword v11, v3, s[14:15]
.LBB1297_47:
	s_or_b32 exec_lo, exec_lo, s0
	s_mov_b32 s0, 0
.LBB1297_48:
	s_and_b32 vcc_lo, exec_lo, s0
	s_cbranch_vccz .LBB1297_79
; %bb.49:
	s_lshl_b32 s0, s6, 12
	s_mov_b32 s1, 0
	v_lshlrev_b32_e32 v3, 4, v0
	v_lshlrev_b32_e32 v4, 2, v12
	s_lshl_b64 s[0:1], s[0:1], 2
	v_mov_b32_e32 v13, 0
	s_add_u32 s0, s16, s0
	s_addc_u32 s1, s17, s1
	v_and_b32_e32 v3, 0x3e00, v3
	v_add_co_u32 v4, s0, s0, v4
	v_add_co_ci_u32_e64 v5, null, s1, 0, s0
	s_add_u32 s1, s4, 0x58
	v_add_co_u32 v6, vcc_lo, v4, v3
	v_add_co_ci_u32_e64 v7, null, 0, v5, vcc_lo
	s_addc_u32 s2, s5, 0
	global_load_dword v8, v[6:7], off
	s_clause 0x1
	s_load_dword s0, s[4:5], 0x64
	s_load_dword s7, s[4:5], 0x58
	s_waitcnt lgkmcnt(0)
	s_lshr_b32 s3, s0, 16
	s_cmp_lt_u32 s6, s7
	v_mad_u32_u24 v1, v2, s3, v1
	s_cselect_b32 s0, 12, 18
	s_add_u32 s0, s1, s0
	s_addc_u32 s1, s2, 0
	global_load_ushort v10, v13, s[0:1]
	s_clause 0x2
	global_load_dword v5, v[6:7], off offset:128
	global_load_dword v4, v[6:7], off offset:256
	;; [unrolled: 1-line block ×3, first 2 shown]
	s_lshl_b32 s0, -1, s21
	s_not_b32 s8, s0
	s_waitcnt vmcnt(4)
	v_xor_b32_e32 v9, 0x80000000, v8
	v_lshrrev_b32_e32 v6, s20, v9
	v_and_b32_e32 v6, s8, v6
	v_and_b32_e32 v7, 1, v6
	v_lshlrev_b32_e32 v8, 30, v6
	v_lshlrev_b32_e32 v14, 29, v6
	;; [unrolled: 1-line block ×4, first 2 shown]
	v_add_co_u32 v7, s0, v7, -1
	v_cndmask_b32_e64 v16, 0, 1, s0
	v_not_b32_e32 v20, v8
	v_cmp_gt_i32_e64 s0, 0, v8
	v_not_b32_e32 v8, v14
	v_lshlrev_b32_e32 v18, 26, v6
	v_cmp_ne_u32_e32 vcc_lo, 0, v16
	v_ashrrev_i32_e32 v20, 31, v20
	v_lshlrev_b32_e32 v19, 25, v6
	v_ashrrev_i32_e32 v8, 31, v8
	v_lshlrev_b32_e32 v16, 24, v6
	v_xor_b32_e32 v7, vcc_lo, v7
	v_cmp_gt_i32_e32 vcc_lo, 0, v14
	v_not_b32_e32 v14, v15
	v_xor_b32_e32 v20, s0, v20
	v_cmp_gt_i32_e64 s0, 0, v15
	v_and_b32_e32 v7, exec_lo, v7
	v_not_b32_e32 v15, v17
	v_ashrrev_i32_e32 v14, 31, v14
	v_xor_b32_e32 v8, vcc_lo, v8
	v_cmp_gt_i32_e32 vcc_lo, 0, v17
	v_and_b32_e32 v7, v7, v20
	v_not_b32_e32 v17, v18
	v_ashrrev_i32_e32 v15, 31, v15
	v_xor_b32_e32 v14, s0, v14
	v_cmp_gt_i32_e64 s0, 0, v18
	v_and_b32_e32 v7, v7, v8
	v_not_b32_e32 v8, v19
	v_ashrrev_i32_e32 v17, 31, v17
	v_xor_b32_e32 v15, vcc_lo, v15
	v_cmp_gt_i32_e32 vcc_lo, 0, v19
	v_and_b32_e32 v7, v7, v14
	v_not_b32_e32 v14, v16
	v_ashrrev_i32_e32 v8, 31, v8
	v_xor_b32_e32 v17, s0, v17
	v_cmp_gt_i32_e64 s0, 0, v16
	v_and_b32_e32 v7, v7, v15
	v_ashrrev_i32_e32 v15, 31, v14
	v_xor_b32_e32 v8, vcc_lo, v8
	s_waitcnt vmcnt(3)
	v_mad_u64_u32 v[1:2], null, v1, v10, v[0:1]
	v_and_b32_e32 v7, v7, v17
	v_xor_b32_e32 v2, s0, v15
	v_mul_lo_u32 v6, 0x84, v6
	v_mul_u32_u24_e32 v14, 36, v0
	v_and_b32_e32 v7, v7, v8
	v_lshrrev_b32_e32 v1, 3, v1
	ds_write2_b32 v14, v13, v13 offset0:32 offset1:33
	ds_write2_b32 v14, v13, v13 offset0:34 offset1:35
	;; [unrolled: 1-line block ×3, first 2 shown]
	v_and_b32_e32 v2, v7, v2
	v_and_b32_e32 v1, 0x1ffffffc, v1
	ds_write2_b32 v14, v13, v13 offset0:38 offset1:39
	ds_write_b32 v14, v13 offset:160
	s_waitcnt vmcnt(0) lgkmcnt(0)
	s_waitcnt_vscnt null, 0x0
	s_barrier
	v_mbcnt_lo_u32_b32 v10, v2, 0
	v_cmp_ne_u32_e64 s0, 0, v2
	v_add_nc_u32_e32 v15, v1, v6
	buffer_gl0_inv
	v_cmp_eq_u32_e32 vcc_lo, 0, v10
	; wave barrier
	s_and_b32 s1, s0, vcc_lo
	s_and_saveexec_b32 s0, s1
; %bb.50:
	v_bcnt_u32_b32 v2, v2, 0
	ds_write_b32 v15, v2 offset:128
; %bb.51:
	s_or_b32 exec_lo, exec_lo, s0
	v_xor_b32_e32 v13, 0x80000000, v5
	; wave barrier
	v_lshrrev_b32_e32 v2, s20, v13
	v_and_b32_e32 v2, s8, v2
	v_and_b32_e32 v6, 1, v2
	v_lshlrev_b32_e32 v7, 30, v2
	v_lshlrev_b32_e32 v8, 29, v2
	;; [unrolled: 1-line block ×4, first 2 shown]
	v_add_co_u32 v6, s0, v6, -1
	v_cndmask_b32_e64 v17, 0, 1, s0
	v_not_b32_e32 v21, v7
	v_cmp_gt_i32_e64 s0, 0, v7
	v_not_b32_e32 v7, v8
	v_lshlrev_b32_e32 v19, 26, v2
	v_cmp_ne_u32_e32 vcc_lo, 0, v17
	v_ashrrev_i32_e32 v17, 31, v21
	v_lshlrev_b32_e32 v20, 25, v2
	v_ashrrev_i32_e32 v7, 31, v7
	v_mul_lo_u32 v5, 0x84, v2
	v_xor_b32_e32 v6, vcc_lo, v6
	v_cmp_gt_i32_e32 vcc_lo, 0, v8
	v_not_b32_e32 v8, v16
	v_xor_b32_e32 v17, s0, v17
	v_cmp_gt_i32_e64 s0, 0, v16
	v_and_b32_e32 v6, exec_lo, v6
	v_not_b32_e32 v16, v18
	v_ashrrev_i32_e32 v8, 31, v8
	v_xor_b32_e32 v7, vcc_lo, v7
	v_cmp_gt_i32_e32 vcc_lo, 0, v18
	v_and_b32_e32 v6, v6, v17
	v_not_b32_e32 v17, v19
	v_ashrrev_i32_e32 v16, 31, v16
	v_xor_b32_e32 v8, s0, v8
	v_lshlrev_b32_e32 v2, 24, v2
	v_and_b32_e32 v6, v6, v7
	v_cmp_gt_i32_e64 s0, 0, v19
	v_not_b32_e32 v7, v20
	v_ashrrev_i32_e32 v17, 31, v17
	v_xor_b32_e32 v16, vcc_lo, v16
	v_and_b32_e32 v6, v6, v8
	v_cmp_gt_i32_e32 vcc_lo, 0, v20
	v_not_b32_e32 v8, v2
	v_ashrrev_i32_e32 v7, 31, v7
	v_xor_b32_e32 v17, s0, v17
	v_and_b32_e32 v6, v6, v16
	v_cmp_gt_i32_e64 s0, 0, v2
	v_ashrrev_i32_e32 v2, 31, v8
	v_xor_b32_e32 v7, vcc_lo, v7
	v_add_nc_u32_e32 v19, v1, v5
	v_and_b32_e32 v6, v6, v17
	v_xor_b32_e32 v2, s0, v2
	ds_read_b32 v16, v19 offset:128
	v_and_b32_e32 v5, v6, v7
	; wave barrier
	v_and_b32_e32 v2, v5, v2
	v_mbcnt_lo_u32_b32 v18, v2, 0
	v_cmp_ne_u32_e64 s0, 0, v2
	v_cmp_eq_u32_e32 vcc_lo, 0, v18
	s_and_b32 s1, s0, vcc_lo
	s_and_saveexec_b32 s0, s1
	s_cbranch_execz .LBB1297_53
; %bb.52:
	s_waitcnt lgkmcnt(0)
	v_bcnt_u32_b32 v2, v2, v16
	ds_write_b32 v19, v2 offset:128
.LBB1297_53:
	s_or_b32 exec_lo, exec_lo, s0
	v_xor_b32_e32 v17, 0x80000000, v4
	; wave barrier
	v_lshrrev_b32_e32 v2, s20, v17
	v_and_b32_e32 v2, s8, v2
	v_and_b32_e32 v5, 1, v2
	v_lshlrev_b32_e32 v6, 30, v2
	v_lshlrev_b32_e32 v7, 29, v2
	;; [unrolled: 1-line block ×4, first 2 shown]
	v_add_co_u32 v5, s0, v5, -1
	v_cndmask_b32_e64 v20, 0, 1, s0
	v_not_b32_e32 v24, v6
	v_cmp_gt_i32_e64 s0, 0, v6
	v_not_b32_e32 v6, v7
	v_lshlrev_b32_e32 v22, 26, v2
	v_cmp_ne_u32_e32 vcc_lo, 0, v20
	v_ashrrev_i32_e32 v20, 31, v24
	v_lshlrev_b32_e32 v23, 25, v2
	v_ashrrev_i32_e32 v6, 31, v6
	v_mul_lo_u32 v4, 0x84, v2
	v_xor_b32_e32 v5, vcc_lo, v5
	v_cmp_gt_i32_e32 vcc_lo, 0, v7
	v_not_b32_e32 v7, v8
	v_xor_b32_e32 v20, s0, v20
	v_cmp_gt_i32_e64 s0, 0, v8
	v_and_b32_e32 v5, exec_lo, v5
	v_not_b32_e32 v8, v21
	v_ashrrev_i32_e32 v7, 31, v7
	v_xor_b32_e32 v6, vcc_lo, v6
	v_cmp_gt_i32_e32 vcc_lo, 0, v21
	v_and_b32_e32 v5, v5, v20
	v_not_b32_e32 v20, v22
	v_ashrrev_i32_e32 v8, 31, v8
	v_xor_b32_e32 v7, s0, v7
	v_lshlrev_b32_e32 v2, 24, v2
	v_and_b32_e32 v5, v5, v6
	v_cmp_gt_i32_e64 s0, 0, v22
	v_not_b32_e32 v6, v23
	v_ashrrev_i32_e32 v20, 31, v20
	v_xor_b32_e32 v8, vcc_lo, v8
	v_and_b32_e32 v5, v5, v7
	v_cmp_gt_i32_e32 vcc_lo, 0, v23
	v_not_b32_e32 v7, v2
	v_ashrrev_i32_e32 v6, 31, v6
	v_xor_b32_e32 v20, s0, v20
	v_and_b32_e32 v5, v5, v8
	v_cmp_gt_i32_e64 s0, 0, v2
	v_ashrrev_i32_e32 v2, 31, v7
	v_xor_b32_e32 v6, vcc_lo, v6
	v_add_nc_u32_e32 v23, v1, v4
	v_and_b32_e32 v5, v5, v20
	v_xor_b32_e32 v2, s0, v2
	ds_read_b32 v20, v23 offset:128
	v_and_b32_e32 v4, v5, v6
	; wave barrier
	v_and_b32_e32 v2, v4, v2
	v_mbcnt_lo_u32_b32 v22, v2, 0
	v_cmp_ne_u32_e64 s0, 0, v2
	v_cmp_eq_u32_e32 vcc_lo, 0, v22
	s_and_b32 s1, s0, vcc_lo
	s_and_saveexec_b32 s0, s1
	s_cbranch_execz .LBB1297_55
; %bb.54:
	s_waitcnt lgkmcnt(0)
	v_bcnt_u32_b32 v2, v2, v20
	ds_write_b32 v23, v2 offset:128
.LBB1297_55:
	s_or_b32 exec_lo, exec_lo, s0
	v_xor_b32_e32 v21, 0x80000000, v3
	; wave barrier
	v_lshrrev_b32_e32 v2, s20, v21
	v_and_b32_e32 v2, s8, v2
	v_and_b32_e32 v4, 1, v2
	v_lshlrev_b32_e32 v5, 30, v2
	v_lshlrev_b32_e32 v6, 29, v2
	;; [unrolled: 1-line block ×4, first 2 shown]
	v_add_co_u32 v4, s0, v4, -1
	v_cndmask_b32_e64 v8, 0, 1, s0
	v_not_b32_e32 v27, v5
	v_cmp_gt_i32_e64 s0, 0, v5
	v_not_b32_e32 v5, v6
	v_lshlrev_b32_e32 v25, 26, v2
	v_cmp_ne_u32_e32 vcc_lo, 0, v8
	v_ashrrev_i32_e32 v8, 31, v27
	v_lshlrev_b32_e32 v26, 25, v2
	v_ashrrev_i32_e32 v5, 31, v5
	v_mul_lo_u32 v3, 0x84, v2
	v_xor_b32_e32 v4, vcc_lo, v4
	v_cmp_gt_i32_e32 vcc_lo, 0, v6
	v_not_b32_e32 v6, v7
	v_xor_b32_e32 v8, s0, v8
	v_cmp_gt_i32_e64 s0, 0, v7
	v_and_b32_e32 v4, exec_lo, v4
	v_not_b32_e32 v7, v24
	v_ashrrev_i32_e32 v6, 31, v6
	v_xor_b32_e32 v5, vcc_lo, v5
	v_cmp_gt_i32_e32 vcc_lo, 0, v24
	v_and_b32_e32 v4, v4, v8
	v_not_b32_e32 v8, v25
	v_ashrrev_i32_e32 v7, 31, v7
	v_xor_b32_e32 v6, s0, v6
	v_lshlrev_b32_e32 v2, 24, v2
	v_and_b32_e32 v4, v4, v5
	v_cmp_gt_i32_e64 s0, 0, v25
	v_not_b32_e32 v5, v26
	v_ashrrev_i32_e32 v8, 31, v8
	v_xor_b32_e32 v7, vcc_lo, v7
	v_and_b32_e32 v4, v4, v6
	v_cmp_gt_i32_e32 vcc_lo, 0, v26
	v_not_b32_e32 v6, v2
	v_ashrrev_i32_e32 v5, 31, v5
	v_xor_b32_e32 v8, s0, v8
	v_and_b32_e32 v4, v4, v7
	v_cmp_gt_i32_e64 s0, 0, v2
	v_ashrrev_i32_e32 v2, 31, v6
	v_xor_b32_e32 v5, vcc_lo, v5
	v_add_nc_u32_e32 v26, v1, v3
	v_and_b32_e32 v4, v4, v8
	v_xor_b32_e32 v1, s0, v2
	ds_read_b32 v24, v26 offset:128
	v_and_b32_e32 v2, v4, v5
	; wave barrier
	v_and_b32_e32 v1, v2, v1
	v_mbcnt_lo_u32_b32 v25, v1, 0
	v_cmp_ne_u32_e64 s0, 0, v1
	v_cmp_eq_u32_e32 vcc_lo, 0, v25
	s_and_b32 s1, s0, vcc_lo
	s_and_saveexec_b32 s0, s1
	s_cbranch_execz .LBB1297_57
; %bb.56:
	s_waitcnt lgkmcnt(0)
	v_bcnt_u32_b32 v1, v1, v24
	ds_write_b32 v26, v1 offset:128
.LBB1297_57:
	s_or_b32 exec_lo, exec_lo, s0
	; wave barrier
	s_waitcnt lgkmcnt(0)
	s_barrier
	buffer_gl0_inv
	ds_read2_b32 v[7:8], v14 offset0:32 offset1:33
	ds_read2_b32 v[5:6], v14 offset0:34 offset1:35
	ds_read2_b32 v[3:4], v14 offset0:36 offset1:37
	ds_read2_b32 v[1:2], v14 offset0:38 offset1:39
	ds_read_b32 v27, v14 offset:160
	v_and_b32_e32 v30, 16, v12
	v_and_b32_e32 v31, 31, v0
	s_mov_b32 s5, exec_lo
	v_cmp_eq_u32_e64 s3, 0, v30
	s_waitcnt lgkmcnt(3)
	v_add3_u32 v28, v8, v7, v5
	s_waitcnt lgkmcnt(2)
	v_add3_u32 v28, v28, v6, v3
	;; [unrolled: 2-line block ×4, first 2 shown]
	v_and_b32_e32 v28, 15, v12
	v_mov_b32_dpp v29, v27 row_shr:1 row_mask:0xf bank_mask:0xf
	v_cmp_eq_u32_e32 vcc_lo, 0, v28
	v_cmp_lt_u32_e64 s0, 1, v28
	v_cmp_lt_u32_e64 s1, 3, v28
	;; [unrolled: 1-line block ×3, first 2 shown]
	v_cndmask_b32_e64 v29, v29, 0, vcc_lo
	v_add_nc_u32_e32 v27, v29, v27
	v_mov_b32_dpp v29, v27 row_shr:2 row_mask:0xf bank_mask:0xf
	v_cndmask_b32_e64 v29, 0, v29, s0
	v_add_nc_u32_e32 v27, v27, v29
	v_mov_b32_dpp v29, v27 row_shr:4 row_mask:0xf bank_mask:0xf
	v_cndmask_b32_e64 v29, 0, v29, s1
	;; [unrolled: 3-line block ×3, first 2 shown]
	v_bfe_i32 v29, v12, 4, 1
	v_add_nc_u32_e32 v27, v27, v28
	ds_swizzle_b32 v28, v27 offset:swizzle(BROADCAST,32,15)
	s_waitcnt lgkmcnt(0)
	v_and_b32_e32 v29, v29, v28
	v_lshrrev_b32_e32 v28, 5, v0
	v_add_nc_u32_e32 v27, v27, v29
	v_cmpx_eq_u32_e32 31, v31
; %bb.58:
	v_lshlrev_b32_e32 v29, 2, v28
	ds_write_b32 v29, v27
; %bb.59:
	s_or_b32 exec_lo, exec_lo, s5
	v_cmp_lt_u32_e64 s4, 31, v0
	s_mov_b32 s9, exec_lo
	s_waitcnt lgkmcnt(0)
	s_barrier
	buffer_gl0_inv
	v_cmpx_gt_u32_e32 32, v0
	s_cbranch_execz .LBB1297_61
; %bb.60:
	ds_read_b32 v29, v11
	s_waitcnt lgkmcnt(0)
	v_mov_b32_dpp v30, v29 row_shr:1 row_mask:0xf bank_mask:0xf
	v_cndmask_b32_e64 v30, v30, 0, vcc_lo
	v_add_nc_u32_e32 v29, v30, v29
	v_mov_b32_dpp v30, v29 row_shr:2 row_mask:0xf bank_mask:0xf
	v_cndmask_b32_e64 v30, 0, v30, s0
	v_add_nc_u32_e32 v29, v29, v30
	v_mov_b32_dpp v30, v29 row_shr:4 row_mask:0xf bank_mask:0xf
	v_cndmask_b32_e64 v30, 0, v30, s1
	;; [unrolled: 3-line block ×3, first 2 shown]
	v_add_nc_u32_e32 v29, v29, v30
	ds_swizzle_b32 v30, v29 offset:swizzle(BROADCAST,32,15)
	s_waitcnt lgkmcnt(0)
	v_cndmask_b32_e64 v30, v30, 0, s3
	v_add_nc_u32_e32 v29, v29, v30
	ds_write_b32 v11, v29
.LBB1297_61:
	s_or_b32 exec_lo, exec_lo, s9
	v_mov_b32_e32 v29, 0
	s_waitcnt lgkmcnt(0)
	s_barrier
	buffer_gl0_inv
	s_and_saveexec_b32 s0, s4
; %bb.62:
	v_lshl_add_u32 v28, v28, 2, -4
	ds_read_b32 v29, v28
; %bb.63:
	s_or_b32 exec_lo, exec_lo, s0
	v_sub_co_u32 v28, vcc_lo, v12, 1
	s_waitcnt lgkmcnt(0)
	v_add_nc_u32_e32 v27, v29, v27
	v_cmp_gt_i32_e64 s0, 0, v28
	v_cndmask_b32_e64 v12, v28, v12, s0
	v_cmp_gt_u32_e64 s0, 0x100, v0
	v_lshlrev_b32_e32 v12, 2, v12
	ds_bpermute_b32 v12, v12, v27
	s_waitcnt lgkmcnt(0)
	v_cndmask_b32_e32 v12, v12, v29, vcc_lo
	v_cmp_ne_u32_e32 vcc_lo, 0, v0
	v_cndmask_b32_e32 v12, 0, v12, vcc_lo
	v_cmp_lt_u32_e32 vcc_lo, 0xff, v0
	v_add_nc_u32_e32 v7, v12, v7
	v_add_nc_u32_e32 v8, v7, v8
	;; [unrolled: 1-line block ×8, first 2 shown]
	ds_write2_b32 v14, v12, v7 offset0:32 offset1:33
	ds_write2_b32 v14, v8, v5 offset0:34 offset1:35
	;; [unrolled: 1-line block ×4, first 2 shown]
	ds_write_b32 v14, v2 offset:160
	s_waitcnt lgkmcnt(0)
	s_barrier
	buffer_gl0_inv
	ds_read_b32 v1, v15 offset:128
	ds_read_b32 v4, v19 offset:128
	;; [unrolled: 1-line block ×4, first 2 shown]
                                        ; implicit-def: $vgpr7
                                        ; implicit-def: $vgpr8
	s_and_saveexec_b32 s2, s0
	s_cbranch_execz .LBB1297_67
; %bb.64:
	v_mul_u32_u24_e32 v5, 0x84, v0
	v_add_nc_u32_e32 v6, 1, v0
	s_mov_b32 s3, exec_lo
	ds_read_b32 v7, v5 offset:128
	v_mov_b32_e32 v5, 0x1000
	v_cmpx_ne_u32_e32 0x100, v6
; %bb.65:
	v_mul_u32_u24_e32 v5, 0x84, v6
	ds_read_b32 v5, v5 offset:128
; %bb.66:
	s_or_b32 exec_lo, exec_lo, s3
	s_waitcnt lgkmcnt(0)
	v_sub_nc_u32_e32 v8, v5, v7
.LBB1297_67:
	s_or_b32 exec_lo, exec_lo, s2
	v_lshlrev_b32_e32 v5, 2, v10
	v_lshlrev_b32_e32 v10, 2, v16
	;; [unrolled: 1-line block ×4, first 2 shown]
	s_waitcnt lgkmcnt(0)
	v_lshlrev_b32_e32 v2, 2, v2
	v_lshlrev_b32_e32 v6, 2, v18
	;; [unrolled: 1-line block ×6, first 2 shown]
	v_lshl_add_u32 v1, v1, 2, v5
	v_add3_u32 v5, v15, v16, v2
	v_mov_b32_e32 v2, 0
	v_add3_u32 v4, v6, v10, v4
	v_add3_u32 v3, v12, v14, v3
	s_barrier
	buffer_gl0_inv
	ds_write_b32 v1, v9 offset:1024
	ds_write_b32 v4, v13 offset:1024
	ds_write_b32 v3, v17 offset:1024
	ds_write_b32 v5, v21 offset:1024
	s_and_saveexec_b32 s1, s0
	s_cbranch_execz .LBB1297_77
; %bb.68:
	v_lshl_add_u32 v1, s6, 8, v0
	v_mov_b32_e32 v9, 0
	s_mov_b32 s2, 0
	s_mov_b32 s3, s6
	v_lshlrev_b64 v[3:4], 2, v[1:2]
	v_or_b32_e32 v1, 2.0, v8
	v_add_co_u32 v3, s0, s10, v3
	v_add_co_ci_u32_e64 v4, null, s11, v4, s0
                                        ; implicit-def: $sgpr0
	global_store_dword v[3:4], v1, off
	s_branch .LBB1297_71
	.p2align	6
.LBB1297_69:                            ;   in Loop: Header=BB1297_71 Depth=1
	s_or_b32 exec_lo, exec_lo, s5
.LBB1297_70:                            ;   in Loop: Header=BB1297_71 Depth=1
	s_or_b32 exec_lo, exec_lo, s4
	v_and_b32_e32 v5, 0x3fffffff, v1
	v_cmp_gt_i32_e64 s0, -2.0, v1
	v_add_nc_u32_e32 v9, v5, v9
	s_and_b32 s4, exec_lo, s0
	s_or_b32 s2, s4, s2
	s_andn2_b32 exec_lo, exec_lo, s2
	s_cbranch_execz .LBB1297_76
.LBB1297_71:                            ; =>This Loop Header: Depth=1
                                        ;     Child Loop BB1297_74 Depth 2
	s_or_b32 s0, s0, exec_lo
	s_cmp_eq_u32 s3, 0
	s_cbranch_scc1 .LBB1297_75
; %bb.72:                               ;   in Loop: Header=BB1297_71 Depth=1
	s_add_i32 s3, s3, -1
	s_mov_b32 s4, exec_lo
	v_lshl_or_b32 v1, s3, 8, v0
	v_lshlrev_b64 v[5:6], 2, v[1:2]
	v_add_co_u32 v5, s0, s10, v5
	v_add_co_ci_u32_e64 v6, null, s11, v6, s0
	global_load_dword v1, v[5:6], off glc dlc
	s_waitcnt vmcnt(0)
	v_cmpx_gt_u32_e32 2.0, v1
	s_cbranch_execz .LBB1297_70
; %bb.73:                               ;   in Loop: Header=BB1297_71 Depth=1
	s_mov_b32 s5, 0
.LBB1297_74:                            ;   Parent Loop BB1297_71 Depth=1
                                        ; =>  This Inner Loop Header: Depth=2
	global_load_dword v1, v[5:6], off glc dlc
	s_waitcnt vmcnt(0)
	v_cmp_lt_u32_e64 s0, 0x3fffffff, v1
	s_or_b32 s5, s0, s5
	s_andn2_b32 exec_lo, exec_lo, s5
	s_cbranch_execnz .LBB1297_74
	s_branch .LBB1297_69
.LBB1297_75:                            ;   in Loop: Header=BB1297_71 Depth=1
                                        ; implicit-def: $sgpr3
	s_and_b32 s4, exec_lo, s0
	s_or_b32 s2, s4, s2
	s_andn2_b32 exec_lo, exec_lo, s2
	s_cbranch_execnz .LBB1297_71
.LBB1297_76:
	s_or_b32 exec_lo, exec_lo, s2
	v_add_nc_u32_e32 v1, v9, v8
	v_sub_nc_u32_e32 v2, v9, v7
	v_or_b32_e32 v1, 0x80000000, v1
	global_store_dword v[3:4], v1, off
	global_load_dword v1, v11, s[12:13]
	s_waitcnt vmcnt(0)
	v_add_nc_u32_e32 v1, v2, v1
	ds_write_b32 v11, v1
.LBB1297_77:
	s_or_b32 exec_lo, exec_lo, s1
	s_waitcnt lgkmcnt(0)
	s_waitcnt_vscnt null, 0x0
	s_barrier
	buffer_gl0_inv
	ds_read2st64_b32 v[1:2], v11 offset0:4 offset1:20
	ds_read2st64_b32 v[3:4], v11 offset0:36 offset1:52
	s_add_i32 s7, s7, -1
	s_cmp_eq_u32 s6, s7
	s_waitcnt lgkmcnt(1)
	v_lshrrev_b32_e32 v5, s20, v1
	v_lshrrev_b32_e32 v6, s20, v2
	s_waitcnt lgkmcnt(0)
	v_lshrrev_b32_e32 v9, s20, v3
	v_lshrrev_b32_e32 v10, s20, v4
	v_xor_b32_e32 v15, 0x80000000, v1
	v_and_b32_e32 v5, s8, v5
	v_and_b32_e32 v6, s8, v6
	;; [unrolled: 1-line block ×3, first 2 shown]
	v_xor_b32_e32 v16, 0x80000000, v2
	v_xor_b32_e32 v4, 0x80000000, v4
	v_lshlrev_b32_e32 v5, 2, v5
	v_lshlrev_b32_e32 v6, 2, v6
	ds_read_b32 v5, v5
	ds_read_b32 v12, v6
	v_lshlrev_b32_e32 v6, 2, v9
	v_and_b32_e32 v9, s8, v10
	ds_read_b32 v13, v6
	v_lshlrev_b32_e32 v6, 2, v9
	ds_read_b32 v14, v6
	v_mov_b32_e32 v6, 0
	s_waitcnt lgkmcnt(3)
	v_add_nc_u32_e32 v5, v5, v0
	v_lshlrev_b64 v[9:10], 2, v[5:6]
	s_waitcnt lgkmcnt(2)
	v_add3_u32 v5, v12, v0, 0x400
	v_lshlrev_b64 v[1:2], 2, v[5:6]
	s_waitcnt lgkmcnt(1)
	v_add3_u32 v5, v13, v0, 0x800
	v_add_co_u32 v9, s0, s18, v9
	v_add_co_ci_u32_e64 v10, null, s19, v10, s0
	v_lshlrev_b64 v[12:13], 2, v[5:6]
	s_waitcnt lgkmcnt(0)
	v_add3_u32 v5, v14, v0, 0xc00
	v_add_co_u32 v0, s0, s18, v1
	v_add_co_ci_u32_e64 v1, null, s19, v2, s0
	v_xor_b32_e32 v14, 0x80000000, v3
	v_lshlrev_b64 v[2:3], 2, v[5:6]
	global_store_dword v[9:10], v15, off
	global_store_dword v[0:1], v16, off
	v_add_co_u32 v0, s0, s18, v12
	v_add_co_ci_u32_e64 v1, null, s19, v13, s0
	v_add_co_u32 v2, s0, s18, v2
	v_add_co_ci_u32_e64 v3, null, s19, v3, s0
	s_cselect_b32 s0, -1, 0
	s_xor_b32 s1, vcc_lo, -1
	global_store_dword v[0:1], v14, off
	s_and_b32 s0, s1, s0
	global_store_dword v[2:3], v4, off
	s_and_saveexec_b32 s1, s0
	s_cbranch_execz .LBB1297_79
; %bb.78:
	ds_read_b32 v0, v11
	s_waitcnt lgkmcnt(0)
	v_add3_u32 v0, v7, v8, v0
	global_store_dword v11, v0, s[14:15]
.LBB1297_79:
	s_endpgm
	.section	.rodata,"a",@progbits
	.p2align	6, 0x0
	.amdhsa_kernel _ZN7rocprim17ROCPRIM_400000_NS6detail17trampoline_kernelINS0_14default_configENS1_35radix_sort_onesweep_config_selectorIiNS0_10empty_typeEEEZZNS1_29radix_sort_onesweep_iterationIS3_Lb0EN6thrust23THRUST_200600_302600_NS10device_ptrIiEESB_PS5_SC_jNS0_19identity_decomposerENS1_16block_id_wrapperIjLb0EEEEE10hipError_tT1_PNSt15iterator_traitsISH_E10value_typeET2_T3_PNSI_ISN_E10value_typeET4_T5_PSS_ST_PNS1_23onesweep_lookback_stateEbbT6_jjT7_P12ihipStream_tbENKUlT_T0_SH_SM_E_clIPiSB_SC_SC_EEDaS10_S11_SH_SM_EUlS10_E_NS1_11comp_targetILNS1_3genE8ELNS1_11target_archE1030ELNS1_3gpuE2ELNS1_3repE0EEENS1_47radix_sort_onesweep_sort_config_static_selectorELNS0_4arch9wavefront6targetE0EEEvSH_
		.amdhsa_group_segment_fixed_size 37000
		.amdhsa_private_segment_fixed_size 0
		.amdhsa_kernarg_size 344
		.amdhsa_user_sgpr_count 6
		.amdhsa_user_sgpr_private_segment_buffer 1
		.amdhsa_user_sgpr_dispatch_ptr 0
		.amdhsa_user_sgpr_queue_ptr 0
		.amdhsa_user_sgpr_kernarg_segment_ptr 1
		.amdhsa_user_sgpr_dispatch_id 0
		.amdhsa_user_sgpr_flat_scratch_init 0
		.amdhsa_user_sgpr_private_segment_size 0
		.amdhsa_wavefront_size32 1
		.amdhsa_uses_dynamic_stack 0
		.amdhsa_system_sgpr_private_segment_wavefront_offset 0
		.amdhsa_system_sgpr_workgroup_id_x 1
		.amdhsa_system_sgpr_workgroup_id_y 0
		.amdhsa_system_sgpr_workgroup_id_z 0
		.amdhsa_system_sgpr_workgroup_info 0
		.amdhsa_system_vgpr_workitem_id 2
		.amdhsa_next_free_vgpr 34
		.amdhsa_next_free_sgpr 25
		.amdhsa_reserve_vcc 1
		.amdhsa_reserve_flat_scratch 0
		.amdhsa_float_round_mode_32 0
		.amdhsa_float_round_mode_16_64 0
		.amdhsa_float_denorm_mode_32 3
		.amdhsa_float_denorm_mode_16_64 3
		.amdhsa_dx10_clamp 1
		.amdhsa_ieee_mode 1
		.amdhsa_fp16_overflow 0
		.amdhsa_workgroup_processor_mode 1
		.amdhsa_memory_ordered 1
		.amdhsa_forward_progress 1
		.amdhsa_shared_vgpr_count 0
		.amdhsa_exception_fp_ieee_invalid_op 0
		.amdhsa_exception_fp_denorm_src 0
		.amdhsa_exception_fp_ieee_div_zero 0
		.amdhsa_exception_fp_ieee_overflow 0
		.amdhsa_exception_fp_ieee_underflow 0
		.amdhsa_exception_fp_ieee_inexact 0
		.amdhsa_exception_int_div_zero 0
	.end_amdhsa_kernel
	.section	.text._ZN7rocprim17ROCPRIM_400000_NS6detail17trampoline_kernelINS0_14default_configENS1_35radix_sort_onesweep_config_selectorIiNS0_10empty_typeEEEZZNS1_29radix_sort_onesweep_iterationIS3_Lb0EN6thrust23THRUST_200600_302600_NS10device_ptrIiEESB_PS5_SC_jNS0_19identity_decomposerENS1_16block_id_wrapperIjLb0EEEEE10hipError_tT1_PNSt15iterator_traitsISH_E10value_typeET2_T3_PNSI_ISN_E10value_typeET4_T5_PSS_ST_PNS1_23onesweep_lookback_stateEbbT6_jjT7_P12ihipStream_tbENKUlT_T0_SH_SM_E_clIPiSB_SC_SC_EEDaS10_S11_SH_SM_EUlS10_E_NS1_11comp_targetILNS1_3genE8ELNS1_11target_archE1030ELNS1_3gpuE2ELNS1_3repE0EEENS1_47radix_sort_onesweep_sort_config_static_selectorELNS0_4arch9wavefront6targetE0EEEvSH_,"axG",@progbits,_ZN7rocprim17ROCPRIM_400000_NS6detail17trampoline_kernelINS0_14default_configENS1_35radix_sort_onesweep_config_selectorIiNS0_10empty_typeEEEZZNS1_29radix_sort_onesweep_iterationIS3_Lb0EN6thrust23THRUST_200600_302600_NS10device_ptrIiEESB_PS5_SC_jNS0_19identity_decomposerENS1_16block_id_wrapperIjLb0EEEEE10hipError_tT1_PNSt15iterator_traitsISH_E10value_typeET2_T3_PNSI_ISN_E10value_typeET4_T5_PSS_ST_PNS1_23onesweep_lookback_stateEbbT6_jjT7_P12ihipStream_tbENKUlT_T0_SH_SM_E_clIPiSB_SC_SC_EEDaS10_S11_SH_SM_EUlS10_E_NS1_11comp_targetILNS1_3genE8ELNS1_11target_archE1030ELNS1_3gpuE2ELNS1_3repE0EEENS1_47radix_sort_onesweep_sort_config_static_selectorELNS0_4arch9wavefront6targetE0EEEvSH_,comdat
.Lfunc_end1297:
	.size	_ZN7rocprim17ROCPRIM_400000_NS6detail17trampoline_kernelINS0_14default_configENS1_35radix_sort_onesweep_config_selectorIiNS0_10empty_typeEEEZZNS1_29radix_sort_onesweep_iterationIS3_Lb0EN6thrust23THRUST_200600_302600_NS10device_ptrIiEESB_PS5_SC_jNS0_19identity_decomposerENS1_16block_id_wrapperIjLb0EEEEE10hipError_tT1_PNSt15iterator_traitsISH_E10value_typeET2_T3_PNSI_ISN_E10value_typeET4_T5_PSS_ST_PNS1_23onesweep_lookback_stateEbbT6_jjT7_P12ihipStream_tbENKUlT_T0_SH_SM_E_clIPiSB_SC_SC_EEDaS10_S11_SH_SM_EUlS10_E_NS1_11comp_targetILNS1_3genE8ELNS1_11target_archE1030ELNS1_3gpuE2ELNS1_3repE0EEENS1_47radix_sort_onesweep_sort_config_static_selectorELNS0_4arch9wavefront6targetE0EEEvSH_, .Lfunc_end1297-_ZN7rocprim17ROCPRIM_400000_NS6detail17trampoline_kernelINS0_14default_configENS1_35radix_sort_onesweep_config_selectorIiNS0_10empty_typeEEEZZNS1_29radix_sort_onesweep_iterationIS3_Lb0EN6thrust23THRUST_200600_302600_NS10device_ptrIiEESB_PS5_SC_jNS0_19identity_decomposerENS1_16block_id_wrapperIjLb0EEEEE10hipError_tT1_PNSt15iterator_traitsISH_E10value_typeET2_T3_PNSI_ISN_E10value_typeET4_T5_PSS_ST_PNS1_23onesweep_lookback_stateEbbT6_jjT7_P12ihipStream_tbENKUlT_T0_SH_SM_E_clIPiSB_SC_SC_EEDaS10_S11_SH_SM_EUlS10_E_NS1_11comp_targetILNS1_3genE8ELNS1_11target_archE1030ELNS1_3gpuE2ELNS1_3repE0EEENS1_47radix_sort_onesweep_sort_config_static_selectorELNS0_4arch9wavefront6targetE0EEEvSH_
                                        ; -- End function
	.set _ZN7rocprim17ROCPRIM_400000_NS6detail17trampoline_kernelINS0_14default_configENS1_35radix_sort_onesweep_config_selectorIiNS0_10empty_typeEEEZZNS1_29radix_sort_onesweep_iterationIS3_Lb0EN6thrust23THRUST_200600_302600_NS10device_ptrIiEESB_PS5_SC_jNS0_19identity_decomposerENS1_16block_id_wrapperIjLb0EEEEE10hipError_tT1_PNSt15iterator_traitsISH_E10value_typeET2_T3_PNSI_ISN_E10value_typeET4_T5_PSS_ST_PNS1_23onesweep_lookback_stateEbbT6_jjT7_P12ihipStream_tbENKUlT_T0_SH_SM_E_clIPiSB_SC_SC_EEDaS10_S11_SH_SM_EUlS10_E_NS1_11comp_targetILNS1_3genE8ELNS1_11target_archE1030ELNS1_3gpuE2ELNS1_3repE0EEENS1_47radix_sort_onesweep_sort_config_static_selectorELNS0_4arch9wavefront6targetE0EEEvSH_.num_vgpr, 34
	.set _ZN7rocprim17ROCPRIM_400000_NS6detail17trampoline_kernelINS0_14default_configENS1_35radix_sort_onesweep_config_selectorIiNS0_10empty_typeEEEZZNS1_29radix_sort_onesweep_iterationIS3_Lb0EN6thrust23THRUST_200600_302600_NS10device_ptrIiEESB_PS5_SC_jNS0_19identity_decomposerENS1_16block_id_wrapperIjLb0EEEEE10hipError_tT1_PNSt15iterator_traitsISH_E10value_typeET2_T3_PNSI_ISN_E10value_typeET4_T5_PSS_ST_PNS1_23onesweep_lookback_stateEbbT6_jjT7_P12ihipStream_tbENKUlT_T0_SH_SM_E_clIPiSB_SC_SC_EEDaS10_S11_SH_SM_EUlS10_E_NS1_11comp_targetILNS1_3genE8ELNS1_11target_archE1030ELNS1_3gpuE2ELNS1_3repE0EEENS1_47radix_sort_onesweep_sort_config_static_selectorELNS0_4arch9wavefront6targetE0EEEvSH_.num_agpr, 0
	.set _ZN7rocprim17ROCPRIM_400000_NS6detail17trampoline_kernelINS0_14default_configENS1_35radix_sort_onesweep_config_selectorIiNS0_10empty_typeEEEZZNS1_29radix_sort_onesweep_iterationIS3_Lb0EN6thrust23THRUST_200600_302600_NS10device_ptrIiEESB_PS5_SC_jNS0_19identity_decomposerENS1_16block_id_wrapperIjLb0EEEEE10hipError_tT1_PNSt15iterator_traitsISH_E10value_typeET2_T3_PNSI_ISN_E10value_typeET4_T5_PSS_ST_PNS1_23onesweep_lookback_stateEbbT6_jjT7_P12ihipStream_tbENKUlT_T0_SH_SM_E_clIPiSB_SC_SC_EEDaS10_S11_SH_SM_EUlS10_E_NS1_11comp_targetILNS1_3genE8ELNS1_11target_archE1030ELNS1_3gpuE2ELNS1_3repE0EEENS1_47radix_sort_onesweep_sort_config_static_selectorELNS0_4arch9wavefront6targetE0EEEvSH_.numbered_sgpr, 25
	.set _ZN7rocprim17ROCPRIM_400000_NS6detail17trampoline_kernelINS0_14default_configENS1_35radix_sort_onesweep_config_selectorIiNS0_10empty_typeEEEZZNS1_29radix_sort_onesweep_iterationIS3_Lb0EN6thrust23THRUST_200600_302600_NS10device_ptrIiEESB_PS5_SC_jNS0_19identity_decomposerENS1_16block_id_wrapperIjLb0EEEEE10hipError_tT1_PNSt15iterator_traitsISH_E10value_typeET2_T3_PNSI_ISN_E10value_typeET4_T5_PSS_ST_PNS1_23onesweep_lookback_stateEbbT6_jjT7_P12ihipStream_tbENKUlT_T0_SH_SM_E_clIPiSB_SC_SC_EEDaS10_S11_SH_SM_EUlS10_E_NS1_11comp_targetILNS1_3genE8ELNS1_11target_archE1030ELNS1_3gpuE2ELNS1_3repE0EEENS1_47radix_sort_onesweep_sort_config_static_selectorELNS0_4arch9wavefront6targetE0EEEvSH_.num_named_barrier, 0
	.set _ZN7rocprim17ROCPRIM_400000_NS6detail17trampoline_kernelINS0_14default_configENS1_35radix_sort_onesweep_config_selectorIiNS0_10empty_typeEEEZZNS1_29radix_sort_onesweep_iterationIS3_Lb0EN6thrust23THRUST_200600_302600_NS10device_ptrIiEESB_PS5_SC_jNS0_19identity_decomposerENS1_16block_id_wrapperIjLb0EEEEE10hipError_tT1_PNSt15iterator_traitsISH_E10value_typeET2_T3_PNSI_ISN_E10value_typeET4_T5_PSS_ST_PNS1_23onesweep_lookback_stateEbbT6_jjT7_P12ihipStream_tbENKUlT_T0_SH_SM_E_clIPiSB_SC_SC_EEDaS10_S11_SH_SM_EUlS10_E_NS1_11comp_targetILNS1_3genE8ELNS1_11target_archE1030ELNS1_3gpuE2ELNS1_3repE0EEENS1_47radix_sort_onesweep_sort_config_static_selectorELNS0_4arch9wavefront6targetE0EEEvSH_.private_seg_size, 0
	.set _ZN7rocprim17ROCPRIM_400000_NS6detail17trampoline_kernelINS0_14default_configENS1_35radix_sort_onesweep_config_selectorIiNS0_10empty_typeEEEZZNS1_29radix_sort_onesweep_iterationIS3_Lb0EN6thrust23THRUST_200600_302600_NS10device_ptrIiEESB_PS5_SC_jNS0_19identity_decomposerENS1_16block_id_wrapperIjLb0EEEEE10hipError_tT1_PNSt15iterator_traitsISH_E10value_typeET2_T3_PNSI_ISN_E10value_typeET4_T5_PSS_ST_PNS1_23onesweep_lookback_stateEbbT6_jjT7_P12ihipStream_tbENKUlT_T0_SH_SM_E_clIPiSB_SC_SC_EEDaS10_S11_SH_SM_EUlS10_E_NS1_11comp_targetILNS1_3genE8ELNS1_11target_archE1030ELNS1_3gpuE2ELNS1_3repE0EEENS1_47radix_sort_onesweep_sort_config_static_selectorELNS0_4arch9wavefront6targetE0EEEvSH_.uses_vcc, 1
	.set _ZN7rocprim17ROCPRIM_400000_NS6detail17trampoline_kernelINS0_14default_configENS1_35radix_sort_onesweep_config_selectorIiNS0_10empty_typeEEEZZNS1_29radix_sort_onesweep_iterationIS3_Lb0EN6thrust23THRUST_200600_302600_NS10device_ptrIiEESB_PS5_SC_jNS0_19identity_decomposerENS1_16block_id_wrapperIjLb0EEEEE10hipError_tT1_PNSt15iterator_traitsISH_E10value_typeET2_T3_PNSI_ISN_E10value_typeET4_T5_PSS_ST_PNS1_23onesweep_lookback_stateEbbT6_jjT7_P12ihipStream_tbENKUlT_T0_SH_SM_E_clIPiSB_SC_SC_EEDaS10_S11_SH_SM_EUlS10_E_NS1_11comp_targetILNS1_3genE8ELNS1_11target_archE1030ELNS1_3gpuE2ELNS1_3repE0EEENS1_47radix_sort_onesweep_sort_config_static_selectorELNS0_4arch9wavefront6targetE0EEEvSH_.uses_flat_scratch, 0
	.set _ZN7rocprim17ROCPRIM_400000_NS6detail17trampoline_kernelINS0_14default_configENS1_35radix_sort_onesweep_config_selectorIiNS0_10empty_typeEEEZZNS1_29radix_sort_onesweep_iterationIS3_Lb0EN6thrust23THRUST_200600_302600_NS10device_ptrIiEESB_PS5_SC_jNS0_19identity_decomposerENS1_16block_id_wrapperIjLb0EEEEE10hipError_tT1_PNSt15iterator_traitsISH_E10value_typeET2_T3_PNSI_ISN_E10value_typeET4_T5_PSS_ST_PNS1_23onesweep_lookback_stateEbbT6_jjT7_P12ihipStream_tbENKUlT_T0_SH_SM_E_clIPiSB_SC_SC_EEDaS10_S11_SH_SM_EUlS10_E_NS1_11comp_targetILNS1_3genE8ELNS1_11target_archE1030ELNS1_3gpuE2ELNS1_3repE0EEENS1_47radix_sort_onesweep_sort_config_static_selectorELNS0_4arch9wavefront6targetE0EEEvSH_.has_dyn_sized_stack, 0
	.set _ZN7rocprim17ROCPRIM_400000_NS6detail17trampoline_kernelINS0_14default_configENS1_35radix_sort_onesweep_config_selectorIiNS0_10empty_typeEEEZZNS1_29radix_sort_onesweep_iterationIS3_Lb0EN6thrust23THRUST_200600_302600_NS10device_ptrIiEESB_PS5_SC_jNS0_19identity_decomposerENS1_16block_id_wrapperIjLb0EEEEE10hipError_tT1_PNSt15iterator_traitsISH_E10value_typeET2_T3_PNSI_ISN_E10value_typeET4_T5_PSS_ST_PNS1_23onesweep_lookback_stateEbbT6_jjT7_P12ihipStream_tbENKUlT_T0_SH_SM_E_clIPiSB_SC_SC_EEDaS10_S11_SH_SM_EUlS10_E_NS1_11comp_targetILNS1_3genE8ELNS1_11target_archE1030ELNS1_3gpuE2ELNS1_3repE0EEENS1_47radix_sort_onesweep_sort_config_static_selectorELNS0_4arch9wavefront6targetE0EEEvSH_.has_recursion, 0
	.set _ZN7rocprim17ROCPRIM_400000_NS6detail17trampoline_kernelINS0_14default_configENS1_35radix_sort_onesweep_config_selectorIiNS0_10empty_typeEEEZZNS1_29radix_sort_onesweep_iterationIS3_Lb0EN6thrust23THRUST_200600_302600_NS10device_ptrIiEESB_PS5_SC_jNS0_19identity_decomposerENS1_16block_id_wrapperIjLb0EEEEE10hipError_tT1_PNSt15iterator_traitsISH_E10value_typeET2_T3_PNSI_ISN_E10value_typeET4_T5_PSS_ST_PNS1_23onesweep_lookback_stateEbbT6_jjT7_P12ihipStream_tbENKUlT_T0_SH_SM_E_clIPiSB_SC_SC_EEDaS10_S11_SH_SM_EUlS10_E_NS1_11comp_targetILNS1_3genE8ELNS1_11target_archE1030ELNS1_3gpuE2ELNS1_3repE0EEENS1_47radix_sort_onesweep_sort_config_static_selectorELNS0_4arch9wavefront6targetE0EEEvSH_.has_indirect_call, 0
	.section	.AMDGPU.csdata,"",@progbits
; Kernel info:
; codeLenInByte = 6652
; TotalNumSgprs: 27
; NumVgprs: 34
; ScratchSize: 0
; MemoryBound: 0
; FloatMode: 240
; IeeeMode: 1
; LDSByteSize: 37000 bytes/workgroup (compile time only)
; SGPRBlocks: 0
; VGPRBlocks: 4
; NumSGPRsForWavesPerEU: 27
; NumVGPRsForWavesPerEU: 34
; Occupancy: 16
; WaveLimiterHint : 1
; COMPUTE_PGM_RSRC2:SCRATCH_EN: 0
; COMPUTE_PGM_RSRC2:USER_SGPR: 6
; COMPUTE_PGM_RSRC2:TRAP_HANDLER: 0
; COMPUTE_PGM_RSRC2:TGID_X_EN: 1
; COMPUTE_PGM_RSRC2:TGID_Y_EN: 0
; COMPUTE_PGM_RSRC2:TGID_Z_EN: 0
; COMPUTE_PGM_RSRC2:TIDIG_COMP_CNT: 2
	.text
	.p2alignl 6, 3214868480
	.fill 48, 4, 3214868480
	.section	.AMDGPU.gpr_maximums,"",@progbits
	.set amdgpu.max_num_vgpr, 248
	.set amdgpu.max_num_agpr, 0
	.set amdgpu.max_num_sgpr, 96
	.text
	.type	.str.6,@object                  ; @.str.6
	.section	.rodata.str1.1,"aMS",@progbits,1
.str.6:
	.asciz	"temporary_buffer::allocate: get_temporary_buffer failed"
	.size	.str.6, 56

	.type	.str.7,@object                  ; @.str.7
.str.7:
	.asciz	"%s\n"
	.size	.str.7, 4

	.protected	_ZN7rocprim17ROCPRIM_400000_NS16block_radix_sortIiLj256ELj4ENS0_10empty_typeELj1ELj1ELj0ELNS0_26block_radix_rank_algorithmE1ELNS0_18block_padding_hintE2ELNS0_4arch9wavefront6targetE0EE19radix_bits_per_passE ; @_ZN7rocprim17ROCPRIM_400000_NS16block_radix_sortIiLj256ELj4ENS0_10empty_typeELj1ELj1ELj0ELNS0_26block_radix_rank_algorithmE1ELNS0_18block_padding_hintE2ELNS0_4arch9wavefront6targetE0EE19radix_bits_per_passE
	.type	_ZN7rocprim17ROCPRIM_400000_NS16block_radix_sortIiLj256ELj4ENS0_10empty_typeELj1ELj1ELj0ELNS0_26block_radix_rank_algorithmE1ELNS0_18block_padding_hintE2ELNS0_4arch9wavefront6targetE0EE19radix_bits_per_passE,@object
	.section	.rodata._ZN7rocprim17ROCPRIM_400000_NS16block_radix_sortIiLj256ELj4ENS0_10empty_typeELj1ELj1ELj0ELNS0_26block_radix_rank_algorithmE1ELNS0_18block_padding_hintE2ELNS0_4arch9wavefront6targetE0EE19radix_bits_per_passE,"aG",@progbits,_ZN7rocprim17ROCPRIM_400000_NS16block_radix_sortIiLj256ELj4ENS0_10empty_typeELj1ELj1ELj0ELNS0_26block_radix_rank_algorithmE1ELNS0_18block_padding_hintE2ELNS0_4arch9wavefront6targetE0EE19radix_bits_per_passE,comdat
	.weak	_ZN7rocprim17ROCPRIM_400000_NS16block_radix_sortIiLj256ELj4ENS0_10empty_typeELj1ELj1ELj0ELNS0_26block_radix_rank_algorithmE1ELNS0_18block_padding_hintE2ELNS0_4arch9wavefront6targetE0EE19radix_bits_per_passE
	.p2align	2, 0x0
_ZN7rocprim17ROCPRIM_400000_NS16block_radix_sortIiLj256ELj4ENS0_10empty_typeELj1ELj1ELj0ELNS0_26block_radix_rank_algorithmE1ELNS0_18block_padding_hintE2ELNS0_4arch9wavefront6targetE0EE19radix_bits_per_passE:
	.long	8                               ; 0x8
	.size	_ZN7rocprim17ROCPRIM_400000_NS16block_radix_sortIiLj256ELj4ENS0_10empty_typeELj1ELj1ELj0ELNS0_26block_radix_rank_algorithmE1ELNS0_18block_padding_hintE2ELNS0_4arch9wavefront6targetE0EE19radix_bits_per_passE, 4

	.type	__hip_cuid_fad09157ce377275,@object ; @__hip_cuid_fad09157ce377275
	.section	.bss,"aw",@nobits
	.globl	__hip_cuid_fad09157ce377275
__hip_cuid_fad09157ce377275:
	.byte	0                               ; 0x0
	.size	__hip_cuid_fad09157ce377275, 1

	.type	kinfo,@object                   ; @kinfo
	.section	.rodata,"a",@progbits
	.p2align	2, 0x0
kinfo:
	.long	130054                          ; 0x1fc06
	.long	129546                          ; 0x1fa0a
	;; [unrolled: 1-line block ×3, first 2 shown]
	.long	16288                           ; 0x3fa0
	.long	6                               ; 0x6
	.long	256                             ; 0x100
	.long	0                               ; 0x0
	.long	86927                           ; 0x1538f
	.long	86758                           ; 0x152e6
	;; [unrolled: 1-line block ×4, first 2 shown]
	.long	399                             ; 0x18f
	.long	512                             ; 0x200
	.long	0                               ; 0x0
	.long	65280                           ; 0xff00
	.long	64770                           ; 0xfd02
	;; [unrolled: 1-line block ×3, first 2 shown]
	.long	8192                            ; 0x2000
	.long	0                               ; 0x0
	.long	128                             ; 0x80
	.long	0                               ; 0x0
	.long	43576                           ; 0xaa38
	.long	43406                           ; 0xa98e
	;; [unrolled: 1-line block ×3, first 2 shown]
	.long	5504                            ; 0x1580
	.long	56                              ; 0x38
	.long	256                             ; 0x100
	.long	0                               ; 0x0
	.long	32703                           ; 0x7fbf
	.long	32193                           ; 0x7dc1
	;; [unrolled: 1-line block ×3, first 2 shown]
	.long	4160                            ; 0x1040
	.long	63                              ; 0x3f
	.long	64                              ; 0x40
	.long	0                               ; 0x0
	.long	21816                           ; 0x5538
	.long	21646                           ; 0x548e
	;; [unrolled: 1-line block ×3, first 2 shown]
	.long	2816                            ; 0xb00
	.long	56                              ; 0x38
	.long	128                             ; 0x80
	.long	0                               ; 0x0
	.long	16367                           ; 0x3fef
	.long	15856                           ; 0x3df0
	;; [unrolled: 1-line block ×3, first 2 shown]
	.long	2176                            ; 0x880
	.long	15                              ; 0xf
	.long	32                              ; 0x20
	.long	32768                           ; 0x8000
	.long	10915                           ; 0x2aa3
	;; [unrolled: 1-line block ×3, first 2 shown]
	.long	9133                            ; 0x23ad
	.long	1472                            ; 0x5c0
	.long	35                              ; 0x23
	.long	64                              ; 0x40
	.long	0                               ; 0x0
	.long	8187                            ; 0x1ffb
	.long	7676                            ; 0x1dfc
	;; [unrolled: 1-line block ×4, first 2 shown]
	.long	11                              ; 0xb
	.long	16                              ; 0x10
	.long	134219776                       ; 0x8000800
	.long	5459                            ; 0x1553
	.long	5289                            ; 0x14a9
	;; [unrolled: 1-line block ×3, first 2 shown]
	.long	896                             ; 0x380
	.long	19                              ; 0x13
	.long	32                              ; 0x20
	.long	524288                          ; 0x80000
	.long	4094                            ; 0xffe
	.long	3583                            ; 0xdff
	;; [unrolled: 1-line block ×4, first 2 shown]
	.long	6                               ; 0x6
	.long	8                               ; 0x8
	.long	1077952576                      ; 0x40404040
	.long	2730                            ; 0xaaa
	.long	2560                            ; 0xa00
	;; [unrolled: 1-line block ×3, first 2 shown]
	.long	512                             ; 0x200
	.long	10                              ; 0xa
	.long	16                              ; 0x10
	.long	67109888                        ; 0x4000400
	.long	2047                            ; 0x7ff
	.long	1536                            ; 0x600
	;; [unrolled: 1-line block ×4, first 2 shown]
	.long	3                               ; 0x3
	.long	4                               ; 0x4
	.long	2290649224                      ; 0x88888888
	.long	1365                            ; 0x555
	.long	1195                            ; 0x4ab
	.long	1015                            ; 0x3f7
	.long	512                             ; 0x200
	.long	5                               ; 0x5
	.long	8                               ; 0x8
	.long	538976288                       ; 0x20202020
	.long	1023                            ; 0x3ff
	.long	512                             ; 0x200
	.long	435                             ; 0x1b3
	.long	2048                            ; 0x800
	.long	1                               ; 0x1
	.long	2                               ; 0x2
	.long	2863311530                      ; 0xaaaaaaaa
	.long	682                             ; 0x2aa
	.long	512                             ; 0x200
	.long	435                             ; 0x1b3
	.long	2048                            ; 0x800
	.long	2                               ; 0x2
	.long	4                               ; 0x4
	.long	1145324612                      ; 0x44444444
	.size	kinfo, 448

	.ident	"AMD clang version 22.0.0git (https://github.com/RadeonOpenCompute/llvm-project roc-7.2.4 26084 f58b06dce1f9c15707c5f808fd002e18c2accf7e)"
	.section	".note.GNU-stack","",@progbits
	.addrsig
	.addrsig_sym __hip_cuid_fad09157ce377275
	.amdgpu_metadata
---
amdhsa.kernels:
  - .args:
      - .offset:         0
        .size:           4
        .value_kind:     by_value
      - .address_space:  global
        .offset:         8
        .size:           8
        .value_kind:     global_buffer
      - .offset:         16
        .size:           4
        .value_kind:     hidden_block_count_x
      - .offset:         20
        .size:           4
        .value_kind:     hidden_block_count_y
      - .offset:         24
        .size:           4
        .value_kind:     hidden_block_count_z
      - .offset:         28
        .size:           2
        .value_kind:     hidden_group_size_x
      - .offset:         30
        .size:           2
        .value_kind:     hidden_group_size_y
      - .offset:         32
        .size:           2
        .value_kind:     hidden_group_size_z
      - .offset:         34
        .size:           2
        .value_kind:     hidden_remainder_x
      - .offset:         36
        .size:           2
        .value_kind:     hidden_remainder_y
      - .offset:         38
        .size:           2
        .value_kind:     hidden_remainder_z
      - .offset:         56
        .size:           8
        .value_kind:     hidden_global_offset_x
      - .offset:         64
        .size:           8
        .value_kind:     hidden_global_offset_y
      - .offset:         72
        .size:           8
        .value_kind:     hidden_global_offset_z
      - .offset:         80
        .size:           2
        .value_kind:     hidden_grid_dims
      - .offset:         96
        .size:           8
        .value_kind:     hidden_hostcall_buffer
      - .offset:         112
        .size:           8
        .value_kind:     hidden_heap_v1
    .group_segment_fixed_size: 0
    .kernarg_segment_align: 8
    .kernarg_segment_size: 272
    .language:       OpenCL C
    .language_version:
      - 2
      - 0
    .max_flat_workgroup_size: 256
    .name:           _Z16StableSortKerneliPi
    .private_segment_fixed_size: 16
    .sgpr_count:     97
    .sgpr_spill_count: 0
    .symbol:         _Z16StableSortKerneliPi.kd
    .uniform_work_group_size: 1
    .uses_dynamic_stack: false
    .vgpr_count:     116
    .vgpr_spill_count: 0
    .wavefront_size: 32
    .workgroup_processor_mode: 1
  - .args:
      - .offset:         0
        .size:           16
        .value_kind:     by_value
      - .offset:         16
        .size:           8
        .value_kind:     by_value
      - .offset:         24
        .size:           8
        .value_kind:     by_value
    .group_segment_fixed_size: 0
    .kernarg_segment_align: 8
    .kernarg_segment_size: 32
    .language:       OpenCL C
    .language_version:
      - 2
      - 0
    .max_flat_workgroup_size: 256
    .name:           _ZN6thrust23THRUST_200600_302600_NS11hip_rocprim14__parallel_for6kernelILj256ENS1_20__uninitialized_fill7functorINS0_10device_ptrIiEEiEEmLj1EEEvT0_T1_SA_
    .private_segment_fixed_size: 0
    .sgpr_count:     14
    .sgpr_spill_count: 0
    .symbol:         _ZN6thrust23THRUST_200600_302600_NS11hip_rocprim14__parallel_for6kernelILj256ENS1_20__uninitialized_fill7functorINS0_10device_ptrIiEEiEEmLj1EEEvT0_T1_SA_.kd
    .uniform_work_group_size: 1
    .uses_dynamic_stack: false
    .vgpr_count:     4
    .vgpr_spill_count: 0
    .wavefront_size: 32
    .workgroup_processor_mode: 1
  - .args:
      - .offset:         0
        .size:           16
        .value_kind:     by_value
      - .offset:         16
        .size:           8
        .value_kind:     by_value
      - .offset:         24
        .size:           8
        .value_kind:     by_value
    .group_segment_fixed_size: 0
    .kernarg_segment_align: 8
    .kernarg_segment_size: 32
    .language:       OpenCL C
    .language_version:
      - 2
      - 0
    .max_flat_workgroup_size: 256
    .name:           _ZN6thrust23THRUST_200600_302600_NS11hip_rocprim14__parallel_for6kernelILj256ENS1_20__uninitialized_fill7functorINS0_10device_ptrIyEEyEEmLj1EEEvT0_T1_SA_
    .private_segment_fixed_size: 0
    .sgpr_count:     18
    .sgpr_spill_count: 0
    .symbol:         _ZN6thrust23THRUST_200600_302600_NS11hip_rocprim14__parallel_for6kernelILj256ENS1_20__uninitialized_fill7functorINS0_10device_ptrIyEEyEEmLj1EEEvT0_T1_SA_.kd
    .uniform_work_group_size: 1
    .uses_dynamic_stack: false
    .vgpr_count:     5
    .vgpr_spill_count: 0
    .wavefront_size: 32
    .workgroup_processor_mode: 1
  - .args:           []
    .group_segment_fixed_size: 0
    .kernarg_segment_align: 4
    .kernarg_segment_size: 0
    .language:       OpenCL C
    .language_version:
      - 2
      - 0
    .max_flat_workgroup_size: 1024
    .name:           _ZN7rocprim17ROCPRIM_400000_NS6detail44device_merge_sort_compile_time_verifier_archINS1_11comp_targetILNS1_3genE0ELNS1_11target_archE4294967295ELNS1_3gpuE0ELNS1_3repE0EEES8_NS0_14default_configES9_NS1_37merge_sort_block_sort_config_selectorIyNS0_10empty_typeEEENS1_38merge_sort_block_merge_config_selectorIySB_EEEEvv
    .private_segment_fixed_size: 0
    .sgpr_count:     0
    .sgpr_spill_count: 0
    .symbol:         _ZN7rocprim17ROCPRIM_400000_NS6detail44device_merge_sort_compile_time_verifier_archINS1_11comp_targetILNS1_3genE0ELNS1_11target_archE4294967295ELNS1_3gpuE0ELNS1_3repE0EEES8_NS0_14default_configES9_NS1_37merge_sort_block_sort_config_selectorIyNS0_10empty_typeEEENS1_38merge_sort_block_merge_config_selectorIySB_EEEEvv.kd
    .uniform_work_group_size: 1
    .uses_dynamic_stack: false
    .vgpr_count:     0
    .vgpr_spill_count: 0
    .wavefront_size: 32
    .workgroup_processor_mode: 1
  - .args:           []
    .group_segment_fixed_size: 0
    .kernarg_segment_align: 4
    .kernarg_segment_size: 0
    .language:       OpenCL C
    .language_version:
      - 2
      - 0
    .max_flat_workgroup_size: 1024
    .name:           _ZN7rocprim17ROCPRIM_400000_NS6detail44device_merge_sort_compile_time_verifier_archINS1_11comp_targetILNS1_3genE5ELNS1_11target_archE942ELNS1_3gpuE9ELNS1_3repE0EEES8_NS0_14default_configES9_NS1_37merge_sort_block_sort_config_selectorIyNS0_10empty_typeEEENS1_38merge_sort_block_merge_config_selectorIySB_EEEEvv
    .private_segment_fixed_size: 0
    .sgpr_count:     0
    .sgpr_spill_count: 0
    .symbol:         _ZN7rocprim17ROCPRIM_400000_NS6detail44device_merge_sort_compile_time_verifier_archINS1_11comp_targetILNS1_3genE5ELNS1_11target_archE942ELNS1_3gpuE9ELNS1_3repE0EEES8_NS0_14default_configES9_NS1_37merge_sort_block_sort_config_selectorIyNS0_10empty_typeEEENS1_38merge_sort_block_merge_config_selectorIySB_EEEEvv.kd
    .uniform_work_group_size: 1
    .uses_dynamic_stack: false
    .vgpr_count:     0
    .vgpr_spill_count: 0
    .wavefront_size: 32
    .workgroup_processor_mode: 1
  - .args:           []
    .group_segment_fixed_size: 0
    .kernarg_segment_align: 4
    .kernarg_segment_size: 0
    .language:       OpenCL C
    .language_version:
      - 2
      - 0
    .max_flat_workgroup_size: 1024
    .name:           _ZN7rocprim17ROCPRIM_400000_NS6detail44device_merge_sort_compile_time_verifier_archINS1_11comp_targetILNS1_3genE4ELNS1_11target_archE910ELNS1_3gpuE8ELNS1_3repE0EEES8_NS0_14default_configES9_NS1_37merge_sort_block_sort_config_selectorIyNS0_10empty_typeEEENS1_38merge_sort_block_merge_config_selectorIySB_EEEEvv
    .private_segment_fixed_size: 0
    .sgpr_count:     0
    .sgpr_spill_count: 0
    .symbol:         _ZN7rocprim17ROCPRIM_400000_NS6detail44device_merge_sort_compile_time_verifier_archINS1_11comp_targetILNS1_3genE4ELNS1_11target_archE910ELNS1_3gpuE8ELNS1_3repE0EEES8_NS0_14default_configES9_NS1_37merge_sort_block_sort_config_selectorIyNS0_10empty_typeEEENS1_38merge_sort_block_merge_config_selectorIySB_EEEEvv.kd
    .uniform_work_group_size: 1
    .uses_dynamic_stack: false
    .vgpr_count:     0
    .vgpr_spill_count: 0
    .wavefront_size: 32
    .workgroup_processor_mode: 1
  - .args:           []
    .group_segment_fixed_size: 0
    .kernarg_segment_align: 4
    .kernarg_segment_size: 0
    .language:       OpenCL C
    .language_version:
      - 2
      - 0
    .max_flat_workgroup_size: 1024
    .name:           _ZN7rocprim17ROCPRIM_400000_NS6detail44device_merge_sort_compile_time_verifier_archINS1_11comp_targetILNS1_3genE3ELNS1_11target_archE908ELNS1_3gpuE7ELNS1_3repE0EEES8_NS0_14default_configES9_NS1_37merge_sort_block_sort_config_selectorIyNS0_10empty_typeEEENS1_38merge_sort_block_merge_config_selectorIySB_EEEEvv
    .private_segment_fixed_size: 0
    .sgpr_count:     0
    .sgpr_spill_count: 0
    .symbol:         _ZN7rocprim17ROCPRIM_400000_NS6detail44device_merge_sort_compile_time_verifier_archINS1_11comp_targetILNS1_3genE3ELNS1_11target_archE908ELNS1_3gpuE7ELNS1_3repE0EEES8_NS0_14default_configES9_NS1_37merge_sort_block_sort_config_selectorIyNS0_10empty_typeEEENS1_38merge_sort_block_merge_config_selectorIySB_EEEEvv.kd
    .uniform_work_group_size: 1
    .uses_dynamic_stack: false
    .vgpr_count:     0
    .vgpr_spill_count: 0
    .wavefront_size: 32
    .workgroup_processor_mode: 1
  - .args:           []
    .group_segment_fixed_size: 0
    .kernarg_segment_align: 4
    .kernarg_segment_size: 0
    .language:       OpenCL C
    .language_version:
      - 2
      - 0
    .max_flat_workgroup_size: 1024
    .name:           _ZN7rocprim17ROCPRIM_400000_NS6detail44device_merge_sort_compile_time_verifier_archINS1_11comp_targetILNS1_3genE2ELNS1_11target_archE906ELNS1_3gpuE6ELNS1_3repE0EEES8_NS0_14default_configES9_NS1_37merge_sort_block_sort_config_selectorIyNS0_10empty_typeEEENS1_38merge_sort_block_merge_config_selectorIySB_EEEEvv
    .private_segment_fixed_size: 0
    .sgpr_count:     0
    .sgpr_spill_count: 0
    .symbol:         _ZN7rocprim17ROCPRIM_400000_NS6detail44device_merge_sort_compile_time_verifier_archINS1_11comp_targetILNS1_3genE2ELNS1_11target_archE906ELNS1_3gpuE6ELNS1_3repE0EEES8_NS0_14default_configES9_NS1_37merge_sort_block_sort_config_selectorIyNS0_10empty_typeEEENS1_38merge_sort_block_merge_config_selectorIySB_EEEEvv.kd
    .uniform_work_group_size: 1
    .uses_dynamic_stack: false
    .vgpr_count:     0
    .vgpr_spill_count: 0
    .wavefront_size: 32
    .workgroup_processor_mode: 1
  - .args:           []
    .group_segment_fixed_size: 0
    .kernarg_segment_align: 4
    .kernarg_segment_size: 0
    .language:       OpenCL C
    .language_version:
      - 2
      - 0
    .max_flat_workgroup_size: 1024
    .name:           _ZN7rocprim17ROCPRIM_400000_NS6detail44device_merge_sort_compile_time_verifier_archINS1_11comp_targetILNS1_3genE10ELNS1_11target_archE1201ELNS1_3gpuE5ELNS1_3repE0EEES8_NS0_14default_configES9_NS1_37merge_sort_block_sort_config_selectorIyNS0_10empty_typeEEENS1_38merge_sort_block_merge_config_selectorIySB_EEEEvv
    .private_segment_fixed_size: 0
    .sgpr_count:     0
    .sgpr_spill_count: 0
    .symbol:         _ZN7rocprim17ROCPRIM_400000_NS6detail44device_merge_sort_compile_time_verifier_archINS1_11comp_targetILNS1_3genE10ELNS1_11target_archE1201ELNS1_3gpuE5ELNS1_3repE0EEES8_NS0_14default_configES9_NS1_37merge_sort_block_sort_config_selectorIyNS0_10empty_typeEEENS1_38merge_sort_block_merge_config_selectorIySB_EEEEvv.kd
    .uniform_work_group_size: 1
    .uses_dynamic_stack: false
    .vgpr_count:     0
    .vgpr_spill_count: 0
    .wavefront_size: 32
    .workgroup_processor_mode: 1
  - .args:           []
    .group_segment_fixed_size: 0
    .kernarg_segment_align: 4
    .kernarg_segment_size: 0
    .language:       OpenCL C
    .language_version:
      - 2
      - 0
    .max_flat_workgroup_size: 1024
    .name:           _ZN7rocprim17ROCPRIM_400000_NS6detail44device_merge_sort_compile_time_verifier_archINS1_11comp_targetILNS1_3genE10ELNS1_11target_archE1200ELNS1_3gpuE4ELNS1_3repE0EEENS3_ILS4_10ELS5_1201ELS6_5ELS7_0EEENS0_14default_configESA_NS1_37merge_sort_block_sort_config_selectorIyNS0_10empty_typeEEENS1_38merge_sort_block_merge_config_selectorIySC_EEEEvv
    .private_segment_fixed_size: 0
    .sgpr_count:     0
    .sgpr_spill_count: 0
    .symbol:         _ZN7rocprim17ROCPRIM_400000_NS6detail44device_merge_sort_compile_time_verifier_archINS1_11comp_targetILNS1_3genE10ELNS1_11target_archE1200ELNS1_3gpuE4ELNS1_3repE0EEENS3_ILS4_10ELS5_1201ELS6_5ELS7_0EEENS0_14default_configESA_NS1_37merge_sort_block_sort_config_selectorIyNS0_10empty_typeEEENS1_38merge_sort_block_merge_config_selectorIySC_EEEEvv.kd
    .uniform_work_group_size: 1
    .uses_dynamic_stack: false
    .vgpr_count:     0
    .vgpr_spill_count: 0
    .wavefront_size: 32
    .workgroup_processor_mode: 1
  - .args:           []
    .group_segment_fixed_size: 0
    .kernarg_segment_align: 4
    .kernarg_segment_size: 0
    .language:       OpenCL C
    .language_version:
      - 2
      - 0
    .max_flat_workgroup_size: 1024
    .name:           _ZN7rocprim17ROCPRIM_400000_NS6detail44device_merge_sort_compile_time_verifier_archINS1_11comp_targetILNS1_3genE9ELNS1_11target_archE1100ELNS1_3gpuE3ELNS1_3repE0EEES8_NS0_14default_configES9_NS1_37merge_sort_block_sort_config_selectorIyNS0_10empty_typeEEENS1_38merge_sort_block_merge_config_selectorIySB_EEEEvv
    .private_segment_fixed_size: 0
    .sgpr_count:     0
    .sgpr_spill_count: 0
    .symbol:         _ZN7rocprim17ROCPRIM_400000_NS6detail44device_merge_sort_compile_time_verifier_archINS1_11comp_targetILNS1_3genE9ELNS1_11target_archE1100ELNS1_3gpuE3ELNS1_3repE0EEES8_NS0_14default_configES9_NS1_37merge_sort_block_sort_config_selectorIyNS0_10empty_typeEEENS1_38merge_sort_block_merge_config_selectorIySB_EEEEvv.kd
    .uniform_work_group_size: 1
    .uses_dynamic_stack: false
    .vgpr_count:     0
    .vgpr_spill_count: 0
    .wavefront_size: 32
    .workgroup_processor_mode: 1
  - .args:           []
    .group_segment_fixed_size: 0
    .kernarg_segment_align: 4
    .kernarg_segment_size: 0
    .language:       OpenCL C
    .language_version:
      - 2
      - 0
    .max_flat_workgroup_size: 1024
    .name:           _ZN7rocprim17ROCPRIM_400000_NS6detail44device_merge_sort_compile_time_verifier_archINS1_11comp_targetILNS1_3genE8ELNS1_11target_archE1030ELNS1_3gpuE2ELNS1_3repE0EEES8_NS0_14default_configES9_NS1_37merge_sort_block_sort_config_selectorIyNS0_10empty_typeEEENS1_38merge_sort_block_merge_config_selectorIySB_EEEEvv
    .private_segment_fixed_size: 0
    .sgpr_count:     0
    .sgpr_spill_count: 0
    .symbol:         _ZN7rocprim17ROCPRIM_400000_NS6detail44device_merge_sort_compile_time_verifier_archINS1_11comp_targetILNS1_3genE8ELNS1_11target_archE1030ELNS1_3gpuE2ELNS1_3repE0EEES8_NS0_14default_configES9_NS1_37merge_sort_block_sort_config_selectorIyNS0_10empty_typeEEENS1_38merge_sort_block_merge_config_selectorIySB_EEEEvv.kd
    .uniform_work_group_size: 1
    .uses_dynamic_stack: false
    .vgpr_count:     0
    .vgpr_spill_count: 0
    .wavefront_size: 32
    .workgroup_processor_mode: 1
  - .args:
      - .offset:         0
        .size:           64
        .value_kind:     by_value
    .group_segment_fixed_size: 0
    .kernarg_segment_align: 8
    .kernarg_segment_size: 64
    .language:       OpenCL C
    .language_version:
      - 2
      - 0
    .max_flat_workgroup_size: 256
    .name:           _ZN7rocprim17ROCPRIM_400000_NS6detail17trampoline_kernelINS0_14default_configENS1_37merge_sort_block_sort_config_selectorIyNS0_10empty_typeEEEZNS1_21merge_sort_block_sortIS3_N6thrust23THRUST_200600_302600_NS6detail15normal_iteratorINS9_10device_ptrIyEEEESE_PS5_SF_11less_div_10IyEEE10hipError_tT0_T1_T2_T3_mRjT4_P12ihipStream_tbNS1_7vsmem_tEEUlT_E_NS1_11comp_targetILNS1_3genE0ELNS1_11target_archE4294967295ELNS1_3gpuE0ELNS1_3repE0EEENS1_30default_config_static_selectorELNS0_4arch9wavefront6targetE0EEEvSK_
    .private_segment_fixed_size: 0
    .sgpr_count:     0
    .sgpr_spill_count: 0
    .symbol:         _ZN7rocprim17ROCPRIM_400000_NS6detail17trampoline_kernelINS0_14default_configENS1_37merge_sort_block_sort_config_selectorIyNS0_10empty_typeEEEZNS1_21merge_sort_block_sortIS3_N6thrust23THRUST_200600_302600_NS6detail15normal_iteratorINS9_10device_ptrIyEEEESE_PS5_SF_11less_div_10IyEEE10hipError_tT0_T1_T2_T3_mRjT4_P12ihipStream_tbNS1_7vsmem_tEEUlT_E_NS1_11comp_targetILNS1_3genE0ELNS1_11target_archE4294967295ELNS1_3gpuE0ELNS1_3repE0EEENS1_30default_config_static_selectorELNS0_4arch9wavefront6targetE0EEEvSK_.kd
    .uniform_work_group_size: 1
    .uses_dynamic_stack: false
    .vgpr_count:     0
    .vgpr_spill_count: 0
    .wavefront_size: 32
    .workgroup_processor_mode: 1
  - .args:
      - .offset:         0
        .size:           64
        .value_kind:     by_value
    .group_segment_fixed_size: 0
    .kernarg_segment_align: 8
    .kernarg_segment_size: 64
    .language:       OpenCL C
    .language_version:
      - 2
      - 0
    .max_flat_workgroup_size: 256
    .name:           _ZN7rocprim17ROCPRIM_400000_NS6detail17trampoline_kernelINS0_14default_configENS1_37merge_sort_block_sort_config_selectorIyNS0_10empty_typeEEEZNS1_21merge_sort_block_sortIS3_N6thrust23THRUST_200600_302600_NS6detail15normal_iteratorINS9_10device_ptrIyEEEESE_PS5_SF_11less_div_10IyEEE10hipError_tT0_T1_T2_T3_mRjT4_P12ihipStream_tbNS1_7vsmem_tEEUlT_E_NS1_11comp_targetILNS1_3genE5ELNS1_11target_archE942ELNS1_3gpuE9ELNS1_3repE0EEENS1_30default_config_static_selectorELNS0_4arch9wavefront6targetE0EEEvSK_
    .private_segment_fixed_size: 0
    .sgpr_count:     0
    .sgpr_spill_count: 0
    .symbol:         _ZN7rocprim17ROCPRIM_400000_NS6detail17trampoline_kernelINS0_14default_configENS1_37merge_sort_block_sort_config_selectorIyNS0_10empty_typeEEEZNS1_21merge_sort_block_sortIS3_N6thrust23THRUST_200600_302600_NS6detail15normal_iteratorINS9_10device_ptrIyEEEESE_PS5_SF_11less_div_10IyEEE10hipError_tT0_T1_T2_T3_mRjT4_P12ihipStream_tbNS1_7vsmem_tEEUlT_E_NS1_11comp_targetILNS1_3genE5ELNS1_11target_archE942ELNS1_3gpuE9ELNS1_3repE0EEENS1_30default_config_static_selectorELNS0_4arch9wavefront6targetE0EEEvSK_.kd
    .uniform_work_group_size: 1
    .uses_dynamic_stack: false
    .vgpr_count:     0
    .vgpr_spill_count: 0
    .wavefront_size: 32
    .workgroup_processor_mode: 1
  - .args:
      - .offset:         0
        .size:           64
        .value_kind:     by_value
    .group_segment_fixed_size: 0
    .kernarg_segment_align: 8
    .kernarg_segment_size: 64
    .language:       OpenCL C
    .language_version:
      - 2
      - 0
    .max_flat_workgroup_size: 256
    .name:           _ZN7rocprim17ROCPRIM_400000_NS6detail17trampoline_kernelINS0_14default_configENS1_37merge_sort_block_sort_config_selectorIyNS0_10empty_typeEEEZNS1_21merge_sort_block_sortIS3_N6thrust23THRUST_200600_302600_NS6detail15normal_iteratorINS9_10device_ptrIyEEEESE_PS5_SF_11less_div_10IyEEE10hipError_tT0_T1_T2_T3_mRjT4_P12ihipStream_tbNS1_7vsmem_tEEUlT_E_NS1_11comp_targetILNS1_3genE4ELNS1_11target_archE910ELNS1_3gpuE8ELNS1_3repE0EEENS1_30default_config_static_selectorELNS0_4arch9wavefront6targetE0EEEvSK_
    .private_segment_fixed_size: 0
    .sgpr_count:     0
    .sgpr_spill_count: 0
    .symbol:         _ZN7rocprim17ROCPRIM_400000_NS6detail17trampoline_kernelINS0_14default_configENS1_37merge_sort_block_sort_config_selectorIyNS0_10empty_typeEEEZNS1_21merge_sort_block_sortIS3_N6thrust23THRUST_200600_302600_NS6detail15normal_iteratorINS9_10device_ptrIyEEEESE_PS5_SF_11less_div_10IyEEE10hipError_tT0_T1_T2_T3_mRjT4_P12ihipStream_tbNS1_7vsmem_tEEUlT_E_NS1_11comp_targetILNS1_3genE4ELNS1_11target_archE910ELNS1_3gpuE8ELNS1_3repE0EEENS1_30default_config_static_selectorELNS0_4arch9wavefront6targetE0EEEvSK_.kd
    .uniform_work_group_size: 1
    .uses_dynamic_stack: false
    .vgpr_count:     0
    .vgpr_spill_count: 0
    .wavefront_size: 32
    .workgroup_processor_mode: 1
  - .args:
      - .offset:         0
        .size:           64
        .value_kind:     by_value
    .group_segment_fixed_size: 0
    .kernarg_segment_align: 8
    .kernarg_segment_size: 64
    .language:       OpenCL C
    .language_version:
      - 2
      - 0
    .max_flat_workgroup_size: 256
    .name:           _ZN7rocprim17ROCPRIM_400000_NS6detail17trampoline_kernelINS0_14default_configENS1_37merge_sort_block_sort_config_selectorIyNS0_10empty_typeEEEZNS1_21merge_sort_block_sortIS3_N6thrust23THRUST_200600_302600_NS6detail15normal_iteratorINS9_10device_ptrIyEEEESE_PS5_SF_11less_div_10IyEEE10hipError_tT0_T1_T2_T3_mRjT4_P12ihipStream_tbNS1_7vsmem_tEEUlT_E_NS1_11comp_targetILNS1_3genE3ELNS1_11target_archE908ELNS1_3gpuE7ELNS1_3repE0EEENS1_30default_config_static_selectorELNS0_4arch9wavefront6targetE0EEEvSK_
    .private_segment_fixed_size: 0
    .sgpr_count:     0
    .sgpr_spill_count: 0
    .symbol:         _ZN7rocprim17ROCPRIM_400000_NS6detail17trampoline_kernelINS0_14default_configENS1_37merge_sort_block_sort_config_selectorIyNS0_10empty_typeEEEZNS1_21merge_sort_block_sortIS3_N6thrust23THRUST_200600_302600_NS6detail15normal_iteratorINS9_10device_ptrIyEEEESE_PS5_SF_11less_div_10IyEEE10hipError_tT0_T1_T2_T3_mRjT4_P12ihipStream_tbNS1_7vsmem_tEEUlT_E_NS1_11comp_targetILNS1_3genE3ELNS1_11target_archE908ELNS1_3gpuE7ELNS1_3repE0EEENS1_30default_config_static_selectorELNS0_4arch9wavefront6targetE0EEEvSK_.kd
    .uniform_work_group_size: 1
    .uses_dynamic_stack: false
    .vgpr_count:     0
    .vgpr_spill_count: 0
    .wavefront_size: 32
    .workgroup_processor_mode: 1
  - .args:
      - .offset:         0
        .size:           64
        .value_kind:     by_value
    .group_segment_fixed_size: 0
    .kernarg_segment_align: 8
    .kernarg_segment_size: 64
    .language:       OpenCL C
    .language_version:
      - 2
      - 0
    .max_flat_workgroup_size: 256
    .name:           _ZN7rocprim17ROCPRIM_400000_NS6detail17trampoline_kernelINS0_14default_configENS1_37merge_sort_block_sort_config_selectorIyNS0_10empty_typeEEEZNS1_21merge_sort_block_sortIS3_N6thrust23THRUST_200600_302600_NS6detail15normal_iteratorINS9_10device_ptrIyEEEESE_PS5_SF_11less_div_10IyEEE10hipError_tT0_T1_T2_T3_mRjT4_P12ihipStream_tbNS1_7vsmem_tEEUlT_E_NS1_11comp_targetILNS1_3genE2ELNS1_11target_archE906ELNS1_3gpuE6ELNS1_3repE0EEENS1_30default_config_static_selectorELNS0_4arch9wavefront6targetE0EEEvSK_
    .private_segment_fixed_size: 0
    .sgpr_count:     0
    .sgpr_spill_count: 0
    .symbol:         _ZN7rocprim17ROCPRIM_400000_NS6detail17trampoline_kernelINS0_14default_configENS1_37merge_sort_block_sort_config_selectorIyNS0_10empty_typeEEEZNS1_21merge_sort_block_sortIS3_N6thrust23THRUST_200600_302600_NS6detail15normal_iteratorINS9_10device_ptrIyEEEESE_PS5_SF_11less_div_10IyEEE10hipError_tT0_T1_T2_T3_mRjT4_P12ihipStream_tbNS1_7vsmem_tEEUlT_E_NS1_11comp_targetILNS1_3genE2ELNS1_11target_archE906ELNS1_3gpuE6ELNS1_3repE0EEENS1_30default_config_static_selectorELNS0_4arch9wavefront6targetE0EEEvSK_.kd
    .uniform_work_group_size: 1
    .uses_dynamic_stack: false
    .vgpr_count:     0
    .vgpr_spill_count: 0
    .wavefront_size: 32
    .workgroup_processor_mode: 1
  - .args:
      - .offset:         0
        .size:           64
        .value_kind:     by_value
    .group_segment_fixed_size: 0
    .kernarg_segment_align: 8
    .kernarg_segment_size: 64
    .language:       OpenCL C
    .language_version:
      - 2
      - 0
    .max_flat_workgroup_size: 256
    .name:           _ZN7rocprim17ROCPRIM_400000_NS6detail17trampoline_kernelINS0_14default_configENS1_37merge_sort_block_sort_config_selectorIyNS0_10empty_typeEEEZNS1_21merge_sort_block_sortIS3_N6thrust23THRUST_200600_302600_NS6detail15normal_iteratorINS9_10device_ptrIyEEEESE_PS5_SF_11less_div_10IyEEE10hipError_tT0_T1_T2_T3_mRjT4_P12ihipStream_tbNS1_7vsmem_tEEUlT_E_NS1_11comp_targetILNS1_3genE10ELNS1_11target_archE1201ELNS1_3gpuE5ELNS1_3repE0EEENS1_30default_config_static_selectorELNS0_4arch9wavefront6targetE0EEEvSK_
    .private_segment_fixed_size: 0
    .sgpr_count:     0
    .sgpr_spill_count: 0
    .symbol:         _ZN7rocprim17ROCPRIM_400000_NS6detail17trampoline_kernelINS0_14default_configENS1_37merge_sort_block_sort_config_selectorIyNS0_10empty_typeEEEZNS1_21merge_sort_block_sortIS3_N6thrust23THRUST_200600_302600_NS6detail15normal_iteratorINS9_10device_ptrIyEEEESE_PS5_SF_11less_div_10IyEEE10hipError_tT0_T1_T2_T3_mRjT4_P12ihipStream_tbNS1_7vsmem_tEEUlT_E_NS1_11comp_targetILNS1_3genE10ELNS1_11target_archE1201ELNS1_3gpuE5ELNS1_3repE0EEENS1_30default_config_static_selectorELNS0_4arch9wavefront6targetE0EEEvSK_.kd
    .uniform_work_group_size: 1
    .uses_dynamic_stack: false
    .vgpr_count:     0
    .vgpr_spill_count: 0
    .wavefront_size: 32
    .workgroup_processor_mode: 1
  - .args:
      - .offset:         0
        .size:           64
        .value_kind:     by_value
    .group_segment_fixed_size: 0
    .kernarg_segment_align: 8
    .kernarg_segment_size: 64
    .language:       OpenCL C
    .language_version:
      - 2
      - 0
    .max_flat_workgroup_size: 512
    .name:           _ZN7rocprim17ROCPRIM_400000_NS6detail17trampoline_kernelINS0_14default_configENS1_37merge_sort_block_sort_config_selectorIyNS0_10empty_typeEEEZNS1_21merge_sort_block_sortIS3_N6thrust23THRUST_200600_302600_NS6detail15normal_iteratorINS9_10device_ptrIyEEEESE_PS5_SF_11less_div_10IyEEE10hipError_tT0_T1_T2_T3_mRjT4_P12ihipStream_tbNS1_7vsmem_tEEUlT_E_NS1_11comp_targetILNS1_3genE10ELNS1_11target_archE1200ELNS1_3gpuE4ELNS1_3repE0EEENS1_30default_config_static_selectorELNS0_4arch9wavefront6targetE0EEEvSK_
    .private_segment_fixed_size: 0
    .sgpr_count:     0
    .sgpr_spill_count: 0
    .symbol:         _ZN7rocprim17ROCPRIM_400000_NS6detail17trampoline_kernelINS0_14default_configENS1_37merge_sort_block_sort_config_selectorIyNS0_10empty_typeEEEZNS1_21merge_sort_block_sortIS3_N6thrust23THRUST_200600_302600_NS6detail15normal_iteratorINS9_10device_ptrIyEEEESE_PS5_SF_11less_div_10IyEEE10hipError_tT0_T1_T2_T3_mRjT4_P12ihipStream_tbNS1_7vsmem_tEEUlT_E_NS1_11comp_targetILNS1_3genE10ELNS1_11target_archE1200ELNS1_3gpuE4ELNS1_3repE0EEENS1_30default_config_static_selectorELNS0_4arch9wavefront6targetE0EEEvSK_.kd
    .uniform_work_group_size: 1
    .uses_dynamic_stack: false
    .vgpr_count:     0
    .vgpr_spill_count: 0
    .wavefront_size: 32
    .workgroup_processor_mode: 1
  - .args:
      - .offset:         0
        .size:           64
        .value_kind:     by_value
    .group_segment_fixed_size: 0
    .kernarg_segment_align: 8
    .kernarg_segment_size: 64
    .language:       OpenCL C
    .language_version:
      - 2
      - 0
    .max_flat_workgroup_size: 256
    .name:           _ZN7rocprim17ROCPRIM_400000_NS6detail17trampoline_kernelINS0_14default_configENS1_37merge_sort_block_sort_config_selectorIyNS0_10empty_typeEEEZNS1_21merge_sort_block_sortIS3_N6thrust23THRUST_200600_302600_NS6detail15normal_iteratorINS9_10device_ptrIyEEEESE_PS5_SF_11less_div_10IyEEE10hipError_tT0_T1_T2_T3_mRjT4_P12ihipStream_tbNS1_7vsmem_tEEUlT_E_NS1_11comp_targetILNS1_3genE9ELNS1_11target_archE1100ELNS1_3gpuE3ELNS1_3repE0EEENS1_30default_config_static_selectorELNS0_4arch9wavefront6targetE0EEEvSK_
    .private_segment_fixed_size: 0
    .sgpr_count:     0
    .sgpr_spill_count: 0
    .symbol:         _ZN7rocprim17ROCPRIM_400000_NS6detail17trampoline_kernelINS0_14default_configENS1_37merge_sort_block_sort_config_selectorIyNS0_10empty_typeEEEZNS1_21merge_sort_block_sortIS3_N6thrust23THRUST_200600_302600_NS6detail15normal_iteratorINS9_10device_ptrIyEEEESE_PS5_SF_11less_div_10IyEEE10hipError_tT0_T1_T2_T3_mRjT4_P12ihipStream_tbNS1_7vsmem_tEEUlT_E_NS1_11comp_targetILNS1_3genE9ELNS1_11target_archE1100ELNS1_3gpuE3ELNS1_3repE0EEENS1_30default_config_static_selectorELNS0_4arch9wavefront6targetE0EEEvSK_.kd
    .uniform_work_group_size: 1
    .uses_dynamic_stack: false
    .vgpr_count:     0
    .vgpr_spill_count: 0
    .wavefront_size: 32
    .workgroup_processor_mode: 1
  - .args:
      - .offset:         0
        .size:           64
        .value_kind:     by_value
      - .offset:         64
        .size:           4
        .value_kind:     hidden_block_count_x
      - .offset:         68
        .size:           4
        .value_kind:     hidden_block_count_y
      - .offset:         72
        .size:           4
        .value_kind:     hidden_block_count_z
      - .offset:         76
        .size:           2
        .value_kind:     hidden_group_size_x
      - .offset:         78
        .size:           2
        .value_kind:     hidden_group_size_y
      - .offset:         80
        .size:           2
        .value_kind:     hidden_group_size_z
      - .offset:         82
        .size:           2
        .value_kind:     hidden_remainder_x
      - .offset:         84
        .size:           2
        .value_kind:     hidden_remainder_y
      - .offset:         86
        .size:           2
        .value_kind:     hidden_remainder_z
      - .offset:         104
        .size:           8
        .value_kind:     hidden_global_offset_x
      - .offset:         112
        .size:           8
        .value_kind:     hidden_global_offset_y
      - .offset:         120
        .size:           8
        .value_kind:     hidden_global_offset_z
      - .offset:         128
        .size:           2
        .value_kind:     hidden_grid_dims
    .group_segment_fixed_size: 8448
    .kernarg_segment_align: 8
    .kernarg_segment_size: 320
    .language:       OpenCL C
    .language_version:
      - 2
      - 0
    .max_flat_workgroup_size: 256
    .name:           _ZN7rocprim17ROCPRIM_400000_NS6detail17trampoline_kernelINS0_14default_configENS1_37merge_sort_block_sort_config_selectorIyNS0_10empty_typeEEEZNS1_21merge_sort_block_sortIS3_N6thrust23THRUST_200600_302600_NS6detail15normal_iteratorINS9_10device_ptrIyEEEESE_PS5_SF_11less_div_10IyEEE10hipError_tT0_T1_T2_T3_mRjT4_P12ihipStream_tbNS1_7vsmem_tEEUlT_E_NS1_11comp_targetILNS1_3genE8ELNS1_11target_archE1030ELNS1_3gpuE2ELNS1_3repE0EEENS1_30default_config_static_selectorELNS0_4arch9wavefront6targetE0EEEvSK_
    .private_segment_fixed_size: 0
    .sgpr_count:     22
    .sgpr_spill_count: 0
    .symbol:         _ZN7rocprim17ROCPRIM_400000_NS6detail17trampoline_kernelINS0_14default_configENS1_37merge_sort_block_sort_config_selectorIyNS0_10empty_typeEEEZNS1_21merge_sort_block_sortIS3_N6thrust23THRUST_200600_302600_NS6detail15normal_iteratorINS9_10device_ptrIyEEEESE_PS5_SF_11less_div_10IyEEE10hipError_tT0_T1_T2_T3_mRjT4_P12ihipStream_tbNS1_7vsmem_tEEUlT_E_NS1_11comp_targetILNS1_3genE8ELNS1_11target_archE1030ELNS1_3gpuE2ELNS1_3repE0EEENS1_30default_config_static_selectorELNS0_4arch9wavefront6targetE0EEEvSK_.kd
    .uniform_work_group_size: 1
    .uses_dynamic_stack: false
    .vgpr_count:     42
    .vgpr_spill_count: 0
    .wavefront_size: 32
    .workgroup_processor_mode: 1
  - .args:
      - .offset:         0
        .size:           48
        .value_kind:     by_value
    .group_segment_fixed_size: 0
    .kernarg_segment_align: 8
    .kernarg_segment_size: 48
    .language:       OpenCL C
    .language_version:
      - 2
      - 0
    .max_flat_workgroup_size: 128
    .name:           _ZN7rocprim17ROCPRIM_400000_NS6detail17trampoline_kernelINS0_14default_configENS1_38merge_sort_block_merge_config_selectorIyNS0_10empty_typeEEEZZNS1_27merge_sort_block_merge_implIS3_N6thrust23THRUST_200600_302600_NS6detail15normal_iteratorINS9_10device_ptrIyEEEEPS5_m11less_div_10IyEEE10hipError_tT0_T1_T2_jT3_P12ihipStream_tbPNSt15iterator_traitsISJ_E10value_typeEPNSP_ISK_E10value_typeEPSL_NS1_7vsmem_tEENKUlT_SJ_SK_SL_E_clIPySE_SF_SF_EESI_SY_SJ_SK_SL_EUlSY_E_NS1_11comp_targetILNS1_3genE0ELNS1_11target_archE4294967295ELNS1_3gpuE0ELNS1_3repE0EEENS1_48merge_mergepath_partition_config_static_selectorELNS0_4arch9wavefront6targetE0EEEvSK_
    .private_segment_fixed_size: 0
    .sgpr_count:     0
    .sgpr_spill_count: 0
    .symbol:         _ZN7rocprim17ROCPRIM_400000_NS6detail17trampoline_kernelINS0_14default_configENS1_38merge_sort_block_merge_config_selectorIyNS0_10empty_typeEEEZZNS1_27merge_sort_block_merge_implIS3_N6thrust23THRUST_200600_302600_NS6detail15normal_iteratorINS9_10device_ptrIyEEEEPS5_m11less_div_10IyEEE10hipError_tT0_T1_T2_jT3_P12ihipStream_tbPNSt15iterator_traitsISJ_E10value_typeEPNSP_ISK_E10value_typeEPSL_NS1_7vsmem_tEENKUlT_SJ_SK_SL_E_clIPySE_SF_SF_EESI_SY_SJ_SK_SL_EUlSY_E_NS1_11comp_targetILNS1_3genE0ELNS1_11target_archE4294967295ELNS1_3gpuE0ELNS1_3repE0EEENS1_48merge_mergepath_partition_config_static_selectorELNS0_4arch9wavefront6targetE0EEEvSK_.kd
    .uniform_work_group_size: 1
    .uses_dynamic_stack: false
    .vgpr_count:     0
    .vgpr_spill_count: 0
    .wavefront_size: 32
    .workgroup_processor_mode: 1
  - .args:
      - .offset:         0
        .size:           48
        .value_kind:     by_value
    .group_segment_fixed_size: 0
    .kernarg_segment_align: 8
    .kernarg_segment_size: 48
    .language:       OpenCL C
    .language_version:
      - 2
      - 0
    .max_flat_workgroup_size: 128
    .name:           _ZN7rocprim17ROCPRIM_400000_NS6detail17trampoline_kernelINS0_14default_configENS1_38merge_sort_block_merge_config_selectorIyNS0_10empty_typeEEEZZNS1_27merge_sort_block_merge_implIS3_N6thrust23THRUST_200600_302600_NS6detail15normal_iteratorINS9_10device_ptrIyEEEEPS5_m11less_div_10IyEEE10hipError_tT0_T1_T2_jT3_P12ihipStream_tbPNSt15iterator_traitsISJ_E10value_typeEPNSP_ISK_E10value_typeEPSL_NS1_7vsmem_tEENKUlT_SJ_SK_SL_E_clIPySE_SF_SF_EESI_SY_SJ_SK_SL_EUlSY_E_NS1_11comp_targetILNS1_3genE10ELNS1_11target_archE1201ELNS1_3gpuE5ELNS1_3repE0EEENS1_48merge_mergepath_partition_config_static_selectorELNS0_4arch9wavefront6targetE0EEEvSK_
    .private_segment_fixed_size: 0
    .sgpr_count:     0
    .sgpr_spill_count: 0
    .symbol:         _ZN7rocprim17ROCPRIM_400000_NS6detail17trampoline_kernelINS0_14default_configENS1_38merge_sort_block_merge_config_selectorIyNS0_10empty_typeEEEZZNS1_27merge_sort_block_merge_implIS3_N6thrust23THRUST_200600_302600_NS6detail15normal_iteratorINS9_10device_ptrIyEEEEPS5_m11less_div_10IyEEE10hipError_tT0_T1_T2_jT3_P12ihipStream_tbPNSt15iterator_traitsISJ_E10value_typeEPNSP_ISK_E10value_typeEPSL_NS1_7vsmem_tEENKUlT_SJ_SK_SL_E_clIPySE_SF_SF_EESI_SY_SJ_SK_SL_EUlSY_E_NS1_11comp_targetILNS1_3genE10ELNS1_11target_archE1201ELNS1_3gpuE5ELNS1_3repE0EEENS1_48merge_mergepath_partition_config_static_selectorELNS0_4arch9wavefront6targetE0EEEvSK_.kd
    .uniform_work_group_size: 1
    .uses_dynamic_stack: false
    .vgpr_count:     0
    .vgpr_spill_count: 0
    .wavefront_size: 32
    .workgroup_processor_mode: 1
  - .args:
      - .offset:         0
        .size:           48
        .value_kind:     by_value
    .group_segment_fixed_size: 0
    .kernarg_segment_align: 8
    .kernarg_segment_size: 48
    .language:       OpenCL C
    .language_version:
      - 2
      - 0
    .max_flat_workgroup_size: 128
    .name:           _ZN7rocprim17ROCPRIM_400000_NS6detail17trampoline_kernelINS0_14default_configENS1_38merge_sort_block_merge_config_selectorIyNS0_10empty_typeEEEZZNS1_27merge_sort_block_merge_implIS3_N6thrust23THRUST_200600_302600_NS6detail15normal_iteratorINS9_10device_ptrIyEEEEPS5_m11less_div_10IyEEE10hipError_tT0_T1_T2_jT3_P12ihipStream_tbPNSt15iterator_traitsISJ_E10value_typeEPNSP_ISK_E10value_typeEPSL_NS1_7vsmem_tEENKUlT_SJ_SK_SL_E_clIPySE_SF_SF_EESI_SY_SJ_SK_SL_EUlSY_E_NS1_11comp_targetILNS1_3genE5ELNS1_11target_archE942ELNS1_3gpuE9ELNS1_3repE0EEENS1_48merge_mergepath_partition_config_static_selectorELNS0_4arch9wavefront6targetE0EEEvSK_
    .private_segment_fixed_size: 0
    .sgpr_count:     0
    .sgpr_spill_count: 0
    .symbol:         _ZN7rocprim17ROCPRIM_400000_NS6detail17trampoline_kernelINS0_14default_configENS1_38merge_sort_block_merge_config_selectorIyNS0_10empty_typeEEEZZNS1_27merge_sort_block_merge_implIS3_N6thrust23THRUST_200600_302600_NS6detail15normal_iteratorINS9_10device_ptrIyEEEEPS5_m11less_div_10IyEEE10hipError_tT0_T1_T2_jT3_P12ihipStream_tbPNSt15iterator_traitsISJ_E10value_typeEPNSP_ISK_E10value_typeEPSL_NS1_7vsmem_tEENKUlT_SJ_SK_SL_E_clIPySE_SF_SF_EESI_SY_SJ_SK_SL_EUlSY_E_NS1_11comp_targetILNS1_3genE5ELNS1_11target_archE942ELNS1_3gpuE9ELNS1_3repE0EEENS1_48merge_mergepath_partition_config_static_selectorELNS0_4arch9wavefront6targetE0EEEvSK_.kd
    .uniform_work_group_size: 1
    .uses_dynamic_stack: false
    .vgpr_count:     0
    .vgpr_spill_count: 0
    .wavefront_size: 32
    .workgroup_processor_mode: 1
  - .args:
      - .offset:         0
        .size:           48
        .value_kind:     by_value
    .group_segment_fixed_size: 0
    .kernarg_segment_align: 8
    .kernarg_segment_size: 48
    .language:       OpenCL C
    .language_version:
      - 2
      - 0
    .max_flat_workgroup_size: 128
    .name:           _ZN7rocprim17ROCPRIM_400000_NS6detail17trampoline_kernelINS0_14default_configENS1_38merge_sort_block_merge_config_selectorIyNS0_10empty_typeEEEZZNS1_27merge_sort_block_merge_implIS3_N6thrust23THRUST_200600_302600_NS6detail15normal_iteratorINS9_10device_ptrIyEEEEPS5_m11less_div_10IyEEE10hipError_tT0_T1_T2_jT3_P12ihipStream_tbPNSt15iterator_traitsISJ_E10value_typeEPNSP_ISK_E10value_typeEPSL_NS1_7vsmem_tEENKUlT_SJ_SK_SL_E_clIPySE_SF_SF_EESI_SY_SJ_SK_SL_EUlSY_E_NS1_11comp_targetILNS1_3genE4ELNS1_11target_archE910ELNS1_3gpuE8ELNS1_3repE0EEENS1_48merge_mergepath_partition_config_static_selectorELNS0_4arch9wavefront6targetE0EEEvSK_
    .private_segment_fixed_size: 0
    .sgpr_count:     0
    .sgpr_spill_count: 0
    .symbol:         _ZN7rocprim17ROCPRIM_400000_NS6detail17trampoline_kernelINS0_14default_configENS1_38merge_sort_block_merge_config_selectorIyNS0_10empty_typeEEEZZNS1_27merge_sort_block_merge_implIS3_N6thrust23THRUST_200600_302600_NS6detail15normal_iteratorINS9_10device_ptrIyEEEEPS5_m11less_div_10IyEEE10hipError_tT0_T1_T2_jT3_P12ihipStream_tbPNSt15iterator_traitsISJ_E10value_typeEPNSP_ISK_E10value_typeEPSL_NS1_7vsmem_tEENKUlT_SJ_SK_SL_E_clIPySE_SF_SF_EESI_SY_SJ_SK_SL_EUlSY_E_NS1_11comp_targetILNS1_3genE4ELNS1_11target_archE910ELNS1_3gpuE8ELNS1_3repE0EEENS1_48merge_mergepath_partition_config_static_selectorELNS0_4arch9wavefront6targetE0EEEvSK_.kd
    .uniform_work_group_size: 1
    .uses_dynamic_stack: false
    .vgpr_count:     0
    .vgpr_spill_count: 0
    .wavefront_size: 32
    .workgroup_processor_mode: 1
  - .args:
      - .offset:         0
        .size:           48
        .value_kind:     by_value
    .group_segment_fixed_size: 0
    .kernarg_segment_align: 8
    .kernarg_segment_size: 48
    .language:       OpenCL C
    .language_version:
      - 2
      - 0
    .max_flat_workgroup_size: 128
    .name:           _ZN7rocprim17ROCPRIM_400000_NS6detail17trampoline_kernelINS0_14default_configENS1_38merge_sort_block_merge_config_selectorIyNS0_10empty_typeEEEZZNS1_27merge_sort_block_merge_implIS3_N6thrust23THRUST_200600_302600_NS6detail15normal_iteratorINS9_10device_ptrIyEEEEPS5_m11less_div_10IyEEE10hipError_tT0_T1_T2_jT3_P12ihipStream_tbPNSt15iterator_traitsISJ_E10value_typeEPNSP_ISK_E10value_typeEPSL_NS1_7vsmem_tEENKUlT_SJ_SK_SL_E_clIPySE_SF_SF_EESI_SY_SJ_SK_SL_EUlSY_E_NS1_11comp_targetILNS1_3genE3ELNS1_11target_archE908ELNS1_3gpuE7ELNS1_3repE0EEENS1_48merge_mergepath_partition_config_static_selectorELNS0_4arch9wavefront6targetE0EEEvSK_
    .private_segment_fixed_size: 0
    .sgpr_count:     0
    .sgpr_spill_count: 0
    .symbol:         _ZN7rocprim17ROCPRIM_400000_NS6detail17trampoline_kernelINS0_14default_configENS1_38merge_sort_block_merge_config_selectorIyNS0_10empty_typeEEEZZNS1_27merge_sort_block_merge_implIS3_N6thrust23THRUST_200600_302600_NS6detail15normal_iteratorINS9_10device_ptrIyEEEEPS5_m11less_div_10IyEEE10hipError_tT0_T1_T2_jT3_P12ihipStream_tbPNSt15iterator_traitsISJ_E10value_typeEPNSP_ISK_E10value_typeEPSL_NS1_7vsmem_tEENKUlT_SJ_SK_SL_E_clIPySE_SF_SF_EESI_SY_SJ_SK_SL_EUlSY_E_NS1_11comp_targetILNS1_3genE3ELNS1_11target_archE908ELNS1_3gpuE7ELNS1_3repE0EEENS1_48merge_mergepath_partition_config_static_selectorELNS0_4arch9wavefront6targetE0EEEvSK_.kd
    .uniform_work_group_size: 1
    .uses_dynamic_stack: false
    .vgpr_count:     0
    .vgpr_spill_count: 0
    .wavefront_size: 32
    .workgroup_processor_mode: 1
  - .args:
      - .offset:         0
        .size:           48
        .value_kind:     by_value
    .group_segment_fixed_size: 0
    .kernarg_segment_align: 8
    .kernarg_segment_size: 48
    .language:       OpenCL C
    .language_version:
      - 2
      - 0
    .max_flat_workgroup_size: 128
    .name:           _ZN7rocprim17ROCPRIM_400000_NS6detail17trampoline_kernelINS0_14default_configENS1_38merge_sort_block_merge_config_selectorIyNS0_10empty_typeEEEZZNS1_27merge_sort_block_merge_implIS3_N6thrust23THRUST_200600_302600_NS6detail15normal_iteratorINS9_10device_ptrIyEEEEPS5_m11less_div_10IyEEE10hipError_tT0_T1_T2_jT3_P12ihipStream_tbPNSt15iterator_traitsISJ_E10value_typeEPNSP_ISK_E10value_typeEPSL_NS1_7vsmem_tEENKUlT_SJ_SK_SL_E_clIPySE_SF_SF_EESI_SY_SJ_SK_SL_EUlSY_E_NS1_11comp_targetILNS1_3genE2ELNS1_11target_archE906ELNS1_3gpuE6ELNS1_3repE0EEENS1_48merge_mergepath_partition_config_static_selectorELNS0_4arch9wavefront6targetE0EEEvSK_
    .private_segment_fixed_size: 0
    .sgpr_count:     0
    .sgpr_spill_count: 0
    .symbol:         _ZN7rocprim17ROCPRIM_400000_NS6detail17trampoline_kernelINS0_14default_configENS1_38merge_sort_block_merge_config_selectorIyNS0_10empty_typeEEEZZNS1_27merge_sort_block_merge_implIS3_N6thrust23THRUST_200600_302600_NS6detail15normal_iteratorINS9_10device_ptrIyEEEEPS5_m11less_div_10IyEEE10hipError_tT0_T1_T2_jT3_P12ihipStream_tbPNSt15iterator_traitsISJ_E10value_typeEPNSP_ISK_E10value_typeEPSL_NS1_7vsmem_tEENKUlT_SJ_SK_SL_E_clIPySE_SF_SF_EESI_SY_SJ_SK_SL_EUlSY_E_NS1_11comp_targetILNS1_3genE2ELNS1_11target_archE906ELNS1_3gpuE6ELNS1_3repE0EEENS1_48merge_mergepath_partition_config_static_selectorELNS0_4arch9wavefront6targetE0EEEvSK_.kd
    .uniform_work_group_size: 1
    .uses_dynamic_stack: false
    .vgpr_count:     0
    .vgpr_spill_count: 0
    .wavefront_size: 32
    .workgroup_processor_mode: 1
  - .args:
      - .offset:         0
        .size:           48
        .value_kind:     by_value
    .group_segment_fixed_size: 0
    .kernarg_segment_align: 8
    .kernarg_segment_size: 48
    .language:       OpenCL C
    .language_version:
      - 2
      - 0
    .max_flat_workgroup_size: 128
    .name:           _ZN7rocprim17ROCPRIM_400000_NS6detail17trampoline_kernelINS0_14default_configENS1_38merge_sort_block_merge_config_selectorIyNS0_10empty_typeEEEZZNS1_27merge_sort_block_merge_implIS3_N6thrust23THRUST_200600_302600_NS6detail15normal_iteratorINS9_10device_ptrIyEEEEPS5_m11less_div_10IyEEE10hipError_tT0_T1_T2_jT3_P12ihipStream_tbPNSt15iterator_traitsISJ_E10value_typeEPNSP_ISK_E10value_typeEPSL_NS1_7vsmem_tEENKUlT_SJ_SK_SL_E_clIPySE_SF_SF_EESI_SY_SJ_SK_SL_EUlSY_E_NS1_11comp_targetILNS1_3genE9ELNS1_11target_archE1100ELNS1_3gpuE3ELNS1_3repE0EEENS1_48merge_mergepath_partition_config_static_selectorELNS0_4arch9wavefront6targetE0EEEvSK_
    .private_segment_fixed_size: 0
    .sgpr_count:     0
    .sgpr_spill_count: 0
    .symbol:         _ZN7rocprim17ROCPRIM_400000_NS6detail17trampoline_kernelINS0_14default_configENS1_38merge_sort_block_merge_config_selectorIyNS0_10empty_typeEEEZZNS1_27merge_sort_block_merge_implIS3_N6thrust23THRUST_200600_302600_NS6detail15normal_iteratorINS9_10device_ptrIyEEEEPS5_m11less_div_10IyEEE10hipError_tT0_T1_T2_jT3_P12ihipStream_tbPNSt15iterator_traitsISJ_E10value_typeEPNSP_ISK_E10value_typeEPSL_NS1_7vsmem_tEENKUlT_SJ_SK_SL_E_clIPySE_SF_SF_EESI_SY_SJ_SK_SL_EUlSY_E_NS1_11comp_targetILNS1_3genE9ELNS1_11target_archE1100ELNS1_3gpuE3ELNS1_3repE0EEENS1_48merge_mergepath_partition_config_static_selectorELNS0_4arch9wavefront6targetE0EEEvSK_.kd
    .uniform_work_group_size: 1
    .uses_dynamic_stack: false
    .vgpr_count:     0
    .vgpr_spill_count: 0
    .wavefront_size: 32
    .workgroup_processor_mode: 1
  - .args:
      - .offset:         0
        .size:           48
        .value_kind:     by_value
    .group_segment_fixed_size: 0
    .kernarg_segment_align: 8
    .kernarg_segment_size: 48
    .language:       OpenCL C
    .language_version:
      - 2
      - 0
    .max_flat_workgroup_size: 128
    .name:           _ZN7rocprim17ROCPRIM_400000_NS6detail17trampoline_kernelINS0_14default_configENS1_38merge_sort_block_merge_config_selectorIyNS0_10empty_typeEEEZZNS1_27merge_sort_block_merge_implIS3_N6thrust23THRUST_200600_302600_NS6detail15normal_iteratorINS9_10device_ptrIyEEEEPS5_m11less_div_10IyEEE10hipError_tT0_T1_T2_jT3_P12ihipStream_tbPNSt15iterator_traitsISJ_E10value_typeEPNSP_ISK_E10value_typeEPSL_NS1_7vsmem_tEENKUlT_SJ_SK_SL_E_clIPySE_SF_SF_EESI_SY_SJ_SK_SL_EUlSY_E_NS1_11comp_targetILNS1_3genE8ELNS1_11target_archE1030ELNS1_3gpuE2ELNS1_3repE0EEENS1_48merge_mergepath_partition_config_static_selectorELNS0_4arch9wavefront6targetE0EEEvSK_
    .private_segment_fixed_size: 0
    .sgpr_count:     10
    .sgpr_spill_count: 0
    .symbol:         _ZN7rocprim17ROCPRIM_400000_NS6detail17trampoline_kernelINS0_14default_configENS1_38merge_sort_block_merge_config_selectorIyNS0_10empty_typeEEEZZNS1_27merge_sort_block_merge_implIS3_N6thrust23THRUST_200600_302600_NS6detail15normal_iteratorINS9_10device_ptrIyEEEEPS5_m11less_div_10IyEEE10hipError_tT0_T1_T2_jT3_P12ihipStream_tbPNSt15iterator_traitsISJ_E10value_typeEPNSP_ISK_E10value_typeEPSL_NS1_7vsmem_tEENKUlT_SJ_SK_SL_E_clIPySE_SF_SF_EESI_SY_SJ_SK_SL_EUlSY_E_NS1_11comp_targetILNS1_3genE8ELNS1_11target_archE1030ELNS1_3gpuE2ELNS1_3repE0EEENS1_48merge_mergepath_partition_config_static_selectorELNS0_4arch9wavefront6targetE0EEEvSK_.kd
    .uniform_work_group_size: 1
    .uses_dynamic_stack: false
    .vgpr_count:     18
    .vgpr_spill_count: 0
    .wavefront_size: 32
    .workgroup_processor_mode: 1
  - .args:
      - .offset:         0
        .size:           72
        .value_kind:     by_value
    .group_segment_fixed_size: 0
    .kernarg_segment_align: 8
    .kernarg_segment_size: 72
    .language:       OpenCL C
    .language_version:
      - 2
      - 0
    .max_flat_workgroup_size: 128
    .name:           _ZN7rocprim17ROCPRIM_400000_NS6detail17trampoline_kernelINS0_14default_configENS1_38merge_sort_block_merge_config_selectorIyNS0_10empty_typeEEEZZNS1_27merge_sort_block_merge_implIS3_N6thrust23THRUST_200600_302600_NS6detail15normal_iteratorINS9_10device_ptrIyEEEEPS5_m11less_div_10IyEEE10hipError_tT0_T1_T2_jT3_P12ihipStream_tbPNSt15iterator_traitsISJ_E10value_typeEPNSP_ISK_E10value_typeEPSL_NS1_7vsmem_tEENKUlT_SJ_SK_SL_E_clIPySE_SF_SF_EESI_SY_SJ_SK_SL_EUlSY_E0_NS1_11comp_targetILNS1_3genE0ELNS1_11target_archE4294967295ELNS1_3gpuE0ELNS1_3repE0EEENS1_38merge_mergepath_config_static_selectorELNS0_4arch9wavefront6targetE0EEEvSK_
    .private_segment_fixed_size: 0
    .sgpr_count:     0
    .sgpr_spill_count: 0
    .symbol:         _ZN7rocprim17ROCPRIM_400000_NS6detail17trampoline_kernelINS0_14default_configENS1_38merge_sort_block_merge_config_selectorIyNS0_10empty_typeEEEZZNS1_27merge_sort_block_merge_implIS3_N6thrust23THRUST_200600_302600_NS6detail15normal_iteratorINS9_10device_ptrIyEEEEPS5_m11less_div_10IyEEE10hipError_tT0_T1_T2_jT3_P12ihipStream_tbPNSt15iterator_traitsISJ_E10value_typeEPNSP_ISK_E10value_typeEPSL_NS1_7vsmem_tEENKUlT_SJ_SK_SL_E_clIPySE_SF_SF_EESI_SY_SJ_SK_SL_EUlSY_E0_NS1_11comp_targetILNS1_3genE0ELNS1_11target_archE4294967295ELNS1_3gpuE0ELNS1_3repE0EEENS1_38merge_mergepath_config_static_selectorELNS0_4arch9wavefront6targetE0EEEvSK_.kd
    .uniform_work_group_size: 1
    .uses_dynamic_stack: false
    .vgpr_count:     0
    .vgpr_spill_count: 0
    .wavefront_size: 32
    .workgroup_processor_mode: 1
  - .args:
      - .offset:         0
        .size:           72
        .value_kind:     by_value
    .group_segment_fixed_size: 0
    .kernarg_segment_align: 8
    .kernarg_segment_size: 72
    .language:       OpenCL C
    .language_version:
      - 2
      - 0
    .max_flat_workgroup_size: 512
    .name:           _ZN7rocprim17ROCPRIM_400000_NS6detail17trampoline_kernelINS0_14default_configENS1_38merge_sort_block_merge_config_selectorIyNS0_10empty_typeEEEZZNS1_27merge_sort_block_merge_implIS3_N6thrust23THRUST_200600_302600_NS6detail15normal_iteratorINS9_10device_ptrIyEEEEPS5_m11less_div_10IyEEE10hipError_tT0_T1_T2_jT3_P12ihipStream_tbPNSt15iterator_traitsISJ_E10value_typeEPNSP_ISK_E10value_typeEPSL_NS1_7vsmem_tEENKUlT_SJ_SK_SL_E_clIPySE_SF_SF_EESI_SY_SJ_SK_SL_EUlSY_E0_NS1_11comp_targetILNS1_3genE10ELNS1_11target_archE1201ELNS1_3gpuE5ELNS1_3repE0EEENS1_38merge_mergepath_config_static_selectorELNS0_4arch9wavefront6targetE0EEEvSK_
    .private_segment_fixed_size: 0
    .sgpr_count:     0
    .sgpr_spill_count: 0
    .symbol:         _ZN7rocprim17ROCPRIM_400000_NS6detail17trampoline_kernelINS0_14default_configENS1_38merge_sort_block_merge_config_selectorIyNS0_10empty_typeEEEZZNS1_27merge_sort_block_merge_implIS3_N6thrust23THRUST_200600_302600_NS6detail15normal_iteratorINS9_10device_ptrIyEEEEPS5_m11less_div_10IyEEE10hipError_tT0_T1_T2_jT3_P12ihipStream_tbPNSt15iterator_traitsISJ_E10value_typeEPNSP_ISK_E10value_typeEPSL_NS1_7vsmem_tEENKUlT_SJ_SK_SL_E_clIPySE_SF_SF_EESI_SY_SJ_SK_SL_EUlSY_E0_NS1_11comp_targetILNS1_3genE10ELNS1_11target_archE1201ELNS1_3gpuE5ELNS1_3repE0EEENS1_38merge_mergepath_config_static_selectorELNS0_4arch9wavefront6targetE0EEEvSK_.kd
    .uniform_work_group_size: 1
    .uses_dynamic_stack: false
    .vgpr_count:     0
    .vgpr_spill_count: 0
    .wavefront_size: 32
    .workgroup_processor_mode: 1
  - .args:
      - .offset:         0
        .size:           72
        .value_kind:     by_value
    .group_segment_fixed_size: 0
    .kernarg_segment_align: 8
    .kernarg_segment_size: 72
    .language:       OpenCL C
    .language_version:
      - 2
      - 0
    .max_flat_workgroup_size: 128
    .name:           _ZN7rocprim17ROCPRIM_400000_NS6detail17trampoline_kernelINS0_14default_configENS1_38merge_sort_block_merge_config_selectorIyNS0_10empty_typeEEEZZNS1_27merge_sort_block_merge_implIS3_N6thrust23THRUST_200600_302600_NS6detail15normal_iteratorINS9_10device_ptrIyEEEEPS5_m11less_div_10IyEEE10hipError_tT0_T1_T2_jT3_P12ihipStream_tbPNSt15iterator_traitsISJ_E10value_typeEPNSP_ISK_E10value_typeEPSL_NS1_7vsmem_tEENKUlT_SJ_SK_SL_E_clIPySE_SF_SF_EESI_SY_SJ_SK_SL_EUlSY_E0_NS1_11comp_targetILNS1_3genE5ELNS1_11target_archE942ELNS1_3gpuE9ELNS1_3repE0EEENS1_38merge_mergepath_config_static_selectorELNS0_4arch9wavefront6targetE0EEEvSK_
    .private_segment_fixed_size: 0
    .sgpr_count:     0
    .sgpr_spill_count: 0
    .symbol:         _ZN7rocprim17ROCPRIM_400000_NS6detail17trampoline_kernelINS0_14default_configENS1_38merge_sort_block_merge_config_selectorIyNS0_10empty_typeEEEZZNS1_27merge_sort_block_merge_implIS3_N6thrust23THRUST_200600_302600_NS6detail15normal_iteratorINS9_10device_ptrIyEEEEPS5_m11less_div_10IyEEE10hipError_tT0_T1_T2_jT3_P12ihipStream_tbPNSt15iterator_traitsISJ_E10value_typeEPNSP_ISK_E10value_typeEPSL_NS1_7vsmem_tEENKUlT_SJ_SK_SL_E_clIPySE_SF_SF_EESI_SY_SJ_SK_SL_EUlSY_E0_NS1_11comp_targetILNS1_3genE5ELNS1_11target_archE942ELNS1_3gpuE9ELNS1_3repE0EEENS1_38merge_mergepath_config_static_selectorELNS0_4arch9wavefront6targetE0EEEvSK_.kd
    .uniform_work_group_size: 1
    .uses_dynamic_stack: false
    .vgpr_count:     0
    .vgpr_spill_count: 0
    .wavefront_size: 32
    .workgroup_processor_mode: 1
  - .args:
      - .offset:         0
        .size:           72
        .value_kind:     by_value
    .group_segment_fixed_size: 0
    .kernarg_segment_align: 8
    .kernarg_segment_size: 72
    .language:       OpenCL C
    .language_version:
      - 2
      - 0
    .max_flat_workgroup_size: 256
    .name:           _ZN7rocprim17ROCPRIM_400000_NS6detail17trampoline_kernelINS0_14default_configENS1_38merge_sort_block_merge_config_selectorIyNS0_10empty_typeEEEZZNS1_27merge_sort_block_merge_implIS3_N6thrust23THRUST_200600_302600_NS6detail15normal_iteratorINS9_10device_ptrIyEEEEPS5_m11less_div_10IyEEE10hipError_tT0_T1_T2_jT3_P12ihipStream_tbPNSt15iterator_traitsISJ_E10value_typeEPNSP_ISK_E10value_typeEPSL_NS1_7vsmem_tEENKUlT_SJ_SK_SL_E_clIPySE_SF_SF_EESI_SY_SJ_SK_SL_EUlSY_E0_NS1_11comp_targetILNS1_3genE4ELNS1_11target_archE910ELNS1_3gpuE8ELNS1_3repE0EEENS1_38merge_mergepath_config_static_selectorELNS0_4arch9wavefront6targetE0EEEvSK_
    .private_segment_fixed_size: 0
    .sgpr_count:     0
    .sgpr_spill_count: 0
    .symbol:         _ZN7rocprim17ROCPRIM_400000_NS6detail17trampoline_kernelINS0_14default_configENS1_38merge_sort_block_merge_config_selectorIyNS0_10empty_typeEEEZZNS1_27merge_sort_block_merge_implIS3_N6thrust23THRUST_200600_302600_NS6detail15normal_iteratorINS9_10device_ptrIyEEEEPS5_m11less_div_10IyEEE10hipError_tT0_T1_T2_jT3_P12ihipStream_tbPNSt15iterator_traitsISJ_E10value_typeEPNSP_ISK_E10value_typeEPSL_NS1_7vsmem_tEENKUlT_SJ_SK_SL_E_clIPySE_SF_SF_EESI_SY_SJ_SK_SL_EUlSY_E0_NS1_11comp_targetILNS1_3genE4ELNS1_11target_archE910ELNS1_3gpuE8ELNS1_3repE0EEENS1_38merge_mergepath_config_static_selectorELNS0_4arch9wavefront6targetE0EEEvSK_.kd
    .uniform_work_group_size: 1
    .uses_dynamic_stack: false
    .vgpr_count:     0
    .vgpr_spill_count: 0
    .wavefront_size: 32
    .workgroup_processor_mode: 1
  - .args:
      - .offset:         0
        .size:           72
        .value_kind:     by_value
    .group_segment_fixed_size: 0
    .kernarg_segment_align: 8
    .kernarg_segment_size: 72
    .language:       OpenCL C
    .language_version:
      - 2
      - 0
    .max_flat_workgroup_size: 128
    .name:           _ZN7rocprim17ROCPRIM_400000_NS6detail17trampoline_kernelINS0_14default_configENS1_38merge_sort_block_merge_config_selectorIyNS0_10empty_typeEEEZZNS1_27merge_sort_block_merge_implIS3_N6thrust23THRUST_200600_302600_NS6detail15normal_iteratorINS9_10device_ptrIyEEEEPS5_m11less_div_10IyEEE10hipError_tT0_T1_T2_jT3_P12ihipStream_tbPNSt15iterator_traitsISJ_E10value_typeEPNSP_ISK_E10value_typeEPSL_NS1_7vsmem_tEENKUlT_SJ_SK_SL_E_clIPySE_SF_SF_EESI_SY_SJ_SK_SL_EUlSY_E0_NS1_11comp_targetILNS1_3genE3ELNS1_11target_archE908ELNS1_3gpuE7ELNS1_3repE0EEENS1_38merge_mergepath_config_static_selectorELNS0_4arch9wavefront6targetE0EEEvSK_
    .private_segment_fixed_size: 0
    .sgpr_count:     0
    .sgpr_spill_count: 0
    .symbol:         _ZN7rocprim17ROCPRIM_400000_NS6detail17trampoline_kernelINS0_14default_configENS1_38merge_sort_block_merge_config_selectorIyNS0_10empty_typeEEEZZNS1_27merge_sort_block_merge_implIS3_N6thrust23THRUST_200600_302600_NS6detail15normal_iteratorINS9_10device_ptrIyEEEEPS5_m11less_div_10IyEEE10hipError_tT0_T1_T2_jT3_P12ihipStream_tbPNSt15iterator_traitsISJ_E10value_typeEPNSP_ISK_E10value_typeEPSL_NS1_7vsmem_tEENKUlT_SJ_SK_SL_E_clIPySE_SF_SF_EESI_SY_SJ_SK_SL_EUlSY_E0_NS1_11comp_targetILNS1_3genE3ELNS1_11target_archE908ELNS1_3gpuE7ELNS1_3repE0EEENS1_38merge_mergepath_config_static_selectorELNS0_4arch9wavefront6targetE0EEEvSK_.kd
    .uniform_work_group_size: 1
    .uses_dynamic_stack: false
    .vgpr_count:     0
    .vgpr_spill_count: 0
    .wavefront_size: 32
    .workgroup_processor_mode: 1
  - .args:
      - .offset:         0
        .size:           72
        .value_kind:     by_value
    .group_segment_fixed_size: 0
    .kernarg_segment_align: 8
    .kernarg_segment_size: 72
    .language:       OpenCL C
    .language_version:
      - 2
      - 0
    .max_flat_workgroup_size: 256
    .name:           _ZN7rocprim17ROCPRIM_400000_NS6detail17trampoline_kernelINS0_14default_configENS1_38merge_sort_block_merge_config_selectorIyNS0_10empty_typeEEEZZNS1_27merge_sort_block_merge_implIS3_N6thrust23THRUST_200600_302600_NS6detail15normal_iteratorINS9_10device_ptrIyEEEEPS5_m11less_div_10IyEEE10hipError_tT0_T1_T2_jT3_P12ihipStream_tbPNSt15iterator_traitsISJ_E10value_typeEPNSP_ISK_E10value_typeEPSL_NS1_7vsmem_tEENKUlT_SJ_SK_SL_E_clIPySE_SF_SF_EESI_SY_SJ_SK_SL_EUlSY_E0_NS1_11comp_targetILNS1_3genE2ELNS1_11target_archE906ELNS1_3gpuE6ELNS1_3repE0EEENS1_38merge_mergepath_config_static_selectorELNS0_4arch9wavefront6targetE0EEEvSK_
    .private_segment_fixed_size: 0
    .sgpr_count:     0
    .sgpr_spill_count: 0
    .symbol:         _ZN7rocprim17ROCPRIM_400000_NS6detail17trampoline_kernelINS0_14default_configENS1_38merge_sort_block_merge_config_selectorIyNS0_10empty_typeEEEZZNS1_27merge_sort_block_merge_implIS3_N6thrust23THRUST_200600_302600_NS6detail15normal_iteratorINS9_10device_ptrIyEEEEPS5_m11less_div_10IyEEE10hipError_tT0_T1_T2_jT3_P12ihipStream_tbPNSt15iterator_traitsISJ_E10value_typeEPNSP_ISK_E10value_typeEPSL_NS1_7vsmem_tEENKUlT_SJ_SK_SL_E_clIPySE_SF_SF_EESI_SY_SJ_SK_SL_EUlSY_E0_NS1_11comp_targetILNS1_3genE2ELNS1_11target_archE906ELNS1_3gpuE6ELNS1_3repE0EEENS1_38merge_mergepath_config_static_selectorELNS0_4arch9wavefront6targetE0EEEvSK_.kd
    .uniform_work_group_size: 1
    .uses_dynamic_stack: false
    .vgpr_count:     0
    .vgpr_spill_count: 0
    .wavefront_size: 32
    .workgroup_processor_mode: 1
  - .args:
      - .offset:         0
        .size:           72
        .value_kind:     by_value
    .group_segment_fixed_size: 0
    .kernarg_segment_align: 8
    .kernarg_segment_size: 72
    .language:       OpenCL C
    .language_version:
      - 2
      - 0
    .max_flat_workgroup_size: 512
    .name:           _ZN7rocprim17ROCPRIM_400000_NS6detail17trampoline_kernelINS0_14default_configENS1_38merge_sort_block_merge_config_selectorIyNS0_10empty_typeEEEZZNS1_27merge_sort_block_merge_implIS3_N6thrust23THRUST_200600_302600_NS6detail15normal_iteratorINS9_10device_ptrIyEEEEPS5_m11less_div_10IyEEE10hipError_tT0_T1_T2_jT3_P12ihipStream_tbPNSt15iterator_traitsISJ_E10value_typeEPNSP_ISK_E10value_typeEPSL_NS1_7vsmem_tEENKUlT_SJ_SK_SL_E_clIPySE_SF_SF_EESI_SY_SJ_SK_SL_EUlSY_E0_NS1_11comp_targetILNS1_3genE9ELNS1_11target_archE1100ELNS1_3gpuE3ELNS1_3repE0EEENS1_38merge_mergepath_config_static_selectorELNS0_4arch9wavefront6targetE0EEEvSK_
    .private_segment_fixed_size: 0
    .sgpr_count:     0
    .sgpr_spill_count: 0
    .symbol:         _ZN7rocprim17ROCPRIM_400000_NS6detail17trampoline_kernelINS0_14default_configENS1_38merge_sort_block_merge_config_selectorIyNS0_10empty_typeEEEZZNS1_27merge_sort_block_merge_implIS3_N6thrust23THRUST_200600_302600_NS6detail15normal_iteratorINS9_10device_ptrIyEEEEPS5_m11less_div_10IyEEE10hipError_tT0_T1_T2_jT3_P12ihipStream_tbPNSt15iterator_traitsISJ_E10value_typeEPNSP_ISK_E10value_typeEPSL_NS1_7vsmem_tEENKUlT_SJ_SK_SL_E_clIPySE_SF_SF_EESI_SY_SJ_SK_SL_EUlSY_E0_NS1_11comp_targetILNS1_3genE9ELNS1_11target_archE1100ELNS1_3gpuE3ELNS1_3repE0EEENS1_38merge_mergepath_config_static_selectorELNS0_4arch9wavefront6targetE0EEEvSK_.kd
    .uniform_work_group_size: 1
    .uses_dynamic_stack: false
    .vgpr_count:     0
    .vgpr_spill_count: 0
    .wavefront_size: 32
    .workgroup_processor_mode: 1
  - .args:
      - .offset:         0
        .size:           72
        .value_kind:     by_value
      - .offset:         72
        .size:           4
        .value_kind:     hidden_block_count_x
      - .offset:         76
        .size:           4
        .value_kind:     hidden_block_count_y
      - .offset:         80
        .size:           4
        .value_kind:     hidden_block_count_z
      - .offset:         84
        .size:           2
        .value_kind:     hidden_group_size_x
      - .offset:         86
        .size:           2
        .value_kind:     hidden_group_size_y
      - .offset:         88
        .size:           2
        .value_kind:     hidden_group_size_z
      - .offset:         90
        .size:           2
        .value_kind:     hidden_remainder_x
      - .offset:         92
        .size:           2
        .value_kind:     hidden_remainder_y
      - .offset:         94
        .size:           2
        .value_kind:     hidden_remainder_z
      - .offset:         112
        .size:           8
        .value_kind:     hidden_global_offset_x
      - .offset:         120
        .size:           8
        .value_kind:     hidden_global_offset_y
      - .offset:         128
        .size:           8
        .value_kind:     hidden_global_offset_z
      - .offset:         136
        .size:           2
        .value_kind:     hidden_grid_dims
    .group_segment_fixed_size: 8208
    .kernarg_segment_align: 8
    .kernarg_segment_size: 328
    .language:       OpenCL C
    .language_version:
      - 2
      - 0
    .max_flat_workgroup_size: 1024
    .name:           _ZN7rocprim17ROCPRIM_400000_NS6detail17trampoline_kernelINS0_14default_configENS1_38merge_sort_block_merge_config_selectorIyNS0_10empty_typeEEEZZNS1_27merge_sort_block_merge_implIS3_N6thrust23THRUST_200600_302600_NS6detail15normal_iteratorINS9_10device_ptrIyEEEEPS5_m11less_div_10IyEEE10hipError_tT0_T1_T2_jT3_P12ihipStream_tbPNSt15iterator_traitsISJ_E10value_typeEPNSP_ISK_E10value_typeEPSL_NS1_7vsmem_tEENKUlT_SJ_SK_SL_E_clIPySE_SF_SF_EESI_SY_SJ_SK_SL_EUlSY_E0_NS1_11comp_targetILNS1_3genE8ELNS1_11target_archE1030ELNS1_3gpuE2ELNS1_3repE0EEENS1_38merge_mergepath_config_static_selectorELNS0_4arch9wavefront6targetE0EEEvSK_
    .private_segment_fixed_size: 0
    .sgpr_count:     25
    .sgpr_spill_count: 0
    .symbol:         _ZN7rocprim17ROCPRIM_400000_NS6detail17trampoline_kernelINS0_14default_configENS1_38merge_sort_block_merge_config_selectorIyNS0_10empty_typeEEEZZNS1_27merge_sort_block_merge_implIS3_N6thrust23THRUST_200600_302600_NS6detail15normal_iteratorINS9_10device_ptrIyEEEEPS5_m11less_div_10IyEEE10hipError_tT0_T1_T2_jT3_P12ihipStream_tbPNSt15iterator_traitsISJ_E10value_typeEPNSP_ISK_E10value_typeEPSL_NS1_7vsmem_tEENKUlT_SJ_SK_SL_E_clIPySE_SF_SF_EESI_SY_SJ_SK_SL_EUlSY_E0_NS1_11comp_targetILNS1_3genE8ELNS1_11target_archE1030ELNS1_3gpuE2ELNS1_3repE0EEENS1_38merge_mergepath_config_static_selectorELNS0_4arch9wavefront6targetE0EEEvSK_.kd
    .uniform_work_group_size: 1
    .uses_dynamic_stack: false
    .vgpr_count:     13
    .vgpr_spill_count: 0
    .wavefront_size: 32
    .workgroup_processor_mode: 1
  - .args:
      - .offset:         0
        .size:           56
        .value_kind:     by_value
    .group_segment_fixed_size: 0
    .kernarg_segment_align: 8
    .kernarg_segment_size: 56
    .language:       OpenCL C
    .language_version:
      - 2
      - 0
    .max_flat_workgroup_size: 256
    .name:           _ZN7rocprim17ROCPRIM_400000_NS6detail17trampoline_kernelINS0_14default_configENS1_38merge_sort_block_merge_config_selectorIyNS0_10empty_typeEEEZZNS1_27merge_sort_block_merge_implIS3_N6thrust23THRUST_200600_302600_NS6detail15normal_iteratorINS9_10device_ptrIyEEEEPS5_m11less_div_10IyEEE10hipError_tT0_T1_T2_jT3_P12ihipStream_tbPNSt15iterator_traitsISJ_E10value_typeEPNSP_ISK_E10value_typeEPSL_NS1_7vsmem_tEENKUlT_SJ_SK_SL_E_clIPySE_SF_SF_EESI_SY_SJ_SK_SL_EUlSY_E1_NS1_11comp_targetILNS1_3genE0ELNS1_11target_archE4294967295ELNS1_3gpuE0ELNS1_3repE0EEENS1_36merge_oddeven_config_static_selectorELNS0_4arch9wavefront6targetE0EEEvSK_
    .private_segment_fixed_size: 0
    .sgpr_count:     0
    .sgpr_spill_count: 0
    .symbol:         _ZN7rocprim17ROCPRIM_400000_NS6detail17trampoline_kernelINS0_14default_configENS1_38merge_sort_block_merge_config_selectorIyNS0_10empty_typeEEEZZNS1_27merge_sort_block_merge_implIS3_N6thrust23THRUST_200600_302600_NS6detail15normal_iteratorINS9_10device_ptrIyEEEEPS5_m11less_div_10IyEEE10hipError_tT0_T1_T2_jT3_P12ihipStream_tbPNSt15iterator_traitsISJ_E10value_typeEPNSP_ISK_E10value_typeEPSL_NS1_7vsmem_tEENKUlT_SJ_SK_SL_E_clIPySE_SF_SF_EESI_SY_SJ_SK_SL_EUlSY_E1_NS1_11comp_targetILNS1_3genE0ELNS1_11target_archE4294967295ELNS1_3gpuE0ELNS1_3repE0EEENS1_36merge_oddeven_config_static_selectorELNS0_4arch9wavefront6targetE0EEEvSK_.kd
    .uniform_work_group_size: 1
    .uses_dynamic_stack: false
    .vgpr_count:     0
    .vgpr_spill_count: 0
    .wavefront_size: 32
    .workgroup_processor_mode: 1
  - .args:
      - .offset:         0
        .size:           56
        .value_kind:     by_value
    .group_segment_fixed_size: 0
    .kernarg_segment_align: 8
    .kernarg_segment_size: 56
    .language:       OpenCL C
    .language_version:
      - 2
      - 0
    .max_flat_workgroup_size: 256
    .name:           _ZN7rocprim17ROCPRIM_400000_NS6detail17trampoline_kernelINS0_14default_configENS1_38merge_sort_block_merge_config_selectorIyNS0_10empty_typeEEEZZNS1_27merge_sort_block_merge_implIS3_N6thrust23THRUST_200600_302600_NS6detail15normal_iteratorINS9_10device_ptrIyEEEEPS5_m11less_div_10IyEEE10hipError_tT0_T1_T2_jT3_P12ihipStream_tbPNSt15iterator_traitsISJ_E10value_typeEPNSP_ISK_E10value_typeEPSL_NS1_7vsmem_tEENKUlT_SJ_SK_SL_E_clIPySE_SF_SF_EESI_SY_SJ_SK_SL_EUlSY_E1_NS1_11comp_targetILNS1_3genE10ELNS1_11target_archE1201ELNS1_3gpuE5ELNS1_3repE0EEENS1_36merge_oddeven_config_static_selectorELNS0_4arch9wavefront6targetE0EEEvSK_
    .private_segment_fixed_size: 0
    .sgpr_count:     0
    .sgpr_spill_count: 0
    .symbol:         _ZN7rocprim17ROCPRIM_400000_NS6detail17trampoline_kernelINS0_14default_configENS1_38merge_sort_block_merge_config_selectorIyNS0_10empty_typeEEEZZNS1_27merge_sort_block_merge_implIS3_N6thrust23THRUST_200600_302600_NS6detail15normal_iteratorINS9_10device_ptrIyEEEEPS5_m11less_div_10IyEEE10hipError_tT0_T1_T2_jT3_P12ihipStream_tbPNSt15iterator_traitsISJ_E10value_typeEPNSP_ISK_E10value_typeEPSL_NS1_7vsmem_tEENKUlT_SJ_SK_SL_E_clIPySE_SF_SF_EESI_SY_SJ_SK_SL_EUlSY_E1_NS1_11comp_targetILNS1_3genE10ELNS1_11target_archE1201ELNS1_3gpuE5ELNS1_3repE0EEENS1_36merge_oddeven_config_static_selectorELNS0_4arch9wavefront6targetE0EEEvSK_.kd
    .uniform_work_group_size: 1
    .uses_dynamic_stack: false
    .vgpr_count:     0
    .vgpr_spill_count: 0
    .wavefront_size: 32
    .workgroup_processor_mode: 1
  - .args:
      - .offset:         0
        .size:           56
        .value_kind:     by_value
    .group_segment_fixed_size: 0
    .kernarg_segment_align: 8
    .kernarg_segment_size: 56
    .language:       OpenCL C
    .language_version:
      - 2
      - 0
    .max_flat_workgroup_size: 256
    .name:           _ZN7rocprim17ROCPRIM_400000_NS6detail17trampoline_kernelINS0_14default_configENS1_38merge_sort_block_merge_config_selectorIyNS0_10empty_typeEEEZZNS1_27merge_sort_block_merge_implIS3_N6thrust23THRUST_200600_302600_NS6detail15normal_iteratorINS9_10device_ptrIyEEEEPS5_m11less_div_10IyEEE10hipError_tT0_T1_T2_jT3_P12ihipStream_tbPNSt15iterator_traitsISJ_E10value_typeEPNSP_ISK_E10value_typeEPSL_NS1_7vsmem_tEENKUlT_SJ_SK_SL_E_clIPySE_SF_SF_EESI_SY_SJ_SK_SL_EUlSY_E1_NS1_11comp_targetILNS1_3genE5ELNS1_11target_archE942ELNS1_3gpuE9ELNS1_3repE0EEENS1_36merge_oddeven_config_static_selectorELNS0_4arch9wavefront6targetE0EEEvSK_
    .private_segment_fixed_size: 0
    .sgpr_count:     0
    .sgpr_spill_count: 0
    .symbol:         _ZN7rocprim17ROCPRIM_400000_NS6detail17trampoline_kernelINS0_14default_configENS1_38merge_sort_block_merge_config_selectorIyNS0_10empty_typeEEEZZNS1_27merge_sort_block_merge_implIS3_N6thrust23THRUST_200600_302600_NS6detail15normal_iteratorINS9_10device_ptrIyEEEEPS5_m11less_div_10IyEEE10hipError_tT0_T1_T2_jT3_P12ihipStream_tbPNSt15iterator_traitsISJ_E10value_typeEPNSP_ISK_E10value_typeEPSL_NS1_7vsmem_tEENKUlT_SJ_SK_SL_E_clIPySE_SF_SF_EESI_SY_SJ_SK_SL_EUlSY_E1_NS1_11comp_targetILNS1_3genE5ELNS1_11target_archE942ELNS1_3gpuE9ELNS1_3repE0EEENS1_36merge_oddeven_config_static_selectorELNS0_4arch9wavefront6targetE0EEEvSK_.kd
    .uniform_work_group_size: 1
    .uses_dynamic_stack: false
    .vgpr_count:     0
    .vgpr_spill_count: 0
    .wavefront_size: 32
    .workgroup_processor_mode: 1
  - .args:
      - .offset:         0
        .size:           56
        .value_kind:     by_value
    .group_segment_fixed_size: 0
    .kernarg_segment_align: 8
    .kernarg_segment_size: 56
    .language:       OpenCL C
    .language_version:
      - 2
      - 0
    .max_flat_workgroup_size: 256
    .name:           _ZN7rocprim17ROCPRIM_400000_NS6detail17trampoline_kernelINS0_14default_configENS1_38merge_sort_block_merge_config_selectorIyNS0_10empty_typeEEEZZNS1_27merge_sort_block_merge_implIS3_N6thrust23THRUST_200600_302600_NS6detail15normal_iteratorINS9_10device_ptrIyEEEEPS5_m11less_div_10IyEEE10hipError_tT0_T1_T2_jT3_P12ihipStream_tbPNSt15iterator_traitsISJ_E10value_typeEPNSP_ISK_E10value_typeEPSL_NS1_7vsmem_tEENKUlT_SJ_SK_SL_E_clIPySE_SF_SF_EESI_SY_SJ_SK_SL_EUlSY_E1_NS1_11comp_targetILNS1_3genE4ELNS1_11target_archE910ELNS1_3gpuE8ELNS1_3repE0EEENS1_36merge_oddeven_config_static_selectorELNS0_4arch9wavefront6targetE0EEEvSK_
    .private_segment_fixed_size: 0
    .sgpr_count:     0
    .sgpr_spill_count: 0
    .symbol:         _ZN7rocprim17ROCPRIM_400000_NS6detail17trampoline_kernelINS0_14default_configENS1_38merge_sort_block_merge_config_selectorIyNS0_10empty_typeEEEZZNS1_27merge_sort_block_merge_implIS3_N6thrust23THRUST_200600_302600_NS6detail15normal_iteratorINS9_10device_ptrIyEEEEPS5_m11less_div_10IyEEE10hipError_tT0_T1_T2_jT3_P12ihipStream_tbPNSt15iterator_traitsISJ_E10value_typeEPNSP_ISK_E10value_typeEPSL_NS1_7vsmem_tEENKUlT_SJ_SK_SL_E_clIPySE_SF_SF_EESI_SY_SJ_SK_SL_EUlSY_E1_NS1_11comp_targetILNS1_3genE4ELNS1_11target_archE910ELNS1_3gpuE8ELNS1_3repE0EEENS1_36merge_oddeven_config_static_selectorELNS0_4arch9wavefront6targetE0EEEvSK_.kd
    .uniform_work_group_size: 1
    .uses_dynamic_stack: false
    .vgpr_count:     0
    .vgpr_spill_count: 0
    .wavefront_size: 32
    .workgroup_processor_mode: 1
  - .args:
      - .offset:         0
        .size:           56
        .value_kind:     by_value
    .group_segment_fixed_size: 0
    .kernarg_segment_align: 8
    .kernarg_segment_size: 56
    .language:       OpenCL C
    .language_version:
      - 2
      - 0
    .max_flat_workgroup_size: 256
    .name:           _ZN7rocprim17ROCPRIM_400000_NS6detail17trampoline_kernelINS0_14default_configENS1_38merge_sort_block_merge_config_selectorIyNS0_10empty_typeEEEZZNS1_27merge_sort_block_merge_implIS3_N6thrust23THRUST_200600_302600_NS6detail15normal_iteratorINS9_10device_ptrIyEEEEPS5_m11less_div_10IyEEE10hipError_tT0_T1_T2_jT3_P12ihipStream_tbPNSt15iterator_traitsISJ_E10value_typeEPNSP_ISK_E10value_typeEPSL_NS1_7vsmem_tEENKUlT_SJ_SK_SL_E_clIPySE_SF_SF_EESI_SY_SJ_SK_SL_EUlSY_E1_NS1_11comp_targetILNS1_3genE3ELNS1_11target_archE908ELNS1_3gpuE7ELNS1_3repE0EEENS1_36merge_oddeven_config_static_selectorELNS0_4arch9wavefront6targetE0EEEvSK_
    .private_segment_fixed_size: 0
    .sgpr_count:     0
    .sgpr_spill_count: 0
    .symbol:         _ZN7rocprim17ROCPRIM_400000_NS6detail17trampoline_kernelINS0_14default_configENS1_38merge_sort_block_merge_config_selectorIyNS0_10empty_typeEEEZZNS1_27merge_sort_block_merge_implIS3_N6thrust23THRUST_200600_302600_NS6detail15normal_iteratorINS9_10device_ptrIyEEEEPS5_m11less_div_10IyEEE10hipError_tT0_T1_T2_jT3_P12ihipStream_tbPNSt15iterator_traitsISJ_E10value_typeEPNSP_ISK_E10value_typeEPSL_NS1_7vsmem_tEENKUlT_SJ_SK_SL_E_clIPySE_SF_SF_EESI_SY_SJ_SK_SL_EUlSY_E1_NS1_11comp_targetILNS1_3genE3ELNS1_11target_archE908ELNS1_3gpuE7ELNS1_3repE0EEENS1_36merge_oddeven_config_static_selectorELNS0_4arch9wavefront6targetE0EEEvSK_.kd
    .uniform_work_group_size: 1
    .uses_dynamic_stack: false
    .vgpr_count:     0
    .vgpr_spill_count: 0
    .wavefront_size: 32
    .workgroup_processor_mode: 1
  - .args:
      - .offset:         0
        .size:           56
        .value_kind:     by_value
    .group_segment_fixed_size: 0
    .kernarg_segment_align: 8
    .kernarg_segment_size: 56
    .language:       OpenCL C
    .language_version:
      - 2
      - 0
    .max_flat_workgroup_size: 256
    .name:           _ZN7rocprim17ROCPRIM_400000_NS6detail17trampoline_kernelINS0_14default_configENS1_38merge_sort_block_merge_config_selectorIyNS0_10empty_typeEEEZZNS1_27merge_sort_block_merge_implIS3_N6thrust23THRUST_200600_302600_NS6detail15normal_iteratorINS9_10device_ptrIyEEEEPS5_m11less_div_10IyEEE10hipError_tT0_T1_T2_jT3_P12ihipStream_tbPNSt15iterator_traitsISJ_E10value_typeEPNSP_ISK_E10value_typeEPSL_NS1_7vsmem_tEENKUlT_SJ_SK_SL_E_clIPySE_SF_SF_EESI_SY_SJ_SK_SL_EUlSY_E1_NS1_11comp_targetILNS1_3genE2ELNS1_11target_archE906ELNS1_3gpuE6ELNS1_3repE0EEENS1_36merge_oddeven_config_static_selectorELNS0_4arch9wavefront6targetE0EEEvSK_
    .private_segment_fixed_size: 0
    .sgpr_count:     0
    .sgpr_spill_count: 0
    .symbol:         _ZN7rocprim17ROCPRIM_400000_NS6detail17trampoline_kernelINS0_14default_configENS1_38merge_sort_block_merge_config_selectorIyNS0_10empty_typeEEEZZNS1_27merge_sort_block_merge_implIS3_N6thrust23THRUST_200600_302600_NS6detail15normal_iteratorINS9_10device_ptrIyEEEEPS5_m11less_div_10IyEEE10hipError_tT0_T1_T2_jT3_P12ihipStream_tbPNSt15iterator_traitsISJ_E10value_typeEPNSP_ISK_E10value_typeEPSL_NS1_7vsmem_tEENKUlT_SJ_SK_SL_E_clIPySE_SF_SF_EESI_SY_SJ_SK_SL_EUlSY_E1_NS1_11comp_targetILNS1_3genE2ELNS1_11target_archE906ELNS1_3gpuE6ELNS1_3repE0EEENS1_36merge_oddeven_config_static_selectorELNS0_4arch9wavefront6targetE0EEEvSK_.kd
    .uniform_work_group_size: 1
    .uses_dynamic_stack: false
    .vgpr_count:     0
    .vgpr_spill_count: 0
    .wavefront_size: 32
    .workgroup_processor_mode: 1
  - .args:
      - .offset:         0
        .size:           56
        .value_kind:     by_value
    .group_segment_fixed_size: 0
    .kernarg_segment_align: 8
    .kernarg_segment_size: 56
    .language:       OpenCL C
    .language_version:
      - 2
      - 0
    .max_flat_workgroup_size: 256
    .name:           _ZN7rocprim17ROCPRIM_400000_NS6detail17trampoline_kernelINS0_14default_configENS1_38merge_sort_block_merge_config_selectorIyNS0_10empty_typeEEEZZNS1_27merge_sort_block_merge_implIS3_N6thrust23THRUST_200600_302600_NS6detail15normal_iteratorINS9_10device_ptrIyEEEEPS5_m11less_div_10IyEEE10hipError_tT0_T1_T2_jT3_P12ihipStream_tbPNSt15iterator_traitsISJ_E10value_typeEPNSP_ISK_E10value_typeEPSL_NS1_7vsmem_tEENKUlT_SJ_SK_SL_E_clIPySE_SF_SF_EESI_SY_SJ_SK_SL_EUlSY_E1_NS1_11comp_targetILNS1_3genE9ELNS1_11target_archE1100ELNS1_3gpuE3ELNS1_3repE0EEENS1_36merge_oddeven_config_static_selectorELNS0_4arch9wavefront6targetE0EEEvSK_
    .private_segment_fixed_size: 0
    .sgpr_count:     0
    .sgpr_spill_count: 0
    .symbol:         _ZN7rocprim17ROCPRIM_400000_NS6detail17trampoline_kernelINS0_14default_configENS1_38merge_sort_block_merge_config_selectorIyNS0_10empty_typeEEEZZNS1_27merge_sort_block_merge_implIS3_N6thrust23THRUST_200600_302600_NS6detail15normal_iteratorINS9_10device_ptrIyEEEEPS5_m11less_div_10IyEEE10hipError_tT0_T1_T2_jT3_P12ihipStream_tbPNSt15iterator_traitsISJ_E10value_typeEPNSP_ISK_E10value_typeEPSL_NS1_7vsmem_tEENKUlT_SJ_SK_SL_E_clIPySE_SF_SF_EESI_SY_SJ_SK_SL_EUlSY_E1_NS1_11comp_targetILNS1_3genE9ELNS1_11target_archE1100ELNS1_3gpuE3ELNS1_3repE0EEENS1_36merge_oddeven_config_static_selectorELNS0_4arch9wavefront6targetE0EEEvSK_.kd
    .uniform_work_group_size: 1
    .uses_dynamic_stack: false
    .vgpr_count:     0
    .vgpr_spill_count: 0
    .wavefront_size: 32
    .workgroup_processor_mode: 1
  - .args:
      - .offset:         0
        .size:           56
        .value_kind:     by_value
    .group_segment_fixed_size: 0
    .kernarg_segment_align: 8
    .kernarg_segment_size: 56
    .language:       OpenCL C
    .language_version:
      - 2
      - 0
    .max_flat_workgroup_size: 256
    .name:           _ZN7rocprim17ROCPRIM_400000_NS6detail17trampoline_kernelINS0_14default_configENS1_38merge_sort_block_merge_config_selectorIyNS0_10empty_typeEEEZZNS1_27merge_sort_block_merge_implIS3_N6thrust23THRUST_200600_302600_NS6detail15normal_iteratorINS9_10device_ptrIyEEEEPS5_m11less_div_10IyEEE10hipError_tT0_T1_T2_jT3_P12ihipStream_tbPNSt15iterator_traitsISJ_E10value_typeEPNSP_ISK_E10value_typeEPSL_NS1_7vsmem_tEENKUlT_SJ_SK_SL_E_clIPySE_SF_SF_EESI_SY_SJ_SK_SL_EUlSY_E1_NS1_11comp_targetILNS1_3genE8ELNS1_11target_archE1030ELNS1_3gpuE2ELNS1_3repE0EEENS1_36merge_oddeven_config_static_selectorELNS0_4arch9wavefront6targetE0EEEvSK_
    .private_segment_fixed_size: 0
    .sgpr_count:     18
    .sgpr_spill_count: 0
    .symbol:         _ZN7rocprim17ROCPRIM_400000_NS6detail17trampoline_kernelINS0_14default_configENS1_38merge_sort_block_merge_config_selectorIyNS0_10empty_typeEEEZZNS1_27merge_sort_block_merge_implIS3_N6thrust23THRUST_200600_302600_NS6detail15normal_iteratorINS9_10device_ptrIyEEEEPS5_m11less_div_10IyEEE10hipError_tT0_T1_T2_jT3_P12ihipStream_tbPNSt15iterator_traitsISJ_E10value_typeEPNSP_ISK_E10value_typeEPSL_NS1_7vsmem_tEENKUlT_SJ_SK_SL_E_clIPySE_SF_SF_EESI_SY_SJ_SK_SL_EUlSY_E1_NS1_11comp_targetILNS1_3genE8ELNS1_11target_archE1030ELNS1_3gpuE2ELNS1_3repE0EEENS1_36merge_oddeven_config_static_selectorELNS0_4arch9wavefront6targetE0EEEvSK_.kd
    .uniform_work_group_size: 1
    .uses_dynamic_stack: false
    .vgpr_count:     10
    .vgpr_spill_count: 0
    .wavefront_size: 32
    .workgroup_processor_mode: 1
  - .args:
      - .offset:         0
        .size:           48
        .value_kind:     by_value
    .group_segment_fixed_size: 0
    .kernarg_segment_align: 8
    .kernarg_segment_size: 48
    .language:       OpenCL C
    .language_version:
      - 2
      - 0
    .max_flat_workgroup_size: 128
    .name:           _ZN7rocprim17ROCPRIM_400000_NS6detail17trampoline_kernelINS0_14default_configENS1_38merge_sort_block_merge_config_selectorIyNS0_10empty_typeEEEZZNS1_27merge_sort_block_merge_implIS3_N6thrust23THRUST_200600_302600_NS6detail15normal_iteratorINS9_10device_ptrIyEEEEPS5_m11less_div_10IyEEE10hipError_tT0_T1_T2_jT3_P12ihipStream_tbPNSt15iterator_traitsISJ_E10value_typeEPNSP_ISK_E10value_typeEPSL_NS1_7vsmem_tEENKUlT_SJ_SK_SL_E_clISE_PySF_SF_EESI_SY_SJ_SK_SL_EUlSY_E_NS1_11comp_targetILNS1_3genE0ELNS1_11target_archE4294967295ELNS1_3gpuE0ELNS1_3repE0EEENS1_48merge_mergepath_partition_config_static_selectorELNS0_4arch9wavefront6targetE0EEEvSK_
    .private_segment_fixed_size: 0
    .sgpr_count:     0
    .sgpr_spill_count: 0
    .symbol:         _ZN7rocprim17ROCPRIM_400000_NS6detail17trampoline_kernelINS0_14default_configENS1_38merge_sort_block_merge_config_selectorIyNS0_10empty_typeEEEZZNS1_27merge_sort_block_merge_implIS3_N6thrust23THRUST_200600_302600_NS6detail15normal_iteratorINS9_10device_ptrIyEEEEPS5_m11less_div_10IyEEE10hipError_tT0_T1_T2_jT3_P12ihipStream_tbPNSt15iterator_traitsISJ_E10value_typeEPNSP_ISK_E10value_typeEPSL_NS1_7vsmem_tEENKUlT_SJ_SK_SL_E_clISE_PySF_SF_EESI_SY_SJ_SK_SL_EUlSY_E_NS1_11comp_targetILNS1_3genE0ELNS1_11target_archE4294967295ELNS1_3gpuE0ELNS1_3repE0EEENS1_48merge_mergepath_partition_config_static_selectorELNS0_4arch9wavefront6targetE0EEEvSK_.kd
    .uniform_work_group_size: 1
    .uses_dynamic_stack: false
    .vgpr_count:     0
    .vgpr_spill_count: 0
    .wavefront_size: 32
    .workgroup_processor_mode: 1
  - .args:
      - .offset:         0
        .size:           48
        .value_kind:     by_value
    .group_segment_fixed_size: 0
    .kernarg_segment_align: 8
    .kernarg_segment_size: 48
    .language:       OpenCL C
    .language_version:
      - 2
      - 0
    .max_flat_workgroup_size: 128
    .name:           _ZN7rocprim17ROCPRIM_400000_NS6detail17trampoline_kernelINS0_14default_configENS1_38merge_sort_block_merge_config_selectorIyNS0_10empty_typeEEEZZNS1_27merge_sort_block_merge_implIS3_N6thrust23THRUST_200600_302600_NS6detail15normal_iteratorINS9_10device_ptrIyEEEEPS5_m11less_div_10IyEEE10hipError_tT0_T1_T2_jT3_P12ihipStream_tbPNSt15iterator_traitsISJ_E10value_typeEPNSP_ISK_E10value_typeEPSL_NS1_7vsmem_tEENKUlT_SJ_SK_SL_E_clISE_PySF_SF_EESI_SY_SJ_SK_SL_EUlSY_E_NS1_11comp_targetILNS1_3genE10ELNS1_11target_archE1201ELNS1_3gpuE5ELNS1_3repE0EEENS1_48merge_mergepath_partition_config_static_selectorELNS0_4arch9wavefront6targetE0EEEvSK_
    .private_segment_fixed_size: 0
    .sgpr_count:     0
    .sgpr_spill_count: 0
    .symbol:         _ZN7rocprim17ROCPRIM_400000_NS6detail17trampoline_kernelINS0_14default_configENS1_38merge_sort_block_merge_config_selectorIyNS0_10empty_typeEEEZZNS1_27merge_sort_block_merge_implIS3_N6thrust23THRUST_200600_302600_NS6detail15normal_iteratorINS9_10device_ptrIyEEEEPS5_m11less_div_10IyEEE10hipError_tT0_T1_T2_jT3_P12ihipStream_tbPNSt15iterator_traitsISJ_E10value_typeEPNSP_ISK_E10value_typeEPSL_NS1_7vsmem_tEENKUlT_SJ_SK_SL_E_clISE_PySF_SF_EESI_SY_SJ_SK_SL_EUlSY_E_NS1_11comp_targetILNS1_3genE10ELNS1_11target_archE1201ELNS1_3gpuE5ELNS1_3repE0EEENS1_48merge_mergepath_partition_config_static_selectorELNS0_4arch9wavefront6targetE0EEEvSK_.kd
    .uniform_work_group_size: 1
    .uses_dynamic_stack: false
    .vgpr_count:     0
    .vgpr_spill_count: 0
    .wavefront_size: 32
    .workgroup_processor_mode: 1
  - .args:
      - .offset:         0
        .size:           48
        .value_kind:     by_value
    .group_segment_fixed_size: 0
    .kernarg_segment_align: 8
    .kernarg_segment_size: 48
    .language:       OpenCL C
    .language_version:
      - 2
      - 0
    .max_flat_workgroup_size: 128
    .name:           _ZN7rocprim17ROCPRIM_400000_NS6detail17trampoline_kernelINS0_14default_configENS1_38merge_sort_block_merge_config_selectorIyNS0_10empty_typeEEEZZNS1_27merge_sort_block_merge_implIS3_N6thrust23THRUST_200600_302600_NS6detail15normal_iteratorINS9_10device_ptrIyEEEEPS5_m11less_div_10IyEEE10hipError_tT0_T1_T2_jT3_P12ihipStream_tbPNSt15iterator_traitsISJ_E10value_typeEPNSP_ISK_E10value_typeEPSL_NS1_7vsmem_tEENKUlT_SJ_SK_SL_E_clISE_PySF_SF_EESI_SY_SJ_SK_SL_EUlSY_E_NS1_11comp_targetILNS1_3genE5ELNS1_11target_archE942ELNS1_3gpuE9ELNS1_3repE0EEENS1_48merge_mergepath_partition_config_static_selectorELNS0_4arch9wavefront6targetE0EEEvSK_
    .private_segment_fixed_size: 0
    .sgpr_count:     0
    .sgpr_spill_count: 0
    .symbol:         _ZN7rocprim17ROCPRIM_400000_NS6detail17trampoline_kernelINS0_14default_configENS1_38merge_sort_block_merge_config_selectorIyNS0_10empty_typeEEEZZNS1_27merge_sort_block_merge_implIS3_N6thrust23THRUST_200600_302600_NS6detail15normal_iteratorINS9_10device_ptrIyEEEEPS5_m11less_div_10IyEEE10hipError_tT0_T1_T2_jT3_P12ihipStream_tbPNSt15iterator_traitsISJ_E10value_typeEPNSP_ISK_E10value_typeEPSL_NS1_7vsmem_tEENKUlT_SJ_SK_SL_E_clISE_PySF_SF_EESI_SY_SJ_SK_SL_EUlSY_E_NS1_11comp_targetILNS1_3genE5ELNS1_11target_archE942ELNS1_3gpuE9ELNS1_3repE0EEENS1_48merge_mergepath_partition_config_static_selectorELNS0_4arch9wavefront6targetE0EEEvSK_.kd
    .uniform_work_group_size: 1
    .uses_dynamic_stack: false
    .vgpr_count:     0
    .vgpr_spill_count: 0
    .wavefront_size: 32
    .workgroup_processor_mode: 1
  - .args:
      - .offset:         0
        .size:           48
        .value_kind:     by_value
    .group_segment_fixed_size: 0
    .kernarg_segment_align: 8
    .kernarg_segment_size: 48
    .language:       OpenCL C
    .language_version:
      - 2
      - 0
    .max_flat_workgroup_size: 128
    .name:           _ZN7rocprim17ROCPRIM_400000_NS6detail17trampoline_kernelINS0_14default_configENS1_38merge_sort_block_merge_config_selectorIyNS0_10empty_typeEEEZZNS1_27merge_sort_block_merge_implIS3_N6thrust23THRUST_200600_302600_NS6detail15normal_iteratorINS9_10device_ptrIyEEEEPS5_m11less_div_10IyEEE10hipError_tT0_T1_T2_jT3_P12ihipStream_tbPNSt15iterator_traitsISJ_E10value_typeEPNSP_ISK_E10value_typeEPSL_NS1_7vsmem_tEENKUlT_SJ_SK_SL_E_clISE_PySF_SF_EESI_SY_SJ_SK_SL_EUlSY_E_NS1_11comp_targetILNS1_3genE4ELNS1_11target_archE910ELNS1_3gpuE8ELNS1_3repE0EEENS1_48merge_mergepath_partition_config_static_selectorELNS0_4arch9wavefront6targetE0EEEvSK_
    .private_segment_fixed_size: 0
    .sgpr_count:     0
    .sgpr_spill_count: 0
    .symbol:         _ZN7rocprim17ROCPRIM_400000_NS6detail17trampoline_kernelINS0_14default_configENS1_38merge_sort_block_merge_config_selectorIyNS0_10empty_typeEEEZZNS1_27merge_sort_block_merge_implIS3_N6thrust23THRUST_200600_302600_NS6detail15normal_iteratorINS9_10device_ptrIyEEEEPS5_m11less_div_10IyEEE10hipError_tT0_T1_T2_jT3_P12ihipStream_tbPNSt15iterator_traitsISJ_E10value_typeEPNSP_ISK_E10value_typeEPSL_NS1_7vsmem_tEENKUlT_SJ_SK_SL_E_clISE_PySF_SF_EESI_SY_SJ_SK_SL_EUlSY_E_NS1_11comp_targetILNS1_3genE4ELNS1_11target_archE910ELNS1_3gpuE8ELNS1_3repE0EEENS1_48merge_mergepath_partition_config_static_selectorELNS0_4arch9wavefront6targetE0EEEvSK_.kd
    .uniform_work_group_size: 1
    .uses_dynamic_stack: false
    .vgpr_count:     0
    .vgpr_spill_count: 0
    .wavefront_size: 32
    .workgroup_processor_mode: 1
  - .args:
      - .offset:         0
        .size:           48
        .value_kind:     by_value
    .group_segment_fixed_size: 0
    .kernarg_segment_align: 8
    .kernarg_segment_size: 48
    .language:       OpenCL C
    .language_version:
      - 2
      - 0
    .max_flat_workgroup_size: 128
    .name:           _ZN7rocprim17ROCPRIM_400000_NS6detail17trampoline_kernelINS0_14default_configENS1_38merge_sort_block_merge_config_selectorIyNS0_10empty_typeEEEZZNS1_27merge_sort_block_merge_implIS3_N6thrust23THRUST_200600_302600_NS6detail15normal_iteratorINS9_10device_ptrIyEEEEPS5_m11less_div_10IyEEE10hipError_tT0_T1_T2_jT3_P12ihipStream_tbPNSt15iterator_traitsISJ_E10value_typeEPNSP_ISK_E10value_typeEPSL_NS1_7vsmem_tEENKUlT_SJ_SK_SL_E_clISE_PySF_SF_EESI_SY_SJ_SK_SL_EUlSY_E_NS1_11comp_targetILNS1_3genE3ELNS1_11target_archE908ELNS1_3gpuE7ELNS1_3repE0EEENS1_48merge_mergepath_partition_config_static_selectorELNS0_4arch9wavefront6targetE0EEEvSK_
    .private_segment_fixed_size: 0
    .sgpr_count:     0
    .sgpr_spill_count: 0
    .symbol:         _ZN7rocprim17ROCPRIM_400000_NS6detail17trampoline_kernelINS0_14default_configENS1_38merge_sort_block_merge_config_selectorIyNS0_10empty_typeEEEZZNS1_27merge_sort_block_merge_implIS3_N6thrust23THRUST_200600_302600_NS6detail15normal_iteratorINS9_10device_ptrIyEEEEPS5_m11less_div_10IyEEE10hipError_tT0_T1_T2_jT3_P12ihipStream_tbPNSt15iterator_traitsISJ_E10value_typeEPNSP_ISK_E10value_typeEPSL_NS1_7vsmem_tEENKUlT_SJ_SK_SL_E_clISE_PySF_SF_EESI_SY_SJ_SK_SL_EUlSY_E_NS1_11comp_targetILNS1_3genE3ELNS1_11target_archE908ELNS1_3gpuE7ELNS1_3repE0EEENS1_48merge_mergepath_partition_config_static_selectorELNS0_4arch9wavefront6targetE0EEEvSK_.kd
    .uniform_work_group_size: 1
    .uses_dynamic_stack: false
    .vgpr_count:     0
    .vgpr_spill_count: 0
    .wavefront_size: 32
    .workgroup_processor_mode: 1
  - .args:
      - .offset:         0
        .size:           48
        .value_kind:     by_value
    .group_segment_fixed_size: 0
    .kernarg_segment_align: 8
    .kernarg_segment_size: 48
    .language:       OpenCL C
    .language_version:
      - 2
      - 0
    .max_flat_workgroup_size: 128
    .name:           _ZN7rocprim17ROCPRIM_400000_NS6detail17trampoline_kernelINS0_14default_configENS1_38merge_sort_block_merge_config_selectorIyNS0_10empty_typeEEEZZNS1_27merge_sort_block_merge_implIS3_N6thrust23THRUST_200600_302600_NS6detail15normal_iteratorINS9_10device_ptrIyEEEEPS5_m11less_div_10IyEEE10hipError_tT0_T1_T2_jT3_P12ihipStream_tbPNSt15iterator_traitsISJ_E10value_typeEPNSP_ISK_E10value_typeEPSL_NS1_7vsmem_tEENKUlT_SJ_SK_SL_E_clISE_PySF_SF_EESI_SY_SJ_SK_SL_EUlSY_E_NS1_11comp_targetILNS1_3genE2ELNS1_11target_archE906ELNS1_3gpuE6ELNS1_3repE0EEENS1_48merge_mergepath_partition_config_static_selectorELNS0_4arch9wavefront6targetE0EEEvSK_
    .private_segment_fixed_size: 0
    .sgpr_count:     0
    .sgpr_spill_count: 0
    .symbol:         _ZN7rocprim17ROCPRIM_400000_NS6detail17trampoline_kernelINS0_14default_configENS1_38merge_sort_block_merge_config_selectorIyNS0_10empty_typeEEEZZNS1_27merge_sort_block_merge_implIS3_N6thrust23THRUST_200600_302600_NS6detail15normal_iteratorINS9_10device_ptrIyEEEEPS5_m11less_div_10IyEEE10hipError_tT0_T1_T2_jT3_P12ihipStream_tbPNSt15iterator_traitsISJ_E10value_typeEPNSP_ISK_E10value_typeEPSL_NS1_7vsmem_tEENKUlT_SJ_SK_SL_E_clISE_PySF_SF_EESI_SY_SJ_SK_SL_EUlSY_E_NS1_11comp_targetILNS1_3genE2ELNS1_11target_archE906ELNS1_3gpuE6ELNS1_3repE0EEENS1_48merge_mergepath_partition_config_static_selectorELNS0_4arch9wavefront6targetE0EEEvSK_.kd
    .uniform_work_group_size: 1
    .uses_dynamic_stack: false
    .vgpr_count:     0
    .vgpr_spill_count: 0
    .wavefront_size: 32
    .workgroup_processor_mode: 1
  - .args:
      - .offset:         0
        .size:           48
        .value_kind:     by_value
    .group_segment_fixed_size: 0
    .kernarg_segment_align: 8
    .kernarg_segment_size: 48
    .language:       OpenCL C
    .language_version:
      - 2
      - 0
    .max_flat_workgroup_size: 128
    .name:           _ZN7rocprim17ROCPRIM_400000_NS6detail17trampoline_kernelINS0_14default_configENS1_38merge_sort_block_merge_config_selectorIyNS0_10empty_typeEEEZZNS1_27merge_sort_block_merge_implIS3_N6thrust23THRUST_200600_302600_NS6detail15normal_iteratorINS9_10device_ptrIyEEEEPS5_m11less_div_10IyEEE10hipError_tT0_T1_T2_jT3_P12ihipStream_tbPNSt15iterator_traitsISJ_E10value_typeEPNSP_ISK_E10value_typeEPSL_NS1_7vsmem_tEENKUlT_SJ_SK_SL_E_clISE_PySF_SF_EESI_SY_SJ_SK_SL_EUlSY_E_NS1_11comp_targetILNS1_3genE9ELNS1_11target_archE1100ELNS1_3gpuE3ELNS1_3repE0EEENS1_48merge_mergepath_partition_config_static_selectorELNS0_4arch9wavefront6targetE0EEEvSK_
    .private_segment_fixed_size: 0
    .sgpr_count:     0
    .sgpr_spill_count: 0
    .symbol:         _ZN7rocprim17ROCPRIM_400000_NS6detail17trampoline_kernelINS0_14default_configENS1_38merge_sort_block_merge_config_selectorIyNS0_10empty_typeEEEZZNS1_27merge_sort_block_merge_implIS3_N6thrust23THRUST_200600_302600_NS6detail15normal_iteratorINS9_10device_ptrIyEEEEPS5_m11less_div_10IyEEE10hipError_tT0_T1_T2_jT3_P12ihipStream_tbPNSt15iterator_traitsISJ_E10value_typeEPNSP_ISK_E10value_typeEPSL_NS1_7vsmem_tEENKUlT_SJ_SK_SL_E_clISE_PySF_SF_EESI_SY_SJ_SK_SL_EUlSY_E_NS1_11comp_targetILNS1_3genE9ELNS1_11target_archE1100ELNS1_3gpuE3ELNS1_3repE0EEENS1_48merge_mergepath_partition_config_static_selectorELNS0_4arch9wavefront6targetE0EEEvSK_.kd
    .uniform_work_group_size: 1
    .uses_dynamic_stack: false
    .vgpr_count:     0
    .vgpr_spill_count: 0
    .wavefront_size: 32
    .workgroup_processor_mode: 1
  - .args:
      - .offset:         0
        .size:           48
        .value_kind:     by_value
    .group_segment_fixed_size: 0
    .kernarg_segment_align: 8
    .kernarg_segment_size: 48
    .language:       OpenCL C
    .language_version:
      - 2
      - 0
    .max_flat_workgroup_size: 128
    .name:           _ZN7rocprim17ROCPRIM_400000_NS6detail17trampoline_kernelINS0_14default_configENS1_38merge_sort_block_merge_config_selectorIyNS0_10empty_typeEEEZZNS1_27merge_sort_block_merge_implIS3_N6thrust23THRUST_200600_302600_NS6detail15normal_iteratorINS9_10device_ptrIyEEEEPS5_m11less_div_10IyEEE10hipError_tT0_T1_T2_jT3_P12ihipStream_tbPNSt15iterator_traitsISJ_E10value_typeEPNSP_ISK_E10value_typeEPSL_NS1_7vsmem_tEENKUlT_SJ_SK_SL_E_clISE_PySF_SF_EESI_SY_SJ_SK_SL_EUlSY_E_NS1_11comp_targetILNS1_3genE8ELNS1_11target_archE1030ELNS1_3gpuE2ELNS1_3repE0EEENS1_48merge_mergepath_partition_config_static_selectorELNS0_4arch9wavefront6targetE0EEEvSK_
    .private_segment_fixed_size: 0
    .sgpr_count:     10
    .sgpr_spill_count: 0
    .symbol:         _ZN7rocprim17ROCPRIM_400000_NS6detail17trampoline_kernelINS0_14default_configENS1_38merge_sort_block_merge_config_selectorIyNS0_10empty_typeEEEZZNS1_27merge_sort_block_merge_implIS3_N6thrust23THRUST_200600_302600_NS6detail15normal_iteratorINS9_10device_ptrIyEEEEPS5_m11less_div_10IyEEE10hipError_tT0_T1_T2_jT3_P12ihipStream_tbPNSt15iterator_traitsISJ_E10value_typeEPNSP_ISK_E10value_typeEPSL_NS1_7vsmem_tEENKUlT_SJ_SK_SL_E_clISE_PySF_SF_EESI_SY_SJ_SK_SL_EUlSY_E_NS1_11comp_targetILNS1_3genE8ELNS1_11target_archE1030ELNS1_3gpuE2ELNS1_3repE0EEENS1_48merge_mergepath_partition_config_static_selectorELNS0_4arch9wavefront6targetE0EEEvSK_.kd
    .uniform_work_group_size: 1
    .uses_dynamic_stack: false
    .vgpr_count:     18
    .vgpr_spill_count: 0
    .wavefront_size: 32
    .workgroup_processor_mode: 1
  - .args:
      - .offset:         0
        .size:           72
        .value_kind:     by_value
    .group_segment_fixed_size: 0
    .kernarg_segment_align: 8
    .kernarg_segment_size: 72
    .language:       OpenCL C
    .language_version:
      - 2
      - 0
    .max_flat_workgroup_size: 128
    .name:           _ZN7rocprim17ROCPRIM_400000_NS6detail17trampoline_kernelINS0_14default_configENS1_38merge_sort_block_merge_config_selectorIyNS0_10empty_typeEEEZZNS1_27merge_sort_block_merge_implIS3_N6thrust23THRUST_200600_302600_NS6detail15normal_iteratorINS9_10device_ptrIyEEEEPS5_m11less_div_10IyEEE10hipError_tT0_T1_T2_jT3_P12ihipStream_tbPNSt15iterator_traitsISJ_E10value_typeEPNSP_ISK_E10value_typeEPSL_NS1_7vsmem_tEENKUlT_SJ_SK_SL_E_clISE_PySF_SF_EESI_SY_SJ_SK_SL_EUlSY_E0_NS1_11comp_targetILNS1_3genE0ELNS1_11target_archE4294967295ELNS1_3gpuE0ELNS1_3repE0EEENS1_38merge_mergepath_config_static_selectorELNS0_4arch9wavefront6targetE0EEEvSK_
    .private_segment_fixed_size: 0
    .sgpr_count:     0
    .sgpr_spill_count: 0
    .symbol:         _ZN7rocprim17ROCPRIM_400000_NS6detail17trampoline_kernelINS0_14default_configENS1_38merge_sort_block_merge_config_selectorIyNS0_10empty_typeEEEZZNS1_27merge_sort_block_merge_implIS3_N6thrust23THRUST_200600_302600_NS6detail15normal_iteratorINS9_10device_ptrIyEEEEPS5_m11less_div_10IyEEE10hipError_tT0_T1_T2_jT3_P12ihipStream_tbPNSt15iterator_traitsISJ_E10value_typeEPNSP_ISK_E10value_typeEPSL_NS1_7vsmem_tEENKUlT_SJ_SK_SL_E_clISE_PySF_SF_EESI_SY_SJ_SK_SL_EUlSY_E0_NS1_11comp_targetILNS1_3genE0ELNS1_11target_archE4294967295ELNS1_3gpuE0ELNS1_3repE0EEENS1_38merge_mergepath_config_static_selectorELNS0_4arch9wavefront6targetE0EEEvSK_.kd
    .uniform_work_group_size: 1
    .uses_dynamic_stack: false
    .vgpr_count:     0
    .vgpr_spill_count: 0
    .wavefront_size: 32
    .workgroup_processor_mode: 1
  - .args:
      - .offset:         0
        .size:           72
        .value_kind:     by_value
    .group_segment_fixed_size: 0
    .kernarg_segment_align: 8
    .kernarg_segment_size: 72
    .language:       OpenCL C
    .language_version:
      - 2
      - 0
    .max_flat_workgroup_size: 512
    .name:           _ZN7rocprim17ROCPRIM_400000_NS6detail17trampoline_kernelINS0_14default_configENS1_38merge_sort_block_merge_config_selectorIyNS0_10empty_typeEEEZZNS1_27merge_sort_block_merge_implIS3_N6thrust23THRUST_200600_302600_NS6detail15normal_iteratorINS9_10device_ptrIyEEEEPS5_m11less_div_10IyEEE10hipError_tT0_T1_T2_jT3_P12ihipStream_tbPNSt15iterator_traitsISJ_E10value_typeEPNSP_ISK_E10value_typeEPSL_NS1_7vsmem_tEENKUlT_SJ_SK_SL_E_clISE_PySF_SF_EESI_SY_SJ_SK_SL_EUlSY_E0_NS1_11comp_targetILNS1_3genE10ELNS1_11target_archE1201ELNS1_3gpuE5ELNS1_3repE0EEENS1_38merge_mergepath_config_static_selectorELNS0_4arch9wavefront6targetE0EEEvSK_
    .private_segment_fixed_size: 0
    .sgpr_count:     0
    .sgpr_spill_count: 0
    .symbol:         _ZN7rocprim17ROCPRIM_400000_NS6detail17trampoline_kernelINS0_14default_configENS1_38merge_sort_block_merge_config_selectorIyNS0_10empty_typeEEEZZNS1_27merge_sort_block_merge_implIS3_N6thrust23THRUST_200600_302600_NS6detail15normal_iteratorINS9_10device_ptrIyEEEEPS5_m11less_div_10IyEEE10hipError_tT0_T1_T2_jT3_P12ihipStream_tbPNSt15iterator_traitsISJ_E10value_typeEPNSP_ISK_E10value_typeEPSL_NS1_7vsmem_tEENKUlT_SJ_SK_SL_E_clISE_PySF_SF_EESI_SY_SJ_SK_SL_EUlSY_E0_NS1_11comp_targetILNS1_3genE10ELNS1_11target_archE1201ELNS1_3gpuE5ELNS1_3repE0EEENS1_38merge_mergepath_config_static_selectorELNS0_4arch9wavefront6targetE0EEEvSK_.kd
    .uniform_work_group_size: 1
    .uses_dynamic_stack: false
    .vgpr_count:     0
    .vgpr_spill_count: 0
    .wavefront_size: 32
    .workgroup_processor_mode: 1
  - .args:
      - .offset:         0
        .size:           72
        .value_kind:     by_value
    .group_segment_fixed_size: 0
    .kernarg_segment_align: 8
    .kernarg_segment_size: 72
    .language:       OpenCL C
    .language_version:
      - 2
      - 0
    .max_flat_workgroup_size: 128
    .name:           _ZN7rocprim17ROCPRIM_400000_NS6detail17trampoline_kernelINS0_14default_configENS1_38merge_sort_block_merge_config_selectorIyNS0_10empty_typeEEEZZNS1_27merge_sort_block_merge_implIS3_N6thrust23THRUST_200600_302600_NS6detail15normal_iteratorINS9_10device_ptrIyEEEEPS5_m11less_div_10IyEEE10hipError_tT0_T1_T2_jT3_P12ihipStream_tbPNSt15iterator_traitsISJ_E10value_typeEPNSP_ISK_E10value_typeEPSL_NS1_7vsmem_tEENKUlT_SJ_SK_SL_E_clISE_PySF_SF_EESI_SY_SJ_SK_SL_EUlSY_E0_NS1_11comp_targetILNS1_3genE5ELNS1_11target_archE942ELNS1_3gpuE9ELNS1_3repE0EEENS1_38merge_mergepath_config_static_selectorELNS0_4arch9wavefront6targetE0EEEvSK_
    .private_segment_fixed_size: 0
    .sgpr_count:     0
    .sgpr_spill_count: 0
    .symbol:         _ZN7rocprim17ROCPRIM_400000_NS6detail17trampoline_kernelINS0_14default_configENS1_38merge_sort_block_merge_config_selectorIyNS0_10empty_typeEEEZZNS1_27merge_sort_block_merge_implIS3_N6thrust23THRUST_200600_302600_NS6detail15normal_iteratorINS9_10device_ptrIyEEEEPS5_m11less_div_10IyEEE10hipError_tT0_T1_T2_jT3_P12ihipStream_tbPNSt15iterator_traitsISJ_E10value_typeEPNSP_ISK_E10value_typeEPSL_NS1_7vsmem_tEENKUlT_SJ_SK_SL_E_clISE_PySF_SF_EESI_SY_SJ_SK_SL_EUlSY_E0_NS1_11comp_targetILNS1_3genE5ELNS1_11target_archE942ELNS1_3gpuE9ELNS1_3repE0EEENS1_38merge_mergepath_config_static_selectorELNS0_4arch9wavefront6targetE0EEEvSK_.kd
    .uniform_work_group_size: 1
    .uses_dynamic_stack: false
    .vgpr_count:     0
    .vgpr_spill_count: 0
    .wavefront_size: 32
    .workgroup_processor_mode: 1
  - .args:
      - .offset:         0
        .size:           72
        .value_kind:     by_value
    .group_segment_fixed_size: 0
    .kernarg_segment_align: 8
    .kernarg_segment_size: 72
    .language:       OpenCL C
    .language_version:
      - 2
      - 0
    .max_flat_workgroup_size: 256
    .name:           _ZN7rocprim17ROCPRIM_400000_NS6detail17trampoline_kernelINS0_14default_configENS1_38merge_sort_block_merge_config_selectorIyNS0_10empty_typeEEEZZNS1_27merge_sort_block_merge_implIS3_N6thrust23THRUST_200600_302600_NS6detail15normal_iteratorINS9_10device_ptrIyEEEEPS5_m11less_div_10IyEEE10hipError_tT0_T1_T2_jT3_P12ihipStream_tbPNSt15iterator_traitsISJ_E10value_typeEPNSP_ISK_E10value_typeEPSL_NS1_7vsmem_tEENKUlT_SJ_SK_SL_E_clISE_PySF_SF_EESI_SY_SJ_SK_SL_EUlSY_E0_NS1_11comp_targetILNS1_3genE4ELNS1_11target_archE910ELNS1_3gpuE8ELNS1_3repE0EEENS1_38merge_mergepath_config_static_selectorELNS0_4arch9wavefront6targetE0EEEvSK_
    .private_segment_fixed_size: 0
    .sgpr_count:     0
    .sgpr_spill_count: 0
    .symbol:         _ZN7rocprim17ROCPRIM_400000_NS6detail17trampoline_kernelINS0_14default_configENS1_38merge_sort_block_merge_config_selectorIyNS0_10empty_typeEEEZZNS1_27merge_sort_block_merge_implIS3_N6thrust23THRUST_200600_302600_NS6detail15normal_iteratorINS9_10device_ptrIyEEEEPS5_m11less_div_10IyEEE10hipError_tT0_T1_T2_jT3_P12ihipStream_tbPNSt15iterator_traitsISJ_E10value_typeEPNSP_ISK_E10value_typeEPSL_NS1_7vsmem_tEENKUlT_SJ_SK_SL_E_clISE_PySF_SF_EESI_SY_SJ_SK_SL_EUlSY_E0_NS1_11comp_targetILNS1_3genE4ELNS1_11target_archE910ELNS1_3gpuE8ELNS1_3repE0EEENS1_38merge_mergepath_config_static_selectorELNS0_4arch9wavefront6targetE0EEEvSK_.kd
    .uniform_work_group_size: 1
    .uses_dynamic_stack: false
    .vgpr_count:     0
    .vgpr_spill_count: 0
    .wavefront_size: 32
    .workgroup_processor_mode: 1
  - .args:
      - .offset:         0
        .size:           72
        .value_kind:     by_value
    .group_segment_fixed_size: 0
    .kernarg_segment_align: 8
    .kernarg_segment_size: 72
    .language:       OpenCL C
    .language_version:
      - 2
      - 0
    .max_flat_workgroup_size: 128
    .name:           _ZN7rocprim17ROCPRIM_400000_NS6detail17trampoline_kernelINS0_14default_configENS1_38merge_sort_block_merge_config_selectorIyNS0_10empty_typeEEEZZNS1_27merge_sort_block_merge_implIS3_N6thrust23THRUST_200600_302600_NS6detail15normal_iteratorINS9_10device_ptrIyEEEEPS5_m11less_div_10IyEEE10hipError_tT0_T1_T2_jT3_P12ihipStream_tbPNSt15iterator_traitsISJ_E10value_typeEPNSP_ISK_E10value_typeEPSL_NS1_7vsmem_tEENKUlT_SJ_SK_SL_E_clISE_PySF_SF_EESI_SY_SJ_SK_SL_EUlSY_E0_NS1_11comp_targetILNS1_3genE3ELNS1_11target_archE908ELNS1_3gpuE7ELNS1_3repE0EEENS1_38merge_mergepath_config_static_selectorELNS0_4arch9wavefront6targetE0EEEvSK_
    .private_segment_fixed_size: 0
    .sgpr_count:     0
    .sgpr_spill_count: 0
    .symbol:         _ZN7rocprim17ROCPRIM_400000_NS6detail17trampoline_kernelINS0_14default_configENS1_38merge_sort_block_merge_config_selectorIyNS0_10empty_typeEEEZZNS1_27merge_sort_block_merge_implIS3_N6thrust23THRUST_200600_302600_NS6detail15normal_iteratorINS9_10device_ptrIyEEEEPS5_m11less_div_10IyEEE10hipError_tT0_T1_T2_jT3_P12ihipStream_tbPNSt15iterator_traitsISJ_E10value_typeEPNSP_ISK_E10value_typeEPSL_NS1_7vsmem_tEENKUlT_SJ_SK_SL_E_clISE_PySF_SF_EESI_SY_SJ_SK_SL_EUlSY_E0_NS1_11comp_targetILNS1_3genE3ELNS1_11target_archE908ELNS1_3gpuE7ELNS1_3repE0EEENS1_38merge_mergepath_config_static_selectorELNS0_4arch9wavefront6targetE0EEEvSK_.kd
    .uniform_work_group_size: 1
    .uses_dynamic_stack: false
    .vgpr_count:     0
    .vgpr_spill_count: 0
    .wavefront_size: 32
    .workgroup_processor_mode: 1
  - .args:
      - .offset:         0
        .size:           72
        .value_kind:     by_value
    .group_segment_fixed_size: 0
    .kernarg_segment_align: 8
    .kernarg_segment_size: 72
    .language:       OpenCL C
    .language_version:
      - 2
      - 0
    .max_flat_workgroup_size: 256
    .name:           _ZN7rocprim17ROCPRIM_400000_NS6detail17trampoline_kernelINS0_14default_configENS1_38merge_sort_block_merge_config_selectorIyNS0_10empty_typeEEEZZNS1_27merge_sort_block_merge_implIS3_N6thrust23THRUST_200600_302600_NS6detail15normal_iteratorINS9_10device_ptrIyEEEEPS5_m11less_div_10IyEEE10hipError_tT0_T1_T2_jT3_P12ihipStream_tbPNSt15iterator_traitsISJ_E10value_typeEPNSP_ISK_E10value_typeEPSL_NS1_7vsmem_tEENKUlT_SJ_SK_SL_E_clISE_PySF_SF_EESI_SY_SJ_SK_SL_EUlSY_E0_NS1_11comp_targetILNS1_3genE2ELNS1_11target_archE906ELNS1_3gpuE6ELNS1_3repE0EEENS1_38merge_mergepath_config_static_selectorELNS0_4arch9wavefront6targetE0EEEvSK_
    .private_segment_fixed_size: 0
    .sgpr_count:     0
    .sgpr_spill_count: 0
    .symbol:         _ZN7rocprim17ROCPRIM_400000_NS6detail17trampoline_kernelINS0_14default_configENS1_38merge_sort_block_merge_config_selectorIyNS0_10empty_typeEEEZZNS1_27merge_sort_block_merge_implIS3_N6thrust23THRUST_200600_302600_NS6detail15normal_iteratorINS9_10device_ptrIyEEEEPS5_m11less_div_10IyEEE10hipError_tT0_T1_T2_jT3_P12ihipStream_tbPNSt15iterator_traitsISJ_E10value_typeEPNSP_ISK_E10value_typeEPSL_NS1_7vsmem_tEENKUlT_SJ_SK_SL_E_clISE_PySF_SF_EESI_SY_SJ_SK_SL_EUlSY_E0_NS1_11comp_targetILNS1_3genE2ELNS1_11target_archE906ELNS1_3gpuE6ELNS1_3repE0EEENS1_38merge_mergepath_config_static_selectorELNS0_4arch9wavefront6targetE0EEEvSK_.kd
    .uniform_work_group_size: 1
    .uses_dynamic_stack: false
    .vgpr_count:     0
    .vgpr_spill_count: 0
    .wavefront_size: 32
    .workgroup_processor_mode: 1
  - .args:
      - .offset:         0
        .size:           72
        .value_kind:     by_value
    .group_segment_fixed_size: 0
    .kernarg_segment_align: 8
    .kernarg_segment_size: 72
    .language:       OpenCL C
    .language_version:
      - 2
      - 0
    .max_flat_workgroup_size: 512
    .name:           _ZN7rocprim17ROCPRIM_400000_NS6detail17trampoline_kernelINS0_14default_configENS1_38merge_sort_block_merge_config_selectorIyNS0_10empty_typeEEEZZNS1_27merge_sort_block_merge_implIS3_N6thrust23THRUST_200600_302600_NS6detail15normal_iteratorINS9_10device_ptrIyEEEEPS5_m11less_div_10IyEEE10hipError_tT0_T1_T2_jT3_P12ihipStream_tbPNSt15iterator_traitsISJ_E10value_typeEPNSP_ISK_E10value_typeEPSL_NS1_7vsmem_tEENKUlT_SJ_SK_SL_E_clISE_PySF_SF_EESI_SY_SJ_SK_SL_EUlSY_E0_NS1_11comp_targetILNS1_3genE9ELNS1_11target_archE1100ELNS1_3gpuE3ELNS1_3repE0EEENS1_38merge_mergepath_config_static_selectorELNS0_4arch9wavefront6targetE0EEEvSK_
    .private_segment_fixed_size: 0
    .sgpr_count:     0
    .sgpr_spill_count: 0
    .symbol:         _ZN7rocprim17ROCPRIM_400000_NS6detail17trampoline_kernelINS0_14default_configENS1_38merge_sort_block_merge_config_selectorIyNS0_10empty_typeEEEZZNS1_27merge_sort_block_merge_implIS3_N6thrust23THRUST_200600_302600_NS6detail15normal_iteratorINS9_10device_ptrIyEEEEPS5_m11less_div_10IyEEE10hipError_tT0_T1_T2_jT3_P12ihipStream_tbPNSt15iterator_traitsISJ_E10value_typeEPNSP_ISK_E10value_typeEPSL_NS1_7vsmem_tEENKUlT_SJ_SK_SL_E_clISE_PySF_SF_EESI_SY_SJ_SK_SL_EUlSY_E0_NS1_11comp_targetILNS1_3genE9ELNS1_11target_archE1100ELNS1_3gpuE3ELNS1_3repE0EEENS1_38merge_mergepath_config_static_selectorELNS0_4arch9wavefront6targetE0EEEvSK_.kd
    .uniform_work_group_size: 1
    .uses_dynamic_stack: false
    .vgpr_count:     0
    .vgpr_spill_count: 0
    .wavefront_size: 32
    .workgroup_processor_mode: 1
  - .args:
      - .offset:         0
        .size:           72
        .value_kind:     by_value
      - .offset:         72
        .size:           4
        .value_kind:     hidden_block_count_x
      - .offset:         76
        .size:           4
        .value_kind:     hidden_block_count_y
      - .offset:         80
        .size:           4
        .value_kind:     hidden_block_count_z
      - .offset:         84
        .size:           2
        .value_kind:     hidden_group_size_x
      - .offset:         86
        .size:           2
        .value_kind:     hidden_group_size_y
      - .offset:         88
        .size:           2
        .value_kind:     hidden_group_size_z
      - .offset:         90
        .size:           2
        .value_kind:     hidden_remainder_x
      - .offset:         92
        .size:           2
        .value_kind:     hidden_remainder_y
      - .offset:         94
        .size:           2
        .value_kind:     hidden_remainder_z
      - .offset:         112
        .size:           8
        .value_kind:     hidden_global_offset_x
      - .offset:         120
        .size:           8
        .value_kind:     hidden_global_offset_y
      - .offset:         128
        .size:           8
        .value_kind:     hidden_global_offset_z
      - .offset:         136
        .size:           2
        .value_kind:     hidden_grid_dims
    .group_segment_fixed_size: 8208
    .kernarg_segment_align: 8
    .kernarg_segment_size: 328
    .language:       OpenCL C
    .language_version:
      - 2
      - 0
    .max_flat_workgroup_size: 1024
    .name:           _ZN7rocprim17ROCPRIM_400000_NS6detail17trampoline_kernelINS0_14default_configENS1_38merge_sort_block_merge_config_selectorIyNS0_10empty_typeEEEZZNS1_27merge_sort_block_merge_implIS3_N6thrust23THRUST_200600_302600_NS6detail15normal_iteratorINS9_10device_ptrIyEEEEPS5_m11less_div_10IyEEE10hipError_tT0_T1_T2_jT3_P12ihipStream_tbPNSt15iterator_traitsISJ_E10value_typeEPNSP_ISK_E10value_typeEPSL_NS1_7vsmem_tEENKUlT_SJ_SK_SL_E_clISE_PySF_SF_EESI_SY_SJ_SK_SL_EUlSY_E0_NS1_11comp_targetILNS1_3genE8ELNS1_11target_archE1030ELNS1_3gpuE2ELNS1_3repE0EEENS1_38merge_mergepath_config_static_selectorELNS0_4arch9wavefront6targetE0EEEvSK_
    .private_segment_fixed_size: 0
    .sgpr_count:     28
    .sgpr_spill_count: 0
    .symbol:         _ZN7rocprim17ROCPRIM_400000_NS6detail17trampoline_kernelINS0_14default_configENS1_38merge_sort_block_merge_config_selectorIyNS0_10empty_typeEEEZZNS1_27merge_sort_block_merge_implIS3_N6thrust23THRUST_200600_302600_NS6detail15normal_iteratorINS9_10device_ptrIyEEEEPS5_m11less_div_10IyEEE10hipError_tT0_T1_T2_jT3_P12ihipStream_tbPNSt15iterator_traitsISJ_E10value_typeEPNSP_ISK_E10value_typeEPSL_NS1_7vsmem_tEENKUlT_SJ_SK_SL_E_clISE_PySF_SF_EESI_SY_SJ_SK_SL_EUlSY_E0_NS1_11comp_targetILNS1_3genE8ELNS1_11target_archE1030ELNS1_3gpuE2ELNS1_3repE0EEENS1_38merge_mergepath_config_static_selectorELNS0_4arch9wavefront6targetE0EEEvSK_.kd
    .uniform_work_group_size: 1
    .uses_dynamic_stack: false
    .vgpr_count:     14
    .vgpr_spill_count: 0
    .wavefront_size: 32
    .workgroup_processor_mode: 1
  - .args:
      - .offset:         0
        .size:           56
        .value_kind:     by_value
    .group_segment_fixed_size: 0
    .kernarg_segment_align: 8
    .kernarg_segment_size: 56
    .language:       OpenCL C
    .language_version:
      - 2
      - 0
    .max_flat_workgroup_size: 256
    .name:           _ZN7rocprim17ROCPRIM_400000_NS6detail17trampoline_kernelINS0_14default_configENS1_38merge_sort_block_merge_config_selectorIyNS0_10empty_typeEEEZZNS1_27merge_sort_block_merge_implIS3_N6thrust23THRUST_200600_302600_NS6detail15normal_iteratorINS9_10device_ptrIyEEEEPS5_m11less_div_10IyEEE10hipError_tT0_T1_T2_jT3_P12ihipStream_tbPNSt15iterator_traitsISJ_E10value_typeEPNSP_ISK_E10value_typeEPSL_NS1_7vsmem_tEENKUlT_SJ_SK_SL_E_clISE_PySF_SF_EESI_SY_SJ_SK_SL_EUlSY_E1_NS1_11comp_targetILNS1_3genE0ELNS1_11target_archE4294967295ELNS1_3gpuE0ELNS1_3repE0EEENS1_36merge_oddeven_config_static_selectorELNS0_4arch9wavefront6targetE0EEEvSK_
    .private_segment_fixed_size: 0
    .sgpr_count:     0
    .sgpr_spill_count: 0
    .symbol:         _ZN7rocprim17ROCPRIM_400000_NS6detail17trampoline_kernelINS0_14default_configENS1_38merge_sort_block_merge_config_selectorIyNS0_10empty_typeEEEZZNS1_27merge_sort_block_merge_implIS3_N6thrust23THRUST_200600_302600_NS6detail15normal_iteratorINS9_10device_ptrIyEEEEPS5_m11less_div_10IyEEE10hipError_tT0_T1_T2_jT3_P12ihipStream_tbPNSt15iterator_traitsISJ_E10value_typeEPNSP_ISK_E10value_typeEPSL_NS1_7vsmem_tEENKUlT_SJ_SK_SL_E_clISE_PySF_SF_EESI_SY_SJ_SK_SL_EUlSY_E1_NS1_11comp_targetILNS1_3genE0ELNS1_11target_archE4294967295ELNS1_3gpuE0ELNS1_3repE0EEENS1_36merge_oddeven_config_static_selectorELNS0_4arch9wavefront6targetE0EEEvSK_.kd
    .uniform_work_group_size: 1
    .uses_dynamic_stack: false
    .vgpr_count:     0
    .vgpr_spill_count: 0
    .wavefront_size: 32
    .workgroup_processor_mode: 1
  - .args:
      - .offset:         0
        .size:           56
        .value_kind:     by_value
    .group_segment_fixed_size: 0
    .kernarg_segment_align: 8
    .kernarg_segment_size: 56
    .language:       OpenCL C
    .language_version:
      - 2
      - 0
    .max_flat_workgroup_size: 256
    .name:           _ZN7rocprim17ROCPRIM_400000_NS6detail17trampoline_kernelINS0_14default_configENS1_38merge_sort_block_merge_config_selectorIyNS0_10empty_typeEEEZZNS1_27merge_sort_block_merge_implIS3_N6thrust23THRUST_200600_302600_NS6detail15normal_iteratorINS9_10device_ptrIyEEEEPS5_m11less_div_10IyEEE10hipError_tT0_T1_T2_jT3_P12ihipStream_tbPNSt15iterator_traitsISJ_E10value_typeEPNSP_ISK_E10value_typeEPSL_NS1_7vsmem_tEENKUlT_SJ_SK_SL_E_clISE_PySF_SF_EESI_SY_SJ_SK_SL_EUlSY_E1_NS1_11comp_targetILNS1_3genE10ELNS1_11target_archE1201ELNS1_3gpuE5ELNS1_3repE0EEENS1_36merge_oddeven_config_static_selectorELNS0_4arch9wavefront6targetE0EEEvSK_
    .private_segment_fixed_size: 0
    .sgpr_count:     0
    .sgpr_spill_count: 0
    .symbol:         _ZN7rocprim17ROCPRIM_400000_NS6detail17trampoline_kernelINS0_14default_configENS1_38merge_sort_block_merge_config_selectorIyNS0_10empty_typeEEEZZNS1_27merge_sort_block_merge_implIS3_N6thrust23THRUST_200600_302600_NS6detail15normal_iteratorINS9_10device_ptrIyEEEEPS5_m11less_div_10IyEEE10hipError_tT0_T1_T2_jT3_P12ihipStream_tbPNSt15iterator_traitsISJ_E10value_typeEPNSP_ISK_E10value_typeEPSL_NS1_7vsmem_tEENKUlT_SJ_SK_SL_E_clISE_PySF_SF_EESI_SY_SJ_SK_SL_EUlSY_E1_NS1_11comp_targetILNS1_3genE10ELNS1_11target_archE1201ELNS1_3gpuE5ELNS1_3repE0EEENS1_36merge_oddeven_config_static_selectorELNS0_4arch9wavefront6targetE0EEEvSK_.kd
    .uniform_work_group_size: 1
    .uses_dynamic_stack: false
    .vgpr_count:     0
    .vgpr_spill_count: 0
    .wavefront_size: 32
    .workgroup_processor_mode: 1
  - .args:
      - .offset:         0
        .size:           56
        .value_kind:     by_value
    .group_segment_fixed_size: 0
    .kernarg_segment_align: 8
    .kernarg_segment_size: 56
    .language:       OpenCL C
    .language_version:
      - 2
      - 0
    .max_flat_workgroup_size: 256
    .name:           _ZN7rocprim17ROCPRIM_400000_NS6detail17trampoline_kernelINS0_14default_configENS1_38merge_sort_block_merge_config_selectorIyNS0_10empty_typeEEEZZNS1_27merge_sort_block_merge_implIS3_N6thrust23THRUST_200600_302600_NS6detail15normal_iteratorINS9_10device_ptrIyEEEEPS5_m11less_div_10IyEEE10hipError_tT0_T1_T2_jT3_P12ihipStream_tbPNSt15iterator_traitsISJ_E10value_typeEPNSP_ISK_E10value_typeEPSL_NS1_7vsmem_tEENKUlT_SJ_SK_SL_E_clISE_PySF_SF_EESI_SY_SJ_SK_SL_EUlSY_E1_NS1_11comp_targetILNS1_3genE5ELNS1_11target_archE942ELNS1_3gpuE9ELNS1_3repE0EEENS1_36merge_oddeven_config_static_selectorELNS0_4arch9wavefront6targetE0EEEvSK_
    .private_segment_fixed_size: 0
    .sgpr_count:     0
    .sgpr_spill_count: 0
    .symbol:         _ZN7rocprim17ROCPRIM_400000_NS6detail17trampoline_kernelINS0_14default_configENS1_38merge_sort_block_merge_config_selectorIyNS0_10empty_typeEEEZZNS1_27merge_sort_block_merge_implIS3_N6thrust23THRUST_200600_302600_NS6detail15normal_iteratorINS9_10device_ptrIyEEEEPS5_m11less_div_10IyEEE10hipError_tT0_T1_T2_jT3_P12ihipStream_tbPNSt15iterator_traitsISJ_E10value_typeEPNSP_ISK_E10value_typeEPSL_NS1_7vsmem_tEENKUlT_SJ_SK_SL_E_clISE_PySF_SF_EESI_SY_SJ_SK_SL_EUlSY_E1_NS1_11comp_targetILNS1_3genE5ELNS1_11target_archE942ELNS1_3gpuE9ELNS1_3repE0EEENS1_36merge_oddeven_config_static_selectorELNS0_4arch9wavefront6targetE0EEEvSK_.kd
    .uniform_work_group_size: 1
    .uses_dynamic_stack: false
    .vgpr_count:     0
    .vgpr_spill_count: 0
    .wavefront_size: 32
    .workgroup_processor_mode: 1
  - .args:
      - .offset:         0
        .size:           56
        .value_kind:     by_value
    .group_segment_fixed_size: 0
    .kernarg_segment_align: 8
    .kernarg_segment_size: 56
    .language:       OpenCL C
    .language_version:
      - 2
      - 0
    .max_flat_workgroup_size: 256
    .name:           _ZN7rocprim17ROCPRIM_400000_NS6detail17trampoline_kernelINS0_14default_configENS1_38merge_sort_block_merge_config_selectorIyNS0_10empty_typeEEEZZNS1_27merge_sort_block_merge_implIS3_N6thrust23THRUST_200600_302600_NS6detail15normal_iteratorINS9_10device_ptrIyEEEEPS5_m11less_div_10IyEEE10hipError_tT0_T1_T2_jT3_P12ihipStream_tbPNSt15iterator_traitsISJ_E10value_typeEPNSP_ISK_E10value_typeEPSL_NS1_7vsmem_tEENKUlT_SJ_SK_SL_E_clISE_PySF_SF_EESI_SY_SJ_SK_SL_EUlSY_E1_NS1_11comp_targetILNS1_3genE4ELNS1_11target_archE910ELNS1_3gpuE8ELNS1_3repE0EEENS1_36merge_oddeven_config_static_selectorELNS0_4arch9wavefront6targetE0EEEvSK_
    .private_segment_fixed_size: 0
    .sgpr_count:     0
    .sgpr_spill_count: 0
    .symbol:         _ZN7rocprim17ROCPRIM_400000_NS6detail17trampoline_kernelINS0_14default_configENS1_38merge_sort_block_merge_config_selectorIyNS0_10empty_typeEEEZZNS1_27merge_sort_block_merge_implIS3_N6thrust23THRUST_200600_302600_NS6detail15normal_iteratorINS9_10device_ptrIyEEEEPS5_m11less_div_10IyEEE10hipError_tT0_T1_T2_jT3_P12ihipStream_tbPNSt15iterator_traitsISJ_E10value_typeEPNSP_ISK_E10value_typeEPSL_NS1_7vsmem_tEENKUlT_SJ_SK_SL_E_clISE_PySF_SF_EESI_SY_SJ_SK_SL_EUlSY_E1_NS1_11comp_targetILNS1_3genE4ELNS1_11target_archE910ELNS1_3gpuE8ELNS1_3repE0EEENS1_36merge_oddeven_config_static_selectorELNS0_4arch9wavefront6targetE0EEEvSK_.kd
    .uniform_work_group_size: 1
    .uses_dynamic_stack: false
    .vgpr_count:     0
    .vgpr_spill_count: 0
    .wavefront_size: 32
    .workgroup_processor_mode: 1
  - .args:
      - .offset:         0
        .size:           56
        .value_kind:     by_value
    .group_segment_fixed_size: 0
    .kernarg_segment_align: 8
    .kernarg_segment_size: 56
    .language:       OpenCL C
    .language_version:
      - 2
      - 0
    .max_flat_workgroup_size: 256
    .name:           _ZN7rocprim17ROCPRIM_400000_NS6detail17trampoline_kernelINS0_14default_configENS1_38merge_sort_block_merge_config_selectorIyNS0_10empty_typeEEEZZNS1_27merge_sort_block_merge_implIS3_N6thrust23THRUST_200600_302600_NS6detail15normal_iteratorINS9_10device_ptrIyEEEEPS5_m11less_div_10IyEEE10hipError_tT0_T1_T2_jT3_P12ihipStream_tbPNSt15iterator_traitsISJ_E10value_typeEPNSP_ISK_E10value_typeEPSL_NS1_7vsmem_tEENKUlT_SJ_SK_SL_E_clISE_PySF_SF_EESI_SY_SJ_SK_SL_EUlSY_E1_NS1_11comp_targetILNS1_3genE3ELNS1_11target_archE908ELNS1_3gpuE7ELNS1_3repE0EEENS1_36merge_oddeven_config_static_selectorELNS0_4arch9wavefront6targetE0EEEvSK_
    .private_segment_fixed_size: 0
    .sgpr_count:     0
    .sgpr_spill_count: 0
    .symbol:         _ZN7rocprim17ROCPRIM_400000_NS6detail17trampoline_kernelINS0_14default_configENS1_38merge_sort_block_merge_config_selectorIyNS0_10empty_typeEEEZZNS1_27merge_sort_block_merge_implIS3_N6thrust23THRUST_200600_302600_NS6detail15normal_iteratorINS9_10device_ptrIyEEEEPS5_m11less_div_10IyEEE10hipError_tT0_T1_T2_jT3_P12ihipStream_tbPNSt15iterator_traitsISJ_E10value_typeEPNSP_ISK_E10value_typeEPSL_NS1_7vsmem_tEENKUlT_SJ_SK_SL_E_clISE_PySF_SF_EESI_SY_SJ_SK_SL_EUlSY_E1_NS1_11comp_targetILNS1_3genE3ELNS1_11target_archE908ELNS1_3gpuE7ELNS1_3repE0EEENS1_36merge_oddeven_config_static_selectorELNS0_4arch9wavefront6targetE0EEEvSK_.kd
    .uniform_work_group_size: 1
    .uses_dynamic_stack: false
    .vgpr_count:     0
    .vgpr_spill_count: 0
    .wavefront_size: 32
    .workgroup_processor_mode: 1
  - .args:
      - .offset:         0
        .size:           56
        .value_kind:     by_value
    .group_segment_fixed_size: 0
    .kernarg_segment_align: 8
    .kernarg_segment_size: 56
    .language:       OpenCL C
    .language_version:
      - 2
      - 0
    .max_flat_workgroup_size: 256
    .name:           _ZN7rocprim17ROCPRIM_400000_NS6detail17trampoline_kernelINS0_14default_configENS1_38merge_sort_block_merge_config_selectorIyNS0_10empty_typeEEEZZNS1_27merge_sort_block_merge_implIS3_N6thrust23THRUST_200600_302600_NS6detail15normal_iteratorINS9_10device_ptrIyEEEEPS5_m11less_div_10IyEEE10hipError_tT0_T1_T2_jT3_P12ihipStream_tbPNSt15iterator_traitsISJ_E10value_typeEPNSP_ISK_E10value_typeEPSL_NS1_7vsmem_tEENKUlT_SJ_SK_SL_E_clISE_PySF_SF_EESI_SY_SJ_SK_SL_EUlSY_E1_NS1_11comp_targetILNS1_3genE2ELNS1_11target_archE906ELNS1_3gpuE6ELNS1_3repE0EEENS1_36merge_oddeven_config_static_selectorELNS0_4arch9wavefront6targetE0EEEvSK_
    .private_segment_fixed_size: 0
    .sgpr_count:     0
    .sgpr_spill_count: 0
    .symbol:         _ZN7rocprim17ROCPRIM_400000_NS6detail17trampoline_kernelINS0_14default_configENS1_38merge_sort_block_merge_config_selectorIyNS0_10empty_typeEEEZZNS1_27merge_sort_block_merge_implIS3_N6thrust23THRUST_200600_302600_NS6detail15normal_iteratorINS9_10device_ptrIyEEEEPS5_m11less_div_10IyEEE10hipError_tT0_T1_T2_jT3_P12ihipStream_tbPNSt15iterator_traitsISJ_E10value_typeEPNSP_ISK_E10value_typeEPSL_NS1_7vsmem_tEENKUlT_SJ_SK_SL_E_clISE_PySF_SF_EESI_SY_SJ_SK_SL_EUlSY_E1_NS1_11comp_targetILNS1_3genE2ELNS1_11target_archE906ELNS1_3gpuE6ELNS1_3repE0EEENS1_36merge_oddeven_config_static_selectorELNS0_4arch9wavefront6targetE0EEEvSK_.kd
    .uniform_work_group_size: 1
    .uses_dynamic_stack: false
    .vgpr_count:     0
    .vgpr_spill_count: 0
    .wavefront_size: 32
    .workgroup_processor_mode: 1
  - .args:
      - .offset:         0
        .size:           56
        .value_kind:     by_value
    .group_segment_fixed_size: 0
    .kernarg_segment_align: 8
    .kernarg_segment_size: 56
    .language:       OpenCL C
    .language_version:
      - 2
      - 0
    .max_flat_workgroup_size: 256
    .name:           _ZN7rocprim17ROCPRIM_400000_NS6detail17trampoline_kernelINS0_14default_configENS1_38merge_sort_block_merge_config_selectorIyNS0_10empty_typeEEEZZNS1_27merge_sort_block_merge_implIS3_N6thrust23THRUST_200600_302600_NS6detail15normal_iteratorINS9_10device_ptrIyEEEEPS5_m11less_div_10IyEEE10hipError_tT0_T1_T2_jT3_P12ihipStream_tbPNSt15iterator_traitsISJ_E10value_typeEPNSP_ISK_E10value_typeEPSL_NS1_7vsmem_tEENKUlT_SJ_SK_SL_E_clISE_PySF_SF_EESI_SY_SJ_SK_SL_EUlSY_E1_NS1_11comp_targetILNS1_3genE9ELNS1_11target_archE1100ELNS1_3gpuE3ELNS1_3repE0EEENS1_36merge_oddeven_config_static_selectorELNS0_4arch9wavefront6targetE0EEEvSK_
    .private_segment_fixed_size: 0
    .sgpr_count:     0
    .sgpr_spill_count: 0
    .symbol:         _ZN7rocprim17ROCPRIM_400000_NS6detail17trampoline_kernelINS0_14default_configENS1_38merge_sort_block_merge_config_selectorIyNS0_10empty_typeEEEZZNS1_27merge_sort_block_merge_implIS3_N6thrust23THRUST_200600_302600_NS6detail15normal_iteratorINS9_10device_ptrIyEEEEPS5_m11less_div_10IyEEE10hipError_tT0_T1_T2_jT3_P12ihipStream_tbPNSt15iterator_traitsISJ_E10value_typeEPNSP_ISK_E10value_typeEPSL_NS1_7vsmem_tEENKUlT_SJ_SK_SL_E_clISE_PySF_SF_EESI_SY_SJ_SK_SL_EUlSY_E1_NS1_11comp_targetILNS1_3genE9ELNS1_11target_archE1100ELNS1_3gpuE3ELNS1_3repE0EEENS1_36merge_oddeven_config_static_selectorELNS0_4arch9wavefront6targetE0EEEvSK_.kd
    .uniform_work_group_size: 1
    .uses_dynamic_stack: false
    .vgpr_count:     0
    .vgpr_spill_count: 0
    .wavefront_size: 32
    .workgroup_processor_mode: 1
  - .args:
      - .offset:         0
        .size:           56
        .value_kind:     by_value
    .group_segment_fixed_size: 0
    .kernarg_segment_align: 8
    .kernarg_segment_size: 56
    .language:       OpenCL C
    .language_version:
      - 2
      - 0
    .max_flat_workgroup_size: 256
    .name:           _ZN7rocprim17ROCPRIM_400000_NS6detail17trampoline_kernelINS0_14default_configENS1_38merge_sort_block_merge_config_selectorIyNS0_10empty_typeEEEZZNS1_27merge_sort_block_merge_implIS3_N6thrust23THRUST_200600_302600_NS6detail15normal_iteratorINS9_10device_ptrIyEEEEPS5_m11less_div_10IyEEE10hipError_tT0_T1_T2_jT3_P12ihipStream_tbPNSt15iterator_traitsISJ_E10value_typeEPNSP_ISK_E10value_typeEPSL_NS1_7vsmem_tEENKUlT_SJ_SK_SL_E_clISE_PySF_SF_EESI_SY_SJ_SK_SL_EUlSY_E1_NS1_11comp_targetILNS1_3genE8ELNS1_11target_archE1030ELNS1_3gpuE2ELNS1_3repE0EEENS1_36merge_oddeven_config_static_selectorELNS0_4arch9wavefront6targetE0EEEvSK_
    .private_segment_fixed_size: 0
    .sgpr_count:     18
    .sgpr_spill_count: 0
    .symbol:         _ZN7rocprim17ROCPRIM_400000_NS6detail17trampoline_kernelINS0_14default_configENS1_38merge_sort_block_merge_config_selectorIyNS0_10empty_typeEEEZZNS1_27merge_sort_block_merge_implIS3_N6thrust23THRUST_200600_302600_NS6detail15normal_iteratorINS9_10device_ptrIyEEEEPS5_m11less_div_10IyEEE10hipError_tT0_T1_T2_jT3_P12ihipStream_tbPNSt15iterator_traitsISJ_E10value_typeEPNSP_ISK_E10value_typeEPSL_NS1_7vsmem_tEENKUlT_SJ_SK_SL_E_clISE_PySF_SF_EESI_SY_SJ_SK_SL_EUlSY_E1_NS1_11comp_targetILNS1_3genE8ELNS1_11target_archE1030ELNS1_3gpuE2ELNS1_3repE0EEENS1_36merge_oddeven_config_static_selectorELNS0_4arch9wavefront6targetE0EEEvSK_.kd
    .uniform_work_group_size: 1
    .uses_dynamic_stack: false
    .vgpr_count:     10
    .vgpr_spill_count: 0
    .wavefront_size: 32
    .workgroup_processor_mode: 1
  - .args:
      - .offset:         0
        .size:           40
        .value_kind:     by_value
    .group_segment_fixed_size: 0
    .kernarg_segment_align: 8
    .kernarg_segment_size: 40
    .language:       OpenCL C
    .language_version:
      - 2
      - 0
    .max_flat_workgroup_size: 128
    .name:           _ZN7rocprim17ROCPRIM_400000_NS6detail17trampoline_kernelINS0_14default_configENS1_25transform_config_selectorIyLb0EEEZNS1_14transform_implILb0ES3_S5_PyN6thrust23THRUST_200600_302600_NS6detail15normal_iteratorINS9_10device_ptrIyEEEENS0_8identityIyEEEE10hipError_tT2_T3_mT4_P12ihipStream_tbEUlT_E_NS1_11comp_targetILNS1_3genE0ELNS1_11target_archE4294967295ELNS1_3gpuE0ELNS1_3repE0EEENS1_30default_config_static_selectorELNS0_4arch9wavefront6targetE0EEEvT1_
    .private_segment_fixed_size: 0
    .sgpr_count:     0
    .sgpr_spill_count: 0
    .symbol:         _ZN7rocprim17ROCPRIM_400000_NS6detail17trampoline_kernelINS0_14default_configENS1_25transform_config_selectorIyLb0EEEZNS1_14transform_implILb0ES3_S5_PyN6thrust23THRUST_200600_302600_NS6detail15normal_iteratorINS9_10device_ptrIyEEEENS0_8identityIyEEEE10hipError_tT2_T3_mT4_P12ihipStream_tbEUlT_E_NS1_11comp_targetILNS1_3genE0ELNS1_11target_archE4294967295ELNS1_3gpuE0ELNS1_3repE0EEENS1_30default_config_static_selectorELNS0_4arch9wavefront6targetE0EEEvT1_.kd
    .uniform_work_group_size: 1
    .uses_dynamic_stack: false
    .vgpr_count:     0
    .vgpr_spill_count: 0
    .wavefront_size: 32
    .workgroup_processor_mode: 1
  - .args:
      - .offset:         0
        .size:           40
        .value_kind:     by_value
    .group_segment_fixed_size: 0
    .kernarg_segment_align: 8
    .kernarg_segment_size: 40
    .language:       OpenCL C
    .language_version:
      - 2
      - 0
    .max_flat_workgroup_size: 512
    .name:           _ZN7rocprim17ROCPRIM_400000_NS6detail17trampoline_kernelINS0_14default_configENS1_25transform_config_selectorIyLb0EEEZNS1_14transform_implILb0ES3_S5_PyN6thrust23THRUST_200600_302600_NS6detail15normal_iteratorINS9_10device_ptrIyEEEENS0_8identityIyEEEE10hipError_tT2_T3_mT4_P12ihipStream_tbEUlT_E_NS1_11comp_targetILNS1_3genE5ELNS1_11target_archE942ELNS1_3gpuE9ELNS1_3repE0EEENS1_30default_config_static_selectorELNS0_4arch9wavefront6targetE0EEEvT1_
    .private_segment_fixed_size: 0
    .sgpr_count:     0
    .sgpr_spill_count: 0
    .symbol:         _ZN7rocprim17ROCPRIM_400000_NS6detail17trampoline_kernelINS0_14default_configENS1_25transform_config_selectorIyLb0EEEZNS1_14transform_implILb0ES3_S5_PyN6thrust23THRUST_200600_302600_NS6detail15normal_iteratorINS9_10device_ptrIyEEEENS0_8identityIyEEEE10hipError_tT2_T3_mT4_P12ihipStream_tbEUlT_E_NS1_11comp_targetILNS1_3genE5ELNS1_11target_archE942ELNS1_3gpuE9ELNS1_3repE0EEENS1_30default_config_static_selectorELNS0_4arch9wavefront6targetE0EEEvT1_.kd
    .uniform_work_group_size: 1
    .uses_dynamic_stack: false
    .vgpr_count:     0
    .vgpr_spill_count: 0
    .wavefront_size: 32
    .workgroup_processor_mode: 1
  - .args:
      - .offset:         0
        .size:           40
        .value_kind:     by_value
    .group_segment_fixed_size: 0
    .kernarg_segment_align: 8
    .kernarg_segment_size: 40
    .language:       OpenCL C
    .language_version:
      - 2
      - 0
    .max_flat_workgroup_size: 256
    .name:           _ZN7rocprim17ROCPRIM_400000_NS6detail17trampoline_kernelINS0_14default_configENS1_25transform_config_selectorIyLb0EEEZNS1_14transform_implILb0ES3_S5_PyN6thrust23THRUST_200600_302600_NS6detail15normal_iteratorINS9_10device_ptrIyEEEENS0_8identityIyEEEE10hipError_tT2_T3_mT4_P12ihipStream_tbEUlT_E_NS1_11comp_targetILNS1_3genE4ELNS1_11target_archE910ELNS1_3gpuE8ELNS1_3repE0EEENS1_30default_config_static_selectorELNS0_4arch9wavefront6targetE0EEEvT1_
    .private_segment_fixed_size: 0
    .sgpr_count:     0
    .sgpr_spill_count: 0
    .symbol:         _ZN7rocprim17ROCPRIM_400000_NS6detail17trampoline_kernelINS0_14default_configENS1_25transform_config_selectorIyLb0EEEZNS1_14transform_implILb0ES3_S5_PyN6thrust23THRUST_200600_302600_NS6detail15normal_iteratorINS9_10device_ptrIyEEEENS0_8identityIyEEEE10hipError_tT2_T3_mT4_P12ihipStream_tbEUlT_E_NS1_11comp_targetILNS1_3genE4ELNS1_11target_archE910ELNS1_3gpuE8ELNS1_3repE0EEENS1_30default_config_static_selectorELNS0_4arch9wavefront6targetE0EEEvT1_.kd
    .uniform_work_group_size: 1
    .uses_dynamic_stack: false
    .vgpr_count:     0
    .vgpr_spill_count: 0
    .wavefront_size: 32
    .workgroup_processor_mode: 1
  - .args:
      - .offset:         0
        .size:           40
        .value_kind:     by_value
    .group_segment_fixed_size: 0
    .kernarg_segment_align: 8
    .kernarg_segment_size: 40
    .language:       OpenCL C
    .language_version:
      - 2
      - 0
    .max_flat_workgroup_size: 128
    .name:           _ZN7rocprim17ROCPRIM_400000_NS6detail17trampoline_kernelINS0_14default_configENS1_25transform_config_selectorIyLb0EEEZNS1_14transform_implILb0ES3_S5_PyN6thrust23THRUST_200600_302600_NS6detail15normal_iteratorINS9_10device_ptrIyEEEENS0_8identityIyEEEE10hipError_tT2_T3_mT4_P12ihipStream_tbEUlT_E_NS1_11comp_targetILNS1_3genE3ELNS1_11target_archE908ELNS1_3gpuE7ELNS1_3repE0EEENS1_30default_config_static_selectorELNS0_4arch9wavefront6targetE0EEEvT1_
    .private_segment_fixed_size: 0
    .sgpr_count:     0
    .sgpr_spill_count: 0
    .symbol:         _ZN7rocprim17ROCPRIM_400000_NS6detail17trampoline_kernelINS0_14default_configENS1_25transform_config_selectorIyLb0EEEZNS1_14transform_implILb0ES3_S5_PyN6thrust23THRUST_200600_302600_NS6detail15normal_iteratorINS9_10device_ptrIyEEEENS0_8identityIyEEEE10hipError_tT2_T3_mT4_P12ihipStream_tbEUlT_E_NS1_11comp_targetILNS1_3genE3ELNS1_11target_archE908ELNS1_3gpuE7ELNS1_3repE0EEENS1_30default_config_static_selectorELNS0_4arch9wavefront6targetE0EEEvT1_.kd
    .uniform_work_group_size: 1
    .uses_dynamic_stack: false
    .vgpr_count:     0
    .vgpr_spill_count: 0
    .wavefront_size: 32
    .workgroup_processor_mode: 1
  - .args:
      - .offset:         0
        .size:           40
        .value_kind:     by_value
    .group_segment_fixed_size: 0
    .kernarg_segment_align: 8
    .kernarg_segment_size: 40
    .language:       OpenCL C
    .language_version:
      - 2
      - 0
    .max_flat_workgroup_size: 512
    .name:           _ZN7rocprim17ROCPRIM_400000_NS6detail17trampoline_kernelINS0_14default_configENS1_25transform_config_selectorIyLb0EEEZNS1_14transform_implILb0ES3_S5_PyN6thrust23THRUST_200600_302600_NS6detail15normal_iteratorINS9_10device_ptrIyEEEENS0_8identityIyEEEE10hipError_tT2_T3_mT4_P12ihipStream_tbEUlT_E_NS1_11comp_targetILNS1_3genE2ELNS1_11target_archE906ELNS1_3gpuE6ELNS1_3repE0EEENS1_30default_config_static_selectorELNS0_4arch9wavefront6targetE0EEEvT1_
    .private_segment_fixed_size: 0
    .sgpr_count:     0
    .sgpr_spill_count: 0
    .symbol:         _ZN7rocprim17ROCPRIM_400000_NS6detail17trampoline_kernelINS0_14default_configENS1_25transform_config_selectorIyLb0EEEZNS1_14transform_implILb0ES3_S5_PyN6thrust23THRUST_200600_302600_NS6detail15normal_iteratorINS9_10device_ptrIyEEEENS0_8identityIyEEEE10hipError_tT2_T3_mT4_P12ihipStream_tbEUlT_E_NS1_11comp_targetILNS1_3genE2ELNS1_11target_archE906ELNS1_3gpuE6ELNS1_3repE0EEENS1_30default_config_static_selectorELNS0_4arch9wavefront6targetE0EEEvT1_.kd
    .uniform_work_group_size: 1
    .uses_dynamic_stack: false
    .vgpr_count:     0
    .vgpr_spill_count: 0
    .wavefront_size: 32
    .workgroup_processor_mode: 1
  - .args:
      - .offset:         0
        .size:           40
        .value_kind:     by_value
    .group_segment_fixed_size: 0
    .kernarg_segment_align: 8
    .kernarg_segment_size: 40
    .language:       OpenCL C
    .language_version:
      - 2
      - 0
    .max_flat_workgroup_size: 1024
    .name:           _ZN7rocprim17ROCPRIM_400000_NS6detail17trampoline_kernelINS0_14default_configENS1_25transform_config_selectorIyLb0EEEZNS1_14transform_implILb0ES3_S5_PyN6thrust23THRUST_200600_302600_NS6detail15normal_iteratorINS9_10device_ptrIyEEEENS0_8identityIyEEEE10hipError_tT2_T3_mT4_P12ihipStream_tbEUlT_E_NS1_11comp_targetILNS1_3genE10ELNS1_11target_archE1201ELNS1_3gpuE5ELNS1_3repE0EEENS1_30default_config_static_selectorELNS0_4arch9wavefront6targetE0EEEvT1_
    .private_segment_fixed_size: 0
    .sgpr_count:     0
    .sgpr_spill_count: 0
    .symbol:         _ZN7rocprim17ROCPRIM_400000_NS6detail17trampoline_kernelINS0_14default_configENS1_25transform_config_selectorIyLb0EEEZNS1_14transform_implILb0ES3_S5_PyN6thrust23THRUST_200600_302600_NS6detail15normal_iteratorINS9_10device_ptrIyEEEENS0_8identityIyEEEE10hipError_tT2_T3_mT4_P12ihipStream_tbEUlT_E_NS1_11comp_targetILNS1_3genE10ELNS1_11target_archE1201ELNS1_3gpuE5ELNS1_3repE0EEENS1_30default_config_static_selectorELNS0_4arch9wavefront6targetE0EEEvT1_.kd
    .uniform_work_group_size: 1
    .uses_dynamic_stack: false
    .vgpr_count:     0
    .vgpr_spill_count: 0
    .wavefront_size: 32
    .workgroup_processor_mode: 1
  - .args:
      - .offset:         0
        .size:           40
        .value_kind:     by_value
    .group_segment_fixed_size: 0
    .kernarg_segment_align: 8
    .kernarg_segment_size: 40
    .language:       OpenCL C
    .language_version:
      - 2
      - 0
    .max_flat_workgroup_size: 512
    .name:           _ZN7rocprim17ROCPRIM_400000_NS6detail17trampoline_kernelINS0_14default_configENS1_25transform_config_selectorIyLb0EEEZNS1_14transform_implILb0ES3_S5_PyN6thrust23THRUST_200600_302600_NS6detail15normal_iteratorINS9_10device_ptrIyEEEENS0_8identityIyEEEE10hipError_tT2_T3_mT4_P12ihipStream_tbEUlT_E_NS1_11comp_targetILNS1_3genE10ELNS1_11target_archE1200ELNS1_3gpuE4ELNS1_3repE0EEENS1_30default_config_static_selectorELNS0_4arch9wavefront6targetE0EEEvT1_
    .private_segment_fixed_size: 0
    .sgpr_count:     0
    .sgpr_spill_count: 0
    .symbol:         _ZN7rocprim17ROCPRIM_400000_NS6detail17trampoline_kernelINS0_14default_configENS1_25transform_config_selectorIyLb0EEEZNS1_14transform_implILb0ES3_S5_PyN6thrust23THRUST_200600_302600_NS6detail15normal_iteratorINS9_10device_ptrIyEEEENS0_8identityIyEEEE10hipError_tT2_T3_mT4_P12ihipStream_tbEUlT_E_NS1_11comp_targetILNS1_3genE10ELNS1_11target_archE1200ELNS1_3gpuE4ELNS1_3repE0EEENS1_30default_config_static_selectorELNS0_4arch9wavefront6targetE0EEEvT1_.kd
    .uniform_work_group_size: 1
    .uses_dynamic_stack: false
    .vgpr_count:     0
    .vgpr_spill_count: 0
    .wavefront_size: 32
    .workgroup_processor_mode: 1
  - .args:
      - .offset:         0
        .size:           40
        .value_kind:     by_value
    .group_segment_fixed_size: 0
    .kernarg_segment_align: 8
    .kernarg_segment_size: 40
    .language:       OpenCL C
    .language_version:
      - 2
      - 0
    .max_flat_workgroup_size: 512
    .name:           _ZN7rocprim17ROCPRIM_400000_NS6detail17trampoline_kernelINS0_14default_configENS1_25transform_config_selectorIyLb0EEEZNS1_14transform_implILb0ES3_S5_PyN6thrust23THRUST_200600_302600_NS6detail15normal_iteratorINS9_10device_ptrIyEEEENS0_8identityIyEEEE10hipError_tT2_T3_mT4_P12ihipStream_tbEUlT_E_NS1_11comp_targetILNS1_3genE9ELNS1_11target_archE1100ELNS1_3gpuE3ELNS1_3repE0EEENS1_30default_config_static_selectorELNS0_4arch9wavefront6targetE0EEEvT1_
    .private_segment_fixed_size: 0
    .sgpr_count:     0
    .sgpr_spill_count: 0
    .symbol:         _ZN7rocprim17ROCPRIM_400000_NS6detail17trampoline_kernelINS0_14default_configENS1_25transform_config_selectorIyLb0EEEZNS1_14transform_implILb0ES3_S5_PyN6thrust23THRUST_200600_302600_NS6detail15normal_iteratorINS9_10device_ptrIyEEEENS0_8identityIyEEEE10hipError_tT2_T3_mT4_P12ihipStream_tbEUlT_E_NS1_11comp_targetILNS1_3genE9ELNS1_11target_archE1100ELNS1_3gpuE3ELNS1_3repE0EEENS1_30default_config_static_selectorELNS0_4arch9wavefront6targetE0EEEvT1_.kd
    .uniform_work_group_size: 1
    .uses_dynamic_stack: false
    .vgpr_count:     0
    .vgpr_spill_count: 0
    .wavefront_size: 32
    .workgroup_processor_mode: 1
  - .args:
      - .offset:         0
        .size:           40
        .value_kind:     by_value
      - .offset:         40
        .size:           4
        .value_kind:     hidden_block_count_x
      - .offset:         44
        .size:           4
        .value_kind:     hidden_block_count_y
      - .offset:         48
        .size:           4
        .value_kind:     hidden_block_count_z
      - .offset:         52
        .size:           2
        .value_kind:     hidden_group_size_x
      - .offset:         54
        .size:           2
        .value_kind:     hidden_group_size_y
      - .offset:         56
        .size:           2
        .value_kind:     hidden_group_size_z
      - .offset:         58
        .size:           2
        .value_kind:     hidden_remainder_x
      - .offset:         60
        .size:           2
        .value_kind:     hidden_remainder_y
      - .offset:         62
        .size:           2
        .value_kind:     hidden_remainder_z
      - .offset:         80
        .size:           8
        .value_kind:     hidden_global_offset_x
      - .offset:         88
        .size:           8
        .value_kind:     hidden_global_offset_y
      - .offset:         96
        .size:           8
        .value_kind:     hidden_global_offset_z
      - .offset:         104
        .size:           2
        .value_kind:     hidden_grid_dims
    .group_segment_fixed_size: 0
    .kernarg_segment_align: 8
    .kernarg_segment_size: 296
    .language:       OpenCL C
    .language_version:
      - 2
      - 0
    .max_flat_workgroup_size: 512
    .name:           _ZN7rocprim17ROCPRIM_400000_NS6detail17trampoline_kernelINS0_14default_configENS1_25transform_config_selectorIyLb0EEEZNS1_14transform_implILb0ES3_S5_PyN6thrust23THRUST_200600_302600_NS6detail15normal_iteratorINS9_10device_ptrIyEEEENS0_8identityIyEEEE10hipError_tT2_T3_mT4_P12ihipStream_tbEUlT_E_NS1_11comp_targetILNS1_3genE8ELNS1_11target_archE1030ELNS1_3gpuE2ELNS1_3repE0EEENS1_30default_config_static_selectorELNS0_4arch9wavefront6targetE0EEEvT1_
    .private_segment_fixed_size: 0
    .sgpr_count:     18
    .sgpr_spill_count: 0
    .symbol:         _ZN7rocprim17ROCPRIM_400000_NS6detail17trampoline_kernelINS0_14default_configENS1_25transform_config_selectorIyLb0EEEZNS1_14transform_implILb0ES3_S5_PyN6thrust23THRUST_200600_302600_NS6detail15normal_iteratorINS9_10device_ptrIyEEEENS0_8identityIyEEEE10hipError_tT2_T3_mT4_P12ihipStream_tbEUlT_E_NS1_11comp_targetILNS1_3genE8ELNS1_11target_archE1030ELNS1_3gpuE2ELNS1_3repE0EEENS1_30default_config_static_selectorELNS0_4arch9wavefront6targetE0EEEvT1_.kd
    .uniform_work_group_size: 1
    .uses_dynamic_stack: false
    .vgpr_count:     8
    .vgpr_spill_count: 0
    .wavefront_size: 32
    .workgroup_processor_mode: 1
  - .args:
      - .offset:         0
        .size:           40
        .value_kind:     by_value
    .group_segment_fixed_size: 0
    .kernarg_segment_align: 8
    .kernarg_segment_size: 40
    .language:       OpenCL C
    .language_version:
      - 2
      - 0
    .max_flat_workgroup_size: 128
    .name:           _ZN7rocprim17ROCPRIM_400000_NS6detail17trampoline_kernelINS0_14default_configENS1_25transform_config_selectorINS0_10empty_typeELb1EEEZNS1_14transform_implILb1ES3_S6_PS5_S8_NS0_8identityIS5_EEEE10hipError_tT2_T3_mT4_P12ihipStream_tbEUlT_E_NS1_11comp_targetILNS1_3genE0ELNS1_11target_archE4294967295ELNS1_3gpuE0ELNS1_3repE0EEENS1_30default_config_static_selectorELNS0_4arch9wavefront6targetE0EEEvT1_
    .private_segment_fixed_size: 0
    .sgpr_count:     0
    .sgpr_spill_count: 0
    .symbol:         _ZN7rocprim17ROCPRIM_400000_NS6detail17trampoline_kernelINS0_14default_configENS1_25transform_config_selectorINS0_10empty_typeELb1EEEZNS1_14transform_implILb1ES3_S6_PS5_S8_NS0_8identityIS5_EEEE10hipError_tT2_T3_mT4_P12ihipStream_tbEUlT_E_NS1_11comp_targetILNS1_3genE0ELNS1_11target_archE4294967295ELNS1_3gpuE0ELNS1_3repE0EEENS1_30default_config_static_selectorELNS0_4arch9wavefront6targetE0EEEvT1_.kd
    .uniform_work_group_size: 1
    .uses_dynamic_stack: false
    .vgpr_count:     0
    .vgpr_spill_count: 0
    .wavefront_size: 32
    .workgroup_processor_mode: 1
  - .args:
      - .offset:         0
        .size:           40
        .value_kind:     by_value
    .group_segment_fixed_size: 0
    .kernarg_segment_align: 8
    .kernarg_segment_size: 40
    .language:       OpenCL C
    .language_version:
      - 2
      - 0
    .max_flat_workgroup_size: 1024
    .name:           _ZN7rocprim17ROCPRIM_400000_NS6detail17trampoline_kernelINS0_14default_configENS1_25transform_config_selectorINS0_10empty_typeELb1EEEZNS1_14transform_implILb1ES3_S6_PS5_S8_NS0_8identityIS5_EEEE10hipError_tT2_T3_mT4_P12ihipStream_tbEUlT_E_NS1_11comp_targetILNS1_3genE10ELNS1_11target_archE1201ELNS1_3gpuE5ELNS1_3repE0EEENS1_30default_config_static_selectorELNS0_4arch9wavefront6targetE0EEEvT1_
    .private_segment_fixed_size: 0
    .sgpr_count:     0
    .sgpr_spill_count: 0
    .symbol:         _ZN7rocprim17ROCPRIM_400000_NS6detail17trampoline_kernelINS0_14default_configENS1_25transform_config_selectorINS0_10empty_typeELb1EEEZNS1_14transform_implILb1ES3_S6_PS5_S8_NS0_8identityIS5_EEEE10hipError_tT2_T3_mT4_P12ihipStream_tbEUlT_E_NS1_11comp_targetILNS1_3genE10ELNS1_11target_archE1201ELNS1_3gpuE5ELNS1_3repE0EEENS1_30default_config_static_selectorELNS0_4arch9wavefront6targetE0EEEvT1_.kd
    .uniform_work_group_size: 1
    .uses_dynamic_stack: false
    .vgpr_count:     0
    .vgpr_spill_count: 0
    .wavefront_size: 32
    .workgroup_processor_mode: 1
  - .args:
      - .offset:         0
        .size:           40
        .value_kind:     by_value
    .group_segment_fixed_size: 0
    .kernarg_segment_align: 8
    .kernarg_segment_size: 40
    .language:       OpenCL C
    .language_version:
      - 2
      - 0
    .max_flat_workgroup_size: 256
    .name:           _ZN7rocprim17ROCPRIM_400000_NS6detail17trampoline_kernelINS0_14default_configENS1_25transform_config_selectorINS0_10empty_typeELb1EEEZNS1_14transform_implILb1ES3_S6_PS5_S8_NS0_8identityIS5_EEEE10hipError_tT2_T3_mT4_P12ihipStream_tbEUlT_E_NS1_11comp_targetILNS1_3genE5ELNS1_11target_archE942ELNS1_3gpuE9ELNS1_3repE0EEENS1_30default_config_static_selectorELNS0_4arch9wavefront6targetE0EEEvT1_
    .private_segment_fixed_size: 0
    .sgpr_count:     0
    .sgpr_spill_count: 0
    .symbol:         _ZN7rocprim17ROCPRIM_400000_NS6detail17trampoline_kernelINS0_14default_configENS1_25transform_config_selectorINS0_10empty_typeELb1EEEZNS1_14transform_implILb1ES3_S6_PS5_S8_NS0_8identityIS5_EEEE10hipError_tT2_T3_mT4_P12ihipStream_tbEUlT_E_NS1_11comp_targetILNS1_3genE5ELNS1_11target_archE942ELNS1_3gpuE9ELNS1_3repE0EEENS1_30default_config_static_selectorELNS0_4arch9wavefront6targetE0EEEvT1_.kd
    .uniform_work_group_size: 1
    .uses_dynamic_stack: false
    .vgpr_count:     0
    .vgpr_spill_count: 0
    .wavefront_size: 32
    .workgroup_processor_mode: 1
  - .args:
      - .offset:         0
        .size:           40
        .value_kind:     by_value
    .group_segment_fixed_size: 0
    .kernarg_segment_align: 8
    .kernarg_segment_size: 40
    .language:       OpenCL C
    .language_version:
      - 2
      - 0
    .max_flat_workgroup_size: 1024
    .name:           _ZN7rocprim17ROCPRIM_400000_NS6detail17trampoline_kernelINS0_14default_configENS1_25transform_config_selectorINS0_10empty_typeELb1EEEZNS1_14transform_implILb1ES3_S6_PS5_S8_NS0_8identityIS5_EEEE10hipError_tT2_T3_mT4_P12ihipStream_tbEUlT_E_NS1_11comp_targetILNS1_3genE4ELNS1_11target_archE910ELNS1_3gpuE8ELNS1_3repE0EEENS1_30default_config_static_selectorELNS0_4arch9wavefront6targetE0EEEvT1_
    .private_segment_fixed_size: 0
    .sgpr_count:     0
    .sgpr_spill_count: 0
    .symbol:         _ZN7rocprim17ROCPRIM_400000_NS6detail17trampoline_kernelINS0_14default_configENS1_25transform_config_selectorINS0_10empty_typeELb1EEEZNS1_14transform_implILb1ES3_S6_PS5_S8_NS0_8identityIS5_EEEE10hipError_tT2_T3_mT4_P12ihipStream_tbEUlT_E_NS1_11comp_targetILNS1_3genE4ELNS1_11target_archE910ELNS1_3gpuE8ELNS1_3repE0EEENS1_30default_config_static_selectorELNS0_4arch9wavefront6targetE0EEEvT1_.kd
    .uniform_work_group_size: 1
    .uses_dynamic_stack: false
    .vgpr_count:     0
    .vgpr_spill_count: 0
    .wavefront_size: 32
    .workgroup_processor_mode: 1
  - .args:
      - .offset:         0
        .size:           40
        .value_kind:     by_value
    .group_segment_fixed_size: 0
    .kernarg_segment_align: 8
    .kernarg_segment_size: 40
    .language:       OpenCL C
    .language_version:
      - 2
      - 0
    .max_flat_workgroup_size: 128
    .name:           _ZN7rocprim17ROCPRIM_400000_NS6detail17trampoline_kernelINS0_14default_configENS1_25transform_config_selectorINS0_10empty_typeELb1EEEZNS1_14transform_implILb1ES3_S6_PS5_S8_NS0_8identityIS5_EEEE10hipError_tT2_T3_mT4_P12ihipStream_tbEUlT_E_NS1_11comp_targetILNS1_3genE3ELNS1_11target_archE908ELNS1_3gpuE7ELNS1_3repE0EEENS1_30default_config_static_selectorELNS0_4arch9wavefront6targetE0EEEvT1_
    .private_segment_fixed_size: 0
    .sgpr_count:     0
    .sgpr_spill_count: 0
    .symbol:         _ZN7rocprim17ROCPRIM_400000_NS6detail17trampoline_kernelINS0_14default_configENS1_25transform_config_selectorINS0_10empty_typeELb1EEEZNS1_14transform_implILb1ES3_S6_PS5_S8_NS0_8identityIS5_EEEE10hipError_tT2_T3_mT4_P12ihipStream_tbEUlT_E_NS1_11comp_targetILNS1_3genE3ELNS1_11target_archE908ELNS1_3gpuE7ELNS1_3repE0EEENS1_30default_config_static_selectorELNS0_4arch9wavefront6targetE0EEEvT1_.kd
    .uniform_work_group_size: 1
    .uses_dynamic_stack: false
    .vgpr_count:     0
    .vgpr_spill_count: 0
    .wavefront_size: 32
    .workgroup_processor_mode: 1
  - .args:
      - .offset:         0
        .size:           40
        .value_kind:     by_value
    .group_segment_fixed_size: 0
    .kernarg_segment_align: 8
    .kernarg_segment_size: 40
    .language:       OpenCL C
    .language_version:
      - 2
      - 0
    .max_flat_workgroup_size: 512
    .name:           _ZN7rocprim17ROCPRIM_400000_NS6detail17trampoline_kernelINS0_14default_configENS1_25transform_config_selectorINS0_10empty_typeELb1EEEZNS1_14transform_implILb1ES3_S6_PS5_S8_NS0_8identityIS5_EEEE10hipError_tT2_T3_mT4_P12ihipStream_tbEUlT_E_NS1_11comp_targetILNS1_3genE2ELNS1_11target_archE906ELNS1_3gpuE6ELNS1_3repE0EEENS1_30default_config_static_selectorELNS0_4arch9wavefront6targetE0EEEvT1_
    .private_segment_fixed_size: 0
    .sgpr_count:     0
    .sgpr_spill_count: 0
    .symbol:         _ZN7rocprim17ROCPRIM_400000_NS6detail17trampoline_kernelINS0_14default_configENS1_25transform_config_selectorINS0_10empty_typeELb1EEEZNS1_14transform_implILb1ES3_S6_PS5_S8_NS0_8identityIS5_EEEE10hipError_tT2_T3_mT4_P12ihipStream_tbEUlT_E_NS1_11comp_targetILNS1_3genE2ELNS1_11target_archE906ELNS1_3gpuE6ELNS1_3repE0EEENS1_30default_config_static_selectorELNS0_4arch9wavefront6targetE0EEEvT1_.kd
    .uniform_work_group_size: 1
    .uses_dynamic_stack: false
    .vgpr_count:     0
    .vgpr_spill_count: 0
    .wavefront_size: 32
    .workgroup_processor_mode: 1
  - .args:
      - .offset:         0
        .size:           40
        .value_kind:     by_value
    .group_segment_fixed_size: 0
    .kernarg_segment_align: 8
    .kernarg_segment_size: 40
    .language:       OpenCL C
    .language_version:
      - 2
      - 0
    .max_flat_workgroup_size: 1024
    .name:           _ZN7rocprim17ROCPRIM_400000_NS6detail17trampoline_kernelINS0_14default_configENS1_25transform_config_selectorINS0_10empty_typeELb1EEEZNS1_14transform_implILb1ES3_S6_PS5_S8_NS0_8identityIS5_EEEE10hipError_tT2_T3_mT4_P12ihipStream_tbEUlT_E_NS1_11comp_targetILNS1_3genE9ELNS1_11target_archE1100ELNS1_3gpuE3ELNS1_3repE0EEENS1_30default_config_static_selectorELNS0_4arch9wavefront6targetE0EEEvT1_
    .private_segment_fixed_size: 0
    .sgpr_count:     0
    .sgpr_spill_count: 0
    .symbol:         _ZN7rocprim17ROCPRIM_400000_NS6detail17trampoline_kernelINS0_14default_configENS1_25transform_config_selectorINS0_10empty_typeELb1EEEZNS1_14transform_implILb1ES3_S6_PS5_S8_NS0_8identityIS5_EEEE10hipError_tT2_T3_mT4_P12ihipStream_tbEUlT_E_NS1_11comp_targetILNS1_3genE9ELNS1_11target_archE1100ELNS1_3gpuE3ELNS1_3repE0EEENS1_30default_config_static_selectorELNS0_4arch9wavefront6targetE0EEEvT1_.kd
    .uniform_work_group_size: 1
    .uses_dynamic_stack: false
    .vgpr_count:     0
    .vgpr_spill_count: 0
    .wavefront_size: 32
    .workgroup_processor_mode: 1
  - .args:
      - .offset:         0
        .size:           40
        .value_kind:     by_value
    .group_segment_fixed_size: 0
    .kernarg_segment_align: 8
    .kernarg_segment_size: 40
    .language:       OpenCL C
    .language_version:
      - 2
      - 0
    .max_flat_workgroup_size: 1024
    .name:           _ZN7rocprim17ROCPRIM_400000_NS6detail17trampoline_kernelINS0_14default_configENS1_25transform_config_selectorINS0_10empty_typeELb1EEEZNS1_14transform_implILb1ES3_S6_PS5_S8_NS0_8identityIS5_EEEE10hipError_tT2_T3_mT4_P12ihipStream_tbEUlT_E_NS1_11comp_targetILNS1_3genE8ELNS1_11target_archE1030ELNS1_3gpuE2ELNS1_3repE0EEENS1_30default_config_static_selectorELNS0_4arch9wavefront6targetE0EEEvT1_
    .private_segment_fixed_size: 0
    .sgpr_count:     0
    .sgpr_spill_count: 0
    .symbol:         _ZN7rocprim17ROCPRIM_400000_NS6detail17trampoline_kernelINS0_14default_configENS1_25transform_config_selectorINS0_10empty_typeELb1EEEZNS1_14transform_implILb1ES3_S6_PS5_S8_NS0_8identityIS5_EEEE10hipError_tT2_T3_mT4_P12ihipStream_tbEUlT_E_NS1_11comp_targetILNS1_3genE8ELNS1_11target_archE1030ELNS1_3gpuE2ELNS1_3repE0EEENS1_30default_config_static_selectorELNS0_4arch9wavefront6targetE0EEEvT1_.kd
    .uniform_work_group_size: 1
    .uses_dynamic_stack: false
    .vgpr_count:     0
    .vgpr_spill_count: 0
    .wavefront_size: 32
    .workgroup_processor_mode: 1
  - .args:
      - .offset:         0
        .size:           72
        .value_kind:     by_value
    .group_segment_fixed_size: 0
    .kernarg_segment_align: 8
    .kernarg_segment_size: 72
    .language:       OpenCL C
    .language_version:
      - 2
      - 0
    .max_flat_workgroup_size: 128
    .name:           _ZN7rocprim17ROCPRIM_400000_NS6detail17trampoline_kernelINS0_14default_configENS1_22reduce_config_selectorIN6thrust23THRUST_200600_302600_NS5tupleIblNS6_9null_typeES8_S8_S8_S8_S8_S8_S8_EEEEZNS1_11reduce_implILb1ES3_PS9_SC_S9_NS6_11hip_rocprim9__find_if7functorIS9_EEEE10hipError_tPvRmT1_T2_T3_mT4_P12ihipStream_tbEUlT_E0_NS1_11comp_targetILNS1_3genE0ELNS1_11target_archE4294967295ELNS1_3gpuE0ELNS1_3repE0EEENS1_30default_config_static_selectorELNS0_4arch9wavefront6targetE0EEEvSK_
    .private_segment_fixed_size: 0
    .sgpr_count:     0
    .sgpr_spill_count: 0
    .symbol:         _ZN7rocprim17ROCPRIM_400000_NS6detail17trampoline_kernelINS0_14default_configENS1_22reduce_config_selectorIN6thrust23THRUST_200600_302600_NS5tupleIblNS6_9null_typeES8_S8_S8_S8_S8_S8_S8_EEEEZNS1_11reduce_implILb1ES3_PS9_SC_S9_NS6_11hip_rocprim9__find_if7functorIS9_EEEE10hipError_tPvRmT1_T2_T3_mT4_P12ihipStream_tbEUlT_E0_NS1_11comp_targetILNS1_3genE0ELNS1_11target_archE4294967295ELNS1_3gpuE0ELNS1_3repE0EEENS1_30default_config_static_selectorELNS0_4arch9wavefront6targetE0EEEvSK_.kd
    .uniform_work_group_size: 1
    .uses_dynamic_stack: false
    .vgpr_count:     0
    .vgpr_spill_count: 0
    .wavefront_size: 32
    .workgroup_processor_mode: 1
  - .args:
      - .offset:         0
        .size:           72
        .value_kind:     by_value
    .group_segment_fixed_size: 0
    .kernarg_segment_align: 8
    .kernarg_segment_size: 72
    .language:       OpenCL C
    .language_version:
      - 2
      - 0
    .max_flat_workgroup_size: 256
    .name:           _ZN7rocprim17ROCPRIM_400000_NS6detail17trampoline_kernelINS0_14default_configENS1_22reduce_config_selectorIN6thrust23THRUST_200600_302600_NS5tupleIblNS6_9null_typeES8_S8_S8_S8_S8_S8_S8_EEEEZNS1_11reduce_implILb1ES3_PS9_SC_S9_NS6_11hip_rocprim9__find_if7functorIS9_EEEE10hipError_tPvRmT1_T2_T3_mT4_P12ihipStream_tbEUlT_E0_NS1_11comp_targetILNS1_3genE5ELNS1_11target_archE942ELNS1_3gpuE9ELNS1_3repE0EEENS1_30default_config_static_selectorELNS0_4arch9wavefront6targetE0EEEvSK_
    .private_segment_fixed_size: 0
    .sgpr_count:     0
    .sgpr_spill_count: 0
    .symbol:         _ZN7rocprim17ROCPRIM_400000_NS6detail17trampoline_kernelINS0_14default_configENS1_22reduce_config_selectorIN6thrust23THRUST_200600_302600_NS5tupleIblNS6_9null_typeES8_S8_S8_S8_S8_S8_S8_EEEEZNS1_11reduce_implILb1ES3_PS9_SC_S9_NS6_11hip_rocprim9__find_if7functorIS9_EEEE10hipError_tPvRmT1_T2_T3_mT4_P12ihipStream_tbEUlT_E0_NS1_11comp_targetILNS1_3genE5ELNS1_11target_archE942ELNS1_3gpuE9ELNS1_3repE0EEENS1_30default_config_static_selectorELNS0_4arch9wavefront6targetE0EEEvSK_.kd
    .uniform_work_group_size: 1
    .uses_dynamic_stack: false
    .vgpr_count:     0
    .vgpr_spill_count: 0
    .wavefront_size: 32
    .workgroup_processor_mode: 1
  - .args:
      - .offset:         0
        .size:           72
        .value_kind:     by_value
    .group_segment_fixed_size: 0
    .kernarg_segment_align: 8
    .kernarg_segment_size: 72
    .language:       OpenCL C
    .language_version:
      - 2
      - 0
    .max_flat_workgroup_size: 256
    .name:           _ZN7rocprim17ROCPRIM_400000_NS6detail17trampoline_kernelINS0_14default_configENS1_22reduce_config_selectorIN6thrust23THRUST_200600_302600_NS5tupleIblNS6_9null_typeES8_S8_S8_S8_S8_S8_S8_EEEEZNS1_11reduce_implILb1ES3_PS9_SC_S9_NS6_11hip_rocprim9__find_if7functorIS9_EEEE10hipError_tPvRmT1_T2_T3_mT4_P12ihipStream_tbEUlT_E0_NS1_11comp_targetILNS1_3genE4ELNS1_11target_archE910ELNS1_3gpuE8ELNS1_3repE0EEENS1_30default_config_static_selectorELNS0_4arch9wavefront6targetE0EEEvSK_
    .private_segment_fixed_size: 0
    .sgpr_count:     0
    .sgpr_spill_count: 0
    .symbol:         _ZN7rocprim17ROCPRIM_400000_NS6detail17trampoline_kernelINS0_14default_configENS1_22reduce_config_selectorIN6thrust23THRUST_200600_302600_NS5tupleIblNS6_9null_typeES8_S8_S8_S8_S8_S8_S8_EEEEZNS1_11reduce_implILb1ES3_PS9_SC_S9_NS6_11hip_rocprim9__find_if7functorIS9_EEEE10hipError_tPvRmT1_T2_T3_mT4_P12ihipStream_tbEUlT_E0_NS1_11comp_targetILNS1_3genE4ELNS1_11target_archE910ELNS1_3gpuE8ELNS1_3repE0EEENS1_30default_config_static_selectorELNS0_4arch9wavefront6targetE0EEEvSK_.kd
    .uniform_work_group_size: 1
    .uses_dynamic_stack: false
    .vgpr_count:     0
    .vgpr_spill_count: 0
    .wavefront_size: 32
    .workgroup_processor_mode: 1
  - .args:
      - .offset:         0
        .size:           72
        .value_kind:     by_value
    .group_segment_fixed_size: 0
    .kernarg_segment_align: 8
    .kernarg_segment_size: 72
    .language:       OpenCL C
    .language_version:
      - 2
      - 0
    .max_flat_workgroup_size: 128
    .name:           _ZN7rocprim17ROCPRIM_400000_NS6detail17trampoline_kernelINS0_14default_configENS1_22reduce_config_selectorIN6thrust23THRUST_200600_302600_NS5tupleIblNS6_9null_typeES8_S8_S8_S8_S8_S8_S8_EEEEZNS1_11reduce_implILb1ES3_PS9_SC_S9_NS6_11hip_rocprim9__find_if7functorIS9_EEEE10hipError_tPvRmT1_T2_T3_mT4_P12ihipStream_tbEUlT_E0_NS1_11comp_targetILNS1_3genE3ELNS1_11target_archE908ELNS1_3gpuE7ELNS1_3repE0EEENS1_30default_config_static_selectorELNS0_4arch9wavefront6targetE0EEEvSK_
    .private_segment_fixed_size: 0
    .sgpr_count:     0
    .sgpr_spill_count: 0
    .symbol:         _ZN7rocprim17ROCPRIM_400000_NS6detail17trampoline_kernelINS0_14default_configENS1_22reduce_config_selectorIN6thrust23THRUST_200600_302600_NS5tupleIblNS6_9null_typeES8_S8_S8_S8_S8_S8_S8_EEEEZNS1_11reduce_implILb1ES3_PS9_SC_S9_NS6_11hip_rocprim9__find_if7functorIS9_EEEE10hipError_tPvRmT1_T2_T3_mT4_P12ihipStream_tbEUlT_E0_NS1_11comp_targetILNS1_3genE3ELNS1_11target_archE908ELNS1_3gpuE7ELNS1_3repE0EEENS1_30default_config_static_selectorELNS0_4arch9wavefront6targetE0EEEvSK_.kd
    .uniform_work_group_size: 1
    .uses_dynamic_stack: false
    .vgpr_count:     0
    .vgpr_spill_count: 0
    .wavefront_size: 32
    .workgroup_processor_mode: 1
  - .args:
      - .offset:         0
        .size:           72
        .value_kind:     by_value
    .group_segment_fixed_size: 0
    .kernarg_segment_align: 8
    .kernarg_segment_size: 72
    .language:       OpenCL C
    .language_version:
      - 2
      - 0
    .max_flat_workgroup_size: 128
    .name:           _ZN7rocprim17ROCPRIM_400000_NS6detail17trampoline_kernelINS0_14default_configENS1_22reduce_config_selectorIN6thrust23THRUST_200600_302600_NS5tupleIblNS6_9null_typeES8_S8_S8_S8_S8_S8_S8_EEEEZNS1_11reduce_implILb1ES3_PS9_SC_S9_NS6_11hip_rocprim9__find_if7functorIS9_EEEE10hipError_tPvRmT1_T2_T3_mT4_P12ihipStream_tbEUlT_E0_NS1_11comp_targetILNS1_3genE2ELNS1_11target_archE906ELNS1_3gpuE6ELNS1_3repE0EEENS1_30default_config_static_selectorELNS0_4arch9wavefront6targetE0EEEvSK_
    .private_segment_fixed_size: 0
    .sgpr_count:     0
    .sgpr_spill_count: 0
    .symbol:         _ZN7rocprim17ROCPRIM_400000_NS6detail17trampoline_kernelINS0_14default_configENS1_22reduce_config_selectorIN6thrust23THRUST_200600_302600_NS5tupleIblNS6_9null_typeES8_S8_S8_S8_S8_S8_S8_EEEEZNS1_11reduce_implILb1ES3_PS9_SC_S9_NS6_11hip_rocprim9__find_if7functorIS9_EEEE10hipError_tPvRmT1_T2_T3_mT4_P12ihipStream_tbEUlT_E0_NS1_11comp_targetILNS1_3genE2ELNS1_11target_archE906ELNS1_3gpuE6ELNS1_3repE0EEENS1_30default_config_static_selectorELNS0_4arch9wavefront6targetE0EEEvSK_.kd
    .uniform_work_group_size: 1
    .uses_dynamic_stack: false
    .vgpr_count:     0
    .vgpr_spill_count: 0
    .wavefront_size: 32
    .workgroup_processor_mode: 1
  - .args:
      - .offset:         0
        .size:           72
        .value_kind:     by_value
    .group_segment_fixed_size: 0
    .kernarg_segment_align: 8
    .kernarg_segment_size: 72
    .language:       OpenCL C
    .language_version:
      - 2
      - 0
    .max_flat_workgroup_size: 256
    .name:           _ZN7rocprim17ROCPRIM_400000_NS6detail17trampoline_kernelINS0_14default_configENS1_22reduce_config_selectorIN6thrust23THRUST_200600_302600_NS5tupleIblNS6_9null_typeES8_S8_S8_S8_S8_S8_S8_EEEEZNS1_11reduce_implILb1ES3_PS9_SC_S9_NS6_11hip_rocprim9__find_if7functorIS9_EEEE10hipError_tPvRmT1_T2_T3_mT4_P12ihipStream_tbEUlT_E0_NS1_11comp_targetILNS1_3genE10ELNS1_11target_archE1201ELNS1_3gpuE5ELNS1_3repE0EEENS1_30default_config_static_selectorELNS0_4arch9wavefront6targetE0EEEvSK_
    .private_segment_fixed_size: 0
    .sgpr_count:     0
    .sgpr_spill_count: 0
    .symbol:         _ZN7rocprim17ROCPRIM_400000_NS6detail17trampoline_kernelINS0_14default_configENS1_22reduce_config_selectorIN6thrust23THRUST_200600_302600_NS5tupleIblNS6_9null_typeES8_S8_S8_S8_S8_S8_S8_EEEEZNS1_11reduce_implILb1ES3_PS9_SC_S9_NS6_11hip_rocprim9__find_if7functorIS9_EEEE10hipError_tPvRmT1_T2_T3_mT4_P12ihipStream_tbEUlT_E0_NS1_11comp_targetILNS1_3genE10ELNS1_11target_archE1201ELNS1_3gpuE5ELNS1_3repE0EEENS1_30default_config_static_selectorELNS0_4arch9wavefront6targetE0EEEvSK_.kd
    .uniform_work_group_size: 1
    .uses_dynamic_stack: false
    .vgpr_count:     0
    .vgpr_spill_count: 0
    .wavefront_size: 32
    .workgroup_processor_mode: 1
  - .args:
      - .offset:         0
        .size:           72
        .value_kind:     by_value
    .group_segment_fixed_size: 0
    .kernarg_segment_align: 8
    .kernarg_segment_size: 72
    .language:       OpenCL C
    .language_version:
      - 2
      - 0
    .max_flat_workgroup_size: 256
    .name:           _ZN7rocprim17ROCPRIM_400000_NS6detail17trampoline_kernelINS0_14default_configENS1_22reduce_config_selectorIN6thrust23THRUST_200600_302600_NS5tupleIblNS6_9null_typeES8_S8_S8_S8_S8_S8_S8_EEEEZNS1_11reduce_implILb1ES3_PS9_SC_S9_NS6_11hip_rocprim9__find_if7functorIS9_EEEE10hipError_tPvRmT1_T2_T3_mT4_P12ihipStream_tbEUlT_E0_NS1_11comp_targetILNS1_3genE10ELNS1_11target_archE1200ELNS1_3gpuE4ELNS1_3repE0EEENS1_30default_config_static_selectorELNS0_4arch9wavefront6targetE0EEEvSK_
    .private_segment_fixed_size: 0
    .sgpr_count:     0
    .sgpr_spill_count: 0
    .symbol:         _ZN7rocprim17ROCPRIM_400000_NS6detail17trampoline_kernelINS0_14default_configENS1_22reduce_config_selectorIN6thrust23THRUST_200600_302600_NS5tupleIblNS6_9null_typeES8_S8_S8_S8_S8_S8_S8_EEEEZNS1_11reduce_implILb1ES3_PS9_SC_S9_NS6_11hip_rocprim9__find_if7functorIS9_EEEE10hipError_tPvRmT1_T2_T3_mT4_P12ihipStream_tbEUlT_E0_NS1_11comp_targetILNS1_3genE10ELNS1_11target_archE1200ELNS1_3gpuE4ELNS1_3repE0EEENS1_30default_config_static_selectorELNS0_4arch9wavefront6targetE0EEEvSK_.kd
    .uniform_work_group_size: 1
    .uses_dynamic_stack: false
    .vgpr_count:     0
    .vgpr_spill_count: 0
    .wavefront_size: 32
    .workgroup_processor_mode: 1
  - .args:
      - .offset:         0
        .size:           72
        .value_kind:     by_value
    .group_segment_fixed_size: 0
    .kernarg_segment_align: 8
    .kernarg_segment_size: 72
    .language:       OpenCL C
    .language_version:
      - 2
      - 0
    .max_flat_workgroup_size: 256
    .name:           _ZN7rocprim17ROCPRIM_400000_NS6detail17trampoline_kernelINS0_14default_configENS1_22reduce_config_selectorIN6thrust23THRUST_200600_302600_NS5tupleIblNS6_9null_typeES8_S8_S8_S8_S8_S8_S8_EEEEZNS1_11reduce_implILb1ES3_PS9_SC_S9_NS6_11hip_rocprim9__find_if7functorIS9_EEEE10hipError_tPvRmT1_T2_T3_mT4_P12ihipStream_tbEUlT_E0_NS1_11comp_targetILNS1_3genE9ELNS1_11target_archE1100ELNS1_3gpuE3ELNS1_3repE0EEENS1_30default_config_static_selectorELNS0_4arch9wavefront6targetE0EEEvSK_
    .private_segment_fixed_size: 0
    .sgpr_count:     0
    .sgpr_spill_count: 0
    .symbol:         _ZN7rocprim17ROCPRIM_400000_NS6detail17trampoline_kernelINS0_14default_configENS1_22reduce_config_selectorIN6thrust23THRUST_200600_302600_NS5tupleIblNS6_9null_typeES8_S8_S8_S8_S8_S8_S8_EEEEZNS1_11reduce_implILb1ES3_PS9_SC_S9_NS6_11hip_rocprim9__find_if7functorIS9_EEEE10hipError_tPvRmT1_T2_T3_mT4_P12ihipStream_tbEUlT_E0_NS1_11comp_targetILNS1_3genE9ELNS1_11target_archE1100ELNS1_3gpuE3ELNS1_3repE0EEENS1_30default_config_static_selectorELNS0_4arch9wavefront6targetE0EEEvSK_.kd
    .uniform_work_group_size: 1
    .uses_dynamic_stack: false
    .vgpr_count:     0
    .vgpr_spill_count: 0
    .wavefront_size: 32
    .workgroup_processor_mode: 1
  - .args:
      - .offset:         0
        .size:           72
        .value_kind:     by_value
    .group_segment_fixed_size: 256
    .kernarg_segment_align: 8
    .kernarg_segment_size: 72
    .language:       OpenCL C
    .language_version:
      - 2
      - 0
    .max_flat_workgroup_size: 256
    .name:           _ZN7rocprim17ROCPRIM_400000_NS6detail17trampoline_kernelINS0_14default_configENS1_22reduce_config_selectorIN6thrust23THRUST_200600_302600_NS5tupleIblNS6_9null_typeES8_S8_S8_S8_S8_S8_S8_EEEEZNS1_11reduce_implILb1ES3_PS9_SC_S9_NS6_11hip_rocprim9__find_if7functorIS9_EEEE10hipError_tPvRmT1_T2_T3_mT4_P12ihipStream_tbEUlT_E0_NS1_11comp_targetILNS1_3genE8ELNS1_11target_archE1030ELNS1_3gpuE2ELNS1_3repE0EEENS1_30default_config_static_selectorELNS0_4arch9wavefront6targetE0EEEvSK_
    .private_segment_fixed_size: 0
    .sgpr_count:     22
    .sgpr_spill_count: 0
    .symbol:         _ZN7rocprim17ROCPRIM_400000_NS6detail17trampoline_kernelINS0_14default_configENS1_22reduce_config_selectorIN6thrust23THRUST_200600_302600_NS5tupleIblNS6_9null_typeES8_S8_S8_S8_S8_S8_S8_EEEEZNS1_11reduce_implILb1ES3_PS9_SC_S9_NS6_11hip_rocprim9__find_if7functorIS9_EEEE10hipError_tPvRmT1_T2_T3_mT4_P12ihipStream_tbEUlT_E0_NS1_11comp_targetILNS1_3genE8ELNS1_11target_archE1030ELNS1_3gpuE2ELNS1_3repE0EEENS1_30default_config_static_selectorELNS0_4arch9wavefront6targetE0EEEvSK_.kd
    .uniform_work_group_size: 1
    .uses_dynamic_stack: false
    .vgpr_count:     12
    .vgpr_spill_count: 0
    .wavefront_size: 32
    .workgroup_processor_mode: 1
  - .args:
      - .offset:         0
        .size:           56
        .value_kind:     by_value
    .group_segment_fixed_size: 0
    .kernarg_segment_align: 8
    .kernarg_segment_size: 56
    .language:       OpenCL C
    .language_version:
      - 2
      - 0
    .max_flat_workgroup_size: 128
    .name:           _ZN7rocprim17ROCPRIM_400000_NS6detail17trampoline_kernelINS0_14default_configENS1_22reduce_config_selectorIN6thrust23THRUST_200600_302600_NS5tupleIblNS6_9null_typeES8_S8_S8_S8_S8_S8_S8_EEEEZNS1_11reduce_implILb1ES3_PS9_SC_S9_NS6_11hip_rocprim9__find_if7functorIS9_EEEE10hipError_tPvRmT1_T2_T3_mT4_P12ihipStream_tbEUlT_E1_NS1_11comp_targetILNS1_3genE0ELNS1_11target_archE4294967295ELNS1_3gpuE0ELNS1_3repE0EEENS1_30default_config_static_selectorELNS0_4arch9wavefront6targetE0EEEvSK_
    .private_segment_fixed_size: 0
    .sgpr_count:     0
    .sgpr_spill_count: 0
    .symbol:         _ZN7rocprim17ROCPRIM_400000_NS6detail17trampoline_kernelINS0_14default_configENS1_22reduce_config_selectorIN6thrust23THRUST_200600_302600_NS5tupleIblNS6_9null_typeES8_S8_S8_S8_S8_S8_S8_EEEEZNS1_11reduce_implILb1ES3_PS9_SC_S9_NS6_11hip_rocprim9__find_if7functorIS9_EEEE10hipError_tPvRmT1_T2_T3_mT4_P12ihipStream_tbEUlT_E1_NS1_11comp_targetILNS1_3genE0ELNS1_11target_archE4294967295ELNS1_3gpuE0ELNS1_3repE0EEENS1_30default_config_static_selectorELNS0_4arch9wavefront6targetE0EEEvSK_.kd
    .uniform_work_group_size: 1
    .uses_dynamic_stack: false
    .vgpr_count:     0
    .vgpr_spill_count: 0
    .wavefront_size: 32
    .workgroup_processor_mode: 1
  - .args:
      - .offset:         0
        .size:           56
        .value_kind:     by_value
    .group_segment_fixed_size: 0
    .kernarg_segment_align: 8
    .kernarg_segment_size: 56
    .language:       OpenCL C
    .language_version:
      - 2
      - 0
    .max_flat_workgroup_size: 256
    .name:           _ZN7rocprim17ROCPRIM_400000_NS6detail17trampoline_kernelINS0_14default_configENS1_22reduce_config_selectorIN6thrust23THRUST_200600_302600_NS5tupleIblNS6_9null_typeES8_S8_S8_S8_S8_S8_S8_EEEEZNS1_11reduce_implILb1ES3_PS9_SC_S9_NS6_11hip_rocprim9__find_if7functorIS9_EEEE10hipError_tPvRmT1_T2_T3_mT4_P12ihipStream_tbEUlT_E1_NS1_11comp_targetILNS1_3genE5ELNS1_11target_archE942ELNS1_3gpuE9ELNS1_3repE0EEENS1_30default_config_static_selectorELNS0_4arch9wavefront6targetE0EEEvSK_
    .private_segment_fixed_size: 0
    .sgpr_count:     0
    .sgpr_spill_count: 0
    .symbol:         _ZN7rocprim17ROCPRIM_400000_NS6detail17trampoline_kernelINS0_14default_configENS1_22reduce_config_selectorIN6thrust23THRUST_200600_302600_NS5tupleIblNS6_9null_typeES8_S8_S8_S8_S8_S8_S8_EEEEZNS1_11reduce_implILb1ES3_PS9_SC_S9_NS6_11hip_rocprim9__find_if7functorIS9_EEEE10hipError_tPvRmT1_T2_T3_mT4_P12ihipStream_tbEUlT_E1_NS1_11comp_targetILNS1_3genE5ELNS1_11target_archE942ELNS1_3gpuE9ELNS1_3repE0EEENS1_30default_config_static_selectorELNS0_4arch9wavefront6targetE0EEEvSK_.kd
    .uniform_work_group_size: 1
    .uses_dynamic_stack: false
    .vgpr_count:     0
    .vgpr_spill_count: 0
    .wavefront_size: 32
    .workgroup_processor_mode: 1
  - .args:
      - .offset:         0
        .size:           56
        .value_kind:     by_value
    .group_segment_fixed_size: 0
    .kernarg_segment_align: 8
    .kernarg_segment_size: 56
    .language:       OpenCL C
    .language_version:
      - 2
      - 0
    .max_flat_workgroup_size: 256
    .name:           _ZN7rocprim17ROCPRIM_400000_NS6detail17trampoline_kernelINS0_14default_configENS1_22reduce_config_selectorIN6thrust23THRUST_200600_302600_NS5tupleIblNS6_9null_typeES8_S8_S8_S8_S8_S8_S8_EEEEZNS1_11reduce_implILb1ES3_PS9_SC_S9_NS6_11hip_rocprim9__find_if7functorIS9_EEEE10hipError_tPvRmT1_T2_T3_mT4_P12ihipStream_tbEUlT_E1_NS1_11comp_targetILNS1_3genE4ELNS1_11target_archE910ELNS1_3gpuE8ELNS1_3repE0EEENS1_30default_config_static_selectorELNS0_4arch9wavefront6targetE0EEEvSK_
    .private_segment_fixed_size: 0
    .sgpr_count:     0
    .sgpr_spill_count: 0
    .symbol:         _ZN7rocprim17ROCPRIM_400000_NS6detail17trampoline_kernelINS0_14default_configENS1_22reduce_config_selectorIN6thrust23THRUST_200600_302600_NS5tupleIblNS6_9null_typeES8_S8_S8_S8_S8_S8_S8_EEEEZNS1_11reduce_implILb1ES3_PS9_SC_S9_NS6_11hip_rocprim9__find_if7functorIS9_EEEE10hipError_tPvRmT1_T2_T3_mT4_P12ihipStream_tbEUlT_E1_NS1_11comp_targetILNS1_3genE4ELNS1_11target_archE910ELNS1_3gpuE8ELNS1_3repE0EEENS1_30default_config_static_selectorELNS0_4arch9wavefront6targetE0EEEvSK_.kd
    .uniform_work_group_size: 1
    .uses_dynamic_stack: false
    .vgpr_count:     0
    .vgpr_spill_count: 0
    .wavefront_size: 32
    .workgroup_processor_mode: 1
  - .args:
      - .offset:         0
        .size:           56
        .value_kind:     by_value
    .group_segment_fixed_size: 0
    .kernarg_segment_align: 8
    .kernarg_segment_size: 56
    .language:       OpenCL C
    .language_version:
      - 2
      - 0
    .max_flat_workgroup_size: 128
    .name:           _ZN7rocprim17ROCPRIM_400000_NS6detail17trampoline_kernelINS0_14default_configENS1_22reduce_config_selectorIN6thrust23THRUST_200600_302600_NS5tupleIblNS6_9null_typeES8_S8_S8_S8_S8_S8_S8_EEEEZNS1_11reduce_implILb1ES3_PS9_SC_S9_NS6_11hip_rocprim9__find_if7functorIS9_EEEE10hipError_tPvRmT1_T2_T3_mT4_P12ihipStream_tbEUlT_E1_NS1_11comp_targetILNS1_3genE3ELNS1_11target_archE908ELNS1_3gpuE7ELNS1_3repE0EEENS1_30default_config_static_selectorELNS0_4arch9wavefront6targetE0EEEvSK_
    .private_segment_fixed_size: 0
    .sgpr_count:     0
    .sgpr_spill_count: 0
    .symbol:         _ZN7rocprim17ROCPRIM_400000_NS6detail17trampoline_kernelINS0_14default_configENS1_22reduce_config_selectorIN6thrust23THRUST_200600_302600_NS5tupleIblNS6_9null_typeES8_S8_S8_S8_S8_S8_S8_EEEEZNS1_11reduce_implILb1ES3_PS9_SC_S9_NS6_11hip_rocprim9__find_if7functorIS9_EEEE10hipError_tPvRmT1_T2_T3_mT4_P12ihipStream_tbEUlT_E1_NS1_11comp_targetILNS1_3genE3ELNS1_11target_archE908ELNS1_3gpuE7ELNS1_3repE0EEENS1_30default_config_static_selectorELNS0_4arch9wavefront6targetE0EEEvSK_.kd
    .uniform_work_group_size: 1
    .uses_dynamic_stack: false
    .vgpr_count:     0
    .vgpr_spill_count: 0
    .wavefront_size: 32
    .workgroup_processor_mode: 1
  - .args:
      - .offset:         0
        .size:           56
        .value_kind:     by_value
    .group_segment_fixed_size: 0
    .kernarg_segment_align: 8
    .kernarg_segment_size: 56
    .language:       OpenCL C
    .language_version:
      - 2
      - 0
    .max_flat_workgroup_size: 128
    .name:           _ZN7rocprim17ROCPRIM_400000_NS6detail17trampoline_kernelINS0_14default_configENS1_22reduce_config_selectorIN6thrust23THRUST_200600_302600_NS5tupleIblNS6_9null_typeES8_S8_S8_S8_S8_S8_S8_EEEEZNS1_11reduce_implILb1ES3_PS9_SC_S9_NS6_11hip_rocprim9__find_if7functorIS9_EEEE10hipError_tPvRmT1_T2_T3_mT4_P12ihipStream_tbEUlT_E1_NS1_11comp_targetILNS1_3genE2ELNS1_11target_archE906ELNS1_3gpuE6ELNS1_3repE0EEENS1_30default_config_static_selectorELNS0_4arch9wavefront6targetE0EEEvSK_
    .private_segment_fixed_size: 0
    .sgpr_count:     0
    .sgpr_spill_count: 0
    .symbol:         _ZN7rocprim17ROCPRIM_400000_NS6detail17trampoline_kernelINS0_14default_configENS1_22reduce_config_selectorIN6thrust23THRUST_200600_302600_NS5tupleIblNS6_9null_typeES8_S8_S8_S8_S8_S8_S8_EEEEZNS1_11reduce_implILb1ES3_PS9_SC_S9_NS6_11hip_rocprim9__find_if7functorIS9_EEEE10hipError_tPvRmT1_T2_T3_mT4_P12ihipStream_tbEUlT_E1_NS1_11comp_targetILNS1_3genE2ELNS1_11target_archE906ELNS1_3gpuE6ELNS1_3repE0EEENS1_30default_config_static_selectorELNS0_4arch9wavefront6targetE0EEEvSK_.kd
    .uniform_work_group_size: 1
    .uses_dynamic_stack: false
    .vgpr_count:     0
    .vgpr_spill_count: 0
    .wavefront_size: 32
    .workgroup_processor_mode: 1
  - .args:
      - .offset:         0
        .size:           56
        .value_kind:     by_value
    .group_segment_fixed_size: 0
    .kernarg_segment_align: 8
    .kernarg_segment_size: 56
    .language:       OpenCL C
    .language_version:
      - 2
      - 0
    .max_flat_workgroup_size: 256
    .name:           _ZN7rocprim17ROCPRIM_400000_NS6detail17trampoline_kernelINS0_14default_configENS1_22reduce_config_selectorIN6thrust23THRUST_200600_302600_NS5tupleIblNS6_9null_typeES8_S8_S8_S8_S8_S8_S8_EEEEZNS1_11reduce_implILb1ES3_PS9_SC_S9_NS6_11hip_rocprim9__find_if7functorIS9_EEEE10hipError_tPvRmT1_T2_T3_mT4_P12ihipStream_tbEUlT_E1_NS1_11comp_targetILNS1_3genE10ELNS1_11target_archE1201ELNS1_3gpuE5ELNS1_3repE0EEENS1_30default_config_static_selectorELNS0_4arch9wavefront6targetE0EEEvSK_
    .private_segment_fixed_size: 0
    .sgpr_count:     0
    .sgpr_spill_count: 0
    .symbol:         _ZN7rocprim17ROCPRIM_400000_NS6detail17trampoline_kernelINS0_14default_configENS1_22reduce_config_selectorIN6thrust23THRUST_200600_302600_NS5tupleIblNS6_9null_typeES8_S8_S8_S8_S8_S8_S8_EEEEZNS1_11reduce_implILb1ES3_PS9_SC_S9_NS6_11hip_rocprim9__find_if7functorIS9_EEEE10hipError_tPvRmT1_T2_T3_mT4_P12ihipStream_tbEUlT_E1_NS1_11comp_targetILNS1_3genE10ELNS1_11target_archE1201ELNS1_3gpuE5ELNS1_3repE0EEENS1_30default_config_static_selectorELNS0_4arch9wavefront6targetE0EEEvSK_.kd
    .uniform_work_group_size: 1
    .uses_dynamic_stack: false
    .vgpr_count:     0
    .vgpr_spill_count: 0
    .wavefront_size: 32
    .workgroup_processor_mode: 1
  - .args:
      - .offset:         0
        .size:           56
        .value_kind:     by_value
    .group_segment_fixed_size: 0
    .kernarg_segment_align: 8
    .kernarg_segment_size: 56
    .language:       OpenCL C
    .language_version:
      - 2
      - 0
    .max_flat_workgroup_size: 256
    .name:           _ZN7rocprim17ROCPRIM_400000_NS6detail17trampoline_kernelINS0_14default_configENS1_22reduce_config_selectorIN6thrust23THRUST_200600_302600_NS5tupleIblNS6_9null_typeES8_S8_S8_S8_S8_S8_S8_EEEEZNS1_11reduce_implILb1ES3_PS9_SC_S9_NS6_11hip_rocprim9__find_if7functorIS9_EEEE10hipError_tPvRmT1_T2_T3_mT4_P12ihipStream_tbEUlT_E1_NS1_11comp_targetILNS1_3genE10ELNS1_11target_archE1200ELNS1_3gpuE4ELNS1_3repE0EEENS1_30default_config_static_selectorELNS0_4arch9wavefront6targetE0EEEvSK_
    .private_segment_fixed_size: 0
    .sgpr_count:     0
    .sgpr_spill_count: 0
    .symbol:         _ZN7rocprim17ROCPRIM_400000_NS6detail17trampoline_kernelINS0_14default_configENS1_22reduce_config_selectorIN6thrust23THRUST_200600_302600_NS5tupleIblNS6_9null_typeES8_S8_S8_S8_S8_S8_S8_EEEEZNS1_11reduce_implILb1ES3_PS9_SC_S9_NS6_11hip_rocprim9__find_if7functorIS9_EEEE10hipError_tPvRmT1_T2_T3_mT4_P12ihipStream_tbEUlT_E1_NS1_11comp_targetILNS1_3genE10ELNS1_11target_archE1200ELNS1_3gpuE4ELNS1_3repE0EEENS1_30default_config_static_selectorELNS0_4arch9wavefront6targetE0EEEvSK_.kd
    .uniform_work_group_size: 1
    .uses_dynamic_stack: false
    .vgpr_count:     0
    .vgpr_spill_count: 0
    .wavefront_size: 32
    .workgroup_processor_mode: 1
  - .args:
      - .offset:         0
        .size:           56
        .value_kind:     by_value
    .group_segment_fixed_size: 0
    .kernarg_segment_align: 8
    .kernarg_segment_size: 56
    .language:       OpenCL C
    .language_version:
      - 2
      - 0
    .max_flat_workgroup_size: 256
    .name:           _ZN7rocprim17ROCPRIM_400000_NS6detail17trampoline_kernelINS0_14default_configENS1_22reduce_config_selectorIN6thrust23THRUST_200600_302600_NS5tupleIblNS6_9null_typeES8_S8_S8_S8_S8_S8_S8_EEEEZNS1_11reduce_implILb1ES3_PS9_SC_S9_NS6_11hip_rocprim9__find_if7functorIS9_EEEE10hipError_tPvRmT1_T2_T3_mT4_P12ihipStream_tbEUlT_E1_NS1_11comp_targetILNS1_3genE9ELNS1_11target_archE1100ELNS1_3gpuE3ELNS1_3repE0EEENS1_30default_config_static_selectorELNS0_4arch9wavefront6targetE0EEEvSK_
    .private_segment_fixed_size: 0
    .sgpr_count:     0
    .sgpr_spill_count: 0
    .symbol:         _ZN7rocprim17ROCPRIM_400000_NS6detail17trampoline_kernelINS0_14default_configENS1_22reduce_config_selectorIN6thrust23THRUST_200600_302600_NS5tupleIblNS6_9null_typeES8_S8_S8_S8_S8_S8_S8_EEEEZNS1_11reduce_implILb1ES3_PS9_SC_S9_NS6_11hip_rocprim9__find_if7functorIS9_EEEE10hipError_tPvRmT1_T2_T3_mT4_P12ihipStream_tbEUlT_E1_NS1_11comp_targetILNS1_3genE9ELNS1_11target_archE1100ELNS1_3gpuE3ELNS1_3repE0EEENS1_30default_config_static_selectorELNS0_4arch9wavefront6targetE0EEEvSK_.kd
    .uniform_work_group_size: 1
    .uses_dynamic_stack: false
    .vgpr_count:     0
    .vgpr_spill_count: 0
    .wavefront_size: 32
    .workgroup_processor_mode: 1
  - .args:
      - .offset:         0
        .size:           56
        .value_kind:     by_value
    .group_segment_fixed_size: 640
    .kernarg_segment_align: 8
    .kernarg_segment_size: 56
    .language:       OpenCL C
    .language_version:
      - 2
      - 0
    .max_flat_workgroup_size: 256
    .name:           _ZN7rocprim17ROCPRIM_400000_NS6detail17trampoline_kernelINS0_14default_configENS1_22reduce_config_selectorIN6thrust23THRUST_200600_302600_NS5tupleIblNS6_9null_typeES8_S8_S8_S8_S8_S8_S8_EEEEZNS1_11reduce_implILb1ES3_PS9_SC_S9_NS6_11hip_rocprim9__find_if7functorIS9_EEEE10hipError_tPvRmT1_T2_T3_mT4_P12ihipStream_tbEUlT_E1_NS1_11comp_targetILNS1_3genE8ELNS1_11target_archE1030ELNS1_3gpuE2ELNS1_3repE0EEENS1_30default_config_static_selectorELNS0_4arch9wavefront6targetE0EEEvSK_
    .private_segment_fixed_size: 0
    .sgpr_count:     25
    .sgpr_spill_count: 0
    .symbol:         _ZN7rocprim17ROCPRIM_400000_NS6detail17trampoline_kernelINS0_14default_configENS1_22reduce_config_selectorIN6thrust23THRUST_200600_302600_NS5tupleIblNS6_9null_typeES8_S8_S8_S8_S8_S8_S8_EEEEZNS1_11reduce_implILb1ES3_PS9_SC_S9_NS6_11hip_rocprim9__find_if7functorIS9_EEEE10hipError_tPvRmT1_T2_T3_mT4_P12ihipStream_tbEUlT_E1_NS1_11comp_targetILNS1_3genE8ELNS1_11target_archE1030ELNS1_3gpuE2ELNS1_3repE0EEENS1_30default_config_static_selectorELNS0_4arch9wavefront6targetE0EEEvSK_.kd
    .uniform_work_group_size: 1
    .uses_dynamic_stack: false
    .vgpr_count:     29
    .vgpr_spill_count: 0
    .wavefront_size: 32
    .workgroup_processor_mode: 1
  - .args:
      - .offset:         0
        .size:           104
        .value_kind:     by_value
    .group_segment_fixed_size: 0
    .kernarg_segment_align: 8
    .kernarg_segment_size: 104
    .language:       OpenCL C
    .language_version:
      - 2
      - 0
    .max_flat_workgroup_size: 128
    .name:           _ZN7rocprim17ROCPRIM_400000_NS6detail17trampoline_kernelINS0_14default_configENS1_22reduce_config_selectorIN6thrust23THRUST_200600_302600_NS5tupleIblNS6_9null_typeES8_S8_S8_S8_S8_S8_S8_EEEEZNS1_11reduce_implILb1ES3_NS6_12zip_iteratorINS7_INS6_11hip_rocprim26transform_input_iterator_tIbNSD_35transform_pair_of_input_iterators_tIbNS6_6detail15normal_iteratorINS6_10device_ptrIKyEEEESL_NS6_8equal_toIyEEEENSG_9not_fun_tINSD_8identityEEEEENSD_19counting_iterator_tIlEES8_S8_S8_S8_S8_S8_S8_S8_EEEEPS9_S9_NSD_9__find_if7functorIS9_EEEE10hipError_tPvRmT1_T2_T3_mT4_P12ihipStream_tbEUlT_E0_NS1_11comp_targetILNS1_3genE0ELNS1_11target_archE4294967295ELNS1_3gpuE0ELNS1_3repE0EEENS1_30default_config_static_selectorELNS0_4arch9wavefront6targetE0EEEvS14_
    .private_segment_fixed_size: 0
    .sgpr_count:     0
    .sgpr_spill_count: 0
    .symbol:         _ZN7rocprim17ROCPRIM_400000_NS6detail17trampoline_kernelINS0_14default_configENS1_22reduce_config_selectorIN6thrust23THRUST_200600_302600_NS5tupleIblNS6_9null_typeES8_S8_S8_S8_S8_S8_S8_EEEEZNS1_11reduce_implILb1ES3_NS6_12zip_iteratorINS7_INS6_11hip_rocprim26transform_input_iterator_tIbNSD_35transform_pair_of_input_iterators_tIbNS6_6detail15normal_iteratorINS6_10device_ptrIKyEEEESL_NS6_8equal_toIyEEEENSG_9not_fun_tINSD_8identityEEEEENSD_19counting_iterator_tIlEES8_S8_S8_S8_S8_S8_S8_S8_EEEEPS9_S9_NSD_9__find_if7functorIS9_EEEE10hipError_tPvRmT1_T2_T3_mT4_P12ihipStream_tbEUlT_E0_NS1_11comp_targetILNS1_3genE0ELNS1_11target_archE4294967295ELNS1_3gpuE0ELNS1_3repE0EEENS1_30default_config_static_selectorELNS0_4arch9wavefront6targetE0EEEvS14_.kd
    .uniform_work_group_size: 1
    .uses_dynamic_stack: false
    .vgpr_count:     0
    .vgpr_spill_count: 0
    .wavefront_size: 32
    .workgroup_processor_mode: 1
  - .args:
      - .offset:         0
        .size:           104
        .value_kind:     by_value
    .group_segment_fixed_size: 0
    .kernarg_segment_align: 8
    .kernarg_segment_size: 104
    .language:       OpenCL C
    .language_version:
      - 2
      - 0
    .max_flat_workgroup_size: 256
    .name:           _ZN7rocprim17ROCPRIM_400000_NS6detail17trampoline_kernelINS0_14default_configENS1_22reduce_config_selectorIN6thrust23THRUST_200600_302600_NS5tupleIblNS6_9null_typeES8_S8_S8_S8_S8_S8_S8_EEEEZNS1_11reduce_implILb1ES3_NS6_12zip_iteratorINS7_INS6_11hip_rocprim26transform_input_iterator_tIbNSD_35transform_pair_of_input_iterators_tIbNS6_6detail15normal_iteratorINS6_10device_ptrIKyEEEESL_NS6_8equal_toIyEEEENSG_9not_fun_tINSD_8identityEEEEENSD_19counting_iterator_tIlEES8_S8_S8_S8_S8_S8_S8_S8_EEEEPS9_S9_NSD_9__find_if7functorIS9_EEEE10hipError_tPvRmT1_T2_T3_mT4_P12ihipStream_tbEUlT_E0_NS1_11comp_targetILNS1_3genE5ELNS1_11target_archE942ELNS1_3gpuE9ELNS1_3repE0EEENS1_30default_config_static_selectorELNS0_4arch9wavefront6targetE0EEEvS14_
    .private_segment_fixed_size: 0
    .sgpr_count:     0
    .sgpr_spill_count: 0
    .symbol:         _ZN7rocprim17ROCPRIM_400000_NS6detail17trampoline_kernelINS0_14default_configENS1_22reduce_config_selectorIN6thrust23THRUST_200600_302600_NS5tupleIblNS6_9null_typeES8_S8_S8_S8_S8_S8_S8_EEEEZNS1_11reduce_implILb1ES3_NS6_12zip_iteratorINS7_INS6_11hip_rocprim26transform_input_iterator_tIbNSD_35transform_pair_of_input_iterators_tIbNS6_6detail15normal_iteratorINS6_10device_ptrIKyEEEESL_NS6_8equal_toIyEEEENSG_9not_fun_tINSD_8identityEEEEENSD_19counting_iterator_tIlEES8_S8_S8_S8_S8_S8_S8_S8_EEEEPS9_S9_NSD_9__find_if7functorIS9_EEEE10hipError_tPvRmT1_T2_T3_mT4_P12ihipStream_tbEUlT_E0_NS1_11comp_targetILNS1_3genE5ELNS1_11target_archE942ELNS1_3gpuE9ELNS1_3repE0EEENS1_30default_config_static_selectorELNS0_4arch9wavefront6targetE0EEEvS14_.kd
    .uniform_work_group_size: 1
    .uses_dynamic_stack: false
    .vgpr_count:     0
    .vgpr_spill_count: 0
    .wavefront_size: 32
    .workgroup_processor_mode: 1
  - .args:
      - .offset:         0
        .size:           104
        .value_kind:     by_value
    .group_segment_fixed_size: 0
    .kernarg_segment_align: 8
    .kernarg_segment_size: 104
    .language:       OpenCL C
    .language_version:
      - 2
      - 0
    .max_flat_workgroup_size: 256
    .name:           _ZN7rocprim17ROCPRIM_400000_NS6detail17trampoline_kernelINS0_14default_configENS1_22reduce_config_selectorIN6thrust23THRUST_200600_302600_NS5tupleIblNS6_9null_typeES8_S8_S8_S8_S8_S8_S8_EEEEZNS1_11reduce_implILb1ES3_NS6_12zip_iteratorINS7_INS6_11hip_rocprim26transform_input_iterator_tIbNSD_35transform_pair_of_input_iterators_tIbNS6_6detail15normal_iteratorINS6_10device_ptrIKyEEEESL_NS6_8equal_toIyEEEENSG_9not_fun_tINSD_8identityEEEEENSD_19counting_iterator_tIlEES8_S8_S8_S8_S8_S8_S8_S8_EEEEPS9_S9_NSD_9__find_if7functorIS9_EEEE10hipError_tPvRmT1_T2_T3_mT4_P12ihipStream_tbEUlT_E0_NS1_11comp_targetILNS1_3genE4ELNS1_11target_archE910ELNS1_3gpuE8ELNS1_3repE0EEENS1_30default_config_static_selectorELNS0_4arch9wavefront6targetE0EEEvS14_
    .private_segment_fixed_size: 0
    .sgpr_count:     0
    .sgpr_spill_count: 0
    .symbol:         _ZN7rocprim17ROCPRIM_400000_NS6detail17trampoline_kernelINS0_14default_configENS1_22reduce_config_selectorIN6thrust23THRUST_200600_302600_NS5tupleIblNS6_9null_typeES8_S8_S8_S8_S8_S8_S8_EEEEZNS1_11reduce_implILb1ES3_NS6_12zip_iteratorINS7_INS6_11hip_rocprim26transform_input_iterator_tIbNSD_35transform_pair_of_input_iterators_tIbNS6_6detail15normal_iteratorINS6_10device_ptrIKyEEEESL_NS6_8equal_toIyEEEENSG_9not_fun_tINSD_8identityEEEEENSD_19counting_iterator_tIlEES8_S8_S8_S8_S8_S8_S8_S8_EEEEPS9_S9_NSD_9__find_if7functorIS9_EEEE10hipError_tPvRmT1_T2_T3_mT4_P12ihipStream_tbEUlT_E0_NS1_11comp_targetILNS1_3genE4ELNS1_11target_archE910ELNS1_3gpuE8ELNS1_3repE0EEENS1_30default_config_static_selectorELNS0_4arch9wavefront6targetE0EEEvS14_.kd
    .uniform_work_group_size: 1
    .uses_dynamic_stack: false
    .vgpr_count:     0
    .vgpr_spill_count: 0
    .wavefront_size: 32
    .workgroup_processor_mode: 1
  - .args:
      - .offset:         0
        .size:           104
        .value_kind:     by_value
    .group_segment_fixed_size: 0
    .kernarg_segment_align: 8
    .kernarg_segment_size: 104
    .language:       OpenCL C
    .language_version:
      - 2
      - 0
    .max_flat_workgroup_size: 128
    .name:           _ZN7rocprim17ROCPRIM_400000_NS6detail17trampoline_kernelINS0_14default_configENS1_22reduce_config_selectorIN6thrust23THRUST_200600_302600_NS5tupleIblNS6_9null_typeES8_S8_S8_S8_S8_S8_S8_EEEEZNS1_11reduce_implILb1ES3_NS6_12zip_iteratorINS7_INS6_11hip_rocprim26transform_input_iterator_tIbNSD_35transform_pair_of_input_iterators_tIbNS6_6detail15normal_iteratorINS6_10device_ptrIKyEEEESL_NS6_8equal_toIyEEEENSG_9not_fun_tINSD_8identityEEEEENSD_19counting_iterator_tIlEES8_S8_S8_S8_S8_S8_S8_S8_EEEEPS9_S9_NSD_9__find_if7functorIS9_EEEE10hipError_tPvRmT1_T2_T3_mT4_P12ihipStream_tbEUlT_E0_NS1_11comp_targetILNS1_3genE3ELNS1_11target_archE908ELNS1_3gpuE7ELNS1_3repE0EEENS1_30default_config_static_selectorELNS0_4arch9wavefront6targetE0EEEvS14_
    .private_segment_fixed_size: 0
    .sgpr_count:     0
    .sgpr_spill_count: 0
    .symbol:         _ZN7rocprim17ROCPRIM_400000_NS6detail17trampoline_kernelINS0_14default_configENS1_22reduce_config_selectorIN6thrust23THRUST_200600_302600_NS5tupleIblNS6_9null_typeES8_S8_S8_S8_S8_S8_S8_EEEEZNS1_11reduce_implILb1ES3_NS6_12zip_iteratorINS7_INS6_11hip_rocprim26transform_input_iterator_tIbNSD_35transform_pair_of_input_iterators_tIbNS6_6detail15normal_iteratorINS6_10device_ptrIKyEEEESL_NS6_8equal_toIyEEEENSG_9not_fun_tINSD_8identityEEEEENSD_19counting_iterator_tIlEES8_S8_S8_S8_S8_S8_S8_S8_EEEEPS9_S9_NSD_9__find_if7functorIS9_EEEE10hipError_tPvRmT1_T2_T3_mT4_P12ihipStream_tbEUlT_E0_NS1_11comp_targetILNS1_3genE3ELNS1_11target_archE908ELNS1_3gpuE7ELNS1_3repE0EEENS1_30default_config_static_selectorELNS0_4arch9wavefront6targetE0EEEvS14_.kd
    .uniform_work_group_size: 1
    .uses_dynamic_stack: false
    .vgpr_count:     0
    .vgpr_spill_count: 0
    .wavefront_size: 32
    .workgroup_processor_mode: 1
  - .args:
      - .offset:         0
        .size:           104
        .value_kind:     by_value
    .group_segment_fixed_size: 0
    .kernarg_segment_align: 8
    .kernarg_segment_size: 104
    .language:       OpenCL C
    .language_version:
      - 2
      - 0
    .max_flat_workgroup_size: 128
    .name:           _ZN7rocprim17ROCPRIM_400000_NS6detail17trampoline_kernelINS0_14default_configENS1_22reduce_config_selectorIN6thrust23THRUST_200600_302600_NS5tupleIblNS6_9null_typeES8_S8_S8_S8_S8_S8_S8_EEEEZNS1_11reduce_implILb1ES3_NS6_12zip_iteratorINS7_INS6_11hip_rocprim26transform_input_iterator_tIbNSD_35transform_pair_of_input_iterators_tIbNS6_6detail15normal_iteratorINS6_10device_ptrIKyEEEESL_NS6_8equal_toIyEEEENSG_9not_fun_tINSD_8identityEEEEENSD_19counting_iterator_tIlEES8_S8_S8_S8_S8_S8_S8_S8_EEEEPS9_S9_NSD_9__find_if7functorIS9_EEEE10hipError_tPvRmT1_T2_T3_mT4_P12ihipStream_tbEUlT_E0_NS1_11comp_targetILNS1_3genE2ELNS1_11target_archE906ELNS1_3gpuE6ELNS1_3repE0EEENS1_30default_config_static_selectorELNS0_4arch9wavefront6targetE0EEEvS14_
    .private_segment_fixed_size: 0
    .sgpr_count:     0
    .sgpr_spill_count: 0
    .symbol:         _ZN7rocprim17ROCPRIM_400000_NS6detail17trampoline_kernelINS0_14default_configENS1_22reduce_config_selectorIN6thrust23THRUST_200600_302600_NS5tupleIblNS6_9null_typeES8_S8_S8_S8_S8_S8_S8_EEEEZNS1_11reduce_implILb1ES3_NS6_12zip_iteratorINS7_INS6_11hip_rocprim26transform_input_iterator_tIbNSD_35transform_pair_of_input_iterators_tIbNS6_6detail15normal_iteratorINS6_10device_ptrIKyEEEESL_NS6_8equal_toIyEEEENSG_9not_fun_tINSD_8identityEEEEENSD_19counting_iterator_tIlEES8_S8_S8_S8_S8_S8_S8_S8_EEEEPS9_S9_NSD_9__find_if7functorIS9_EEEE10hipError_tPvRmT1_T2_T3_mT4_P12ihipStream_tbEUlT_E0_NS1_11comp_targetILNS1_3genE2ELNS1_11target_archE906ELNS1_3gpuE6ELNS1_3repE0EEENS1_30default_config_static_selectorELNS0_4arch9wavefront6targetE0EEEvS14_.kd
    .uniform_work_group_size: 1
    .uses_dynamic_stack: false
    .vgpr_count:     0
    .vgpr_spill_count: 0
    .wavefront_size: 32
    .workgroup_processor_mode: 1
  - .args:
      - .offset:         0
        .size:           104
        .value_kind:     by_value
    .group_segment_fixed_size: 0
    .kernarg_segment_align: 8
    .kernarg_segment_size: 104
    .language:       OpenCL C
    .language_version:
      - 2
      - 0
    .max_flat_workgroup_size: 256
    .name:           _ZN7rocprim17ROCPRIM_400000_NS6detail17trampoline_kernelINS0_14default_configENS1_22reduce_config_selectorIN6thrust23THRUST_200600_302600_NS5tupleIblNS6_9null_typeES8_S8_S8_S8_S8_S8_S8_EEEEZNS1_11reduce_implILb1ES3_NS6_12zip_iteratorINS7_INS6_11hip_rocprim26transform_input_iterator_tIbNSD_35transform_pair_of_input_iterators_tIbNS6_6detail15normal_iteratorINS6_10device_ptrIKyEEEESL_NS6_8equal_toIyEEEENSG_9not_fun_tINSD_8identityEEEEENSD_19counting_iterator_tIlEES8_S8_S8_S8_S8_S8_S8_S8_EEEEPS9_S9_NSD_9__find_if7functorIS9_EEEE10hipError_tPvRmT1_T2_T3_mT4_P12ihipStream_tbEUlT_E0_NS1_11comp_targetILNS1_3genE10ELNS1_11target_archE1201ELNS1_3gpuE5ELNS1_3repE0EEENS1_30default_config_static_selectorELNS0_4arch9wavefront6targetE0EEEvS14_
    .private_segment_fixed_size: 0
    .sgpr_count:     0
    .sgpr_spill_count: 0
    .symbol:         _ZN7rocprim17ROCPRIM_400000_NS6detail17trampoline_kernelINS0_14default_configENS1_22reduce_config_selectorIN6thrust23THRUST_200600_302600_NS5tupleIblNS6_9null_typeES8_S8_S8_S8_S8_S8_S8_EEEEZNS1_11reduce_implILb1ES3_NS6_12zip_iteratorINS7_INS6_11hip_rocprim26transform_input_iterator_tIbNSD_35transform_pair_of_input_iterators_tIbNS6_6detail15normal_iteratorINS6_10device_ptrIKyEEEESL_NS6_8equal_toIyEEEENSG_9not_fun_tINSD_8identityEEEEENSD_19counting_iterator_tIlEES8_S8_S8_S8_S8_S8_S8_S8_EEEEPS9_S9_NSD_9__find_if7functorIS9_EEEE10hipError_tPvRmT1_T2_T3_mT4_P12ihipStream_tbEUlT_E0_NS1_11comp_targetILNS1_3genE10ELNS1_11target_archE1201ELNS1_3gpuE5ELNS1_3repE0EEENS1_30default_config_static_selectorELNS0_4arch9wavefront6targetE0EEEvS14_.kd
    .uniform_work_group_size: 1
    .uses_dynamic_stack: false
    .vgpr_count:     0
    .vgpr_spill_count: 0
    .wavefront_size: 32
    .workgroup_processor_mode: 1
  - .args:
      - .offset:         0
        .size:           104
        .value_kind:     by_value
    .group_segment_fixed_size: 0
    .kernarg_segment_align: 8
    .kernarg_segment_size: 104
    .language:       OpenCL C
    .language_version:
      - 2
      - 0
    .max_flat_workgroup_size: 256
    .name:           _ZN7rocprim17ROCPRIM_400000_NS6detail17trampoline_kernelINS0_14default_configENS1_22reduce_config_selectorIN6thrust23THRUST_200600_302600_NS5tupleIblNS6_9null_typeES8_S8_S8_S8_S8_S8_S8_EEEEZNS1_11reduce_implILb1ES3_NS6_12zip_iteratorINS7_INS6_11hip_rocprim26transform_input_iterator_tIbNSD_35transform_pair_of_input_iterators_tIbNS6_6detail15normal_iteratorINS6_10device_ptrIKyEEEESL_NS6_8equal_toIyEEEENSG_9not_fun_tINSD_8identityEEEEENSD_19counting_iterator_tIlEES8_S8_S8_S8_S8_S8_S8_S8_EEEEPS9_S9_NSD_9__find_if7functorIS9_EEEE10hipError_tPvRmT1_T2_T3_mT4_P12ihipStream_tbEUlT_E0_NS1_11comp_targetILNS1_3genE10ELNS1_11target_archE1200ELNS1_3gpuE4ELNS1_3repE0EEENS1_30default_config_static_selectorELNS0_4arch9wavefront6targetE0EEEvS14_
    .private_segment_fixed_size: 0
    .sgpr_count:     0
    .sgpr_spill_count: 0
    .symbol:         _ZN7rocprim17ROCPRIM_400000_NS6detail17trampoline_kernelINS0_14default_configENS1_22reduce_config_selectorIN6thrust23THRUST_200600_302600_NS5tupleIblNS6_9null_typeES8_S8_S8_S8_S8_S8_S8_EEEEZNS1_11reduce_implILb1ES3_NS6_12zip_iteratorINS7_INS6_11hip_rocprim26transform_input_iterator_tIbNSD_35transform_pair_of_input_iterators_tIbNS6_6detail15normal_iteratorINS6_10device_ptrIKyEEEESL_NS6_8equal_toIyEEEENSG_9not_fun_tINSD_8identityEEEEENSD_19counting_iterator_tIlEES8_S8_S8_S8_S8_S8_S8_S8_EEEEPS9_S9_NSD_9__find_if7functorIS9_EEEE10hipError_tPvRmT1_T2_T3_mT4_P12ihipStream_tbEUlT_E0_NS1_11comp_targetILNS1_3genE10ELNS1_11target_archE1200ELNS1_3gpuE4ELNS1_3repE0EEENS1_30default_config_static_selectorELNS0_4arch9wavefront6targetE0EEEvS14_.kd
    .uniform_work_group_size: 1
    .uses_dynamic_stack: false
    .vgpr_count:     0
    .vgpr_spill_count: 0
    .wavefront_size: 32
    .workgroup_processor_mode: 1
  - .args:
      - .offset:         0
        .size:           104
        .value_kind:     by_value
    .group_segment_fixed_size: 0
    .kernarg_segment_align: 8
    .kernarg_segment_size: 104
    .language:       OpenCL C
    .language_version:
      - 2
      - 0
    .max_flat_workgroup_size: 256
    .name:           _ZN7rocprim17ROCPRIM_400000_NS6detail17trampoline_kernelINS0_14default_configENS1_22reduce_config_selectorIN6thrust23THRUST_200600_302600_NS5tupleIblNS6_9null_typeES8_S8_S8_S8_S8_S8_S8_EEEEZNS1_11reduce_implILb1ES3_NS6_12zip_iteratorINS7_INS6_11hip_rocprim26transform_input_iterator_tIbNSD_35transform_pair_of_input_iterators_tIbNS6_6detail15normal_iteratorINS6_10device_ptrIKyEEEESL_NS6_8equal_toIyEEEENSG_9not_fun_tINSD_8identityEEEEENSD_19counting_iterator_tIlEES8_S8_S8_S8_S8_S8_S8_S8_EEEEPS9_S9_NSD_9__find_if7functorIS9_EEEE10hipError_tPvRmT1_T2_T3_mT4_P12ihipStream_tbEUlT_E0_NS1_11comp_targetILNS1_3genE9ELNS1_11target_archE1100ELNS1_3gpuE3ELNS1_3repE0EEENS1_30default_config_static_selectorELNS0_4arch9wavefront6targetE0EEEvS14_
    .private_segment_fixed_size: 0
    .sgpr_count:     0
    .sgpr_spill_count: 0
    .symbol:         _ZN7rocprim17ROCPRIM_400000_NS6detail17trampoline_kernelINS0_14default_configENS1_22reduce_config_selectorIN6thrust23THRUST_200600_302600_NS5tupleIblNS6_9null_typeES8_S8_S8_S8_S8_S8_S8_EEEEZNS1_11reduce_implILb1ES3_NS6_12zip_iteratorINS7_INS6_11hip_rocprim26transform_input_iterator_tIbNSD_35transform_pair_of_input_iterators_tIbNS6_6detail15normal_iteratorINS6_10device_ptrIKyEEEESL_NS6_8equal_toIyEEEENSG_9not_fun_tINSD_8identityEEEEENSD_19counting_iterator_tIlEES8_S8_S8_S8_S8_S8_S8_S8_EEEEPS9_S9_NSD_9__find_if7functorIS9_EEEE10hipError_tPvRmT1_T2_T3_mT4_P12ihipStream_tbEUlT_E0_NS1_11comp_targetILNS1_3genE9ELNS1_11target_archE1100ELNS1_3gpuE3ELNS1_3repE0EEENS1_30default_config_static_selectorELNS0_4arch9wavefront6targetE0EEEvS14_.kd
    .uniform_work_group_size: 1
    .uses_dynamic_stack: false
    .vgpr_count:     0
    .vgpr_spill_count: 0
    .wavefront_size: 32
    .workgroup_processor_mode: 1
  - .args:
      - .offset:         0
        .size:           104
        .value_kind:     by_value
    .group_segment_fixed_size: 256
    .kernarg_segment_align: 8
    .kernarg_segment_size: 104
    .language:       OpenCL C
    .language_version:
      - 2
      - 0
    .max_flat_workgroup_size: 256
    .name:           _ZN7rocprim17ROCPRIM_400000_NS6detail17trampoline_kernelINS0_14default_configENS1_22reduce_config_selectorIN6thrust23THRUST_200600_302600_NS5tupleIblNS6_9null_typeES8_S8_S8_S8_S8_S8_S8_EEEEZNS1_11reduce_implILb1ES3_NS6_12zip_iteratorINS7_INS6_11hip_rocprim26transform_input_iterator_tIbNSD_35transform_pair_of_input_iterators_tIbNS6_6detail15normal_iteratorINS6_10device_ptrIKyEEEESL_NS6_8equal_toIyEEEENSG_9not_fun_tINSD_8identityEEEEENSD_19counting_iterator_tIlEES8_S8_S8_S8_S8_S8_S8_S8_EEEEPS9_S9_NSD_9__find_if7functorIS9_EEEE10hipError_tPvRmT1_T2_T3_mT4_P12ihipStream_tbEUlT_E0_NS1_11comp_targetILNS1_3genE8ELNS1_11target_archE1030ELNS1_3gpuE2ELNS1_3repE0EEENS1_30default_config_static_selectorELNS0_4arch9wavefront6targetE0EEEvS14_
    .private_segment_fixed_size: 0
    .sgpr_count:     30
    .sgpr_spill_count: 0
    .symbol:         _ZN7rocprim17ROCPRIM_400000_NS6detail17trampoline_kernelINS0_14default_configENS1_22reduce_config_selectorIN6thrust23THRUST_200600_302600_NS5tupleIblNS6_9null_typeES8_S8_S8_S8_S8_S8_S8_EEEEZNS1_11reduce_implILb1ES3_NS6_12zip_iteratorINS7_INS6_11hip_rocprim26transform_input_iterator_tIbNSD_35transform_pair_of_input_iterators_tIbNS6_6detail15normal_iteratorINS6_10device_ptrIKyEEEESL_NS6_8equal_toIyEEEENSG_9not_fun_tINSD_8identityEEEEENSD_19counting_iterator_tIlEES8_S8_S8_S8_S8_S8_S8_S8_EEEEPS9_S9_NSD_9__find_if7functorIS9_EEEE10hipError_tPvRmT1_T2_T3_mT4_P12ihipStream_tbEUlT_E0_NS1_11comp_targetILNS1_3genE8ELNS1_11target_archE1030ELNS1_3gpuE2ELNS1_3repE0EEENS1_30default_config_static_selectorELNS0_4arch9wavefront6targetE0EEEvS14_.kd
    .uniform_work_group_size: 1
    .uses_dynamic_stack: false
    .vgpr_count:     14
    .vgpr_spill_count: 0
    .wavefront_size: 32
    .workgroup_processor_mode: 1
  - .args:
      - .offset:         0
        .size:           88
        .value_kind:     by_value
    .group_segment_fixed_size: 0
    .kernarg_segment_align: 8
    .kernarg_segment_size: 88
    .language:       OpenCL C
    .language_version:
      - 2
      - 0
    .max_flat_workgroup_size: 128
    .name:           _ZN7rocprim17ROCPRIM_400000_NS6detail17trampoline_kernelINS0_14default_configENS1_22reduce_config_selectorIN6thrust23THRUST_200600_302600_NS5tupleIblNS6_9null_typeES8_S8_S8_S8_S8_S8_S8_EEEEZNS1_11reduce_implILb1ES3_NS6_12zip_iteratorINS7_INS6_11hip_rocprim26transform_input_iterator_tIbNSD_35transform_pair_of_input_iterators_tIbNS6_6detail15normal_iteratorINS6_10device_ptrIKyEEEESL_NS6_8equal_toIyEEEENSG_9not_fun_tINSD_8identityEEEEENSD_19counting_iterator_tIlEES8_S8_S8_S8_S8_S8_S8_S8_EEEEPS9_S9_NSD_9__find_if7functorIS9_EEEE10hipError_tPvRmT1_T2_T3_mT4_P12ihipStream_tbEUlT_E1_NS1_11comp_targetILNS1_3genE0ELNS1_11target_archE4294967295ELNS1_3gpuE0ELNS1_3repE0EEENS1_30default_config_static_selectorELNS0_4arch9wavefront6targetE0EEEvS14_
    .private_segment_fixed_size: 0
    .sgpr_count:     0
    .sgpr_spill_count: 0
    .symbol:         _ZN7rocprim17ROCPRIM_400000_NS6detail17trampoline_kernelINS0_14default_configENS1_22reduce_config_selectorIN6thrust23THRUST_200600_302600_NS5tupleIblNS6_9null_typeES8_S8_S8_S8_S8_S8_S8_EEEEZNS1_11reduce_implILb1ES3_NS6_12zip_iteratorINS7_INS6_11hip_rocprim26transform_input_iterator_tIbNSD_35transform_pair_of_input_iterators_tIbNS6_6detail15normal_iteratorINS6_10device_ptrIKyEEEESL_NS6_8equal_toIyEEEENSG_9not_fun_tINSD_8identityEEEEENSD_19counting_iterator_tIlEES8_S8_S8_S8_S8_S8_S8_S8_EEEEPS9_S9_NSD_9__find_if7functorIS9_EEEE10hipError_tPvRmT1_T2_T3_mT4_P12ihipStream_tbEUlT_E1_NS1_11comp_targetILNS1_3genE0ELNS1_11target_archE4294967295ELNS1_3gpuE0ELNS1_3repE0EEENS1_30default_config_static_selectorELNS0_4arch9wavefront6targetE0EEEvS14_.kd
    .uniform_work_group_size: 1
    .uses_dynamic_stack: false
    .vgpr_count:     0
    .vgpr_spill_count: 0
    .wavefront_size: 32
    .workgroup_processor_mode: 1
  - .args:
      - .offset:         0
        .size:           88
        .value_kind:     by_value
    .group_segment_fixed_size: 0
    .kernarg_segment_align: 8
    .kernarg_segment_size: 88
    .language:       OpenCL C
    .language_version:
      - 2
      - 0
    .max_flat_workgroup_size: 256
    .name:           _ZN7rocprim17ROCPRIM_400000_NS6detail17trampoline_kernelINS0_14default_configENS1_22reduce_config_selectorIN6thrust23THRUST_200600_302600_NS5tupleIblNS6_9null_typeES8_S8_S8_S8_S8_S8_S8_EEEEZNS1_11reduce_implILb1ES3_NS6_12zip_iteratorINS7_INS6_11hip_rocprim26transform_input_iterator_tIbNSD_35transform_pair_of_input_iterators_tIbNS6_6detail15normal_iteratorINS6_10device_ptrIKyEEEESL_NS6_8equal_toIyEEEENSG_9not_fun_tINSD_8identityEEEEENSD_19counting_iterator_tIlEES8_S8_S8_S8_S8_S8_S8_S8_EEEEPS9_S9_NSD_9__find_if7functorIS9_EEEE10hipError_tPvRmT1_T2_T3_mT4_P12ihipStream_tbEUlT_E1_NS1_11comp_targetILNS1_3genE5ELNS1_11target_archE942ELNS1_3gpuE9ELNS1_3repE0EEENS1_30default_config_static_selectorELNS0_4arch9wavefront6targetE0EEEvS14_
    .private_segment_fixed_size: 0
    .sgpr_count:     0
    .sgpr_spill_count: 0
    .symbol:         _ZN7rocprim17ROCPRIM_400000_NS6detail17trampoline_kernelINS0_14default_configENS1_22reduce_config_selectorIN6thrust23THRUST_200600_302600_NS5tupleIblNS6_9null_typeES8_S8_S8_S8_S8_S8_S8_EEEEZNS1_11reduce_implILb1ES3_NS6_12zip_iteratorINS7_INS6_11hip_rocprim26transform_input_iterator_tIbNSD_35transform_pair_of_input_iterators_tIbNS6_6detail15normal_iteratorINS6_10device_ptrIKyEEEESL_NS6_8equal_toIyEEEENSG_9not_fun_tINSD_8identityEEEEENSD_19counting_iterator_tIlEES8_S8_S8_S8_S8_S8_S8_S8_EEEEPS9_S9_NSD_9__find_if7functorIS9_EEEE10hipError_tPvRmT1_T2_T3_mT4_P12ihipStream_tbEUlT_E1_NS1_11comp_targetILNS1_3genE5ELNS1_11target_archE942ELNS1_3gpuE9ELNS1_3repE0EEENS1_30default_config_static_selectorELNS0_4arch9wavefront6targetE0EEEvS14_.kd
    .uniform_work_group_size: 1
    .uses_dynamic_stack: false
    .vgpr_count:     0
    .vgpr_spill_count: 0
    .wavefront_size: 32
    .workgroup_processor_mode: 1
  - .args:
      - .offset:         0
        .size:           88
        .value_kind:     by_value
    .group_segment_fixed_size: 0
    .kernarg_segment_align: 8
    .kernarg_segment_size: 88
    .language:       OpenCL C
    .language_version:
      - 2
      - 0
    .max_flat_workgroup_size: 256
    .name:           _ZN7rocprim17ROCPRIM_400000_NS6detail17trampoline_kernelINS0_14default_configENS1_22reduce_config_selectorIN6thrust23THRUST_200600_302600_NS5tupleIblNS6_9null_typeES8_S8_S8_S8_S8_S8_S8_EEEEZNS1_11reduce_implILb1ES3_NS6_12zip_iteratorINS7_INS6_11hip_rocprim26transform_input_iterator_tIbNSD_35transform_pair_of_input_iterators_tIbNS6_6detail15normal_iteratorINS6_10device_ptrIKyEEEESL_NS6_8equal_toIyEEEENSG_9not_fun_tINSD_8identityEEEEENSD_19counting_iterator_tIlEES8_S8_S8_S8_S8_S8_S8_S8_EEEEPS9_S9_NSD_9__find_if7functorIS9_EEEE10hipError_tPvRmT1_T2_T3_mT4_P12ihipStream_tbEUlT_E1_NS1_11comp_targetILNS1_3genE4ELNS1_11target_archE910ELNS1_3gpuE8ELNS1_3repE0EEENS1_30default_config_static_selectorELNS0_4arch9wavefront6targetE0EEEvS14_
    .private_segment_fixed_size: 0
    .sgpr_count:     0
    .sgpr_spill_count: 0
    .symbol:         _ZN7rocprim17ROCPRIM_400000_NS6detail17trampoline_kernelINS0_14default_configENS1_22reduce_config_selectorIN6thrust23THRUST_200600_302600_NS5tupleIblNS6_9null_typeES8_S8_S8_S8_S8_S8_S8_EEEEZNS1_11reduce_implILb1ES3_NS6_12zip_iteratorINS7_INS6_11hip_rocprim26transform_input_iterator_tIbNSD_35transform_pair_of_input_iterators_tIbNS6_6detail15normal_iteratorINS6_10device_ptrIKyEEEESL_NS6_8equal_toIyEEEENSG_9not_fun_tINSD_8identityEEEEENSD_19counting_iterator_tIlEES8_S8_S8_S8_S8_S8_S8_S8_EEEEPS9_S9_NSD_9__find_if7functorIS9_EEEE10hipError_tPvRmT1_T2_T3_mT4_P12ihipStream_tbEUlT_E1_NS1_11comp_targetILNS1_3genE4ELNS1_11target_archE910ELNS1_3gpuE8ELNS1_3repE0EEENS1_30default_config_static_selectorELNS0_4arch9wavefront6targetE0EEEvS14_.kd
    .uniform_work_group_size: 1
    .uses_dynamic_stack: false
    .vgpr_count:     0
    .vgpr_spill_count: 0
    .wavefront_size: 32
    .workgroup_processor_mode: 1
  - .args:
      - .offset:         0
        .size:           88
        .value_kind:     by_value
    .group_segment_fixed_size: 0
    .kernarg_segment_align: 8
    .kernarg_segment_size: 88
    .language:       OpenCL C
    .language_version:
      - 2
      - 0
    .max_flat_workgroup_size: 128
    .name:           _ZN7rocprim17ROCPRIM_400000_NS6detail17trampoline_kernelINS0_14default_configENS1_22reduce_config_selectorIN6thrust23THRUST_200600_302600_NS5tupleIblNS6_9null_typeES8_S8_S8_S8_S8_S8_S8_EEEEZNS1_11reduce_implILb1ES3_NS6_12zip_iteratorINS7_INS6_11hip_rocprim26transform_input_iterator_tIbNSD_35transform_pair_of_input_iterators_tIbNS6_6detail15normal_iteratorINS6_10device_ptrIKyEEEESL_NS6_8equal_toIyEEEENSG_9not_fun_tINSD_8identityEEEEENSD_19counting_iterator_tIlEES8_S8_S8_S8_S8_S8_S8_S8_EEEEPS9_S9_NSD_9__find_if7functorIS9_EEEE10hipError_tPvRmT1_T2_T3_mT4_P12ihipStream_tbEUlT_E1_NS1_11comp_targetILNS1_3genE3ELNS1_11target_archE908ELNS1_3gpuE7ELNS1_3repE0EEENS1_30default_config_static_selectorELNS0_4arch9wavefront6targetE0EEEvS14_
    .private_segment_fixed_size: 0
    .sgpr_count:     0
    .sgpr_spill_count: 0
    .symbol:         _ZN7rocprim17ROCPRIM_400000_NS6detail17trampoline_kernelINS0_14default_configENS1_22reduce_config_selectorIN6thrust23THRUST_200600_302600_NS5tupleIblNS6_9null_typeES8_S8_S8_S8_S8_S8_S8_EEEEZNS1_11reduce_implILb1ES3_NS6_12zip_iteratorINS7_INS6_11hip_rocprim26transform_input_iterator_tIbNSD_35transform_pair_of_input_iterators_tIbNS6_6detail15normal_iteratorINS6_10device_ptrIKyEEEESL_NS6_8equal_toIyEEEENSG_9not_fun_tINSD_8identityEEEEENSD_19counting_iterator_tIlEES8_S8_S8_S8_S8_S8_S8_S8_EEEEPS9_S9_NSD_9__find_if7functorIS9_EEEE10hipError_tPvRmT1_T2_T3_mT4_P12ihipStream_tbEUlT_E1_NS1_11comp_targetILNS1_3genE3ELNS1_11target_archE908ELNS1_3gpuE7ELNS1_3repE0EEENS1_30default_config_static_selectorELNS0_4arch9wavefront6targetE0EEEvS14_.kd
    .uniform_work_group_size: 1
    .uses_dynamic_stack: false
    .vgpr_count:     0
    .vgpr_spill_count: 0
    .wavefront_size: 32
    .workgroup_processor_mode: 1
  - .args:
      - .offset:         0
        .size:           88
        .value_kind:     by_value
    .group_segment_fixed_size: 0
    .kernarg_segment_align: 8
    .kernarg_segment_size: 88
    .language:       OpenCL C
    .language_version:
      - 2
      - 0
    .max_flat_workgroup_size: 128
    .name:           _ZN7rocprim17ROCPRIM_400000_NS6detail17trampoline_kernelINS0_14default_configENS1_22reduce_config_selectorIN6thrust23THRUST_200600_302600_NS5tupleIblNS6_9null_typeES8_S8_S8_S8_S8_S8_S8_EEEEZNS1_11reduce_implILb1ES3_NS6_12zip_iteratorINS7_INS6_11hip_rocprim26transform_input_iterator_tIbNSD_35transform_pair_of_input_iterators_tIbNS6_6detail15normal_iteratorINS6_10device_ptrIKyEEEESL_NS6_8equal_toIyEEEENSG_9not_fun_tINSD_8identityEEEEENSD_19counting_iterator_tIlEES8_S8_S8_S8_S8_S8_S8_S8_EEEEPS9_S9_NSD_9__find_if7functorIS9_EEEE10hipError_tPvRmT1_T2_T3_mT4_P12ihipStream_tbEUlT_E1_NS1_11comp_targetILNS1_3genE2ELNS1_11target_archE906ELNS1_3gpuE6ELNS1_3repE0EEENS1_30default_config_static_selectorELNS0_4arch9wavefront6targetE0EEEvS14_
    .private_segment_fixed_size: 0
    .sgpr_count:     0
    .sgpr_spill_count: 0
    .symbol:         _ZN7rocprim17ROCPRIM_400000_NS6detail17trampoline_kernelINS0_14default_configENS1_22reduce_config_selectorIN6thrust23THRUST_200600_302600_NS5tupleIblNS6_9null_typeES8_S8_S8_S8_S8_S8_S8_EEEEZNS1_11reduce_implILb1ES3_NS6_12zip_iteratorINS7_INS6_11hip_rocprim26transform_input_iterator_tIbNSD_35transform_pair_of_input_iterators_tIbNS6_6detail15normal_iteratorINS6_10device_ptrIKyEEEESL_NS6_8equal_toIyEEEENSG_9not_fun_tINSD_8identityEEEEENSD_19counting_iterator_tIlEES8_S8_S8_S8_S8_S8_S8_S8_EEEEPS9_S9_NSD_9__find_if7functorIS9_EEEE10hipError_tPvRmT1_T2_T3_mT4_P12ihipStream_tbEUlT_E1_NS1_11comp_targetILNS1_3genE2ELNS1_11target_archE906ELNS1_3gpuE6ELNS1_3repE0EEENS1_30default_config_static_selectorELNS0_4arch9wavefront6targetE0EEEvS14_.kd
    .uniform_work_group_size: 1
    .uses_dynamic_stack: false
    .vgpr_count:     0
    .vgpr_spill_count: 0
    .wavefront_size: 32
    .workgroup_processor_mode: 1
  - .args:
      - .offset:         0
        .size:           88
        .value_kind:     by_value
    .group_segment_fixed_size: 0
    .kernarg_segment_align: 8
    .kernarg_segment_size: 88
    .language:       OpenCL C
    .language_version:
      - 2
      - 0
    .max_flat_workgroup_size: 256
    .name:           _ZN7rocprim17ROCPRIM_400000_NS6detail17trampoline_kernelINS0_14default_configENS1_22reduce_config_selectorIN6thrust23THRUST_200600_302600_NS5tupleIblNS6_9null_typeES8_S8_S8_S8_S8_S8_S8_EEEEZNS1_11reduce_implILb1ES3_NS6_12zip_iteratorINS7_INS6_11hip_rocprim26transform_input_iterator_tIbNSD_35transform_pair_of_input_iterators_tIbNS6_6detail15normal_iteratorINS6_10device_ptrIKyEEEESL_NS6_8equal_toIyEEEENSG_9not_fun_tINSD_8identityEEEEENSD_19counting_iterator_tIlEES8_S8_S8_S8_S8_S8_S8_S8_EEEEPS9_S9_NSD_9__find_if7functorIS9_EEEE10hipError_tPvRmT1_T2_T3_mT4_P12ihipStream_tbEUlT_E1_NS1_11comp_targetILNS1_3genE10ELNS1_11target_archE1201ELNS1_3gpuE5ELNS1_3repE0EEENS1_30default_config_static_selectorELNS0_4arch9wavefront6targetE0EEEvS14_
    .private_segment_fixed_size: 0
    .sgpr_count:     0
    .sgpr_spill_count: 0
    .symbol:         _ZN7rocprim17ROCPRIM_400000_NS6detail17trampoline_kernelINS0_14default_configENS1_22reduce_config_selectorIN6thrust23THRUST_200600_302600_NS5tupleIblNS6_9null_typeES8_S8_S8_S8_S8_S8_S8_EEEEZNS1_11reduce_implILb1ES3_NS6_12zip_iteratorINS7_INS6_11hip_rocprim26transform_input_iterator_tIbNSD_35transform_pair_of_input_iterators_tIbNS6_6detail15normal_iteratorINS6_10device_ptrIKyEEEESL_NS6_8equal_toIyEEEENSG_9not_fun_tINSD_8identityEEEEENSD_19counting_iterator_tIlEES8_S8_S8_S8_S8_S8_S8_S8_EEEEPS9_S9_NSD_9__find_if7functorIS9_EEEE10hipError_tPvRmT1_T2_T3_mT4_P12ihipStream_tbEUlT_E1_NS1_11comp_targetILNS1_3genE10ELNS1_11target_archE1201ELNS1_3gpuE5ELNS1_3repE0EEENS1_30default_config_static_selectorELNS0_4arch9wavefront6targetE0EEEvS14_.kd
    .uniform_work_group_size: 1
    .uses_dynamic_stack: false
    .vgpr_count:     0
    .vgpr_spill_count: 0
    .wavefront_size: 32
    .workgroup_processor_mode: 1
  - .args:
      - .offset:         0
        .size:           88
        .value_kind:     by_value
    .group_segment_fixed_size: 0
    .kernarg_segment_align: 8
    .kernarg_segment_size: 88
    .language:       OpenCL C
    .language_version:
      - 2
      - 0
    .max_flat_workgroup_size: 256
    .name:           _ZN7rocprim17ROCPRIM_400000_NS6detail17trampoline_kernelINS0_14default_configENS1_22reduce_config_selectorIN6thrust23THRUST_200600_302600_NS5tupleIblNS6_9null_typeES8_S8_S8_S8_S8_S8_S8_EEEEZNS1_11reduce_implILb1ES3_NS6_12zip_iteratorINS7_INS6_11hip_rocprim26transform_input_iterator_tIbNSD_35transform_pair_of_input_iterators_tIbNS6_6detail15normal_iteratorINS6_10device_ptrIKyEEEESL_NS6_8equal_toIyEEEENSG_9not_fun_tINSD_8identityEEEEENSD_19counting_iterator_tIlEES8_S8_S8_S8_S8_S8_S8_S8_EEEEPS9_S9_NSD_9__find_if7functorIS9_EEEE10hipError_tPvRmT1_T2_T3_mT4_P12ihipStream_tbEUlT_E1_NS1_11comp_targetILNS1_3genE10ELNS1_11target_archE1200ELNS1_3gpuE4ELNS1_3repE0EEENS1_30default_config_static_selectorELNS0_4arch9wavefront6targetE0EEEvS14_
    .private_segment_fixed_size: 0
    .sgpr_count:     0
    .sgpr_spill_count: 0
    .symbol:         _ZN7rocprim17ROCPRIM_400000_NS6detail17trampoline_kernelINS0_14default_configENS1_22reduce_config_selectorIN6thrust23THRUST_200600_302600_NS5tupleIblNS6_9null_typeES8_S8_S8_S8_S8_S8_S8_EEEEZNS1_11reduce_implILb1ES3_NS6_12zip_iteratorINS7_INS6_11hip_rocprim26transform_input_iterator_tIbNSD_35transform_pair_of_input_iterators_tIbNS6_6detail15normal_iteratorINS6_10device_ptrIKyEEEESL_NS6_8equal_toIyEEEENSG_9not_fun_tINSD_8identityEEEEENSD_19counting_iterator_tIlEES8_S8_S8_S8_S8_S8_S8_S8_EEEEPS9_S9_NSD_9__find_if7functorIS9_EEEE10hipError_tPvRmT1_T2_T3_mT4_P12ihipStream_tbEUlT_E1_NS1_11comp_targetILNS1_3genE10ELNS1_11target_archE1200ELNS1_3gpuE4ELNS1_3repE0EEENS1_30default_config_static_selectorELNS0_4arch9wavefront6targetE0EEEvS14_.kd
    .uniform_work_group_size: 1
    .uses_dynamic_stack: false
    .vgpr_count:     0
    .vgpr_spill_count: 0
    .wavefront_size: 32
    .workgroup_processor_mode: 1
  - .args:
      - .offset:         0
        .size:           88
        .value_kind:     by_value
    .group_segment_fixed_size: 0
    .kernarg_segment_align: 8
    .kernarg_segment_size: 88
    .language:       OpenCL C
    .language_version:
      - 2
      - 0
    .max_flat_workgroup_size: 256
    .name:           _ZN7rocprim17ROCPRIM_400000_NS6detail17trampoline_kernelINS0_14default_configENS1_22reduce_config_selectorIN6thrust23THRUST_200600_302600_NS5tupleIblNS6_9null_typeES8_S8_S8_S8_S8_S8_S8_EEEEZNS1_11reduce_implILb1ES3_NS6_12zip_iteratorINS7_INS6_11hip_rocprim26transform_input_iterator_tIbNSD_35transform_pair_of_input_iterators_tIbNS6_6detail15normal_iteratorINS6_10device_ptrIKyEEEESL_NS6_8equal_toIyEEEENSG_9not_fun_tINSD_8identityEEEEENSD_19counting_iterator_tIlEES8_S8_S8_S8_S8_S8_S8_S8_EEEEPS9_S9_NSD_9__find_if7functorIS9_EEEE10hipError_tPvRmT1_T2_T3_mT4_P12ihipStream_tbEUlT_E1_NS1_11comp_targetILNS1_3genE9ELNS1_11target_archE1100ELNS1_3gpuE3ELNS1_3repE0EEENS1_30default_config_static_selectorELNS0_4arch9wavefront6targetE0EEEvS14_
    .private_segment_fixed_size: 0
    .sgpr_count:     0
    .sgpr_spill_count: 0
    .symbol:         _ZN7rocprim17ROCPRIM_400000_NS6detail17trampoline_kernelINS0_14default_configENS1_22reduce_config_selectorIN6thrust23THRUST_200600_302600_NS5tupleIblNS6_9null_typeES8_S8_S8_S8_S8_S8_S8_EEEEZNS1_11reduce_implILb1ES3_NS6_12zip_iteratorINS7_INS6_11hip_rocprim26transform_input_iterator_tIbNSD_35transform_pair_of_input_iterators_tIbNS6_6detail15normal_iteratorINS6_10device_ptrIKyEEEESL_NS6_8equal_toIyEEEENSG_9not_fun_tINSD_8identityEEEEENSD_19counting_iterator_tIlEES8_S8_S8_S8_S8_S8_S8_S8_EEEEPS9_S9_NSD_9__find_if7functorIS9_EEEE10hipError_tPvRmT1_T2_T3_mT4_P12ihipStream_tbEUlT_E1_NS1_11comp_targetILNS1_3genE9ELNS1_11target_archE1100ELNS1_3gpuE3ELNS1_3repE0EEENS1_30default_config_static_selectorELNS0_4arch9wavefront6targetE0EEEvS14_.kd
    .uniform_work_group_size: 1
    .uses_dynamic_stack: false
    .vgpr_count:     0
    .vgpr_spill_count: 0
    .wavefront_size: 32
    .workgroup_processor_mode: 1
  - .args:
      - .offset:         0
        .size:           88
        .value_kind:     by_value
    .group_segment_fixed_size: 640
    .kernarg_segment_align: 8
    .kernarg_segment_size: 88
    .language:       OpenCL C
    .language_version:
      - 2
      - 0
    .max_flat_workgroup_size: 256
    .name:           _ZN7rocprim17ROCPRIM_400000_NS6detail17trampoline_kernelINS0_14default_configENS1_22reduce_config_selectorIN6thrust23THRUST_200600_302600_NS5tupleIblNS6_9null_typeES8_S8_S8_S8_S8_S8_S8_EEEEZNS1_11reduce_implILb1ES3_NS6_12zip_iteratorINS7_INS6_11hip_rocprim26transform_input_iterator_tIbNSD_35transform_pair_of_input_iterators_tIbNS6_6detail15normal_iteratorINS6_10device_ptrIKyEEEESL_NS6_8equal_toIyEEEENSG_9not_fun_tINSD_8identityEEEEENSD_19counting_iterator_tIlEES8_S8_S8_S8_S8_S8_S8_S8_EEEEPS9_S9_NSD_9__find_if7functorIS9_EEEE10hipError_tPvRmT1_T2_T3_mT4_P12ihipStream_tbEUlT_E1_NS1_11comp_targetILNS1_3genE8ELNS1_11target_archE1030ELNS1_3gpuE2ELNS1_3repE0EEENS1_30default_config_static_selectorELNS0_4arch9wavefront6targetE0EEEvS14_
    .private_segment_fixed_size: 0
    .sgpr_count:     34
    .sgpr_spill_count: 0
    .symbol:         _ZN7rocprim17ROCPRIM_400000_NS6detail17trampoline_kernelINS0_14default_configENS1_22reduce_config_selectorIN6thrust23THRUST_200600_302600_NS5tupleIblNS6_9null_typeES8_S8_S8_S8_S8_S8_S8_EEEEZNS1_11reduce_implILb1ES3_NS6_12zip_iteratorINS7_INS6_11hip_rocprim26transform_input_iterator_tIbNSD_35transform_pair_of_input_iterators_tIbNS6_6detail15normal_iteratorINS6_10device_ptrIKyEEEESL_NS6_8equal_toIyEEEENSG_9not_fun_tINSD_8identityEEEEENSD_19counting_iterator_tIlEES8_S8_S8_S8_S8_S8_S8_S8_EEEEPS9_S9_NSD_9__find_if7functorIS9_EEEE10hipError_tPvRmT1_T2_T3_mT4_P12ihipStream_tbEUlT_E1_NS1_11comp_targetILNS1_3genE8ELNS1_11target_archE1030ELNS1_3gpuE2ELNS1_3repE0EEENS1_30default_config_static_selectorELNS0_4arch9wavefront6targetE0EEEvS14_.kd
    .uniform_work_group_size: 1
    .uses_dynamic_stack: false
    .vgpr_count:     36
    .vgpr_spill_count: 0
    .wavefront_size: 32
    .workgroup_processor_mode: 1
  - .args:
      - .offset:         0
        .size:           16
        .value_kind:     by_value
      - .offset:         16
        .size:           8
        .value_kind:     by_value
      - .offset:         24
        .size:           8
        .value_kind:     by_value
    .group_segment_fixed_size: 0
    .kernarg_segment_align: 8
    .kernarg_segment_size: 32
    .language:       OpenCL C
    .language_version:
      - 2
      - 0
    .max_flat_workgroup_size: 256
    .name:           _ZN6thrust23THRUST_200600_302600_NS11hip_rocprim14__parallel_for6kernelILj256ENS1_10for_each_fINS0_7pointerINS0_5tupleIblNS0_9null_typeES7_S7_S7_S7_S7_S7_S7_EENS1_3tagENS0_11use_defaultESA_EENS0_6detail16wrapped_functionINSC_23allocator_traits_detail24construct1_via_allocatorINSC_18no_throw_allocatorINSC_19temporary_allocatorIS8_S9_EEEEEEvEEEEmLj1EEEvT0_T1_SO_
    .private_segment_fixed_size: 0
    .sgpr_count:     14
    .sgpr_spill_count: 0
    .symbol:         _ZN6thrust23THRUST_200600_302600_NS11hip_rocprim14__parallel_for6kernelILj256ENS1_10for_each_fINS0_7pointerINS0_5tupleIblNS0_9null_typeES7_S7_S7_S7_S7_S7_S7_EENS1_3tagENS0_11use_defaultESA_EENS0_6detail16wrapped_functionINSC_23allocator_traits_detail24construct1_via_allocatorINSC_18no_throw_allocatorINSC_19temporary_allocatorIS8_S9_EEEEEEvEEEEmLj1EEEvT0_T1_SO_.kd
    .uniform_work_group_size: 1
    .uses_dynamic_stack: false
    .vgpr_count:     5
    .vgpr_spill_count: 0
    .wavefront_size: 32
    .workgroup_processor_mode: 1
  - .args:
      - .offset:         0
        .size:           16
        .value_kind:     by_value
      - .offset:         16
        .size:           8
        .value_kind:     by_value
      - .offset:         24
        .size:           8
        .value_kind:     by_value
    .group_segment_fixed_size: 0
    .kernarg_segment_align: 8
    .kernarg_segment_size: 32
    .language:       OpenCL C
    .language_version:
      - 2
      - 0
    .max_flat_workgroup_size: 256
    .name:           _ZN6thrust23THRUST_200600_302600_NS11hip_rocprim14__parallel_for6kernelILj256ENS1_10for_each_fINS0_7pointerINS0_5tupleIblNS0_9null_typeES7_S7_S7_S7_S7_S7_S7_EENS1_3tagENS0_11use_defaultESA_EENS0_6detail16wrapped_functionINSC_23allocator_traits_detail5gozerEvEEEElLj1EEEvT0_T1_SJ_
    .private_segment_fixed_size: 0
    .sgpr_count:     0
    .sgpr_spill_count: 0
    .symbol:         _ZN6thrust23THRUST_200600_302600_NS11hip_rocprim14__parallel_for6kernelILj256ENS1_10for_each_fINS0_7pointerINS0_5tupleIblNS0_9null_typeES7_S7_S7_S7_S7_S7_S7_EENS1_3tagENS0_11use_defaultESA_EENS0_6detail16wrapped_functionINSC_23allocator_traits_detail5gozerEvEEEElLj1EEEvT0_T1_SJ_.kd
    .uniform_work_group_size: 1
    .uses_dynamic_stack: false
    .vgpr_count:     0
    .vgpr_spill_count: 0
    .wavefront_size: 32
    .workgroup_processor_mode: 1
  - .args:
      - .offset:         0
        .size:           16
        .value_kind:     by_value
      - .offset:         16
        .size:           8
        .value_kind:     by_value
      - .offset:         24
        .size:           8
        .value_kind:     by_value
    .group_segment_fixed_size: 0
    .kernarg_segment_align: 8
    .kernarg_segment_size: 32
    .language:       OpenCL C
    .language_version:
      - 2
      - 0
    .max_flat_workgroup_size: 256
    .name:           _ZN6thrust23THRUST_200600_302600_NS11hip_rocprim14__parallel_for6kernelILj256ENS1_20__uninitialized_copy7functorIPNS0_5tupleIblNS0_9null_typeES7_S7_S7_S7_S7_S7_S7_EENS0_7pointerIS8_NS1_3tagENS0_11use_defaultESC_EEEEmLj1EEEvT0_T1_SG_
    .private_segment_fixed_size: 0
    .sgpr_count:     18
    .sgpr_spill_count: 0
    .symbol:         _ZN6thrust23THRUST_200600_302600_NS11hip_rocprim14__parallel_for6kernelILj256ENS1_20__uninitialized_copy7functorIPNS0_5tupleIblNS0_9null_typeES7_S7_S7_S7_S7_S7_S7_EENS0_7pointerIS8_NS1_3tagENS0_11use_defaultESC_EEEEmLj1EEEvT0_T1_SG_.kd
    .uniform_work_group_size: 1
    .uses_dynamic_stack: false
    .vgpr_count:     6
    .vgpr_spill_count: 0
    .wavefront_size: 32
    .workgroup_processor_mode: 1
  - .args:
      - .offset:         0
        .size:           16
        .value_kind:     by_value
      - .offset:         16
        .size:           8
        .value_kind:     by_value
      - .offset:         24
        .size:           8
        .value_kind:     by_value
    .group_segment_fixed_size: 0
    .kernarg_segment_align: 8
    .kernarg_segment_size: 32
    .language:       OpenCL C
    .language_version:
      - 2
      - 0
    .max_flat_workgroup_size: 256
    .name:           _ZN6thrust23THRUST_200600_302600_NS11hip_rocprim14__parallel_for6kernelILj256ENS1_20__uninitialized_fill7functorINS0_10device_ptrIjEEjEEmLj1EEEvT0_T1_SA_
    .private_segment_fixed_size: 0
    .sgpr_count:     14
    .sgpr_spill_count: 0
    .symbol:         _ZN6thrust23THRUST_200600_302600_NS11hip_rocprim14__parallel_for6kernelILj256ENS1_20__uninitialized_fill7functorINS0_10device_ptrIjEEjEEmLj1EEEvT0_T1_SA_.kd
    .uniform_work_group_size: 1
    .uses_dynamic_stack: false
    .vgpr_count:     4
    .vgpr_spill_count: 0
    .wavefront_size: 32
    .workgroup_processor_mode: 1
  - .args:           []
    .group_segment_fixed_size: 0
    .kernarg_segment_align: 4
    .kernarg_segment_size: 0
    .language:       OpenCL C
    .language_version:
      - 2
      - 0
    .max_flat_workgroup_size: 1024
    .name:           _ZN7rocprim17ROCPRIM_400000_NS6detail44device_merge_sort_compile_time_verifier_archINS1_11comp_targetILNS1_3genE0ELNS1_11target_archE4294967295ELNS1_3gpuE0ELNS1_3repE0EEES8_NS0_14default_configES9_NS1_37merge_sort_block_sort_config_selectorIjNS0_10empty_typeEEENS1_38merge_sort_block_merge_config_selectorIjSB_EEEEvv
    .private_segment_fixed_size: 0
    .sgpr_count:     0
    .sgpr_spill_count: 0
    .symbol:         _ZN7rocprim17ROCPRIM_400000_NS6detail44device_merge_sort_compile_time_verifier_archINS1_11comp_targetILNS1_3genE0ELNS1_11target_archE4294967295ELNS1_3gpuE0ELNS1_3repE0EEES8_NS0_14default_configES9_NS1_37merge_sort_block_sort_config_selectorIjNS0_10empty_typeEEENS1_38merge_sort_block_merge_config_selectorIjSB_EEEEvv.kd
    .uniform_work_group_size: 1
    .uses_dynamic_stack: false
    .vgpr_count:     0
    .vgpr_spill_count: 0
    .wavefront_size: 32
    .workgroup_processor_mode: 1
  - .args:           []
    .group_segment_fixed_size: 0
    .kernarg_segment_align: 4
    .kernarg_segment_size: 0
    .language:       OpenCL C
    .language_version:
      - 2
      - 0
    .max_flat_workgroup_size: 1024
    .name:           _ZN7rocprim17ROCPRIM_400000_NS6detail44device_merge_sort_compile_time_verifier_archINS1_11comp_targetILNS1_3genE5ELNS1_11target_archE942ELNS1_3gpuE9ELNS1_3repE0EEES8_NS0_14default_configES9_NS1_37merge_sort_block_sort_config_selectorIjNS0_10empty_typeEEENS1_38merge_sort_block_merge_config_selectorIjSB_EEEEvv
    .private_segment_fixed_size: 0
    .sgpr_count:     0
    .sgpr_spill_count: 0
    .symbol:         _ZN7rocprim17ROCPRIM_400000_NS6detail44device_merge_sort_compile_time_verifier_archINS1_11comp_targetILNS1_3genE5ELNS1_11target_archE942ELNS1_3gpuE9ELNS1_3repE0EEES8_NS0_14default_configES9_NS1_37merge_sort_block_sort_config_selectorIjNS0_10empty_typeEEENS1_38merge_sort_block_merge_config_selectorIjSB_EEEEvv.kd
    .uniform_work_group_size: 1
    .uses_dynamic_stack: false
    .vgpr_count:     0
    .vgpr_spill_count: 0
    .wavefront_size: 32
    .workgroup_processor_mode: 1
  - .args:           []
    .group_segment_fixed_size: 0
    .kernarg_segment_align: 4
    .kernarg_segment_size: 0
    .language:       OpenCL C
    .language_version:
      - 2
      - 0
    .max_flat_workgroup_size: 1024
    .name:           _ZN7rocprim17ROCPRIM_400000_NS6detail44device_merge_sort_compile_time_verifier_archINS1_11comp_targetILNS1_3genE4ELNS1_11target_archE910ELNS1_3gpuE8ELNS1_3repE0EEES8_NS0_14default_configES9_NS1_37merge_sort_block_sort_config_selectorIjNS0_10empty_typeEEENS1_38merge_sort_block_merge_config_selectorIjSB_EEEEvv
    .private_segment_fixed_size: 0
    .sgpr_count:     0
    .sgpr_spill_count: 0
    .symbol:         _ZN7rocprim17ROCPRIM_400000_NS6detail44device_merge_sort_compile_time_verifier_archINS1_11comp_targetILNS1_3genE4ELNS1_11target_archE910ELNS1_3gpuE8ELNS1_3repE0EEES8_NS0_14default_configES9_NS1_37merge_sort_block_sort_config_selectorIjNS0_10empty_typeEEENS1_38merge_sort_block_merge_config_selectorIjSB_EEEEvv.kd
    .uniform_work_group_size: 1
    .uses_dynamic_stack: false
    .vgpr_count:     0
    .vgpr_spill_count: 0
    .wavefront_size: 32
    .workgroup_processor_mode: 1
  - .args:           []
    .group_segment_fixed_size: 0
    .kernarg_segment_align: 4
    .kernarg_segment_size: 0
    .language:       OpenCL C
    .language_version:
      - 2
      - 0
    .max_flat_workgroup_size: 1024
    .name:           _ZN7rocprim17ROCPRIM_400000_NS6detail44device_merge_sort_compile_time_verifier_archINS1_11comp_targetILNS1_3genE3ELNS1_11target_archE908ELNS1_3gpuE7ELNS1_3repE0EEES8_NS0_14default_configES9_NS1_37merge_sort_block_sort_config_selectorIjNS0_10empty_typeEEENS1_38merge_sort_block_merge_config_selectorIjSB_EEEEvv
    .private_segment_fixed_size: 0
    .sgpr_count:     0
    .sgpr_spill_count: 0
    .symbol:         _ZN7rocprim17ROCPRIM_400000_NS6detail44device_merge_sort_compile_time_verifier_archINS1_11comp_targetILNS1_3genE3ELNS1_11target_archE908ELNS1_3gpuE7ELNS1_3repE0EEES8_NS0_14default_configES9_NS1_37merge_sort_block_sort_config_selectorIjNS0_10empty_typeEEENS1_38merge_sort_block_merge_config_selectorIjSB_EEEEvv.kd
    .uniform_work_group_size: 1
    .uses_dynamic_stack: false
    .vgpr_count:     0
    .vgpr_spill_count: 0
    .wavefront_size: 32
    .workgroup_processor_mode: 1
  - .args:           []
    .group_segment_fixed_size: 0
    .kernarg_segment_align: 4
    .kernarg_segment_size: 0
    .language:       OpenCL C
    .language_version:
      - 2
      - 0
    .max_flat_workgroup_size: 1024
    .name:           _ZN7rocprim17ROCPRIM_400000_NS6detail44device_merge_sort_compile_time_verifier_archINS1_11comp_targetILNS1_3genE2ELNS1_11target_archE906ELNS1_3gpuE6ELNS1_3repE0EEES8_NS0_14default_configES9_NS1_37merge_sort_block_sort_config_selectorIjNS0_10empty_typeEEENS1_38merge_sort_block_merge_config_selectorIjSB_EEEEvv
    .private_segment_fixed_size: 0
    .sgpr_count:     0
    .sgpr_spill_count: 0
    .symbol:         _ZN7rocprim17ROCPRIM_400000_NS6detail44device_merge_sort_compile_time_verifier_archINS1_11comp_targetILNS1_3genE2ELNS1_11target_archE906ELNS1_3gpuE6ELNS1_3repE0EEES8_NS0_14default_configES9_NS1_37merge_sort_block_sort_config_selectorIjNS0_10empty_typeEEENS1_38merge_sort_block_merge_config_selectorIjSB_EEEEvv.kd
    .uniform_work_group_size: 1
    .uses_dynamic_stack: false
    .vgpr_count:     0
    .vgpr_spill_count: 0
    .wavefront_size: 32
    .workgroup_processor_mode: 1
  - .args:           []
    .group_segment_fixed_size: 0
    .kernarg_segment_align: 4
    .kernarg_segment_size: 0
    .language:       OpenCL C
    .language_version:
      - 2
      - 0
    .max_flat_workgroup_size: 1024
    .name:           _ZN7rocprim17ROCPRIM_400000_NS6detail44device_merge_sort_compile_time_verifier_archINS1_11comp_targetILNS1_3genE10ELNS1_11target_archE1201ELNS1_3gpuE5ELNS1_3repE0EEES8_NS0_14default_configES9_NS1_37merge_sort_block_sort_config_selectorIjNS0_10empty_typeEEENS1_38merge_sort_block_merge_config_selectorIjSB_EEEEvv
    .private_segment_fixed_size: 0
    .sgpr_count:     0
    .sgpr_spill_count: 0
    .symbol:         _ZN7rocprim17ROCPRIM_400000_NS6detail44device_merge_sort_compile_time_verifier_archINS1_11comp_targetILNS1_3genE10ELNS1_11target_archE1201ELNS1_3gpuE5ELNS1_3repE0EEES8_NS0_14default_configES9_NS1_37merge_sort_block_sort_config_selectorIjNS0_10empty_typeEEENS1_38merge_sort_block_merge_config_selectorIjSB_EEEEvv.kd
    .uniform_work_group_size: 1
    .uses_dynamic_stack: false
    .vgpr_count:     0
    .vgpr_spill_count: 0
    .wavefront_size: 32
    .workgroup_processor_mode: 1
  - .args:           []
    .group_segment_fixed_size: 0
    .kernarg_segment_align: 4
    .kernarg_segment_size: 0
    .language:       OpenCL C
    .language_version:
      - 2
      - 0
    .max_flat_workgroup_size: 1024
    .name:           _ZN7rocprim17ROCPRIM_400000_NS6detail44device_merge_sort_compile_time_verifier_archINS1_11comp_targetILNS1_3genE10ELNS1_11target_archE1200ELNS1_3gpuE4ELNS1_3repE0EEENS3_ILS4_10ELS5_1201ELS6_5ELS7_0EEENS0_14default_configESA_NS1_37merge_sort_block_sort_config_selectorIjNS0_10empty_typeEEENS1_38merge_sort_block_merge_config_selectorIjSC_EEEEvv
    .private_segment_fixed_size: 0
    .sgpr_count:     0
    .sgpr_spill_count: 0
    .symbol:         _ZN7rocprim17ROCPRIM_400000_NS6detail44device_merge_sort_compile_time_verifier_archINS1_11comp_targetILNS1_3genE10ELNS1_11target_archE1200ELNS1_3gpuE4ELNS1_3repE0EEENS3_ILS4_10ELS5_1201ELS6_5ELS7_0EEENS0_14default_configESA_NS1_37merge_sort_block_sort_config_selectorIjNS0_10empty_typeEEENS1_38merge_sort_block_merge_config_selectorIjSC_EEEEvv.kd
    .uniform_work_group_size: 1
    .uses_dynamic_stack: false
    .vgpr_count:     0
    .vgpr_spill_count: 0
    .wavefront_size: 32
    .workgroup_processor_mode: 1
  - .args:           []
    .group_segment_fixed_size: 0
    .kernarg_segment_align: 4
    .kernarg_segment_size: 0
    .language:       OpenCL C
    .language_version:
      - 2
      - 0
    .max_flat_workgroup_size: 1024
    .name:           _ZN7rocprim17ROCPRIM_400000_NS6detail44device_merge_sort_compile_time_verifier_archINS1_11comp_targetILNS1_3genE9ELNS1_11target_archE1100ELNS1_3gpuE3ELNS1_3repE0EEES8_NS0_14default_configES9_NS1_37merge_sort_block_sort_config_selectorIjNS0_10empty_typeEEENS1_38merge_sort_block_merge_config_selectorIjSB_EEEEvv
    .private_segment_fixed_size: 0
    .sgpr_count:     0
    .sgpr_spill_count: 0
    .symbol:         _ZN7rocprim17ROCPRIM_400000_NS6detail44device_merge_sort_compile_time_verifier_archINS1_11comp_targetILNS1_3genE9ELNS1_11target_archE1100ELNS1_3gpuE3ELNS1_3repE0EEES8_NS0_14default_configES9_NS1_37merge_sort_block_sort_config_selectorIjNS0_10empty_typeEEENS1_38merge_sort_block_merge_config_selectorIjSB_EEEEvv.kd
    .uniform_work_group_size: 1
    .uses_dynamic_stack: false
    .vgpr_count:     0
    .vgpr_spill_count: 0
    .wavefront_size: 32
    .workgroup_processor_mode: 1
  - .args:           []
    .group_segment_fixed_size: 0
    .kernarg_segment_align: 4
    .kernarg_segment_size: 0
    .language:       OpenCL C
    .language_version:
      - 2
      - 0
    .max_flat_workgroup_size: 1024
    .name:           _ZN7rocprim17ROCPRIM_400000_NS6detail44device_merge_sort_compile_time_verifier_archINS1_11comp_targetILNS1_3genE8ELNS1_11target_archE1030ELNS1_3gpuE2ELNS1_3repE0EEES8_NS0_14default_configES9_NS1_37merge_sort_block_sort_config_selectorIjNS0_10empty_typeEEENS1_38merge_sort_block_merge_config_selectorIjSB_EEEEvv
    .private_segment_fixed_size: 0
    .sgpr_count:     0
    .sgpr_spill_count: 0
    .symbol:         _ZN7rocprim17ROCPRIM_400000_NS6detail44device_merge_sort_compile_time_verifier_archINS1_11comp_targetILNS1_3genE8ELNS1_11target_archE1030ELNS1_3gpuE2ELNS1_3repE0EEES8_NS0_14default_configES9_NS1_37merge_sort_block_sort_config_selectorIjNS0_10empty_typeEEENS1_38merge_sort_block_merge_config_selectorIjSB_EEEEvv.kd
    .uniform_work_group_size: 1
    .uses_dynamic_stack: false
    .vgpr_count:     0
    .vgpr_spill_count: 0
    .wavefront_size: 32
    .workgroup_processor_mode: 1
  - .args:
      - .offset:         0
        .size:           64
        .value_kind:     by_value
    .group_segment_fixed_size: 0
    .kernarg_segment_align: 8
    .kernarg_segment_size: 64
    .language:       OpenCL C
    .language_version:
      - 2
      - 0
    .max_flat_workgroup_size: 256
    .name:           _ZN7rocprim17ROCPRIM_400000_NS6detail17trampoline_kernelINS0_14default_configENS1_37merge_sort_block_sort_config_selectorIjNS0_10empty_typeEEEZNS1_21merge_sort_block_sortIS3_N6thrust23THRUST_200600_302600_NS6detail15normal_iteratorINS9_10device_ptrIjEEEESE_PS5_SF_11less_div_10IjEEE10hipError_tT0_T1_T2_T3_mRjT4_P12ihipStream_tbNS1_7vsmem_tEEUlT_E_NS1_11comp_targetILNS1_3genE0ELNS1_11target_archE4294967295ELNS1_3gpuE0ELNS1_3repE0EEENS1_30default_config_static_selectorELNS0_4arch9wavefront6targetE0EEEvSK_
    .private_segment_fixed_size: 0
    .sgpr_count:     0
    .sgpr_spill_count: 0
    .symbol:         _ZN7rocprim17ROCPRIM_400000_NS6detail17trampoline_kernelINS0_14default_configENS1_37merge_sort_block_sort_config_selectorIjNS0_10empty_typeEEEZNS1_21merge_sort_block_sortIS3_N6thrust23THRUST_200600_302600_NS6detail15normal_iteratorINS9_10device_ptrIjEEEESE_PS5_SF_11less_div_10IjEEE10hipError_tT0_T1_T2_T3_mRjT4_P12ihipStream_tbNS1_7vsmem_tEEUlT_E_NS1_11comp_targetILNS1_3genE0ELNS1_11target_archE4294967295ELNS1_3gpuE0ELNS1_3repE0EEENS1_30default_config_static_selectorELNS0_4arch9wavefront6targetE0EEEvSK_.kd
    .uniform_work_group_size: 1
    .uses_dynamic_stack: false
    .vgpr_count:     0
    .vgpr_spill_count: 0
    .wavefront_size: 32
    .workgroup_processor_mode: 1
  - .args:
      - .offset:         0
        .size:           64
        .value_kind:     by_value
    .group_segment_fixed_size: 0
    .kernarg_segment_align: 8
    .kernarg_segment_size: 64
    .language:       OpenCL C
    .language_version:
      - 2
      - 0
    .max_flat_workgroup_size: 256
    .name:           _ZN7rocprim17ROCPRIM_400000_NS6detail17trampoline_kernelINS0_14default_configENS1_37merge_sort_block_sort_config_selectorIjNS0_10empty_typeEEEZNS1_21merge_sort_block_sortIS3_N6thrust23THRUST_200600_302600_NS6detail15normal_iteratorINS9_10device_ptrIjEEEESE_PS5_SF_11less_div_10IjEEE10hipError_tT0_T1_T2_T3_mRjT4_P12ihipStream_tbNS1_7vsmem_tEEUlT_E_NS1_11comp_targetILNS1_3genE5ELNS1_11target_archE942ELNS1_3gpuE9ELNS1_3repE0EEENS1_30default_config_static_selectorELNS0_4arch9wavefront6targetE0EEEvSK_
    .private_segment_fixed_size: 0
    .sgpr_count:     0
    .sgpr_spill_count: 0
    .symbol:         _ZN7rocprim17ROCPRIM_400000_NS6detail17trampoline_kernelINS0_14default_configENS1_37merge_sort_block_sort_config_selectorIjNS0_10empty_typeEEEZNS1_21merge_sort_block_sortIS3_N6thrust23THRUST_200600_302600_NS6detail15normal_iteratorINS9_10device_ptrIjEEEESE_PS5_SF_11less_div_10IjEEE10hipError_tT0_T1_T2_T3_mRjT4_P12ihipStream_tbNS1_7vsmem_tEEUlT_E_NS1_11comp_targetILNS1_3genE5ELNS1_11target_archE942ELNS1_3gpuE9ELNS1_3repE0EEENS1_30default_config_static_selectorELNS0_4arch9wavefront6targetE0EEEvSK_.kd
    .uniform_work_group_size: 1
    .uses_dynamic_stack: false
    .vgpr_count:     0
    .vgpr_spill_count: 0
    .wavefront_size: 32
    .workgroup_processor_mode: 1
  - .args:
      - .offset:         0
        .size:           64
        .value_kind:     by_value
    .group_segment_fixed_size: 0
    .kernarg_segment_align: 8
    .kernarg_segment_size: 64
    .language:       OpenCL C
    .language_version:
      - 2
      - 0
    .max_flat_workgroup_size: 256
    .name:           _ZN7rocprim17ROCPRIM_400000_NS6detail17trampoline_kernelINS0_14default_configENS1_37merge_sort_block_sort_config_selectorIjNS0_10empty_typeEEEZNS1_21merge_sort_block_sortIS3_N6thrust23THRUST_200600_302600_NS6detail15normal_iteratorINS9_10device_ptrIjEEEESE_PS5_SF_11less_div_10IjEEE10hipError_tT0_T1_T2_T3_mRjT4_P12ihipStream_tbNS1_7vsmem_tEEUlT_E_NS1_11comp_targetILNS1_3genE4ELNS1_11target_archE910ELNS1_3gpuE8ELNS1_3repE0EEENS1_30default_config_static_selectorELNS0_4arch9wavefront6targetE0EEEvSK_
    .private_segment_fixed_size: 0
    .sgpr_count:     0
    .sgpr_spill_count: 0
    .symbol:         _ZN7rocprim17ROCPRIM_400000_NS6detail17trampoline_kernelINS0_14default_configENS1_37merge_sort_block_sort_config_selectorIjNS0_10empty_typeEEEZNS1_21merge_sort_block_sortIS3_N6thrust23THRUST_200600_302600_NS6detail15normal_iteratorINS9_10device_ptrIjEEEESE_PS5_SF_11less_div_10IjEEE10hipError_tT0_T1_T2_T3_mRjT4_P12ihipStream_tbNS1_7vsmem_tEEUlT_E_NS1_11comp_targetILNS1_3genE4ELNS1_11target_archE910ELNS1_3gpuE8ELNS1_3repE0EEENS1_30default_config_static_selectorELNS0_4arch9wavefront6targetE0EEEvSK_.kd
    .uniform_work_group_size: 1
    .uses_dynamic_stack: false
    .vgpr_count:     0
    .vgpr_spill_count: 0
    .wavefront_size: 32
    .workgroup_processor_mode: 1
  - .args:
      - .offset:         0
        .size:           64
        .value_kind:     by_value
    .group_segment_fixed_size: 0
    .kernarg_segment_align: 8
    .kernarg_segment_size: 64
    .language:       OpenCL C
    .language_version:
      - 2
      - 0
    .max_flat_workgroup_size: 256
    .name:           _ZN7rocprim17ROCPRIM_400000_NS6detail17trampoline_kernelINS0_14default_configENS1_37merge_sort_block_sort_config_selectorIjNS0_10empty_typeEEEZNS1_21merge_sort_block_sortIS3_N6thrust23THRUST_200600_302600_NS6detail15normal_iteratorINS9_10device_ptrIjEEEESE_PS5_SF_11less_div_10IjEEE10hipError_tT0_T1_T2_T3_mRjT4_P12ihipStream_tbNS1_7vsmem_tEEUlT_E_NS1_11comp_targetILNS1_3genE3ELNS1_11target_archE908ELNS1_3gpuE7ELNS1_3repE0EEENS1_30default_config_static_selectorELNS0_4arch9wavefront6targetE0EEEvSK_
    .private_segment_fixed_size: 0
    .sgpr_count:     0
    .sgpr_spill_count: 0
    .symbol:         _ZN7rocprim17ROCPRIM_400000_NS6detail17trampoline_kernelINS0_14default_configENS1_37merge_sort_block_sort_config_selectorIjNS0_10empty_typeEEEZNS1_21merge_sort_block_sortIS3_N6thrust23THRUST_200600_302600_NS6detail15normal_iteratorINS9_10device_ptrIjEEEESE_PS5_SF_11less_div_10IjEEE10hipError_tT0_T1_T2_T3_mRjT4_P12ihipStream_tbNS1_7vsmem_tEEUlT_E_NS1_11comp_targetILNS1_3genE3ELNS1_11target_archE908ELNS1_3gpuE7ELNS1_3repE0EEENS1_30default_config_static_selectorELNS0_4arch9wavefront6targetE0EEEvSK_.kd
    .uniform_work_group_size: 1
    .uses_dynamic_stack: false
    .vgpr_count:     0
    .vgpr_spill_count: 0
    .wavefront_size: 32
    .workgroup_processor_mode: 1
  - .args:
      - .offset:         0
        .size:           64
        .value_kind:     by_value
    .group_segment_fixed_size: 0
    .kernarg_segment_align: 8
    .kernarg_segment_size: 64
    .language:       OpenCL C
    .language_version:
      - 2
      - 0
    .max_flat_workgroup_size: 256
    .name:           _ZN7rocprim17ROCPRIM_400000_NS6detail17trampoline_kernelINS0_14default_configENS1_37merge_sort_block_sort_config_selectorIjNS0_10empty_typeEEEZNS1_21merge_sort_block_sortIS3_N6thrust23THRUST_200600_302600_NS6detail15normal_iteratorINS9_10device_ptrIjEEEESE_PS5_SF_11less_div_10IjEEE10hipError_tT0_T1_T2_T3_mRjT4_P12ihipStream_tbNS1_7vsmem_tEEUlT_E_NS1_11comp_targetILNS1_3genE2ELNS1_11target_archE906ELNS1_3gpuE6ELNS1_3repE0EEENS1_30default_config_static_selectorELNS0_4arch9wavefront6targetE0EEEvSK_
    .private_segment_fixed_size: 0
    .sgpr_count:     0
    .sgpr_spill_count: 0
    .symbol:         _ZN7rocprim17ROCPRIM_400000_NS6detail17trampoline_kernelINS0_14default_configENS1_37merge_sort_block_sort_config_selectorIjNS0_10empty_typeEEEZNS1_21merge_sort_block_sortIS3_N6thrust23THRUST_200600_302600_NS6detail15normal_iteratorINS9_10device_ptrIjEEEESE_PS5_SF_11less_div_10IjEEE10hipError_tT0_T1_T2_T3_mRjT4_P12ihipStream_tbNS1_7vsmem_tEEUlT_E_NS1_11comp_targetILNS1_3genE2ELNS1_11target_archE906ELNS1_3gpuE6ELNS1_3repE0EEENS1_30default_config_static_selectorELNS0_4arch9wavefront6targetE0EEEvSK_.kd
    .uniform_work_group_size: 1
    .uses_dynamic_stack: false
    .vgpr_count:     0
    .vgpr_spill_count: 0
    .wavefront_size: 32
    .workgroup_processor_mode: 1
  - .args:
      - .offset:         0
        .size:           64
        .value_kind:     by_value
    .group_segment_fixed_size: 0
    .kernarg_segment_align: 8
    .kernarg_segment_size: 64
    .language:       OpenCL C
    .language_version:
      - 2
      - 0
    .max_flat_workgroup_size: 256
    .name:           _ZN7rocprim17ROCPRIM_400000_NS6detail17trampoline_kernelINS0_14default_configENS1_37merge_sort_block_sort_config_selectorIjNS0_10empty_typeEEEZNS1_21merge_sort_block_sortIS3_N6thrust23THRUST_200600_302600_NS6detail15normal_iteratorINS9_10device_ptrIjEEEESE_PS5_SF_11less_div_10IjEEE10hipError_tT0_T1_T2_T3_mRjT4_P12ihipStream_tbNS1_7vsmem_tEEUlT_E_NS1_11comp_targetILNS1_3genE10ELNS1_11target_archE1201ELNS1_3gpuE5ELNS1_3repE0EEENS1_30default_config_static_selectorELNS0_4arch9wavefront6targetE0EEEvSK_
    .private_segment_fixed_size: 0
    .sgpr_count:     0
    .sgpr_spill_count: 0
    .symbol:         _ZN7rocprim17ROCPRIM_400000_NS6detail17trampoline_kernelINS0_14default_configENS1_37merge_sort_block_sort_config_selectorIjNS0_10empty_typeEEEZNS1_21merge_sort_block_sortIS3_N6thrust23THRUST_200600_302600_NS6detail15normal_iteratorINS9_10device_ptrIjEEEESE_PS5_SF_11less_div_10IjEEE10hipError_tT0_T1_T2_T3_mRjT4_P12ihipStream_tbNS1_7vsmem_tEEUlT_E_NS1_11comp_targetILNS1_3genE10ELNS1_11target_archE1201ELNS1_3gpuE5ELNS1_3repE0EEENS1_30default_config_static_selectorELNS0_4arch9wavefront6targetE0EEEvSK_.kd
    .uniform_work_group_size: 1
    .uses_dynamic_stack: false
    .vgpr_count:     0
    .vgpr_spill_count: 0
    .wavefront_size: 32
    .workgroup_processor_mode: 1
  - .args:
      - .offset:         0
        .size:           64
        .value_kind:     by_value
    .group_segment_fixed_size: 0
    .kernarg_segment_align: 8
    .kernarg_segment_size: 64
    .language:       OpenCL C
    .language_version:
      - 2
      - 0
    .max_flat_workgroup_size: 256
    .name:           _ZN7rocprim17ROCPRIM_400000_NS6detail17trampoline_kernelINS0_14default_configENS1_37merge_sort_block_sort_config_selectorIjNS0_10empty_typeEEEZNS1_21merge_sort_block_sortIS3_N6thrust23THRUST_200600_302600_NS6detail15normal_iteratorINS9_10device_ptrIjEEEESE_PS5_SF_11less_div_10IjEEE10hipError_tT0_T1_T2_T3_mRjT4_P12ihipStream_tbNS1_7vsmem_tEEUlT_E_NS1_11comp_targetILNS1_3genE10ELNS1_11target_archE1200ELNS1_3gpuE4ELNS1_3repE0EEENS1_30default_config_static_selectorELNS0_4arch9wavefront6targetE0EEEvSK_
    .private_segment_fixed_size: 0
    .sgpr_count:     0
    .sgpr_spill_count: 0
    .symbol:         _ZN7rocprim17ROCPRIM_400000_NS6detail17trampoline_kernelINS0_14default_configENS1_37merge_sort_block_sort_config_selectorIjNS0_10empty_typeEEEZNS1_21merge_sort_block_sortIS3_N6thrust23THRUST_200600_302600_NS6detail15normal_iteratorINS9_10device_ptrIjEEEESE_PS5_SF_11less_div_10IjEEE10hipError_tT0_T1_T2_T3_mRjT4_P12ihipStream_tbNS1_7vsmem_tEEUlT_E_NS1_11comp_targetILNS1_3genE10ELNS1_11target_archE1200ELNS1_3gpuE4ELNS1_3repE0EEENS1_30default_config_static_selectorELNS0_4arch9wavefront6targetE0EEEvSK_.kd
    .uniform_work_group_size: 1
    .uses_dynamic_stack: false
    .vgpr_count:     0
    .vgpr_spill_count: 0
    .wavefront_size: 32
    .workgroup_processor_mode: 1
  - .args:
      - .offset:         0
        .size:           64
        .value_kind:     by_value
    .group_segment_fixed_size: 0
    .kernarg_segment_align: 8
    .kernarg_segment_size: 64
    .language:       OpenCL C
    .language_version:
      - 2
      - 0
    .max_flat_workgroup_size: 256
    .name:           _ZN7rocprim17ROCPRIM_400000_NS6detail17trampoline_kernelINS0_14default_configENS1_37merge_sort_block_sort_config_selectorIjNS0_10empty_typeEEEZNS1_21merge_sort_block_sortIS3_N6thrust23THRUST_200600_302600_NS6detail15normal_iteratorINS9_10device_ptrIjEEEESE_PS5_SF_11less_div_10IjEEE10hipError_tT0_T1_T2_T3_mRjT4_P12ihipStream_tbNS1_7vsmem_tEEUlT_E_NS1_11comp_targetILNS1_3genE9ELNS1_11target_archE1100ELNS1_3gpuE3ELNS1_3repE0EEENS1_30default_config_static_selectorELNS0_4arch9wavefront6targetE0EEEvSK_
    .private_segment_fixed_size: 0
    .sgpr_count:     0
    .sgpr_spill_count: 0
    .symbol:         _ZN7rocprim17ROCPRIM_400000_NS6detail17trampoline_kernelINS0_14default_configENS1_37merge_sort_block_sort_config_selectorIjNS0_10empty_typeEEEZNS1_21merge_sort_block_sortIS3_N6thrust23THRUST_200600_302600_NS6detail15normal_iteratorINS9_10device_ptrIjEEEESE_PS5_SF_11less_div_10IjEEE10hipError_tT0_T1_T2_T3_mRjT4_P12ihipStream_tbNS1_7vsmem_tEEUlT_E_NS1_11comp_targetILNS1_3genE9ELNS1_11target_archE1100ELNS1_3gpuE3ELNS1_3repE0EEENS1_30default_config_static_selectorELNS0_4arch9wavefront6targetE0EEEvSK_.kd
    .uniform_work_group_size: 1
    .uses_dynamic_stack: false
    .vgpr_count:     0
    .vgpr_spill_count: 0
    .wavefront_size: 32
    .workgroup_processor_mode: 1
  - .args:
      - .offset:         0
        .size:           64
        .value_kind:     by_value
      - .offset:         64
        .size:           4
        .value_kind:     hidden_block_count_x
      - .offset:         68
        .size:           4
        .value_kind:     hidden_block_count_y
      - .offset:         72
        .size:           4
        .value_kind:     hidden_block_count_z
      - .offset:         76
        .size:           2
        .value_kind:     hidden_group_size_x
      - .offset:         78
        .size:           2
        .value_kind:     hidden_group_size_y
      - .offset:         80
        .size:           2
        .value_kind:     hidden_group_size_z
      - .offset:         82
        .size:           2
        .value_kind:     hidden_remainder_x
      - .offset:         84
        .size:           2
        .value_kind:     hidden_remainder_y
      - .offset:         86
        .size:           2
        .value_kind:     hidden_remainder_z
      - .offset:         104
        .size:           8
        .value_kind:     hidden_global_offset_x
      - .offset:         112
        .size:           8
        .value_kind:     hidden_global_offset_y
      - .offset:         120
        .size:           8
        .value_kind:     hidden_global_offset_z
      - .offset:         128
        .size:           2
        .value_kind:     hidden_grid_dims
    .group_segment_fixed_size: 8448
    .kernarg_segment_align: 8
    .kernarg_segment_size: 320
    .language:       OpenCL C
    .language_version:
      - 2
      - 0
    .max_flat_workgroup_size: 256
    .name:           _ZN7rocprim17ROCPRIM_400000_NS6detail17trampoline_kernelINS0_14default_configENS1_37merge_sort_block_sort_config_selectorIjNS0_10empty_typeEEEZNS1_21merge_sort_block_sortIS3_N6thrust23THRUST_200600_302600_NS6detail15normal_iteratorINS9_10device_ptrIjEEEESE_PS5_SF_11less_div_10IjEEE10hipError_tT0_T1_T2_T3_mRjT4_P12ihipStream_tbNS1_7vsmem_tEEUlT_E_NS1_11comp_targetILNS1_3genE8ELNS1_11target_archE1030ELNS1_3gpuE2ELNS1_3repE0EEENS1_30default_config_static_selectorELNS0_4arch9wavefront6targetE0EEEvSK_
    .private_segment_fixed_size: 0
    .sgpr_count:     24
    .sgpr_spill_count: 0
    .symbol:         _ZN7rocprim17ROCPRIM_400000_NS6detail17trampoline_kernelINS0_14default_configENS1_37merge_sort_block_sort_config_selectorIjNS0_10empty_typeEEEZNS1_21merge_sort_block_sortIS3_N6thrust23THRUST_200600_302600_NS6detail15normal_iteratorINS9_10device_ptrIjEEEESE_PS5_SF_11less_div_10IjEEE10hipError_tT0_T1_T2_T3_mRjT4_P12ihipStream_tbNS1_7vsmem_tEEUlT_E_NS1_11comp_targetILNS1_3genE8ELNS1_11target_archE1030ELNS1_3gpuE2ELNS1_3repE0EEENS1_30default_config_static_selectorELNS0_4arch9wavefront6targetE0EEEvSK_.kd
    .uniform_work_group_size: 1
    .uses_dynamic_stack: false
    .vgpr_count:     50
    .vgpr_spill_count: 0
    .wavefront_size: 32
    .workgroup_processor_mode: 1
  - .args:
      - .offset:         0
        .size:           48
        .value_kind:     by_value
    .group_segment_fixed_size: 0
    .kernarg_segment_align: 8
    .kernarg_segment_size: 48
    .language:       OpenCL C
    .language_version:
      - 2
      - 0
    .max_flat_workgroup_size: 128
    .name:           _ZN7rocprim17ROCPRIM_400000_NS6detail17trampoline_kernelINS0_14default_configENS1_38merge_sort_block_merge_config_selectorIjNS0_10empty_typeEEEZZNS1_27merge_sort_block_merge_implIS3_N6thrust23THRUST_200600_302600_NS6detail15normal_iteratorINS9_10device_ptrIjEEEEPS5_m11less_div_10IjEEE10hipError_tT0_T1_T2_jT3_P12ihipStream_tbPNSt15iterator_traitsISJ_E10value_typeEPNSP_ISK_E10value_typeEPSL_NS1_7vsmem_tEENKUlT_SJ_SK_SL_E_clIPjSE_SF_SF_EESI_SY_SJ_SK_SL_EUlSY_E_NS1_11comp_targetILNS1_3genE0ELNS1_11target_archE4294967295ELNS1_3gpuE0ELNS1_3repE0EEENS1_48merge_mergepath_partition_config_static_selectorELNS0_4arch9wavefront6targetE0EEEvSK_
    .private_segment_fixed_size: 0
    .sgpr_count:     0
    .sgpr_spill_count: 0
    .symbol:         _ZN7rocprim17ROCPRIM_400000_NS6detail17trampoline_kernelINS0_14default_configENS1_38merge_sort_block_merge_config_selectorIjNS0_10empty_typeEEEZZNS1_27merge_sort_block_merge_implIS3_N6thrust23THRUST_200600_302600_NS6detail15normal_iteratorINS9_10device_ptrIjEEEEPS5_m11less_div_10IjEEE10hipError_tT0_T1_T2_jT3_P12ihipStream_tbPNSt15iterator_traitsISJ_E10value_typeEPNSP_ISK_E10value_typeEPSL_NS1_7vsmem_tEENKUlT_SJ_SK_SL_E_clIPjSE_SF_SF_EESI_SY_SJ_SK_SL_EUlSY_E_NS1_11comp_targetILNS1_3genE0ELNS1_11target_archE4294967295ELNS1_3gpuE0ELNS1_3repE0EEENS1_48merge_mergepath_partition_config_static_selectorELNS0_4arch9wavefront6targetE0EEEvSK_.kd
    .uniform_work_group_size: 1
    .uses_dynamic_stack: false
    .vgpr_count:     0
    .vgpr_spill_count: 0
    .wavefront_size: 32
    .workgroup_processor_mode: 1
  - .args:
      - .offset:         0
        .size:           48
        .value_kind:     by_value
    .group_segment_fixed_size: 0
    .kernarg_segment_align: 8
    .kernarg_segment_size: 48
    .language:       OpenCL C
    .language_version:
      - 2
      - 0
    .max_flat_workgroup_size: 128
    .name:           _ZN7rocprim17ROCPRIM_400000_NS6detail17trampoline_kernelINS0_14default_configENS1_38merge_sort_block_merge_config_selectorIjNS0_10empty_typeEEEZZNS1_27merge_sort_block_merge_implIS3_N6thrust23THRUST_200600_302600_NS6detail15normal_iteratorINS9_10device_ptrIjEEEEPS5_m11less_div_10IjEEE10hipError_tT0_T1_T2_jT3_P12ihipStream_tbPNSt15iterator_traitsISJ_E10value_typeEPNSP_ISK_E10value_typeEPSL_NS1_7vsmem_tEENKUlT_SJ_SK_SL_E_clIPjSE_SF_SF_EESI_SY_SJ_SK_SL_EUlSY_E_NS1_11comp_targetILNS1_3genE10ELNS1_11target_archE1201ELNS1_3gpuE5ELNS1_3repE0EEENS1_48merge_mergepath_partition_config_static_selectorELNS0_4arch9wavefront6targetE0EEEvSK_
    .private_segment_fixed_size: 0
    .sgpr_count:     0
    .sgpr_spill_count: 0
    .symbol:         _ZN7rocprim17ROCPRIM_400000_NS6detail17trampoline_kernelINS0_14default_configENS1_38merge_sort_block_merge_config_selectorIjNS0_10empty_typeEEEZZNS1_27merge_sort_block_merge_implIS3_N6thrust23THRUST_200600_302600_NS6detail15normal_iteratorINS9_10device_ptrIjEEEEPS5_m11less_div_10IjEEE10hipError_tT0_T1_T2_jT3_P12ihipStream_tbPNSt15iterator_traitsISJ_E10value_typeEPNSP_ISK_E10value_typeEPSL_NS1_7vsmem_tEENKUlT_SJ_SK_SL_E_clIPjSE_SF_SF_EESI_SY_SJ_SK_SL_EUlSY_E_NS1_11comp_targetILNS1_3genE10ELNS1_11target_archE1201ELNS1_3gpuE5ELNS1_3repE0EEENS1_48merge_mergepath_partition_config_static_selectorELNS0_4arch9wavefront6targetE0EEEvSK_.kd
    .uniform_work_group_size: 1
    .uses_dynamic_stack: false
    .vgpr_count:     0
    .vgpr_spill_count: 0
    .wavefront_size: 32
    .workgroup_processor_mode: 1
  - .args:
      - .offset:         0
        .size:           48
        .value_kind:     by_value
    .group_segment_fixed_size: 0
    .kernarg_segment_align: 8
    .kernarg_segment_size: 48
    .language:       OpenCL C
    .language_version:
      - 2
      - 0
    .max_flat_workgroup_size: 128
    .name:           _ZN7rocprim17ROCPRIM_400000_NS6detail17trampoline_kernelINS0_14default_configENS1_38merge_sort_block_merge_config_selectorIjNS0_10empty_typeEEEZZNS1_27merge_sort_block_merge_implIS3_N6thrust23THRUST_200600_302600_NS6detail15normal_iteratorINS9_10device_ptrIjEEEEPS5_m11less_div_10IjEEE10hipError_tT0_T1_T2_jT3_P12ihipStream_tbPNSt15iterator_traitsISJ_E10value_typeEPNSP_ISK_E10value_typeEPSL_NS1_7vsmem_tEENKUlT_SJ_SK_SL_E_clIPjSE_SF_SF_EESI_SY_SJ_SK_SL_EUlSY_E_NS1_11comp_targetILNS1_3genE5ELNS1_11target_archE942ELNS1_3gpuE9ELNS1_3repE0EEENS1_48merge_mergepath_partition_config_static_selectorELNS0_4arch9wavefront6targetE0EEEvSK_
    .private_segment_fixed_size: 0
    .sgpr_count:     0
    .sgpr_spill_count: 0
    .symbol:         _ZN7rocprim17ROCPRIM_400000_NS6detail17trampoline_kernelINS0_14default_configENS1_38merge_sort_block_merge_config_selectorIjNS0_10empty_typeEEEZZNS1_27merge_sort_block_merge_implIS3_N6thrust23THRUST_200600_302600_NS6detail15normal_iteratorINS9_10device_ptrIjEEEEPS5_m11less_div_10IjEEE10hipError_tT0_T1_T2_jT3_P12ihipStream_tbPNSt15iterator_traitsISJ_E10value_typeEPNSP_ISK_E10value_typeEPSL_NS1_7vsmem_tEENKUlT_SJ_SK_SL_E_clIPjSE_SF_SF_EESI_SY_SJ_SK_SL_EUlSY_E_NS1_11comp_targetILNS1_3genE5ELNS1_11target_archE942ELNS1_3gpuE9ELNS1_3repE0EEENS1_48merge_mergepath_partition_config_static_selectorELNS0_4arch9wavefront6targetE0EEEvSK_.kd
    .uniform_work_group_size: 1
    .uses_dynamic_stack: false
    .vgpr_count:     0
    .vgpr_spill_count: 0
    .wavefront_size: 32
    .workgroup_processor_mode: 1
  - .args:
      - .offset:         0
        .size:           48
        .value_kind:     by_value
    .group_segment_fixed_size: 0
    .kernarg_segment_align: 8
    .kernarg_segment_size: 48
    .language:       OpenCL C
    .language_version:
      - 2
      - 0
    .max_flat_workgroup_size: 128
    .name:           _ZN7rocprim17ROCPRIM_400000_NS6detail17trampoline_kernelINS0_14default_configENS1_38merge_sort_block_merge_config_selectorIjNS0_10empty_typeEEEZZNS1_27merge_sort_block_merge_implIS3_N6thrust23THRUST_200600_302600_NS6detail15normal_iteratorINS9_10device_ptrIjEEEEPS5_m11less_div_10IjEEE10hipError_tT0_T1_T2_jT3_P12ihipStream_tbPNSt15iterator_traitsISJ_E10value_typeEPNSP_ISK_E10value_typeEPSL_NS1_7vsmem_tEENKUlT_SJ_SK_SL_E_clIPjSE_SF_SF_EESI_SY_SJ_SK_SL_EUlSY_E_NS1_11comp_targetILNS1_3genE4ELNS1_11target_archE910ELNS1_3gpuE8ELNS1_3repE0EEENS1_48merge_mergepath_partition_config_static_selectorELNS0_4arch9wavefront6targetE0EEEvSK_
    .private_segment_fixed_size: 0
    .sgpr_count:     0
    .sgpr_spill_count: 0
    .symbol:         _ZN7rocprim17ROCPRIM_400000_NS6detail17trampoline_kernelINS0_14default_configENS1_38merge_sort_block_merge_config_selectorIjNS0_10empty_typeEEEZZNS1_27merge_sort_block_merge_implIS3_N6thrust23THRUST_200600_302600_NS6detail15normal_iteratorINS9_10device_ptrIjEEEEPS5_m11less_div_10IjEEE10hipError_tT0_T1_T2_jT3_P12ihipStream_tbPNSt15iterator_traitsISJ_E10value_typeEPNSP_ISK_E10value_typeEPSL_NS1_7vsmem_tEENKUlT_SJ_SK_SL_E_clIPjSE_SF_SF_EESI_SY_SJ_SK_SL_EUlSY_E_NS1_11comp_targetILNS1_3genE4ELNS1_11target_archE910ELNS1_3gpuE8ELNS1_3repE0EEENS1_48merge_mergepath_partition_config_static_selectorELNS0_4arch9wavefront6targetE0EEEvSK_.kd
    .uniform_work_group_size: 1
    .uses_dynamic_stack: false
    .vgpr_count:     0
    .vgpr_spill_count: 0
    .wavefront_size: 32
    .workgroup_processor_mode: 1
  - .args:
      - .offset:         0
        .size:           48
        .value_kind:     by_value
    .group_segment_fixed_size: 0
    .kernarg_segment_align: 8
    .kernarg_segment_size: 48
    .language:       OpenCL C
    .language_version:
      - 2
      - 0
    .max_flat_workgroup_size: 128
    .name:           _ZN7rocprim17ROCPRIM_400000_NS6detail17trampoline_kernelINS0_14default_configENS1_38merge_sort_block_merge_config_selectorIjNS0_10empty_typeEEEZZNS1_27merge_sort_block_merge_implIS3_N6thrust23THRUST_200600_302600_NS6detail15normal_iteratorINS9_10device_ptrIjEEEEPS5_m11less_div_10IjEEE10hipError_tT0_T1_T2_jT3_P12ihipStream_tbPNSt15iterator_traitsISJ_E10value_typeEPNSP_ISK_E10value_typeEPSL_NS1_7vsmem_tEENKUlT_SJ_SK_SL_E_clIPjSE_SF_SF_EESI_SY_SJ_SK_SL_EUlSY_E_NS1_11comp_targetILNS1_3genE3ELNS1_11target_archE908ELNS1_3gpuE7ELNS1_3repE0EEENS1_48merge_mergepath_partition_config_static_selectorELNS0_4arch9wavefront6targetE0EEEvSK_
    .private_segment_fixed_size: 0
    .sgpr_count:     0
    .sgpr_spill_count: 0
    .symbol:         _ZN7rocprim17ROCPRIM_400000_NS6detail17trampoline_kernelINS0_14default_configENS1_38merge_sort_block_merge_config_selectorIjNS0_10empty_typeEEEZZNS1_27merge_sort_block_merge_implIS3_N6thrust23THRUST_200600_302600_NS6detail15normal_iteratorINS9_10device_ptrIjEEEEPS5_m11less_div_10IjEEE10hipError_tT0_T1_T2_jT3_P12ihipStream_tbPNSt15iterator_traitsISJ_E10value_typeEPNSP_ISK_E10value_typeEPSL_NS1_7vsmem_tEENKUlT_SJ_SK_SL_E_clIPjSE_SF_SF_EESI_SY_SJ_SK_SL_EUlSY_E_NS1_11comp_targetILNS1_3genE3ELNS1_11target_archE908ELNS1_3gpuE7ELNS1_3repE0EEENS1_48merge_mergepath_partition_config_static_selectorELNS0_4arch9wavefront6targetE0EEEvSK_.kd
    .uniform_work_group_size: 1
    .uses_dynamic_stack: false
    .vgpr_count:     0
    .vgpr_spill_count: 0
    .wavefront_size: 32
    .workgroup_processor_mode: 1
  - .args:
      - .offset:         0
        .size:           48
        .value_kind:     by_value
    .group_segment_fixed_size: 0
    .kernarg_segment_align: 8
    .kernarg_segment_size: 48
    .language:       OpenCL C
    .language_version:
      - 2
      - 0
    .max_flat_workgroup_size: 128
    .name:           _ZN7rocprim17ROCPRIM_400000_NS6detail17trampoline_kernelINS0_14default_configENS1_38merge_sort_block_merge_config_selectorIjNS0_10empty_typeEEEZZNS1_27merge_sort_block_merge_implIS3_N6thrust23THRUST_200600_302600_NS6detail15normal_iteratorINS9_10device_ptrIjEEEEPS5_m11less_div_10IjEEE10hipError_tT0_T1_T2_jT3_P12ihipStream_tbPNSt15iterator_traitsISJ_E10value_typeEPNSP_ISK_E10value_typeEPSL_NS1_7vsmem_tEENKUlT_SJ_SK_SL_E_clIPjSE_SF_SF_EESI_SY_SJ_SK_SL_EUlSY_E_NS1_11comp_targetILNS1_3genE2ELNS1_11target_archE906ELNS1_3gpuE6ELNS1_3repE0EEENS1_48merge_mergepath_partition_config_static_selectorELNS0_4arch9wavefront6targetE0EEEvSK_
    .private_segment_fixed_size: 0
    .sgpr_count:     0
    .sgpr_spill_count: 0
    .symbol:         _ZN7rocprim17ROCPRIM_400000_NS6detail17trampoline_kernelINS0_14default_configENS1_38merge_sort_block_merge_config_selectorIjNS0_10empty_typeEEEZZNS1_27merge_sort_block_merge_implIS3_N6thrust23THRUST_200600_302600_NS6detail15normal_iteratorINS9_10device_ptrIjEEEEPS5_m11less_div_10IjEEE10hipError_tT0_T1_T2_jT3_P12ihipStream_tbPNSt15iterator_traitsISJ_E10value_typeEPNSP_ISK_E10value_typeEPSL_NS1_7vsmem_tEENKUlT_SJ_SK_SL_E_clIPjSE_SF_SF_EESI_SY_SJ_SK_SL_EUlSY_E_NS1_11comp_targetILNS1_3genE2ELNS1_11target_archE906ELNS1_3gpuE6ELNS1_3repE0EEENS1_48merge_mergepath_partition_config_static_selectorELNS0_4arch9wavefront6targetE0EEEvSK_.kd
    .uniform_work_group_size: 1
    .uses_dynamic_stack: false
    .vgpr_count:     0
    .vgpr_spill_count: 0
    .wavefront_size: 32
    .workgroup_processor_mode: 1
  - .args:
      - .offset:         0
        .size:           48
        .value_kind:     by_value
    .group_segment_fixed_size: 0
    .kernarg_segment_align: 8
    .kernarg_segment_size: 48
    .language:       OpenCL C
    .language_version:
      - 2
      - 0
    .max_flat_workgroup_size: 128
    .name:           _ZN7rocprim17ROCPRIM_400000_NS6detail17trampoline_kernelINS0_14default_configENS1_38merge_sort_block_merge_config_selectorIjNS0_10empty_typeEEEZZNS1_27merge_sort_block_merge_implIS3_N6thrust23THRUST_200600_302600_NS6detail15normal_iteratorINS9_10device_ptrIjEEEEPS5_m11less_div_10IjEEE10hipError_tT0_T1_T2_jT3_P12ihipStream_tbPNSt15iterator_traitsISJ_E10value_typeEPNSP_ISK_E10value_typeEPSL_NS1_7vsmem_tEENKUlT_SJ_SK_SL_E_clIPjSE_SF_SF_EESI_SY_SJ_SK_SL_EUlSY_E_NS1_11comp_targetILNS1_3genE9ELNS1_11target_archE1100ELNS1_3gpuE3ELNS1_3repE0EEENS1_48merge_mergepath_partition_config_static_selectorELNS0_4arch9wavefront6targetE0EEEvSK_
    .private_segment_fixed_size: 0
    .sgpr_count:     0
    .sgpr_spill_count: 0
    .symbol:         _ZN7rocprim17ROCPRIM_400000_NS6detail17trampoline_kernelINS0_14default_configENS1_38merge_sort_block_merge_config_selectorIjNS0_10empty_typeEEEZZNS1_27merge_sort_block_merge_implIS3_N6thrust23THRUST_200600_302600_NS6detail15normal_iteratorINS9_10device_ptrIjEEEEPS5_m11less_div_10IjEEE10hipError_tT0_T1_T2_jT3_P12ihipStream_tbPNSt15iterator_traitsISJ_E10value_typeEPNSP_ISK_E10value_typeEPSL_NS1_7vsmem_tEENKUlT_SJ_SK_SL_E_clIPjSE_SF_SF_EESI_SY_SJ_SK_SL_EUlSY_E_NS1_11comp_targetILNS1_3genE9ELNS1_11target_archE1100ELNS1_3gpuE3ELNS1_3repE0EEENS1_48merge_mergepath_partition_config_static_selectorELNS0_4arch9wavefront6targetE0EEEvSK_.kd
    .uniform_work_group_size: 1
    .uses_dynamic_stack: false
    .vgpr_count:     0
    .vgpr_spill_count: 0
    .wavefront_size: 32
    .workgroup_processor_mode: 1
  - .args:
      - .offset:         0
        .size:           48
        .value_kind:     by_value
    .group_segment_fixed_size: 0
    .kernarg_segment_align: 8
    .kernarg_segment_size: 48
    .language:       OpenCL C
    .language_version:
      - 2
      - 0
    .max_flat_workgroup_size: 128
    .name:           _ZN7rocprim17ROCPRIM_400000_NS6detail17trampoline_kernelINS0_14default_configENS1_38merge_sort_block_merge_config_selectorIjNS0_10empty_typeEEEZZNS1_27merge_sort_block_merge_implIS3_N6thrust23THRUST_200600_302600_NS6detail15normal_iteratorINS9_10device_ptrIjEEEEPS5_m11less_div_10IjEEE10hipError_tT0_T1_T2_jT3_P12ihipStream_tbPNSt15iterator_traitsISJ_E10value_typeEPNSP_ISK_E10value_typeEPSL_NS1_7vsmem_tEENKUlT_SJ_SK_SL_E_clIPjSE_SF_SF_EESI_SY_SJ_SK_SL_EUlSY_E_NS1_11comp_targetILNS1_3genE8ELNS1_11target_archE1030ELNS1_3gpuE2ELNS1_3repE0EEENS1_48merge_mergepath_partition_config_static_selectorELNS0_4arch9wavefront6targetE0EEEvSK_
    .private_segment_fixed_size: 0
    .sgpr_count:     10
    .sgpr_spill_count: 0
    .symbol:         _ZN7rocprim17ROCPRIM_400000_NS6detail17trampoline_kernelINS0_14default_configENS1_38merge_sort_block_merge_config_selectorIjNS0_10empty_typeEEEZZNS1_27merge_sort_block_merge_implIS3_N6thrust23THRUST_200600_302600_NS6detail15normal_iteratorINS9_10device_ptrIjEEEEPS5_m11less_div_10IjEEE10hipError_tT0_T1_T2_jT3_P12ihipStream_tbPNSt15iterator_traitsISJ_E10value_typeEPNSP_ISK_E10value_typeEPSL_NS1_7vsmem_tEENKUlT_SJ_SK_SL_E_clIPjSE_SF_SF_EESI_SY_SJ_SK_SL_EUlSY_E_NS1_11comp_targetILNS1_3genE8ELNS1_11target_archE1030ELNS1_3gpuE2ELNS1_3repE0EEENS1_48merge_mergepath_partition_config_static_selectorELNS0_4arch9wavefront6targetE0EEEvSK_.kd
    .uniform_work_group_size: 1
    .uses_dynamic_stack: false
    .vgpr_count:     18
    .vgpr_spill_count: 0
    .wavefront_size: 32
    .workgroup_processor_mode: 1
  - .args:
      - .offset:         0
        .size:           72
        .value_kind:     by_value
    .group_segment_fixed_size: 0
    .kernarg_segment_align: 8
    .kernarg_segment_size: 72
    .language:       OpenCL C
    .language_version:
      - 2
      - 0
    .max_flat_workgroup_size: 128
    .name:           _ZN7rocprim17ROCPRIM_400000_NS6detail17trampoline_kernelINS0_14default_configENS1_38merge_sort_block_merge_config_selectorIjNS0_10empty_typeEEEZZNS1_27merge_sort_block_merge_implIS3_N6thrust23THRUST_200600_302600_NS6detail15normal_iteratorINS9_10device_ptrIjEEEEPS5_m11less_div_10IjEEE10hipError_tT0_T1_T2_jT3_P12ihipStream_tbPNSt15iterator_traitsISJ_E10value_typeEPNSP_ISK_E10value_typeEPSL_NS1_7vsmem_tEENKUlT_SJ_SK_SL_E_clIPjSE_SF_SF_EESI_SY_SJ_SK_SL_EUlSY_E0_NS1_11comp_targetILNS1_3genE0ELNS1_11target_archE4294967295ELNS1_3gpuE0ELNS1_3repE0EEENS1_38merge_mergepath_config_static_selectorELNS0_4arch9wavefront6targetE0EEEvSK_
    .private_segment_fixed_size: 0
    .sgpr_count:     0
    .sgpr_spill_count: 0
    .symbol:         _ZN7rocprim17ROCPRIM_400000_NS6detail17trampoline_kernelINS0_14default_configENS1_38merge_sort_block_merge_config_selectorIjNS0_10empty_typeEEEZZNS1_27merge_sort_block_merge_implIS3_N6thrust23THRUST_200600_302600_NS6detail15normal_iteratorINS9_10device_ptrIjEEEEPS5_m11less_div_10IjEEE10hipError_tT0_T1_T2_jT3_P12ihipStream_tbPNSt15iterator_traitsISJ_E10value_typeEPNSP_ISK_E10value_typeEPSL_NS1_7vsmem_tEENKUlT_SJ_SK_SL_E_clIPjSE_SF_SF_EESI_SY_SJ_SK_SL_EUlSY_E0_NS1_11comp_targetILNS1_3genE0ELNS1_11target_archE4294967295ELNS1_3gpuE0ELNS1_3repE0EEENS1_38merge_mergepath_config_static_selectorELNS0_4arch9wavefront6targetE0EEEvSK_.kd
    .uniform_work_group_size: 1
    .uses_dynamic_stack: false
    .vgpr_count:     0
    .vgpr_spill_count: 0
    .wavefront_size: 32
    .workgroup_processor_mode: 1
  - .args:
      - .offset:         0
        .size:           72
        .value_kind:     by_value
    .group_segment_fixed_size: 0
    .kernarg_segment_align: 8
    .kernarg_segment_size: 72
    .language:       OpenCL C
    .language_version:
      - 2
      - 0
    .max_flat_workgroup_size: 256
    .name:           _ZN7rocprim17ROCPRIM_400000_NS6detail17trampoline_kernelINS0_14default_configENS1_38merge_sort_block_merge_config_selectorIjNS0_10empty_typeEEEZZNS1_27merge_sort_block_merge_implIS3_N6thrust23THRUST_200600_302600_NS6detail15normal_iteratorINS9_10device_ptrIjEEEEPS5_m11less_div_10IjEEE10hipError_tT0_T1_T2_jT3_P12ihipStream_tbPNSt15iterator_traitsISJ_E10value_typeEPNSP_ISK_E10value_typeEPSL_NS1_7vsmem_tEENKUlT_SJ_SK_SL_E_clIPjSE_SF_SF_EESI_SY_SJ_SK_SL_EUlSY_E0_NS1_11comp_targetILNS1_3genE10ELNS1_11target_archE1201ELNS1_3gpuE5ELNS1_3repE0EEENS1_38merge_mergepath_config_static_selectorELNS0_4arch9wavefront6targetE0EEEvSK_
    .private_segment_fixed_size: 0
    .sgpr_count:     0
    .sgpr_spill_count: 0
    .symbol:         _ZN7rocprim17ROCPRIM_400000_NS6detail17trampoline_kernelINS0_14default_configENS1_38merge_sort_block_merge_config_selectorIjNS0_10empty_typeEEEZZNS1_27merge_sort_block_merge_implIS3_N6thrust23THRUST_200600_302600_NS6detail15normal_iteratorINS9_10device_ptrIjEEEEPS5_m11less_div_10IjEEE10hipError_tT0_T1_T2_jT3_P12ihipStream_tbPNSt15iterator_traitsISJ_E10value_typeEPNSP_ISK_E10value_typeEPSL_NS1_7vsmem_tEENKUlT_SJ_SK_SL_E_clIPjSE_SF_SF_EESI_SY_SJ_SK_SL_EUlSY_E0_NS1_11comp_targetILNS1_3genE10ELNS1_11target_archE1201ELNS1_3gpuE5ELNS1_3repE0EEENS1_38merge_mergepath_config_static_selectorELNS0_4arch9wavefront6targetE0EEEvSK_.kd
    .uniform_work_group_size: 1
    .uses_dynamic_stack: false
    .vgpr_count:     0
    .vgpr_spill_count: 0
    .wavefront_size: 32
    .workgroup_processor_mode: 1
  - .args:
      - .offset:         0
        .size:           72
        .value_kind:     by_value
    .group_segment_fixed_size: 0
    .kernarg_segment_align: 8
    .kernarg_segment_size: 72
    .language:       OpenCL C
    .language_version:
      - 2
      - 0
    .max_flat_workgroup_size: 128
    .name:           _ZN7rocprim17ROCPRIM_400000_NS6detail17trampoline_kernelINS0_14default_configENS1_38merge_sort_block_merge_config_selectorIjNS0_10empty_typeEEEZZNS1_27merge_sort_block_merge_implIS3_N6thrust23THRUST_200600_302600_NS6detail15normal_iteratorINS9_10device_ptrIjEEEEPS5_m11less_div_10IjEEE10hipError_tT0_T1_T2_jT3_P12ihipStream_tbPNSt15iterator_traitsISJ_E10value_typeEPNSP_ISK_E10value_typeEPSL_NS1_7vsmem_tEENKUlT_SJ_SK_SL_E_clIPjSE_SF_SF_EESI_SY_SJ_SK_SL_EUlSY_E0_NS1_11comp_targetILNS1_3genE5ELNS1_11target_archE942ELNS1_3gpuE9ELNS1_3repE0EEENS1_38merge_mergepath_config_static_selectorELNS0_4arch9wavefront6targetE0EEEvSK_
    .private_segment_fixed_size: 0
    .sgpr_count:     0
    .sgpr_spill_count: 0
    .symbol:         _ZN7rocprim17ROCPRIM_400000_NS6detail17trampoline_kernelINS0_14default_configENS1_38merge_sort_block_merge_config_selectorIjNS0_10empty_typeEEEZZNS1_27merge_sort_block_merge_implIS3_N6thrust23THRUST_200600_302600_NS6detail15normal_iteratorINS9_10device_ptrIjEEEEPS5_m11less_div_10IjEEE10hipError_tT0_T1_T2_jT3_P12ihipStream_tbPNSt15iterator_traitsISJ_E10value_typeEPNSP_ISK_E10value_typeEPSL_NS1_7vsmem_tEENKUlT_SJ_SK_SL_E_clIPjSE_SF_SF_EESI_SY_SJ_SK_SL_EUlSY_E0_NS1_11comp_targetILNS1_3genE5ELNS1_11target_archE942ELNS1_3gpuE9ELNS1_3repE0EEENS1_38merge_mergepath_config_static_selectorELNS0_4arch9wavefront6targetE0EEEvSK_.kd
    .uniform_work_group_size: 1
    .uses_dynamic_stack: false
    .vgpr_count:     0
    .vgpr_spill_count: 0
    .wavefront_size: 32
    .workgroup_processor_mode: 1
  - .args:
      - .offset:         0
        .size:           72
        .value_kind:     by_value
    .group_segment_fixed_size: 0
    .kernarg_segment_align: 8
    .kernarg_segment_size: 72
    .language:       OpenCL C
    .language_version:
      - 2
      - 0
    .max_flat_workgroup_size: 128
    .name:           _ZN7rocprim17ROCPRIM_400000_NS6detail17trampoline_kernelINS0_14default_configENS1_38merge_sort_block_merge_config_selectorIjNS0_10empty_typeEEEZZNS1_27merge_sort_block_merge_implIS3_N6thrust23THRUST_200600_302600_NS6detail15normal_iteratorINS9_10device_ptrIjEEEEPS5_m11less_div_10IjEEE10hipError_tT0_T1_T2_jT3_P12ihipStream_tbPNSt15iterator_traitsISJ_E10value_typeEPNSP_ISK_E10value_typeEPSL_NS1_7vsmem_tEENKUlT_SJ_SK_SL_E_clIPjSE_SF_SF_EESI_SY_SJ_SK_SL_EUlSY_E0_NS1_11comp_targetILNS1_3genE4ELNS1_11target_archE910ELNS1_3gpuE8ELNS1_3repE0EEENS1_38merge_mergepath_config_static_selectorELNS0_4arch9wavefront6targetE0EEEvSK_
    .private_segment_fixed_size: 0
    .sgpr_count:     0
    .sgpr_spill_count: 0
    .symbol:         _ZN7rocprim17ROCPRIM_400000_NS6detail17trampoline_kernelINS0_14default_configENS1_38merge_sort_block_merge_config_selectorIjNS0_10empty_typeEEEZZNS1_27merge_sort_block_merge_implIS3_N6thrust23THRUST_200600_302600_NS6detail15normal_iteratorINS9_10device_ptrIjEEEEPS5_m11less_div_10IjEEE10hipError_tT0_T1_T2_jT3_P12ihipStream_tbPNSt15iterator_traitsISJ_E10value_typeEPNSP_ISK_E10value_typeEPSL_NS1_7vsmem_tEENKUlT_SJ_SK_SL_E_clIPjSE_SF_SF_EESI_SY_SJ_SK_SL_EUlSY_E0_NS1_11comp_targetILNS1_3genE4ELNS1_11target_archE910ELNS1_3gpuE8ELNS1_3repE0EEENS1_38merge_mergepath_config_static_selectorELNS0_4arch9wavefront6targetE0EEEvSK_.kd
    .uniform_work_group_size: 1
    .uses_dynamic_stack: false
    .vgpr_count:     0
    .vgpr_spill_count: 0
    .wavefront_size: 32
    .workgroup_processor_mode: 1
  - .args:
      - .offset:         0
        .size:           72
        .value_kind:     by_value
    .group_segment_fixed_size: 0
    .kernarg_segment_align: 8
    .kernarg_segment_size: 72
    .language:       OpenCL C
    .language_version:
      - 2
      - 0
    .max_flat_workgroup_size: 128
    .name:           _ZN7rocprim17ROCPRIM_400000_NS6detail17trampoline_kernelINS0_14default_configENS1_38merge_sort_block_merge_config_selectorIjNS0_10empty_typeEEEZZNS1_27merge_sort_block_merge_implIS3_N6thrust23THRUST_200600_302600_NS6detail15normal_iteratorINS9_10device_ptrIjEEEEPS5_m11less_div_10IjEEE10hipError_tT0_T1_T2_jT3_P12ihipStream_tbPNSt15iterator_traitsISJ_E10value_typeEPNSP_ISK_E10value_typeEPSL_NS1_7vsmem_tEENKUlT_SJ_SK_SL_E_clIPjSE_SF_SF_EESI_SY_SJ_SK_SL_EUlSY_E0_NS1_11comp_targetILNS1_3genE3ELNS1_11target_archE908ELNS1_3gpuE7ELNS1_3repE0EEENS1_38merge_mergepath_config_static_selectorELNS0_4arch9wavefront6targetE0EEEvSK_
    .private_segment_fixed_size: 0
    .sgpr_count:     0
    .sgpr_spill_count: 0
    .symbol:         _ZN7rocprim17ROCPRIM_400000_NS6detail17trampoline_kernelINS0_14default_configENS1_38merge_sort_block_merge_config_selectorIjNS0_10empty_typeEEEZZNS1_27merge_sort_block_merge_implIS3_N6thrust23THRUST_200600_302600_NS6detail15normal_iteratorINS9_10device_ptrIjEEEEPS5_m11less_div_10IjEEE10hipError_tT0_T1_T2_jT3_P12ihipStream_tbPNSt15iterator_traitsISJ_E10value_typeEPNSP_ISK_E10value_typeEPSL_NS1_7vsmem_tEENKUlT_SJ_SK_SL_E_clIPjSE_SF_SF_EESI_SY_SJ_SK_SL_EUlSY_E0_NS1_11comp_targetILNS1_3genE3ELNS1_11target_archE908ELNS1_3gpuE7ELNS1_3repE0EEENS1_38merge_mergepath_config_static_selectorELNS0_4arch9wavefront6targetE0EEEvSK_.kd
    .uniform_work_group_size: 1
    .uses_dynamic_stack: false
    .vgpr_count:     0
    .vgpr_spill_count: 0
    .wavefront_size: 32
    .workgroup_processor_mode: 1
  - .args:
      - .offset:         0
        .size:           72
        .value_kind:     by_value
    .group_segment_fixed_size: 0
    .kernarg_segment_align: 8
    .kernarg_segment_size: 72
    .language:       OpenCL C
    .language_version:
      - 2
      - 0
    .max_flat_workgroup_size: 128
    .name:           _ZN7rocprim17ROCPRIM_400000_NS6detail17trampoline_kernelINS0_14default_configENS1_38merge_sort_block_merge_config_selectorIjNS0_10empty_typeEEEZZNS1_27merge_sort_block_merge_implIS3_N6thrust23THRUST_200600_302600_NS6detail15normal_iteratorINS9_10device_ptrIjEEEEPS5_m11less_div_10IjEEE10hipError_tT0_T1_T2_jT3_P12ihipStream_tbPNSt15iterator_traitsISJ_E10value_typeEPNSP_ISK_E10value_typeEPSL_NS1_7vsmem_tEENKUlT_SJ_SK_SL_E_clIPjSE_SF_SF_EESI_SY_SJ_SK_SL_EUlSY_E0_NS1_11comp_targetILNS1_3genE2ELNS1_11target_archE906ELNS1_3gpuE6ELNS1_3repE0EEENS1_38merge_mergepath_config_static_selectorELNS0_4arch9wavefront6targetE0EEEvSK_
    .private_segment_fixed_size: 0
    .sgpr_count:     0
    .sgpr_spill_count: 0
    .symbol:         _ZN7rocprim17ROCPRIM_400000_NS6detail17trampoline_kernelINS0_14default_configENS1_38merge_sort_block_merge_config_selectorIjNS0_10empty_typeEEEZZNS1_27merge_sort_block_merge_implIS3_N6thrust23THRUST_200600_302600_NS6detail15normal_iteratorINS9_10device_ptrIjEEEEPS5_m11less_div_10IjEEE10hipError_tT0_T1_T2_jT3_P12ihipStream_tbPNSt15iterator_traitsISJ_E10value_typeEPNSP_ISK_E10value_typeEPSL_NS1_7vsmem_tEENKUlT_SJ_SK_SL_E_clIPjSE_SF_SF_EESI_SY_SJ_SK_SL_EUlSY_E0_NS1_11comp_targetILNS1_3genE2ELNS1_11target_archE906ELNS1_3gpuE6ELNS1_3repE0EEENS1_38merge_mergepath_config_static_selectorELNS0_4arch9wavefront6targetE0EEEvSK_.kd
    .uniform_work_group_size: 1
    .uses_dynamic_stack: false
    .vgpr_count:     0
    .vgpr_spill_count: 0
    .wavefront_size: 32
    .workgroup_processor_mode: 1
  - .args:
      - .offset:         0
        .size:           72
        .value_kind:     by_value
    .group_segment_fixed_size: 0
    .kernarg_segment_align: 8
    .kernarg_segment_size: 72
    .language:       OpenCL C
    .language_version:
      - 2
      - 0
    .max_flat_workgroup_size: 256
    .name:           _ZN7rocprim17ROCPRIM_400000_NS6detail17trampoline_kernelINS0_14default_configENS1_38merge_sort_block_merge_config_selectorIjNS0_10empty_typeEEEZZNS1_27merge_sort_block_merge_implIS3_N6thrust23THRUST_200600_302600_NS6detail15normal_iteratorINS9_10device_ptrIjEEEEPS5_m11less_div_10IjEEE10hipError_tT0_T1_T2_jT3_P12ihipStream_tbPNSt15iterator_traitsISJ_E10value_typeEPNSP_ISK_E10value_typeEPSL_NS1_7vsmem_tEENKUlT_SJ_SK_SL_E_clIPjSE_SF_SF_EESI_SY_SJ_SK_SL_EUlSY_E0_NS1_11comp_targetILNS1_3genE9ELNS1_11target_archE1100ELNS1_3gpuE3ELNS1_3repE0EEENS1_38merge_mergepath_config_static_selectorELNS0_4arch9wavefront6targetE0EEEvSK_
    .private_segment_fixed_size: 0
    .sgpr_count:     0
    .sgpr_spill_count: 0
    .symbol:         _ZN7rocprim17ROCPRIM_400000_NS6detail17trampoline_kernelINS0_14default_configENS1_38merge_sort_block_merge_config_selectorIjNS0_10empty_typeEEEZZNS1_27merge_sort_block_merge_implIS3_N6thrust23THRUST_200600_302600_NS6detail15normal_iteratorINS9_10device_ptrIjEEEEPS5_m11less_div_10IjEEE10hipError_tT0_T1_T2_jT3_P12ihipStream_tbPNSt15iterator_traitsISJ_E10value_typeEPNSP_ISK_E10value_typeEPSL_NS1_7vsmem_tEENKUlT_SJ_SK_SL_E_clIPjSE_SF_SF_EESI_SY_SJ_SK_SL_EUlSY_E0_NS1_11comp_targetILNS1_3genE9ELNS1_11target_archE1100ELNS1_3gpuE3ELNS1_3repE0EEENS1_38merge_mergepath_config_static_selectorELNS0_4arch9wavefront6targetE0EEEvSK_.kd
    .uniform_work_group_size: 1
    .uses_dynamic_stack: false
    .vgpr_count:     0
    .vgpr_spill_count: 0
    .wavefront_size: 32
    .workgroup_processor_mode: 1
  - .args:
      - .offset:         0
        .size:           72
        .value_kind:     by_value
      - .offset:         72
        .size:           4
        .value_kind:     hidden_block_count_x
      - .offset:         76
        .size:           4
        .value_kind:     hidden_block_count_y
      - .offset:         80
        .size:           4
        .value_kind:     hidden_block_count_z
      - .offset:         84
        .size:           2
        .value_kind:     hidden_group_size_x
      - .offset:         86
        .size:           2
        .value_kind:     hidden_group_size_y
      - .offset:         88
        .size:           2
        .value_kind:     hidden_group_size_z
      - .offset:         90
        .size:           2
        .value_kind:     hidden_remainder_x
      - .offset:         92
        .size:           2
        .value_kind:     hidden_remainder_y
      - .offset:         94
        .size:           2
        .value_kind:     hidden_remainder_z
      - .offset:         112
        .size:           8
        .value_kind:     hidden_global_offset_x
      - .offset:         120
        .size:           8
        .value_kind:     hidden_global_offset_y
      - .offset:         128
        .size:           8
        .value_kind:     hidden_global_offset_z
      - .offset:         136
        .size:           2
        .value_kind:     hidden_grid_dims
    .group_segment_fixed_size: 4224
    .kernarg_segment_align: 8
    .kernarg_segment_size: 328
    .language:       OpenCL C
    .language_version:
      - 2
      - 0
    .max_flat_workgroup_size: 512
    .name:           _ZN7rocprim17ROCPRIM_400000_NS6detail17trampoline_kernelINS0_14default_configENS1_38merge_sort_block_merge_config_selectorIjNS0_10empty_typeEEEZZNS1_27merge_sort_block_merge_implIS3_N6thrust23THRUST_200600_302600_NS6detail15normal_iteratorINS9_10device_ptrIjEEEEPS5_m11less_div_10IjEEE10hipError_tT0_T1_T2_jT3_P12ihipStream_tbPNSt15iterator_traitsISJ_E10value_typeEPNSP_ISK_E10value_typeEPSL_NS1_7vsmem_tEENKUlT_SJ_SK_SL_E_clIPjSE_SF_SF_EESI_SY_SJ_SK_SL_EUlSY_E0_NS1_11comp_targetILNS1_3genE8ELNS1_11target_archE1030ELNS1_3gpuE2ELNS1_3repE0EEENS1_38merge_mergepath_config_static_selectorELNS0_4arch9wavefront6targetE0EEEvSK_
    .private_segment_fixed_size: 0
    .sgpr_count:     33
    .sgpr_spill_count: 0
    .symbol:         _ZN7rocprim17ROCPRIM_400000_NS6detail17trampoline_kernelINS0_14default_configENS1_38merge_sort_block_merge_config_selectorIjNS0_10empty_typeEEEZZNS1_27merge_sort_block_merge_implIS3_N6thrust23THRUST_200600_302600_NS6detail15normal_iteratorINS9_10device_ptrIjEEEEPS5_m11less_div_10IjEEE10hipError_tT0_T1_T2_jT3_P12ihipStream_tbPNSt15iterator_traitsISJ_E10value_typeEPNSP_ISK_E10value_typeEPSL_NS1_7vsmem_tEENKUlT_SJ_SK_SL_E_clIPjSE_SF_SF_EESI_SY_SJ_SK_SL_EUlSY_E0_NS1_11comp_targetILNS1_3genE8ELNS1_11target_archE1030ELNS1_3gpuE2ELNS1_3repE0EEENS1_38merge_mergepath_config_static_selectorELNS0_4arch9wavefront6targetE0EEEvSK_.kd
    .uniform_work_group_size: 1
    .uses_dynamic_stack: false
    .vgpr_count:     15
    .vgpr_spill_count: 0
    .wavefront_size: 32
    .workgroup_processor_mode: 1
  - .args:
      - .offset:         0
        .size:           56
        .value_kind:     by_value
    .group_segment_fixed_size: 0
    .kernarg_segment_align: 8
    .kernarg_segment_size: 56
    .language:       OpenCL C
    .language_version:
      - 2
      - 0
    .max_flat_workgroup_size: 256
    .name:           _ZN7rocprim17ROCPRIM_400000_NS6detail17trampoline_kernelINS0_14default_configENS1_38merge_sort_block_merge_config_selectorIjNS0_10empty_typeEEEZZNS1_27merge_sort_block_merge_implIS3_N6thrust23THRUST_200600_302600_NS6detail15normal_iteratorINS9_10device_ptrIjEEEEPS5_m11less_div_10IjEEE10hipError_tT0_T1_T2_jT3_P12ihipStream_tbPNSt15iterator_traitsISJ_E10value_typeEPNSP_ISK_E10value_typeEPSL_NS1_7vsmem_tEENKUlT_SJ_SK_SL_E_clIPjSE_SF_SF_EESI_SY_SJ_SK_SL_EUlSY_E1_NS1_11comp_targetILNS1_3genE0ELNS1_11target_archE4294967295ELNS1_3gpuE0ELNS1_3repE0EEENS1_36merge_oddeven_config_static_selectorELNS0_4arch9wavefront6targetE0EEEvSK_
    .private_segment_fixed_size: 0
    .sgpr_count:     0
    .sgpr_spill_count: 0
    .symbol:         _ZN7rocprim17ROCPRIM_400000_NS6detail17trampoline_kernelINS0_14default_configENS1_38merge_sort_block_merge_config_selectorIjNS0_10empty_typeEEEZZNS1_27merge_sort_block_merge_implIS3_N6thrust23THRUST_200600_302600_NS6detail15normal_iteratorINS9_10device_ptrIjEEEEPS5_m11less_div_10IjEEE10hipError_tT0_T1_T2_jT3_P12ihipStream_tbPNSt15iterator_traitsISJ_E10value_typeEPNSP_ISK_E10value_typeEPSL_NS1_7vsmem_tEENKUlT_SJ_SK_SL_E_clIPjSE_SF_SF_EESI_SY_SJ_SK_SL_EUlSY_E1_NS1_11comp_targetILNS1_3genE0ELNS1_11target_archE4294967295ELNS1_3gpuE0ELNS1_3repE0EEENS1_36merge_oddeven_config_static_selectorELNS0_4arch9wavefront6targetE0EEEvSK_.kd
    .uniform_work_group_size: 1
    .uses_dynamic_stack: false
    .vgpr_count:     0
    .vgpr_spill_count: 0
    .wavefront_size: 32
    .workgroup_processor_mode: 1
  - .args:
      - .offset:         0
        .size:           56
        .value_kind:     by_value
    .group_segment_fixed_size: 0
    .kernarg_segment_align: 8
    .kernarg_segment_size: 56
    .language:       OpenCL C
    .language_version:
      - 2
      - 0
    .max_flat_workgroup_size: 256
    .name:           _ZN7rocprim17ROCPRIM_400000_NS6detail17trampoline_kernelINS0_14default_configENS1_38merge_sort_block_merge_config_selectorIjNS0_10empty_typeEEEZZNS1_27merge_sort_block_merge_implIS3_N6thrust23THRUST_200600_302600_NS6detail15normal_iteratorINS9_10device_ptrIjEEEEPS5_m11less_div_10IjEEE10hipError_tT0_T1_T2_jT3_P12ihipStream_tbPNSt15iterator_traitsISJ_E10value_typeEPNSP_ISK_E10value_typeEPSL_NS1_7vsmem_tEENKUlT_SJ_SK_SL_E_clIPjSE_SF_SF_EESI_SY_SJ_SK_SL_EUlSY_E1_NS1_11comp_targetILNS1_3genE10ELNS1_11target_archE1201ELNS1_3gpuE5ELNS1_3repE0EEENS1_36merge_oddeven_config_static_selectorELNS0_4arch9wavefront6targetE0EEEvSK_
    .private_segment_fixed_size: 0
    .sgpr_count:     0
    .sgpr_spill_count: 0
    .symbol:         _ZN7rocprim17ROCPRIM_400000_NS6detail17trampoline_kernelINS0_14default_configENS1_38merge_sort_block_merge_config_selectorIjNS0_10empty_typeEEEZZNS1_27merge_sort_block_merge_implIS3_N6thrust23THRUST_200600_302600_NS6detail15normal_iteratorINS9_10device_ptrIjEEEEPS5_m11less_div_10IjEEE10hipError_tT0_T1_T2_jT3_P12ihipStream_tbPNSt15iterator_traitsISJ_E10value_typeEPNSP_ISK_E10value_typeEPSL_NS1_7vsmem_tEENKUlT_SJ_SK_SL_E_clIPjSE_SF_SF_EESI_SY_SJ_SK_SL_EUlSY_E1_NS1_11comp_targetILNS1_3genE10ELNS1_11target_archE1201ELNS1_3gpuE5ELNS1_3repE0EEENS1_36merge_oddeven_config_static_selectorELNS0_4arch9wavefront6targetE0EEEvSK_.kd
    .uniform_work_group_size: 1
    .uses_dynamic_stack: false
    .vgpr_count:     0
    .vgpr_spill_count: 0
    .wavefront_size: 32
    .workgroup_processor_mode: 1
  - .args:
      - .offset:         0
        .size:           56
        .value_kind:     by_value
    .group_segment_fixed_size: 0
    .kernarg_segment_align: 8
    .kernarg_segment_size: 56
    .language:       OpenCL C
    .language_version:
      - 2
      - 0
    .max_flat_workgroup_size: 256
    .name:           _ZN7rocprim17ROCPRIM_400000_NS6detail17trampoline_kernelINS0_14default_configENS1_38merge_sort_block_merge_config_selectorIjNS0_10empty_typeEEEZZNS1_27merge_sort_block_merge_implIS3_N6thrust23THRUST_200600_302600_NS6detail15normal_iteratorINS9_10device_ptrIjEEEEPS5_m11less_div_10IjEEE10hipError_tT0_T1_T2_jT3_P12ihipStream_tbPNSt15iterator_traitsISJ_E10value_typeEPNSP_ISK_E10value_typeEPSL_NS1_7vsmem_tEENKUlT_SJ_SK_SL_E_clIPjSE_SF_SF_EESI_SY_SJ_SK_SL_EUlSY_E1_NS1_11comp_targetILNS1_3genE5ELNS1_11target_archE942ELNS1_3gpuE9ELNS1_3repE0EEENS1_36merge_oddeven_config_static_selectorELNS0_4arch9wavefront6targetE0EEEvSK_
    .private_segment_fixed_size: 0
    .sgpr_count:     0
    .sgpr_spill_count: 0
    .symbol:         _ZN7rocprim17ROCPRIM_400000_NS6detail17trampoline_kernelINS0_14default_configENS1_38merge_sort_block_merge_config_selectorIjNS0_10empty_typeEEEZZNS1_27merge_sort_block_merge_implIS3_N6thrust23THRUST_200600_302600_NS6detail15normal_iteratorINS9_10device_ptrIjEEEEPS5_m11less_div_10IjEEE10hipError_tT0_T1_T2_jT3_P12ihipStream_tbPNSt15iterator_traitsISJ_E10value_typeEPNSP_ISK_E10value_typeEPSL_NS1_7vsmem_tEENKUlT_SJ_SK_SL_E_clIPjSE_SF_SF_EESI_SY_SJ_SK_SL_EUlSY_E1_NS1_11comp_targetILNS1_3genE5ELNS1_11target_archE942ELNS1_3gpuE9ELNS1_3repE0EEENS1_36merge_oddeven_config_static_selectorELNS0_4arch9wavefront6targetE0EEEvSK_.kd
    .uniform_work_group_size: 1
    .uses_dynamic_stack: false
    .vgpr_count:     0
    .vgpr_spill_count: 0
    .wavefront_size: 32
    .workgroup_processor_mode: 1
  - .args:
      - .offset:         0
        .size:           56
        .value_kind:     by_value
    .group_segment_fixed_size: 0
    .kernarg_segment_align: 8
    .kernarg_segment_size: 56
    .language:       OpenCL C
    .language_version:
      - 2
      - 0
    .max_flat_workgroup_size: 256
    .name:           _ZN7rocprim17ROCPRIM_400000_NS6detail17trampoline_kernelINS0_14default_configENS1_38merge_sort_block_merge_config_selectorIjNS0_10empty_typeEEEZZNS1_27merge_sort_block_merge_implIS3_N6thrust23THRUST_200600_302600_NS6detail15normal_iteratorINS9_10device_ptrIjEEEEPS5_m11less_div_10IjEEE10hipError_tT0_T1_T2_jT3_P12ihipStream_tbPNSt15iterator_traitsISJ_E10value_typeEPNSP_ISK_E10value_typeEPSL_NS1_7vsmem_tEENKUlT_SJ_SK_SL_E_clIPjSE_SF_SF_EESI_SY_SJ_SK_SL_EUlSY_E1_NS1_11comp_targetILNS1_3genE4ELNS1_11target_archE910ELNS1_3gpuE8ELNS1_3repE0EEENS1_36merge_oddeven_config_static_selectorELNS0_4arch9wavefront6targetE0EEEvSK_
    .private_segment_fixed_size: 0
    .sgpr_count:     0
    .sgpr_spill_count: 0
    .symbol:         _ZN7rocprim17ROCPRIM_400000_NS6detail17trampoline_kernelINS0_14default_configENS1_38merge_sort_block_merge_config_selectorIjNS0_10empty_typeEEEZZNS1_27merge_sort_block_merge_implIS3_N6thrust23THRUST_200600_302600_NS6detail15normal_iteratorINS9_10device_ptrIjEEEEPS5_m11less_div_10IjEEE10hipError_tT0_T1_T2_jT3_P12ihipStream_tbPNSt15iterator_traitsISJ_E10value_typeEPNSP_ISK_E10value_typeEPSL_NS1_7vsmem_tEENKUlT_SJ_SK_SL_E_clIPjSE_SF_SF_EESI_SY_SJ_SK_SL_EUlSY_E1_NS1_11comp_targetILNS1_3genE4ELNS1_11target_archE910ELNS1_3gpuE8ELNS1_3repE0EEENS1_36merge_oddeven_config_static_selectorELNS0_4arch9wavefront6targetE0EEEvSK_.kd
    .uniform_work_group_size: 1
    .uses_dynamic_stack: false
    .vgpr_count:     0
    .vgpr_spill_count: 0
    .wavefront_size: 32
    .workgroup_processor_mode: 1
  - .args:
      - .offset:         0
        .size:           56
        .value_kind:     by_value
    .group_segment_fixed_size: 0
    .kernarg_segment_align: 8
    .kernarg_segment_size: 56
    .language:       OpenCL C
    .language_version:
      - 2
      - 0
    .max_flat_workgroup_size: 256
    .name:           _ZN7rocprim17ROCPRIM_400000_NS6detail17trampoline_kernelINS0_14default_configENS1_38merge_sort_block_merge_config_selectorIjNS0_10empty_typeEEEZZNS1_27merge_sort_block_merge_implIS3_N6thrust23THRUST_200600_302600_NS6detail15normal_iteratorINS9_10device_ptrIjEEEEPS5_m11less_div_10IjEEE10hipError_tT0_T1_T2_jT3_P12ihipStream_tbPNSt15iterator_traitsISJ_E10value_typeEPNSP_ISK_E10value_typeEPSL_NS1_7vsmem_tEENKUlT_SJ_SK_SL_E_clIPjSE_SF_SF_EESI_SY_SJ_SK_SL_EUlSY_E1_NS1_11comp_targetILNS1_3genE3ELNS1_11target_archE908ELNS1_3gpuE7ELNS1_3repE0EEENS1_36merge_oddeven_config_static_selectorELNS0_4arch9wavefront6targetE0EEEvSK_
    .private_segment_fixed_size: 0
    .sgpr_count:     0
    .sgpr_spill_count: 0
    .symbol:         _ZN7rocprim17ROCPRIM_400000_NS6detail17trampoline_kernelINS0_14default_configENS1_38merge_sort_block_merge_config_selectorIjNS0_10empty_typeEEEZZNS1_27merge_sort_block_merge_implIS3_N6thrust23THRUST_200600_302600_NS6detail15normal_iteratorINS9_10device_ptrIjEEEEPS5_m11less_div_10IjEEE10hipError_tT0_T1_T2_jT3_P12ihipStream_tbPNSt15iterator_traitsISJ_E10value_typeEPNSP_ISK_E10value_typeEPSL_NS1_7vsmem_tEENKUlT_SJ_SK_SL_E_clIPjSE_SF_SF_EESI_SY_SJ_SK_SL_EUlSY_E1_NS1_11comp_targetILNS1_3genE3ELNS1_11target_archE908ELNS1_3gpuE7ELNS1_3repE0EEENS1_36merge_oddeven_config_static_selectorELNS0_4arch9wavefront6targetE0EEEvSK_.kd
    .uniform_work_group_size: 1
    .uses_dynamic_stack: false
    .vgpr_count:     0
    .vgpr_spill_count: 0
    .wavefront_size: 32
    .workgroup_processor_mode: 1
  - .args:
      - .offset:         0
        .size:           56
        .value_kind:     by_value
    .group_segment_fixed_size: 0
    .kernarg_segment_align: 8
    .kernarg_segment_size: 56
    .language:       OpenCL C
    .language_version:
      - 2
      - 0
    .max_flat_workgroup_size: 256
    .name:           _ZN7rocprim17ROCPRIM_400000_NS6detail17trampoline_kernelINS0_14default_configENS1_38merge_sort_block_merge_config_selectorIjNS0_10empty_typeEEEZZNS1_27merge_sort_block_merge_implIS3_N6thrust23THRUST_200600_302600_NS6detail15normal_iteratorINS9_10device_ptrIjEEEEPS5_m11less_div_10IjEEE10hipError_tT0_T1_T2_jT3_P12ihipStream_tbPNSt15iterator_traitsISJ_E10value_typeEPNSP_ISK_E10value_typeEPSL_NS1_7vsmem_tEENKUlT_SJ_SK_SL_E_clIPjSE_SF_SF_EESI_SY_SJ_SK_SL_EUlSY_E1_NS1_11comp_targetILNS1_3genE2ELNS1_11target_archE906ELNS1_3gpuE6ELNS1_3repE0EEENS1_36merge_oddeven_config_static_selectorELNS0_4arch9wavefront6targetE0EEEvSK_
    .private_segment_fixed_size: 0
    .sgpr_count:     0
    .sgpr_spill_count: 0
    .symbol:         _ZN7rocprim17ROCPRIM_400000_NS6detail17trampoline_kernelINS0_14default_configENS1_38merge_sort_block_merge_config_selectorIjNS0_10empty_typeEEEZZNS1_27merge_sort_block_merge_implIS3_N6thrust23THRUST_200600_302600_NS6detail15normal_iteratorINS9_10device_ptrIjEEEEPS5_m11less_div_10IjEEE10hipError_tT0_T1_T2_jT3_P12ihipStream_tbPNSt15iterator_traitsISJ_E10value_typeEPNSP_ISK_E10value_typeEPSL_NS1_7vsmem_tEENKUlT_SJ_SK_SL_E_clIPjSE_SF_SF_EESI_SY_SJ_SK_SL_EUlSY_E1_NS1_11comp_targetILNS1_3genE2ELNS1_11target_archE906ELNS1_3gpuE6ELNS1_3repE0EEENS1_36merge_oddeven_config_static_selectorELNS0_4arch9wavefront6targetE0EEEvSK_.kd
    .uniform_work_group_size: 1
    .uses_dynamic_stack: false
    .vgpr_count:     0
    .vgpr_spill_count: 0
    .wavefront_size: 32
    .workgroup_processor_mode: 1
  - .args:
      - .offset:         0
        .size:           56
        .value_kind:     by_value
    .group_segment_fixed_size: 0
    .kernarg_segment_align: 8
    .kernarg_segment_size: 56
    .language:       OpenCL C
    .language_version:
      - 2
      - 0
    .max_flat_workgroup_size: 256
    .name:           _ZN7rocprim17ROCPRIM_400000_NS6detail17trampoline_kernelINS0_14default_configENS1_38merge_sort_block_merge_config_selectorIjNS0_10empty_typeEEEZZNS1_27merge_sort_block_merge_implIS3_N6thrust23THRUST_200600_302600_NS6detail15normal_iteratorINS9_10device_ptrIjEEEEPS5_m11less_div_10IjEEE10hipError_tT0_T1_T2_jT3_P12ihipStream_tbPNSt15iterator_traitsISJ_E10value_typeEPNSP_ISK_E10value_typeEPSL_NS1_7vsmem_tEENKUlT_SJ_SK_SL_E_clIPjSE_SF_SF_EESI_SY_SJ_SK_SL_EUlSY_E1_NS1_11comp_targetILNS1_3genE9ELNS1_11target_archE1100ELNS1_3gpuE3ELNS1_3repE0EEENS1_36merge_oddeven_config_static_selectorELNS0_4arch9wavefront6targetE0EEEvSK_
    .private_segment_fixed_size: 0
    .sgpr_count:     0
    .sgpr_spill_count: 0
    .symbol:         _ZN7rocprim17ROCPRIM_400000_NS6detail17trampoline_kernelINS0_14default_configENS1_38merge_sort_block_merge_config_selectorIjNS0_10empty_typeEEEZZNS1_27merge_sort_block_merge_implIS3_N6thrust23THRUST_200600_302600_NS6detail15normal_iteratorINS9_10device_ptrIjEEEEPS5_m11less_div_10IjEEE10hipError_tT0_T1_T2_jT3_P12ihipStream_tbPNSt15iterator_traitsISJ_E10value_typeEPNSP_ISK_E10value_typeEPSL_NS1_7vsmem_tEENKUlT_SJ_SK_SL_E_clIPjSE_SF_SF_EESI_SY_SJ_SK_SL_EUlSY_E1_NS1_11comp_targetILNS1_3genE9ELNS1_11target_archE1100ELNS1_3gpuE3ELNS1_3repE0EEENS1_36merge_oddeven_config_static_selectorELNS0_4arch9wavefront6targetE0EEEvSK_.kd
    .uniform_work_group_size: 1
    .uses_dynamic_stack: false
    .vgpr_count:     0
    .vgpr_spill_count: 0
    .wavefront_size: 32
    .workgroup_processor_mode: 1
  - .args:
      - .offset:         0
        .size:           56
        .value_kind:     by_value
    .group_segment_fixed_size: 0
    .kernarg_segment_align: 8
    .kernarg_segment_size: 56
    .language:       OpenCL C
    .language_version:
      - 2
      - 0
    .max_flat_workgroup_size: 256
    .name:           _ZN7rocprim17ROCPRIM_400000_NS6detail17trampoline_kernelINS0_14default_configENS1_38merge_sort_block_merge_config_selectorIjNS0_10empty_typeEEEZZNS1_27merge_sort_block_merge_implIS3_N6thrust23THRUST_200600_302600_NS6detail15normal_iteratorINS9_10device_ptrIjEEEEPS5_m11less_div_10IjEEE10hipError_tT0_T1_T2_jT3_P12ihipStream_tbPNSt15iterator_traitsISJ_E10value_typeEPNSP_ISK_E10value_typeEPSL_NS1_7vsmem_tEENKUlT_SJ_SK_SL_E_clIPjSE_SF_SF_EESI_SY_SJ_SK_SL_EUlSY_E1_NS1_11comp_targetILNS1_3genE8ELNS1_11target_archE1030ELNS1_3gpuE2ELNS1_3repE0EEENS1_36merge_oddeven_config_static_selectorELNS0_4arch9wavefront6targetE0EEEvSK_
    .private_segment_fixed_size: 0
    .sgpr_count:     18
    .sgpr_spill_count: 0
    .symbol:         _ZN7rocprim17ROCPRIM_400000_NS6detail17trampoline_kernelINS0_14default_configENS1_38merge_sort_block_merge_config_selectorIjNS0_10empty_typeEEEZZNS1_27merge_sort_block_merge_implIS3_N6thrust23THRUST_200600_302600_NS6detail15normal_iteratorINS9_10device_ptrIjEEEEPS5_m11less_div_10IjEEE10hipError_tT0_T1_T2_jT3_P12ihipStream_tbPNSt15iterator_traitsISJ_E10value_typeEPNSP_ISK_E10value_typeEPSL_NS1_7vsmem_tEENKUlT_SJ_SK_SL_E_clIPjSE_SF_SF_EESI_SY_SJ_SK_SL_EUlSY_E1_NS1_11comp_targetILNS1_3genE8ELNS1_11target_archE1030ELNS1_3gpuE2ELNS1_3repE0EEENS1_36merge_oddeven_config_static_selectorELNS0_4arch9wavefront6targetE0EEEvSK_.kd
    .uniform_work_group_size: 1
    .uses_dynamic_stack: false
    .vgpr_count:     9
    .vgpr_spill_count: 0
    .wavefront_size: 32
    .workgroup_processor_mode: 1
  - .args:
      - .offset:         0
        .size:           48
        .value_kind:     by_value
    .group_segment_fixed_size: 0
    .kernarg_segment_align: 8
    .kernarg_segment_size: 48
    .language:       OpenCL C
    .language_version:
      - 2
      - 0
    .max_flat_workgroup_size: 128
    .name:           _ZN7rocprim17ROCPRIM_400000_NS6detail17trampoline_kernelINS0_14default_configENS1_38merge_sort_block_merge_config_selectorIjNS0_10empty_typeEEEZZNS1_27merge_sort_block_merge_implIS3_N6thrust23THRUST_200600_302600_NS6detail15normal_iteratorINS9_10device_ptrIjEEEEPS5_m11less_div_10IjEEE10hipError_tT0_T1_T2_jT3_P12ihipStream_tbPNSt15iterator_traitsISJ_E10value_typeEPNSP_ISK_E10value_typeEPSL_NS1_7vsmem_tEENKUlT_SJ_SK_SL_E_clISE_PjSF_SF_EESI_SY_SJ_SK_SL_EUlSY_E_NS1_11comp_targetILNS1_3genE0ELNS1_11target_archE4294967295ELNS1_3gpuE0ELNS1_3repE0EEENS1_48merge_mergepath_partition_config_static_selectorELNS0_4arch9wavefront6targetE0EEEvSK_
    .private_segment_fixed_size: 0
    .sgpr_count:     0
    .sgpr_spill_count: 0
    .symbol:         _ZN7rocprim17ROCPRIM_400000_NS6detail17trampoline_kernelINS0_14default_configENS1_38merge_sort_block_merge_config_selectorIjNS0_10empty_typeEEEZZNS1_27merge_sort_block_merge_implIS3_N6thrust23THRUST_200600_302600_NS6detail15normal_iteratorINS9_10device_ptrIjEEEEPS5_m11less_div_10IjEEE10hipError_tT0_T1_T2_jT3_P12ihipStream_tbPNSt15iterator_traitsISJ_E10value_typeEPNSP_ISK_E10value_typeEPSL_NS1_7vsmem_tEENKUlT_SJ_SK_SL_E_clISE_PjSF_SF_EESI_SY_SJ_SK_SL_EUlSY_E_NS1_11comp_targetILNS1_3genE0ELNS1_11target_archE4294967295ELNS1_3gpuE0ELNS1_3repE0EEENS1_48merge_mergepath_partition_config_static_selectorELNS0_4arch9wavefront6targetE0EEEvSK_.kd
    .uniform_work_group_size: 1
    .uses_dynamic_stack: false
    .vgpr_count:     0
    .vgpr_spill_count: 0
    .wavefront_size: 32
    .workgroup_processor_mode: 1
  - .args:
      - .offset:         0
        .size:           48
        .value_kind:     by_value
    .group_segment_fixed_size: 0
    .kernarg_segment_align: 8
    .kernarg_segment_size: 48
    .language:       OpenCL C
    .language_version:
      - 2
      - 0
    .max_flat_workgroup_size: 128
    .name:           _ZN7rocprim17ROCPRIM_400000_NS6detail17trampoline_kernelINS0_14default_configENS1_38merge_sort_block_merge_config_selectorIjNS0_10empty_typeEEEZZNS1_27merge_sort_block_merge_implIS3_N6thrust23THRUST_200600_302600_NS6detail15normal_iteratorINS9_10device_ptrIjEEEEPS5_m11less_div_10IjEEE10hipError_tT0_T1_T2_jT3_P12ihipStream_tbPNSt15iterator_traitsISJ_E10value_typeEPNSP_ISK_E10value_typeEPSL_NS1_7vsmem_tEENKUlT_SJ_SK_SL_E_clISE_PjSF_SF_EESI_SY_SJ_SK_SL_EUlSY_E_NS1_11comp_targetILNS1_3genE10ELNS1_11target_archE1201ELNS1_3gpuE5ELNS1_3repE0EEENS1_48merge_mergepath_partition_config_static_selectorELNS0_4arch9wavefront6targetE0EEEvSK_
    .private_segment_fixed_size: 0
    .sgpr_count:     0
    .sgpr_spill_count: 0
    .symbol:         _ZN7rocprim17ROCPRIM_400000_NS6detail17trampoline_kernelINS0_14default_configENS1_38merge_sort_block_merge_config_selectorIjNS0_10empty_typeEEEZZNS1_27merge_sort_block_merge_implIS3_N6thrust23THRUST_200600_302600_NS6detail15normal_iteratorINS9_10device_ptrIjEEEEPS5_m11less_div_10IjEEE10hipError_tT0_T1_T2_jT3_P12ihipStream_tbPNSt15iterator_traitsISJ_E10value_typeEPNSP_ISK_E10value_typeEPSL_NS1_7vsmem_tEENKUlT_SJ_SK_SL_E_clISE_PjSF_SF_EESI_SY_SJ_SK_SL_EUlSY_E_NS1_11comp_targetILNS1_3genE10ELNS1_11target_archE1201ELNS1_3gpuE5ELNS1_3repE0EEENS1_48merge_mergepath_partition_config_static_selectorELNS0_4arch9wavefront6targetE0EEEvSK_.kd
    .uniform_work_group_size: 1
    .uses_dynamic_stack: false
    .vgpr_count:     0
    .vgpr_spill_count: 0
    .wavefront_size: 32
    .workgroup_processor_mode: 1
  - .args:
      - .offset:         0
        .size:           48
        .value_kind:     by_value
    .group_segment_fixed_size: 0
    .kernarg_segment_align: 8
    .kernarg_segment_size: 48
    .language:       OpenCL C
    .language_version:
      - 2
      - 0
    .max_flat_workgroup_size: 128
    .name:           _ZN7rocprim17ROCPRIM_400000_NS6detail17trampoline_kernelINS0_14default_configENS1_38merge_sort_block_merge_config_selectorIjNS0_10empty_typeEEEZZNS1_27merge_sort_block_merge_implIS3_N6thrust23THRUST_200600_302600_NS6detail15normal_iteratorINS9_10device_ptrIjEEEEPS5_m11less_div_10IjEEE10hipError_tT0_T1_T2_jT3_P12ihipStream_tbPNSt15iterator_traitsISJ_E10value_typeEPNSP_ISK_E10value_typeEPSL_NS1_7vsmem_tEENKUlT_SJ_SK_SL_E_clISE_PjSF_SF_EESI_SY_SJ_SK_SL_EUlSY_E_NS1_11comp_targetILNS1_3genE5ELNS1_11target_archE942ELNS1_3gpuE9ELNS1_3repE0EEENS1_48merge_mergepath_partition_config_static_selectorELNS0_4arch9wavefront6targetE0EEEvSK_
    .private_segment_fixed_size: 0
    .sgpr_count:     0
    .sgpr_spill_count: 0
    .symbol:         _ZN7rocprim17ROCPRIM_400000_NS6detail17trampoline_kernelINS0_14default_configENS1_38merge_sort_block_merge_config_selectorIjNS0_10empty_typeEEEZZNS1_27merge_sort_block_merge_implIS3_N6thrust23THRUST_200600_302600_NS6detail15normal_iteratorINS9_10device_ptrIjEEEEPS5_m11less_div_10IjEEE10hipError_tT0_T1_T2_jT3_P12ihipStream_tbPNSt15iterator_traitsISJ_E10value_typeEPNSP_ISK_E10value_typeEPSL_NS1_7vsmem_tEENKUlT_SJ_SK_SL_E_clISE_PjSF_SF_EESI_SY_SJ_SK_SL_EUlSY_E_NS1_11comp_targetILNS1_3genE5ELNS1_11target_archE942ELNS1_3gpuE9ELNS1_3repE0EEENS1_48merge_mergepath_partition_config_static_selectorELNS0_4arch9wavefront6targetE0EEEvSK_.kd
    .uniform_work_group_size: 1
    .uses_dynamic_stack: false
    .vgpr_count:     0
    .vgpr_spill_count: 0
    .wavefront_size: 32
    .workgroup_processor_mode: 1
  - .args:
      - .offset:         0
        .size:           48
        .value_kind:     by_value
    .group_segment_fixed_size: 0
    .kernarg_segment_align: 8
    .kernarg_segment_size: 48
    .language:       OpenCL C
    .language_version:
      - 2
      - 0
    .max_flat_workgroup_size: 128
    .name:           _ZN7rocprim17ROCPRIM_400000_NS6detail17trampoline_kernelINS0_14default_configENS1_38merge_sort_block_merge_config_selectorIjNS0_10empty_typeEEEZZNS1_27merge_sort_block_merge_implIS3_N6thrust23THRUST_200600_302600_NS6detail15normal_iteratorINS9_10device_ptrIjEEEEPS5_m11less_div_10IjEEE10hipError_tT0_T1_T2_jT3_P12ihipStream_tbPNSt15iterator_traitsISJ_E10value_typeEPNSP_ISK_E10value_typeEPSL_NS1_7vsmem_tEENKUlT_SJ_SK_SL_E_clISE_PjSF_SF_EESI_SY_SJ_SK_SL_EUlSY_E_NS1_11comp_targetILNS1_3genE4ELNS1_11target_archE910ELNS1_3gpuE8ELNS1_3repE0EEENS1_48merge_mergepath_partition_config_static_selectorELNS0_4arch9wavefront6targetE0EEEvSK_
    .private_segment_fixed_size: 0
    .sgpr_count:     0
    .sgpr_spill_count: 0
    .symbol:         _ZN7rocprim17ROCPRIM_400000_NS6detail17trampoline_kernelINS0_14default_configENS1_38merge_sort_block_merge_config_selectorIjNS0_10empty_typeEEEZZNS1_27merge_sort_block_merge_implIS3_N6thrust23THRUST_200600_302600_NS6detail15normal_iteratorINS9_10device_ptrIjEEEEPS5_m11less_div_10IjEEE10hipError_tT0_T1_T2_jT3_P12ihipStream_tbPNSt15iterator_traitsISJ_E10value_typeEPNSP_ISK_E10value_typeEPSL_NS1_7vsmem_tEENKUlT_SJ_SK_SL_E_clISE_PjSF_SF_EESI_SY_SJ_SK_SL_EUlSY_E_NS1_11comp_targetILNS1_3genE4ELNS1_11target_archE910ELNS1_3gpuE8ELNS1_3repE0EEENS1_48merge_mergepath_partition_config_static_selectorELNS0_4arch9wavefront6targetE0EEEvSK_.kd
    .uniform_work_group_size: 1
    .uses_dynamic_stack: false
    .vgpr_count:     0
    .vgpr_spill_count: 0
    .wavefront_size: 32
    .workgroup_processor_mode: 1
  - .args:
      - .offset:         0
        .size:           48
        .value_kind:     by_value
    .group_segment_fixed_size: 0
    .kernarg_segment_align: 8
    .kernarg_segment_size: 48
    .language:       OpenCL C
    .language_version:
      - 2
      - 0
    .max_flat_workgroup_size: 128
    .name:           _ZN7rocprim17ROCPRIM_400000_NS6detail17trampoline_kernelINS0_14default_configENS1_38merge_sort_block_merge_config_selectorIjNS0_10empty_typeEEEZZNS1_27merge_sort_block_merge_implIS3_N6thrust23THRUST_200600_302600_NS6detail15normal_iteratorINS9_10device_ptrIjEEEEPS5_m11less_div_10IjEEE10hipError_tT0_T1_T2_jT3_P12ihipStream_tbPNSt15iterator_traitsISJ_E10value_typeEPNSP_ISK_E10value_typeEPSL_NS1_7vsmem_tEENKUlT_SJ_SK_SL_E_clISE_PjSF_SF_EESI_SY_SJ_SK_SL_EUlSY_E_NS1_11comp_targetILNS1_3genE3ELNS1_11target_archE908ELNS1_3gpuE7ELNS1_3repE0EEENS1_48merge_mergepath_partition_config_static_selectorELNS0_4arch9wavefront6targetE0EEEvSK_
    .private_segment_fixed_size: 0
    .sgpr_count:     0
    .sgpr_spill_count: 0
    .symbol:         _ZN7rocprim17ROCPRIM_400000_NS6detail17trampoline_kernelINS0_14default_configENS1_38merge_sort_block_merge_config_selectorIjNS0_10empty_typeEEEZZNS1_27merge_sort_block_merge_implIS3_N6thrust23THRUST_200600_302600_NS6detail15normal_iteratorINS9_10device_ptrIjEEEEPS5_m11less_div_10IjEEE10hipError_tT0_T1_T2_jT3_P12ihipStream_tbPNSt15iterator_traitsISJ_E10value_typeEPNSP_ISK_E10value_typeEPSL_NS1_7vsmem_tEENKUlT_SJ_SK_SL_E_clISE_PjSF_SF_EESI_SY_SJ_SK_SL_EUlSY_E_NS1_11comp_targetILNS1_3genE3ELNS1_11target_archE908ELNS1_3gpuE7ELNS1_3repE0EEENS1_48merge_mergepath_partition_config_static_selectorELNS0_4arch9wavefront6targetE0EEEvSK_.kd
    .uniform_work_group_size: 1
    .uses_dynamic_stack: false
    .vgpr_count:     0
    .vgpr_spill_count: 0
    .wavefront_size: 32
    .workgroup_processor_mode: 1
  - .args:
      - .offset:         0
        .size:           48
        .value_kind:     by_value
    .group_segment_fixed_size: 0
    .kernarg_segment_align: 8
    .kernarg_segment_size: 48
    .language:       OpenCL C
    .language_version:
      - 2
      - 0
    .max_flat_workgroup_size: 128
    .name:           _ZN7rocprim17ROCPRIM_400000_NS6detail17trampoline_kernelINS0_14default_configENS1_38merge_sort_block_merge_config_selectorIjNS0_10empty_typeEEEZZNS1_27merge_sort_block_merge_implIS3_N6thrust23THRUST_200600_302600_NS6detail15normal_iteratorINS9_10device_ptrIjEEEEPS5_m11less_div_10IjEEE10hipError_tT0_T1_T2_jT3_P12ihipStream_tbPNSt15iterator_traitsISJ_E10value_typeEPNSP_ISK_E10value_typeEPSL_NS1_7vsmem_tEENKUlT_SJ_SK_SL_E_clISE_PjSF_SF_EESI_SY_SJ_SK_SL_EUlSY_E_NS1_11comp_targetILNS1_3genE2ELNS1_11target_archE906ELNS1_3gpuE6ELNS1_3repE0EEENS1_48merge_mergepath_partition_config_static_selectorELNS0_4arch9wavefront6targetE0EEEvSK_
    .private_segment_fixed_size: 0
    .sgpr_count:     0
    .sgpr_spill_count: 0
    .symbol:         _ZN7rocprim17ROCPRIM_400000_NS6detail17trampoline_kernelINS0_14default_configENS1_38merge_sort_block_merge_config_selectorIjNS0_10empty_typeEEEZZNS1_27merge_sort_block_merge_implIS3_N6thrust23THRUST_200600_302600_NS6detail15normal_iteratorINS9_10device_ptrIjEEEEPS5_m11less_div_10IjEEE10hipError_tT0_T1_T2_jT3_P12ihipStream_tbPNSt15iterator_traitsISJ_E10value_typeEPNSP_ISK_E10value_typeEPSL_NS1_7vsmem_tEENKUlT_SJ_SK_SL_E_clISE_PjSF_SF_EESI_SY_SJ_SK_SL_EUlSY_E_NS1_11comp_targetILNS1_3genE2ELNS1_11target_archE906ELNS1_3gpuE6ELNS1_3repE0EEENS1_48merge_mergepath_partition_config_static_selectorELNS0_4arch9wavefront6targetE0EEEvSK_.kd
    .uniform_work_group_size: 1
    .uses_dynamic_stack: false
    .vgpr_count:     0
    .vgpr_spill_count: 0
    .wavefront_size: 32
    .workgroup_processor_mode: 1
  - .args:
      - .offset:         0
        .size:           48
        .value_kind:     by_value
    .group_segment_fixed_size: 0
    .kernarg_segment_align: 8
    .kernarg_segment_size: 48
    .language:       OpenCL C
    .language_version:
      - 2
      - 0
    .max_flat_workgroup_size: 128
    .name:           _ZN7rocprim17ROCPRIM_400000_NS6detail17trampoline_kernelINS0_14default_configENS1_38merge_sort_block_merge_config_selectorIjNS0_10empty_typeEEEZZNS1_27merge_sort_block_merge_implIS3_N6thrust23THRUST_200600_302600_NS6detail15normal_iteratorINS9_10device_ptrIjEEEEPS5_m11less_div_10IjEEE10hipError_tT0_T1_T2_jT3_P12ihipStream_tbPNSt15iterator_traitsISJ_E10value_typeEPNSP_ISK_E10value_typeEPSL_NS1_7vsmem_tEENKUlT_SJ_SK_SL_E_clISE_PjSF_SF_EESI_SY_SJ_SK_SL_EUlSY_E_NS1_11comp_targetILNS1_3genE9ELNS1_11target_archE1100ELNS1_3gpuE3ELNS1_3repE0EEENS1_48merge_mergepath_partition_config_static_selectorELNS0_4arch9wavefront6targetE0EEEvSK_
    .private_segment_fixed_size: 0
    .sgpr_count:     0
    .sgpr_spill_count: 0
    .symbol:         _ZN7rocprim17ROCPRIM_400000_NS6detail17trampoline_kernelINS0_14default_configENS1_38merge_sort_block_merge_config_selectorIjNS0_10empty_typeEEEZZNS1_27merge_sort_block_merge_implIS3_N6thrust23THRUST_200600_302600_NS6detail15normal_iteratorINS9_10device_ptrIjEEEEPS5_m11less_div_10IjEEE10hipError_tT0_T1_T2_jT3_P12ihipStream_tbPNSt15iterator_traitsISJ_E10value_typeEPNSP_ISK_E10value_typeEPSL_NS1_7vsmem_tEENKUlT_SJ_SK_SL_E_clISE_PjSF_SF_EESI_SY_SJ_SK_SL_EUlSY_E_NS1_11comp_targetILNS1_3genE9ELNS1_11target_archE1100ELNS1_3gpuE3ELNS1_3repE0EEENS1_48merge_mergepath_partition_config_static_selectorELNS0_4arch9wavefront6targetE0EEEvSK_.kd
    .uniform_work_group_size: 1
    .uses_dynamic_stack: false
    .vgpr_count:     0
    .vgpr_spill_count: 0
    .wavefront_size: 32
    .workgroup_processor_mode: 1
  - .args:
      - .offset:         0
        .size:           48
        .value_kind:     by_value
    .group_segment_fixed_size: 0
    .kernarg_segment_align: 8
    .kernarg_segment_size: 48
    .language:       OpenCL C
    .language_version:
      - 2
      - 0
    .max_flat_workgroup_size: 128
    .name:           _ZN7rocprim17ROCPRIM_400000_NS6detail17trampoline_kernelINS0_14default_configENS1_38merge_sort_block_merge_config_selectorIjNS0_10empty_typeEEEZZNS1_27merge_sort_block_merge_implIS3_N6thrust23THRUST_200600_302600_NS6detail15normal_iteratorINS9_10device_ptrIjEEEEPS5_m11less_div_10IjEEE10hipError_tT0_T1_T2_jT3_P12ihipStream_tbPNSt15iterator_traitsISJ_E10value_typeEPNSP_ISK_E10value_typeEPSL_NS1_7vsmem_tEENKUlT_SJ_SK_SL_E_clISE_PjSF_SF_EESI_SY_SJ_SK_SL_EUlSY_E_NS1_11comp_targetILNS1_3genE8ELNS1_11target_archE1030ELNS1_3gpuE2ELNS1_3repE0EEENS1_48merge_mergepath_partition_config_static_selectorELNS0_4arch9wavefront6targetE0EEEvSK_
    .private_segment_fixed_size: 0
    .sgpr_count:     10
    .sgpr_spill_count: 0
    .symbol:         _ZN7rocprim17ROCPRIM_400000_NS6detail17trampoline_kernelINS0_14default_configENS1_38merge_sort_block_merge_config_selectorIjNS0_10empty_typeEEEZZNS1_27merge_sort_block_merge_implIS3_N6thrust23THRUST_200600_302600_NS6detail15normal_iteratorINS9_10device_ptrIjEEEEPS5_m11less_div_10IjEEE10hipError_tT0_T1_T2_jT3_P12ihipStream_tbPNSt15iterator_traitsISJ_E10value_typeEPNSP_ISK_E10value_typeEPSL_NS1_7vsmem_tEENKUlT_SJ_SK_SL_E_clISE_PjSF_SF_EESI_SY_SJ_SK_SL_EUlSY_E_NS1_11comp_targetILNS1_3genE8ELNS1_11target_archE1030ELNS1_3gpuE2ELNS1_3repE0EEENS1_48merge_mergepath_partition_config_static_selectorELNS0_4arch9wavefront6targetE0EEEvSK_.kd
    .uniform_work_group_size: 1
    .uses_dynamic_stack: false
    .vgpr_count:     18
    .vgpr_spill_count: 0
    .wavefront_size: 32
    .workgroup_processor_mode: 1
  - .args:
      - .offset:         0
        .size:           72
        .value_kind:     by_value
    .group_segment_fixed_size: 0
    .kernarg_segment_align: 8
    .kernarg_segment_size: 72
    .language:       OpenCL C
    .language_version:
      - 2
      - 0
    .max_flat_workgroup_size: 128
    .name:           _ZN7rocprim17ROCPRIM_400000_NS6detail17trampoline_kernelINS0_14default_configENS1_38merge_sort_block_merge_config_selectorIjNS0_10empty_typeEEEZZNS1_27merge_sort_block_merge_implIS3_N6thrust23THRUST_200600_302600_NS6detail15normal_iteratorINS9_10device_ptrIjEEEEPS5_m11less_div_10IjEEE10hipError_tT0_T1_T2_jT3_P12ihipStream_tbPNSt15iterator_traitsISJ_E10value_typeEPNSP_ISK_E10value_typeEPSL_NS1_7vsmem_tEENKUlT_SJ_SK_SL_E_clISE_PjSF_SF_EESI_SY_SJ_SK_SL_EUlSY_E0_NS1_11comp_targetILNS1_3genE0ELNS1_11target_archE4294967295ELNS1_3gpuE0ELNS1_3repE0EEENS1_38merge_mergepath_config_static_selectorELNS0_4arch9wavefront6targetE0EEEvSK_
    .private_segment_fixed_size: 0
    .sgpr_count:     0
    .sgpr_spill_count: 0
    .symbol:         _ZN7rocprim17ROCPRIM_400000_NS6detail17trampoline_kernelINS0_14default_configENS1_38merge_sort_block_merge_config_selectorIjNS0_10empty_typeEEEZZNS1_27merge_sort_block_merge_implIS3_N6thrust23THRUST_200600_302600_NS6detail15normal_iteratorINS9_10device_ptrIjEEEEPS5_m11less_div_10IjEEE10hipError_tT0_T1_T2_jT3_P12ihipStream_tbPNSt15iterator_traitsISJ_E10value_typeEPNSP_ISK_E10value_typeEPSL_NS1_7vsmem_tEENKUlT_SJ_SK_SL_E_clISE_PjSF_SF_EESI_SY_SJ_SK_SL_EUlSY_E0_NS1_11comp_targetILNS1_3genE0ELNS1_11target_archE4294967295ELNS1_3gpuE0ELNS1_3repE0EEENS1_38merge_mergepath_config_static_selectorELNS0_4arch9wavefront6targetE0EEEvSK_.kd
    .uniform_work_group_size: 1
    .uses_dynamic_stack: false
    .vgpr_count:     0
    .vgpr_spill_count: 0
    .wavefront_size: 32
    .workgroup_processor_mode: 1
  - .args:
      - .offset:         0
        .size:           72
        .value_kind:     by_value
    .group_segment_fixed_size: 0
    .kernarg_segment_align: 8
    .kernarg_segment_size: 72
    .language:       OpenCL C
    .language_version:
      - 2
      - 0
    .max_flat_workgroup_size: 256
    .name:           _ZN7rocprim17ROCPRIM_400000_NS6detail17trampoline_kernelINS0_14default_configENS1_38merge_sort_block_merge_config_selectorIjNS0_10empty_typeEEEZZNS1_27merge_sort_block_merge_implIS3_N6thrust23THRUST_200600_302600_NS6detail15normal_iteratorINS9_10device_ptrIjEEEEPS5_m11less_div_10IjEEE10hipError_tT0_T1_T2_jT3_P12ihipStream_tbPNSt15iterator_traitsISJ_E10value_typeEPNSP_ISK_E10value_typeEPSL_NS1_7vsmem_tEENKUlT_SJ_SK_SL_E_clISE_PjSF_SF_EESI_SY_SJ_SK_SL_EUlSY_E0_NS1_11comp_targetILNS1_3genE10ELNS1_11target_archE1201ELNS1_3gpuE5ELNS1_3repE0EEENS1_38merge_mergepath_config_static_selectorELNS0_4arch9wavefront6targetE0EEEvSK_
    .private_segment_fixed_size: 0
    .sgpr_count:     0
    .sgpr_spill_count: 0
    .symbol:         _ZN7rocprim17ROCPRIM_400000_NS6detail17trampoline_kernelINS0_14default_configENS1_38merge_sort_block_merge_config_selectorIjNS0_10empty_typeEEEZZNS1_27merge_sort_block_merge_implIS3_N6thrust23THRUST_200600_302600_NS6detail15normal_iteratorINS9_10device_ptrIjEEEEPS5_m11less_div_10IjEEE10hipError_tT0_T1_T2_jT3_P12ihipStream_tbPNSt15iterator_traitsISJ_E10value_typeEPNSP_ISK_E10value_typeEPSL_NS1_7vsmem_tEENKUlT_SJ_SK_SL_E_clISE_PjSF_SF_EESI_SY_SJ_SK_SL_EUlSY_E0_NS1_11comp_targetILNS1_3genE10ELNS1_11target_archE1201ELNS1_3gpuE5ELNS1_3repE0EEENS1_38merge_mergepath_config_static_selectorELNS0_4arch9wavefront6targetE0EEEvSK_.kd
    .uniform_work_group_size: 1
    .uses_dynamic_stack: false
    .vgpr_count:     0
    .vgpr_spill_count: 0
    .wavefront_size: 32
    .workgroup_processor_mode: 1
  - .args:
      - .offset:         0
        .size:           72
        .value_kind:     by_value
    .group_segment_fixed_size: 0
    .kernarg_segment_align: 8
    .kernarg_segment_size: 72
    .language:       OpenCL C
    .language_version:
      - 2
      - 0
    .max_flat_workgroup_size: 128
    .name:           _ZN7rocprim17ROCPRIM_400000_NS6detail17trampoline_kernelINS0_14default_configENS1_38merge_sort_block_merge_config_selectorIjNS0_10empty_typeEEEZZNS1_27merge_sort_block_merge_implIS3_N6thrust23THRUST_200600_302600_NS6detail15normal_iteratorINS9_10device_ptrIjEEEEPS5_m11less_div_10IjEEE10hipError_tT0_T1_T2_jT3_P12ihipStream_tbPNSt15iterator_traitsISJ_E10value_typeEPNSP_ISK_E10value_typeEPSL_NS1_7vsmem_tEENKUlT_SJ_SK_SL_E_clISE_PjSF_SF_EESI_SY_SJ_SK_SL_EUlSY_E0_NS1_11comp_targetILNS1_3genE5ELNS1_11target_archE942ELNS1_3gpuE9ELNS1_3repE0EEENS1_38merge_mergepath_config_static_selectorELNS0_4arch9wavefront6targetE0EEEvSK_
    .private_segment_fixed_size: 0
    .sgpr_count:     0
    .sgpr_spill_count: 0
    .symbol:         _ZN7rocprim17ROCPRIM_400000_NS6detail17trampoline_kernelINS0_14default_configENS1_38merge_sort_block_merge_config_selectorIjNS0_10empty_typeEEEZZNS1_27merge_sort_block_merge_implIS3_N6thrust23THRUST_200600_302600_NS6detail15normal_iteratorINS9_10device_ptrIjEEEEPS5_m11less_div_10IjEEE10hipError_tT0_T1_T2_jT3_P12ihipStream_tbPNSt15iterator_traitsISJ_E10value_typeEPNSP_ISK_E10value_typeEPSL_NS1_7vsmem_tEENKUlT_SJ_SK_SL_E_clISE_PjSF_SF_EESI_SY_SJ_SK_SL_EUlSY_E0_NS1_11comp_targetILNS1_3genE5ELNS1_11target_archE942ELNS1_3gpuE9ELNS1_3repE0EEENS1_38merge_mergepath_config_static_selectorELNS0_4arch9wavefront6targetE0EEEvSK_.kd
    .uniform_work_group_size: 1
    .uses_dynamic_stack: false
    .vgpr_count:     0
    .vgpr_spill_count: 0
    .wavefront_size: 32
    .workgroup_processor_mode: 1
  - .args:
      - .offset:         0
        .size:           72
        .value_kind:     by_value
    .group_segment_fixed_size: 0
    .kernarg_segment_align: 8
    .kernarg_segment_size: 72
    .language:       OpenCL C
    .language_version:
      - 2
      - 0
    .max_flat_workgroup_size: 128
    .name:           _ZN7rocprim17ROCPRIM_400000_NS6detail17trampoline_kernelINS0_14default_configENS1_38merge_sort_block_merge_config_selectorIjNS0_10empty_typeEEEZZNS1_27merge_sort_block_merge_implIS3_N6thrust23THRUST_200600_302600_NS6detail15normal_iteratorINS9_10device_ptrIjEEEEPS5_m11less_div_10IjEEE10hipError_tT0_T1_T2_jT3_P12ihipStream_tbPNSt15iterator_traitsISJ_E10value_typeEPNSP_ISK_E10value_typeEPSL_NS1_7vsmem_tEENKUlT_SJ_SK_SL_E_clISE_PjSF_SF_EESI_SY_SJ_SK_SL_EUlSY_E0_NS1_11comp_targetILNS1_3genE4ELNS1_11target_archE910ELNS1_3gpuE8ELNS1_3repE0EEENS1_38merge_mergepath_config_static_selectorELNS0_4arch9wavefront6targetE0EEEvSK_
    .private_segment_fixed_size: 0
    .sgpr_count:     0
    .sgpr_spill_count: 0
    .symbol:         _ZN7rocprim17ROCPRIM_400000_NS6detail17trampoline_kernelINS0_14default_configENS1_38merge_sort_block_merge_config_selectorIjNS0_10empty_typeEEEZZNS1_27merge_sort_block_merge_implIS3_N6thrust23THRUST_200600_302600_NS6detail15normal_iteratorINS9_10device_ptrIjEEEEPS5_m11less_div_10IjEEE10hipError_tT0_T1_T2_jT3_P12ihipStream_tbPNSt15iterator_traitsISJ_E10value_typeEPNSP_ISK_E10value_typeEPSL_NS1_7vsmem_tEENKUlT_SJ_SK_SL_E_clISE_PjSF_SF_EESI_SY_SJ_SK_SL_EUlSY_E0_NS1_11comp_targetILNS1_3genE4ELNS1_11target_archE910ELNS1_3gpuE8ELNS1_3repE0EEENS1_38merge_mergepath_config_static_selectorELNS0_4arch9wavefront6targetE0EEEvSK_.kd
    .uniform_work_group_size: 1
    .uses_dynamic_stack: false
    .vgpr_count:     0
    .vgpr_spill_count: 0
    .wavefront_size: 32
    .workgroup_processor_mode: 1
  - .args:
      - .offset:         0
        .size:           72
        .value_kind:     by_value
    .group_segment_fixed_size: 0
    .kernarg_segment_align: 8
    .kernarg_segment_size: 72
    .language:       OpenCL C
    .language_version:
      - 2
      - 0
    .max_flat_workgroup_size: 128
    .name:           _ZN7rocprim17ROCPRIM_400000_NS6detail17trampoline_kernelINS0_14default_configENS1_38merge_sort_block_merge_config_selectorIjNS0_10empty_typeEEEZZNS1_27merge_sort_block_merge_implIS3_N6thrust23THRUST_200600_302600_NS6detail15normal_iteratorINS9_10device_ptrIjEEEEPS5_m11less_div_10IjEEE10hipError_tT0_T1_T2_jT3_P12ihipStream_tbPNSt15iterator_traitsISJ_E10value_typeEPNSP_ISK_E10value_typeEPSL_NS1_7vsmem_tEENKUlT_SJ_SK_SL_E_clISE_PjSF_SF_EESI_SY_SJ_SK_SL_EUlSY_E0_NS1_11comp_targetILNS1_3genE3ELNS1_11target_archE908ELNS1_3gpuE7ELNS1_3repE0EEENS1_38merge_mergepath_config_static_selectorELNS0_4arch9wavefront6targetE0EEEvSK_
    .private_segment_fixed_size: 0
    .sgpr_count:     0
    .sgpr_spill_count: 0
    .symbol:         _ZN7rocprim17ROCPRIM_400000_NS6detail17trampoline_kernelINS0_14default_configENS1_38merge_sort_block_merge_config_selectorIjNS0_10empty_typeEEEZZNS1_27merge_sort_block_merge_implIS3_N6thrust23THRUST_200600_302600_NS6detail15normal_iteratorINS9_10device_ptrIjEEEEPS5_m11less_div_10IjEEE10hipError_tT0_T1_T2_jT3_P12ihipStream_tbPNSt15iterator_traitsISJ_E10value_typeEPNSP_ISK_E10value_typeEPSL_NS1_7vsmem_tEENKUlT_SJ_SK_SL_E_clISE_PjSF_SF_EESI_SY_SJ_SK_SL_EUlSY_E0_NS1_11comp_targetILNS1_3genE3ELNS1_11target_archE908ELNS1_3gpuE7ELNS1_3repE0EEENS1_38merge_mergepath_config_static_selectorELNS0_4arch9wavefront6targetE0EEEvSK_.kd
    .uniform_work_group_size: 1
    .uses_dynamic_stack: false
    .vgpr_count:     0
    .vgpr_spill_count: 0
    .wavefront_size: 32
    .workgroup_processor_mode: 1
  - .args:
      - .offset:         0
        .size:           72
        .value_kind:     by_value
    .group_segment_fixed_size: 0
    .kernarg_segment_align: 8
    .kernarg_segment_size: 72
    .language:       OpenCL C
    .language_version:
      - 2
      - 0
    .max_flat_workgroup_size: 128
    .name:           _ZN7rocprim17ROCPRIM_400000_NS6detail17trampoline_kernelINS0_14default_configENS1_38merge_sort_block_merge_config_selectorIjNS0_10empty_typeEEEZZNS1_27merge_sort_block_merge_implIS3_N6thrust23THRUST_200600_302600_NS6detail15normal_iteratorINS9_10device_ptrIjEEEEPS5_m11less_div_10IjEEE10hipError_tT0_T1_T2_jT3_P12ihipStream_tbPNSt15iterator_traitsISJ_E10value_typeEPNSP_ISK_E10value_typeEPSL_NS1_7vsmem_tEENKUlT_SJ_SK_SL_E_clISE_PjSF_SF_EESI_SY_SJ_SK_SL_EUlSY_E0_NS1_11comp_targetILNS1_3genE2ELNS1_11target_archE906ELNS1_3gpuE6ELNS1_3repE0EEENS1_38merge_mergepath_config_static_selectorELNS0_4arch9wavefront6targetE0EEEvSK_
    .private_segment_fixed_size: 0
    .sgpr_count:     0
    .sgpr_spill_count: 0
    .symbol:         _ZN7rocprim17ROCPRIM_400000_NS6detail17trampoline_kernelINS0_14default_configENS1_38merge_sort_block_merge_config_selectorIjNS0_10empty_typeEEEZZNS1_27merge_sort_block_merge_implIS3_N6thrust23THRUST_200600_302600_NS6detail15normal_iteratorINS9_10device_ptrIjEEEEPS5_m11less_div_10IjEEE10hipError_tT0_T1_T2_jT3_P12ihipStream_tbPNSt15iterator_traitsISJ_E10value_typeEPNSP_ISK_E10value_typeEPSL_NS1_7vsmem_tEENKUlT_SJ_SK_SL_E_clISE_PjSF_SF_EESI_SY_SJ_SK_SL_EUlSY_E0_NS1_11comp_targetILNS1_3genE2ELNS1_11target_archE906ELNS1_3gpuE6ELNS1_3repE0EEENS1_38merge_mergepath_config_static_selectorELNS0_4arch9wavefront6targetE0EEEvSK_.kd
    .uniform_work_group_size: 1
    .uses_dynamic_stack: false
    .vgpr_count:     0
    .vgpr_spill_count: 0
    .wavefront_size: 32
    .workgroup_processor_mode: 1
  - .args:
      - .offset:         0
        .size:           72
        .value_kind:     by_value
    .group_segment_fixed_size: 0
    .kernarg_segment_align: 8
    .kernarg_segment_size: 72
    .language:       OpenCL C
    .language_version:
      - 2
      - 0
    .max_flat_workgroup_size: 256
    .name:           _ZN7rocprim17ROCPRIM_400000_NS6detail17trampoline_kernelINS0_14default_configENS1_38merge_sort_block_merge_config_selectorIjNS0_10empty_typeEEEZZNS1_27merge_sort_block_merge_implIS3_N6thrust23THRUST_200600_302600_NS6detail15normal_iteratorINS9_10device_ptrIjEEEEPS5_m11less_div_10IjEEE10hipError_tT0_T1_T2_jT3_P12ihipStream_tbPNSt15iterator_traitsISJ_E10value_typeEPNSP_ISK_E10value_typeEPSL_NS1_7vsmem_tEENKUlT_SJ_SK_SL_E_clISE_PjSF_SF_EESI_SY_SJ_SK_SL_EUlSY_E0_NS1_11comp_targetILNS1_3genE9ELNS1_11target_archE1100ELNS1_3gpuE3ELNS1_3repE0EEENS1_38merge_mergepath_config_static_selectorELNS0_4arch9wavefront6targetE0EEEvSK_
    .private_segment_fixed_size: 0
    .sgpr_count:     0
    .sgpr_spill_count: 0
    .symbol:         _ZN7rocprim17ROCPRIM_400000_NS6detail17trampoline_kernelINS0_14default_configENS1_38merge_sort_block_merge_config_selectorIjNS0_10empty_typeEEEZZNS1_27merge_sort_block_merge_implIS3_N6thrust23THRUST_200600_302600_NS6detail15normal_iteratorINS9_10device_ptrIjEEEEPS5_m11less_div_10IjEEE10hipError_tT0_T1_T2_jT3_P12ihipStream_tbPNSt15iterator_traitsISJ_E10value_typeEPNSP_ISK_E10value_typeEPSL_NS1_7vsmem_tEENKUlT_SJ_SK_SL_E_clISE_PjSF_SF_EESI_SY_SJ_SK_SL_EUlSY_E0_NS1_11comp_targetILNS1_3genE9ELNS1_11target_archE1100ELNS1_3gpuE3ELNS1_3repE0EEENS1_38merge_mergepath_config_static_selectorELNS0_4arch9wavefront6targetE0EEEvSK_.kd
    .uniform_work_group_size: 1
    .uses_dynamic_stack: false
    .vgpr_count:     0
    .vgpr_spill_count: 0
    .wavefront_size: 32
    .workgroup_processor_mode: 1
  - .args:
      - .offset:         0
        .size:           72
        .value_kind:     by_value
      - .offset:         72
        .size:           4
        .value_kind:     hidden_block_count_x
      - .offset:         76
        .size:           4
        .value_kind:     hidden_block_count_y
      - .offset:         80
        .size:           4
        .value_kind:     hidden_block_count_z
      - .offset:         84
        .size:           2
        .value_kind:     hidden_group_size_x
      - .offset:         86
        .size:           2
        .value_kind:     hidden_group_size_y
      - .offset:         88
        .size:           2
        .value_kind:     hidden_group_size_z
      - .offset:         90
        .size:           2
        .value_kind:     hidden_remainder_x
      - .offset:         92
        .size:           2
        .value_kind:     hidden_remainder_y
      - .offset:         94
        .size:           2
        .value_kind:     hidden_remainder_z
      - .offset:         112
        .size:           8
        .value_kind:     hidden_global_offset_x
      - .offset:         120
        .size:           8
        .value_kind:     hidden_global_offset_y
      - .offset:         128
        .size:           8
        .value_kind:     hidden_global_offset_z
      - .offset:         136
        .size:           2
        .value_kind:     hidden_grid_dims
    .group_segment_fixed_size: 4224
    .kernarg_segment_align: 8
    .kernarg_segment_size: 328
    .language:       OpenCL C
    .language_version:
      - 2
      - 0
    .max_flat_workgroup_size: 512
    .name:           _ZN7rocprim17ROCPRIM_400000_NS6detail17trampoline_kernelINS0_14default_configENS1_38merge_sort_block_merge_config_selectorIjNS0_10empty_typeEEEZZNS1_27merge_sort_block_merge_implIS3_N6thrust23THRUST_200600_302600_NS6detail15normal_iteratorINS9_10device_ptrIjEEEEPS5_m11less_div_10IjEEE10hipError_tT0_T1_T2_jT3_P12ihipStream_tbPNSt15iterator_traitsISJ_E10value_typeEPNSP_ISK_E10value_typeEPSL_NS1_7vsmem_tEENKUlT_SJ_SK_SL_E_clISE_PjSF_SF_EESI_SY_SJ_SK_SL_EUlSY_E0_NS1_11comp_targetILNS1_3genE8ELNS1_11target_archE1030ELNS1_3gpuE2ELNS1_3repE0EEENS1_38merge_mergepath_config_static_selectorELNS0_4arch9wavefront6targetE0EEEvSK_
    .private_segment_fixed_size: 0
    .sgpr_count:     33
    .sgpr_spill_count: 0
    .symbol:         _ZN7rocprim17ROCPRIM_400000_NS6detail17trampoline_kernelINS0_14default_configENS1_38merge_sort_block_merge_config_selectorIjNS0_10empty_typeEEEZZNS1_27merge_sort_block_merge_implIS3_N6thrust23THRUST_200600_302600_NS6detail15normal_iteratorINS9_10device_ptrIjEEEEPS5_m11less_div_10IjEEE10hipError_tT0_T1_T2_jT3_P12ihipStream_tbPNSt15iterator_traitsISJ_E10value_typeEPNSP_ISK_E10value_typeEPSL_NS1_7vsmem_tEENKUlT_SJ_SK_SL_E_clISE_PjSF_SF_EESI_SY_SJ_SK_SL_EUlSY_E0_NS1_11comp_targetILNS1_3genE8ELNS1_11target_archE1030ELNS1_3gpuE2ELNS1_3repE0EEENS1_38merge_mergepath_config_static_selectorELNS0_4arch9wavefront6targetE0EEEvSK_.kd
    .uniform_work_group_size: 1
    .uses_dynamic_stack: false
    .vgpr_count:     15
    .vgpr_spill_count: 0
    .wavefront_size: 32
    .workgroup_processor_mode: 1
  - .args:
      - .offset:         0
        .size:           56
        .value_kind:     by_value
    .group_segment_fixed_size: 0
    .kernarg_segment_align: 8
    .kernarg_segment_size: 56
    .language:       OpenCL C
    .language_version:
      - 2
      - 0
    .max_flat_workgroup_size: 256
    .name:           _ZN7rocprim17ROCPRIM_400000_NS6detail17trampoline_kernelINS0_14default_configENS1_38merge_sort_block_merge_config_selectorIjNS0_10empty_typeEEEZZNS1_27merge_sort_block_merge_implIS3_N6thrust23THRUST_200600_302600_NS6detail15normal_iteratorINS9_10device_ptrIjEEEEPS5_m11less_div_10IjEEE10hipError_tT0_T1_T2_jT3_P12ihipStream_tbPNSt15iterator_traitsISJ_E10value_typeEPNSP_ISK_E10value_typeEPSL_NS1_7vsmem_tEENKUlT_SJ_SK_SL_E_clISE_PjSF_SF_EESI_SY_SJ_SK_SL_EUlSY_E1_NS1_11comp_targetILNS1_3genE0ELNS1_11target_archE4294967295ELNS1_3gpuE0ELNS1_3repE0EEENS1_36merge_oddeven_config_static_selectorELNS0_4arch9wavefront6targetE0EEEvSK_
    .private_segment_fixed_size: 0
    .sgpr_count:     0
    .sgpr_spill_count: 0
    .symbol:         _ZN7rocprim17ROCPRIM_400000_NS6detail17trampoline_kernelINS0_14default_configENS1_38merge_sort_block_merge_config_selectorIjNS0_10empty_typeEEEZZNS1_27merge_sort_block_merge_implIS3_N6thrust23THRUST_200600_302600_NS6detail15normal_iteratorINS9_10device_ptrIjEEEEPS5_m11less_div_10IjEEE10hipError_tT0_T1_T2_jT3_P12ihipStream_tbPNSt15iterator_traitsISJ_E10value_typeEPNSP_ISK_E10value_typeEPSL_NS1_7vsmem_tEENKUlT_SJ_SK_SL_E_clISE_PjSF_SF_EESI_SY_SJ_SK_SL_EUlSY_E1_NS1_11comp_targetILNS1_3genE0ELNS1_11target_archE4294967295ELNS1_3gpuE0ELNS1_3repE0EEENS1_36merge_oddeven_config_static_selectorELNS0_4arch9wavefront6targetE0EEEvSK_.kd
    .uniform_work_group_size: 1
    .uses_dynamic_stack: false
    .vgpr_count:     0
    .vgpr_spill_count: 0
    .wavefront_size: 32
    .workgroup_processor_mode: 1
  - .args:
      - .offset:         0
        .size:           56
        .value_kind:     by_value
    .group_segment_fixed_size: 0
    .kernarg_segment_align: 8
    .kernarg_segment_size: 56
    .language:       OpenCL C
    .language_version:
      - 2
      - 0
    .max_flat_workgroup_size: 256
    .name:           _ZN7rocprim17ROCPRIM_400000_NS6detail17trampoline_kernelINS0_14default_configENS1_38merge_sort_block_merge_config_selectorIjNS0_10empty_typeEEEZZNS1_27merge_sort_block_merge_implIS3_N6thrust23THRUST_200600_302600_NS6detail15normal_iteratorINS9_10device_ptrIjEEEEPS5_m11less_div_10IjEEE10hipError_tT0_T1_T2_jT3_P12ihipStream_tbPNSt15iterator_traitsISJ_E10value_typeEPNSP_ISK_E10value_typeEPSL_NS1_7vsmem_tEENKUlT_SJ_SK_SL_E_clISE_PjSF_SF_EESI_SY_SJ_SK_SL_EUlSY_E1_NS1_11comp_targetILNS1_3genE10ELNS1_11target_archE1201ELNS1_3gpuE5ELNS1_3repE0EEENS1_36merge_oddeven_config_static_selectorELNS0_4arch9wavefront6targetE0EEEvSK_
    .private_segment_fixed_size: 0
    .sgpr_count:     0
    .sgpr_spill_count: 0
    .symbol:         _ZN7rocprim17ROCPRIM_400000_NS6detail17trampoline_kernelINS0_14default_configENS1_38merge_sort_block_merge_config_selectorIjNS0_10empty_typeEEEZZNS1_27merge_sort_block_merge_implIS3_N6thrust23THRUST_200600_302600_NS6detail15normal_iteratorINS9_10device_ptrIjEEEEPS5_m11less_div_10IjEEE10hipError_tT0_T1_T2_jT3_P12ihipStream_tbPNSt15iterator_traitsISJ_E10value_typeEPNSP_ISK_E10value_typeEPSL_NS1_7vsmem_tEENKUlT_SJ_SK_SL_E_clISE_PjSF_SF_EESI_SY_SJ_SK_SL_EUlSY_E1_NS1_11comp_targetILNS1_3genE10ELNS1_11target_archE1201ELNS1_3gpuE5ELNS1_3repE0EEENS1_36merge_oddeven_config_static_selectorELNS0_4arch9wavefront6targetE0EEEvSK_.kd
    .uniform_work_group_size: 1
    .uses_dynamic_stack: false
    .vgpr_count:     0
    .vgpr_spill_count: 0
    .wavefront_size: 32
    .workgroup_processor_mode: 1
  - .args:
      - .offset:         0
        .size:           56
        .value_kind:     by_value
    .group_segment_fixed_size: 0
    .kernarg_segment_align: 8
    .kernarg_segment_size: 56
    .language:       OpenCL C
    .language_version:
      - 2
      - 0
    .max_flat_workgroup_size: 256
    .name:           _ZN7rocprim17ROCPRIM_400000_NS6detail17trampoline_kernelINS0_14default_configENS1_38merge_sort_block_merge_config_selectorIjNS0_10empty_typeEEEZZNS1_27merge_sort_block_merge_implIS3_N6thrust23THRUST_200600_302600_NS6detail15normal_iteratorINS9_10device_ptrIjEEEEPS5_m11less_div_10IjEEE10hipError_tT0_T1_T2_jT3_P12ihipStream_tbPNSt15iterator_traitsISJ_E10value_typeEPNSP_ISK_E10value_typeEPSL_NS1_7vsmem_tEENKUlT_SJ_SK_SL_E_clISE_PjSF_SF_EESI_SY_SJ_SK_SL_EUlSY_E1_NS1_11comp_targetILNS1_3genE5ELNS1_11target_archE942ELNS1_3gpuE9ELNS1_3repE0EEENS1_36merge_oddeven_config_static_selectorELNS0_4arch9wavefront6targetE0EEEvSK_
    .private_segment_fixed_size: 0
    .sgpr_count:     0
    .sgpr_spill_count: 0
    .symbol:         _ZN7rocprim17ROCPRIM_400000_NS6detail17trampoline_kernelINS0_14default_configENS1_38merge_sort_block_merge_config_selectorIjNS0_10empty_typeEEEZZNS1_27merge_sort_block_merge_implIS3_N6thrust23THRUST_200600_302600_NS6detail15normal_iteratorINS9_10device_ptrIjEEEEPS5_m11less_div_10IjEEE10hipError_tT0_T1_T2_jT3_P12ihipStream_tbPNSt15iterator_traitsISJ_E10value_typeEPNSP_ISK_E10value_typeEPSL_NS1_7vsmem_tEENKUlT_SJ_SK_SL_E_clISE_PjSF_SF_EESI_SY_SJ_SK_SL_EUlSY_E1_NS1_11comp_targetILNS1_3genE5ELNS1_11target_archE942ELNS1_3gpuE9ELNS1_3repE0EEENS1_36merge_oddeven_config_static_selectorELNS0_4arch9wavefront6targetE0EEEvSK_.kd
    .uniform_work_group_size: 1
    .uses_dynamic_stack: false
    .vgpr_count:     0
    .vgpr_spill_count: 0
    .wavefront_size: 32
    .workgroup_processor_mode: 1
  - .args:
      - .offset:         0
        .size:           56
        .value_kind:     by_value
    .group_segment_fixed_size: 0
    .kernarg_segment_align: 8
    .kernarg_segment_size: 56
    .language:       OpenCL C
    .language_version:
      - 2
      - 0
    .max_flat_workgroup_size: 256
    .name:           _ZN7rocprim17ROCPRIM_400000_NS6detail17trampoline_kernelINS0_14default_configENS1_38merge_sort_block_merge_config_selectorIjNS0_10empty_typeEEEZZNS1_27merge_sort_block_merge_implIS3_N6thrust23THRUST_200600_302600_NS6detail15normal_iteratorINS9_10device_ptrIjEEEEPS5_m11less_div_10IjEEE10hipError_tT0_T1_T2_jT3_P12ihipStream_tbPNSt15iterator_traitsISJ_E10value_typeEPNSP_ISK_E10value_typeEPSL_NS1_7vsmem_tEENKUlT_SJ_SK_SL_E_clISE_PjSF_SF_EESI_SY_SJ_SK_SL_EUlSY_E1_NS1_11comp_targetILNS1_3genE4ELNS1_11target_archE910ELNS1_3gpuE8ELNS1_3repE0EEENS1_36merge_oddeven_config_static_selectorELNS0_4arch9wavefront6targetE0EEEvSK_
    .private_segment_fixed_size: 0
    .sgpr_count:     0
    .sgpr_spill_count: 0
    .symbol:         _ZN7rocprim17ROCPRIM_400000_NS6detail17trampoline_kernelINS0_14default_configENS1_38merge_sort_block_merge_config_selectorIjNS0_10empty_typeEEEZZNS1_27merge_sort_block_merge_implIS3_N6thrust23THRUST_200600_302600_NS6detail15normal_iteratorINS9_10device_ptrIjEEEEPS5_m11less_div_10IjEEE10hipError_tT0_T1_T2_jT3_P12ihipStream_tbPNSt15iterator_traitsISJ_E10value_typeEPNSP_ISK_E10value_typeEPSL_NS1_7vsmem_tEENKUlT_SJ_SK_SL_E_clISE_PjSF_SF_EESI_SY_SJ_SK_SL_EUlSY_E1_NS1_11comp_targetILNS1_3genE4ELNS1_11target_archE910ELNS1_3gpuE8ELNS1_3repE0EEENS1_36merge_oddeven_config_static_selectorELNS0_4arch9wavefront6targetE0EEEvSK_.kd
    .uniform_work_group_size: 1
    .uses_dynamic_stack: false
    .vgpr_count:     0
    .vgpr_spill_count: 0
    .wavefront_size: 32
    .workgroup_processor_mode: 1
  - .args:
      - .offset:         0
        .size:           56
        .value_kind:     by_value
    .group_segment_fixed_size: 0
    .kernarg_segment_align: 8
    .kernarg_segment_size: 56
    .language:       OpenCL C
    .language_version:
      - 2
      - 0
    .max_flat_workgroup_size: 256
    .name:           _ZN7rocprim17ROCPRIM_400000_NS6detail17trampoline_kernelINS0_14default_configENS1_38merge_sort_block_merge_config_selectorIjNS0_10empty_typeEEEZZNS1_27merge_sort_block_merge_implIS3_N6thrust23THRUST_200600_302600_NS6detail15normal_iteratorINS9_10device_ptrIjEEEEPS5_m11less_div_10IjEEE10hipError_tT0_T1_T2_jT3_P12ihipStream_tbPNSt15iterator_traitsISJ_E10value_typeEPNSP_ISK_E10value_typeEPSL_NS1_7vsmem_tEENKUlT_SJ_SK_SL_E_clISE_PjSF_SF_EESI_SY_SJ_SK_SL_EUlSY_E1_NS1_11comp_targetILNS1_3genE3ELNS1_11target_archE908ELNS1_3gpuE7ELNS1_3repE0EEENS1_36merge_oddeven_config_static_selectorELNS0_4arch9wavefront6targetE0EEEvSK_
    .private_segment_fixed_size: 0
    .sgpr_count:     0
    .sgpr_spill_count: 0
    .symbol:         _ZN7rocprim17ROCPRIM_400000_NS6detail17trampoline_kernelINS0_14default_configENS1_38merge_sort_block_merge_config_selectorIjNS0_10empty_typeEEEZZNS1_27merge_sort_block_merge_implIS3_N6thrust23THRUST_200600_302600_NS6detail15normal_iteratorINS9_10device_ptrIjEEEEPS5_m11less_div_10IjEEE10hipError_tT0_T1_T2_jT3_P12ihipStream_tbPNSt15iterator_traitsISJ_E10value_typeEPNSP_ISK_E10value_typeEPSL_NS1_7vsmem_tEENKUlT_SJ_SK_SL_E_clISE_PjSF_SF_EESI_SY_SJ_SK_SL_EUlSY_E1_NS1_11comp_targetILNS1_3genE3ELNS1_11target_archE908ELNS1_3gpuE7ELNS1_3repE0EEENS1_36merge_oddeven_config_static_selectorELNS0_4arch9wavefront6targetE0EEEvSK_.kd
    .uniform_work_group_size: 1
    .uses_dynamic_stack: false
    .vgpr_count:     0
    .vgpr_spill_count: 0
    .wavefront_size: 32
    .workgroup_processor_mode: 1
  - .args:
      - .offset:         0
        .size:           56
        .value_kind:     by_value
    .group_segment_fixed_size: 0
    .kernarg_segment_align: 8
    .kernarg_segment_size: 56
    .language:       OpenCL C
    .language_version:
      - 2
      - 0
    .max_flat_workgroup_size: 256
    .name:           _ZN7rocprim17ROCPRIM_400000_NS6detail17trampoline_kernelINS0_14default_configENS1_38merge_sort_block_merge_config_selectorIjNS0_10empty_typeEEEZZNS1_27merge_sort_block_merge_implIS3_N6thrust23THRUST_200600_302600_NS6detail15normal_iteratorINS9_10device_ptrIjEEEEPS5_m11less_div_10IjEEE10hipError_tT0_T1_T2_jT3_P12ihipStream_tbPNSt15iterator_traitsISJ_E10value_typeEPNSP_ISK_E10value_typeEPSL_NS1_7vsmem_tEENKUlT_SJ_SK_SL_E_clISE_PjSF_SF_EESI_SY_SJ_SK_SL_EUlSY_E1_NS1_11comp_targetILNS1_3genE2ELNS1_11target_archE906ELNS1_3gpuE6ELNS1_3repE0EEENS1_36merge_oddeven_config_static_selectorELNS0_4arch9wavefront6targetE0EEEvSK_
    .private_segment_fixed_size: 0
    .sgpr_count:     0
    .sgpr_spill_count: 0
    .symbol:         _ZN7rocprim17ROCPRIM_400000_NS6detail17trampoline_kernelINS0_14default_configENS1_38merge_sort_block_merge_config_selectorIjNS0_10empty_typeEEEZZNS1_27merge_sort_block_merge_implIS3_N6thrust23THRUST_200600_302600_NS6detail15normal_iteratorINS9_10device_ptrIjEEEEPS5_m11less_div_10IjEEE10hipError_tT0_T1_T2_jT3_P12ihipStream_tbPNSt15iterator_traitsISJ_E10value_typeEPNSP_ISK_E10value_typeEPSL_NS1_7vsmem_tEENKUlT_SJ_SK_SL_E_clISE_PjSF_SF_EESI_SY_SJ_SK_SL_EUlSY_E1_NS1_11comp_targetILNS1_3genE2ELNS1_11target_archE906ELNS1_3gpuE6ELNS1_3repE0EEENS1_36merge_oddeven_config_static_selectorELNS0_4arch9wavefront6targetE0EEEvSK_.kd
    .uniform_work_group_size: 1
    .uses_dynamic_stack: false
    .vgpr_count:     0
    .vgpr_spill_count: 0
    .wavefront_size: 32
    .workgroup_processor_mode: 1
  - .args:
      - .offset:         0
        .size:           56
        .value_kind:     by_value
    .group_segment_fixed_size: 0
    .kernarg_segment_align: 8
    .kernarg_segment_size: 56
    .language:       OpenCL C
    .language_version:
      - 2
      - 0
    .max_flat_workgroup_size: 256
    .name:           _ZN7rocprim17ROCPRIM_400000_NS6detail17trampoline_kernelINS0_14default_configENS1_38merge_sort_block_merge_config_selectorIjNS0_10empty_typeEEEZZNS1_27merge_sort_block_merge_implIS3_N6thrust23THRUST_200600_302600_NS6detail15normal_iteratorINS9_10device_ptrIjEEEEPS5_m11less_div_10IjEEE10hipError_tT0_T1_T2_jT3_P12ihipStream_tbPNSt15iterator_traitsISJ_E10value_typeEPNSP_ISK_E10value_typeEPSL_NS1_7vsmem_tEENKUlT_SJ_SK_SL_E_clISE_PjSF_SF_EESI_SY_SJ_SK_SL_EUlSY_E1_NS1_11comp_targetILNS1_3genE9ELNS1_11target_archE1100ELNS1_3gpuE3ELNS1_3repE0EEENS1_36merge_oddeven_config_static_selectorELNS0_4arch9wavefront6targetE0EEEvSK_
    .private_segment_fixed_size: 0
    .sgpr_count:     0
    .sgpr_spill_count: 0
    .symbol:         _ZN7rocprim17ROCPRIM_400000_NS6detail17trampoline_kernelINS0_14default_configENS1_38merge_sort_block_merge_config_selectorIjNS0_10empty_typeEEEZZNS1_27merge_sort_block_merge_implIS3_N6thrust23THRUST_200600_302600_NS6detail15normal_iteratorINS9_10device_ptrIjEEEEPS5_m11less_div_10IjEEE10hipError_tT0_T1_T2_jT3_P12ihipStream_tbPNSt15iterator_traitsISJ_E10value_typeEPNSP_ISK_E10value_typeEPSL_NS1_7vsmem_tEENKUlT_SJ_SK_SL_E_clISE_PjSF_SF_EESI_SY_SJ_SK_SL_EUlSY_E1_NS1_11comp_targetILNS1_3genE9ELNS1_11target_archE1100ELNS1_3gpuE3ELNS1_3repE0EEENS1_36merge_oddeven_config_static_selectorELNS0_4arch9wavefront6targetE0EEEvSK_.kd
    .uniform_work_group_size: 1
    .uses_dynamic_stack: false
    .vgpr_count:     0
    .vgpr_spill_count: 0
    .wavefront_size: 32
    .workgroup_processor_mode: 1
  - .args:
      - .offset:         0
        .size:           56
        .value_kind:     by_value
    .group_segment_fixed_size: 0
    .kernarg_segment_align: 8
    .kernarg_segment_size: 56
    .language:       OpenCL C
    .language_version:
      - 2
      - 0
    .max_flat_workgroup_size: 256
    .name:           _ZN7rocprim17ROCPRIM_400000_NS6detail17trampoline_kernelINS0_14default_configENS1_38merge_sort_block_merge_config_selectorIjNS0_10empty_typeEEEZZNS1_27merge_sort_block_merge_implIS3_N6thrust23THRUST_200600_302600_NS6detail15normal_iteratorINS9_10device_ptrIjEEEEPS5_m11less_div_10IjEEE10hipError_tT0_T1_T2_jT3_P12ihipStream_tbPNSt15iterator_traitsISJ_E10value_typeEPNSP_ISK_E10value_typeEPSL_NS1_7vsmem_tEENKUlT_SJ_SK_SL_E_clISE_PjSF_SF_EESI_SY_SJ_SK_SL_EUlSY_E1_NS1_11comp_targetILNS1_3genE8ELNS1_11target_archE1030ELNS1_3gpuE2ELNS1_3repE0EEENS1_36merge_oddeven_config_static_selectorELNS0_4arch9wavefront6targetE0EEEvSK_
    .private_segment_fixed_size: 0
    .sgpr_count:     18
    .sgpr_spill_count: 0
    .symbol:         _ZN7rocprim17ROCPRIM_400000_NS6detail17trampoline_kernelINS0_14default_configENS1_38merge_sort_block_merge_config_selectorIjNS0_10empty_typeEEEZZNS1_27merge_sort_block_merge_implIS3_N6thrust23THRUST_200600_302600_NS6detail15normal_iteratorINS9_10device_ptrIjEEEEPS5_m11less_div_10IjEEE10hipError_tT0_T1_T2_jT3_P12ihipStream_tbPNSt15iterator_traitsISJ_E10value_typeEPNSP_ISK_E10value_typeEPSL_NS1_7vsmem_tEENKUlT_SJ_SK_SL_E_clISE_PjSF_SF_EESI_SY_SJ_SK_SL_EUlSY_E1_NS1_11comp_targetILNS1_3genE8ELNS1_11target_archE1030ELNS1_3gpuE2ELNS1_3repE0EEENS1_36merge_oddeven_config_static_selectorELNS0_4arch9wavefront6targetE0EEEvSK_.kd
    .uniform_work_group_size: 1
    .uses_dynamic_stack: false
    .vgpr_count:     9
    .vgpr_spill_count: 0
    .wavefront_size: 32
    .workgroup_processor_mode: 1
  - .args:
      - .offset:         0
        .size:           40
        .value_kind:     by_value
    .group_segment_fixed_size: 0
    .kernarg_segment_align: 8
    .kernarg_segment_size: 40
    .language:       OpenCL C
    .language_version:
      - 2
      - 0
    .max_flat_workgroup_size: 128
    .name:           _ZN7rocprim17ROCPRIM_400000_NS6detail17trampoline_kernelINS0_14default_configENS1_25transform_config_selectorIjLb0EEEZNS1_14transform_implILb0ES3_S5_PjN6thrust23THRUST_200600_302600_NS6detail15normal_iteratorINS9_10device_ptrIjEEEENS0_8identityIjEEEE10hipError_tT2_T3_mT4_P12ihipStream_tbEUlT_E_NS1_11comp_targetILNS1_3genE0ELNS1_11target_archE4294967295ELNS1_3gpuE0ELNS1_3repE0EEENS1_30default_config_static_selectorELNS0_4arch9wavefront6targetE0EEEvT1_
    .private_segment_fixed_size: 0
    .sgpr_count:     0
    .sgpr_spill_count: 0
    .symbol:         _ZN7rocprim17ROCPRIM_400000_NS6detail17trampoline_kernelINS0_14default_configENS1_25transform_config_selectorIjLb0EEEZNS1_14transform_implILb0ES3_S5_PjN6thrust23THRUST_200600_302600_NS6detail15normal_iteratorINS9_10device_ptrIjEEEENS0_8identityIjEEEE10hipError_tT2_T3_mT4_P12ihipStream_tbEUlT_E_NS1_11comp_targetILNS1_3genE0ELNS1_11target_archE4294967295ELNS1_3gpuE0ELNS1_3repE0EEENS1_30default_config_static_selectorELNS0_4arch9wavefront6targetE0EEEvT1_.kd
    .uniform_work_group_size: 1
    .uses_dynamic_stack: false
    .vgpr_count:     0
    .vgpr_spill_count: 0
    .wavefront_size: 32
    .workgroup_processor_mode: 1
  - .args:
      - .offset:         0
        .size:           40
        .value_kind:     by_value
    .group_segment_fixed_size: 0
    .kernarg_segment_align: 8
    .kernarg_segment_size: 40
    .language:       OpenCL C
    .language_version:
      - 2
      - 0
    .max_flat_workgroup_size: 512
    .name:           _ZN7rocprim17ROCPRIM_400000_NS6detail17trampoline_kernelINS0_14default_configENS1_25transform_config_selectorIjLb0EEEZNS1_14transform_implILb0ES3_S5_PjN6thrust23THRUST_200600_302600_NS6detail15normal_iteratorINS9_10device_ptrIjEEEENS0_8identityIjEEEE10hipError_tT2_T3_mT4_P12ihipStream_tbEUlT_E_NS1_11comp_targetILNS1_3genE5ELNS1_11target_archE942ELNS1_3gpuE9ELNS1_3repE0EEENS1_30default_config_static_selectorELNS0_4arch9wavefront6targetE0EEEvT1_
    .private_segment_fixed_size: 0
    .sgpr_count:     0
    .sgpr_spill_count: 0
    .symbol:         _ZN7rocprim17ROCPRIM_400000_NS6detail17trampoline_kernelINS0_14default_configENS1_25transform_config_selectorIjLb0EEEZNS1_14transform_implILb0ES3_S5_PjN6thrust23THRUST_200600_302600_NS6detail15normal_iteratorINS9_10device_ptrIjEEEENS0_8identityIjEEEE10hipError_tT2_T3_mT4_P12ihipStream_tbEUlT_E_NS1_11comp_targetILNS1_3genE5ELNS1_11target_archE942ELNS1_3gpuE9ELNS1_3repE0EEENS1_30default_config_static_selectorELNS0_4arch9wavefront6targetE0EEEvT1_.kd
    .uniform_work_group_size: 1
    .uses_dynamic_stack: false
    .vgpr_count:     0
    .vgpr_spill_count: 0
    .wavefront_size: 32
    .workgroup_processor_mode: 1
  - .args:
      - .offset:         0
        .size:           40
        .value_kind:     by_value
    .group_segment_fixed_size: 0
    .kernarg_segment_align: 8
    .kernarg_segment_size: 40
    .language:       OpenCL C
    .language_version:
      - 2
      - 0
    .max_flat_workgroup_size: 1024
    .name:           _ZN7rocprim17ROCPRIM_400000_NS6detail17trampoline_kernelINS0_14default_configENS1_25transform_config_selectorIjLb0EEEZNS1_14transform_implILb0ES3_S5_PjN6thrust23THRUST_200600_302600_NS6detail15normal_iteratorINS9_10device_ptrIjEEEENS0_8identityIjEEEE10hipError_tT2_T3_mT4_P12ihipStream_tbEUlT_E_NS1_11comp_targetILNS1_3genE4ELNS1_11target_archE910ELNS1_3gpuE8ELNS1_3repE0EEENS1_30default_config_static_selectorELNS0_4arch9wavefront6targetE0EEEvT1_
    .private_segment_fixed_size: 0
    .sgpr_count:     0
    .sgpr_spill_count: 0
    .symbol:         _ZN7rocprim17ROCPRIM_400000_NS6detail17trampoline_kernelINS0_14default_configENS1_25transform_config_selectorIjLb0EEEZNS1_14transform_implILb0ES3_S5_PjN6thrust23THRUST_200600_302600_NS6detail15normal_iteratorINS9_10device_ptrIjEEEENS0_8identityIjEEEE10hipError_tT2_T3_mT4_P12ihipStream_tbEUlT_E_NS1_11comp_targetILNS1_3genE4ELNS1_11target_archE910ELNS1_3gpuE8ELNS1_3repE0EEENS1_30default_config_static_selectorELNS0_4arch9wavefront6targetE0EEEvT1_.kd
    .uniform_work_group_size: 1
    .uses_dynamic_stack: false
    .vgpr_count:     0
    .vgpr_spill_count: 0
    .wavefront_size: 32
    .workgroup_processor_mode: 1
  - .args:
      - .offset:         0
        .size:           40
        .value_kind:     by_value
    .group_segment_fixed_size: 0
    .kernarg_segment_align: 8
    .kernarg_segment_size: 40
    .language:       OpenCL C
    .language_version:
      - 2
      - 0
    .max_flat_workgroup_size: 128
    .name:           _ZN7rocprim17ROCPRIM_400000_NS6detail17trampoline_kernelINS0_14default_configENS1_25transform_config_selectorIjLb0EEEZNS1_14transform_implILb0ES3_S5_PjN6thrust23THRUST_200600_302600_NS6detail15normal_iteratorINS9_10device_ptrIjEEEENS0_8identityIjEEEE10hipError_tT2_T3_mT4_P12ihipStream_tbEUlT_E_NS1_11comp_targetILNS1_3genE3ELNS1_11target_archE908ELNS1_3gpuE7ELNS1_3repE0EEENS1_30default_config_static_selectorELNS0_4arch9wavefront6targetE0EEEvT1_
    .private_segment_fixed_size: 0
    .sgpr_count:     0
    .sgpr_spill_count: 0
    .symbol:         _ZN7rocprim17ROCPRIM_400000_NS6detail17trampoline_kernelINS0_14default_configENS1_25transform_config_selectorIjLb0EEEZNS1_14transform_implILb0ES3_S5_PjN6thrust23THRUST_200600_302600_NS6detail15normal_iteratorINS9_10device_ptrIjEEEENS0_8identityIjEEEE10hipError_tT2_T3_mT4_P12ihipStream_tbEUlT_E_NS1_11comp_targetILNS1_3genE3ELNS1_11target_archE908ELNS1_3gpuE7ELNS1_3repE0EEENS1_30default_config_static_selectorELNS0_4arch9wavefront6targetE0EEEvT1_.kd
    .uniform_work_group_size: 1
    .uses_dynamic_stack: false
    .vgpr_count:     0
    .vgpr_spill_count: 0
    .wavefront_size: 32
    .workgroup_processor_mode: 1
  - .args:
      - .offset:         0
        .size:           40
        .value_kind:     by_value
    .group_segment_fixed_size: 0
    .kernarg_segment_align: 8
    .kernarg_segment_size: 40
    .language:       OpenCL C
    .language_version:
      - 2
      - 0
    .max_flat_workgroup_size: 1024
    .name:           _ZN7rocprim17ROCPRIM_400000_NS6detail17trampoline_kernelINS0_14default_configENS1_25transform_config_selectorIjLb0EEEZNS1_14transform_implILb0ES3_S5_PjN6thrust23THRUST_200600_302600_NS6detail15normal_iteratorINS9_10device_ptrIjEEEENS0_8identityIjEEEE10hipError_tT2_T3_mT4_P12ihipStream_tbEUlT_E_NS1_11comp_targetILNS1_3genE2ELNS1_11target_archE906ELNS1_3gpuE6ELNS1_3repE0EEENS1_30default_config_static_selectorELNS0_4arch9wavefront6targetE0EEEvT1_
    .private_segment_fixed_size: 0
    .sgpr_count:     0
    .sgpr_spill_count: 0
    .symbol:         _ZN7rocprim17ROCPRIM_400000_NS6detail17trampoline_kernelINS0_14default_configENS1_25transform_config_selectorIjLb0EEEZNS1_14transform_implILb0ES3_S5_PjN6thrust23THRUST_200600_302600_NS6detail15normal_iteratorINS9_10device_ptrIjEEEENS0_8identityIjEEEE10hipError_tT2_T3_mT4_P12ihipStream_tbEUlT_E_NS1_11comp_targetILNS1_3genE2ELNS1_11target_archE906ELNS1_3gpuE6ELNS1_3repE0EEENS1_30default_config_static_selectorELNS0_4arch9wavefront6targetE0EEEvT1_.kd
    .uniform_work_group_size: 1
    .uses_dynamic_stack: false
    .vgpr_count:     0
    .vgpr_spill_count: 0
    .wavefront_size: 32
    .workgroup_processor_mode: 1
  - .args:
      - .offset:         0
        .size:           40
        .value_kind:     by_value
    .group_segment_fixed_size: 0
    .kernarg_segment_align: 8
    .kernarg_segment_size: 40
    .language:       OpenCL C
    .language_version:
      - 2
      - 0
    .max_flat_workgroup_size: 1024
    .name:           _ZN7rocprim17ROCPRIM_400000_NS6detail17trampoline_kernelINS0_14default_configENS1_25transform_config_selectorIjLb0EEEZNS1_14transform_implILb0ES3_S5_PjN6thrust23THRUST_200600_302600_NS6detail15normal_iteratorINS9_10device_ptrIjEEEENS0_8identityIjEEEE10hipError_tT2_T3_mT4_P12ihipStream_tbEUlT_E_NS1_11comp_targetILNS1_3genE10ELNS1_11target_archE1201ELNS1_3gpuE5ELNS1_3repE0EEENS1_30default_config_static_selectorELNS0_4arch9wavefront6targetE0EEEvT1_
    .private_segment_fixed_size: 0
    .sgpr_count:     0
    .sgpr_spill_count: 0
    .symbol:         _ZN7rocprim17ROCPRIM_400000_NS6detail17trampoline_kernelINS0_14default_configENS1_25transform_config_selectorIjLb0EEEZNS1_14transform_implILb0ES3_S5_PjN6thrust23THRUST_200600_302600_NS6detail15normal_iteratorINS9_10device_ptrIjEEEENS0_8identityIjEEEE10hipError_tT2_T3_mT4_P12ihipStream_tbEUlT_E_NS1_11comp_targetILNS1_3genE10ELNS1_11target_archE1201ELNS1_3gpuE5ELNS1_3repE0EEENS1_30default_config_static_selectorELNS0_4arch9wavefront6targetE0EEEvT1_.kd
    .uniform_work_group_size: 1
    .uses_dynamic_stack: false
    .vgpr_count:     0
    .vgpr_spill_count: 0
    .wavefront_size: 32
    .workgroup_processor_mode: 1
  - .args:
      - .offset:         0
        .size:           40
        .value_kind:     by_value
    .group_segment_fixed_size: 0
    .kernarg_segment_align: 8
    .kernarg_segment_size: 40
    .language:       OpenCL C
    .language_version:
      - 2
      - 0
    .max_flat_workgroup_size: 512
    .name:           _ZN7rocprim17ROCPRIM_400000_NS6detail17trampoline_kernelINS0_14default_configENS1_25transform_config_selectorIjLb0EEEZNS1_14transform_implILb0ES3_S5_PjN6thrust23THRUST_200600_302600_NS6detail15normal_iteratorINS9_10device_ptrIjEEEENS0_8identityIjEEEE10hipError_tT2_T3_mT4_P12ihipStream_tbEUlT_E_NS1_11comp_targetILNS1_3genE10ELNS1_11target_archE1200ELNS1_3gpuE4ELNS1_3repE0EEENS1_30default_config_static_selectorELNS0_4arch9wavefront6targetE0EEEvT1_
    .private_segment_fixed_size: 0
    .sgpr_count:     0
    .sgpr_spill_count: 0
    .symbol:         _ZN7rocprim17ROCPRIM_400000_NS6detail17trampoline_kernelINS0_14default_configENS1_25transform_config_selectorIjLb0EEEZNS1_14transform_implILb0ES3_S5_PjN6thrust23THRUST_200600_302600_NS6detail15normal_iteratorINS9_10device_ptrIjEEEENS0_8identityIjEEEE10hipError_tT2_T3_mT4_P12ihipStream_tbEUlT_E_NS1_11comp_targetILNS1_3genE10ELNS1_11target_archE1200ELNS1_3gpuE4ELNS1_3repE0EEENS1_30default_config_static_selectorELNS0_4arch9wavefront6targetE0EEEvT1_.kd
    .uniform_work_group_size: 1
    .uses_dynamic_stack: false
    .vgpr_count:     0
    .vgpr_spill_count: 0
    .wavefront_size: 32
    .workgroup_processor_mode: 1
  - .args:
      - .offset:         0
        .size:           40
        .value_kind:     by_value
    .group_segment_fixed_size: 0
    .kernarg_segment_align: 8
    .kernarg_segment_size: 40
    .language:       OpenCL C
    .language_version:
      - 2
      - 0
    .max_flat_workgroup_size: 64
    .name:           _ZN7rocprim17ROCPRIM_400000_NS6detail17trampoline_kernelINS0_14default_configENS1_25transform_config_selectorIjLb0EEEZNS1_14transform_implILb0ES3_S5_PjN6thrust23THRUST_200600_302600_NS6detail15normal_iteratorINS9_10device_ptrIjEEEENS0_8identityIjEEEE10hipError_tT2_T3_mT4_P12ihipStream_tbEUlT_E_NS1_11comp_targetILNS1_3genE9ELNS1_11target_archE1100ELNS1_3gpuE3ELNS1_3repE0EEENS1_30default_config_static_selectorELNS0_4arch9wavefront6targetE0EEEvT1_
    .private_segment_fixed_size: 0
    .sgpr_count:     0
    .sgpr_spill_count: 0
    .symbol:         _ZN7rocprim17ROCPRIM_400000_NS6detail17trampoline_kernelINS0_14default_configENS1_25transform_config_selectorIjLb0EEEZNS1_14transform_implILb0ES3_S5_PjN6thrust23THRUST_200600_302600_NS6detail15normal_iteratorINS9_10device_ptrIjEEEENS0_8identityIjEEEE10hipError_tT2_T3_mT4_P12ihipStream_tbEUlT_E_NS1_11comp_targetILNS1_3genE9ELNS1_11target_archE1100ELNS1_3gpuE3ELNS1_3repE0EEENS1_30default_config_static_selectorELNS0_4arch9wavefront6targetE0EEEvT1_.kd
    .uniform_work_group_size: 1
    .uses_dynamic_stack: false
    .vgpr_count:     0
    .vgpr_spill_count: 0
    .wavefront_size: 32
    .workgroup_processor_mode: 1
  - .args:
      - .offset:         0
        .size:           40
        .value_kind:     by_value
      - .offset:         40
        .size:           4
        .value_kind:     hidden_block_count_x
      - .offset:         44
        .size:           4
        .value_kind:     hidden_block_count_y
      - .offset:         48
        .size:           4
        .value_kind:     hidden_block_count_z
      - .offset:         52
        .size:           2
        .value_kind:     hidden_group_size_x
      - .offset:         54
        .size:           2
        .value_kind:     hidden_group_size_y
      - .offset:         56
        .size:           2
        .value_kind:     hidden_group_size_z
      - .offset:         58
        .size:           2
        .value_kind:     hidden_remainder_x
      - .offset:         60
        .size:           2
        .value_kind:     hidden_remainder_y
      - .offset:         62
        .size:           2
        .value_kind:     hidden_remainder_z
      - .offset:         80
        .size:           8
        .value_kind:     hidden_global_offset_x
      - .offset:         88
        .size:           8
        .value_kind:     hidden_global_offset_y
      - .offset:         96
        .size:           8
        .value_kind:     hidden_global_offset_z
      - .offset:         104
        .size:           2
        .value_kind:     hidden_grid_dims
    .group_segment_fixed_size: 0
    .kernarg_segment_align: 8
    .kernarg_segment_size: 296
    .language:       OpenCL C
    .language_version:
      - 2
      - 0
    .max_flat_workgroup_size: 256
    .name:           _ZN7rocprim17ROCPRIM_400000_NS6detail17trampoline_kernelINS0_14default_configENS1_25transform_config_selectorIjLb0EEEZNS1_14transform_implILb0ES3_S5_PjN6thrust23THRUST_200600_302600_NS6detail15normal_iteratorINS9_10device_ptrIjEEEENS0_8identityIjEEEE10hipError_tT2_T3_mT4_P12ihipStream_tbEUlT_E_NS1_11comp_targetILNS1_3genE8ELNS1_11target_archE1030ELNS1_3gpuE2ELNS1_3repE0EEENS1_30default_config_static_selectorELNS0_4arch9wavefront6targetE0EEEvT1_
    .private_segment_fixed_size: 0
    .sgpr_count:     14
    .sgpr_spill_count: 0
    .symbol:         _ZN7rocprim17ROCPRIM_400000_NS6detail17trampoline_kernelINS0_14default_configENS1_25transform_config_selectorIjLb0EEEZNS1_14transform_implILb0ES3_S5_PjN6thrust23THRUST_200600_302600_NS6detail15normal_iteratorINS9_10device_ptrIjEEEENS0_8identityIjEEEE10hipError_tT2_T3_mT4_P12ihipStream_tbEUlT_E_NS1_11comp_targetILNS1_3genE8ELNS1_11target_archE1030ELNS1_3gpuE2ELNS1_3repE0EEENS1_30default_config_static_selectorELNS0_4arch9wavefront6targetE0EEEvT1_.kd
    .uniform_work_group_size: 1
    .uses_dynamic_stack: false
    .vgpr_count:     3
    .vgpr_spill_count: 0
    .wavefront_size: 32
    .workgroup_processor_mode: 1
  - .args:
      - .offset:         0
        .size:           104
        .value_kind:     by_value
    .group_segment_fixed_size: 0
    .kernarg_segment_align: 8
    .kernarg_segment_size: 104
    .language:       OpenCL C
    .language_version:
      - 2
      - 0
    .max_flat_workgroup_size: 128
    .name:           _ZN7rocprim17ROCPRIM_400000_NS6detail17trampoline_kernelINS0_14default_configENS1_22reduce_config_selectorIN6thrust23THRUST_200600_302600_NS5tupleIblNS6_9null_typeES8_S8_S8_S8_S8_S8_S8_EEEEZNS1_11reduce_implILb1ES3_NS6_12zip_iteratorINS7_INS6_11hip_rocprim26transform_input_iterator_tIbNSD_35transform_pair_of_input_iterators_tIbNS6_6detail15normal_iteratorINS6_10device_ptrIKjEEEESL_NS6_8equal_toIjEEEENSG_9not_fun_tINSD_8identityEEEEENSD_19counting_iterator_tIlEES8_S8_S8_S8_S8_S8_S8_S8_EEEEPS9_S9_NSD_9__find_if7functorIS9_EEEE10hipError_tPvRmT1_T2_T3_mT4_P12ihipStream_tbEUlT_E0_NS1_11comp_targetILNS1_3genE0ELNS1_11target_archE4294967295ELNS1_3gpuE0ELNS1_3repE0EEENS1_30default_config_static_selectorELNS0_4arch9wavefront6targetE0EEEvS14_
    .private_segment_fixed_size: 0
    .sgpr_count:     0
    .sgpr_spill_count: 0
    .symbol:         _ZN7rocprim17ROCPRIM_400000_NS6detail17trampoline_kernelINS0_14default_configENS1_22reduce_config_selectorIN6thrust23THRUST_200600_302600_NS5tupleIblNS6_9null_typeES8_S8_S8_S8_S8_S8_S8_EEEEZNS1_11reduce_implILb1ES3_NS6_12zip_iteratorINS7_INS6_11hip_rocprim26transform_input_iterator_tIbNSD_35transform_pair_of_input_iterators_tIbNS6_6detail15normal_iteratorINS6_10device_ptrIKjEEEESL_NS6_8equal_toIjEEEENSG_9not_fun_tINSD_8identityEEEEENSD_19counting_iterator_tIlEES8_S8_S8_S8_S8_S8_S8_S8_EEEEPS9_S9_NSD_9__find_if7functorIS9_EEEE10hipError_tPvRmT1_T2_T3_mT4_P12ihipStream_tbEUlT_E0_NS1_11comp_targetILNS1_3genE0ELNS1_11target_archE4294967295ELNS1_3gpuE0ELNS1_3repE0EEENS1_30default_config_static_selectorELNS0_4arch9wavefront6targetE0EEEvS14_.kd
    .uniform_work_group_size: 1
    .uses_dynamic_stack: false
    .vgpr_count:     0
    .vgpr_spill_count: 0
    .wavefront_size: 32
    .workgroup_processor_mode: 1
  - .args:
      - .offset:         0
        .size:           104
        .value_kind:     by_value
    .group_segment_fixed_size: 0
    .kernarg_segment_align: 8
    .kernarg_segment_size: 104
    .language:       OpenCL C
    .language_version:
      - 2
      - 0
    .max_flat_workgroup_size: 256
    .name:           _ZN7rocprim17ROCPRIM_400000_NS6detail17trampoline_kernelINS0_14default_configENS1_22reduce_config_selectorIN6thrust23THRUST_200600_302600_NS5tupleIblNS6_9null_typeES8_S8_S8_S8_S8_S8_S8_EEEEZNS1_11reduce_implILb1ES3_NS6_12zip_iteratorINS7_INS6_11hip_rocprim26transform_input_iterator_tIbNSD_35transform_pair_of_input_iterators_tIbNS6_6detail15normal_iteratorINS6_10device_ptrIKjEEEESL_NS6_8equal_toIjEEEENSG_9not_fun_tINSD_8identityEEEEENSD_19counting_iterator_tIlEES8_S8_S8_S8_S8_S8_S8_S8_EEEEPS9_S9_NSD_9__find_if7functorIS9_EEEE10hipError_tPvRmT1_T2_T3_mT4_P12ihipStream_tbEUlT_E0_NS1_11comp_targetILNS1_3genE5ELNS1_11target_archE942ELNS1_3gpuE9ELNS1_3repE0EEENS1_30default_config_static_selectorELNS0_4arch9wavefront6targetE0EEEvS14_
    .private_segment_fixed_size: 0
    .sgpr_count:     0
    .sgpr_spill_count: 0
    .symbol:         _ZN7rocprim17ROCPRIM_400000_NS6detail17trampoline_kernelINS0_14default_configENS1_22reduce_config_selectorIN6thrust23THRUST_200600_302600_NS5tupleIblNS6_9null_typeES8_S8_S8_S8_S8_S8_S8_EEEEZNS1_11reduce_implILb1ES3_NS6_12zip_iteratorINS7_INS6_11hip_rocprim26transform_input_iterator_tIbNSD_35transform_pair_of_input_iterators_tIbNS6_6detail15normal_iteratorINS6_10device_ptrIKjEEEESL_NS6_8equal_toIjEEEENSG_9not_fun_tINSD_8identityEEEEENSD_19counting_iterator_tIlEES8_S8_S8_S8_S8_S8_S8_S8_EEEEPS9_S9_NSD_9__find_if7functorIS9_EEEE10hipError_tPvRmT1_T2_T3_mT4_P12ihipStream_tbEUlT_E0_NS1_11comp_targetILNS1_3genE5ELNS1_11target_archE942ELNS1_3gpuE9ELNS1_3repE0EEENS1_30default_config_static_selectorELNS0_4arch9wavefront6targetE0EEEvS14_.kd
    .uniform_work_group_size: 1
    .uses_dynamic_stack: false
    .vgpr_count:     0
    .vgpr_spill_count: 0
    .wavefront_size: 32
    .workgroup_processor_mode: 1
  - .args:
      - .offset:         0
        .size:           104
        .value_kind:     by_value
    .group_segment_fixed_size: 0
    .kernarg_segment_align: 8
    .kernarg_segment_size: 104
    .language:       OpenCL C
    .language_version:
      - 2
      - 0
    .max_flat_workgroup_size: 256
    .name:           _ZN7rocprim17ROCPRIM_400000_NS6detail17trampoline_kernelINS0_14default_configENS1_22reduce_config_selectorIN6thrust23THRUST_200600_302600_NS5tupleIblNS6_9null_typeES8_S8_S8_S8_S8_S8_S8_EEEEZNS1_11reduce_implILb1ES3_NS6_12zip_iteratorINS7_INS6_11hip_rocprim26transform_input_iterator_tIbNSD_35transform_pair_of_input_iterators_tIbNS6_6detail15normal_iteratorINS6_10device_ptrIKjEEEESL_NS6_8equal_toIjEEEENSG_9not_fun_tINSD_8identityEEEEENSD_19counting_iterator_tIlEES8_S8_S8_S8_S8_S8_S8_S8_EEEEPS9_S9_NSD_9__find_if7functorIS9_EEEE10hipError_tPvRmT1_T2_T3_mT4_P12ihipStream_tbEUlT_E0_NS1_11comp_targetILNS1_3genE4ELNS1_11target_archE910ELNS1_3gpuE8ELNS1_3repE0EEENS1_30default_config_static_selectorELNS0_4arch9wavefront6targetE0EEEvS14_
    .private_segment_fixed_size: 0
    .sgpr_count:     0
    .sgpr_spill_count: 0
    .symbol:         _ZN7rocprim17ROCPRIM_400000_NS6detail17trampoline_kernelINS0_14default_configENS1_22reduce_config_selectorIN6thrust23THRUST_200600_302600_NS5tupleIblNS6_9null_typeES8_S8_S8_S8_S8_S8_S8_EEEEZNS1_11reduce_implILb1ES3_NS6_12zip_iteratorINS7_INS6_11hip_rocprim26transform_input_iterator_tIbNSD_35transform_pair_of_input_iterators_tIbNS6_6detail15normal_iteratorINS6_10device_ptrIKjEEEESL_NS6_8equal_toIjEEEENSG_9not_fun_tINSD_8identityEEEEENSD_19counting_iterator_tIlEES8_S8_S8_S8_S8_S8_S8_S8_EEEEPS9_S9_NSD_9__find_if7functorIS9_EEEE10hipError_tPvRmT1_T2_T3_mT4_P12ihipStream_tbEUlT_E0_NS1_11comp_targetILNS1_3genE4ELNS1_11target_archE910ELNS1_3gpuE8ELNS1_3repE0EEENS1_30default_config_static_selectorELNS0_4arch9wavefront6targetE0EEEvS14_.kd
    .uniform_work_group_size: 1
    .uses_dynamic_stack: false
    .vgpr_count:     0
    .vgpr_spill_count: 0
    .wavefront_size: 32
    .workgroup_processor_mode: 1
  - .args:
      - .offset:         0
        .size:           104
        .value_kind:     by_value
    .group_segment_fixed_size: 0
    .kernarg_segment_align: 8
    .kernarg_segment_size: 104
    .language:       OpenCL C
    .language_version:
      - 2
      - 0
    .max_flat_workgroup_size: 128
    .name:           _ZN7rocprim17ROCPRIM_400000_NS6detail17trampoline_kernelINS0_14default_configENS1_22reduce_config_selectorIN6thrust23THRUST_200600_302600_NS5tupleIblNS6_9null_typeES8_S8_S8_S8_S8_S8_S8_EEEEZNS1_11reduce_implILb1ES3_NS6_12zip_iteratorINS7_INS6_11hip_rocprim26transform_input_iterator_tIbNSD_35transform_pair_of_input_iterators_tIbNS6_6detail15normal_iteratorINS6_10device_ptrIKjEEEESL_NS6_8equal_toIjEEEENSG_9not_fun_tINSD_8identityEEEEENSD_19counting_iterator_tIlEES8_S8_S8_S8_S8_S8_S8_S8_EEEEPS9_S9_NSD_9__find_if7functorIS9_EEEE10hipError_tPvRmT1_T2_T3_mT4_P12ihipStream_tbEUlT_E0_NS1_11comp_targetILNS1_3genE3ELNS1_11target_archE908ELNS1_3gpuE7ELNS1_3repE0EEENS1_30default_config_static_selectorELNS0_4arch9wavefront6targetE0EEEvS14_
    .private_segment_fixed_size: 0
    .sgpr_count:     0
    .sgpr_spill_count: 0
    .symbol:         _ZN7rocprim17ROCPRIM_400000_NS6detail17trampoline_kernelINS0_14default_configENS1_22reduce_config_selectorIN6thrust23THRUST_200600_302600_NS5tupleIblNS6_9null_typeES8_S8_S8_S8_S8_S8_S8_EEEEZNS1_11reduce_implILb1ES3_NS6_12zip_iteratorINS7_INS6_11hip_rocprim26transform_input_iterator_tIbNSD_35transform_pair_of_input_iterators_tIbNS6_6detail15normal_iteratorINS6_10device_ptrIKjEEEESL_NS6_8equal_toIjEEEENSG_9not_fun_tINSD_8identityEEEEENSD_19counting_iterator_tIlEES8_S8_S8_S8_S8_S8_S8_S8_EEEEPS9_S9_NSD_9__find_if7functorIS9_EEEE10hipError_tPvRmT1_T2_T3_mT4_P12ihipStream_tbEUlT_E0_NS1_11comp_targetILNS1_3genE3ELNS1_11target_archE908ELNS1_3gpuE7ELNS1_3repE0EEENS1_30default_config_static_selectorELNS0_4arch9wavefront6targetE0EEEvS14_.kd
    .uniform_work_group_size: 1
    .uses_dynamic_stack: false
    .vgpr_count:     0
    .vgpr_spill_count: 0
    .wavefront_size: 32
    .workgroup_processor_mode: 1
  - .args:
      - .offset:         0
        .size:           104
        .value_kind:     by_value
    .group_segment_fixed_size: 0
    .kernarg_segment_align: 8
    .kernarg_segment_size: 104
    .language:       OpenCL C
    .language_version:
      - 2
      - 0
    .max_flat_workgroup_size: 128
    .name:           _ZN7rocprim17ROCPRIM_400000_NS6detail17trampoline_kernelINS0_14default_configENS1_22reduce_config_selectorIN6thrust23THRUST_200600_302600_NS5tupleIblNS6_9null_typeES8_S8_S8_S8_S8_S8_S8_EEEEZNS1_11reduce_implILb1ES3_NS6_12zip_iteratorINS7_INS6_11hip_rocprim26transform_input_iterator_tIbNSD_35transform_pair_of_input_iterators_tIbNS6_6detail15normal_iteratorINS6_10device_ptrIKjEEEESL_NS6_8equal_toIjEEEENSG_9not_fun_tINSD_8identityEEEEENSD_19counting_iterator_tIlEES8_S8_S8_S8_S8_S8_S8_S8_EEEEPS9_S9_NSD_9__find_if7functorIS9_EEEE10hipError_tPvRmT1_T2_T3_mT4_P12ihipStream_tbEUlT_E0_NS1_11comp_targetILNS1_3genE2ELNS1_11target_archE906ELNS1_3gpuE6ELNS1_3repE0EEENS1_30default_config_static_selectorELNS0_4arch9wavefront6targetE0EEEvS14_
    .private_segment_fixed_size: 0
    .sgpr_count:     0
    .sgpr_spill_count: 0
    .symbol:         _ZN7rocprim17ROCPRIM_400000_NS6detail17trampoline_kernelINS0_14default_configENS1_22reduce_config_selectorIN6thrust23THRUST_200600_302600_NS5tupleIblNS6_9null_typeES8_S8_S8_S8_S8_S8_S8_EEEEZNS1_11reduce_implILb1ES3_NS6_12zip_iteratorINS7_INS6_11hip_rocprim26transform_input_iterator_tIbNSD_35transform_pair_of_input_iterators_tIbNS6_6detail15normal_iteratorINS6_10device_ptrIKjEEEESL_NS6_8equal_toIjEEEENSG_9not_fun_tINSD_8identityEEEEENSD_19counting_iterator_tIlEES8_S8_S8_S8_S8_S8_S8_S8_EEEEPS9_S9_NSD_9__find_if7functorIS9_EEEE10hipError_tPvRmT1_T2_T3_mT4_P12ihipStream_tbEUlT_E0_NS1_11comp_targetILNS1_3genE2ELNS1_11target_archE906ELNS1_3gpuE6ELNS1_3repE0EEENS1_30default_config_static_selectorELNS0_4arch9wavefront6targetE0EEEvS14_.kd
    .uniform_work_group_size: 1
    .uses_dynamic_stack: false
    .vgpr_count:     0
    .vgpr_spill_count: 0
    .wavefront_size: 32
    .workgroup_processor_mode: 1
  - .args:
      - .offset:         0
        .size:           104
        .value_kind:     by_value
    .group_segment_fixed_size: 0
    .kernarg_segment_align: 8
    .kernarg_segment_size: 104
    .language:       OpenCL C
    .language_version:
      - 2
      - 0
    .max_flat_workgroup_size: 256
    .name:           _ZN7rocprim17ROCPRIM_400000_NS6detail17trampoline_kernelINS0_14default_configENS1_22reduce_config_selectorIN6thrust23THRUST_200600_302600_NS5tupleIblNS6_9null_typeES8_S8_S8_S8_S8_S8_S8_EEEEZNS1_11reduce_implILb1ES3_NS6_12zip_iteratorINS7_INS6_11hip_rocprim26transform_input_iterator_tIbNSD_35transform_pair_of_input_iterators_tIbNS6_6detail15normal_iteratorINS6_10device_ptrIKjEEEESL_NS6_8equal_toIjEEEENSG_9not_fun_tINSD_8identityEEEEENSD_19counting_iterator_tIlEES8_S8_S8_S8_S8_S8_S8_S8_EEEEPS9_S9_NSD_9__find_if7functorIS9_EEEE10hipError_tPvRmT1_T2_T3_mT4_P12ihipStream_tbEUlT_E0_NS1_11comp_targetILNS1_3genE10ELNS1_11target_archE1201ELNS1_3gpuE5ELNS1_3repE0EEENS1_30default_config_static_selectorELNS0_4arch9wavefront6targetE0EEEvS14_
    .private_segment_fixed_size: 0
    .sgpr_count:     0
    .sgpr_spill_count: 0
    .symbol:         _ZN7rocprim17ROCPRIM_400000_NS6detail17trampoline_kernelINS0_14default_configENS1_22reduce_config_selectorIN6thrust23THRUST_200600_302600_NS5tupleIblNS6_9null_typeES8_S8_S8_S8_S8_S8_S8_EEEEZNS1_11reduce_implILb1ES3_NS6_12zip_iteratorINS7_INS6_11hip_rocprim26transform_input_iterator_tIbNSD_35transform_pair_of_input_iterators_tIbNS6_6detail15normal_iteratorINS6_10device_ptrIKjEEEESL_NS6_8equal_toIjEEEENSG_9not_fun_tINSD_8identityEEEEENSD_19counting_iterator_tIlEES8_S8_S8_S8_S8_S8_S8_S8_EEEEPS9_S9_NSD_9__find_if7functorIS9_EEEE10hipError_tPvRmT1_T2_T3_mT4_P12ihipStream_tbEUlT_E0_NS1_11comp_targetILNS1_3genE10ELNS1_11target_archE1201ELNS1_3gpuE5ELNS1_3repE0EEENS1_30default_config_static_selectorELNS0_4arch9wavefront6targetE0EEEvS14_.kd
    .uniform_work_group_size: 1
    .uses_dynamic_stack: false
    .vgpr_count:     0
    .vgpr_spill_count: 0
    .wavefront_size: 32
    .workgroup_processor_mode: 1
  - .args:
      - .offset:         0
        .size:           104
        .value_kind:     by_value
    .group_segment_fixed_size: 0
    .kernarg_segment_align: 8
    .kernarg_segment_size: 104
    .language:       OpenCL C
    .language_version:
      - 2
      - 0
    .max_flat_workgroup_size: 256
    .name:           _ZN7rocprim17ROCPRIM_400000_NS6detail17trampoline_kernelINS0_14default_configENS1_22reduce_config_selectorIN6thrust23THRUST_200600_302600_NS5tupleIblNS6_9null_typeES8_S8_S8_S8_S8_S8_S8_EEEEZNS1_11reduce_implILb1ES3_NS6_12zip_iteratorINS7_INS6_11hip_rocprim26transform_input_iterator_tIbNSD_35transform_pair_of_input_iterators_tIbNS6_6detail15normal_iteratorINS6_10device_ptrIKjEEEESL_NS6_8equal_toIjEEEENSG_9not_fun_tINSD_8identityEEEEENSD_19counting_iterator_tIlEES8_S8_S8_S8_S8_S8_S8_S8_EEEEPS9_S9_NSD_9__find_if7functorIS9_EEEE10hipError_tPvRmT1_T2_T3_mT4_P12ihipStream_tbEUlT_E0_NS1_11comp_targetILNS1_3genE10ELNS1_11target_archE1200ELNS1_3gpuE4ELNS1_3repE0EEENS1_30default_config_static_selectorELNS0_4arch9wavefront6targetE0EEEvS14_
    .private_segment_fixed_size: 0
    .sgpr_count:     0
    .sgpr_spill_count: 0
    .symbol:         _ZN7rocprim17ROCPRIM_400000_NS6detail17trampoline_kernelINS0_14default_configENS1_22reduce_config_selectorIN6thrust23THRUST_200600_302600_NS5tupleIblNS6_9null_typeES8_S8_S8_S8_S8_S8_S8_EEEEZNS1_11reduce_implILb1ES3_NS6_12zip_iteratorINS7_INS6_11hip_rocprim26transform_input_iterator_tIbNSD_35transform_pair_of_input_iterators_tIbNS6_6detail15normal_iteratorINS6_10device_ptrIKjEEEESL_NS6_8equal_toIjEEEENSG_9not_fun_tINSD_8identityEEEEENSD_19counting_iterator_tIlEES8_S8_S8_S8_S8_S8_S8_S8_EEEEPS9_S9_NSD_9__find_if7functorIS9_EEEE10hipError_tPvRmT1_T2_T3_mT4_P12ihipStream_tbEUlT_E0_NS1_11comp_targetILNS1_3genE10ELNS1_11target_archE1200ELNS1_3gpuE4ELNS1_3repE0EEENS1_30default_config_static_selectorELNS0_4arch9wavefront6targetE0EEEvS14_.kd
    .uniform_work_group_size: 1
    .uses_dynamic_stack: false
    .vgpr_count:     0
    .vgpr_spill_count: 0
    .wavefront_size: 32
    .workgroup_processor_mode: 1
  - .args:
      - .offset:         0
        .size:           104
        .value_kind:     by_value
    .group_segment_fixed_size: 0
    .kernarg_segment_align: 8
    .kernarg_segment_size: 104
    .language:       OpenCL C
    .language_version:
      - 2
      - 0
    .max_flat_workgroup_size: 256
    .name:           _ZN7rocprim17ROCPRIM_400000_NS6detail17trampoline_kernelINS0_14default_configENS1_22reduce_config_selectorIN6thrust23THRUST_200600_302600_NS5tupleIblNS6_9null_typeES8_S8_S8_S8_S8_S8_S8_EEEEZNS1_11reduce_implILb1ES3_NS6_12zip_iteratorINS7_INS6_11hip_rocprim26transform_input_iterator_tIbNSD_35transform_pair_of_input_iterators_tIbNS6_6detail15normal_iteratorINS6_10device_ptrIKjEEEESL_NS6_8equal_toIjEEEENSG_9not_fun_tINSD_8identityEEEEENSD_19counting_iterator_tIlEES8_S8_S8_S8_S8_S8_S8_S8_EEEEPS9_S9_NSD_9__find_if7functorIS9_EEEE10hipError_tPvRmT1_T2_T3_mT4_P12ihipStream_tbEUlT_E0_NS1_11comp_targetILNS1_3genE9ELNS1_11target_archE1100ELNS1_3gpuE3ELNS1_3repE0EEENS1_30default_config_static_selectorELNS0_4arch9wavefront6targetE0EEEvS14_
    .private_segment_fixed_size: 0
    .sgpr_count:     0
    .sgpr_spill_count: 0
    .symbol:         _ZN7rocprim17ROCPRIM_400000_NS6detail17trampoline_kernelINS0_14default_configENS1_22reduce_config_selectorIN6thrust23THRUST_200600_302600_NS5tupleIblNS6_9null_typeES8_S8_S8_S8_S8_S8_S8_EEEEZNS1_11reduce_implILb1ES3_NS6_12zip_iteratorINS7_INS6_11hip_rocprim26transform_input_iterator_tIbNSD_35transform_pair_of_input_iterators_tIbNS6_6detail15normal_iteratorINS6_10device_ptrIKjEEEESL_NS6_8equal_toIjEEEENSG_9not_fun_tINSD_8identityEEEEENSD_19counting_iterator_tIlEES8_S8_S8_S8_S8_S8_S8_S8_EEEEPS9_S9_NSD_9__find_if7functorIS9_EEEE10hipError_tPvRmT1_T2_T3_mT4_P12ihipStream_tbEUlT_E0_NS1_11comp_targetILNS1_3genE9ELNS1_11target_archE1100ELNS1_3gpuE3ELNS1_3repE0EEENS1_30default_config_static_selectorELNS0_4arch9wavefront6targetE0EEEvS14_.kd
    .uniform_work_group_size: 1
    .uses_dynamic_stack: false
    .vgpr_count:     0
    .vgpr_spill_count: 0
    .wavefront_size: 32
    .workgroup_processor_mode: 1
  - .args:
      - .offset:         0
        .size:           104
        .value_kind:     by_value
    .group_segment_fixed_size: 256
    .kernarg_segment_align: 8
    .kernarg_segment_size: 104
    .language:       OpenCL C
    .language_version:
      - 2
      - 0
    .max_flat_workgroup_size: 256
    .name:           _ZN7rocprim17ROCPRIM_400000_NS6detail17trampoline_kernelINS0_14default_configENS1_22reduce_config_selectorIN6thrust23THRUST_200600_302600_NS5tupleIblNS6_9null_typeES8_S8_S8_S8_S8_S8_S8_EEEEZNS1_11reduce_implILb1ES3_NS6_12zip_iteratorINS7_INS6_11hip_rocprim26transform_input_iterator_tIbNSD_35transform_pair_of_input_iterators_tIbNS6_6detail15normal_iteratorINS6_10device_ptrIKjEEEESL_NS6_8equal_toIjEEEENSG_9not_fun_tINSD_8identityEEEEENSD_19counting_iterator_tIlEES8_S8_S8_S8_S8_S8_S8_S8_EEEEPS9_S9_NSD_9__find_if7functorIS9_EEEE10hipError_tPvRmT1_T2_T3_mT4_P12ihipStream_tbEUlT_E0_NS1_11comp_targetILNS1_3genE8ELNS1_11target_archE1030ELNS1_3gpuE2ELNS1_3repE0EEENS1_30default_config_static_selectorELNS0_4arch9wavefront6targetE0EEEvS14_
    .private_segment_fixed_size: 0
    .sgpr_count:     30
    .sgpr_spill_count: 0
    .symbol:         _ZN7rocprim17ROCPRIM_400000_NS6detail17trampoline_kernelINS0_14default_configENS1_22reduce_config_selectorIN6thrust23THRUST_200600_302600_NS5tupleIblNS6_9null_typeES8_S8_S8_S8_S8_S8_S8_EEEEZNS1_11reduce_implILb1ES3_NS6_12zip_iteratorINS7_INS6_11hip_rocprim26transform_input_iterator_tIbNSD_35transform_pair_of_input_iterators_tIbNS6_6detail15normal_iteratorINS6_10device_ptrIKjEEEESL_NS6_8equal_toIjEEEENSG_9not_fun_tINSD_8identityEEEEENSD_19counting_iterator_tIlEES8_S8_S8_S8_S8_S8_S8_S8_EEEEPS9_S9_NSD_9__find_if7functorIS9_EEEE10hipError_tPvRmT1_T2_T3_mT4_P12ihipStream_tbEUlT_E0_NS1_11comp_targetILNS1_3genE8ELNS1_11target_archE1030ELNS1_3gpuE2ELNS1_3repE0EEENS1_30default_config_static_selectorELNS0_4arch9wavefront6targetE0EEEvS14_.kd
    .uniform_work_group_size: 1
    .uses_dynamic_stack: false
    .vgpr_count:     13
    .vgpr_spill_count: 0
    .wavefront_size: 32
    .workgroup_processor_mode: 1
  - .args:
      - .offset:         0
        .size:           88
        .value_kind:     by_value
    .group_segment_fixed_size: 0
    .kernarg_segment_align: 8
    .kernarg_segment_size: 88
    .language:       OpenCL C
    .language_version:
      - 2
      - 0
    .max_flat_workgroup_size: 128
    .name:           _ZN7rocprim17ROCPRIM_400000_NS6detail17trampoline_kernelINS0_14default_configENS1_22reduce_config_selectorIN6thrust23THRUST_200600_302600_NS5tupleIblNS6_9null_typeES8_S8_S8_S8_S8_S8_S8_EEEEZNS1_11reduce_implILb1ES3_NS6_12zip_iteratorINS7_INS6_11hip_rocprim26transform_input_iterator_tIbNSD_35transform_pair_of_input_iterators_tIbNS6_6detail15normal_iteratorINS6_10device_ptrIKjEEEESL_NS6_8equal_toIjEEEENSG_9not_fun_tINSD_8identityEEEEENSD_19counting_iterator_tIlEES8_S8_S8_S8_S8_S8_S8_S8_EEEEPS9_S9_NSD_9__find_if7functorIS9_EEEE10hipError_tPvRmT1_T2_T3_mT4_P12ihipStream_tbEUlT_E1_NS1_11comp_targetILNS1_3genE0ELNS1_11target_archE4294967295ELNS1_3gpuE0ELNS1_3repE0EEENS1_30default_config_static_selectorELNS0_4arch9wavefront6targetE0EEEvS14_
    .private_segment_fixed_size: 0
    .sgpr_count:     0
    .sgpr_spill_count: 0
    .symbol:         _ZN7rocprim17ROCPRIM_400000_NS6detail17trampoline_kernelINS0_14default_configENS1_22reduce_config_selectorIN6thrust23THRUST_200600_302600_NS5tupleIblNS6_9null_typeES8_S8_S8_S8_S8_S8_S8_EEEEZNS1_11reduce_implILb1ES3_NS6_12zip_iteratorINS7_INS6_11hip_rocprim26transform_input_iterator_tIbNSD_35transform_pair_of_input_iterators_tIbNS6_6detail15normal_iteratorINS6_10device_ptrIKjEEEESL_NS6_8equal_toIjEEEENSG_9not_fun_tINSD_8identityEEEEENSD_19counting_iterator_tIlEES8_S8_S8_S8_S8_S8_S8_S8_EEEEPS9_S9_NSD_9__find_if7functorIS9_EEEE10hipError_tPvRmT1_T2_T3_mT4_P12ihipStream_tbEUlT_E1_NS1_11comp_targetILNS1_3genE0ELNS1_11target_archE4294967295ELNS1_3gpuE0ELNS1_3repE0EEENS1_30default_config_static_selectorELNS0_4arch9wavefront6targetE0EEEvS14_.kd
    .uniform_work_group_size: 1
    .uses_dynamic_stack: false
    .vgpr_count:     0
    .vgpr_spill_count: 0
    .wavefront_size: 32
    .workgroup_processor_mode: 1
  - .args:
      - .offset:         0
        .size:           88
        .value_kind:     by_value
    .group_segment_fixed_size: 0
    .kernarg_segment_align: 8
    .kernarg_segment_size: 88
    .language:       OpenCL C
    .language_version:
      - 2
      - 0
    .max_flat_workgroup_size: 256
    .name:           _ZN7rocprim17ROCPRIM_400000_NS6detail17trampoline_kernelINS0_14default_configENS1_22reduce_config_selectorIN6thrust23THRUST_200600_302600_NS5tupleIblNS6_9null_typeES8_S8_S8_S8_S8_S8_S8_EEEEZNS1_11reduce_implILb1ES3_NS6_12zip_iteratorINS7_INS6_11hip_rocprim26transform_input_iterator_tIbNSD_35transform_pair_of_input_iterators_tIbNS6_6detail15normal_iteratorINS6_10device_ptrIKjEEEESL_NS6_8equal_toIjEEEENSG_9not_fun_tINSD_8identityEEEEENSD_19counting_iterator_tIlEES8_S8_S8_S8_S8_S8_S8_S8_EEEEPS9_S9_NSD_9__find_if7functorIS9_EEEE10hipError_tPvRmT1_T2_T3_mT4_P12ihipStream_tbEUlT_E1_NS1_11comp_targetILNS1_3genE5ELNS1_11target_archE942ELNS1_3gpuE9ELNS1_3repE0EEENS1_30default_config_static_selectorELNS0_4arch9wavefront6targetE0EEEvS14_
    .private_segment_fixed_size: 0
    .sgpr_count:     0
    .sgpr_spill_count: 0
    .symbol:         _ZN7rocprim17ROCPRIM_400000_NS6detail17trampoline_kernelINS0_14default_configENS1_22reduce_config_selectorIN6thrust23THRUST_200600_302600_NS5tupleIblNS6_9null_typeES8_S8_S8_S8_S8_S8_S8_EEEEZNS1_11reduce_implILb1ES3_NS6_12zip_iteratorINS7_INS6_11hip_rocprim26transform_input_iterator_tIbNSD_35transform_pair_of_input_iterators_tIbNS6_6detail15normal_iteratorINS6_10device_ptrIKjEEEESL_NS6_8equal_toIjEEEENSG_9not_fun_tINSD_8identityEEEEENSD_19counting_iterator_tIlEES8_S8_S8_S8_S8_S8_S8_S8_EEEEPS9_S9_NSD_9__find_if7functorIS9_EEEE10hipError_tPvRmT1_T2_T3_mT4_P12ihipStream_tbEUlT_E1_NS1_11comp_targetILNS1_3genE5ELNS1_11target_archE942ELNS1_3gpuE9ELNS1_3repE0EEENS1_30default_config_static_selectorELNS0_4arch9wavefront6targetE0EEEvS14_.kd
    .uniform_work_group_size: 1
    .uses_dynamic_stack: false
    .vgpr_count:     0
    .vgpr_spill_count: 0
    .wavefront_size: 32
    .workgroup_processor_mode: 1
  - .args:
      - .offset:         0
        .size:           88
        .value_kind:     by_value
    .group_segment_fixed_size: 0
    .kernarg_segment_align: 8
    .kernarg_segment_size: 88
    .language:       OpenCL C
    .language_version:
      - 2
      - 0
    .max_flat_workgroup_size: 256
    .name:           _ZN7rocprim17ROCPRIM_400000_NS6detail17trampoline_kernelINS0_14default_configENS1_22reduce_config_selectorIN6thrust23THRUST_200600_302600_NS5tupleIblNS6_9null_typeES8_S8_S8_S8_S8_S8_S8_EEEEZNS1_11reduce_implILb1ES3_NS6_12zip_iteratorINS7_INS6_11hip_rocprim26transform_input_iterator_tIbNSD_35transform_pair_of_input_iterators_tIbNS6_6detail15normal_iteratorINS6_10device_ptrIKjEEEESL_NS6_8equal_toIjEEEENSG_9not_fun_tINSD_8identityEEEEENSD_19counting_iterator_tIlEES8_S8_S8_S8_S8_S8_S8_S8_EEEEPS9_S9_NSD_9__find_if7functorIS9_EEEE10hipError_tPvRmT1_T2_T3_mT4_P12ihipStream_tbEUlT_E1_NS1_11comp_targetILNS1_3genE4ELNS1_11target_archE910ELNS1_3gpuE8ELNS1_3repE0EEENS1_30default_config_static_selectorELNS0_4arch9wavefront6targetE0EEEvS14_
    .private_segment_fixed_size: 0
    .sgpr_count:     0
    .sgpr_spill_count: 0
    .symbol:         _ZN7rocprim17ROCPRIM_400000_NS6detail17trampoline_kernelINS0_14default_configENS1_22reduce_config_selectorIN6thrust23THRUST_200600_302600_NS5tupleIblNS6_9null_typeES8_S8_S8_S8_S8_S8_S8_EEEEZNS1_11reduce_implILb1ES3_NS6_12zip_iteratorINS7_INS6_11hip_rocprim26transform_input_iterator_tIbNSD_35transform_pair_of_input_iterators_tIbNS6_6detail15normal_iteratorINS6_10device_ptrIKjEEEESL_NS6_8equal_toIjEEEENSG_9not_fun_tINSD_8identityEEEEENSD_19counting_iterator_tIlEES8_S8_S8_S8_S8_S8_S8_S8_EEEEPS9_S9_NSD_9__find_if7functorIS9_EEEE10hipError_tPvRmT1_T2_T3_mT4_P12ihipStream_tbEUlT_E1_NS1_11comp_targetILNS1_3genE4ELNS1_11target_archE910ELNS1_3gpuE8ELNS1_3repE0EEENS1_30default_config_static_selectorELNS0_4arch9wavefront6targetE0EEEvS14_.kd
    .uniform_work_group_size: 1
    .uses_dynamic_stack: false
    .vgpr_count:     0
    .vgpr_spill_count: 0
    .wavefront_size: 32
    .workgroup_processor_mode: 1
  - .args:
      - .offset:         0
        .size:           88
        .value_kind:     by_value
    .group_segment_fixed_size: 0
    .kernarg_segment_align: 8
    .kernarg_segment_size: 88
    .language:       OpenCL C
    .language_version:
      - 2
      - 0
    .max_flat_workgroup_size: 128
    .name:           _ZN7rocprim17ROCPRIM_400000_NS6detail17trampoline_kernelINS0_14default_configENS1_22reduce_config_selectorIN6thrust23THRUST_200600_302600_NS5tupleIblNS6_9null_typeES8_S8_S8_S8_S8_S8_S8_EEEEZNS1_11reduce_implILb1ES3_NS6_12zip_iteratorINS7_INS6_11hip_rocprim26transform_input_iterator_tIbNSD_35transform_pair_of_input_iterators_tIbNS6_6detail15normal_iteratorINS6_10device_ptrIKjEEEESL_NS6_8equal_toIjEEEENSG_9not_fun_tINSD_8identityEEEEENSD_19counting_iterator_tIlEES8_S8_S8_S8_S8_S8_S8_S8_EEEEPS9_S9_NSD_9__find_if7functorIS9_EEEE10hipError_tPvRmT1_T2_T3_mT4_P12ihipStream_tbEUlT_E1_NS1_11comp_targetILNS1_3genE3ELNS1_11target_archE908ELNS1_3gpuE7ELNS1_3repE0EEENS1_30default_config_static_selectorELNS0_4arch9wavefront6targetE0EEEvS14_
    .private_segment_fixed_size: 0
    .sgpr_count:     0
    .sgpr_spill_count: 0
    .symbol:         _ZN7rocprim17ROCPRIM_400000_NS6detail17trampoline_kernelINS0_14default_configENS1_22reduce_config_selectorIN6thrust23THRUST_200600_302600_NS5tupleIblNS6_9null_typeES8_S8_S8_S8_S8_S8_S8_EEEEZNS1_11reduce_implILb1ES3_NS6_12zip_iteratorINS7_INS6_11hip_rocprim26transform_input_iterator_tIbNSD_35transform_pair_of_input_iterators_tIbNS6_6detail15normal_iteratorINS6_10device_ptrIKjEEEESL_NS6_8equal_toIjEEEENSG_9not_fun_tINSD_8identityEEEEENSD_19counting_iterator_tIlEES8_S8_S8_S8_S8_S8_S8_S8_EEEEPS9_S9_NSD_9__find_if7functorIS9_EEEE10hipError_tPvRmT1_T2_T3_mT4_P12ihipStream_tbEUlT_E1_NS1_11comp_targetILNS1_3genE3ELNS1_11target_archE908ELNS1_3gpuE7ELNS1_3repE0EEENS1_30default_config_static_selectorELNS0_4arch9wavefront6targetE0EEEvS14_.kd
    .uniform_work_group_size: 1
    .uses_dynamic_stack: false
    .vgpr_count:     0
    .vgpr_spill_count: 0
    .wavefront_size: 32
    .workgroup_processor_mode: 1
  - .args:
      - .offset:         0
        .size:           88
        .value_kind:     by_value
    .group_segment_fixed_size: 0
    .kernarg_segment_align: 8
    .kernarg_segment_size: 88
    .language:       OpenCL C
    .language_version:
      - 2
      - 0
    .max_flat_workgroup_size: 128
    .name:           _ZN7rocprim17ROCPRIM_400000_NS6detail17trampoline_kernelINS0_14default_configENS1_22reduce_config_selectorIN6thrust23THRUST_200600_302600_NS5tupleIblNS6_9null_typeES8_S8_S8_S8_S8_S8_S8_EEEEZNS1_11reduce_implILb1ES3_NS6_12zip_iteratorINS7_INS6_11hip_rocprim26transform_input_iterator_tIbNSD_35transform_pair_of_input_iterators_tIbNS6_6detail15normal_iteratorINS6_10device_ptrIKjEEEESL_NS6_8equal_toIjEEEENSG_9not_fun_tINSD_8identityEEEEENSD_19counting_iterator_tIlEES8_S8_S8_S8_S8_S8_S8_S8_EEEEPS9_S9_NSD_9__find_if7functorIS9_EEEE10hipError_tPvRmT1_T2_T3_mT4_P12ihipStream_tbEUlT_E1_NS1_11comp_targetILNS1_3genE2ELNS1_11target_archE906ELNS1_3gpuE6ELNS1_3repE0EEENS1_30default_config_static_selectorELNS0_4arch9wavefront6targetE0EEEvS14_
    .private_segment_fixed_size: 0
    .sgpr_count:     0
    .sgpr_spill_count: 0
    .symbol:         _ZN7rocprim17ROCPRIM_400000_NS6detail17trampoline_kernelINS0_14default_configENS1_22reduce_config_selectorIN6thrust23THRUST_200600_302600_NS5tupleIblNS6_9null_typeES8_S8_S8_S8_S8_S8_S8_EEEEZNS1_11reduce_implILb1ES3_NS6_12zip_iteratorINS7_INS6_11hip_rocprim26transform_input_iterator_tIbNSD_35transform_pair_of_input_iterators_tIbNS6_6detail15normal_iteratorINS6_10device_ptrIKjEEEESL_NS6_8equal_toIjEEEENSG_9not_fun_tINSD_8identityEEEEENSD_19counting_iterator_tIlEES8_S8_S8_S8_S8_S8_S8_S8_EEEEPS9_S9_NSD_9__find_if7functorIS9_EEEE10hipError_tPvRmT1_T2_T3_mT4_P12ihipStream_tbEUlT_E1_NS1_11comp_targetILNS1_3genE2ELNS1_11target_archE906ELNS1_3gpuE6ELNS1_3repE0EEENS1_30default_config_static_selectorELNS0_4arch9wavefront6targetE0EEEvS14_.kd
    .uniform_work_group_size: 1
    .uses_dynamic_stack: false
    .vgpr_count:     0
    .vgpr_spill_count: 0
    .wavefront_size: 32
    .workgroup_processor_mode: 1
  - .args:
      - .offset:         0
        .size:           88
        .value_kind:     by_value
    .group_segment_fixed_size: 0
    .kernarg_segment_align: 8
    .kernarg_segment_size: 88
    .language:       OpenCL C
    .language_version:
      - 2
      - 0
    .max_flat_workgroup_size: 256
    .name:           _ZN7rocprim17ROCPRIM_400000_NS6detail17trampoline_kernelINS0_14default_configENS1_22reduce_config_selectorIN6thrust23THRUST_200600_302600_NS5tupleIblNS6_9null_typeES8_S8_S8_S8_S8_S8_S8_EEEEZNS1_11reduce_implILb1ES3_NS6_12zip_iteratorINS7_INS6_11hip_rocprim26transform_input_iterator_tIbNSD_35transform_pair_of_input_iterators_tIbNS6_6detail15normal_iteratorINS6_10device_ptrIKjEEEESL_NS6_8equal_toIjEEEENSG_9not_fun_tINSD_8identityEEEEENSD_19counting_iterator_tIlEES8_S8_S8_S8_S8_S8_S8_S8_EEEEPS9_S9_NSD_9__find_if7functorIS9_EEEE10hipError_tPvRmT1_T2_T3_mT4_P12ihipStream_tbEUlT_E1_NS1_11comp_targetILNS1_3genE10ELNS1_11target_archE1201ELNS1_3gpuE5ELNS1_3repE0EEENS1_30default_config_static_selectorELNS0_4arch9wavefront6targetE0EEEvS14_
    .private_segment_fixed_size: 0
    .sgpr_count:     0
    .sgpr_spill_count: 0
    .symbol:         _ZN7rocprim17ROCPRIM_400000_NS6detail17trampoline_kernelINS0_14default_configENS1_22reduce_config_selectorIN6thrust23THRUST_200600_302600_NS5tupleIblNS6_9null_typeES8_S8_S8_S8_S8_S8_S8_EEEEZNS1_11reduce_implILb1ES3_NS6_12zip_iteratorINS7_INS6_11hip_rocprim26transform_input_iterator_tIbNSD_35transform_pair_of_input_iterators_tIbNS6_6detail15normal_iteratorINS6_10device_ptrIKjEEEESL_NS6_8equal_toIjEEEENSG_9not_fun_tINSD_8identityEEEEENSD_19counting_iterator_tIlEES8_S8_S8_S8_S8_S8_S8_S8_EEEEPS9_S9_NSD_9__find_if7functorIS9_EEEE10hipError_tPvRmT1_T2_T3_mT4_P12ihipStream_tbEUlT_E1_NS1_11comp_targetILNS1_3genE10ELNS1_11target_archE1201ELNS1_3gpuE5ELNS1_3repE0EEENS1_30default_config_static_selectorELNS0_4arch9wavefront6targetE0EEEvS14_.kd
    .uniform_work_group_size: 1
    .uses_dynamic_stack: false
    .vgpr_count:     0
    .vgpr_spill_count: 0
    .wavefront_size: 32
    .workgroup_processor_mode: 1
  - .args:
      - .offset:         0
        .size:           88
        .value_kind:     by_value
    .group_segment_fixed_size: 0
    .kernarg_segment_align: 8
    .kernarg_segment_size: 88
    .language:       OpenCL C
    .language_version:
      - 2
      - 0
    .max_flat_workgroup_size: 256
    .name:           _ZN7rocprim17ROCPRIM_400000_NS6detail17trampoline_kernelINS0_14default_configENS1_22reduce_config_selectorIN6thrust23THRUST_200600_302600_NS5tupleIblNS6_9null_typeES8_S8_S8_S8_S8_S8_S8_EEEEZNS1_11reduce_implILb1ES3_NS6_12zip_iteratorINS7_INS6_11hip_rocprim26transform_input_iterator_tIbNSD_35transform_pair_of_input_iterators_tIbNS6_6detail15normal_iteratorINS6_10device_ptrIKjEEEESL_NS6_8equal_toIjEEEENSG_9not_fun_tINSD_8identityEEEEENSD_19counting_iterator_tIlEES8_S8_S8_S8_S8_S8_S8_S8_EEEEPS9_S9_NSD_9__find_if7functorIS9_EEEE10hipError_tPvRmT1_T2_T3_mT4_P12ihipStream_tbEUlT_E1_NS1_11comp_targetILNS1_3genE10ELNS1_11target_archE1200ELNS1_3gpuE4ELNS1_3repE0EEENS1_30default_config_static_selectorELNS0_4arch9wavefront6targetE0EEEvS14_
    .private_segment_fixed_size: 0
    .sgpr_count:     0
    .sgpr_spill_count: 0
    .symbol:         _ZN7rocprim17ROCPRIM_400000_NS6detail17trampoline_kernelINS0_14default_configENS1_22reduce_config_selectorIN6thrust23THRUST_200600_302600_NS5tupleIblNS6_9null_typeES8_S8_S8_S8_S8_S8_S8_EEEEZNS1_11reduce_implILb1ES3_NS6_12zip_iteratorINS7_INS6_11hip_rocprim26transform_input_iterator_tIbNSD_35transform_pair_of_input_iterators_tIbNS6_6detail15normal_iteratorINS6_10device_ptrIKjEEEESL_NS6_8equal_toIjEEEENSG_9not_fun_tINSD_8identityEEEEENSD_19counting_iterator_tIlEES8_S8_S8_S8_S8_S8_S8_S8_EEEEPS9_S9_NSD_9__find_if7functorIS9_EEEE10hipError_tPvRmT1_T2_T3_mT4_P12ihipStream_tbEUlT_E1_NS1_11comp_targetILNS1_3genE10ELNS1_11target_archE1200ELNS1_3gpuE4ELNS1_3repE0EEENS1_30default_config_static_selectorELNS0_4arch9wavefront6targetE0EEEvS14_.kd
    .uniform_work_group_size: 1
    .uses_dynamic_stack: false
    .vgpr_count:     0
    .vgpr_spill_count: 0
    .wavefront_size: 32
    .workgroup_processor_mode: 1
  - .args:
      - .offset:         0
        .size:           88
        .value_kind:     by_value
    .group_segment_fixed_size: 0
    .kernarg_segment_align: 8
    .kernarg_segment_size: 88
    .language:       OpenCL C
    .language_version:
      - 2
      - 0
    .max_flat_workgroup_size: 256
    .name:           _ZN7rocprim17ROCPRIM_400000_NS6detail17trampoline_kernelINS0_14default_configENS1_22reduce_config_selectorIN6thrust23THRUST_200600_302600_NS5tupleIblNS6_9null_typeES8_S8_S8_S8_S8_S8_S8_EEEEZNS1_11reduce_implILb1ES3_NS6_12zip_iteratorINS7_INS6_11hip_rocprim26transform_input_iterator_tIbNSD_35transform_pair_of_input_iterators_tIbNS6_6detail15normal_iteratorINS6_10device_ptrIKjEEEESL_NS6_8equal_toIjEEEENSG_9not_fun_tINSD_8identityEEEEENSD_19counting_iterator_tIlEES8_S8_S8_S8_S8_S8_S8_S8_EEEEPS9_S9_NSD_9__find_if7functorIS9_EEEE10hipError_tPvRmT1_T2_T3_mT4_P12ihipStream_tbEUlT_E1_NS1_11comp_targetILNS1_3genE9ELNS1_11target_archE1100ELNS1_3gpuE3ELNS1_3repE0EEENS1_30default_config_static_selectorELNS0_4arch9wavefront6targetE0EEEvS14_
    .private_segment_fixed_size: 0
    .sgpr_count:     0
    .sgpr_spill_count: 0
    .symbol:         _ZN7rocprim17ROCPRIM_400000_NS6detail17trampoline_kernelINS0_14default_configENS1_22reduce_config_selectorIN6thrust23THRUST_200600_302600_NS5tupleIblNS6_9null_typeES8_S8_S8_S8_S8_S8_S8_EEEEZNS1_11reduce_implILb1ES3_NS6_12zip_iteratorINS7_INS6_11hip_rocprim26transform_input_iterator_tIbNSD_35transform_pair_of_input_iterators_tIbNS6_6detail15normal_iteratorINS6_10device_ptrIKjEEEESL_NS6_8equal_toIjEEEENSG_9not_fun_tINSD_8identityEEEEENSD_19counting_iterator_tIlEES8_S8_S8_S8_S8_S8_S8_S8_EEEEPS9_S9_NSD_9__find_if7functorIS9_EEEE10hipError_tPvRmT1_T2_T3_mT4_P12ihipStream_tbEUlT_E1_NS1_11comp_targetILNS1_3genE9ELNS1_11target_archE1100ELNS1_3gpuE3ELNS1_3repE0EEENS1_30default_config_static_selectorELNS0_4arch9wavefront6targetE0EEEvS14_.kd
    .uniform_work_group_size: 1
    .uses_dynamic_stack: false
    .vgpr_count:     0
    .vgpr_spill_count: 0
    .wavefront_size: 32
    .workgroup_processor_mode: 1
  - .args:
      - .offset:         0
        .size:           88
        .value_kind:     by_value
    .group_segment_fixed_size: 640
    .kernarg_segment_align: 8
    .kernarg_segment_size: 88
    .language:       OpenCL C
    .language_version:
      - 2
      - 0
    .max_flat_workgroup_size: 256
    .name:           _ZN7rocprim17ROCPRIM_400000_NS6detail17trampoline_kernelINS0_14default_configENS1_22reduce_config_selectorIN6thrust23THRUST_200600_302600_NS5tupleIblNS6_9null_typeES8_S8_S8_S8_S8_S8_S8_EEEEZNS1_11reduce_implILb1ES3_NS6_12zip_iteratorINS7_INS6_11hip_rocprim26transform_input_iterator_tIbNSD_35transform_pair_of_input_iterators_tIbNS6_6detail15normal_iteratorINS6_10device_ptrIKjEEEESL_NS6_8equal_toIjEEEENSG_9not_fun_tINSD_8identityEEEEENSD_19counting_iterator_tIlEES8_S8_S8_S8_S8_S8_S8_S8_EEEEPS9_S9_NSD_9__find_if7functorIS9_EEEE10hipError_tPvRmT1_T2_T3_mT4_P12ihipStream_tbEUlT_E1_NS1_11comp_targetILNS1_3genE8ELNS1_11target_archE1030ELNS1_3gpuE2ELNS1_3repE0EEENS1_30default_config_static_selectorELNS0_4arch9wavefront6targetE0EEEvS14_
    .private_segment_fixed_size: 0
    .sgpr_count:     34
    .sgpr_spill_count: 0
    .symbol:         _ZN7rocprim17ROCPRIM_400000_NS6detail17trampoline_kernelINS0_14default_configENS1_22reduce_config_selectorIN6thrust23THRUST_200600_302600_NS5tupleIblNS6_9null_typeES8_S8_S8_S8_S8_S8_S8_EEEEZNS1_11reduce_implILb1ES3_NS6_12zip_iteratorINS7_INS6_11hip_rocprim26transform_input_iterator_tIbNSD_35transform_pair_of_input_iterators_tIbNS6_6detail15normal_iteratorINS6_10device_ptrIKjEEEESL_NS6_8equal_toIjEEEENSG_9not_fun_tINSD_8identityEEEEENSD_19counting_iterator_tIlEES8_S8_S8_S8_S8_S8_S8_S8_EEEEPS9_S9_NSD_9__find_if7functorIS9_EEEE10hipError_tPvRmT1_T2_T3_mT4_P12ihipStream_tbEUlT_E1_NS1_11comp_targetILNS1_3genE8ELNS1_11target_archE1030ELNS1_3gpuE2ELNS1_3repE0EEENS1_30default_config_static_selectorELNS0_4arch9wavefront6targetE0EEEvS14_.kd
    .uniform_work_group_size: 1
    .uses_dynamic_stack: false
    .vgpr_count:     27
    .vgpr_spill_count: 0
    .wavefront_size: 32
    .workgroup_processor_mode: 1
  - .args:
      - .offset:         0
        .size:           16
        .value_kind:     by_value
      - .offset:         16
        .size:           8
        .value_kind:     by_value
      - .offset:         24
        .size:           8
        .value_kind:     by_value
    .group_segment_fixed_size: 0
    .kernarg_segment_align: 8
    .kernarg_segment_size: 32
    .language:       OpenCL C
    .language_version:
      - 2
      - 0
    .max_flat_workgroup_size: 256
    .name:           _ZN6thrust23THRUST_200600_302600_NS11hip_rocprim14__parallel_for6kernelILj256ENS1_20__uninitialized_fill7functorINS0_10device_ptrItEEtEEmLj1EEEvT0_T1_SA_
    .private_segment_fixed_size: 0
    .sgpr_count:     14
    .sgpr_spill_count: 0
    .symbol:         _ZN6thrust23THRUST_200600_302600_NS11hip_rocprim14__parallel_for6kernelILj256ENS1_20__uninitialized_fill7functorINS0_10device_ptrItEEtEEmLj1EEEvT0_T1_SA_.kd
    .uniform_work_group_size: 1
    .uses_dynamic_stack: false
    .vgpr_count:     4
    .vgpr_spill_count: 0
    .wavefront_size: 32
    .workgroup_processor_mode: 1
  - .args:           []
    .group_segment_fixed_size: 0
    .kernarg_segment_align: 4
    .kernarg_segment_size: 0
    .language:       OpenCL C
    .language_version:
      - 2
      - 0
    .max_flat_workgroup_size: 1024
    .name:           _ZN7rocprim17ROCPRIM_400000_NS6detail44device_merge_sort_compile_time_verifier_archINS1_11comp_targetILNS1_3genE0ELNS1_11target_archE4294967295ELNS1_3gpuE0ELNS1_3repE0EEES8_NS0_14default_configES9_NS1_37merge_sort_block_sort_config_selectorItNS0_10empty_typeEEENS1_38merge_sort_block_merge_config_selectorItSB_EEEEvv
    .private_segment_fixed_size: 0
    .sgpr_count:     0
    .sgpr_spill_count: 0
    .symbol:         _ZN7rocprim17ROCPRIM_400000_NS6detail44device_merge_sort_compile_time_verifier_archINS1_11comp_targetILNS1_3genE0ELNS1_11target_archE4294967295ELNS1_3gpuE0ELNS1_3repE0EEES8_NS0_14default_configES9_NS1_37merge_sort_block_sort_config_selectorItNS0_10empty_typeEEENS1_38merge_sort_block_merge_config_selectorItSB_EEEEvv.kd
    .uniform_work_group_size: 1
    .uses_dynamic_stack: false
    .vgpr_count:     0
    .vgpr_spill_count: 0
    .wavefront_size: 32
    .workgroup_processor_mode: 1
  - .args:           []
    .group_segment_fixed_size: 0
    .kernarg_segment_align: 4
    .kernarg_segment_size: 0
    .language:       OpenCL C
    .language_version:
      - 2
      - 0
    .max_flat_workgroup_size: 1024
    .name:           _ZN7rocprim17ROCPRIM_400000_NS6detail44device_merge_sort_compile_time_verifier_archINS1_11comp_targetILNS1_3genE5ELNS1_11target_archE942ELNS1_3gpuE9ELNS1_3repE0EEES8_NS0_14default_configES9_NS1_37merge_sort_block_sort_config_selectorItNS0_10empty_typeEEENS1_38merge_sort_block_merge_config_selectorItSB_EEEEvv
    .private_segment_fixed_size: 0
    .sgpr_count:     0
    .sgpr_spill_count: 0
    .symbol:         _ZN7rocprim17ROCPRIM_400000_NS6detail44device_merge_sort_compile_time_verifier_archINS1_11comp_targetILNS1_3genE5ELNS1_11target_archE942ELNS1_3gpuE9ELNS1_3repE0EEES8_NS0_14default_configES9_NS1_37merge_sort_block_sort_config_selectorItNS0_10empty_typeEEENS1_38merge_sort_block_merge_config_selectorItSB_EEEEvv.kd
    .uniform_work_group_size: 1
    .uses_dynamic_stack: false
    .vgpr_count:     0
    .vgpr_spill_count: 0
    .wavefront_size: 32
    .workgroup_processor_mode: 1
  - .args:           []
    .group_segment_fixed_size: 0
    .kernarg_segment_align: 4
    .kernarg_segment_size: 0
    .language:       OpenCL C
    .language_version:
      - 2
      - 0
    .max_flat_workgroup_size: 1024
    .name:           _ZN7rocprim17ROCPRIM_400000_NS6detail44device_merge_sort_compile_time_verifier_archINS1_11comp_targetILNS1_3genE4ELNS1_11target_archE910ELNS1_3gpuE8ELNS1_3repE0EEES8_NS0_14default_configES9_NS1_37merge_sort_block_sort_config_selectorItNS0_10empty_typeEEENS1_38merge_sort_block_merge_config_selectorItSB_EEEEvv
    .private_segment_fixed_size: 0
    .sgpr_count:     0
    .sgpr_spill_count: 0
    .symbol:         _ZN7rocprim17ROCPRIM_400000_NS6detail44device_merge_sort_compile_time_verifier_archINS1_11comp_targetILNS1_3genE4ELNS1_11target_archE910ELNS1_3gpuE8ELNS1_3repE0EEES8_NS0_14default_configES9_NS1_37merge_sort_block_sort_config_selectorItNS0_10empty_typeEEENS1_38merge_sort_block_merge_config_selectorItSB_EEEEvv.kd
    .uniform_work_group_size: 1
    .uses_dynamic_stack: false
    .vgpr_count:     0
    .vgpr_spill_count: 0
    .wavefront_size: 32
    .workgroup_processor_mode: 1
  - .args:           []
    .group_segment_fixed_size: 0
    .kernarg_segment_align: 4
    .kernarg_segment_size: 0
    .language:       OpenCL C
    .language_version:
      - 2
      - 0
    .max_flat_workgroup_size: 1024
    .name:           _ZN7rocprim17ROCPRIM_400000_NS6detail44device_merge_sort_compile_time_verifier_archINS1_11comp_targetILNS1_3genE3ELNS1_11target_archE908ELNS1_3gpuE7ELNS1_3repE0EEES8_NS0_14default_configES9_NS1_37merge_sort_block_sort_config_selectorItNS0_10empty_typeEEENS1_38merge_sort_block_merge_config_selectorItSB_EEEEvv
    .private_segment_fixed_size: 0
    .sgpr_count:     0
    .sgpr_spill_count: 0
    .symbol:         _ZN7rocprim17ROCPRIM_400000_NS6detail44device_merge_sort_compile_time_verifier_archINS1_11comp_targetILNS1_3genE3ELNS1_11target_archE908ELNS1_3gpuE7ELNS1_3repE0EEES8_NS0_14default_configES9_NS1_37merge_sort_block_sort_config_selectorItNS0_10empty_typeEEENS1_38merge_sort_block_merge_config_selectorItSB_EEEEvv.kd
    .uniform_work_group_size: 1
    .uses_dynamic_stack: false
    .vgpr_count:     0
    .vgpr_spill_count: 0
    .wavefront_size: 32
    .workgroup_processor_mode: 1
  - .args:           []
    .group_segment_fixed_size: 0
    .kernarg_segment_align: 4
    .kernarg_segment_size: 0
    .language:       OpenCL C
    .language_version:
      - 2
      - 0
    .max_flat_workgroup_size: 1024
    .name:           _ZN7rocprim17ROCPRIM_400000_NS6detail44device_merge_sort_compile_time_verifier_archINS1_11comp_targetILNS1_3genE2ELNS1_11target_archE906ELNS1_3gpuE6ELNS1_3repE0EEES8_NS0_14default_configES9_NS1_37merge_sort_block_sort_config_selectorItNS0_10empty_typeEEENS1_38merge_sort_block_merge_config_selectorItSB_EEEEvv
    .private_segment_fixed_size: 0
    .sgpr_count:     0
    .sgpr_spill_count: 0
    .symbol:         _ZN7rocprim17ROCPRIM_400000_NS6detail44device_merge_sort_compile_time_verifier_archINS1_11comp_targetILNS1_3genE2ELNS1_11target_archE906ELNS1_3gpuE6ELNS1_3repE0EEES8_NS0_14default_configES9_NS1_37merge_sort_block_sort_config_selectorItNS0_10empty_typeEEENS1_38merge_sort_block_merge_config_selectorItSB_EEEEvv.kd
    .uniform_work_group_size: 1
    .uses_dynamic_stack: false
    .vgpr_count:     0
    .vgpr_spill_count: 0
    .wavefront_size: 32
    .workgroup_processor_mode: 1
  - .args:           []
    .group_segment_fixed_size: 0
    .kernarg_segment_align: 4
    .kernarg_segment_size: 0
    .language:       OpenCL C
    .language_version:
      - 2
      - 0
    .max_flat_workgroup_size: 1024
    .name:           _ZN7rocprim17ROCPRIM_400000_NS6detail44device_merge_sort_compile_time_verifier_archINS1_11comp_targetILNS1_3genE10ELNS1_11target_archE1201ELNS1_3gpuE5ELNS1_3repE0EEES8_NS0_14default_configES9_NS1_37merge_sort_block_sort_config_selectorItNS0_10empty_typeEEENS1_38merge_sort_block_merge_config_selectorItSB_EEEEvv
    .private_segment_fixed_size: 0
    .sgpr_count:     0
    .sgpr_spill_count: 0
    .symbol:         _ZN7rocprim17ROCPRIM_400000_NS6detail44device_merge_sort_compile_time_verifier_archINS1_11comp_targetILNS1_3genE10ELNS1_11target_archE1201ELNS1_3gpuE5ELNS1_3repE0EEES8_NS0_14default_configES9_NS1_37merge_sort_block_sort_config_selectorItNS0_10empty_typeEEENS1_38merge_sort_block_merge_config_selectorItSB_EEEEvv.kd
    .uniform_work_group_size: 1
    .uses_dynamic_stack: false
    .vgpr_count:     0
    .vgpr_spill_count: 0
    .wavefront_size: 32
    .workgroup_processor_mode: 1
  - .args:           []
    .group_segment_fixed_size: 0
    .kernarg_segment_align: 4
    .kernarg_segment_size: 0
    .language:       OpenCL C
    .language_version:
      - 2
      - 0
    .max_flat_workgroup_size: 1024
    .name:           _ZN7rocprim17ROCPRIM_400000_NS6detail44device_merge_sort_compile_time_verifier_archINS1_11comp_targetILNS1_3genE10ELNS1_11target_archE1200ELNS1_3gpuE4ELNS1_3repE0EEENS3_ILS4_10ELS5_1201ELS6_5ELS7_0EEENS0_14default_configESA_NS1_37merge_sort_block_sort_config_selectorItNS0_10empty_typeEEENS1_38merge_sort_block_merge_config_selectorItSC_EEEEvv
    .private_segment_fixed_size: 0
    .sgpr_count:     0
    .sgpr_spill_count: 0
    .symbol:         _ZN7rocprim17ROCPRIM_400000_NS6detail44device_merge_sort_compile_time_verifier_archINS1_11comp_targetILNS1_3genE10ELNS1_11target_archE1200ELNS1_3gpuE4ELNS1_3repE0EEENS3_ILS4_10ELS5_1201ELS6_5ELS7_0EEENS0_14default_configESA_NS1_37merge_sort_block_sort_config_selectorItNS0_10empty_typeEEENS1_38merge_sort_block_merge_config_selectorItSC_EEEEvv.kd
    .uniform_work_group_size: 1
    .uses_dynamic_stack: false
    .vgpr_count:     0
    .vgpr_spill_count: 0
    .wavefront_size: 32
    .workgroup_processor_mode: 1
  - .args:           []
    .group_segment_fixed_size: 0
    .kernarg_segment_align: 4
    .kernarg_segment_size: 0
    .language:       OpenCL C
    .language_version:
      - 2
      - 0
    .max_flat_workgroup_size: 1024
    .name:           _ZN7rocprim17ROCPRIM_400000_NS6detail44device_merge_sort_compile_time_verifier_archINS1_11comp_targetILNS1_3genE9ELNS1_11target_archE1100ELNS1_3gpuE3ELNS1_3repE0EEES8_NS0_14default_configES9_NS1_37merge_sort_block_sort_config_selectorItNS0_10empty_typeEEENS1_38merge_sort_block_merge_config_selectorItSB_EEEEvv
    .private_segment_fixed_size: 0
    .sgpr_count:     0
    .sgpr_spill_count: 0
    .symbol:         _ZN7rocprim17ROCPRIM_400000_NS6detail44device_merge_sort_compile_time_verifier_archINS1_11comp_targetILNS1_3genE9ELNS1_11target_archE1100ELNS1_3gpuE3ELNS1_3repE0EEES8_NS0_14default_configES9_NS1_37merge_sort_block_sort_config_selectorItNS0_10empty_typeEEENS1_38merge_sort_block_merge_config_selectorItSB_EEEEvv.kd
    .uniform_work_group_size: 1
    .uses_dynamic_stack: false
    .vgpr_count:     0
    .vgpr_spill_count: 0
    .wavefront_size: 32
    .workgroup_processor_mode: 1
  - .args:           []
    .group_segment_fixed_size: 0
    .kernarg_segment_align: 4
    .kernarg_segment_size: 0
    .language:       OpenCL C
    .language_version:
      - 2
      - 0
    .max_flat_workgroup_size: 1024
    .name:           _ZN7rocprim17ROCPRIM_400000_NS6detail44device_merge_sort_compile_time_verifier_archINS1_11comp_targetILNS1_3genE8ELNS1_11target_archE1030ELNS1_3gpuE2ELNS1_3repE0EEES8_NS0_14default_configES9_NS1_37merge_sort_block_sort_config_selectorItNS0_10empty_typeEEENS1_38merge_sort_block_merge_config_selectorItSB_EEEEvv
    .private_segment_fixed_size: 0
    .sgpr_count:     0
    .sgpr_spill_count: 0
    .symbol:         _ZN7rocprim17ROCPRIM_400000_NS6detail44device_merge_sort_compile_time_verifier_archINS1_11comp_targetILNS1_3genE8ELNS1_11target_archE1030ELNS1_3gpuE2ELNS1_3repE0EEES8_NS0_14default_configES9_NS1_37merge_sort_block_sort_config_selectorItNS0_10empty_typeEEENS1_38merge_sort_block_merge_config_selectorItSB_EEEEvv.kd
    .uniform_work_group_size: 1
    .uses_dynamic_stack: false
    .vgpr_count:     0
    .vgpr_spill_count: 0
    .wavefront_size: 32
    .workgroup_processor_mode: 1
  - .args:
      - .offset:         0
        .size:           64
        .value_kind:     by_value
    .group_segment_fixed_size: 0
    .kernarg_segment_align: 8
    .kernarg_segment_size: 64
    .language:       OpenCL C
    .language_version:
      - 2
      - 0
    .max_flat_workgroup_size: 256
    .name:           _ZN7rocprim17ROCPRIM_400000_NS6detail17trampoline_kernelINS0_14default_configENS1_37merge_sort_block_sort_config_selectorItNS0_10empty_typeEEEZNS1_21merge_sort_block_sortIS3_N6thrust23THRUST_200600_302600_NS6detail15normal_iteratorINS9_10device_ptrItEEEESE_PS5_SF_11less_div_10ItEEE10hipError_tT0_T1_T2_T3_mRjT4_P12ihipStream_tbNS1_7vsmem_tEEUlT_E_NS1_11comp_targetILNS1_3genE0ELNS1_11target_archE4294967295ELNS1_3gpuE0ELNS1_3repE0EEENS1_30default_config_static_selectorELNS0_4arch9wavefront6targetE0EEEvSK_
    .private_segment_fixed_size: 0
    .sgpr_count:     0
    .sgpr_spill_count: 0
    .symbol:         _ZN7rocprim17ROCPRIM_400000_NS6detail17trampoline_kernelINS0_14default_configENS1_37merge_sort_block_sort_config_selectorItNS0_10empty_typeEEEZNS1_21merge_sort_block_sortIS3_N6thrust23THRUST_200600_302600_NS6detail15normal_iteratorINS9_10device_ptrItEEEESE_PS5_SF_11less_div_10ItEEE10hipError_tT0_T1_T2_T3_mRjT4_P12ihipStream_tbNS1_7vsmem_tEEUlT_E_NS1_11comp_targetILNS1_3genE0ELNS1_11target_archE4294967295ELNS1_3gpuE0ELNS1_3repE0EEENS1_30default_config_static_selectorELNS0_4arch9wavefront6targetE0EEEvSK_.kd
    .uniform_work_group_size: 1
    .uses_dynamic_stack: false
    .vgpr_count:     0
    .vgpr_spill_count: 0
    .wavefront_size: 32
    .workgroup_processor_mode: 1
  - .args:
      - .offset:         0
        .size:           64
        .value_kind:     by_value
    .group_segment_fixed_size: 0
    .kernarg_segment_align: 8
    .kernarg_segment_size: 64
    .language:       OpenCL C
    .language_version:
      - 2
      - 0
    .max_flat_workgroup_size: 256
    .name:           _ZN7rocprim17ROCPRIM_400000_NS6detail17trampoline_kernelINS0_14default_configENS1_37merge_sort_block_sort_config_selectorItNS0_10empty_typeEEEZNS1_21merge_sort_block_sortIS3_N6thrust23THRUST_200600_302600_NS6detail15normal_iteratorINS9_10device_ptrItEEEESE_PS5_SF_11less_div_10ItEEE10hipError_tT0_T1_T2_T3_mRjT4_P12ihipStream_tbNS1_7vsmem_tEEUlT_E_NS1_11comp_targetILNS1_3genE5ELNS1_11target_archE942ELNS1_3gpuE9ELNS1_3repE0EEENS1_30default_config_static_selectorELNS0_4arch9wavefront6targetE0EEEvSK_
    .private_segment_fixed_size: 0
    .sgpr_count:     0
    .sgpr_spill_count: 0
    .symbol:         _ZN7rocprim17ROCPRIM_400000_NS6detail17trampoline_kernelINS0_14default_configENS1_37merge_sort_block_sort_config_selectorItNS0_10empty_typeEEEZNS1_21merge_sort_block_sortIS3_N6thrust23THRUST_200600_302600_NS6detail15normal_iteratorINS9_10device_ptrItEEEESE_PS5_SF_11less_div_10ItEEE10hipError_tT0_T1_T2_T3_mRjT4_P12ihipStream_tbNS1_7vsmem_tEEUlT_E_NS1_11comp_targetILNS1_3genE5ELNS1_11target_archE942ELNS1_3gpuE9ELNS1_3repE0EEENS1_30default_config_static_selectorELNS0_4arch9wavefront6targetE0EEEvSK_.kd
    .uniform_work_group_size: 1
    .uses_dynamic_stack: false
    .vgpr_count:     0
    .vgpr_spill_count: 0
    .wavefront_size: 32
    .workgroup_processor_mode: 1
  - .args:
      - .offset:         0
        .size:           64
        .value_kind:     by_value
    .group_segment_fixed_size: 0
    .kernarg_segment_align: 8
    .kernarg_segment_size: 64
    .language:       OpenCL C
    .language_version:
      - 2
      - 0
    .max_flat_workgroup_size: 256
    .name:           _ZN7rocprim17ROCPRIM_400000_NS6detail17trampoline_kernelINS0_14default_configENS1_37merge_sort_block_sort_config_selectorItNS0_10empty_typeEEEZNS1_21merge_sort_block_sortIS3_N6thrust23THRUST_200600_302600_NS6detail15normal_iteratorINS9_10device_ptrItEEEESE_PS5_SF_11less_div_10ItEEE10hipError_tT0_T1_T2_T3_mRjT4_P12ihipStream_tbNS1_7vsmem_tEEUlT_E_NS1_11comp_targetILNS1_3genE4ELNS1_11target_archE910ELNS1_3gpuE8ELNS1_3repE0EEENS1_30default_config_static_selectorELNS0_4arch9wavefront6targetE0EEEvSK_
    .private_segment_fixed_size: 0
    .sgpr_count:     0
    .sgpr_spill_count: 0
    .symbol:         _ZN7rocprim17ROCPRIM_400000_NS6detail17trampoline_kernelINS0_14default_configENS1_37merge_sort_block_sort_config_selectorItNS0_10empty_typeEEEZNS1_21merge_sort_block_sortIS3_N6thrust23THRUST_200600_302600_NS6detail15normal_iteratorINS9_10device_ptrItEEEESE_PS5_SF_11less_div_10ItEEE10hipError_tT0_T1_T2_T3_mRjT4_P12ihipStream_tbNS1_7vsmem_tEEUlT_E_NS1_11comp_targetILNS1_3genE4ELNS1_11target_archE910ELNS1_3gpuE8ELNS1_3repE0EEENS1_30default_config_static_selectorELNS0_4arch9wavefront6targetE0EEEvSK_.kd
    .uniform_work_group_size: 1
    .uses_dynamic_stack: false
    .vgpr_count:     0
    .vgpr_spill_count: 0
    .wavefront_size: 32
    .workgroup_processor_mode: 1
  - .args:
      - .offset:         0
        .size:           64
        .value_kind:     by_value
    .group_segment_fixed_size: 0
    .kernarg_segment_align: 8
    .kernarg_segment_size: 64
    .language:       OpenCL C
    .language_version:
      - 2
      - 0
    .max_flat_workgroup_size: 256
    .name:           _ZN7rocprim17ROCPRIM_400000_NS6detail17trampoline_kernelINS0_14default_configENS1_37merge_sort_block_sort_config_selectorItNS0_10empty_typeEEEZNS1_21merge_sort_block_sortIS3_N6thrust23THRUST_200600_302600_NS6detail15normal_iteratorINS9_10device_ptrItEEEESE_PS5_SF_11less_div_10ItEEE10hipError_tT0_T1_T2_T3_mRjT4_P12ihipStream_tbNS1_7vsmem_tEEUlT_E_NS1_11comp_targetILNS1_3genE3ELNS1_11target_archE908ELNS1_3gpuE7ELNS1_3repE0EEENS1_30default_config_static_selectorELNS0_4arch9wavefront6targetE0EEEvSK_
    .private_segment_fixed_size: 0
    .sgpr_count:     0
    .sgpr_spill_count: 0
    .symbol:         _ZN7rocprim17ROCPRIM_400000_NS6detail17trampoline_kernelINS0_14default_configENS1_37merge_sort_block_sort_config_selectorItNS0_10empty_typeEEEZNS1_21merge_sort_block_sortIS3_N6thrust23THRUST_200600_302600_NS6detail15normal_iteratorINS9_10device_ptrItEEEESE_PS5_SF_11less_div_10ItEEE10hipError_tT0_T1_T2_T3_mRjT4_P12ihipStream_tbNS1_7vsmem_tEEUlT_E_NS1_11comp_targetILNS1_3genE3ELNS1_11target_archE908ELNS1_3gpuE7ELNS1_3repE0EEENS1_30default_config_static_selectorELNS0_4arch9wavefront6targetE0EEEvSK_.kd
    .uniform_work_group_size: 1
    .uses_dynamic_stack: false
    .vgpr_count:     0
    .vgpr_spill_count: 0
    .wavefront_size: 32
    .workgroup_processor_mode: 1
  - .args:
      - .offset:         0
        .size:           64
        .value_kind:     by_value
    .group_segment_fixed_size: 0
    .kernarg_segment_align: 8
    .kernarg_segment_size: 64
    .language:       OpenCL C
    .language_version:
      - 2
      - 0
    .max_flat_workgroup_size: 256
    .name:           _ZN7rocprim17ROCPRIM_400000_NS6detail17trampoline_kernelINS0_14default_configENS1_37merge_sort_block_sort_config_selectorItNS0_10empty_typeEEEZNS1_21merge_sort_block_sortIS3_N6thrust23THRUST_200600_302600_NS6detail15normal_iteratorINS9_10device_ptrItEEEESE_PS5_SF_11less_div_10ItEEE10hipError_tT0_T1_T2_T3_mRjT4_P12ihipStream_tbNS1_7vsmem_tEEUlT_E_NS1_11comp_targetILNS1_3genE2ELNS1_11target_archE906ELNS1_3gpuE6ELNS1_3repE0EEENS1_30default_config_static_selectorELNS0_4arch9wavefront6targetE0EEEvSK_
    .private_segment_fixed_size: 0
    .sgpr_count:     0
    .sgpr_spill_count: 0
    .symbol:         _ZN7rocprim17ROCPRIM_400000_NS6detail17trampoline_kernelINS0_14default_configENS1_37merge_sort_block_sort_config_selectorItNS0_10empty_typeEEEZNS1_21merge_sort_block_sortIS3_N6thrust23THRUST_200600_302600_NS6detail15normal_iteratorINS9_10device_ptrItEEEESE_PS5_SF_11less_div_10ItEEE10hipError_tT0_T1_T2_T3_mRjT4_P12ihipStream_tbNS1_7vsmem_tEEUlT_E_NS1_11comp_targetILNS1_3genE2ELNS1_11target_archE906ELNS1_3gpuE6ELNS1_3repE0EEENS1_30default_config_static_selectorELNS0_4arch9wavefront6targetE0EEEvSK_.kd
    .uniform_work_group_size: 1
    .uses_dynamic_stack: false
    .vgpr_count:     0
    .vgpr_spill_count: 0
    .wavefront_size: 32
    .workgroup_processor_mode: 1
  - .args:
      - .offset:         0
        .size:           64
        .value_kind:     by_value
    .group_segment_fixed_size: 0
    .kernarg_segment_align: 8
    .kernarg_segment_size: 64
    .language:       OpenCL C
    .language_version:
      - 2
      - 0
    .max_flat_workgroup_size: 256
    .name:           _ZN7rocprim17ROCPRIM_400000_NS6detail17trampoline_kernelINS0_14default_configENS1_37merge_sort_block_sort_config_selectorItNS0_10empty_typeEEEZNS1_21merge_sort_block_sortIS3_N6thrust23THRUST_200600_302600_NS6detail15normal_iteratorINS9_10device_ptrItEEEESE_PS5_SF_11less_div_10ItEEE10hipError_tT0_T1_T2_T3_mRjT4_P12ihipStream_tbNS1_7vsmem_tEEUlT_E_NS1_11comp_targetILNS1_3genE10ELNS1_11target_archE1201ELNS1_3gpuE5ELNS1_3repE0EEENS1_30default_config_static_selectorELNS0_4arch9wavefront6targetE0EEEvSK_
    .private_segment_fixed_size: 0
    .sgpr_count:     0
    .sgpr_spill_count: 0
    .symbol:         _ZN7rocprim17ROCPRIM_400000_NS6detail17trampoline_kernelINS0_14default_configENS1_37merge_sort_block_sort_config_selectorItNS0_10empty_typeEEEZNS1_21merge_sort_block_sortIS3_N6thrust23THRUST_200600_302600_NS6detail15normal_iteratorINS9_10device_ptrItEEEESE_PS5_SF_11less_div_10ItEEE10hipError_tT0_T1_T2_T3_mRjT4_P12ihipStream_tbNS1_7vsmem_tEEUlT_E_NS1_11comp_targetILNS1_3genE10ELNS1_11target_archE1201ELNS1_3gpuE5ELNS1_3repE0EEENS1_30default_config_static_selectorELNS0_4arch9wavefront6targetE0EEEvSK_.kd
    .uniform_work_group_size: 1
    .uses_dynamic_stack: false
    .vgpr_count:     0
    .vgpr_spill_count: 0
    .wavefront_size: 32
    .workgroup_processor_mode: 1
  - .args:
      - .offset:         0
        .size:           64
        .value_kind:     by_value
    .group_segment_fixed_size: 0
    .kernarg_segment_align: 8
    .kernarg_segment_size: 64
    .language:       OpenCL C
    .language_version:
      - 2
      - 0
    .max_flat_workgroup_size: 256
    .name:           _ZN7rocprim17ROCPRIM_400000_NS6detail17trampoline_kernelINS0_14default_configENS1_37merge_sort_block_sort_config_selectorItNS0_10empty_typeEEEZNS1_21merge_sort_block_sortIS3_N6thrust23THRUST_200600_302600_NS6detail15normal_iteratorINS9_10device_ptrItEEEESE_PS5_SF_11less_div_10ItEEE10hipError_tT0_T1_T2_T3_mRjT4_P12ihipStream_tbNS1_7vsmem_tEEUlT_E_NS1_11comp_targetILNS1_3genE10ELNS1_11target_archE1200ELNS1_3gpuE4ELNS1_3repE0EEENS1_30default_config_static_selectorELNS0_4arch9wavefront6targetE0EEEvSK_
    .private_segment_fixed_size: 0
    .sgpr_count:     0
    .sgpr_spill_count: 0
    .symbol:         _ZN7rocprim17ROCPRIM_400000_NS6detail17trampoline_kernelINS0_14default_configENS1_37merge_sort_block_sort_config_selectorItNS0_10empty_typeEEEZNS1_21merge_sort_block_sortIS3_N6thrust23THRUST_200600_302600_NS6detail15normal_iteratorINS9_10device_ptrItEEEESE_PS5_SF_11less_div_10ItEEE10hipError_tT0_T1_T2_T3_mRjT4_P12ihipStream_tbNS1_7vsmem_tEEUlT_E_NS1_11comp_targetILNS1_3genE10ELNS1_11target_archE1200ELNS1_3gpuE4ELNS1_3repE0EEENS1_30default_config_static_selectorELNS0_4arch9wavefront6targetE0EEEvSK_.kd
    .uniform_work_group_size: 1
    .uses_dynamic_stack: false
    .vgpr_count:     0
    .vgpr_spill_count: 0
    .wavefront_size: 32
    .workgroup_processor_mode: 1
  - .args:
      - .offset:         0
        .size:           64
        .value_kind:     by_value
    .group_segment_fixed_size: 0
    .kernarg_segment_align: 8
    .kernarg_segment_size: 64
    .language:       OpenCL C
    .language_version:
      - 2
      - 0
    .max_flat_workgroup_size: 256
    .name:           _ZN7rocprim17ROCPRIM_400000_NS6detail17trampoline_kernelINS0_14default_configENS1_37merge_sort_block_sort_config_selectorItNS0_10empty_typeEEEZNS1_21merge_sort_block_sortIS3_N6thrust23THRUST_200600_302600_NS6detail15normal_iteratorINS9_10device_ptrItEEEESE_PS5_SF_11less_div_10ItEEE10hipError_tT0_T1_T2_T3_mRjT4_P12ihipStream_tbNS1_7vsmem_tEEUlT_E_NS1_11comp_targetILNS1_3genE9ELNS1_11target_archE1100ELNS1_3gpuE3ELNS1_3repE0EEENS1_30default_config_static_selectorELNS0_4arch9wavefront6targetE0EEEvSK_
    .private_segment_fixed_size: 0
    .sgpr_count:     0
    .sgpr_spill_count: 0
    .symbol:         _ZN7rocprim17ROCPRIM_400000_NS6detail17trampoline_kernelINS0_14default_configENS1_37merge_sort_block_sort_config_selectorItNS0_10empty_typeEEEZNS1_21merge_sort_block_sortIS3_N6thrust23THRUST_200600_302600_NS6detail15normal_iteratorINS9_10device_ptrItEEEESE_PS5_SF_11less_div_10ItEEE10hipError_tT0_T1_T2_T3_mRjT4_P12ihipStream_tbNS1_7vsmem_tEEUlT_E_NS1_11comp_targetILNS1_3genE9ELNS1_11target_archE1100ELNS1_3gpuE3ELNS1_3repE0EEENS1_30default_config_static_selectorELNS0_4arch9wavefront6targetE0EEEvSK_.kd
    .uniform_work_group_size: 1
    .uses_dynamic_stack: false
    .vgpr_count:     0
    .vgpr_spill_count: 0
    .wavefront_size: 32
    .workgroup_processor_mode: 1
  - .args:
      - .offset:         0
        .size:           64
        .value_kind:     by_value
      - .offset:         64
        .size:           4
        .value_kind:     hidden_block_count_x
      - .offset:         68
        .size:           4
        .value_kind:     hidden_block_count_y
      - .offset:         72
        .size:           4
        .value_kind:     hidden_block_count_z
      - .offset:         76
        .size:           2
        .value_kind:     hidden_group_size_x
      - .offset:         78
        .size:           2
        .value_kind:     hidden_group_size_y
      - .offset:         80
        .size:           2
        .value_kind:     hidden_group_size_z
      - .offset:         82
        .size:           2
        .value_kind:     hidden_remainder_x
      - .offset:         84
        .size:           2
        .value_kind:     hidden_remainder_y
      - .offset:         86
        .size:           2
        .value_kind:     hidden_remainder_z
      - .offset:         104
        .size:           8
        .value_kind:     hidden_global_offset_x
      - .offset:         112
        .size:           8
        .value_kind:     hidden_global_offset_y
      - .offset:         120
        .size:           8
        .value_kind:     hidden_global_offset_z
      - .offset:         128
        .size:           2
        .value_kind:     hidden_grid_dims
    .group_segment_fixed_size: 16896
    .kernarg_segment_align: 8
    .kernarg_segment_size: 320
    .language:       OpenCL C
    .language_version:
      - 2
      - 0
    .max_flat_workgroup_size: 256
    .name:           _ZN7rocprim17ROCPRIM_400000_NS6detail17trampoline_kernelINS0_14default_configENS1_37merge_sort_block_sort_config_selectorItNS0_10empty_typeEEEZNS1_21merge_sort_block_sortIS3_N6thrust23THRUST_200600_302600_NS6detail15normal_iteratorINS9_10device_ptrItEEEESE_PS5_SF_11less_div_10ItEEE10hipError_tT0_T1_T2_T3_mRjT4_P12ihipStream_tbNS1_7vsmem_tEEUlT_E_NS1_11comp_targetILNS1_3genE8ELNS1_11target_archE1030ELNS1_3gpuE2ELNS1_3repE0EEENS1_30default_config_static_selectorELNS0_4arch9wavefront6targetE0EEEvSK_
    .private_segment_fixed_size: 128
    .sgpr_count:     98
    .sgpr_spill_count: 0
    .symbol:         _ZN7rocprim17ROCPRIM_400000_NS6detail17trampoline_kernelINS0_14default_configENS1_37merge_sort_block_sort_config_selectorItNS0_10empty_typeEEEZNS1_21merge_sort_block_sortIS3_N6thrust23THRUST_200600_302600_NS6detail15normal_iteratorINS9_10device_ptrItEEEESE_PS5_SF_11less_div_10ItEEE10hipError_tT0_T1_T2_T3_mRjT4_P12ihipStream_tbNS1_7vsmem_tEEUlT_E_NS1_11comp_targetILNS1_3genE8ELNS1_11target_archE1030ELNS1_3gpuE2ELNS1_3repE0EEENS1_30default_config_static_selectorELNS0_4arch9wavefront6targetE0EEEvSK_.kd
    .uniform_work_group_size: 1
    .uses_dynamic_stack: false
    .vgpr_count:     248
    .vgpr_spill_count: 0
    .wavefront_size: 32
    .workgroup_processor_mode: 1
  - .args:
      - .offset:         0
        .size:           48
        .value_kind:     by_value
    .group_segment_fixed_size: 0
    .kernarg_segment_align: 8
    .kernarg_segment_size: 48
    .language:       OpenCL C
    .language_version:
      - 2
      - 0
    .max_flat_workgroup_size: 128
    .name:           _ZN7rocprim17ROCPRIM_400000_NS6detail17trampoline_kernelINS0_14default_configENS1_38merge_sort_block_merge_config_selectorItNS0_10empty_typeEEEZZNS1_27merge_sort_block_merge_implIS3_N6thrust23THRUST_200600_302600_NS6detail15normal_iteratorINS9_10device_ptrItEEEEPS5_m11less_div_10ItEEE10hipError_tT0_T1_T2_jT3_P12ihipStream_tbPNSt15iterator_traitsISJ_E10value_typeEPNSP_ISK_E10value_typeEPSL_NS1_7vsmem_tEENKUlT_SJ_SK_SL_E_clIPtSE_SF_SF_EESI_SY_SJ_SK_SL_EUlSY_E_NS1_11comp_targetILNS1_3genE0ELNS1_11target_archE4294967295ELNS1_3gpuE0ELNS1_3repE0EEENS1_48merge_mergepath_partition_config_static_selectorELNS0_4arch9wavefront6targetE0EEEvSK_
    .private_segment_fixed_size: 0
    .sgpr_count:     0
    .sgpr_spill_count: 0
    .symbol:         _ZN7rocprim17ROCPRIM_400000_NS6detail17trampoline_kernelINS0_14default_configENS1_38merge_sort_block_merge_config_selectorItNS0_10empty_typeEEEZZNS1_27merge_sort_block_merge_implIS3_N6thrust23THRUST_200600_302600_NS6detail15normal_iteratorINS9_10device_ptrItEEEEPS5_m11less_div_10ItEEE10hipError_tT0_T1_T2_jT3_P12ihipStream_tbPNSt15iterator_traitsISJ_E10value_typeEPNSP_ISK_E10value_typeEPSL_NS1_7vsmem_tEENKUlT_SJ_SK_SL_E_clIPtSE_SF_SF_EESI_SY_SJ_SK_SL_EUlSY_E_NS1_11comp_targetILNS1_3genE0ELNS1_11target_archE4294967295ELNS1_3gpuE0ELNS1_3repE0EEENS1_48merge_mergepath_partition_config_static_selectorELNS0_4arch9wavefront6targetE0EEEvSK_.kd
    .uniform_work_group_size: 1
    .uses_dynamic_stack: false
    .vgpr_count:     0
    .vgpr_spill_count: 0
    .wavefront_size: 32
    .workgroup_processor_mode: 1
  - .args:
      - .offset:         0
        .size:           48
        .value_kind:     by_value
    .group_segment_fixed_size: 0
    .kernarg_segment_align: 8
    .kernarg_segment_size: 48
    .language:       OpenCL C
    .language_version:
      - 2
      - 0
    .max_flat_workgroup_size: 128
    .name:           _ZN7rocprim17ROCPRIM_400000_NS6detail17trampoline_kernelINS0_14default_configENS1_38merge_sort_block_merge_config_selectorItNS0_10empty_typeEEEZZNS1_27merge_sort_block_merge_implIS3_N6thrust23THRUST_200600_302600_NS6detail15normal_iteratorINS9_10device_ptrItEEEEPS5_m11less_div_10ItEEE10hipError_tT0_T1_T2_jT3_P12ihipStream_tbPNSt15iterator_traitsISJ_E10value_typeEPNSP_ISK_E10value_typeEPSL_NS1_7vsmem_tEENKUlT_SJ_SK_SL_E_clIPtSE_SF_SF_EESI_SY_SJ_SK_SL_EUlSY_E_NS1_11comp_targetILNS1_3genE10ELNS1_11target_archE1201ELNS1_3gpuE5ELNS1_3repE0EEENS1_48merge_mergepath_partition_config_static_selectorELNS0_4arch9wavefront6targetE0EEEvSK_
    .private_segment_fixed_size: 0
    .sgpr_count:     0
    .sgpr_spill_count: 0
    .symbol:         _ZN7rocprim17ROCPRIM_400000_NS6detail17trampoline_kernelINS0_14default_configENS1_38merge_sort_block_merge_config_selectorItNS0_10empty_typeEEEZZNS1_27merge_sort_block_merge_implIS3_N6thrust23THRUST_200600_302600_NS6detail15normal_iteratorINS9_10device_ptrItEEEEPS5_m11less_div_10ItEEE10hipError_tT0_T1_T2_jT3_P12ihipStream_tbPNSt15iterator_traitsISJ_E10value_typeEPNSP_ISK_E10value_typeEPSL_NS1_7vsmem_tEENKUlT_SJ_SK_SL_E_clIPtSE_SF_SF_EESI_SY_SJ_SK_SL_EUlSY_E_NS1_11comp_targetILNS1_3genE10ELNS1_11target_archE1201ELNS1_3gpuE5ELNS1_3repE0EEENS1_48merge_mergepath_partition_config_static_selectorELNS0_4arch9wavefront6targetE0EEEvSK_.kd
    .uniform_work_group_size: 1
    .uses_dynamic_stack: false
    .vgpr_count:     0
    .vgpr_spill_count: 0
    .wavefront_size: 32
    .workgroup_processor_mode: 1
  - .args:
      - .offset:         0
        .size:           48
        .value_kind:     by_value
    .group_segment_fixed_size: 0
    .kernarg_segment_align: 8
    .kernarg_segment_size: 48
    .language:       OpenCL C
    .language_version:
      - 2
      - 0
    .max_flat_workgroup_size: 128
    .name:           _ZN7rocprim17ROCPRIM_400000_NS6detail17trampoline_kernelINS0_14default_configENS1_38merge_sort_block_merge_config_selectorItNS0_10empty_typeEEEZZNS1_27merge_sort_block_merge_implIS3_N6thrust23THRUST_200600_302600_NS6detail15normal_iteratorINS9_10device_ptrItEEEEPS5_m11less_div_10ItEEE10hipError_tT0_T1_T2_jT3_P12ihipStream_tbPNSt15iterator_traitsISJ_E10value_typeEPNSP_ISK_E10value_typeEPSL_NS1_7vsmem_tEENKUlT_SJ_SK_SL_E_clIPtSE_SF_SF_EESI_SY_SJ_SK_SL_EUlSY_E_NS1_11comp_targetILNS1_3genE5ELNS1_11target_archE942ELNS1_3gpuE9ELNS1_3repE0EEENS1_48merge_mergepath_partition_config_static_selectorELNS0_4arch9wavefront6targetE0EEEvSK_
    .private_segment_fixed_size: 0
    .sgpr_count:     0
    .sgpr_spill_count: 0
    .symbol:         _ZN7rocprim17ROCPRIM_400000_NS6detail17trampoline_kernelINS0_14default_configENS1_38merge_sort_block_merge_config_selectorItNS0_10empty_typeEEEZZNS1_27merge_sort_block_merge_implIS3_N6thrust23THRUST_200600_302600_NS6detail15normal_iteratorINS9_10device_ptrItEEEEPS5_m11less_div_10ItEEE10hipError_tT0_T1_T2_jT3_P12ihipStream_tbPNSt15iterator_traitsISJ_E10value_typeEPNSP_ISK_E10value_typeEPSL_NS1_7vsmem_tEENKUlT_SJ_SK_SL_E_clIPtSE_SF_SF_EESI_SY_SJ_SK_SL_EUlSY_E_NS1_11comp_targetILNS1_3genE5ELNS1_11target_archE942ELNS1_3gpuE9ELNS1_3repE0EEENS1_48merge_mergepath_partition_config_static_selectorELNS0_4arch9wavefront6targetE0EEEvSK_.kd
    .uniform_work_group_size: 1
    .uses_dynamic_stack: false
    .vgpr_count:     0
    .vgpr_spill_count: 0
    .wavefront_size: 32
    .workgroup_processor_mode: 1
  - .args:
      - .offset:         0
        .size:           48
        .value_kind:     by_value
    .group_segment_fixed_size: 0
    .kernarg_segment_align: 8
    .kernarg_segment_size: 48
    .language:       OpenCL C
    .language_version:
      - 2
      - 0
    .max_flat_workgroup_size: 128
    .name:           _ZN7rocprim17ROCPRIM_400000_NS6detail17trampoline_kernelINS0_14default_configENS1_38merge_sort_block_merge_config_selectorItNS0_10empty_typeEEEZZNS1_27merge_sort_block_merge_implIS3_N6thrust23THRUST_200600_302600_NS6detail15normal_iteratorINS9_10device_ptrItEEEEPS5_m11less_div_10ItEEE10hipError_tT0_T1_T2_jT3_P12ihipStream_tbPNSt15iterator_traitsISJ_E10value_typeEPNSP_ISK_E10value_typeEPSL_NS1_7vsmem_tEENKUlT_SJ_SK_SL_E_clIPtSE_SF_SF_EESI_SY_SJ_SK_SL_EUlSY_E_NS1_11comp_targetILNS1_3genE4ELNS1_11target_archE910ELNS1_3gpuE8ELNS1_3repE0EEENS1_48merge_mergepath_partition_config_static_selectorELNS0_4arch9wavefront6targetE0EEEvSK_
    .private_segment_fixed_size: 0
    .sgpr_count:     0
    .sgpr_spill_count: 0
    .symbol:         _ZN7rocprim17ROCPRIM_400000_NS6detail17trampoline_kernelINS0_14default_configENS1_38merge_sort_block_merge_config_selectorItNS0_10empty_typeEEEZZNS1_27merge_sort_block_merge_implIS3_N6thrust23THRUST_200600_302600_NS6detail15normal_iteratorINS9_10device_ptrItEEEEPS5_m11less_div_10ItEEE10hipError_tT0_T1_T2_jT3_P12ihipStream_tbPNSt15iterator_traitsISJ_E10value_typeEPNSP_ISK_E10value_typeEPSL_NS1_7vsmem_tEENKUlT_SJ_SK_SL_E_clIPtSE_SF_SF_EESI_SY_SJ_SK_SL_EUlSY_E_NS1_11comp_targetILNS1_3genE4ELNS1_11target_archE910ELNS1_3gpuE8ELNS1_3repE0EEENS1_48merge_mergepath_partition_config_static_selectorELNS0_4arch9wavefront6targetE0EEEvSK_.kd
    .uniform_work_group_size: 1
    .uses_dynamic_stack: false
    .vgpr_count:     0
    .vgpr_spill_count: 0
    .wavefront_size: 32
    .workgroup_processor_mode: 1
  - .args:
      - .offset:         0
        .size:           48
        .value_kind:     by_value
    .group_segment_fixed_size: 0
    .kernarg_segment_align: 8
    .kernarg_segment_size: 48
    .language:       OpenCL C
    .language_version:
      - 2
      - 0
    .max_flat_workgroup_size: 128
    .name:           _ZN7rocprim17ROCPRIM_400000_NS6detail17trampoline_kernelINS0_14default_configENS1_38merge_sort_block_merge_config_selectorItNS0_10empty_typeEEEZZNS1_27merge_sort_block_merge_implIS3_N6thrust23THRUST_200600_302600_NS6detail15normal_iteratorINS9_10device_ptrItEEEEPS5_m11less_div_10ItEEE10hipError_tT0_T1_T2_jT3_P12ihipStream_tbPNSt15iterator_traitsISJ_E10value_typeEPNSP_ISK_E10value_typeEPSL_NS1_7vsmem_tEENKUlT_SJ_SK_SL_E_clIPtSE_SF_SF_EESI_SY_SJ_SK_SL_EUlSY_E_NS1_11comp_targetILNS1_3genE3ELNS1_11target_archE908ELNS1_3gpuE7ELNS1_3repE0EEENS1_48merge_mergepath_partition_config_static_selectorELNS0_4arch9wavefront6targetE0EEEvSK_
    .private_segment_fixed_size: 0
    .sgpr_count:     0
    .sgpr_spill_count: 0
    .symbol:         _ZN7rocprim17ROCPRIM_400000_NS6detail17trampoline_kernelINS0_14default_configENS1_38merge_sort_block_merge_config_selectorItNS0_10empty_typeEEEZZNS1_27merge_sort_block_merge_implIS3_N6thrust23THRUST_200600_302600_NS6detail15normal_iteratorINS9_10device_ptrItEEEEPS5_m11less_div_10ItEEE10hipError_tT0_T1_T2_jT3_P12ihipStream_tbPNSt15iterator_traitsISJ_E10value_typeEPNSP_ISK_E10value_typeEPSL_NS1_7vsmem_tEENKUlT_SJ_SK_SL_E_clIPtSE_SF_SF_EESI_SY_SJ_SK_SL_EUlSY_E_NS1_11comp_targetILNS1_3genE3ELNS1_11target_archE908ELNS1_3gpuE7ELNS1_3repE0EEENS1_48merge_mergepath_partition_config_static_selectorELNS0_4arch9wavefront6targetE0EEEvSK_.kd
    .uniform_work_group_size: 1
    .uses_dynamic_stack: false
    .vgpr_count:     0
    .vgpr_spill_count: 0
    .wavefront_size: 32
    .workgroup_processor_mode: 1
  - .args:
      - .offset:         0
        .size:           48
        .value_kind:     by_value
    .group_segment_fixed_size: 0
    .kernarg_segment_align: 8
    .kernarg_segment_size: 48
    .language:       OpenCL C
    .language_version:
      - 2
      - 0
    .max_flat_workgroup_size: 128
    .name:           _ZN7rocprim17ROCPRIM_400000_NS6detail17trampoline_kernelINS0_14default_configENS1_38merge_sort_block_merge_config_selectorItNS0_10empty_typeEEEZZNS1_27merge_sort_block_merge_implIS3_N6thrust23THRUST_200600_302600_NS6detail15normal_iteratorINS9_10device_ptrItEEEEPS5_m11less_div_10ItEEE10hipError_tT0_T1_T2_jT3_P12ihipStream_tbPNSt15iterator_traitsISJ_E10value_typeEPNSP_ISK_E10value_typeEPSL_NS1_7vsmem_tEENKUlT_SJ_SK_SL_E_clIPtSE_SF_SF_EESI_SY_SJ_SK_SL_EUlSY_E_NS1_11comp_targetILNS1_3genE2ELNS1_11target_archE906ELNS1_3gpuE6ELNS1_3repE0EEENS1_48merge_mergepath_partition_config_static_selectorELNS0_4arch9wavefront6targetE0EEEvSK_
    .private_segment_fixed_size: 0
    .sgpr_count:     0
    .sgpr_spill_count: 0
    .symbol:         _ZN7rocprim17ROCPRIM_400000_NS6detail17trampoline_kernelINS0_14default_configENS1_38merge_sort_block_merge_config_selectorItNS0_10empty_typeEEEZZNS1_27merge_sort_block_merge_implIS3_N6thrust23THRUST_200600_302600_NS6detail15normal_iteratorINS9_10device_ptrItEEEEPS5_m11less_div_10ItEEE10hipError_tT0_T1_T2_jT3_P12ihipStream_tbPNSt15iterator_traitsISJ_E10value_typeEPNSP_ISK_E10value_typeEPSL_NS1_7vsmem_tEENKUlT_SJ_SK_SL_E_clIPtSE_SF_SF_EESI_SY_SJ_SK_SL_EUlSY_E_NS1_11comp_targetILNS1_3genE2ELNS1_11target_archE906ELNS1_3gpuE6ELNS1_3repE0EEENS1_48merge_mergepath_partition_config_static_selectorELNS0_4arch9wavefront6targetE0EEEvSK_.kd
    .uniform_work_group_size: 1
    .uses_dynamic_stack: false
    .vgpr_count:     0
    .vgpr_spill_count: 0
    .wavefront_size: 32
    .workgroup_processor_mode: 1
  - .args:
      - .offset:         0
        .size:           48
        .value_kind:     by_value
    .group_segment_fixed_size: 0
    .kernarg_segment_align: 8
    .kernarg_segment_size: 48
    .language:       OpenCL C
    .language_version:
      - 2
      - 0
    .max_flat_workgroup_size: 128
    .name:           _ZN7rocprim17ROCPRIM_400000_NS6detail17trampoline_kernelINS0_14default_configENS1_38merge_sort_block_merge_config_selectorItNS0_10empty_typeEEEZZNS1_27merge_sort_block_merge_implIS3_N6thrust23THRUST_200600_302600_NS6detail15normal_iteratorINS9_10device_ptrItEEEEPS5_m11less_div_10ItEEE10hipError_tT0_T1_T2_jT3_P12ihipStream_tbPNSt15iterator_traitsISJ_E10value_typeEPNSP_ISK_E10value_typeEPSL_NS1_7vsmem_tEENKUlT_SJ_SK_SL_E_clIPtSE_SF_SF_EESI_SY_SJ_SK_SL_EUlSY_E_NS1_11comp_targetILNS1_3genE9ELNS1_11target_archE1100ELNS1_3gpuE3ELNS1_3repE0EEENS1_48merge_mergepath_partition_config_static_selectorELNS0_4arch9wavefront6targetE0EEEvSK_
    .private_segment_fixed_size: 0
    .sgpr_count:     0
    .sgpr_spill_count: 0
    .symbol:         _ZN7rocprim17ROCPRIM_400000_NS6detail17trampoline_kernelINS0_14default_configENS1_38merge_sort_block_merge_config_selectorItNS0_10empty_typeEEEZZNS1_27merge_sort_block_merge_implIS3_N6thrust23THRUST_200600_302600_NS6detail15normal_iteratorINS9_10device_ptrItEEEEPS5_m11less_div_10ItEEE10hipError_tT0_T1_T2_jT3_P12ihipStream_tbPNSt15iterator_traitsISJ_E10value_typeEPNSP_ISK_E10value_typeEPSL_NS1_7vsmem_tEENKUlT_SJ_SK_SL_E_clIPtSE_SF_SF_EESI_SY_SJ_SK_SL_EUlSY_E_NS1_11comp_targetILNS1_3genE9ELNS1_11target_archE1100ELNS1_3gpuE3ELNS1_3repE0EEENS1_48merge_mergepath_partition_config_static_selectorELNS0_4arch9wavefront6targetE0EEEvSK_.kd
    .uniform_work_group_size: 1
    .uses_dynamic_stack: false
    .vgpr_count:     0
    .vgpr_spill_count: 0
    .wavefront_size: 32
    .workgroup_processor_mode: 1
  - .args:
      - .offset:         0
        .size:           48
        .value_kind:     by_value
    .group_segment_fixed_size: 0
    .kernarg_segment_align: 8
    .kernarg_segment_size: 48
    .language:       OpenCL C
    .language_version:
      - 2
      - 0
    .max_flat_workgroup_size: 128
    .name:           _ZN7rocprim17ROCPRIM_400000_NS6detail17trampoline_kernelINS0_14default_configENS1_38merge_sort_block_merge_config_selectorItNS0_10empty_typeEEEZZNS1_27merge_sort_block_merge_implIS3_N6thrust23THRUST_200600_302600_NS6detail15normal_iteratorINS9_10device_ptrItEEEEPS5_m11less_div_10ItEEE10hipError_tT0_T1_T2_jT3_P12ihipStream_tbPNSt15iterator_traitsISJ_E10value_typeEPNSP_ISK_E10value_typeEPSL_NS1_7vsmem_tEENKUlT_SJ_SK_SL_E_clIPtSE_SF_SF_EESI_SY_SJ_SK_SL_EUlSY_E_NS1_11comp_targetILNS1_3genE8ELNS1_11target_archE1030ELNS1_3gpuE2ELNS1_3repE0EEENS1_48merge_mergepath_partition_config_static_selectorELNS0_4arch9wavefront6targetE0EEEvSK_
    .private_segment_fixed_size: 0
    .sgpr_count:     10
    .sgpr_spill_count: 0
    .symbol:         _ZN7rocprim17ROCPRIM_400000_NS6detail17trampoline_kernelINS0_14default_configENS1_38merge_sort_block_merge_config_selectorItNS0_10empty_typeEEEZZNS1_27merge_sort_block_merge_implIS3_N6thrust23THRUST_200600_302600_NS6detail15normal_iteratorINS9_10device_ptrItEEEEPS5_m11less_div_10ItEEE10hipError_tT0_T1_T2_jT3_P12ihipStream_tbPNSt15iterator_traitsISJ_E10value_typeEPNSP_ISK_E10value_typeEPSL_NS1_7vsmem_tEENKUlT_SJ_SK_SL_E_clIPtSE_SF_SF_EESI_SY_SJ_SK_SL_EUlSY_E_NS1_11comp_targetILNS1_3genE8ELNS1_11target_archE1030ELNS1_3gpuE2ELNS1_3repE0EEENS1_48merge_mergepath_partition_config_static_selectorELNS0_4arch9wavefront6targetE0EEEvSK_.kd
    .uniform_work_group_size: 1
    .uses_dynamic_stack: false
    .vgpr_count:     17
    .vgpr_spill_count: 0
    .wavefront_size: 32
    .workgroup_processor_mode: 1
  - .args:
      - .offset:         0
        .size:           72
        .value_kind:     by_value
    .group_segment_fixed_size: 0
    .kernarg_segment_align: 8
    .kernarg_segment_size: 72
    .language:       OpenCL C
    .language_version:
      - 2
      - 0
    .max_flat_workgroup_size: 128
    .name:           _ZN7rocprim17ROCPRIM_400000_NS6detail17trampoline_kernelINS0_14default_configENS1_38merge_sort_block_merge_config_selectorItNS0_10empty_typeEEEZZNS1_27merge_sort_block_merge_implIS3_N6thrust23THRUST_200600_302600_NS6detail15normal_iteratorINS9_10device_ptrItEEEEPS5_m11less_div_10ItEEE10hipError_tT0_T1_T2_jT3_P12ihipStream_tbPNSt15iterator_traitsISJ_E10value_typeEPNSP_ISK_E10value_typeEPSL_NS1_7vsmem_tEENKUlT_SJ_SK_SL_E_clIPtSE_SF_SF_EESI_SY_SJ_SK_SL_EUlSY_E0_NS1_11comp_targetILNS1_3genE0ELNS1_11target_archE4294967295ELNS1_3gpuE0ELNS1_3repE0EEENS1_38merge_mergepath_config_static_selectorELNS0_4arch9wavefront6targetE0EEEvSK_
    .private_segment_fixed_size: 0
    .sgpr_count:     0
    .sgpr_spill_count: 0
    .symbol:         _ZN7rocprim17ROCPRIM_400000_NS6detail17trampoline_kernelINS0_14default_configENS1_38merge_sort_block_merge_config_selectorItNS0_10empty_typeEEEZZNS1_27merge_sort_block_merge_implIS3_N6thrust23THRUST_200600_302600_NS6detail15normal_iteratorINS9_10device_ptrItEEEEPS5_m11less_div_10ItEEE10hipError_tT0_T1_T2_jT3_P12ihipStream_tbPNSt15iterator_traitsISJ_E10value_typeEPNSP_ISK_E10value_typeEPSL_NS1_7vsmem_tEENKUlT_SJ_SK_SL_E_clIPtSE_SF_SF_EESI_SY_SJ_SK_SL_EUlSY_E0_NS1_11comp_targetILNS1_3genE0ELNS1_11target_archE4294967295ELNS1_3gpuE0ELNS1_3repE0EEENS1_38merge_mergepath_config_static_selectorELNS0_4arch9wavefront6targetE0EEEvSK_.kd
    .uniform_work_group_size: 1
    .uses_dynamic_stack: false
    .vgpr_count:     0
    .vgpr_spill_count: 0
    .wavefront_size: 32
    .workgroup_processor_mode: 1
  - .args:
      - .offset:         0
        .size:           72
        .value_kind:     by_value
    .group_segment_fixed_size: 0
    .kernarg_segment_align: 8
    .kernarg_segment_size: 72
    .language:       OpenCL C
    .language_version:
      - 2
      - 0
    .max_flat_workgroup_size: 128
    .name:           _ZN7rocprim17ROCPRIM_400000_NS6detail17trampoline_kernelINS0_14default_configENS1_38merge_sort_block_merge_config_selectorItNS0_10empty_typeEEEZZNS1_27merge_sort_block_merge_implIS3_N6thrust23THRUST_200600_302600_NS6detail15normal_iteratorINS9_10device_ptrItEEEEPS5_m11less_div_10ItEEE10hipError_tT0_T1_T2_jT3_P12ihipStream_tbPNSt15iterator_traitsISJ_E10value_typeEPNSP_ISK_E10value_typeEPSL_NS1_7vsmem_tEENKUlT_SJ_SK_SL_E_clIPtSE_SF_SF_EESI_SY_SJ_SK_SL_EUlSY_E0_NS1_11comp_targetILNS1_3genE10ELNS1_11target_archE1201ELNS1_3gpuE5ELNS1_3repE0EEENS1_38merge_mergepath_config_static_selectorELNS0_4arch9wavefront6targetE0EEEvSK_
    .private_segment_fixed_size: 0
    .sgpr_count:     0
    .sgpr_spill_count: 0
    .symbol:         _ZN7rocprim17ROCPRIM_400000_NS6detail17trampoline_kernelINS0_14default_configENS1_38merge_sort_block_merge_config_selectorItNS0_10empty_typeEEEZZNS1_27merge_sort_block_merge_implIS3_N6thrust23THRUST_200600_302600_NS6detail15normal_iteratorINS9_10device_ptrItEEEEPS5_m11less_div_10ItEEE10hipError_tT0_T1_T2_jT3_P12ihipStream_tbPNSt15iterator_traitsISJ_E10value_typeEPNSP_ISK_E10value_typeEPSL_NS1_7vsmem_tEENKUlT_SJ_SK_SL_E_clIPtSE_SF_SF_EESI_SY_SJ_SK_SL_EUlSY_E0_NS1_11comp_targetILNS1_3genE10ELNS1_11target_archE1201ELNS1_3gpuE5ELNS1_3repE0EEENS1_38merge_mergepath_config_static_selectorELNS0_4arch9wavefront6targetE0EEEvSK_.kd
    .uniform_work_group_size: 1
    .uses_dynamic_stack: false
    .vgpr_count:     0
    .vgpr_spill_count: 0
    .wavefront_size: 32
    .workgroup_processor_mode: 1
  - .args:
      - .offset:         0
        .size:           72
        .value_kind:     by_value
    .group_segment_fixed_size: 0
    .kernarg_segment_align: 8
    .kernarg_segment_size: 72
    .language:       OpenCL C
    .language_version:
      - 2
      - 0
    .max_flat_workgroup_size: 128
    .name:           _ZN7rocprim17ROCPRIM_400000_NS6detail17trampoline_kernelINS0_14default_configENS1_38merge_sort_block_merge_config_selectorItNS0_10empty_typeEEEZZNS1_27merge_sort_block_merge_implIS3_N6thrust23THRUST_200600_302600_NS6detail15normal_iteratorINS9_10device_ptrItEEEEPS5_m11less_div_10ItEEE10hipError_tT0_T1_T2_jT3_P12ihipStream_tbPNSt15iterator_traitsISJ_E10value_typeEPNSP_ISK_E10value_typeEPSL_NS1_7vsmem_tEENKUlT_SJ_SK_SL_E_clIPtSE_SF_SF_EESI_SY_SJ_SK_SL_EUlSY_E0_NS1_11comp_targetILNS1_3genE5ELNS1_11target_archE942ELNS1_3gpuE9ELNS1_3repE0EEENS1_38merge_mergepath_config_static_selectorELNS0_4arch9wavefront6targetE0EEEvSK_
    .private_segment_fixed_size: 0
    .sgpr_count:     0
    .sgpr_spill_count: 0
    .symbol:         _ZN7rocprim17ROCPRIM_400000_NS6detail17trampoline_kernelINS0_14default_configENS1_38merge_sort_block_merge_config_selectorItNS0_10empty_typeEEEZZNS1_27merge_sort_block_merge_implIS3_N6thrust23THRUST_200600_302600_NS6detail15normal_iteratorINS9_10device_ptrItEEEEPS5_m11less_div_10ItEEE10hipError_tT0_T1_T2_jT3_P12ihipStream_tbPNSt15iterator_traitsISJ_E10value_typeEPNSP_ISK_E10value_typeEPSL_NS1_7vsmem_tEENKUlT_SJ_SK_SL_E_clIPtSE_SF_SF_EESI_SY_SJ_SK_SL_EUlSY_E0_NS1_11comp_targetILNS1_3genE5ELNS1_11target_archE942ELNS1_3gpuE9ELNS1_3repE0EEENS1_38merge_mergepath_config_static_selectorELNS0_4arch9wavefront6targetE0EEEvSK_.kd
    .uniform_work_group_size: 1
    .uses_dynamic_stack: false
    .vgpr_count:     0
    .vgpr_spill_count: 0
    .wavefront_size: 32
    .workgroup_processor_mode: 1
  - .args:
      - .offset:         0
        .size:           72
        .value_kind:     by_value
    .group_segment_fixed_size: 0
    .kernarg_segment_align: 8
    .kernarg_segment_size: 72
    .language:       OpenCL C
    .language_version:
      - 2
      - 0
    .max_flat_workgroup_size: 128
    .name:           _ZN7rocprim17ROCPRIM_400000_NS6detail17trampoline_kernelINS0_14default_configENS1_38merge_sort_block_merge_config_selectorItNS0_10empty_typeEEEZZNS1_27merge_sort_block_merge_implIS3_N6thrust23THRUST_200600_302600_NS6detail15normal_iteratorINS9_10device_ptrItEEEEPS5_m11less_div_10ItEEE10hipError_tT0_T1_T2_jT3_P12ihipStream_tbPNSt15iterator_traitsISJ_E10value_typeEPNSP_ISK_E10value_typeEPSL_NS1_7vsmem_tEENKUlT_SJ_SK_SL_E_clIPtSE_SF_SF_EESI_SY_SJ_SK_SL_EUlSY_E0_NS1_11comp_targetILNS1_3genE4ELNS1_11target_archE910ELNS1_3gpuE8ELNS1_3repE0EEENS1_38merge_mergepath_config_static_selectorELNS0_4arch9wavefront6targetE0EEEvSK_
    .private_segment_fixed_size: 0
    .sgpr_count:     0
    .sgpr_spill_count: 0
    .symbol:         _ZN7rocprim17ROCPRIM_400000_NS6detail17trampoline_kernelINS0_14default_configENS1_38merge_sort_block_merge_config_selectorItNS0_10empty_typeEEEZZNS1_27merge_sort_block_merge_implIS3_N6thrust23THRUST_200600_302600_NS6detail15normal_iteratorINS9_10device_ptrItEEEEPS5_m11less_div_10ItEEE10hipError_tT0_T1_T2_jT3_P12ihipStream_tbPNSt15iterator_traitsISJ_E10value_typeEPNSP_ISK_E10value_typeEPSL_NS1_7vsmem_tEENKUlT_SJ_SK_SL_E_clIPtSE_SF_SF_EESI_SY_SJ_SK_SL_EUlSY_E0_NS1_11comp_targetILNS1_3genE4ELNS1_11target_archE910ELNS1_3gpuE8ELNS1_3repE0EEENS1_38merge_mergepath_config_static_selectorELNS0_4arch9wavefront6targetE0EEEvSK_.kd
    .uniform_work_group_size: 1
    .uses_dynamic_stack: false
    .vgpr_count:     0
    .vgpr_spill_count: 0
    .wavefront_size: 32
    .workgroup_processor_mode: 1
  - .args:
      - .offset:         0
        .size:           72
        .value_kind:     by_value
    .group_segment_fixed_size: 0
    .kernarg_segment_align: 8
    .kernarg_segment_size: 72
    .language:       OpenCL C
    .language_version:
      - 2
      - 0
    .max_flat_workgroup_size: 128
    .name:           _ZN7rocprim17ROCPRIM_400000_NS6detail17trampoline_kernelINS0_14default_configENS1_38merge_sort_block_merge_config_selectorItNS0_10empty_typeEEEZZNS1_27merge_sort_block_merge_implIS3_N6thrust23THRUST_200600_302600_NS6detail15normal_iteratorINS9_10device_ptrItEEEEPS5_m11less_div_10ItEEE10hipError_tT0_T1_T2_jT3_P12ihipStream_tbPNSt15iterator_traitsISJ_E10value_typeEPNSP_ISK_E10value_typeEPSL_NS1_7vsmem_tEENKUlT_SJ_SK_SL_E_clIPtSE_SF_SF_EESI_SY_SJ_SK_SL_EUlSY_E0_NS1_11comp_targetILNS1_3genE3ELNS1_11target_archE908ELNS1_3gpuE7ELNS1_3repE0EEENS1_38merge_mergepath_config_static_selectorELNS0_4arch9wavefront6targetE0EEEvSK_
    .private_segment_fixed_size: 0
    .sgpr_count:     0
    .sgpr_spill_count: 0
    .symbol:         _ZN7rocprim17ROCPRIM_400000_NS6detail17trampoline_kernelINS0_14default_configENS1_38merge_sort_block_merge_config_selectorItNS0_10empty_typeEEEZZNS1_27merge_sort_block_merge_implIS3_N6thrust23THRUST_200600_302600_NS6detail15normal_iteratorINS9_10device_ptrItEEEEPS5_m11less_div_10ItEEE10hipError_tT0_T1_T2_jT3_P12ihipStream_tbPNSt15iterator_traitsISJ_E10value_typeEPNSP_ISK_E10value_typeEPSL_NS1_7vsmem_tEENKUlT_SJ_SK_SL_E_clIPtSE_SF_SF_EESI_SY_SJ_SK_SL_EUlSY_E0_NS1_11comp_targetILNS1_3genE3ELNS1_11target_archE908ELNS1_3gpuE7ELNS1_3repE0EEENS1_38merge_mergepath_config_static_selectorELNS0_4arch9wavefront6targetE0EEEvSK_.kd
    .uniform_work_group_size: 1
    .uses_dynamic_stack: false
    .vgpr_count:     0
    .vgpr_spill_count: 0
    .wavefront_size: 32
    .workgroup_processor_mode: 1
  - .args:
      - .offset:         0
        .size:           72
        .value_kind:     by_value
    .group_segment_fixed_size: 0
    .kernarg_segment_align: 8
    .kernarg_segment_size: 72
    .language:       OpenCL C
    .language_version:
      - 2
      - 0
    .max_flat_workgroup_size: 128
    .name:           _ZN7rocprim17ROCPRIM_400000_NS6detail17trampoline_kernelINS0_14default_configENS1_38merge_sort_block_merge_config_selectorItNS0_10empty_typeEEEZZNS1_27merge_sort_block_merge_implIS3_N6thrust23THRUST_200600_302600_NS6detail15normal_iteratorINS9_10device_ptrItEEEEPS5_m11less_div_10ItEEE10hipError_tT0_T1_T2_jT3_P12ihipStream_tbPNSt15iterator_traitsISJ_E10value_typeEPNSP_ISK_E10value_typeEPSL_NS1_7vsmem_tEENKUlT_SJ_SK_SL_E_clIPtSE_SF_SF_EESI_SY_SJ_SK_SL_EUlSY_E0_NS1_11comp_targetILNS1_3genE2ELNS1_11target_archE906ELNS1_3gpuE6ELNS1_3repE0EEENS1_38merge_mergepath_config_static_selectorELNS0_4arch9wavefront6targetE0EEEvSK_
    .private_segment_fixed_size: 0
    .sgpr_count:     0
    .sgpr_spill_count: 0
    .symbol:         _ZN7rocprim17ROCPRIM_400000_NS6detail17trampoline_kernelINS0_14default_configENS1_38merge_sort_block_merge_config_selectorItNS0_10empty_typeEEEZZNS1_27merge_sort_block_merge_implIS3_N6thrust23THRUST_200600_302600_NS6detail15normal_iteratorINS9_10device_ptrItEEEEPS5_m11less_div_10ItEEE10hipError_tT0_T1_T2_jT3_P12ihipStream_tbPNSt15iterator_traitsISJ_E10value_typeEPNSP_ISK_E10value_typeEPSL_NS1_7vsmem_tEENKUlT_SJ_SK_SL_E_clIPtSE_SF_SF_EESI_SY_SJ_SK_SL_EUlSY_E0_NS1_11comp_targetILNS1_3genE2ELNS1_11target_archE906ELNS1_3gpuE6ELNS1_3repE0EEENS1_38merge_mergepath_config_static_selectorELNS0_4arch9wavefront6targetE0EEEvSK_.kd
    .uniform_work_group_size: 1
    .uses_dynamic_stack: false
    .vgpr_count:     0
    .vgpr_spill_count: 0
    .wavefront_size: 32
    .workgroup_processor_mode: 1
  - .args:
      - .offset:         0
        .size:           72
        .value_kind:     by_value
    .group_segment_fixed_size: 0
    .kernarg_segment_align: 8
    .kernarg_segment_size: 72
    .language:       OpenCL C
    .language_version:
      - 2
      - 0
    .max_flat_workgroup_size: 128
    .name:           _ZN7rocprim17ROCPRIM_400000_NS6detail17trampoline_kernelINS0_14default_configENS1_38merge_sort_block_merge_config_selectorItNS0_10empty_typeEEEZZNS1_27merge_sort_block_merge_implIS3_N6thrust23THRUST_200600_302600_NS6detail15normal_iteratorINS9_10device_ptrItEEEEPS5_m11less_div_10ItEEE10hipError_tT0_T1_T2_jT3_P12ihipStream_tbPNSt15iterator_traitsISJ_E10value_typeEPNSP_ISK_E10value_typeEPSL_NS1_7vsmem_tEENKUlT_SJ_SK_SL_E_clIPtSE_SF_SF_EESI_SY_SJ_SK_SL_EUlSY_E0_NS1_11comp_targetILNS1_3genE9ELNS1_11target_archE1100ELNS1_3gpuE3ELNS1_3repE0EEENS1_38merge_mergepath_config_static_selectorELNS0_4arch9wavefront6targetE0EEEvSK_
    .private_segment_fixed_size: 0
    .sgpr_count:     0
    .sgpr_spill_count: 0
    .symbol:         _ZN7rocprim17ROCPRIM_400000_NS6detail17trampoline_kernelINS0_14default_configENS1_38merge_sort_block_merge_config_selectorItNS0_10empty_typeEEEZZNS1_27merge_sort_block_merge_implIS3_N6thrust23THRUST_200600_302600_NS6detail15normal_iteratorINS9_10device_ptrItEEEEPS5_m11less_div_10ItEEE10hipError_tT0_T1_T2_jT3_P12ihipStream_tbPNSt15iterator_traitsISJ_E10value_typeEPNSP_ISK_E10value_typeEPSL_NS1_7vsmem_tEENKUlT_SJ_SK_SL_E_clIPtSE_SF_SF_EESI_SY_SJ_SK_SL_EUlSY_E0_NS1_11comp_targetILNS1_3genE9ELNS1_11target_archE1100ELNS1_3gpuE3ELNS1_3repE0EEENS1_38merge_mergepath_config_static_selectorELNS0_4arch9wavefront6targetE0EEEvSK_.kd
    .uniform_work_group_size: 1
    .uses_dynamic_stack: false
    .vgpr_count:     0
    .vgpr_spill_count: 0
    .wavefront_size: 32
    .workgroup_processor_mode: 1
  - .args:
      - .offset:         0
        .size:           72
        .value_kind:     by_value
      - .offset:         72
        .size:           4
        .value_kind:     hidden_block_count_x
      - .offset:         76
        .size:           4
        .value_kind:     hidden_block_count_y
      - .offset:         80
        .size:           4
        .value_kind:     hidden_block_count_z
      - .offset:         84
        .size:           2
        .value_kind:     hidden_group_size_x
      - .offset:         86
        .size:           2
        .value_kind:     hidden_group_size_y
      - .offset:         88
        .size:           2
        .value_kind:     hidden_group_size_z
      - .offset:         90
        .size:           2
        .value_kind:     hidden_remainder_x
      - .offset:         92
        .size:           2
        .value_kind:     hidden_remainder_y
      - .offset:         94
        .size:           2
        .value_kind:     hidden_remainder_z
      - .offset:         112
        .size:           8
        .value_kind:     hidden_global_offset_x
      - .offset:         120
        .size:           8
        .value_kind:     hidden_global_offset_y
      - .offset:         128
        .size:           8
        .value_kind:     hidden_global_offset_z
      - .offset:         136
        .size:           2
        .value_kind:     hidden_grid_dims
    .group_segment_fixed_size: 2112
    .kernarg_segment_align: 8
    .kernarg_segment_size: 328
    .language:       OpenCL C
    .language_version:
      - 2
      - 0
    .max_flat_workgroup_size: 128
    .name:           _ZN7rocprim17ROCPRIM_400000_NS6detail17trampoline_kernelINS0_14default_configENS1_38merge_sort_block_merge_config_selectorItNS0_10empty_typeEEEZZNS1_27merge_sort_block_merge_implIS3_N6thrust23THRUST_200600_302600_NS6detail15normal_iteratorINS9_10device_ptrItEEEEPS5_m11less_div_10ItEEE10hipError_tT0_T1_T2_jT3_P12ihipStream_tbPNSt15iterator_traitsISJ_E10value_typeEPNSP_ISK_E10value_typeEPSL_NS1_7vsmem_tEENKUlT_SJ_SK_SL_E_clIPtSE_SF_SF_EESI_SY_SJ_SK_SL_EUlSY_E0_NS1_11comp_targetILNS1_3genE8ELNS1_11target_archE1030ELNS1_3gpuE2ELNS1_3repE0EEENS1_38merge_mergepath_config_static_selectorELNS0_4arch9wavefront6targetE0EEEvSK_
    .private_segment_fixed_size: 0
    .sgpr_count:     33
    .sgpr_spill_count: 0
    .symbol:         _ZN7rocprim17ROCPRIM_400000_NS6detail17trampoline_kernelINS0_14default_configENS1_38merge_sort_block_merge_config_selectorItNS0_10empty_typeEEEZZNS1_27merge_sort_block_merge_implIS3_N6thrust23THRUST_200600_302600_NS6detail15normal_iteratorINS9_10device_ptrItEEEEPS5_m11less_div_10ItEEE10hipError_tT0_T1_T2_jT3_P12ihipStream_tbPNSt15iterator_traitsISJ_E10value_typeEPNSP_ISK_E10value_typeEPSL_NS1_7vsmem_tEENKUlT_SJ_SK_SL_E_clIPtSE_SF_SF_EESI_SY_SJ_SK_SL_EUlSY_E0_NS1_11comp_targetILNS1_3genE8ELNS1_11target_archE1030ELNS1_3gpuE2ELNS1_3repE0EEENS1_38merge_mergepath_config_static_selectorELNS0_4arch9wavefront6targetE0EEEvSK_.kd
    .uniform_work_group_size: 1
    .uses_dynamic_stack: false
    .vgpr_count:     33
    .vgpr_spill_count: 0
    .wavefront_size: 32
    .workgroup_processor_mode: 1
  - .args:
      - .offset:         0
        .size:           56
        .value_kind:     by_value
    .group_segment_fixed_size: 0
    .kernarg_segment_align: 8
    .kernarg_segment_size: 56
    .language:       OpenCL C
    .language_version:
      - 2
      - 0
    .max_flat_workgroup_size: 256
    .name:           _ZN7rocprim17ROCPRIM_400000_NS6detail17trampoline_kernelINS0_14default_configENS1_38merge_sort_block_merge_config_selectorItNS0_10empty_typeEEEZZNS1_27merge_sort_block_merge_implIS3_N6thrust23THRUST_200600_302600_NS6detail15normal_iteratorINS9_10device_ptrItEEEEPS5_m11less_div_10ItEEE10hipError_tT0_T1_T2_jT3_P12ihipStream_tbPNSt15iterator_traitsISJ_E10value_typeEPNSP_ISK_E10value_typeEPSL_NS1_7vsmem_tEENKUlT_SJ_SK_SL_E_clIPtSE_SF_SF_EESI_SY_SJ_SK_SL_EUlSY_E1_NS1_11comp_targetILNS1_3genE0ELNS1_11target_archE4294967295ELNS1_3gpuE0ELNS1_3repE0EEENS1_36merge_oddeven_config_static_selectorELNS0_4arch9wavefront6targetE0EEEvSK_
    .private_segment_fixed_size: 0
    .sgpr_count:     0
    .sgpr_spill_count: 0
    .symbol:         _ZN7rocprim17ROCPRIM_400000_NS6detail17trampoline_kernelINS0_14default_configENS1_38merge_sort_block_merge_config_selectorItNS0_10empty_typeEEEZZNS1_27merge_sort_block_merge_implIS3_N6thrust23THRUST_200600_302600_NS6detail15normal_iteratorINS9_10device_ptrItEEEEPS5_m11less_div_10ItEEE10hipError_tT0_T1_T2_jT3_P12ihipStream_tbPNSt15iterator_traitsISJ_E10value_typeEPNSP_ISK_E10value_typeEPSL_NS1_7vsmem_tEENKUlT_SJ_SK_SL_E_clIPtSE_SF_SF_EESI_SY_SJ_SK_SL_EUlSY_E1_NS1_11comp_targetILNS1_3genE0ELNS1_11target_archE4294967295ELNS1_3gpuE0ELNS1_3repE0EEENS1_36merge_oddeven_config_static_selectorELNS0_4arch9wavefront6targetE0EEEvSK_.kd
    .uniform_work_group_size: 1
    .uses_dynamic_stack: false
    .vgpr_count:     0
    .vgpr_spill_count: 0
    .wavefront_size: 32
    .workgroup_processor_mode: 1
  - .args:
      - .offset:         0
        .size:           56
        .value_kind:     by_value
    .group_segment_fixed_size: 0
    .kernarg_segment_align: 8
    .kernarg_segment_size: 56
    .language:       OpenCL C
    .language_version:
      - 2
      - 0
    .max_flat_workgroup_size: 256
    .name:           _ZN7rocprim17ROCPRIM_400000_NS6detail17trampoline_kernelINS0_14default_configENS1_38merge_sort_block_merge_config_selectorItNS0_10empty_typeEEEZZNS1_27merge_sort_block_merge_implIS3_N6thrust23THRUST_200600_302600_NS6detail15normal_iteratorINS9_10device_ptrItEEEEPS5_m11less_div_10ItEEE10hipError_tT0_T1_T2_jT3_P12ihipStream_tbPNSt15iterator_traitsISJ_E10value_typeEPNSP_ISK_E10value_typeEPSL_NS1_7vsmem_tEENKUlT_SJ_SK_SL_E_clIPtSE_SF_SF_EESI_SY_SJ_SK_SL_EUlSY_E1_NS1_11comp_targetILNS1_3genE10ELNS1_11target_archE1201ELNS1_3gpuE5ELNS1_3repE0EEENS1_36merge_oddeven_config_static_selectorELNS0_4arch9wavefront6targetE0EEEvSK_
    .private_segment_fixed_size: 0
    .sgpr_count:     0
    .sgpr_spill_count: 0
    .symbol:         _ZN7rocprim17ROCPRIM_400000_NS6detail17trampoline_kernelINS0_14default_configENS1_38merge_sort_block_merge_config_selectorItNS0_10empty_typeEEEZZNS1_27merge_sort_block_merge_implIS3_N6thrust23THRUST_200600_302600_NS6detail15normal_iteratorINS9_10device_ptrItEEEEPS5_m11less_div_10ItEEE10hipError_tT0_T1_T2_jT3_P12ihipStream_tbPNSt15iterator_traitsISJ_E10value_typeEPNSP_ISK_E10value_typeEPSL_NS1_7vsmem_tEENKUlT_SJ_SK_SL_E_clIPtSE_SF_SF_EESI_SY_SJ_SK_SL_EUlSY_E1_NS1_11comp_targetILNS1_3genE10ELNS1_11target_archE1201ELNS1_3gpuE5ELNS1_3repE0EEENS1_36merge_oddeven_config_static_selectorELNS0_4arch9wavefront6targetE0EEEvSK_.kd
    .uniform_work_group_size: 1
    .uses_dynamic_stack: false
    .vgpr_count:     0
    .vgpr_spill_count: 0
    .wavefront_size: 32
    .workgroup_processor_mode: 1
  - .args:
      - .offset:         0
        .size:           56
        .value_kind:     by_value
    .group_segment_fixed_size: 0
    .kernarg_segment_align: 8
    .kernarg_segment_size: 56
    .language:       OpenCL C
    .language_version:
      - 2
      - 0
    .max_flat_workgroup_size: 256
    .name:           _ZN7rocprim17ROCPRIM_400000_NS6detail17trampoline_kernelINS0_14default_configENS1_38merge_sort_block_merge_config_selectorItNS0_10empty_typeEEEZZNS1_27merge_sort_block_merge_implIS3_N6thrust23THRUST_200600_302600_NS6detail15normal_iteratorINS9_10device_ptrItEEEEPS5_m11less_div_10ItEEE10hipError_tT0_T1_T2_jT3_P12ihipStream_tbPNSt15iterator_traitsISJ_E10value_typeEPNSP_ISK_E10value_typeEPSL_NS1_7vsmem_tEENKUlT_SJ_SK_SL_E_clIPtSE_SF_SF_EESI_SY_SJ_SK_SL_EUlSY_E1_NS1_11comp_targetILNS1_3genE5ELNS1_11target_archE942ELNS1_3gpuE9ELNS1_3repE0EEENS1_36merge_oddeven_config_static_selectorELNS0_4arch9wavefront6targetE0EEEvSK_
    .private_segment_fixed_size: 0
    .sgpr_count:     0
    .sgpr_spill_count: 0
    .symbol:         _ZN7rocprim17ROCPRIM_400000_NS6detail17trampoline_kernelINS0_14default_configENS1_38merge_sort_block_merge_config_selectorItNS0_10empty_typeEEEZZNS1_27merge_sort_block_merge_implIS3_N6thrust23THRUST_200600_302600_NS6detail15normal_iteratorINS9_10device_ptrItEEEEPS5_m11less_div_10ItEEE10hipError_tT0_T1_T2_jT3_P12ihipStream_tbPNSt15iterator_traitsISJ_E10value_typeEPNSP_ISK_E10value_typeEPSL_NS1_7vsmem_tEENKUlT_SJ_SK_SL_E_clIPtSE_SF_SF_EESI_SY_SJ_SK_SL_EUlSY_E1_NS1_11comp_targetILNS1_3genE5ELNS1_11target_archE942ELNS1_3gpuE9ELNS1_3repE0EEENS1_36merge_oddeven_config_static_selectorELNS0_4arch9wavefront6targetE0EEEvSK_.kd
    .uniform_work_group_size: 1
    .uses_dynamic_stack: false
    .vgpr_count:     0
    .vgpr_spill_count: 0
    .wavefront_size: 32
    .workgroup_processor_mode: 1
  - .args:
      - .offset:         0
        .size:           56
        .value_kind:     by_value
    .group_segment_fixed_size: 0
    .kernarg_segment_align: 8
    .kernarg_segment_size: 56
    .language:       OpenCL C
    .language_version:
      - 2
      - 0
    .max_flat_workgroup_size: 256
    .name:           _ZN7rocprim17ROCPRIM_400000_NS6detail17trampoline_kernelINS0_14default_configENS1_38merge_sort_block_merge_config_selectorItNS0_10empty_typeEEEZZNS1_27merge_sort_block_merge_implIS3_N6thrust23THRUST_200600_302600_NS6detail15normal_iteratorINS9_10device_ptrItEEEEPS5_m11less_div_10ItEEE10hipError_tT0_T1_T2_jT3_P12ihipStream_tbPNSt15iterator_traitsISJ_E10value_typeEPNSP_ISK_E10value_typeEPSL_NS1_7vsmem_tEENKUlT_SJ_SK_SL_E_clIPtSE_SF_SF_EESI_SY_SJ_SK_SL_EUlSY_E1_NS1_11comp_targetILNS1_3genE4ELNS1_11target_archE910ELNS1_3gpuE8ELNS1_3repE0EEENS1_36merge_oddeven_config_static_selectorELNS0_4arch9wavefront6targetE0EEEvSK_
    .private_segment_fixed_size: 0
    .sgpr_count:     0
    .sgpr_spill_count: 0
    .symbol:         _ZN7rocprim17ROCPRIM_400000_NS6detail17trampoline_kernelINS0_14default_configENS1_38merge_sort_block_merge_config_selectorItNS0_10empty_typeEEEZZNS1_27merge_sort_block_merge_implIS3_N6thrust23THRUST_200600_302600_NS6detail15normal_iteratorINS9_10device_ptrItEEEEPS5_m11less_div_10ItEEE10hipError_tT0_T1_T2_jT3_P12ihipStream_tbPNSt15iterator_traitsISJ_E10value_typeEPNSP_ISK_E10value_typeEPSL_NS1_7vsmem_tEENKUlT_SJ_SK_SL_E_clIPtSE_SF_SF_EESI_SY_SJ_SK_SL_EUlSY_E1_NS1_11comp_targetILNS1_3genE4ELNS1_11target_archE910ELNS1_3gpuE8ELNS1_3repE0EEENS1_36merge_oddeven_config_static_selectorELNS0_4arch9wavefront6targetE0EEEvSK_.kd
    .uniform_work_group_size: 1
    .uses_dynamic_stack: false
    .vgpr_count:     0
    .vgpr_spill_count: 0
    .wavefront_size: 32
    .workgroup_processor_mode: 1
  - .args:
      - .offset:         0
        .size:           56
        .value_kind:     by_value
    .group_segment_fixed_size: 0
    .kernarg_segment_align: 8
    .kernarg_segment_size: 56
    .language:       OpenCL C
    .language_version:
      - 2
      - 0
    .max_flat_workgroup_size: 256
    .name:           _ZN7rocprim17ROCPRIM_400000_NS6detail17trampoline_kernelINS0_14default_configENS1_38merge_sort_block_merge_config_selectorItNS0_10empty_typeEEEZZNS1_27merge_sort_block_merge_implIS3_N6thrust23THRUST_200600_302600_NS6detail15normal_iteratorINS9_10device_ptrItEEEEPS5_m11less_div_10ItEEE10hipError_tT0_T1_T2_jT3_P12ihipStream_tbPNSt15iterator_traitsISJ_E10value_typeEPNSP_ISK_E10value_typeEPSL_NS1_7vsmem_tEENKUlT_SJ_SK_SL_E_clIPtSE_SF_SF_EESI_SY_SJ_SK_SL_EUlSY_E1_NS1_11comp_targetILNS1_3genE3ELNS1_11target_archE908ELNS1_3gpuE7ELNS1_3repE0EEENS1_36merge_oddeven_config_static_selectorELNS0_4arch9wavefront6targetE0EEEvSK_
    .private_segment_fixed_size: 0
    .sgpr_count:     0
    .sgpr_spill_count: 0
    .symbol:         _ZN7rocprim17ROCPRIM_400000_NS6detail17trampoline_kernelINS0_14default_configENS1_38merge_sort_block_merge_config_selectorItNS0_10empty_typeEEEZZNS1_27merge_sort_block_merge_implIS3_N6thrust23THRUST_200600_302600_NS6detail15normal_iteratorINS9_10device_ptrItEEEEPS5_m11less_div_10ItEEE10hipError_tT0_T1_T2_jT3_P12ihipStream_tbPNSt15iterator_traitsISJ_E10value_typeEPNSP_ISK_E10value_typeEPSL_NS1_7vsmem_tEENKUlT_SJ_SK_SL_E_clIPtSE_SF_SF_EESI_SY_SJ_SK_SL_EUlSY_E1_NS1_11comp_targetILNS1_3genE3ELNS1_11target_archE908ELNS1_3gpuE7ELNS1_3repE0EEENS1_36merge_oddeven_config_static_selectorELNS0_4arch9wavefront6targetE0EEEvSK_.kd
    .uniform_work_group_size: 1
    .uses_dynamic_stack: false
    .vgpr_count:     0
    .vgpr_spill_count: 0
    .wavefront_size: 32
    .workgroup_processor_mode: 1
  - .args:
      - .offset:         0
        .size:           56
        .value_kind:     by_value
    .group_segment_fixed_size: 0
    .kernarg_segment_align: 8
    .kernarg_segment_size: 56
    .language:       OpenCL C
    .language_version:
      - 2
      - 0
    .max_flat_workgroup_size: 256
    .name:           _ZN7rocprim17ROCPRIM_400000_NS6detail17trampoline_kernelINS0_14default_configENS1_38merge_sort_block_merge_config_selectorItNS0_10empty_typeEEEZZNS1_27merge_sort_block_merge_implIS3_N6thrust23THRUST_200600_302600_NS6detail15normal_iteratorINS9_10device_ptrItEEEEPS5_m11less_div_10ItEEE10hipError_tT0_T1_T2_jT3_P12ihipStream_tbPNSt15iterator_traitsISJ_E10value_typeEPNSP_ISK_E10value_typeEPSL_NS1_7vsmem_tEENKUlT_SJ_SK_SL_E_clIPtSE_SF_SF_EESI_SY_SJ_SK_SL_EUlSY_E1_NS1_11comp_targetILNS1_3genE2ELNS1_11target_archE906ELNS1_3gpuE6ELNS1_3repE0EEENS1_36merge_oddeven_config_static_selectorELNS0_4arch9wavefront6targetE0EEEvSK_
    .private_segment_fixed_size: 0
    .sgpr_count:     0
    .sgpr_spill_count: 0
    .symbol:         _ZN7rocprim17ROCPRIM_400000_NS6detail17trampoline_kernelINS0_14default_configENS1_38merge_sort_block_merge_config_selectorItNS0_10empty_typeEEEZZNS1_27merge_sort_block_merge_implIS3_N6thrust23THRUST_200600_302600_NS6detail15normal_iteratorINS9_10device_ptrItEEEEPS5_m11less_div_10ItEEE10hipError_tT0_T1_T2_jT3_P12ihipStream_tbPNSt15iterator_traitsISJ_E10value_typeEPNSP_ISK_E10value_typeEPSL_NS1_7vsmem_tEENKUlT_SJ_SK_SL_E_clIPtSE_SF_SF_EESI_SY_SJ_SK_SL_EUlSY_E1_NS1_11comp_targetILNS1_3genE2ELNS1_11target_archE906ELNS1_3gpuE6ELNS1_3repE0EEENS1_36merge_oddeven_config_static_selectorELNS0_4arch9wavefront6targetE0EEEvSK_.kd
    .uniform_work_group_size: 1
    .uses_dynamic_stack: false
    .vgpr_count:     0
    .vgpr_spill_count: 0
    .wavefront_size: 32
    .workgroup_processor_mode: 1
  - .args:
      - .offset:         0
        .size:           56
        .value_kind:     by_value
    .group_segment_fixed_size: 0
    .kernarg_segment_align: 8
    .kernarg_segment_size: 56
    .language:       OpenCL C
    .language_version:
      - 2
      - 0
    .max_flat_workgroup_size: 256
    .name:           _ZN7rocprim17ROCPRIM_400000_NS6detail17trampoline_kernelINS0_14default_configENS1_38merge_sort_block_merge_config_selectorItNS0_10empty_typeEEEZZNS1_27merge_sort_block_merge_implIS3_N6thrust23THRUST_200600_302600_NS6detail15normal_iteratorINS9_10device_ptrItEEEEPS5_m11less_div_10ItEEE10hipError_tT0_T1_T2_jT3_P12ihipStream_tbPNSt15iterator_traitsISJ_E10value_typeEPNSP_ISK_E10value_typeEPSL_NS1_7vsmem_tEENKUlT_SJ_SK_SL_E_clIPtSE_SF_SF_EESI_SY_SJ_SK_SL_EUlSY_E1_NS1_11comp_targetILNS1_3genE9ELNS1_11target_archE1100ELNS1_3gpuE3ELNS1_3repE0EEENS1_36merge_oddeven_config_static_selectorELNS0_4arch9wavefront6targetE0EEEvSK_
    .private_segment_fixed_size: 0
    .sgpr_count:     0
    .sgpr_spill_count: 0
    .symbol:         _ZN7rocprim17ROCPRIM_400000_NS6detail17trampoline_kernelINS0_14default_configENS1_38merge_sort_block_merge_config_selectorItNS0_10empty_typeEEEZZNS1_27merge_sort_block_merge_implIS3_N6thrust23THRUST_200600_302600_NS6detail15normal_iteratorINS9_10device_ptrItEEEEPS5_m11less_div_10ItEEE10hipError_tT0_T1_T2_jT3_P12ihipStream_tbPNSt15iterator_traitsISJ_E10value_typeEPNSP_ISK_E10value_typeEPSL_NS1_7vsmem_tEENKUlT_SJ_SK_SL_E_clIPtSE_SF_SF_EESI_SY_SJ_SK_SL_EUlSY_E1_NS1_11comp_targetILNS1_3genE9ELNS1_11target_archE1100ELNS1_3gpuE3ELNS1_3repE0EEENS1_36merge_oddeven_config_static_selectorELNS0_4arch9wavefront6targetE0EEEvSK_.kd
    .uniform_work_group_size: 1
    .uses_dynamic_stack: false
    .vgpr_count:     0
    .vgpr_spill_count: 0
    .wavefront_size: 32
    .workgroup_processor_mode: 1
  - .args:
      - .offset:         0
        .size:           56
        .value_kind:     by_value
    .group_segment_fixed_size: 0
    .kernarg_segment_align: 8
    .kernarg_segment_size: 56
    .language:       OpenCL C
    .language_version:
      - 2
      - 0
    .max_flat_workgroup_size: 256
    .name:           _ZN7rocprim17ROCPRIM_400000_NS6detail17trampoline_kernelINS0_14default_configENS1_38merge_sort_block_merge_config_selectorItNS0_10empty_typeEEEZZNS1_27merge_sort_block_merge_implIS3_N6thrust23THRUST_200600_302600_NS6detail15normal_iteratorINS9_10device_ptrItEEEEPS5_m11less_div_10ItEEE10hipError_tT0_T1_T2_jT3_P12ihipStream_tbPNSt15iterator_traitsISJ_E10value_typeEPNSP_ISK_E10value_typeEPSL_NS1_7vsmem_tEENKUlT_SJ_SK_SL_E_clIPtSE_SF_SF_EESI_SY_SJ_SK_SL_EUlSY_E1_NS1_11comp_targetILNS1_3genE8ELNS1_11target_archE1030ELNS1_3gpuE2ELNS1_3repE0EEENS1_36merge_oddeven_config_static_selectorELNS0_4arch9wavefront6targetE0EEEvSK_
    .private_segment_fixed_size: 0
    .sgpr_count:     18
    .sgpr_spill_count: 0
    .symbol:         _ZN7rocprim17ROCPRIM_400000_NS6detail17trampoline_kernelINS0_14default_configENS1_38merge_sort_block_merge_config_selectorItNS0_10empty_typeEEEZZNS1_27merge_sort_block_merge_implIS3_N6thrust23THRUST_200600_302600_NS6detail15normal_iteratorINS9_10device_ptrItEEEEPS5_m11less_div_10ItEEE10hipError_tT0_T1_T2_jT3_P12ihipStream_tbPNSt15iterator_traitsISJ_E10value_typeEPNSP_ISK_E10value_typeEPSL_NS1_7vsmem_tEENKUlT_SJ_SK_SL_E_clIPtSE_SF_SF_EESI_SY_SJ_SK_SL_EUlSY_E1_NS1_11comp_targetILNS1_3genE8ELNS1_11target_archE1030ELNS1_3gpuE2ELNS1_3repE0EEENS1_36merge_oddeven_config_static_selectorELNS0_4arch9wavefront6targetE0EEEvSK_.kd
    .uniform_work_group_size: 1
    .uses_dynamic_stack: false
    .vgpr_count:     8
    .vgpr_spill_count: 0
    .wavefront_size: 32
    .workgroup_processor_mode: 1
  - .args:
      - .offset:         0
        .size:           48
        .value_kind:     by_value
    .group_segment_fixed_size: 0
    .kernarg_segment_align: 8
    .kernarg_segment_size: 48
    .language:       OpenCL C
    .language_version:
      - 2
      - 0
    .max_flat_workgroup_size: 128
    .name:           _ZN7rocprim17ROCPRIM_400000_NS6detail17trampoline_kernelINS0_14default_configENS1_38merge_sort_block_merge_config_selectorItNS0_10empty_typeEEEZZNS1_27merge_sort_block_merge_implIS3_N6thrust23THRUST_200600_302600_NS6detail15normal_iteratorINS9_10device_ptrItEEEEPS5_m11less_div_10ItEEE10hipError_tT0_T1_T2_jT3_P12ihipStream_tbPNSt15iterator_traitsISJ_E10value_typeEPNSP_ISK_E10value_typeEPSL_NS1_7vsmem_tEENKUlT_SJ_SK_SL_E_clISE_PtSF_SF_EESI_SY_SJ_SK_SL_EUlSY_E_NS1_11comp_targetILNS1_3genE0ELNS1_11target_archE4294967295ELNS1_3gpuE0ELNS1_3repE0EEENS1_48merge_mergepath_partition_config_static_selectorELNS0_4arch9wavefront6targetE0EEEvSK_
    .private_segment_fixed_size: 0
    .sgpr_count:     0
    .sgpr_spill_count: 0
    .symbol:         _ZN7rocprim17ROCPRIM_400000_NS6detail17trampoline_kernelINS0_14default_configENS1_38merge_sort_block_merge_config_selectorItNS0_10empty_typeEEEZZNS1_27merge_sort_block_merge_implIS3_N6thrust23THRUST_200600_302600_NS6detail15normal_iteratorINS9_10device_ptrItEEEEPS5_m11less_div_10ItEEE10hipError_tT0_T1_T2_jT3_P12ihipStream_tbPNSt15iterator_traitsISJ_E10value_typeEPNSP_ISK_E10value_typeEPSL_NS1_7vsmem_tEENKUlT_SJ_SK_SL_E_clISE_PtSF_SF_EESI_SY_SJ_SK_SL_EUlSY_E_NS1_11comp_targetILNS1_3genE0ELNS1_11target_archE4294967295ELNS1_3gpuE0ELNS1_3repE0EEENS1_48merge_mergepath_partition_config_static_selectorELNS0_4arch9wavefront6targetE0EEEvSK_.kd
    .uniform_work_group_size: 1
    .uses_dynamic_stack: false
    .vgpr_count:     0
    .vgpr_spill_count: 0
    .wavefront_size: 32
    .workgroup_processor_mode: 1
  - .args:
      - .offset:         0
        .size:           48
        .value_kind:     by_value
    .group_segment_fixed_size: 0
    .kernarg_segment_align: 8
    .kernarg_segment_size: 48
    .language:       OpenCL C
    .language_version:
      - 2
      - 0
    .max_flat_workgroup_size: 128
    .name:           _ZN7rocprim17ROCPRIM_400000_NS6detail17trampoline_kernelINS0_14default_configENS1_38merge_sort_block_merge_config_selectorItNS0_10empty_typeEEEZZNS1_27merge_sort_block_merge_implIS3_N6thrust23THRUST_200600_302600_NS6detail15normal_iteratorINS9_10device_ptrItEEEEPS5_m11less_div_10ItEEE10hipError_tT0_T1_T2_jT3_P12ihipStream_tbPNSt15iterator_traitsISJ_E10value_typeEPNSP_ISK_E10value_typeEPSL_NS1_7vsmem_tEENKUlT_SJ_SK_SL_E_clISE_PtSF_SF_EESI_SY_SJ_SK_SL_EUlSY_E_NS1_11comp_targetILNS1_3genE10ELNS1_11target_archE1201ELNS1_3gpuE5ELNS1_3repE0EEENS1_48merge_mergepath_partition_config_static_selectorELNS0_4arch9wavefront6targetE0EEEvSK_
    .private_segment_fixed_size: 0
    .sgpr_count:     0
    .sgpr_spill_count: 0
    .symbol:         _ZN7rocprim17ROCPRIM_400000_NS6detail17trampoline_kernelINS0_14default_configENS1_38merge_sort_block_merge_config_selectorItNS0_10empty_typeEEEZZNS1_27merge_sort_block_merge_implIS3_N6thrust23THRUST_200600_302600_NS6detail15normal_iteratorINS9_10device_ptrItEEEEPS5_m11less_div_10ItEEE10hipError_tT0_T1_T2_jT3_P12ihipStream_tbPNSt15iterator_traitsISJ_E10value_typeEPNSP_ISK_E10value_typeEPSL_NS1_7vsmem_tEENKUlT_SJ_SK_SL_E_clISE_PtSF_SF_EESI_SY_SJ_SK_SL_EUlSY_E_NS1_11comp_targetILNS1_3genE10ELNS1_11target_archE1201ELNS1_3gpuE5ELNS1_3repE0EEENS1_48merge_mergepath_partition_config_static_selectorELNS0_4arch9wavefront6targetE0EEEvSK_.kd
    .uniform_work_group_size: 1
    .uses_dynamic_stack: false
    .vgpr_count:     0
    .vgpr_spill_count: 0
    .wavefront_size: 32
    .workgroup_processor_mode: 1
  - .args:
      - .offset:         0
        .size:           48
        .value_kind:     by_value
    .group_segment_fixed_size: 0
    .kernarg_segment_align: 8
    .kernarg_segment_size: 48
    .language:       OpenCL C
    .language_version:
      - 2
      - 0
    .max_flat_workgroup_size: 128
    .name:           _ZN7rocprim17ROCPRIM_400000_NS6detail17trampoline_kernelINS0_14default_configENS1_38merge_sort_block_merge_config_selectorItNS0_10empty_typeEEEZZNS1_27merge_sort_block_merge_implIS3_N6thrust23THRUST_200600_302600_NS6detail15normal_iteratorINS9_10device_ptrItEEEEPS5_m11less_div_10ItEEE10hipError_tT0_T1_T2_jT3_P12ihipStream_tbPNSt15iterator_traitsISJ_E10value_typeEPNSP_ISK_E10value_typeEPSL_NS1_7vsmem_tEENKUlT_SJ_SK_SL_E_clISE_PtSF_SF_EESI_SY_SJ_SK_SL_EUlSY_E_NS1_11comp_targetILNS1_3genE5ELNS1_11target_archE942ELNS1_3gpuE9ELNS1_3repE0EEENS1_48merge_mergepath_partition_config_static_selectorELNS0_4arch9wavefront6targetE0EEEvSK_
    .private_segment_fixed_size: 0
    .sgpr_count:     0
    .sgpr_spill_count: 0
    .symbol:         _ZN7rocprim17ROCPRIM_400000_NS6detail17trampoline_kernelINS0_14default_configENS1_38merge_sort_block_merge_config_selectorItNS0_10empty_typeEEEZZNS1_27merge_sort_block_merge_implIS3_N6thrust23THRUST_200600_302600_NS6detail15normal_iteratorINS9_10device_ptrItEEEEPS5_m11less_div_10ItEEE10hipError_tT0_T1_T2_jT3_P12ihipStream_tbPNSt15iterator_traitsISJ_E10value_typeEPNSP_ISK_E10value_typeEPSL_NS1_7vsmem_tEENKUlT_SJ_SK_SL_E_clISE_PtSF_SF_EESI_SY_SJ_SK_SL_EUlSY_E_NS1_11comp_targetILNS1_3genE5ELNS1_11target_archE942ELNS1_3gpuE9ELNS1_3repE0EEENS1_48merge_mergepath_partition_config_static_selectorELNS0_4arch9wavefront6targetE0EEEvSK_.kd
    .uniform_work_group_size: 1
    .uses_dynamic_stack: false
    .vgpr_count:     0
    .vgpr_spill_count: 0
    .wavefront_size: 32
    .workgroup_processor_mode: 1
  - .args:
      - .offset:         0
        .size:           48
        .value_kind:     by_value
    .group_segment_fixed_size: 0
    .kernarg_segment_align: 8
    .kernarg_segment_size: 48
    .language:       OpenCL C
    .language_version:
      - 2
      - 0
    .max_flat_workgroup_size: 128
    .name:           _ZN7rocprim17ROCPRIM_400000_NS6detail17trampoline_kernelINS0_14default_configENS1_38merge_sort_block_merge_config_selectorItNS0_10empty_typeEEEZZNS1_27merge_sort_block_merge_implIS3_N6thrust23THRUST_200600_302600_NS6detail15normal_iteratorINS9_10device_ptrItEEEEPS5_m11less_div_10ItEEE10hipError_tT0_T1_T2_jT3_P12ihipStream_tbPNSt15iterator_traitsISJ_E10value_typeEPNSP_ISK_E10value_typeEPSL_NS1_7vsmem_tEENKUlT_SJ_SK_SL_E_clISE_PtSF_SF_EESI_SY_SJ_SK_SL_EUlSY_E_NS1_11comp_targetILNS1_3genE4ELNS1_11target_archE910ELNS1_3gpuE8ELNS1_3repE0EEENS1_48merge_mergepath_partition_config_static_selectorELNS0_4arch9wavefront6targetE0EEEvSK_
    .private_segment_fixed_size: 0
    .sgpr_count:     0
    .sgpr_spill_count: 0
    .symbol:         _ZN7rocprim17ROCPRIM_400000_NS6detail17trampoline_kernelINS0_14default_configENS1_38merge_sort_block_merge_config_selectorItNS0_10empty_typeEEEZZNS1_27merge_sort_block_merge_implIS3_N6thrust23THRUST_200600_302600_NS6detail15normal_iteratorINS9_10device_ptrItEEEEPS5_m11less_div_10ItEEE10hipError_tT0_T1_T2_jT3_P12ihipStream_tbPNSt15iterator_traitsISJ_E10value_typeEPNSP_ISK_E10value_typeEPSL_NS1_7vsmem_tEENKUlT_SJ_SK_SL_E_clISE_PtSF_SF_EESI_SY_SJ_SK_SL_EUlSY_E_NS1_11comp_targetILNS1_3genE4ELNS1_11target_archE910ELNS1_3gpuE8ELNS1_3repE0EEENS1_48merge_mergepath_partition_config_static_selectorELNS0_4arch9wavefront6targetE0EEEvSK_.kd
    .uniform_work_group_size: 1
    .uses_dynamic_stack: false
    .vgpr_count:     0
    .vgpr_spill_count: 0
    .wavefront_size: 32
    .workgroup_processor_mode: 1
  - .args:
      - .offset:         0
        .size:           48
        .value_kind:     by_value
    .group_segment_fixed_size: 0
    .kernarg_segment_align: 8
    .kernarg_segment_size: 48
    .language:       OpenCL C
    .language_version:
      - 2
      - 0
    .max_flat_workgroup_size: 128
    .name:           _ZN7rocprim17ROCPRIM_400000_NS6detail17trampoline_kernelINS0_14default_configENS1_38merge_sort_block_merge_config_selectorItNS0_10empty_typeEEEZZNS1_27merge_sort_block_merge_implIS3_N6thrust23THRUST_200600_302600_NS6detail15normal_iteratorINS9_10device_ptrItEEEEPS5_m11less_div_10ItEEE10hipError_tT0_T1_T2_jT3_P12ihipStream_tbPNSt15iterator_traitsISJ_E10value_typeEPNSP_ISK_E10value_typeEPSL_NS1_7vsmem_tEENKUlT_SJ_SK_SL_E_clISE_PtSF_SF_EESI_SY_SJ_SK_SL_EUlSY_E_NS1_11comp_targetILNS1_3genE3ELNS1_11target_archE908ELNS1_3gpuE7ELNS1_3repE0EEENS1_48merge_mergepath_partition_config_static_selectorELNS0_4arch9wavefront6targetE0EEEvSK_
    .private_segment_fixed_size: 0
    .sgpr_count:     0
    .sgpr_spill_count: 0
    .symbol:         _ZN7rocprim17ROCPRIM_400000_NS6detail17trampoline_kernelINS0_14default_configENS1_38merge_sort_block_merge_config_selectorItNS0_10empty_typeEEEZZNS1_27merge_sort_block_merge_implIS3_N6thrust23THRUST_200600_302600_NS6detail15normal_iteratorINS9_10device_ptrItEEEEPS5_m11less_div_10ItEEE10hipError_tT0_T1_T2_jT3_P12ihipStream_tbPNSt15iterator_traitsISJ_E10value_typeEPNSP_ISK_E10value_typeEPSL_NS1_7vsmem_tEENKUlT_SJ_SK_SL_E_clISE_PtSF_SF_EESI_SY_SJ_SK_SL_EUlSY_E_NS1_11comp_targetILNS1_3genE3ELNS1_11target_archE908ELNS1_3gpuE7ELNS1_3repE0EEENS1_48merge_mergepath_partition_config_static_selectorELNS0_4arch9wavefront6targetE0EEEvSK_.kd
    .uniform_work_group_size: 1
    .uses_dynamic_stack: false
    .vgpr_count:     0
    .vgpr_spill_count: 0
    .wavefront_size: 32
    .workgroup_processor_mode: 1
  - .args:
      - .offset:         0
        .size:           48
        .value_kind:     by_value
    .group_segment_fixed_size: 0
    .kernarg_segment_align: 8
    .kernarg_segment_size: 48
    .language:       OpenCL C
    .language_version:
      - 2
      - 0
    .max_flat_workgroup_size: 128
    .name:           _ZN7rocprim17ROCPRIM_400000_NS6detail17trampoline_kernelINS0_14default_configENS1_38merge_sort_block_merge_config_selectorItNS0_10empty_typeEEEZZNS1_27merge_sort_block_merge_implIS3_N6thrust23THRUST_200600_302600_NS6detail15normal_iteratorINS9_10device_ptrItEEEEPS5_m11less_div_10ItEEE10hipError_tT0_T1_T2_jT3_P12ihipStream_tbPNSt15iterator_traitsISJ_E10value_typeEPNSP_ISK_E10value_typeEPSL_NS1_7vsmem_tEENKUlT_SJ_SK_SL_E_clISE_PtSF_SF_EESI_SY_SJ_SK_SL_EUlSY_E_NS1_11comp_targetILNS1_3genE2ELNS1_11target_archE906ELNS1_3gpuE6ELNS1_3repE0EEENS1_48merge_mergepath_partition_config_static_selectorELNS0_4arch9wavefront6targetE0EEEvSK_
    .private_segment_fixed_size: 0
    .sgpr_count:     0
    .sgpr_spill_count: 0
    .symbol:         _ZN7rocprim17ROCPRIM_400000_NS6detail17trampoline_kernelINS0_14default_configENS1_38merge_sort_block_merge_config_selectorItNS0_10empty_typeEEEZZNS1_27merge_sort_block_merge_implIS3_N6thrust23THRUST_200600_302600_NS6detail15normal_iteratorINS9_10device_ptrItEEEEPS5_m11less_div_10ItEEE10hipError_tT0_T1_T2_jT3_P12ihipStream_tbPNSt15iterator_traitsISJ_E10value_typeEPNSP_ISK_E10value_typeEPSL_NS1_7vsmem_tEENKUlT_SJ_SK_SL_E_clISE_PtSF_SF_EESI_SY_SJ_SK_SL_EUlSY_E_NS1_11comp_targetILNS1_3genE2ELNS1_11target_archE906ELNS1_3gpuE6ELNS1_3repE0EEENS1_48merge_mergepath_partition_config_static_selectorELNS0_4arch9wavefront6targetE0EEEvSK_.kd
    .uniform_work_group_size: 1
    .uses_dynamic_stack: false
    .vgpr_count:     0
    .vgpr_spill_count: 0
    .wavefront_size: 32
    .workgroup_processor_mode: 1
  - .args:
      - .offset:         0
        .size:           48
        .value_kind:     by_value
    .group_segment_fixed_size: 0
    .kernarg_segment_align: 8
    .kernarg_segment_size: 48
    .language:       OpenCL C
    .language_version:
      - 2
      - 0
    .max_flat_workgroup_size: 128
    .name:           _ZN7rocprim17ROCPRIM_400000_NS6detail17trampoline_kernelINS0_14default_configENS1_38merge_sort_block_merge_config_selectorItNS0_10empty_typeEEEZZNS1_27merge_sort_block_merge_implIS3_N6thrust23THRUST_200600_302600_NS6detail15normal_iteratorINS9_10device_ptrItEEEEPS5_m11less_div_10ItEEE10hipError_tT0_T1_T2_jT3_P12ihipStream_tbPNSt15iterator_traitsISJ_E10value_typeEPNSP_ISK_E10value_typeEPSL_NS1_7vsmem_tEENKUlT_SJ_SK_SL_E_clISE_PtSF_SF_EESI_SY_SJ_SK_SL_EUlSY_E_NS1_11comp_targetILNS1_3genE9ELNS1_11target_archE1100ELNS1_3gpuE3ELNS1_3repE0EEENS1_48merge_mergepath_partition_config_static_selectorELNS0_4arch9wavefront6targetE0EEEvSK_
    .private_segment_fixed_size: 0
    .sgpr_count:     0
    .sgpr_spill_count: 0
    .symbol:         _ZN7rocprim17ROCPRIM_400000_NS6detail17trampoline_kernelINS0_14default_configENS1_38merge_sort_block_merge_config_selectorItNS0_10empty_typeEEEZZNS1_27merge_sort_block_merge_implIS3_N6thrust23THRUST_200600_302600_NS6detail15normal_iteratorINS9_10device_ptrItEEEEPS5_m11less_div_10ItEEE10hipError_tT0_T1_T2_jT3_P12ihipStream_tbPNSt15iterator_traitsISJ_E10value_typeEPNSP_ISK_E10value_typeEPSL_NS1_7vsmem_tEENKUlT_SJ_SK_SL_E_clISE_PtSF_SF_EESI_SY_SJ_SK_SL_EUlSY_E_NS1_11comp_targetILNS1_3genE9ELNS1_11target_archE1100ELNS1_3gpuE3ELNS1_3repE0EEENS1_48merge_mergepath_partition_config_static_selectorELNS0_4arch9wavefront6targetE0EEEvSK_.kd
    .uniform_work_group_size: 1
    .uses_dynamic_stack: false
    .vgpr_count:     0
    .vgpr_spill_count: 0
    .wavefront_size: 32
    .workgroup_processor_mode: 1
  - .args:
      - .offset:         0
        .size:           48
        .value_kind:     by_value
    .group_segment_fixed_size: 0
    .kernarg_segment_align: 8
    .kernarg_segment_size: 48
    .language:       OpenCL C
    .language_version:
      - 2
      - 0
    .max_flat_workgroup_size: 128
    .name:           _ZN7rocprim17ROCPRIM_400000_NS6detail17trampoline_kernelINS0_14default_configENS1_38merge_sort_block_merge_config_selectorItNS0_10empty_typeEEEZZNS1_27merge_sort_block_merge_implIS3_N6thrust23THRUST_200600_302600_NS6detail15normal_iteratorINS9_10device_ptrItEEEEPS5_m11less_div_10ItEEE10hipError_tT0_T1_T2_jT3_P12ihipStream_tbPNSt15iterator_traitsISJ_E10value_typeEPNSP_ISK_E10value_typeEPSL_NS1_7vsmem_tEENKUlT_SJ_SK_SL_E_clISE_PtSF_SF_EESI_SY_SJ_SK_SL_EUlSY_E_NS1_11comp_targetILNS1_3genE8ELNS1_11target_archE1030ELNS1_3gpuE2ELNS1_3repE0EEENS1_48merge_mergepath_partition_config_static_selectorELNS0_4arch9wavefront6targetE0EEEvSK_
    .private_segment_fixed_size: 0
    .sgpr_count:     10
    .sgpr_spill_count: 0
    .symbol:         _ZN7rocprim17ROCPRIM_400000_NS6detail17trampoline_kernelINS0_14default_configENS1_38merge_sort_block_merge_config_selectorItNS0_10empty_typeEEEZZNS1_27merge_sort_block_merge_implIS3_N6thrust23THRUST_200600_302600_NS6detail15normal_iteratorINS9_10device_ptrItEEEEPS5_m11less_div_10ItEEE10hipError_tT0_T1_T2_jT3_P12ihipStream_tbPNSt15iterator_traitsISJ_E10value_typeEPNSP_ISK_E10value_typeEPSL_NS1_7vsmem_tEENKUlT_SJ_SK_SL_E_clISE_PtSF_SF_EESI_SY_SJ_SK_SL_EUlSY_E_NS1_11comp_targetILNS1_3genE8ELNS1_11target_archE1030ELNS1_3gpuE2ELNS1_3repE0EEENS1_48merge_mergepath_partition_config_static_selectorELNS0_4arch9wavefront6targetE0EEEvSK_.kd
    .uniform_work_group_size: 1
    .uses_dynamic_stack: false
    .vgpr_count:     17
    .vgpr_spill_count: 0
    .wavefront_size: 32
    .workgroup_processor_mode: 1
  - .args:
      - .offset:         0
        .size:           72
        .value_kind:     by_value
    .group_segment_fixed_size: 0
    .kernarg_segment_align: 8
    .kernarg_segment_size: 72
    .language:       OpenCL C
    .language_version:
      - 2
      - 0
    .max_flat_workgroup_size: 128
    .name:           _ZN7rocprim17ROCPRIM_400000_NS6detail17trampoline_kernelINS0_14default_configENS1_38merge_sort_block_merge_config_selectorItNS0_10empty_typeEEEZZNS1_27merge_sort_block_merge_implIS3_N6thrust23THRUST_200600_302600_NS6detail15normal_iteratorINS9_10device_ptrItEEEEPS5_m11less_div_10ItEEE10hipError_tT0_T1_T2_jT3_P12ihipStream_tbPNSt15iterator_traitsISJ_E10value_typeEPNSP_ISK_E10value_typeEPSL_NS1_7vsmem_tEENKUlT_SJ_SK_SL_E_clISE_PtSF_SF_EESI_SY_SJ_SK_SL_EUlSY_E0_NS1_11comp_targetILNS1_3genE0ELNS1_11target_archE4294967295ELNS1_3gpuE0ELNS1_3repE0EEENS1_38merge_mergepath_config_static_selectorELNS0_4arch9wavefront6targetE0EEEvSK_
    .private_segment_fixed_size: 0
    .sgpr_count:     0
    .sgpr_spill_count: 0
    .symbol:         _ZN7rocprim17ROCPRIM_400000_NS6detail17trampoline_kernelINS0_14default_configENS1_38merge_sort_block_merge_config_selectorItNS0_10empty_typeEEEZZNS1_27merge_sort_block_merge_implIS3_N6thrust23THRUST_200600_302600_NS6detail15normal_iteratorINS9_10device_ptrItEEEEPS5_m11less_div_10ItEEE10hipError_tT0_T1_T2_jT3_P12ihipStream_tbPNSt15iterator_traitsISJ_E10value_typeEPNSP_ISK_E10value_typeEPSL_NS1_7vsmem_tEENKUlT_SJ_SK_SL_E_clISE_PtSF_SF_EESI_SY_SJ_SK_SL_EUlSY_E0_NS1_11comp_targetILNS1_3genE0ELNS1_11target_archE4294967295ELNS1_3gpuE0ELNS1_3repE0EEENS1_38merge_mergepath_config_static_selectorELNS0_4arch9wavefront6targetE0EEEvSK_.kd
    .uniform_work_group_size: 1
    .uses_dynamic_stack: false
    .vgpr_count:     0
    .vgpr_spill_count: 0
    .wavefront_size: 32
    .workgroup_processor_mode: 1
  - .args:
      - .offset:         0
        .size:           72
        .value_kind:     by_value
    .group_segment_fixed_size: 0
    .kernarg_segment_align: 8
    .kernarg_segment_size: 72
    .language:       OpenCL C
    .language_version:
      - 2
      - 0
    .max_flat_workgroup_size: 128
    .name:           _ZN7rocprim17ROCPRIM_400000_NS6detail17trampoline_kernelINS0_14default_configENS1_38merge_sort_block_merge_config_selectorItNS0_10empty_typeEEEZZNS1_27merge_sort_block_merge_implIS3_N6thrust23THRUST_200600_302600_NS6detail15normal_iteratorINS9_10device_ptrItEEEEPS5_m11less_div_10ItEEE10hipError_tT0_T1_T2_jT3_P12ihipStream_tbPNSt15iterator_traitsISJ_E10value_typeEPNSP_ISK_E10value_typeEPSL_NS1_7vsmem_tEENKUlT_SJ_SK_SL_E_clISE_PtSF_SF_EESI_SY_SJ_SK_SL_EUlSY_E0_NS1_11comp_targetILNS1_3genE10ELNS1_11target_archE1201ELNS1_3gpuE5ELNS1_3repE0EEENS1_38merge_mergepath_config_static_selectorELNS0_4arch9wavefront6targetE0EEEvSK_
    .private_segment_fixed_size: 0
    .sgpr_count:     0
    .sgpr_spill_count: 0
    .symbol:         _ZN7rocprim17ROCPRIM_400000_NS6detail17trampoline_kernelINS0_14default_configENS1_38merge_sort_block_merge_config_selectorItNS0_10empty_typeEEEZZNS1_27merge_sort_block_merge_implIS3_N6thrust23THRUST_200600_302600_NS6detail15normal_iteratorINS9_10device_ptrItEEEEPS5_m11less_div_10ItEEE10hipError_tT0_T1_T2_jT3_P12ihipStream_tbPNSt15iterator_traitsISJ_E10value_typeEPNSP_ISK_E10value_typeEPSL_NS1_7vsmem_tEENKUlT_SJ_SK_SL_E_clISE_PtSF_SF_EESI_SY_SJ_SK_SL_EUlSY_E0_NS1_11comp_targetILNS1_3genE10ELNS1_11target_archE1201ELNS1_3gpuE5ELNS1_3repE0EEENS1_38merge_mergepath_config_static_selectorELNS0_4arch9wavefront6targetE0EEEvSK_.kd
    .uniform_work_group_size: 1
    .uses_dynamic_stack: false
    .vgpr_count:     0
    .vgpr_spill_count: 0
    .wavefront_size: 32
    .workgroup_processor_mode: 1
  - .args:
      - .offset:         0
        .size:           72
        .value_kind:     by_value
    .group_segment_fixed_size: 0
    .kernarg_segment_align: 8
    .kernarg_segment_size: 72
    .language:       OpenCL C
    .language_version:
      - 2
      - 0
    .max_flat_workgroup_size: 128
    .name:           _ZN7rocprim17ROCPRIM_400000_NS6detail17trampoline_kernelINS0_14default_configENS1_38merge_sort_block_merge_config_selectorItNS0_10empty_typeEEEZZNS1_27merge_sort_block_merge_implIS3_N6thrust23THRUST_200600_302600_NS6detail15normal_iteratorINS9_10device_ptrItEEEEPS5_m11less_div_10ItEEE10hipError_tT0_T1_T2_jT3_P12ihipStream_tbPNSt15iterator_traitsISJ_E10value_typeEPNSP_ISK_E10value_typeEPSL_NS1_7vsmem_tEENKUlT_SJ_SK_SL_E_clISE_PtSF_SF_EESI_SY_SJ_SK_SL_EUlSY_E0_NS1_11comp_targetILNS1_3genE5ELNS1_11target_archE942ELNS1_3gpuE9ELNS1_3repE0EEENS1_38merge_mergepath_config_static_selectorELNS0_4arch9wavefront6targetE0EEEvSK_
    .private_segment_fixed_size: 0
    .sgpr_count:     0
    .sgpr_spill_count: 0
    .symbol:         _ZN7rocprim17ROCPRIM_400000_NS6detail17trampoline_kernelINS0_14default_configENS1_38merge_sort_block_merge_config_selectorItNS0_10empty_typeEEEZZNS1_27merge_sort_block_merge_implIS3_N6thrust23THRUST_200600_302600_NS6detail15normal_iteratorINS9_10device_ptrItEEEEPS5_m11less_div_10ItEEE10hipError_tT0_T1_T2_jT3_P12ihipStream_tbPNSt15iterator_traitsISJ_E10value_typeEPNSP_ISK_E10value_typeEPSL_NS1_7vsmem_tEENKUlT_SJ_SK_SL_E_clISE_PtSF_SF_EESI_SY_SJ_SK_SL_EUlSY_E0_NS1_11comp_targetILNS1_3genE5ELNS1_11target_archE942ELNS1_3gpuE9ELNS1_3repE0EEENS1_38merge_mergepath_config_static_selectorELNS0_4arch9wavefront6targetE0EEEvSK_.kd
    .uniform_work_group_size: 1
    .uses_dynamic_stack: false
    .vgpr_count:     0
    .vgpr_spill_count: 0
    .wavefront_size: 32
    .workgroup_processor_mode: 1
  - .args:
      - .offset:         0
        .size:           72
        .value_kind:     by_value
    .group_segment_fixed_size: 0
    .kernarg_segment_align: 8
    .kernarg_segment_size: 72
    .language:       OpenCL C
    .language_version:
      - 2
      - 0
    .max_flat_workgroup_size: 128
    .name:           _ZN7rocprim17ROCPRIM_400000_NS6detail17trampoline_kernelINS0_14default_configENS1_38merge_sort_block_merge_config_selectorItNS0_10empty_typeEEEZZNS1_27merge_sort_block_merge_implIS3_N6thrust23THRUST_200600_302600_NS6detail15normal_iteratorINS9_10device_ptrItEEEEPS5_m11less_div_10ItEEE10hipError_tT0_T1_T2_jT3_P12ihipStream_tbPNSt15iterator_traitsISJ_E10value_typeEPNSP_ISK_E10value_typeEPSL_NS1_7vsmem_tEENKUlT_SJ_SK_SL_E_clISE_PtSF_SF_EESI_SY_SJ_SK_SL_EUlSY_E0_NS1_11comp_targetILNS1_3genE4ELNS1_11target_archE910ELNS1_3gpuE8ELNS1_3repE0EEENS1_38merge_mergepath_config_static_selectorELNS0_4arch9wavefront6targetE0EEEvSK_
    .private_segment_fixed_size: 0
    .sgpr_count:     0
    .sgpr_spill_count: 0
    .symbol:         _ZN7rocprim17ROCPRIM_400000_NS6detail17trampoline_kernelINS0_14default_configENS1_38merge_sort_block_merge_config_selectorItNS0_10empty_typeEEEZZNS1_27merge_sort_block_merge_implIS3_N6thrust23THRUST_200600_302600_NS6detail15normal_iteratorINS9_10device_ptrItEEEEPS5_m11less_div_10ItEEE10hipError_tT0_T1_T2_jT3_P12ihipStream_tbPNSt15iterator_traitsISJ_E10value_typeEPNSP_ISK_E10value_typeEPSL_NS1_7vsmem_tEENKUlT_SJ_SK_SL_E_clISE_PtSF_SF_EESI_SY_SJ_SK_SL_EUlSY_E0_NS1_11comp_targetILNS1_3genE4ELNS1_11target_archE910ELNS1_3gpuE8ELNS1_3repE0EEENS1_38merge_mergepath_config_static_selectorELNS0_4arch9wavefront6targetE0EEEvSK_.kd
    .uniform_work_group_size: 1
    .uses_dynamic_stack: false
    .vgpr_count:     0
    .vgpr_spill_count: 0
    .wavefront_size: 32
    .workgroup_processor_mode: 1
  - .args:
      - .offset:         0
        .size:           72
        .value_kind:     by_value
    .group_segment_fixed_size: 0
    .kernarg_segment_align: 8
    .kernarg_segment_size: 72
    .language:       OpenCL C
    .language_version:
      - 2
      - 0
    .max_flat_workgroup_size: 128
    .name:           _ZN7rocprim17ROCPRIM_400000_NS6detail17trampoline_kernelINS0_14default_configENS1_38merge_sort_block_merge_config_selectorItNS0_10empty_typeEEEZZNS1_27merge_sort_block_merge_implIS3_N6thrust23THRUST_200600_302600_NS6detail15normal_iteratorINS9_10device_ptrItEEEEPS5_m11less_div_10ItEEE10hipError_tT0_T1_T2_jT3_P12ihipStream_tbPNSt15iterator_traitsISJ_E10value_typeEPNSP_ISK_E10value_typeEPSL_NS1_7vsmem_tEENKUlT_SJ_SK_SL_E_clISE_PtSF_SF_EESI_SY_SJ_SK_SL_EUlSY_E0_NS1_11comp_targetILNS1_3genE3ELNS1_11target_archE908ELNS1_3gpuE7ELNS1_3repE0EEENS1_38merge_mergepath_config_static_selectorELNS0_4arch9wavefront6targetE0EEEvSK_
    .private_segment_fixed_size: 0
    .sgpr_count:     0
    .sgpr_spill_count: 0
    .symbol:         _ZN7rocprim17ROCPRIM_400000_NS6detail17trampoline_kernelINS0_14default_configENS1_38merge_sort_block_merge_config_selectorItNS0_10empty_typeEEEZZNS1_27merge_sort_block_merge_implIS3_N6thrust23THRUST_200600_302600_NS6detail15normal_iteratorINS9_10device_ptrItEEEEPS5_m11less_div_10ItEEE10hipError_tT0_T1_T2_jT3_P12ihipStream_tbPNSt15iterator_traitsISJ_E10value_typeEPNSP_ISK_E10value_typeEPSL_NS1_7vsmem_tEENKUlT_SJ_SK_SL_E_clISE_PtSF_SF_EESI_SY_SJ_SK_SL_EUlSY_E0_NS1_11comp_targetILNS1_3genE3ELNS1_11target_archE908ELNS1_3gpuE7ELNS1_3repE0EEENS1_38merge_mergepath_config_static_selectorELNS0_4arch9wavefront6targetE0EEEvSK_.kd
    .uniform_work_group_size: 1
    .uses_dynamic_stack: false
    .vgpr_count:     0
    .vgpr_spill_count: 0
    .wavefront_size: 32
    .workgroup_processor_mode: 1
  - .args:
      - .offset:         0
        .size:           72
        .value_kind:     by_value
    .group_segment_fixed_size: 0
    .kernarg_segment_align: 8
    .kernarg_segment_size: 72
    .language:       OpenCL C
    .language_version:
      - 2
      - 0
    .max_flat_workgroup_size: 128
    .name:           _ZN7rocprim17ROCPRIM_400000_NS6detail17trampoline_kernelINS0_14default_configENS1_38merge_sort_block_merge_config_selectorItNS0_10empty_typeEEEZZNS1_27merge_sort_block_merge_implIS3_N6thrust23THRUST_200600_302600_NS6detail15normal_iteratorINS9_10device_ptrItEEEEPS5_m11less_div_10ItEEE10hipError_tT0_T1_T2_jT3_P12ihipStream_tbPNSt15iterator_traitsISJ_E10value_typeEPNSP_ISK_E10value_typeEPSL_NS1_7vsmem_tEENKUlT_SJ_SK_SL_E_clISE_PtSF_SF_EESI_SY_SJ_SK_SL_EUlSY_E0_NS1_11comp_targetILNS1_3genE2ELNS1_11target_archE906ELNS1_3gpuE6ELNS1_3repE0EEENS1_38merge_mergepath_config_static_selectorELNS0_4arch9wavefront6targetE0EEEvSK_
    .private_segment_fixed_size: 0
    .sgpr_count:     0
    .sgpr_spill_count: 0
    .symbol:         _ZN7rocprim17ROCPRIM_400000_NS6detail17trampoline_kernelINS0_14default_configENS1_38merge_sort_block_merge_config_selectorItNS0_10empty_typeEEEZZNS1_27merge_sort_block_merge_implIS3_N6thrust23THRUST_200600_302600_NS6detail15normal_iteratorINS9_10device_ptrItEEEEPS5_m11less_div_10ItEEE10hipError_tT0_T1_T2_jT3_P12ihipStream_tbPNSt15iterator_traitsISJ_E10value_typeEPNSP_ISK_E10value_typeEPSL_NS1_7vsmem_tEENKUlT_SJ_SK_SL_E_clISE_PtSF_SF_EESI_SY_SJ_SK_SL_EUlSY_E0_NS1_11comp_targetILNS1_3genE2ELNS1_11target_archE906ELNS1_3gpuE6ELNS1_3repE0EEENS1_38merge_mergepath_config_static_selectorELNS0_4arch9wavefront6targetE0EEEvSK_.kd
    .uniform_work_group_size: 1
    .uses_dynamic_stack: false
    .vgpr_count:     0
    .vgpr_spill_count: 0
    .wavefront_size: 32
    .workgroup_processor_mode: 1
  - .args:
      - .offset:         0
        .size:           72
        .value_kind:     by_value
    .group_segment_fixed_size: 0
    .kernarg_segment_align: 8
    .kernarg_segment_size: 72
    .language:       OpenCL C
    .language_version:
      - 2
      - 0
    .max_flat_workgroup_size: 128
    .name:           _ZN7rocprim17ROCPRIM_400000_NS6detail17trampoline_kernelINS0_14default_configENS1_38merge_sort_block_merge_config_selectorItNS0_10empty_typeEEEZZNS1_27merge_sort_block_merge_implIS3_N6thrust23THRUST_200600_302600_NS6detail15normal_iteratorINS9_10device_ptrItEEEEPS5_m11less_div_10ItEEE10hipError_tT0_T1_T2_jT3_P12ihipStream_tbPNSt15iterator_traitsISJ_E10value_typeEPNSP_ISK_E10value_typeEPSL_NS1_7vsmem_tEENKUlT_SJ_SK_SL_E_clISE_PtSF_SF_EESI_SY_SJ_SK_SL_EUlSY_E0_NS1_11comp_targetILNS1_3genE9ELNS1_11target_archE1100ELNS1_3gpuE3ELNS1_3repE0EEENS1_38merge_mergepath_config_static_selectorELNS0_4arch9wavefront6targetE0EEEvSK_
    .private_segment_fixed_size: 0
    .sgpr_count:     0
    .sgpr_spill_count: 0
    .symbol:         _ZN7rocprim17ROCPRIM_400000_NS6detail17trampoline_kernelINS0_14default_configENS1_38merge_sort_block_merge_config_selectorItNS0_10empty_typeEEEZZNS1_27merge_sort_block_merge_implIS3_N6thrust23THRUST_200600_302600_NS6detail15normal_iteratorINS9_10device_ptrItEEEEPS5_m11less_div_10ItEEE10hipError_tT0_T1_T2_jT3_P12ihipStream_tbPNSt15iterator_traitsISJ_E10value_typeEPNSP_ISK_E10value_typeEPSL_NS1_7vsmem_tEENKUlT_SJ_SK_SL_E_clISE_PtSF_SF_EESI_SY_SJ_SK_SL_EUlSY_E0_NS1_11comp_targetILNS1_3genE9ELNS1_11target_archE1100ELNS1_3gpuE3ELNS1_3repE0EEENS1_38merge_mergepath_config_static_selectorELNS0_4arch9wavefront6targetE0EEEvSK_.kd
    .uniform_work_group_size: 1
    .uses_dynamic_stack: false
    .vgpr_count:     0
    .vgpr_spill_count: 0
    .wavefront_size: 32
    .workgroup_processor_mode: 1
  - .args:
      - .offset:         0
        .size:           72
        .value_kind:     by_value
      - .offset:         72
        .size:           4
        .value_kind:     hidden_block_count_x
      - .offset:         76
        .size:           4
        .value_kind:     hidden_block_count_y
      - .offset:         80
        .size:           4
        .value_kind:     hidden_block_count_z
      - .offset:         84
        .size:           2
        .value_kind:     hidden_group_size_x
      - .offset:         86
        .size:           2
        .value_kind:     hidden_group_size_y
      - .offset:         88
        .size:           2
        .value_kind:     hidden_group_size_z
      - .offset:         90
        .size:           2
        .value_kind:     hidden_remainder_x
      - .offset:         92
        .size:           2
        .value_kind:     hidden_remainder_y
      - .offset:         94
        .size:           2
        .value_kind:     hidden_remainder_z
      - .offset:         112
        .size:           8
        .value_kind:     hidden_global_offset_x
      - .offset:         120
        .size:           8
        .value_kind:     hidden_global_offset_y
      - .offset:         128
        .size:           8
        .value_kind:     hidden_global_offset_z
      - .offset:         136
        .size:           2
        .value_kind:     hidden_grid_dims
    .group_segment_fixed_size: 2112
    .kernarg_segment_align: 8
    .kernarg_segment_size: 328
    .language:       OpenCL C
    .language_version:
      - 2
      - 0
    .max_flat_workgroup_size: 128
    .name:           _ZN7rocprim17ROCPRIM_400000_NS6detail17trampoline_kernelINS0_14default_configENS1_38merge_sort_block_merge_config_selectorItNS0_10empty_typeEEEZZNS1_27merge_sort_block_merge_implIS3_N6thrust23THRUST_200600_302600_NS6detail15normal_iteratorINS9_10device_ptrItEEEEPS5_m11less_div_10ItEEE10hipError_tT0_T1_T2_jT3_P12ihipStream_tbPNSt15iterator_traitsISJ_E10value_typeEPNSP_ISK_E10value_typeEPSL_NS1_7vsmem_tEENKUlT_SJ_SK_SL_E_clISE_PtSF_SF_EESI_SY_SJ_SK_SL_EUlSY_E0_NS1_11comp_targetILNS1_3genE8ELNS1_11target_archE1030ELNS1_3gpuE2ELNS1_3repE0EEENS1_38merge_mergepath_config_static_selectorELNS0_4arch9wavefront6targetE0EEEvSK_
    .private_segment_fixed_size: 0
    .sgpr_count:     33
    .sgpr_spill_count: 0
    .symbol:         _ZN7rocprim17ROCPRIM_400000_NS6detail17trampoline_kernelINS0_14default_configENS1_38merge_sort_block_merge_config_selectorItNS0_10empty_typeEEEZZNS1_27merge_sort_block_merge_implIS3_N6thrust23THRUST_200600_302600_NS6detail15normal_iteratorINS9_10device_ptrItEEEEPS5_m11less_div_10ItEEE10hipError_tT0_T1_T2_jT3_P12ihipStream_tbPNSt15iterator_traitsISJ_E10value_typeEPNSP_ISK_E10value_typeEPSL_NS1_7vsmem_tEENKUlT_SJ_SK_SL_E_clISE_PtSF_SF_EESI_SY_SJ_SK_SL_EUlSY_E0_NS1_11comp_targetILNS1_3genE8ELNS1_11target_archE1030ELNS1_3gpuE2ELNS1_3repE0EEENS1_38merge_mergepath_config_static_selectorELNS0_4arch9wavefront6targetE0EEEvSK_.kd
    .uniform_work_group_size: 1
    .uses_dynamic_stack: false
    .vgpr_count:     29
    .vgpr_spill_count: 0
    .wavefront_size: 32
    .workgroup_processor_mode: 1
  - .args:
      - .offset:         0
        .size:           56
        .value_kind:     by_value
    .group_segment_fixed_size: 0
    .kernarg_segment_align: 8
    .kernarg_segment_size: 56
    .language:       OpenCL C
    .language_version:
      - 2
      - 0
    .max_flat_workgroup_size: 256
    .name:           _ZN7rocprim17ROCPRIM_400000_NS6detail17trampoline_kernelINS0_14default_configENS1_38merge_sort_block_merge_config_selectorItNS0_10empty_typeEEEZZNS1_27merge_sort_block_merge_implIS3_N6thrust23THRUST_200600_302600_NS6detail15normal_iteratorINS9_10device_ptrItEEEEPS5_m11less_div_10ItEEE10hipError_tT0_T1_T2_jT3_P12ihipStream_tbPNSt15iterator_traitsISJ_E10value_typeEPNSP_ISK_E10value_typeEPSL_NS1_7vsmem_tEENKUlT_SJ_SK_SL_E_clISE_PtSF_SF_EESI_SY_SJ_SK_SL_EUlSY_E1_NS1_11comp_targetILNS1_3genE0ELNS1_11target_archE4294967295ELNS1_3gpuE0ELNS1_3repE0EEENS1_36merge_oddeven_config_static_selectorELNS0_4arch9wavefront6targetE0EEEvSK_
    .private_segment_fixed_size: 0
    .sgpr_count:     0
    .sgpr_spill_count: 0
    .symbol:         _ZN7rocprim17ROCPRIM_400000_NS6detail17trampoline_kernelINS0_14default_configENS1_38merge_sort_block_merge_config_selectorItNS0_10empty_typeEEEZZNS1_27merge_sort_block_merge_implIS3_N6thrust23THRUST_200600_302600_NS6detail15normal_iteratorINS9_10device_ptrItEEEEPS5_m11less_div_10ItEEE10hipError_tT0_T1_T2_jT3_P12ihipStream_tbPNSt15iterator_traitsISJ_E10value_typeEPNSP_ISK_E10value_typeEPSL_NS1_7vsmem_tEENKUlT_SJ_SK_SL_E_clISE_PtSF_SF_EESI_SY_SJ_SK_SL_EUlSY_E1_NS1_11comp_targetILNS1_3genE0ELNS1_11target_archE4294967295ELNS1_3gpuE0ELNS1_3repE0EEENS1_36merge_oddeven_config_static_selectorELNS0_4arch9wavefront6targetE0EEEvSK_.kd
    .uniform_work_group_size: 1
    .uses_dynamic_stack: false
    .vgpr_count:     0
    .vgpr_spill_count: 0
    .wavefront_size: 32
    .workgroup_processor_mode: 1
  - .args:
      - .offset:         0
        .size:           56
        .value_kind:     by_value
    .group_segment_fixed_size: 0
    .kernarg_segment_align: 8
    .kernarg_segment_size: 56
    .language:       OpenCL C
    .language_version:
      - 2
      - 0
    .max_flat_workgroup_size: 256
    .name:           _ZN7rocprim17ROCPRIM_400000_NS6detail17trampoline_kernelINS0_14default_configENS1_38merge_sort_block_merge_config_selectorItNS0_10empty_typeEEEZZNS1_27merge_sort_block_merge_implIS3_N6thrust23THRUST_200600_302600_NS6detail15normal_iteratorINS9_10device_ptrItEEEEPS5_m11less_div_10ItEEE10hipError_tT0_T1_T2_jT3_P12ihipStream_tbPNSt15iterator_traitsISJ_E10value_typeEPNSP_ISK_E10value_typeEPSL_NS1_7vsmem_tEENKUlT_SJ_SK_SL_E_clISE_PtSF_SF_EESI_SY_SJ_SK_SL_EUlSY_E1_NS1_11comp_targetILNS1_3genE10ELNS1_11target_archE1201ELNS1_3gpuE5ELNS1_3repE0EEENS1_36merge_oddeven_config_static_selectorELNS0_4arch9wavefront6targetE0EEEvSK_
    .private_segment_fixed_size: 0
    .sgpr_count:     0
    .sgpr_spill_count: 0
    .symbol:         _ZN7rocprim17ROCPRIM_400000_NS6detail17trampoline_kernelINS0_14default_configENS1_38merge_sort_block_merge_config_selectorItNS0_10empty_typeEEEZZNS1_27merge_sort_block_merge_implIS3_N6thrust23THRUST_200600_302600_NS6detail15normal_iteratorINS9_10device_ptrItEEEEPS5_m11less_div_10ItEEE10hipError_tT0_T1_T2_jT3_P12ihipStream_tbPNSt15iterator_traitsISJ_E10value_typeEPNSP_ISK_E10value_typeEPSL_NS1_7vsmem_tEENKUlT_SJ_SK_SL_E_clISE_PtSF_SF_EESI_SY_SJ_SK_SL_EUlSY_E1_NS1_11comp_targetILNS1_3genE10ELNS1_11target_archE1201ELNS1_3gpuE5ELNS1_3repE0EEENS1_36merge_oddeven_config_static_selectorELNS0_4arch9wavefront6targetE0EEEvSK_.kd
    .uniform_work_group_size: 1
    .uses_dynamic_stack: false
    .vgpr_count:     0
    .vgpr_spill_count: 0
    .wavefront_size: 32
    .workgroup_processor_mode: 1
  - .args:
      - .offset:         0
        .size:           56
        .value_kind:     by_value
    .group_segment_fixed_size: 0
    .kernarg_segment_align: 8
    .kernarg_segment_size: 56
    .language:       OpenCL C
    .language_version:
      - 2
      - 0
    .max_flat_workgroup_size: 256
    .name:           _ZN7rocprim17ROCPRIM_400000_NS6detail17trampoline_kernelINS0_14default_configENS1_38merge_sort_block_merge_config_selectorItNS0_10empty_typeEEEZZNS1_27merge_sort_block_merge_implIS3_N6thrust23THRUST_200600_302600_NS6detail15normal_iteratorINS9_10device_ptrItEEEEPS5_m11less_div_10ItEEE10hipError_tT0_T1_T2_jT3_P12ihipStream_tbPNSt15iterator_traitsISJ_E10value_typeEPNSP_ISK_E10value_typeEPSL_NS1_7vsmem_tEENKUlT_SJ_SK_SL_E_clISE_PtSF_SF_EESI_SY_SJ_SK_SL_EUlSY_E1_NS1_11comp_targetILNS1_3genE5ELNS1_11target_archE942ELNS1_3gpuE9ELNS1_3repE0EEENS1_36merge_oddeven_config_static_selectorELNS0_4arch9wavefront6targetE0EEEvSK_
    .private_segment_fixed_size: 0
    .sgpr_count:     0
    .sgpr_spill_count: 0
    .symbol:         _ZN7rocprim17ROCPRIM_400000_NS6detail17trampoline_kernelINS0_14default_configENS1_38merge_sort_block_merge_config_selectorItNS0_10empty_typeEEEZZNS1_27merge_sort_block_merge_implIS3_N6thrust23THRUST_200600_302600_NS6detail15normal_iteratorINS9_10device_ptrItEEEEPS5_m11less_div_10ItEEE10hipError_tT0_T1_T2_jT3_P12ihipStream_tbPNSt15iterator_traitsISJ_E10value_typeEPNSP_ISK_E10value_typeEPSL_NS1_7vsmem_tEENKUlT_SJ_SK_SL_E_clISE_PtSF_SF_EESI_SY_SJ_SK_SL_EUlSY_E1_NS1_11comp_targetILNS1_3genE5ELNS1_11target_archE942ELNS1_3gpuE9ELNS1_3repE0EEENS1_36merge_oddeven_config_static_selectorELNS0_4arch9wavefront6targetE0EEEvSK_.kd
    .uniform_work_group_size: 1
    .uses_dynamic_stack: false
    .vgpr_count:     0
    .vgpr_spill_count: 0
    .wavefront_size: 32
    .workgroup_processor_mode: 1
  - .args:
      - .offset:         0
        .size:           56
        .value_kind:     by_value
    .group_segment_fixed_size: 0
    .kernarg_segment_align: 8
    .kernarg_segment_size: 56
    .language:       OpenCL C
    .language_version:
      - 2
      - 0
    .max_flat_workgroup_size: 256
    .name:           _ZN7rocprim17ROCPRIM_400000_NS6detail17trampoline_kernelINS0_14default_configENS1_38merge_sort_block_merge_config_selectorItNS0_10empty_typeEEEZZNS1_27merge_sort_block_merge_implIS3_N6thrust23THRUST_200600_302600_NS6detail15normal_iteratorINS9_10device_ptrItEEEEPS5_m11less_div_10ItEEE10hipError_tT0_T1_T2_jT3_P12ihipStream_tbPNSt15iterator_traitsISJ_E10value_typeEPNSP_ISK_E10value_typeEPSL_NS1_7vsmem_tEENKUlT_SJ_SK_SL_E_clISE_PtSF_SF_EESI_SY_SJ_SK_SL_EUlSY_E1_NS1_11comp_targetILNS1_3genE4ELNS1_11target_archE910ELNS1_3gpuE8ELNS1_3repE0EEENS1_36merge_oddeven_config_static_selectorELNS0_4arch9wavefront6targetE0EEEvSK_
    .private_segment_fixed_size: 0
    .sgpr_count:     0
    .sgpr_spill_count: 0
    .symbol:         _ZN7rocprim17ROCPRIM_400000_NS6detail17trampoline_kernelINS0_14default_configENS1_38merge_sort_block_merge_config_selectorItNS0_10empty_typeEEEZZNS1_27merge_sort_block_merge_implIS3_N6thrust23THRUST_200600_302600_NS6detail15normal_iteratorINS9_10device_ptrItEEEEPS5_m11less_div_10ItEEE10hipError_tT0_T1_T2_jT3_P12ihipStream_tbPNSt15iterator_traitsISJ_E10value_typeEPNSP_ISK_E10value_typeEPSL_NS1_7vsmem_tEENKUlT_SJ_SK_SL_E_clISE_PtSF_SF_EESI_SY_SJ_SK_SL_EUlSY_E1_NS1_11comp_targetILNS1_3genE4ELNS1_11target_archE910ELNS1_3gpuE8ELNS1_3repE0EEENS1_36merge_oddeven_config_static_selectorELNS0_4arch9wavefront6targetE0EEEvSK_.kd
    .uniform_work_group_size: 1
    .uses_dynamic_stack: false
    .vgpr_count:     0
    .vgpr_spill_count: 0
    .wavefront_size: 32
    .workgroup_processor_mode: 1
  - .args:
      - .offset:         0
        .size:           56
        .value_kind:     by_value
    .group_segment_fixed_size: 0
    .kernarg_segment_align: 8
    .kernarg_segment_size: 56
    .language:       OpenCL C
    .language_version:
      - 2
      - 0
    .max_flat_workgroup_size: 256
    .name:           _ZN7rocprim17ROCPRIM_400000_NS6detail17trampoline_kernelINS0_14default_configENS1_38merge_sort_block_merge_config_selectorItNS0_10empty_typeEEEZZNS1_27merge_sort_block_merge_implIS3_N6thrust23THRUST_200600_302600_NS6detail15normal_iteratorINS9_10device_ptrItEEEEPS5_m11less_div_10ItEEE10hipError_tT0_T1_T2_jT3_P12ihipStream_tbPNSt15iterator_traitsISJ_E10value_typeEPNSP_ISK_E10value_typeEPSL_NS1_7vsmem_tEENKUlT_SJ_SK_SL_E_clISE_PtSF_SF_EESI_SY_SJ_SK_SL_EUlSY_E1_NS1_11comp_targetILNS1_3genE3ELNS1_11target_archE908ELNS1_3gpuE7ELNS1_3repE0EEENS1_36merge_oddeven_config_static_selectorELNS0_4arch9wavefront6targetE0EEEvSK_
    .private_segment_fixed_size: 0
    .sgpr_count:     0
    .sgpr_spill_count: 0
    .symbol:         _ZN7rocprim17ROCPRIM_400000_NS6detail17trampoline_kernelINS0_14default_configENS1_38merge_sort_block_merge_config_selectorItNS0_10empty_typeEEEZZNS1_27merge_sort_block_merge_implIS3_N6thrust23THRUST_200600_302600_NS6detail15normal_iteratorINS9_10device_ptrItEEEEPS5_m11less_div_10ItEEE10hipError_tT0_T1_T2_jT3_P12ihipStream_tbPNSt15iterator_traitsISJ_E10value_typeEPNSP_ISK_E10value_typeEPSL_NS1_7vsmem_tEENKUlT_SJ_SK_SL_E_clISE_PtSF_SF_EESI_SY_SJ_SK_SL_EUlSY_E1_NS1_11comp_targetILNS1_3genE3ELNS1_11target_archE908ELNS1_3gpuE7ELNS1_3repE0EEENS1_36merge_oddeven_config_static_selectorELNS0_4arch9wavefront6targetE0EEEvSK_.kd
    .uniform_work_group_size: 1
    .uses_dynamic_stack: false
    .vgpr_count:     0
    .vgpr_spill_count: 0
    .wavefront_size: 32
    .workgroup_processor_mode: 1
  - .args:
      - .offset:         0
        .size:           56
        .value_kind:     by_value
    .group_segment_fixed_size: 0
    .kernarg_segment_align: 8
    .kernarg_segment_size: 56
    .language:       OpenCL C
    .language_version:
      - 2
      - 0
    .max_flat_workgroup_size: 256
    .name:           _ZN7rocprim17ROCPRIM_400000_NS6detail17trampoline_kernelINS0_14default_configENS1_38merge_sort_block_merge_config_selectorItNS0_10empty_typeEEEZZNS1_27merge_sort_block_merge_implIS3_N6thrust23THRUST_200600_302600_NS6detail15normal_iteratorINS9_10device_ptrItEEEEPS5_m11less_div_10ItEEE10hipError_tT0_T1_T2_jT3_P12ihipStream_tbPNSt15iterator_traitsISJ_E10value_typeEPNSP_ISK_E10value_typeEPSL_NS1_7vsmem_tEENKUlT_SJ_SK_SL_E_clISE_PtSF_SF_EESI_SY_SJ_SK_SL_EUlSY_E1_NS1_11comp_targetILNS1_3genE2ELNS1_11target_archE906ELNS1_3gpuE6ELNS1_3repE0EEENS1_36merge_oddeven_config_static_selectorELNS0_4arch9wavefront6targetE0EEEvSK_
    .private_segment_fixed_size: 0
    .sgpr_count:     0
    .sgpr_spill_count: 0
    .symbol:         _ZN7rocprim17ROCPRIM_400000_NS6detail17trampoline_kernelINS0_14default_configENS1_38merge_sort_block_merge_config_selectorItNS0_10empty_typeEEEZZNS1_27merge_sort_block_merge_implIS3_N6thrust23THRUST_200600_302600_NS6detail15normal_iteratorINS9_10device_ptrItEEEEPS5_m11less_div_10ItEEE10hipError_tT0_T1_T2_jT3_P12ihipStream_tbPNSt15iterator_traitsISJ_E10value_typeEPNSP_ISK_E10value_typeEPSL_NS1_7vsmem_tEENKUlT_SJ_SK_SL_E_clISE_PtSF_SF_EESI_SY_SJ_SK_SL_EUlSY_E1_NS1_11comp_targetILNS1_3genE2ELNS1_11target_archE906ELNS1_3gpuE6ELNS1_3repE0EEENS1_36merge_oddeven_config_static_selectorELNS0_4arch9wavefront6targetE0EEEvSK_.kd
    .uniform_work_group_size: 1
    .uses_dynamic_stack: false
    .vgpr_count:     0
    .vgpr_spill_count: 0
    .wavefront_size: 32
    .workgroup_processor_mode: 1
  - .args:
      - .offset:         0
        .size:           56
        .value_kind:     by_value
    .group_segment_fixed_size: 0
    .kernarg_segment_align: 8
    .kernarg_segment_size: 56
    .language:       OpenCL C
    .language_version:
      - 2
      - 0
    .max_flat_workgroup_size: 256
    .name:           _ZN7rocprim17ROCPRIM_400000_NS6detail17trampoline_kernelINS0_14default_configENS1_38merge_sort_block_merge_config_selectorItNS0_10empty_typeEEEZZNS1_27merge_sort_block_merge_implIS3_N6thrust23THRUST_200600_302600_NS6detail15normal_iteratorINS9_10device_ptrItEEEEPS5_m11less_div_10ItEEE10hipError_tT0_T1_T2_jT3_P12ihipStream_tbPNSt15iterator_traitsISJ_E10value_typeEPNSP_ISK_E10value_typeEPSL_NS1_7vsmem_tEENKUlT_SJ_SK_SL_E_clISE_PtSF_SF_EESI_SY_SJ_SK_SL_EUlSY_E1_NS1_11comp_targetILNS1_3genE9ELNS1_11target_archE1100ELNS1_3gpuE3ELNS1_3repE0EEENS1_36merge_oddeven_config_static_selectorELNS0_4arch9wavefront6targetE0EEEvSK_
    .private_segment_fixed_size: 0
    .sgpr_count:     0
    .sgpr_spill_count: 0
    .symbol:         _ZN7rocprim17ROCPRIM_400000_NS6detail17trampoline_kernelINS0_14default_configENS1_38merge_sort_block_merge_config_selectorItNS0_10empty_typeEEEZZNS1_27merge_sort_block_merge_implIS3_N6thrust23THRUST_200600_302600_NS6detail15normal_iteratorINS9_10device_ptrItEEEEPS5_m11less_div_10ItEEE10hipError_tT0_T1_T2_jT3_P12ihipStream_tbPNSt15iterator_traitsISJ_E10value_typeEPNSP_ISK_E10value_typeEPSL_NS1_7vsmem_tEENKUlT_SJ_SK_SL_E_clISE_PtSF_SF_EESI_SY_SJ_SK_SL_EUlSY_E1_NS1_11comp_targetILNS1_3genE9ELNS1_11target_archE1100ELNS1_3gpuE3ELNS1_3repE0EEENS1_36merge_oddeven_config_static_selectorELNS0_4arch9wavefront6targetE0EEEvSK_.kd
    .uniform_work_group_size: 1
    .uses_dynamic_stack: false
    .vgpr_count:     0
    .vgpr_spill_count: 0
    .wavefront_size: 32
    .workgroup_processor_mode: 1
  - .args:
      - .offset:         0
        .size:           56
        .value_kind:     by_value
    .group_segment_fixed_size: 0
    .kernarg_segment_align: 8
    .kernarg_segment_size: 56
    .language:       OpenCL C
    .language_version:
      - 2
      - 0
    .max_flat_workgroup_size: 256
    .name:           _ZN7rocprim17ROCPRIM_400000_NS6detail17trampoline_kernelINS0_14default_configENS1_38merge_sort_block_merge_config_selectorItNS0_10empty_typeEEEZZNS1_27merge_sort_block_merge_implIS3_N6thrust23THRUST_200600_302600_NS6detail15normal_iteratorINS9_10device_ptrItEEEEPS5_m11less_div_10ItEEE10hipError_tT0_T1_T2_jT3_P12ihipStream_tbPNSt15iterator_traitsISJ_E10value_typeEPNSP_ISK_E10value_typeEPSL_NS1_7vsmem_tEENKUlT_SJ_SK_SL_E_clISE_PtSF_SF_EESI_SY_SJ_SK_SL_EUlSY_E1_NS1_11comp_targetILNS1_3genE8ELNS1_11target_archE1030ELNS1_3gpuE2ELNS1_3repE0EEENS1_36merge_oddeven_config_static_selectorELNS0_4arch9wavefront6targetE0EEEvSK_
    .private_segment_fixed_size: 0
    .sgpr_count:     18
    .sgpr_spill_count: 0
    .symbol:         _ZN7rocprim17ROCPRIM_400000_NS6detail17trampoline_kernelINS0_14default_configENS1_38merge_sort_block_merge_config_selectorItNS0_10empty_typeEEEZZNS1_27merge_sort_block_merge_implIS3_N6thrust23THRUST_200600_302600_NS6detail15normal_iteratorINS9_10device_ptrItEEEEPS5_m11less_div_10ItEEE10hipError_tT0_T1_T2_jT3_P12ihipStream_tbPNSt15iterator_traitsISJ_E10value_typeEPNSP_ISK_E10value_typeEPSL_NS1_7vsmem_tEENKUlT_SJ_SK_SL_E_clISE_PtSF_SF_EESI_SY_SJ_SK_SL_EUlSY_E1_NS1_11comp_targetILNS1_3genE8ELNS1_11target_archE1030ELNS1_3gpuE2ELNS1_3repE0EEENS1_36merge_oddeven_config_static_selectorELNS0_4arch9wavefront6targetE0EEEvSK_.kd
    .uniform_work_group_size: 1
    .uses_dynamic_stack: false
    .vgpr_count:     8
    .vgpr_spill_count: 0
    .wavefront_size: 32
    .workgroup_processor_mode: 1
  - .args:
      - .offset:         0
        .size:           40
        .value_kind:     by_value
    .group_segment_fixed_size: 0
    .kernarg_segment_align: 8
    .kernarg_segment_size: 40
    .language:       OpenCL C
    .language_version:
      - 2
      - 0
    .max_flat_workgroup_size: 128
    .name:           _ZN7rocprim17ROCPRIM_400000_NS6detail17trampoline_kernelINS0_14default_configENS1_25transform_config_selectorItLb0EEEZNS1_14transform_implILb0ES3_S5_PtN6thrust23THRUST_200600_302600_NS6detail15normal_iteratorINS9_10device_ptrItEEEENS0_8identityItEEEE10hipError_tT2_T3_mT4_P12ihipStream_tbEUlT_E_NS1_11comp_targetILNS1_3genE0ELNS1_11target_archE4294967295ELNS1_3gpuE0ELNS1_3repE0EEENS1_30default_config_static_selectorELNS0_4arch9wavefront6targetE0EEEvT1_
    .private_segment_fixed_size: 0
    .sgpr_count:     0
    .sgpr_spill_count: 0
    .symbol:         _ZN7rocprim17ROCPRIM_400000_NS6detail17trampoline_kernelINS0_14default_configENS1_25transform_config_selectorItLb0EEEZNS1_14transform_implILb0ES3_S5_PtN6thrust23THRUST_200600_302600_NS6detail15normal_iteratorINS9_10device_ptrItEEEENS0_8identityItEEEE10hipError_tT2_T3_mT4_P12ihipStream_tbEUlT_E_NS1_11comp_targetILNS1_3genE0ELNS1_11target_archE4294967295ELNS1_3gpuE0ELNS1_3repE0EEENS1_30default_config_static_selectorELNS0_4arch9wavefront6targetE0EEEvT1_.kd
    .uniform_work_group_size: 1
    .uses_dynamic_stack: false
    .vgpr_count:     0
    .vgpr_spill_count: 0
    .wavefront_size: 32
    .workgroup_processor_mode: 1
  - .args:
      - .offset:         0
        .size:           40
        .value_kind:     by_value
    .group_segment_fixed_size: 0
    .kernarg_segment_align: 8
    .kernarg_segment_size: 40
    .language:       OpenCL C
    .language_version:
      - 2
      - 0
    .max_flat_workgroup_size: 256
    .name:           _ZN7rocprim17ROCPRIM_400000_NS6detail17trampoline_kernelINS0_14default_configENS1_25transform_config_selectorItLb0EEEZNS1_14transform_implILb0ES3_S5_PtN6thrust23THRUST_200600_302600_NS6detail15normal_iteratorINS9_10device_ptrItEEEENS0_8identityItEEEE10hipError_tT2_T3_mT4_P12ihipStream_tbEUlT_E_NS1_11comp_targetILNS1_3genE5ELNS1_11target_archE942ELNS1_3gpuE9ELNS1_3repE0EEENS1_30default_config_static_selectorELNS0_4arch9wavefront6targetE0EEEvT1_
    .private_segment_fixed_size: 0
    .sgpr_count:     0
    .sgpr_spill_count: 0
    .symbol:         _ZN7rocprim17ROCPRIM_400000_NS6detail17trampoline_kernelINS0_14default_configENS1_25transform_config_selectorItLb0EEEZNS1_14transform_implILb0ES3_S5_PtN6thrust23THRUST_200600_302600_NS6detail15normal_iteratorINS9_10device_ptrItEEEENS0_8identityItEEEE10hipError_tT2_T3_mT4_P12ihipStream_tbEUlT_E_NS1_11comp_targetILNS1_3genE5ELNS1_11target_archE942ELNS1_3gpuE9ELNS1_3repE0EEENS1_30default_config_static_selectorELNS0_4arch9wavefront6targetE0EEEvT1_.kd
    .uniform_work_group_size: 1
    .uses_dynamic_stack: false
    .vgpr_count:     0
    .vgpr_spill_count: 0
    .wavefront_size: 32
    .workgroup_processor_mode: 1
  - .args:
      - .offset:         0
        .size:           40
        .value_kind:     by_value
    .group_segment_fixed_size: 0
    .kernarg_segment_align: 8
    .kernarg_segment_size: 40
    .language:       OpenCL C
    .language_version:
      - 2
      - 0
    .max_flat_workgroup_size: 64
    .name:           _ZN7rocprim17ROCPRIM_400000_NS6detail17trampoline_kernelINS0_14default_configENS1_25transform_config_selectorItLb0EEEZNS1_14transform_implILb0ES3_S5_PtN6thrust23THRUST_200600_302600_NS6detail15normal_iteratorINS9_10device_ptrItEEEENS0_8identityItEEEE10hipError_tT2_T3_mT4_P12ihipStream_tbEUlT_E_NS1_11comp_targetILNS1_3genE4ELNS1_11target_archE910ELNS1_3gpuE8ELNS1_3repE0EEENS1_30default_config_static_selectorELNS0_4arch9wavefront6targetE0EEEvT1_
    .private_segment_fixed_size: 0
    .sgpr_count:     0
    .sgpr_spill_count: 0
    .symbol:         _ZN7rocprim17ROCPRIM_400000_NS6detail17trampoline_kernelINS0_14default_configENS1_25transform_config_selectorItLb0EEEZNS1_14transform_implILb0ES3_S5_PtN6thrust23THRUST_200600_302600_NS6detail15normal_iteratorINS9_10device_ptrItEEEENS0_8identityItEEEE10hipError_tT2_T3_mT4_P12ihipStream_tbEUlT_E_NS1_11comp_targetILNS1_3genE4ELNS1_11target_archE910ELNS1_3gpuE8ELNS1_3repE0EEENS1_30default_config_static_selectorELNS0_4arch9wavefront6targetE0EEEvT1_.kd
    .uniform_work_group_size: 1
    .uses_dynamic_stack: false
    .vgpr_count:     0
    .vgpr_spill_count: 0
    .wavefront_size: 32
    .workgroup_processor_mode: 1
  - .args:
      - .offset:         0
        .size:           40
        .value_kind:     by_value
    .group_segment_fixed_size: 0
    .kernarg_segment_align: 8
    .kernarg_segment_size: 40
    .language:       OpenCL C
    .language_version:
      - 2
      - 0
    .max_flat_workgroup_size: 128
    .name:           _ZN7rocprim17ROCPRIM_400000_NS6detail17trampoline_kernelINS0_14default_configENS1_25transform_config_selectorItLb0EEEZNS1_14transform_implILb0ES3_S5_PtN6thrust23THRUST_200600_302600_NS6detail15normal_iteratorINS9_10device_ptrItEEEENS0_8identityItEEEE10hipError_tT2_T3_mT4_P12ihipStream_tbEUlT_E_NS1_11comp_targetILNS1_3genE3ELNS1_11target_archE908ELNS1_3gpuE7ELNS1_3repE0EEENS1_30default_config_static_selectorELNS0_4arch9wavefront6targetE0EEEvT1_
    .private_segment_fixed_size: 0
    .sgpr_count:     0
    .sgpr_spill_count: 0
    .symbol:         _ZN7rocprim17ROCPRIM_400000_NS6detail17trampoline_kernelINS0_14default_configENS1_25transform_config_selectorItLb0EEEZNS1_14transform_implILb0ES3_S5_PtN6thrust23THRUST_200600_302600_NS6detail15normal_iteratorINS9_10device_ptrItEEEENS0_8identityItEEEE10hipError_tT2_T3_mT4_P12ihipStream_tbEUlT_E_NS1_11comp_targetILNS1_3genE3ELNS1_11target_archE908ELNS1_3gpuE7ELNS1_3repE0EEENS1_30default_config_static_selectorELNS0_4arch9wavefront6targetE0EEEvT1_.kd
    .uniform_work_group_size: 1
    .uses_dynamic_stack: false
    .vgpr_count:     0
    .vgpr_spill_count: 0
    .wavefront_size: 32
    .workgroup_processor_mode: 1
  - .args:
      - .offset:         0
        .size:           40
        .value_kind:     by_value
    .group_segment_fixed_size: 0
    .kernarg_segment_align: 8
    .kernarg_segment_size: 40
    .language:       OpenCL C
    .language_version:
      - 2
      - 0
    .max_flat_workgroup_size: 512
    .name:           _ZN7rocprim17ROCPRIM_400000_NS6detail17trampoline_kernelINS0_14default_configENS1_25transform_config_selectorItLb0EEEZNS1_14transform_implILb0ES3_S5_PtN6thrust23THRUST_200600_302600_NS6detail15normal_iteratorINS9_10device_ptrItEEEENS0_8identityItEEEE10hipError_tT2_T3_mT4_P12ihipStream_tbEUlT_E_NS1_11comp_targetILNS1_3genE2ELNS1_11target_archE906ELNS1_3gpuE6ELNS1_3repE0EEENS1_30default_config_static_selectorELNS0_4arch9wavefront6targetE0EEEvT1_
    .private_segment_fixed_size: 0
    .sgpr_count:     0
    .sgpr_spill_count: 0
    .symbol:         _ZN7rocprim17ROCPRIM_400000_NS6detail17trampoline_kernelINS0_14default_configENS1_25transform_config_selectorItLb0EEEZNS1_14transform_implILb0ES3_S5_PtN6thrust23THRUST_200600_302600_NS6detail15normal_iteratorINS9_10device_ptrItEEEENS0_8identityItEEEE10hipError_tT2_T3_mT4_P12ihipStream_tbEUlT_E_NS1_11comp_targetILNS1_3genE2ELNS1_11target_archE906ELNS1_3gpuE6ELNS1_3repE0EEENS1_30default_config_static_selectorELNS0_4arch9wavefront6targetE0EEEvT1_.kd
    .uniform_work_group_size: 1
    .uses_dynamic_stack: false
    .vgpr_count:     0
    .vgpr_spill_count: 0
    .wavefront_size: 32
    .workgroup_processor_mode: 1
  - .args:
      - .offset:         0
        .size:           40
        .value_kind:     by_value
    .group_segment_fixed_size: 0
    .kernarg_segment_align: 8
    .kernarg_segment_size: 40
    .language:       OpenCL C
    .language_version:
      - 2
      - 0
    .max_flat_workgroup_size: 1024
    .name:           _ZN7rocprim17ROCPRIM_400000_NS6detail17trampoline_kernelINS0_14default_configENS1_25transform_config_selectorItLb0EEEZNS1_14transform_implILb0ES3_S5_PtN6thrust23THRUST_200600_302600_NS6detail15normal_iteratorINS9_10device_ptrItEEEENS0_8identityItEEEE10hipError_tT2_T3_mT4_P12ihipStream_tbEUlT_E_NS1_11comp_targetILNS1_3genE10ELNS1_11target_archE1201ELNS1_3gpuE5ELNS1_3repE0EEENS1_30default_config_static_selectorELNS0_4arch9wavefront6targetE0EEEvT1_
    .private_segment_fixed_size: 0
    .sgpr_count:     0
    .sgpr_spill_count: 0
    .symbol:         _ZN7rocprim17ROCPRIM_400000_NS6detail17trampoline_kernelINS0_14default_configENS1_25transform_config_selectorItLb0EEEZNS1_14transform_implILb0ES3_S5_PtN6thrust23THRUST_200600_302600_NS6detail15normal_iteratorINS9_10device_ptrItEEEENS0_8identityItEEEE10hipError_tT2_T3_mT4_P12ihipStream_tbEUlT_E_NS1_11comp_targetILNS1_3genE10ELNS1_11target_archE1201ELNS1_3gpuE5ELNS1_3repE0EEENS1_30default_config_static_selectorELNS0_4arch9wavefront6targetE0EEEvT1_.kd
    .uniform_work_group_size: 1
    .uses_dynamic_stack: false
    .vgpr_count:     0
    .vgpr_spill_count: 0
    .wavefront_size: 32
    .workgroup_processor_mode: 1
  - .args:
      - .offset:         0
        .size:           40
        .value_kind:     by_value
    .group_segment_fixed_size: 0
    .kernarg_segment_align: 8
    .kernarg_segment_size: 40
    .language:       OpenCL C
    .language_version:
      - 2
      - 0
    .max_flat_workgroup_size: 512
    .name:           _ZN7rocprim17ROCPRIM_400000_NS6detail17trampoline_kernelINS0_14default_configENS1_25transform_config_selectorItLb0EEEZNS1_14transform_implILb0ES3_S5_PtN6thrust23THRUST_200600_302600_NS6detail15normal_iteratorINS9_10device_ptrItEEEENS0_8identityItEEEE10hipError_tT2_T3_mT4_P12ihipStream_tbEUlT_E_NS1_11comp_targetILNS1_3genE10ELNS1_11target_archE1200ELNS1_3gpuE4ELNS1_3repE0EEENS1_30default_config_static_selectorELNS0_4arch9wavefront6targetE0EEEvT1_
    .private_segment_fixed_size: 0
    .sgpr_count:     0
    .sgpr_spill_count: 0
    .symbol:         _ZN7rocprim17ROCPRIM_400000_NS6detail17trampoline_kernelINS0_14default_configENS1_25transform_config_selectorItLb0EEEZNS1_14transform_implILb0ES3_S5_PtN6thrust23THRUST_200600_302600_NS6detail15normal_iteratorINS9_10device_ptrItEEEENS0_8identityItEEEE10hipError_tT2_T3_mT4_P12ihipStream_tbEUlT_E_NS1_11comp_targetILNS1_3genE10ELNS1_11target_archE1200ELNS1_3gpuE4ELNS1_3repE0EEENS1_30default_config_static_selectorELNS0_4arch9wavefront6targetE0EEEvT1_.kd
    .uniform_work_group_size: 1
    .uses_dynamic_stack: false
    .vgpr_count:     0
    .vgpr_spill_count: 0
    .wavefront_size: 32
    .workgroup_processor_mode: 1
  - .args:
      - .offset:         0
        .size:           40
        .value_kind:     by_value
    .group_segment_fixed_size: 0
    .kernarg_segment_align: 8
    .kernarg_segment_size: 40
    .language:       OpenCL C
    .language_version:
      - 2
      - 0
    .max_flat_workgroup_size: 1024
    .name:           _ZN7rocprim17ROCPRIM_400000_NS6detail17trampoline_kernelINS0_14default_configENS1_25transform_config_selectorItLb0EEEZNS1_14transform_implILb0ES3_S5_PtN6thrust23THRUST_200600_302600_NS6detail15normal_iteratorINS9_10device_ptrItEEEENS0_8identityItEEEE10hipError_tT2_T3_mT4_P12ihipStream_tbEUlT_E_NS1_11comp_targetILNS1_3genE9ELNS1_11target_archE1100ELNS1_3gpuE3ELNS1_3repE0EEENS1_30default_config_static_selectorELNS0_4arch9wavefront6targetE0EEEvT1_
    .private_segment_fixed_size: 0
    .sgpr_count:     0
    .sgpr_spill_count: 0
    .symbol:         _ZN7rocprim17ROCPRIM_400000_NS6detail17trampoline_kernelINS0_14default_configENS1_25transform_config_selectorItLb0EEEZNS1_14transform_implILb0ES3_S5_PtN6thrust23THRUST_200600_302600_NS6detail15normal_iteratorINS9_10device_ptrItEEEENS0_8identityItEEEE10hipError_tT2_T3_mT4_P12ihipStream_tbEUlT_E_NS1_11comp_targetILNS1_3genE9ELNS1_11target_archE1100ELNS1_3gpuE3ELNS1_3repE0EEENS1_30default_config_static_selectorELNS0_4arch9wavefront6targetE0EEEvT1_.kd
    .uniform_work_group_size: 1
    .uses_dynamic_stack: false
    .vgpr_count:     0
    .vgpr_spill_count: 0
    .wavefront_size: 32
    .workgroup_processor_mode: 1
  - .args:
      - .offset:         0
        .size:           40
        .value_kind:     by_value
      - .offset:         40
        .size:           4
        .value_kind:     hidden_block_count_x
      - .offset:         44
        .size:           4
        .value_kind:     hidden_block_count_y
      - .offset:         48
        .size:           4
        .value_kind:     hidden_block_count_z
      - .offset:         52
        .size:           2
        .value_kind:     hidden_group_size_x
      - .offset:         54
        .size:           2
        .value_kind:     hidden_group_size_y
      - .offset:         56
        .size:           2
        .value_kind:     hidden_group_size_z
      - .offset:         58
        .size:           2
        .value_kind:     hidden_remainder_x
      - .offset:         60
        .size:           2
        .value_kind:     hidden_remainder_y
      - .offset:         62
        .size:           2
        .value_kind:     hidden_remainder_z
      - .offset:         80
        .size:           8
        .value_kind:     hidden_global_offset_x
      - .offset:         88
        .size:           8
        .value_kind:     hidden_global_offset_y
      - .offset:         96
        .size:           8
        .value_kind:     hidden_global_offset_z
      - .offset:         104
        .size:           2
        .value_kind:     hidden_grid_dims
    .group_segment_fixed_size: 0
    .kernarg_segment_align: 8
    .kernarg_segment_size: 296
    .language:       OpenCL C
    .language_version:
      - 2
      - 0
    .max_flat_workgroup_size: 1024
    .name:           _ZN7rocprim17ROCPRIM_400000_NS6detail17trampoline_kernelINS0_14default_configENS1_25transform_config_selectorItLb0EEEZNS1_14transform_implILb0ES3_S5_PtN6thrust23THRUST_200600_302600_NS6detail15normal_iteratorINS9_10device_ptrItEEEENS0_8identityItEEEE10hipError_tT2_T3_mT4_P12ihipStream_tbEUlT_E_NS1_11comp_targetILNS1_3genE8ELNS1_11target_archE1030ELNS1_3gpuE2ELNS1_3repE0EEENS1_30default_config_static_selectorELNS0_4arch9wavefront6targetE0EEEvT1_
    .private_segment_fixed_size: 0
    .sgpr_count:     14
    .sgpr_spill_count: 0
    .symbol:         _ZN7rocprim17ROCPRIM_400000_NS6detail17trampoline_kernelINS0_14default_configENS1_25transform_config_selectorItLb0EEEZNS1_14transform_implILb0ES3_S5_PtN6thrust23THRUST_200600_302600_NS6detail15normal_iteratorINS9_10device_ptrItEEEENS0_8identityItEEEE10hipError_tT2_T3_mT4_P12ihipStream_tbEUlT_E_NS1_11comp_targetILNS1_3genE8ELNS1_11target_archE1030ELNS1_3gpuE2ELNS1_3repE0EEENS1_30default_config_static_selectorELNS0_4arch9wavefront6targetE0EEEvT1_.kd
    .uniform_work_group_size: 1
    .uses_dynamic_stack: false
    .vgpr_count:     3
    .vgpr_spill_count: 0
    .wavefront_size: 32
    .workgroup_processor_mode: 1
  - .args:
      - .offset:         0
        .size:           104
        .value_kind:     by_value
    .group_segment_fixed_size: 0
    .kernarg_segment_align: 8
    .kernarg_segment_size: 104
    .language:       OpenCL C
    .language_version:
      - 2
      - 0
    .max_flat_workgroup_size: 128
    .name:           _ZN7rocprim17ROCPRIM_400000_NS6detail17trampoline_kernelINS0_14default_configENS1_22reduce_config_selectorIN6thrust23THRUST_200600_302600_NS5tupleIblNS6_9null_typeES8_S8_S8_S8_S8_S8_S8_EEEEZNS1_11reduce_implILb1ES3_NS6_12zip_iteratorINS7_INS6_11hip_rocprim26transform_input_iterator_tIbNSD_35transform_pair_of_input_iterators_tIbNS6_6detail15normal_iteratorINS6_10device_ptrIKtEEEESL_NS6_8equal_toItEEEENSG_9not_fun_tINSD_8identityEEEEENSD_19counting_iterator_tIlEES8_S8_S8_S8_S8_S8_S8_S8_EEEEPS9_S9_NSD_9__find_if7functorIS9_EEEE10hipError_tPvRmT1_T2_T3_mT4_P12ihipStream_tbEUlT_E0_NS1_11comp_targetILNS1_3genE0ELNS1_11target_archE4294967295ELNS1_3gpuE0ELNS1_3repE0EEENS1_30default_config_static_selectorELNS0_4arch9wavefront6targetE0EEEvS14_
    .private_segment_fixed_size: 0
    .sgpr_count:     0
    .sgpr_spill_count: 0
    .symbol:         _ZN7rocprim17ROCPRIM_400000_NS6detail17trampoline_kernelINS0_14default_configENS1_22reduce_config_selectorIN6thrust23THRUST_200600_302600_NS5tupleIblNS6_9null_typeES8_S8_S8_S8_S8_S8_S8_EEEEZNS1_11reduce_implILb1ES3_NS6_12zip_iteratorINS7_INS6_11hip_rocprim26transform_input_iterator_tIbNSD_35transform_pair_of_input_iterators_tIbNS6_6detail15normal_iteratorINS6_10device_ptrIKtEEEESL_NS6_8equal_toItEEEENSG_9not_fun_tINSD_8identityEEEEENSD_19counting_iterator_tIlEES8_S8_S8_S8_S8_S8_S8_S8_EEEEPS9_S9_NSD_9__find_if7functorIS9_EEEE10hipError_tPvRmT1_T2_T3_mT4_P12ihipStream_tbEUlT_E0_NS1_11comp_targetILNS1_3genE0ELNS1_11target_archE4294967295ELNS1_3gpuE0ELNS1_3repE0EEENS1_30default_config_static_selectorELNS0_4arch9wavefront6targetE0EEEvS14_.kd
    .uniform_work_group_size: 1
    .uses_dynamic_stack: false
    .vgpr_count:     0
    .vgpr_spill_count: 0
    .wavefront_size: 32
    .workgroup_processor_mode: 1
  - .args:
      - .offset:         0
        .size:           104
        .value_kind:     by_value
    .group_segment_fixed_size: 0
    .kernarg_segment_align: 8
    .kernarg_segment_size: 104
    .language:       OpenCL C
    .language_version:
      - 2
      - 0
    .max_flat_workgroup_size: 256
    .name:           _ZN7rocprim17ROCPRIM_400000_NS6detail17trampoline_kernelINS0_14default_configENS1_22reduce_config_selectorIN6thrust23THRUST_200600_302600_NS5tupleIblNS6_9null_typeES8_S8_S8_S8_S8_S8_S8_EEEEZNS1_11reduce_implILb1ES3_NS6_12zip_iteratorINS7_INS6_11hip_rocprim26transform_input_iterator_tIbNSD_35transform_pair_of_input_iterators_tIbNS6_6detail15normal_iteratorINS6_10device_ptrIKtEEEESL_NS6_8equal_toItEEEENSG_9not_fun_tINSD_8identityEEEEENSD_19counting_iterator_tIlEES8_S8_S8_S8_S8_S8_S8_S8_EEEEPS9_S9_NSD_9__find_if7functorIS9_EEEE10hipError_tPvRmT1_T2_T3_mT4_P12ihipStream_tbEUlT_E0_NS1_11comp_targetILNS1_3genE5ELNS1_11target_archE942ELNS1_3gpuE9ELNS1_3repE0EEENS1_30default_config_static_selectorELNS0_4arch9wavefront6targetE0EEEvS14_
    .private_segment_fixed_size: 0
    .sgpr_count:     0
    .sgpr_spill_count: 0
    .symbol:         _ZN7rocprim17ROCPRIM_400000_NS6detail17trampoline_kernelINS0_14default_configENS1_22reduce_config_selectorIN6thrust23THRUST_200600_302600_NS5tupleIblNS6_9null_typeES8_S8_S8_S8_S8_S8_S8_EEEEZNS1_11reduce_implILb1ES3_NS6_12zip_iteratorINS7_INS6_11hip_rocprim26transform_input_iterator_tIbNSD_35transform_pair_of_input_iterators_tIbNS6_6detail15normal_iteratorINS6_10device_ptrIKtEEEESL_NS6_8equal_toItEEEENSG_9not_fun_tINSD_8identityEEEEENSD_19counting_iterator_tIlEES8_S8_S8_S8_S8_S8_S8_S8_EEEEPS9_S9_NSD_9__find_if7functorIS9_EEEE10hipError_tPvRmT1_T2_T3_mT4_P12ihipStream_tbEUlT_E0_NS1_11comp_targetILNS1_3genE5ELNS1_11target_archE942ELNS1_3gpuE9ELNS1_3repE0EEENS1_30default_config_static_selectorELNS0_4arch9wavefront6targetE0EEEvS14_.kd
    .uniform_work_group_size: 1
    .uses_dynamic_stack: false
    .vgpr_count:     0
    .vgpr_spill_count: 0
    .wavefront_size: 32
    .workgroup_processor_mode: 1
  - .args:
      - .offset:         0
        .size:           104
        .value_kind:     by_value
    .group_segment_fixed_size: 0
    .kernarg_segment_align: 8
    .kernarg_segment_size: 104
    .language:       OpenCL C
    .language_version:
      - 2
      - 0
    .max_flat_workgroup_size: 256
    .name:           _ZN7rocprim17ROCPRIM_400000_NS6detail17trampoline_kernelINS0_14default_configENS1_22reduce_config_selectorIN6thrust23THRUST_200600_302600_NS5tupleIblNS6_9null_typeES8_S8_S8_S8_S8_S8_S8_EEEEZNS1_11reduce_implILb1ES3_NS6_12zip_iteratorINS7_INS6_11hip_rocprim26transform_input_iterator_tIbNSD_35transform_pair_of_input_iterators_tIbNS6_6detail15normal_iteratorINS6_10device_ptrIKtEEEESL_NS6_8equal_toItEEEENSG_9not_fun_tINSD_8identityEEEEENSD_19counting_iterator_tIlEES8_S8_S8_S8_S8_S8_S8_S8_EEEEPS9_S9_NSD_9__find_if7functorIS9_EEEE10hipError_tPvRmT1_T2_T3_mT4_P12ihipStream_tbEUlT_E0_NS1_11comp_targetILNS1_3genE4ELNS1_11target_archE910ELNS1_3gpuE8ELNS1_3repE0EEENS1_30default_config_static_selectorELNS0_4arch9wavefront6targetE0EEEvS14_
    .private_segment_fixed_size: 0
    .sgpr_count:     0
    .sgpr_spill_count: 0
    .symbol:         _ZN7rocprim17ROCPRIM_400000_NS6detail17trampoline_kernelINS0_14default_configENS1_22reduce_config_selectorIN6thrust23THRUST_200600_302600_NS5tupleIblNS6_9null_typeES8_S8_S8_S8_S8_S8_S8_EEEEZNS1_11reduce_implILb1ES3_NS6_12zip_iteratorINS7_INS6_11hip_rocprim26transform_input_iterator_tIbNSD_35transform_pair_of_input_iterators_tIbNS6_6detail15normal_iteratorINS6_10device_ptrIKtEEEESL_NS6_8equal_toItEEEENSG_9not_fun_tINSD_8identityEEEEENSD_19counting_iterator_tIlEES8_S8_S8_S8_S8_S8_S8_S8_EEEEPS9_S9_NSD_9__find_if7functorIS9_EEEE10hipError_tPvRmT1_T2_T3_mT4_P12ihipStream_tbEUlT_E0_NS1_11comp_targetILNS1_3genE4ELNS1_11target_archE910ELNS1_3gpuE8ELNS1_3repE0EEENS1_30default_config_static_selectorELNS0_4arch9wavefront6targetE0EEEvS14_.kd
    .uniform_work_group_size: 1
    .uses_dynamic_stack: false
    .vgpr_count:     0
    .vgpr_spill_count: 0
    .wavefront_size: 32
    .workgroup_processor_mode: 1
  - .args:
      - .offset:         0
        .size:           104
        .value_kind:     by_value
    .group_segment_fixed_size: 0
    .kernarg_segment_align: 8
    .kernarg_segment_size: 104
    .language:       OpenCL C
    .language_version:
      - 2
      - 0
    .max_flat_workgroup_size: 128
    .name:           _ZN7rocprim17ROCPRIM_400000_NS6detail17trampoline_kernelINS0_14default_configENS1_22reduce_config_selectorIN6thrust23THRUST_200600_302600_NS5tupleIblNS6_9null_typeES8_S8_S8_S8_S8_S8_S8_EEEEZNS1_11reduce_implILb1ES3_NS6_12zip_iteratorINS7_INS6_11hip_rocprim26transform_input_iterator_tIbNSD_35transform_pair_of_input_iterators_tIbNS6_6detail15normal_iteratorINS6_10device_ptrIKtEEEESL_NS6_8equal_toItEEEENSG_9not_fun_tINSD_8identityEEEEENSD_19counting_iterator_tIlEES8_S8_S8_S8_S8_S8_S8_S8_EEEEPS9_S9_NSD_9__find_if7functorIS9_EEEE10hipError_tPvRmT1_T2_T3_mT4_P12ihipStream_tbEUlT_E0_NS1_11comp_targetILNS1_3genE3ELNS1_11target_archE908ELNS1_3gpuE7ELNS1_3repE0EEENS1_30default_config_static_selectorELNS0_4arch9wavefront6targetE0EEEvS14_
    .private_segment_fixed_size: 0
    .sgpr_count:     0
    .sgpr_spill_count: 0
    .symbol:         _ZN7rocprim17ROCPRIM_400000_NS6detail17trampoline_kernelINS0_14default_configENS1_22reduce_config_selectorIN6thrust23THRUST_200600_302600_NS5tupleIblNS6_9null_typeES8_S8_S8_S8_S8_S8_S8_EEEEZNS1_11reduce_implILb1ES3_NS6_12zip_iteratorINS7_INS6_11hip_rocprim26transform_input_iterator_tIbNSD_35transform_pair_of_input_iterators_tIbNS6_6detail15normal_iteratorINS6_10device_ptrIKtEEEESL_NS6_8equal_toItEEEENSG_9not_fun_tINSD_8identityEEEEENSD_19counting_iterator_tIlEES8_S8_S8_S8_S8_S8_S8_S8_EEEEPS9_S9_NSD_9__find_if7functorIS9_EEEE10hipError_tPvRmT1_T2_T3_mT4_P12ihipStream_tbEUlT_E0_NS1_11comp_targetILNS1_3genE3ELNS1_11target_archE908ELNS1_3gpuE7ELNS1_3repE0EEENS1_30default_config_static_selectorELNS0_4arch9wavefront6targetE0EEEvS14_.kd
    .uniform_work_group_size: 1
    .uses_dynamic_stack: false
    .vgpr_count:     0
    .vgpr_spill_count: 0
    .wavefront_size: 32
    .workgroup_processor_mode: 1
  - .args:
      - .offset:         0
        .size:           104
        .value_kind:     by_value
    .group_segment_fixed_size: 0
    .kernarg_segment_align: 8
    .kernarg_segment_size: 104
    .language:       OpenCL C
    .language_version:
      - 2
      - 0
    .max_flat_workgroup_size: 128
    .name:           _ZN7rocprim17ROCPRIM_400000_NS6detail17trampoline_kernelINS0_14default_configENS1_22reduce_config_selectorIN6thrust23THRUST_200600_302600_NS5tupleIblNS6_9null_typeES8_S8_S8_S8_S8_S8_S8_EEEEZNS1_11reduce_implILb1ES3_NS6_12zip_iteratorINS7_INS6_11hip_rocprim26transform_input_iterator_tIbNSD_35transform_pair_of_input_iterators_tIbNS6_6detail15normal_iteratorINS6_10device_ptrIKtEEEESL_NS6_8equal_toItEEEENSG_9not_fun_tINSD_8identityEEEEENSD_19counting_iterator_tIlEES8_S8_S8_S8_S8_S8_S8_S8_EEEEPS9_S9_NSD_9__find_if7functorIS9_EEEE10hipError_tPvRmT1_T2_T3_mT4_P12ihipStream_tbEUlT_E0_NS1_11comp_targetILNS1_3genE2ELNS1_11target_archE906ELNS1_3gpuE6ELNS1_3repE0EEENS1_30default_config_static_selectorELNS0_4arch9wavefront6targetE0EEEvS14_
    .private_segment_fixed_size: 0
    .sgpr_count:     0
    .sgpr_spill_count: 0
    .symbol:         _ZN7rocprim17ROCPRIM_400000_NS6detail17trampoline_kernelINS0_14default_configENS1_22reduce_config_selectorIN6thrust23THRUST_200600_302600_NS5tupleIblNS6_9null_typeES8_S8_S8_S8_S8_S8_S8_EEEEZNS1_11reduce_implILb1ES3_NS6_12zip_iteratorINS7_INS6_11hip_rocprim26transform_input_iterator_tIbNSD_35transform_pair_of_input_iterators_tIbNS6_6detail15normal_iteratorINS6_10device_ptrIKtEEEESL_NS6_8equal_toItEEEENSG_9not_fun_tINSD_8identityEEEEENSD_19counting_iterator_tIlEES8_S8_S8_S8_S8_S8_S8_S8_EEEEPS9_S9_NSD_9__find_if7functorIS9_EEEE10hipError_tPvRmT1_T2_T3_mT4_P12ihipStream_tbEUlT_E0_NS1_11comp_targetILNS1_3genE2ELNS1_11target_archE906ELNS1_3gpuE6ELNS1_3repE0EEENS1_30default_config_static_selectorELNS0_4arch9wavefront6targetE0EEEvS14_.kd
    .uniform_work_group_size: 1
    .uses_dynamic_stack: false
    .vgpr_count:     0
    .vgpr_spill_count: 0
    .wavefront_size: 32
    .workgroup_processor_mode: 1
  - .args:
      - .offset:         0
        .size:           104
        .value_kind:     by_value
    .group_segment_fixed_size: 0
    .kernarg_segment_align: 8
    .kernarg_segment_size: 104
    .language:       OpenCL C
    .language_version:
      - 2
      - 0
    .max_flat_workgroup_size: 256
    .name:           _ZN7rocprim17ROCPRIM_400000_NS6detail17trampoline_kernelINS0_14default_configENS1_22reduce_config_selectorIN6thrust23THRUST_200600_302600_NS5tupleIblNS6_9null_typeES8_S8_S8_S8_S8_S8_S8_EEEEZNS1_11reduce_implILb1ES3_NS6_12zip_iteratorINS7_INS6_11hip_rocprim26transform_input_iterator_tIbNSD_35transform_pair_of_input_iterators_tIbNS6_6detail15normal_iteratorINS6_10device_ptrIKtEEEESL_NS6_8equal_toItEEEENSG_9not_fun_tINSD_8identityEEEEENSD_19counting_iterator_tIlEES8_S8_S8_S8_S8_S8_S8_S8_EEEEPS9_S9_NSD_9__find_if7functorIS9_EEEE10hipError_tPvRmT1_T2_T3_mT4_P12ihipStream_tbEUlT_E0_NS1_11comp_targetILNS1_3genE10ELNS1_11target_archE1201ELNS1_3gpuE5ELNS1_3repE0EEENS1_30default_config_static_selectorELNS0_4arch9wavefront6targetE0EEEvS14_
    .private_segment_fixed_size: 0
    .sgpr_count:     0
    .sgpr_spill_count: 0
    .symbol:         _ZN7rocprim17ROCPRIM_400000_NS6detail17trampoline_kernelINS0_14default_configENS1_22reduce_config_selectorIN6thrust23THRUST_200600_302600_NS5tupleIblNS6_9null_typeES8_S8_S8_S8_S8_S8_S8_EEEEZNS1_11reduce_implILb1ES3_NS6_12zip_iteratorINS7_INS6_11hip_rocprim26transform_input_iterator_tIbNSD_35transform_pair_of_input_iterators_tIbNS6_6detail15normal_iteratorINS6_10device_ptrIKtEEEESL_NS6_8equal_toItEEEENSG_9not_fun_tINSD_8identityEEEEENSD_19counting_iterator_tIlEES8_S8_S8_S8_S8_S8_S8_S8_EEEEPS9_S9_NSD_9__find_if7functorIS9_EEEE10hipError_tPvRmT1_T2_T3_mT4_P12ihipStream_tbEUlT_E0_NS1_11comp_targetILNS1_3genE10ELNS1_11target_archE1201ELNS1_3gpuE5ELNS1_3repE0EEENS1_30default_config_static_selectorELNS0_4arch9wavefront6targetE0EEEvS14_.kd
    .uniform_work_group_size: 1
    .uses_dynamic_stack: false
    .vgpr_count:     0
    .vgpr_spill_count: 0
    .wavefront_size: 32
    .workgroup_processor_mode: 1
  - .args:
      - .offset:         0
        .size:           104
        .value_kind:     by_value
    .group_segment_fixed_size: 0
    .kernarg_segment_align: 8
    .kernarg_segment_size: 104
    .language:       OpenCL C
    .language_version:
      - 2
      - 0
    .max_flat_workgroup_size: 256
    .name:           _ZN7rocprim17ROCPRIM_400000_NS6detail17trampoline_kernelINS0_14default_configENS1_22reduce_config_selectorIN6thrust23THRUST_200600_302600_NS5tupleIblNS6_9null_typeES8_S8_S8_S8_S8_S8_S8_EEEEZNS1_11reduce_implILb1ES3_NS6_12zip_iteratorINS7_INS6_11hip_rocprim26transform_input_iterator_tIbNSD_35transform_pair_of_input_iterators_tIbNS6_6detail15normal_iteratorINS6_10device_ptrIKtEEEESL_NS6_8equal_toItEEEENSG_9not_fun_tINSD_8identityEEEEENSD_19counting_iterator_tIlEES8_S8_S8_S8_S8_S8_S8_S8_EEEEPS9_S9_NSD_9__find_if7functorIS9_EEEE10hipError_tPvRmT1_T2_T3_mT4_P12ihipStream_tbEUlT_E0_NS1_11comp_targetILNS1_3genE10ELNS1_11target_archE1200ELNS1_3gpuE4ELNS1_3repE0EEENS1_30default_config_static_selectorELNS0_4arch9wavefront6targetE0EEEvS14_
    .private_segment_fixed_size: 0
    .sgpr_count:     0
    .sgpr_spill_count: 0
    .symbol:         _ZN7rocprim17ROCPRIM_400000_NS6detail17trampoline_kernelINS0_14default_configENS1_22reduce_config_selectorIN6thrust23THRUST_200600_302600_NS5tupleIblNS6_9null_typeES8_S8_S8_S8_S8_S8_S8_EEEEZNS1_11reduce_implILb1ES3_NS6_12zip_iteratorINS7_INS6_11hip_rocprim26transform_input_iterator_tIbNSD_35transform_pair_of_input_iterators_tIbNS6_6detail15normal_iteratorINS6_10device_ptrIKtEEEESL_NS6_8equal_toItEEEENSG_9not_fun_tINSD_8identityEEEEENSD_19counting_iterator_tIlEES8_S8_S8_S8_S8_S8_S8_S8_EEEEPS9_S9_NSD_9__find_if7functorIS9_EEEE10hipError_tPvRmT1_T2_T3_mT4_P12ihipStream_tbEUlT_E0_NS1_11comp_targetILNS1_3genE10ELNS1_11target_archE1200ELNS1_3gpuE4ELNS1_3repE0EEENS1_30default_config_static_selectorELNS0_4arch9wavefront6targetE0EEEvS14_.kd
    .uniform_work_group_size: 1
    .uses_dynamic_stack: false
    .vgpr_count:     0
    .vgpr_spill_count: 0
    .wavefront_size: 32
    .workgroup_processor_mode: 1
  - .args:
      - .offset:         0
        .size:           104
        .value_kind:     by_value
    .group_segment_fixed_size: 0
    .kernarg_segment_align: 8
    .kernarg_segment_size: 104
    .language:       OpenCL C
    .language_version:
      - 2
      - 0
    .max_flat_workgroup_size: 256
    .name:           _ZN7rocprim17ROCPRIM_400000_NS6detail17trampoline_kernelINS0_14default_configENS1_22reduce_config_selectorIN6thrust23THRUST_200600_302600_NS5tupleIblNS6_9null_typeES8_S8_S8_S8_S8_S8_S8_EEEEZNS1_11reduce_implILb1ES3_NS6_12zip_iteratorINS7_INS6_11hip_rocprim26transform_input_iterator_tIbNSD_35transform_pair_of_input_iterators_tIbNS6_6detail15normal_iteratorINS6_10device_ptrIKtEEEESL_NS6_8equal_toItEEEENSG_9not_fun_tINSD_8identityEEEEENSD_19counting_iterator_tIlEES8_S8_S8_S8_S8_S8_S8_S8_EEEEPS9_S9_NSD_9__find_if7functorIS9_EEEE10hipError_tPvRmT1_T2_T3_mT4_P12ihipStream_tbEUlT_E0_NS1_11comp_targetILNS1_3genE9ELNS1_11target_archE1100ELNS1_3gpuE3ELNS1_3repE0EEENS1_30default_config_static_selectorELNS0_4arch9wavefront6targetE0EEEvS14_
    .private_segment_fixed_size: 0
    .sgpr_count:     0
    .sgpr_spill_count: 0
    .symbol:         _ZN7rocprim17ROCPRIM_400000_NS6detail17trampoline_kernelINS0_14default_configENS1_22reduce_config_selectorIN6thrust23THRUST_200600_302600_NS5tupleIblNS6_9null_typeES8_S8_S8_S8_S8_S8_S8_EEEEZNS1_11reduce_implILb1ES3_NS6_12zip_iteratorINS7_INS6_11hip_rocprim26transform_input_iterator_tIbNSD_35transform_pair_of_input_iterators_tIbNS6_6detail15normal_iteratorINS6_10device_ptrIKtEEEESL_NS6_8equal_toItEEEENSG_9not_fun_tINSD_8identityEEEEENSD_19counting_iterator_tIlEES8_S8_S8_S8_S8_S8_S8_S8_EEEEPS9_S9_NSD_9__find_if7functorIS9_EEEE10hipError_tPvRmT1_T2_T3_mT4_P12ihipStream_tbEUlT_E0_NS1_11comp_targetILNS1_3genE9ELNS1_11target_archE1100ELNS1_3gpuE3ELNS1_3repE0EEENS1_30default_config_static_selectorELNS0_4arch9wavefront6targetE0EEEvS14_.kd
    .uniform_work_group_size: 1
    .uses_dynamic_stack: false
    .vgpr_count:     0
    .vgpr_spill_count: 0
    .wavefront_size: 32
    .workgroup_processor_mode: 1
  - .args:
      - .offset:         0
        .size:           104
        .value_kind:     by_value
    .group_segment_fixed_size: 256
    .kernarg_segment_align: 8
    .kernarg_segment_size: 104
    .language:       OpenCL C
    .language_version:
      - 2
      - 0
    .max_flat_workgroup_size: 256
    .name:           _ZN7rocprim17ROCPRIM_400000_NS6detail17trampoline_kernelINS0_14default_configENS1_22reduce_config_selectorIN6thrust23THRUST_200600_302600_NS5tupleIblNS6_9null_typeES8_S8_S8_S8_S8_S8_S8_EEEEZNS1_11reduce_implILb1ES3_NS6_12zip_iteratorINS7_INS6_11hip_rocprim26transform_input_iterator_tIbNSD_35transform_pair_of_input_iterators_tIbNS6_6detail15normal_iteratorINS6_10device_ptrIKtEEEESL_NS6_8equal_toItEEEENSG_9not_fun_tINSD_8identityEEEEENSD_19counting_iterator_tIlEES8_S8_S8_S8_S8_S8_S8_S8_EEEEPS9_S9_NSD_9__find_if7functorIS9_EEEE10hipError_tPvRmT1_T2_T3_mT4_P12ihipStream_tbEUlT_E0_NS1_11comp_targetILNS1_3genE8ELNS1_11target_archE1030ELNS1_3gpuE2ELNS1_3repE0EEENS1_30default_config_static_selectorELNS0_4arch9wavefront6targetE0EEEvS14_
    .private_segment_fixed_size: 0
    .sgpr_count:     30
    .sgpr_spill_count: 0
    .symbol:         _ZN7rocprim17ROCPRIM_400000_NS6detail17trampoline_kernelINS0_14default_configENS1_22reduce_config_selectorIN6thrust23THRUST_200600_302600_NS5tupleIblNS6_9null_typeES8_S8_S8_S8_S8_S8_S8_EEEEZNS1_11reduce_implILb1ES3_NS6_12zip_iteratorINS7_INS6_11hip_rocprim26transform_input_iterator_tIbNSD_35transform_pair_of_input_iterators_tIbNS6_6detail15normal_iteratorINS6_10device_ptrIKtEEEESL_NS6_8equal_toItEEEENSG_9not_fun_tINSD_8identityEEEEENSD_19counting_iterator_tIlEES8_S8_S8_S8_S8_S8_S8_S8_EEEEPS9_S9_NSD_9__find_if7functorIS9_EEEE10hipError_tPvRmT1_T2_T3_mT4_P12ihipStream_tbEUlT_E0_NS1_11comp_targetILNS1_3genE8ELNS1_11target_archE1030ELNS1_3gpuE2ELNS1_3repE0EEENS1_30default_config_static_selectorELNS0_4arch9wavefront6targetE0EEEvS14_.kd
    .uniform_work_group_size: 1
    .uses_dynamic_stack: false
    .vgpr_count:     13
    .vgpr_spill_count: 0
    .wavefront_size: 32
    .workgroup_processor_mode: 1
  - .args:
      - .offset:         0
        .size:           88
        .value_kind:     by_value
    .group_segment_fixed_size: 0
    .kernarg_segment_align: 8
    .kernarg_segment_size: 88
    .language:       OpenCL C
    .language_version:
      - 2
      - 0
    .max_flat_workgroup_size: 128
    .name:           _ZN7rocprim17ROCPRIM_400000_NS6detail17trampoline_kernelINS0_14default_configENS1_22reduce_config_selectorIN6thrust23THRUST_200600_302600_NS5tupleIblNS6_9null_typeES8_S8_S8_S8_S8_S8_S8_EEEEZNS1_11reduce_implILb1ES3_NS6_12zip_iteratorINS7_INS6_11hip_rocprim26transform_input_iterator_tIbNSD_35transform_pair_of_input_iterators_tIbNS6_6detail15normal_iteratorINS6_10device_ptrIKtEEEESL_NS6_8equal_toItEEEENSG_9not_fun_tINSD_8identityEEEEENSD_19counting_iterator_tIlEES8_S8_S8_S8_S8_S8_S8_S8_EEEEPS9_S9_NSD_9__find_if7functorIS9_EEEE10hipError_tPvRmT1_T2_T3_mT4_P12ihipStream_tbEUlT_E1_NS1_11comp_targetILNS1_3genE0ELNS1_11target_archE4294967295ELNS1_3gpuE0ELNS1_3repE0EEENS1_30default_config_static_selectorELNS0_4arch9wavefront6targetE0EEEvS14_
    .private_segment_fixed_size: 0
    .sgpr_count:     0
    .sgpr_spill_count: 0
    .symbol:         _ZN7rocprim17ROCPRIM_400000_NS6detail17trampoline_kernelINS0_14default_configENS1_22reduce_config_selectorIN6thrust23THRUST_200600_302600_NS5tupleIblNS6_9null_typeES8_S8_S8_S8_S8_S8_S8_EEEEZNS1_11reduce_implILb1ES3_NS6_12zip_iteratorINS7_INS6_11hip_rocprim26transform_input_iterator_tIbNSD_35transform_pair_of_input_iterators_tIbNS6_6detail15normal_iteratorINS6_10device_ptrIKtEEEESL_NS6_8equal_toItEEEENSG_9not_fun_tINSD_8identityEEEEENSD_19counting_iterator_tIlEES8_S8_S8_S8_S8_S8_S8_S8_EEEEPS9_S9_NSD_9__find_if7functorIS9_EEEE10hipError_tPvRmT1_T2_T3_mT4_P12ihipStream_tbEUlT_E1_NS1_11comp_targetILNS1_3genE0ELNS1_11target_archE4294967295ELNS1_3gpuE0ELNS1_3repE0EEENS1_30default_config_static_selectorELNS0_4arch9wavefront6targetE0EEEvS14_.kd
    .uniform_work_group_size: 1
    .uses_dynamic_stack: false
    .vgpr_count:     0
    .vgpr_spill_count: 0
    .wavefront_size: 32
    .workgroup_processor_mode: 1
  - .args:
      - .offset:         0
        .size:           88
        .value_kind:     by_value
    .group_segment_fixed_size: 0
    .kernarg_segment_align: 8
    .kernarg_segment_size: 88
    .language:       OpenCL C
    .language_version:
      - 2
      - 0
    .max_flat_workgroup_size: 256
    .name:           _ZN7rocprim17ROCPRIM_400000_NS6detail17trampoline_kernelINS0_14default_configENS1_22reduce_config_selectorIN6thrust23THRUST_200600_302600_NS5tupleIblNS6_9null_typeES8_S8_S8_S8_S8_S8_S8_EEEEZNS1_11reduce_implILb1ES3_NS6_12zip_iteratorINS7_INS6_11hip_rocprim26transform_input_iterator_tIbNSD_35transform_pair_of_input_iterators_tIbNS6_6detail15normal_iteratorINS6_10device_ptrIKtEEEESL_NS6_8equal_toItEEEENSG_9not_fun_tINSD_8identityEEEEENSD_19counting_iterator_tIlEES8_S8_S8_S8_S8_S8_S8_S8_EEEEPS9_S9_NSD_9__find_if7functorIS9_EEEE10hipError_tPvRmT1_T2_T3_mT4_P12ihipStream_tbEUlT_E1_NS1_11comp_targetILNS1_3genE5ELNS1_11target_archE942ELNS1_3gpuE9ELNS1_3repE0EEENS1_30default_config_static_selectorELNS0_4arch9wavefront6targetE0EEEvS14_
    .private_segment_fixed_size: 0
    .sgpr_count:     0
    .sgpr_spill_count: 0
    .symbol:         _ZN7rocprim17ROCPRIM_400000_NS6detail17trampoline_kernelINS0_14default_configENS1_22reduce_config_selectorIN6thrust23THRUST_200600_302600_NS5tupleIblNS6_9null_typeES8_S8_S8_S8_S8_S8_S8_EEEEZNS1_11reduce_implILb1ES3_NS6_12zip_iteratorINS7_INS6_11hip_rocprim26transform_input_iterator_tIbNSD_35transform_pair_of_input_iterators_tIbNS6_6detail15normal_iteratorINS6_10device_ptrIKtEEEESL_NS6_8equal_toItEEEENSG_9not_fun_tINSD_8identityEEEEENSD_19counting_iterator_tIlEES8_S8_S8_S8_S8_S8_S8_S8_EEEEPS9_S9_NSD_9__find_if7functorIS9_EEEE10hipError_tPvRmT1_T2_T3_mT4_P12ihipStream_tbEUlT_E1_NS1_11comp_targetILNS1_3genE5ELNS1_11target_archE942ELNS1_3gpuE9ELNS1_3repE0EEENS1_30default_config_static_selectorELNS0_4arch9wavefront6targetE0EEEvS14_.kd
    .uniform_work_group_size: 1
    .uses_dynamic_stack: false
    .vgpr_count:     0
    .vgpr_spill_count: 0
    .wavefront_size: 32
    .workgroup_processor_mode: 1
  - .args:
      - .offset:         0
        .size:           88
        .value_kind:     by_value
    .group_segment_fixed_size: 0
    .kernarg_segment_align: 8
    .kernarg_segment_size: 88
    .language:       OpenCL C
    .language_version:
      - 2
      - 0
    .max_flat_workgroup_size: 256
    .name:           _ZN7rocprim17ROCPRIM_400000_NS6detail17trampoline_kernelINS0_14default_configENS1_22reduce_config_selectorIN6thrust23THRUST_200600_302600_NS5tupleIblNS6_9null_typeES8_S8_S8_S8_S8_S8_S8_EEEEZNS1_11reduce_implILb1ES3_NS6_12zip_iteratorINS7_INS6_11hip_rocprim26transform_input_iterator_tIbNSD_35transform_pair_of_input_iterators_tIbNS6_6detail15normal_iteratorINS6_10device_ptrIKtEEEESL_NS6_8equal_toItEEEENSG_9not_fun_tINSD_8identityEEEEENSD_19counting_iterator_tIlEES8_S8_S8_S8_S8_S8_S8_S8_EEEEPS9_S9_NSD_9__find_if7functorIS9_EEEE10hipError_tPvRmT1_T2_T3_mT4_P12ihipStream_tbEUlT_E1_NS1_11comp_targetILNS1_3genE4ELNS1_11target_archE910ELNS1_3gpuE8ELNS1_3repE0EEENS1_30default_config_static_selectorELNS0_4arch9wavefront6targetE0EEEvS14_
    .private_segment_fixed_size: 0
    .sgpr_count:     0
    .sgpr_spill_count: 0
    .symbol:         _ZN7rocprim17ROCPRIM_400000_NS6detail17trampoline_kernelINS0_14default_configENS1_22reduce_config_selectorIN6thrust23THRUST_200600_302600_NS5tupleIblNS6_9null_typeES8_S8_S8_S8_S8_S8_S8_EEEEZNS1_11reduce_implILb1ES3_NS6_12zip_iteratorINS7_INS6_11hip_rocprim26transform_input_iterator_tIbNSD_35transform_pair_of_input_iterators_tIbNS6_6detail15normal_iteratorINS6_10device_ptrIKtEEEESL_NS6_8equal_toItEEEENSG_9not_fun_tINSD_8identityEEEEENSD_19counting_iterator_tIlEES8_S8_S8_S8_S8_S8_S8_S8_EEEEPS9_S9_NSD_9__find_if7functorIS9_EEEE10hipError_tPvRmT1_T2_T3_mT4_P12ihipStream_tbEUlT_E1_NS1_11comp_targetILNS1_3genE4ELNS1_11target_archE910ELNS1_3gpuE8ELNS1_3repE0EEENS1_30default_config_static_selectorELNS0_4arch9wavefront6targetE0EEEvS14_.kd
    .uniform_work_group_size: 1
    .uses_dynamic_stack: false
    .vgpr_count:     0
    .vgpr_spill_count: 0
    .wavefront_size: 32
    .workgroup_processor_mode: 1
  - .args:
      - .offset:         0
        .size:           88
        .value_kind:     by_value
    .group_segment_fixed_size: 0
    .kernarg_segment_align: 8
    .kernarg_segment_size: 88
    .language:       OpenCL C
    .language_version:
      - 2
      - 0
    .max_flat_workgroup_size: 128
    .name:           _ZN7rocprim17ROCPRIM_400000_NS6detail17trampoline_kernelINS0_14default_configENS1_22reduce_config_selectorIN6thrust23THRUST_200600_302600_NS5tupleIblNS6_9null_typeES8_S8_S8_S8_S8_S8_S8_EEEEZNS1_11reduce_implILb1ES3_NS6_12zip_iteratorINS7_INS6_11hip_rocprim26transform_input_iterator_tIbNSD_35transform_pair_of_input_iterators_tIbNS6_6detail15normal_iteratorINS6_10device_ptrIKtEEEESL_NS6_8equal_toItEEEENSG_9not_fun_tINSD_8identityEEEEENSD_19counting_iterator_tIlEES8_S8_S8_S8_S8_S8_S8_S8_EEEEPS9_S9_NSD_9__find_if7functorIS9_EEEE10hipError_tPvRmT1_T2_T3_mT4_P12ihipStream_tbEUlT_E1_NS1_11comp_targetILNS1_3genE3ELNS1_11target_archE908ELNS1_3gpuE7ELNS1_3repE0EEENS1_30default_config_static_selectorELNS0_4arch9wavefront6targetE0EEEvS14_
    .private_segment_fixed_size: 0
    .sgpr_count:     0
    .sgpr_spill_count: 0
    .symbol:         _ZN7rocprim17ROCPRIM_400000_NS6detail17trampoline_kernelINS0_14default_configENS1_22reduce_config_selectorIN6thrust23THRUST_200600_302600_NS5tupleIblNS6_9null_typeES8_S8_S8_S8_S8_S8_S8_EEEEZNS1_11reduce_implILb1ES3_NS6_12zip_iteratorINS7_INS6_11hip_rocprim26transform_input_iterator_tIbNSD_35transform_pair_of_input_iterators_tIbNS6_6detail15normal_iteratorINS6_10device_ptrIKtEEEESL_NS6_8equal_toItEEEENSG_9not_fun_tINSD_8identityEEEEENSD_19counting_iterator_tIlEES8_S8_S8_S8_S8_S8_S8_S8_EEEEPS9_S9_NSD_9__find_if7functorIS9_EEEE10hipError_tPvRmT1_T2_T3_mT4_P12ihipStream_tbEUlT_E1_NS1_11comp_targetILNS1_3genE3ELNS1_11target_archE908ELNS1_3gpuE7ELNS1_3repE0EEENS1_30default_config_static_selectorELNS0_4arch9wavefront6targetE0EEEvS14_.kd
    .uniform_work_group_size: 1
    .uses_dynamic_stack: false
    .vgpr_count:     0
    .vgpr_spill_count: 0
    .wavefront_size: 32
    .workgroup_processor_mode: 1
  - .args:
      - .offset:         0
        .size:           88
        .value_kind:     by_value
    .group_segment_fixed_size: 0
    .kernarg_segment_align: 8
    .kernarg_segment_size: 88
    .language:       OpenCL C
    .language_version:
      - 2
      - 0
    .max_flat_workgroup_size: 128
    .name:           _ZN7rocprim17ROCPRIM_400000_NS6detail17trampoline_kernelINS0_14default_configENS1_22reduce_config_selectorIN6thrust23THRUST_200600_302600_NS5tupleIblNS6_9null_typeES8_S8_S8_S8_S8_S8_S8_EEEEZNS1_11reduce_implILb1ES3_NS6_12zip_iteratorINS7_INS6_11hip_rocprim26transform_input_iterator_tIbNSD_35transform_pair_of_input_iterators_tIbNS6_6detail15normal_iteratorINS6_10device_ptrIKtEEEESL_NS6_8equal_toItEEEENSG_9not_fun_tINSD_8identityEEEEENSD_19counting_iterator_tIlEES8_S8_S8_S8_S8_S8_S8_S8_EEEEPS9_S9_NSD_9__find_if7functorIS9_EEEE10hipError_tPvRmT1_T2_T3_mT4_P12ihipStream_tbEUlT_E1_NS1_11comp_targetILNS1_3genE2ELNS1_11target_archE906ELNS1_3gpuE6ELNS1_3repE0EEENS1_30default_config_static_selectorELNS0_4arch9wavefront6targetE0EEEvS14_
    .private_segment_fixed_size: 0
    .sgpr_count:     0
    .sgpr_spill_count: 0
    .symbol:         _ZN7rocprim17ROCPRIM_400000_NS6detail17trampoline_kernelINS0_14default_configENS1_22reduce_config_selectorIN6thrust23THRUST_200600_302600_NS5tupleIblNS6_9null_typeES8_S8_S8_S8_S8_S8_S8_EEEEZNS1_11reduce_implILb1ES3_NS6_12zip_iteratorINS7_INS6_11hip_rocprim26transform_input_iterator_tIbNSD_35transform_pair_of_input_iterators_tIbNS6_6detail15normal_iteratorINS6_10device_ptrIKtEEEESL_NS6_8equal_toItEEEENSG_9not_fun_tINSD_8identityEEEEENSD_19counting_iterator_tIlEES8_S8_S8_S8_S8_S8_S8_S8_EEEEPS9_S9_NSD_9__find_if7functorIS9_EEEE10hipError_tPvRmT1_T2_T3_mT4_P12ihipStream_tbEUlT_E1_NS1_11comp_targetILNS1_3genE2ELNS1_11target_archE906ELNS1_3gpuE6ELNS1_3repE0EEENS1_30default_config_static_selectorELNS0_4arch9wavefront6targetE0EEEvS14_.kd
    .uniform_work_group_size: 1
    .uses_dynamic_stack: false
    .vgpr_count:     0
    .vgpr_spill_count: 0
    .wavefront_size: 32
    .workgroup_processor_mode: 1
  - .args:
      - .offset:         0
        .size:           88
        .value_kind:     by_value
    .group_segment_fixed_size: 0
    .kernarg_segment_align: 8
    .kernarg_segment_size: 88
    .language:       OpenCL C
    .language_version:
      - 2
      - 0
    .max_flat_workgroup_size: 256
    .name:           _ZN7rocprim17ROCPRIM_400000_NS6detail17trampoline_kernelINS0_14default_configENS1_22reduce_config_selectorIN6thrust23THRUST_200600_302600_NS5tupleIblNS6_9null_typeES8_S8_S8_S8_S8_S8_S8_EEEEZNS1_11reduce_implILb1ES3_NS6_12zip_iteratorINS7_INS6_11hip_rocprim26transform_input_iterator_tIbNSD_35transform_pair_of_input_iterators_tIbNS6_6detail15normal_iteratorINS6_10device_ptrIKtEEEESL_NS6_8equal_toItEEEENSG_9not_fun_tINSD_8identityEEEEENSD_19counting_iterator_tIlEES8_S8_S8_S8_S8_S8_S8_S8_EEEEPS9_S9_NSD_9__find_if7functorIS9_EEEE10hipError_tPvRmT1_T2_T3_mT4_P12ihipStream_tbEUlT_E1_NS1_11comp_targetILNS1_3genE10ELNS1_11target_archE1201ELNS1_3gpuE5ELNS1_3repE0EEENS1_30default_config_static_selectorELNS0_4arch9wavefront6targetE0EEEvS14_
    .private_segment_fixed_size: 0
    .sgpr_count:     0
    .sgpr_spill_count: 0
    .symbol:         _ZN7rocprim17ROCPRIM_400000_NS6detail17trampoline_kernelINS0_14default_configENS1_22reduce_config_selectorIN6thrust23THRUST_200600_302600_NS5tupleIblNS6_9null_typeES8_S8_S8_S8_S8_S8_S8_EEEEZNS1_11reduce_implILb1ES3_NS6_12zip_iteratorINS7_INS6_11hip_rocprim26transform_input_iterator_tIbNSD_35transform_pair_of_input_iterators_tIbNS6_6detail15normal_iteratorINS6_10device_ptrIKtEEEESL_NS6_8equal_toItEEEENSG_9not_fun_tINSD_8identityEEEEENSD_19counting_iterator_tIlEES8_S8_S8_S8_S8_S8_S8_S8_EEEEPS9_S9_NSD_9__find_if7functorIS9_EEEE10hipError_tPvRmT1_T2_T3_mT4_P12ihipStream_tbEUlT_E1_NS1_11comp_targetILNS1_3genE10ELNS1_11target_archE1201ELNS1_3gpuE5ELNS1_3repE0EEENS1_30default_config_static_selectorELNS0_4arch9wavefront6targetE0EEEvS14_.kd
    .uniform_work_group_size: 1
    .uses_dynamic_stack: false
    .vgpr_count:     0
    .vgpr_spill_count: 0
    .wavefront_size: 32
    .workgroup_processor_mode: 1
  - .args:
      - .offset:         0
        .size:           88
        .value_kind:     by_value
    .group_segment_fixed_size: 0
    .kernarg_segment_align: 8
    .kernarg_segment_size: 88
    .language:       OpenCL C
    .language_version:
      - 2
      - 0
    .max_flat_workgroup_size: 256
    .name:           _ZN7rocprim17ROCPRIM_400000_NS6detail17trampoline_kernelINS0_14default_configENS1_22reduce_config_selectorIN6thrust23THRUST_200600_302600_NS5tupleIblNS6_9null_typeES8_S8_S8_S8_S8_S8_S8_EEEEZNS1_11reduce_implILb1ES3_NS6_12zip_iteratorINS7_INS6_11hip_rocprim26transform_input_iterator_tIbNSD_35transform_pair_of_input_iterators_tIbNS6_6detail15normal_iteratorINS6_10device_ptrIKtEEEESL_NS6_8equal_toItEEEENSG_9not_fun_tINSD_8identityEEEEENSD_19counting_iterator_tIlEES8_S8_S8_S8_S8_S8_S8_S8_EEEEPS9_S9_NSD_9__find_if7functorIS9_EEEE10hipError_tPvRmT1_T2_T3_mT4_P12ihipStream_tbEUlT_E1_NS1_11comp_targetILNS1_3genE10ELNS1_11target_archE1200ELNS1_3gpuE4ELNS1_3repE0EEENS1_30default_config_static_selectorELNS0_4arch9wavefront6targetE0EEEvS14_
    .private_segment_fixed_size: 0
    .sgpr_count:     0
    .sgpr_spill_count: 0
    .symbol:         _ZN7rocprim17ROCPRIM_400000_NS6detail17trampoline_kernelINS0_14default_configENS1_22reduce_config_selectorIN6thrust23THRUST_200600_302600_NS5tupleIblNS6_9null_typeES8_S8_S8_S8_S8_S8_S8_EEEEZNS1_11reduce_implILb1ES3_NS6_12zip_iteratorINS7_INS6_11hip_rocprim26transform_input_iterator_tIbNSD_35transform_pair_of_input_iterators_tIbNS6_6detail15normal_iteratorINS6_10device_ptrIKtEEEESL_NS6_8equal_toItEEEENSG_9not_fun_tINSD_8identityEEEEENSD_19counting_iterator_tIlEES8_S8_S8_S8_S8_S8_S8_S8_EEEEPS9_S9_NSD_9__find_if7functorIS9_EEEE10hipError_tPvRmT1_T2_T3_mT4_P12ihipStream_tbEUlT_E1_NS1_11comp_targetILNS1_3genE10ELNS1_11target_archE1200ELNS1_3gpuE4ELNS1_3repE0EEENS1_30default_config_static_selectorELNS0_4arch9wavefront6targetE0EEEvS14_.kd
    .uniform_work_group_size: 1
    .uses_dynamic_stack: false
    .vgpr_count:     0
    .vgpr_spill_count: 0
    .wavefront_size: 32
    .workgroup_processor_mode: 1
  - .args:
      - .offset:         0
        .size:           88
        .value_kind:     by_value
    .group_segment_fixed_size: 0
    .kernarg_segment_align: 8
    .kernarg_segment_size: 88
    .language:       OpenCL C
    .language_version:
      - 2
      - 0
    .max_flat_workgroup_size: 256
    .name:           _ZN7rocprim17ROCPRIM_400000_NS6detail17trampoline_kernelINS0_14default_configENS1_22reduce_config_selectorIN6thrust23THRUST_200600_302600_NS5tupleIblNS6_9null_typeES8_S8_S8_S8_S8_S8_S8_EEEEZNS1_11reduce_implILb1ES3_NS6_12zip_iteratorINS7_INS6_11hip_rocprim26transform_input_iterator_tIbNSD_35transform_pair_of_input_iterators_tIbNS6_6detail15normal_iteratorINS6_10device_ptrIKtEEEESL_NS6_8equal_toItEEEENSG_9not_fun_tINSD_8identityEEEEENSD_19counting_iterator_tIlEES8_S8_S8_S8_S8_S8_S8_S8_EEEEPS9_S9_NSD_9__find_if7functorIS9_EEEE10hipError_tPvRmT1_T2_T3_mT4_P12ihipStream_tbEUlT_E1_NS1_11comp_targetILNS1_3genE9ELNS1_11target_archE1100ELNS1_3gpuE3ELNS1_3repE0EEENS1_30default_config_static_selectorELNS0_4arch9wavefront6targetE0EEEvS14_
    .private_segment_fixed_size: 0
    .sgpr_count:     0
    .sgpr_spill_count: 0
    .symbol:         _ZN7rocprim17ROCPRIM_400000_NS6detail17trampoline_kernelINS0_14default_configENS1_22reduce_config_selectorIN6thrust23THRUST_200600_302600_NS5tupleIblNS6_9null_typeES8_S8_S8_S8_S8_S8_S8_EEEEZNS1_11reduce_implILb1ES3_NS6_12zip_iteratorINS7_INS6_11hip_rocprim26transform_input_iterator_tIbNSD_35transform_pair_of_input_iterators_tIbNS6_6detail15normal_iteratorINS6_10device_ptrIKtEEEESL_NS6_8equal_toItEEEENSG_9not_fun_tINSD_8identityEEEEENSD_19counting_iterator_tIlEES8_S8_S8_S8_S8_S8_S8_S8_EEEEPS9_S9_NSD_9__find_if7functorIS9_EEEE10hipError_tPvRmT1_T2_T3_mT4_P12ihipStream_tbEUlT_E1_NS1_11comp_targetILNS1_3genE9ELNS1_11target_archE1100ELNS1_3gpuE3ELNS1_3repE0EEENS1_30default_config_static_selectorELNS0_4arch9wavefront6targetE0EEEvS14_.kd
    .uniform_work_group_size: 1
    .uses_dynamic_stack: false
    .vgpr_count:     0
    .vgpr_spill_count: 0
    .wavefront_size: 32
    .workgroup_processor_mode: 1
  - .args:
      - .offset:         0
        .size:           88
        .value_kind:     by_value
    .group_segment_fixed_size: 640
    .kernarg_segment_align: 8
    .kernarg_segment_size: 88
    .language:       OpenCL C
    .language_version:
      - 2
      - 0
    .max_flat_workgroup_size: 256
    .name:           _ZN7rocprim17ROCPRIM_400000_NS6detail17trampoline_kernelINS0_14default_configENS1_22reduce_config_selectorIN6thrust23THRUST_200600_302600_NS5tupleIblNS6_9null_typeES8_S8_S8_S8_S8_S8_S8_EEEEZNS1_11reduce_implILb1ES3_NS6_12zip_iteratorINS7_INS6_11hip_rocprim26transform_input_iterator_tIbNSD_35transform_pair_of_input_iterators_tIbNS6_6detail15normal_iteratorINS6_10device_ptrIKtEEEESL_NS6_8equal_toItEEEENSG_9not_fun_tINSD_8identityEEEEENSD_19counting_iterator_tIlEES8_S8_S8_S8_S8_S8_S8_S8_EEEEPS9_S9_NSD_9__find_if7functorIS9_EEEE10hipError_tPvRmT1_T2_T3_mT4_P12ihipStream_tbEUlT_E1_NS1_11comp_targetILNS1_3genE8ELNS1_11target_archE1030ELNS1_3gpuE2ELNS1_3repE0EEENS1_30default_config_static_selectorELNS0_4arch9wavefront6targetE0EEEvS14_
    .private_segment_fixed_size: 0
    .sgpr_count:     34
    .sgpr_spill_count: 0
    .symbol:         _ZN7rocprim17ROCPRIM_400000_NS6detail17trampoline_kernelINS0_14default_configENS1_22reduce_config_selectorIN6thrust23THRUST_200600_302600_NS5tupleIblNS6_9null_typeES8_S8_S8_S8_S8_S8_S8_EEEEZNS1_11reduce_implILb1ES3_NS6_12zip_iteratorINS7_INS6_11hip_rocprim26transform_input_iterator_tIbNSD_35transform_pair_of_input_iterators_tIbNS6_6detail15normal_iteratorINS6_10device_ptrIKtEEEESL_NS6_8equal_toItEEEENSG_9not_fun_tINSD_8identityEEEEENSD_19counting_iterator_tIlEES8_S8_S8_S8_S8_S8_S8_S8_EEEEPS9_S9_NSD_9__find_if7functorIS9_EEEE10hipError_tPvRmT1_T2_T3_mT4_P12ihipStream_tbEUlT_E1_NS1_11comp_targetILNS1_3genE8ELNS1_11target_archE1030ELNS1_3gpuE2ELNS1_3repE0EEENS1_30default_config_static_selectorELNS0_4arch9wavefront6targetE0EEEvS14_.kd
    .uniform_work_group_size: 1
    .uses_dynamic_stack: false
    .vgpr_count:     27
    .vgpr_spill_count: 0
    .wavefront_size: 32
    .workgroup_processor_mode: 1
  - .args:
      - .offset:         0
        .size:           16
        .value_kind:     by_value
      - .offset:         16
        .size:           8
        .value_kind:     by_value
      - .offset:         24
        .size:           8
        .value_kind:     by_value
    .group_segment_fixed_size: 0
    .kernarg_segment_align: 8
    .kernarg_segment_size: 32
    .language:       OpenCL C
    .language_version:
      - 2
      - 0
    .max_flat_workgroup_size: 256
    .name:           _ZN6thrust23THRUST_200600_302600_NS11hip_rocprim14__parallel_for6kernelILj256ENS1_20__uninitialized_fill7functorINS0_10device_ptrIxEExEEmLj1EEEvT0_T1_SA_
    .private_segment_fixed_size: 0
    .sgpr_count:     18
    .sgpr_spill_count: 0
    .symbol:         _ZN6thrust23THRUST_200600_302600_NS11hip_rocprim14__parallel_for6kernelILj256ENS1_20__uninitialized_fill7functorINS0_10device_ptrIxEExEEmLj1EEEvT0_T1_SA_.kd
    .uniform_work_group_size: 1
    .uses_dynamic_stack: false
    .vgpr_count:     5
    .vgpr_spill_count: 0
    .wavefront_size: 32
    .workgroup_processor_mode: 1
  - .args:           []
    .group_segment_fixed_size: 0
    .kernarg_segment_align: 4
    .kernarg_segment_size: 0
    .language:       OpenCL C
    .language_version:
      - 2
      - 0
    .max_flat_workgroup_size: 1024
    .name:           _ZN7rocprim17ROCPRIM_400000_NS6detail44device_merge_sort_compile_time_verifier_archINS1_11comp_targetILNS1_3genE0ELNS1_11target_archE4294967295ELNS1_3gpuE0ELNS1_3repE0EEES8_NS0_14default_configES9_NS1_37merge_sort_block_sort_config_selectorIxNS0_10empty_typeEEENS1_38merge_sort_block_merge_config_selectorIxSB_EEEEvv
    .private_segment_fixed_size: 0
    .sgpr_count:     0
    .sgpr_spill_count: 0
    .symbol:         _ZN7rocprim17ROCPRIM_400000_NS6detail44device_merge_sort_compile_time_verifier_archINS1_11comp_targetILNS1_3genE0ELNS1_11target_archE4294967295ELNS1_3gpuE0ELNS1_3repE0EEES8_NS0_14default_configES9_NS1_37merge_sort_block_sort_config_selectorIxNS0_10empty_typeEEENS1_38merge_sort_block_merge_config_selectorIxSB_EEEEvv.kd
    .uniform_work_group_size: 1
    .uses_dynamic_stack: false
    .vgpr_count:     0
    .vgpr_spill_count: 0
    .wavefront_size: 32
    .workgroup_processor_mode: 1
  - .args:           []
    .group_segment_fixed_size: 0
    .kernarg_segment_align: 4
    .kernarg_segment_size: 0
    .language:       OpenCL C
    .language_version:
      - 2
      - 0
    .max_flat_workgroup_size: 1024
    .name:           _ZN7rocprim17ROCPRIM_400000_NS6detail44device_merge_sort_compile_time_verifier_archINS1_11comp_targetILNS1_3genE5ELNS1_11target_archE942ELNS1_3gpuE9ELNS1_3repE0EEES8_NS0_14default_configES9_NS1_37merge_sort_block_sort_config_selectorIxNS0_10empty_typeEEENS1_38merge_sort_block_merge_config_selectorIxSB_EEEEvv
    .private_segment_fixed_size: 0
    .sgpr_count:     0
    .sgpr_spill_count: 0
    .symbol:         _ZN7rocprim17ROCPRIM_400000_NS6detail44device_merge_sort_compile_time_verifier_archINS1_11comp_targetILNS1_3genE5ELNS1_11target_archE942ELNS1_3gpuE9ELNS1_3repE0EEES8_NS0_14default_configES9_NS1_37merge_sort_block_sort_config_selectorIxNS0_10empty_typeEEENS1_38merge_sort_block_merge_config_selectorIxSB_EEEEvv.kd
    .uniform_work_group_size: 1
    .uses_dynamic_stack: false
    .vgpr_count:     0
    .vgpr_spill_count: 0
    .wavefront_size: 32
    .workgroup_processor_mode: 1
  - .args:           []
    .group_segment_fixed_size: 0
    .kernarg_segment_align: 4
    .kernarg_segment_size: 0
    .language:       OpenCL C
    .language_version:
      - 2
      - 0
    .max_flat_workgroup_size: 1024
    .name:           _ZN7rocprim17ROCPRIM_400000_NS6detail44device_merge_sort_compile_time_verifier_archINS1_11comp_targetILNS1_3genE4ELNS1_11target_archE910ELNS1_3gpuE8ELNS1_3repE0EEES8_NS0_14default_configES9_NS1_37merge_sort_block_sort_config_selectorIxNS0_10empty_typeEEENS1_38merge_sort_block_merge_config_selectorIxSB_EEEEvv
    .private_segment_fixed_size: 0
    .sgpr_count:     0
    .sgpr_spill_count: 0
    .symbol:         _ZN7rocprim17ROCPRIM_400000_NS6detail44device_merge_sort_compile_time_verifier_archINS1_11comp_targetILNS1_3genE4ELNS1_11target_archE910ELNS1_3gpuE8ELNS1_3repE0EEES8_NS0_14default_configES9_NS1_37merge_sort_block_sort_config_selectorIxNS0_10empty_typeEEENS1_38merge_sort_block_merge_config_selectorIxSB_EEEEvv.kd
    .uniform_work_group_size: 1
    .uses_dynamic_stack: false
    .vgpr_count:     0
    .vgpr_spill_count: 0
    .wavefront_size: 32
    .workgroup_processor_mode: 1
  - .args:           []
    .group_segment_fixed_size: 0
    .kernarg_segment_align: 4
    .kernarg_segment_size: 0
    .language:       OpenCL C
    .language_version:
      - 2
      - 0
    .max_flat_workgroup_size: 1024
    .name:           _ZN7rocprim17ROCPRIM_400000_NS6detail44device_merge_sort_compile_time_verifier_archINS1_11comp_targetILNS1_3genE3ELNS1_11target_archE908ELNS1_3gpuE7ELNS1_3repE0EEES8_NS0_14default_configES9_NS1_37merge_sort_block_sort_config_selectorIxNS0_10empty_typeEEENS1_38merge_sort_block_merge_config_selectorIxSB_EEEEvv
    .private_segment_fixed_size: 0
    .sgpr_count:     0
    .sgpr_spill_count: 0
    .symbol:         _ZN7rocprim17ROCPRIM_400000_NS6detail44device_merge_sort_compile_time_verifier_archINS1_11comp_targetILNS1_3genE3ELNS1_11target_archE908ELNS1_3gpuE7ELNS1_3repE0EEES8_NS0_14default_configES9_NS1_37merge_sort_block_sort_config_selectorIxNS0_10empty_typeEEENS1_38merge_sort_block_merge_config_selectorIxSB_EEEEvv.kd
    .uniform_work_group_size: 1
    .uses_dynamic_stack: false
    .vgpr_count:     0
    .vgpr_spill_count: 0
    .wavefront_size: 32
    .workgroup_processor_mode: 1
  - .args:           []
    .group_segment_fixed_size: 0
    .kernarg_segment_align: 4
    .kernarg_segment_size: 0
    .language:       OpenCL C
    .language_version:
      - 2
      - 0
    .max_flat_workgroup_size: 1024
    .name:           _ZN7rocprim17ROCPRIM_400000_NS6detail44device_merge_sort_compile_time_verifier_archINS1_11comp_targetILNS1_3genE2ELNS1_11target_archE906ELNS1_3gpuE6ELNS1_3repE0EEES8_NS0_14default_configES9_NS1_37merge_sort_block_sort_config_selectorIxNS0_10empty_typeEEENS1_38merge_sort_block_merge_config_selectorIxSB_EEEEvv
    .private_segment_fixed_size: 0
    .sgpr_count:     0
    .sgpr_spill_count: 0
    .symbol:         _ZN7rocprim17ROCPRIM_400000_NS6detail44device_merge_sort_compile_time_verifier_archINS1_11comp_targetILNS1_3genE2ELNS1_11target_archE906ELNS1_3gpuE6ELNS1_3repE0EEES8_NS0_14default_configES9_NS1_37merge_sort_block_sort_config_selectorIxNS0_10empty_typeEEENS1_38merge_sort_block_merge_config_selectorIxSB_EEEEvv.kd
    .uniform_work_group_size: 1
    .uses_dynamic_stack: false
    .vgpr_count:     0
    .vgpr_spill_count: 0
    .wavefront_size: 32
    .workgroup_processor_mode: 1
  - .args:           []
    .group_segment_fixed_size: 0
    .kernarg_segment_align: 4
    .kernarg_segment_size: 0
    .language:       OpenCL C
    .language_version:
      - 2
      - 0
    .max_flat_workgroup_size: 1024
    .name:           _ZN7rocprim17ROCPRIM_400000_NS6detail44device_merge_sort_compile_time_verifier_archINS1_11comp_targetILNS1_3genE10ELNS1_11target_archE1201ELNS1_3gpuE5ELNS1_3repE0EEES8_NS0_14default_configES9_NS1_37merge_sort_block_sort_config_selectorIxNS0_10empty_typeEEENS1_38merge_sort_block_merge_config_selectorIxSB_EEEEvv
    .private_segment_fixed_size: 0
    .sgpr_count:     0
    .sgpr_spill_count: 0
    .symbol:         _ZN7rocprim17ROCPRIM_400000_NS6detail44device_merge_sort_compile_time_verifier_archINS1_11comp_targetILNS1_3genE10ELNS1_11target_archE1201ELNS1_3gpuE5ELNS1_3repE0EEES8_NS0_14default_configES9_NS1_37merge_sort_block_sort_config_selectorIxNS0_10empty_typeEEENS1_38merge_sort_block_merge_config_selectorIxSB_EEEEvv.kd
    .uniform_work_group_size: 1
    .uses_dynamic_stack: false
    .vgpr_count:     0
    .vgpr_spill_count: 0
    .wavefront_size: 32
    .workgroup_processor_mode: 1
  - .args:           []
    .group_segment_fixed_size: 0
    .kernarg_segment_align: 4
    .kernarg_segment_size: 0
    .language:       OpenCL C
    .language_version:
      - 2
      - 0
    .max_flat_workgroup_size: 1024
    .name:           _ZN7rocprim17ROCPRIM_400000_NS6detail44device_merge_sort_compile_time_verifier_archINS1_11comp_targetILNS1_3genE10ELNS1_11target_archE1200ELNS1_3gpuE4ELNS1_3repE0EEENS3_ILS4_10ELS5_1201ELS6_5ELS7_0EEENS0_14default_configESA_NS1_37merge_sort_block_sort_config_selectorIxNS0_10empty_typeEEENS1_38merge_sort_block_merge_config_selectorIxSC_EEEEvv
    .private_segment_fixed_size: 0
    .sgpr_count:     0
    .sgpr_spill_count: 0
    .symbol:         _ZN7rocprim17ROCPRIM_400000_NS6detail44device_merge_sort_compile_time_verifier_archINS1_11comp_targetILNS1_3genE10ELNS1_11target_archE1200ELNS1_3gpuE4ELNS1_3repE0EEENS3_ILS4_10ELS5_1201ELS6_5ELS7_0EEENS0_14default_configESA_NS1_37merge_sort_block_sort_config_selectorIxNS0_10empty_typeEEENS1_38merge_sort_block_merge_config_selectorIxSC_EEEEvv.kd
    .uniform_work_group_size: 1
    .uses_dynamic_stack: false
    .vgpr_count:     0
    .vgpr_spill_count: 0
    .wavefront_size: 32
    .workgroup_processor_mode: 1
  - .args:           []
    .group_segment_fixed_size: 0
    .kernarg_segment_align: 4
    .kernarg_segment_size: 0
    .language:       OpenCL C
    .language_version:
      - 2
      - 0
    .max_flat_workgroup_size: 1024
    .name:           _ZN7rocprim17ROCPRIM_400000_NS6detail44device_merge_sort_compile_time_verifier_archINS1_11comp_targetILNS1_3genE9ELNS1_11target_archE1100ELNS1_3gpuE3ELNS1_3repE0EEES8_NS0_14default_configES9_NS1_37merge_sort_block_sort_config_selectorIxNS0_10empty_typeEEENS1_38merge_sort_block_merge_config_selectorIxSB_EEEEvv
    .private_segment_fixed_size: 0
    .sgpr_count:     0
    .sgpr_spill_count: 0
    .symbol:         _ZN7rocprim17ROCPRIM_400000_NS6detail44device_merge_sort_compile_time_verifier_archINS1_11comp_targetILNS1_3genE9ELNS1_11target_archE1100ELNS1_3gpuE3ELNS1_3repE0EEES8_NS0_14default_configES9_NS1_37merge_sort_block_sort_config_selectorIxNS0_10empty_typeEEENS1_38merge_sort_block_merge_config_selectorIxSB_EEEEvv.kd
    .uniform_work_group_size: 1
    .uses_dynamic_stack: false
    .vgpr_count:     0
    .vgpr_spill_count: 0
    .wavefront_size: 32
    .workgroup_processor_mode: 1
  - .args:           []
    .group_segment_fixed_size: 0
    .kernarg_segment_align: 4
    .kernarg_segment_size: 0
    .language:       OpenCL C
    .language_version:
      - 2
      - 0
    .max_flat_workgroup_size: 1024
    .name:           _ZN7rocprim17ROCPRIM_400000_NS6detail44device_merge_sort_compile_time_verifier_archINS1_11comp_targetILNS1_3genE8ELNS1_11target_archE1030ELNS1_3gpuE2ELNS1_3repE0EEES8_NS0_14default_configES9_NS1_37merge_sort_block_sort_config_selectorIxNS0_10empty_typeEEENS1_38merge_sort_block_merge_config_selectorIxSB_EEEEvv
    .private_segment_fixed_size: 0
    .sgpr_count:     0
    .sgpr_spill_count: 0
    .symbol:         _ZN7rocprim17ROCPRIM_400000_NS6detail44device_merge_sort_compile_time_verifier_archINS1_11comp_targetILNS1_3genE8ELNS1_11target_archE1030ELNS1_3gpuE2ELNS1_3repE0EEES8_NS0_14default_configES9_NS1_37merge_sort_block_sort_config_selectorIxNS0_10empty_typeEEENS1_38merge_sort_block_merge_config_selectorIxSB_EEEEvv.kd
    .uniform_work_group_size: 1
    .uses_dynamic_stack: false
    .vgpr_count:     0
    .vgpr_spill_count: 0
    .wavefront_size: 32
    .workgroup_processor_mode: 1
  - .args:
      - .offset:         0
        .size:           64
        .value_kind:     by_value
    .group_segment_fixed_size: 0
    .kernarg_segment_align: 8
    .kernarg_segment_size: 64
    .language:       OpenCL C
    .language_version:
      - 2
      - 0
    .max_flat_workgroup_size: 256
    .name:           _ZN7rocprim17ROCPRIM_400000_NS6detail17trampoline_kernelINS0_14default_configENS1_37merge_sort_block_sort_config_selectorIxNS0_10empty_typeEEEZNS1_21merge_sort_block_sortIS3_N6thrust23THRUST_200600_302600_NS6detail15normal_iteratorINS9_10device_ptrIxEEEESE_PS5_SF_11less_div_10IxEEE10hipError_tT0_T1_T2_T3_mRjT4_P12ihipStream_tbNS1_7vsmem_tEEUlT_E_NS1_11comp_targetILNS1_3genE0ELNS1_11target_archE4294967295ELNS1_3gpuE0ELNS1_3repE0EEENS1_30default_config_static_selectorELNS0_4arch9wavefront6targetE0EEEvSK_
    .private_segment_fixed_size: 0
    .sgpr_count:     0
    .sgpr_spill_count: 0
    .symbol:         _ZN7rocprim17ROCPRIM_400000_NS6detail17trampoline_kernelINS0_14default_configENS1_37merge_sort_block_sort_config_selectorIxNS0_10empty_typeEEEZNS1_21merge_sort_block_sortIS3_N6thrust23THRUST_200600_302600_NS6detail15normal_iteratorINS9_10device_ptrIxEEEESE_PS5_SF_11less_div_10IxEEE10hipError_tT0_T1_T2_T3_mRjT4_P12ihipStream_tbNS1_7vsmem_tEEUlT_E_NS1_11comp_targetILNS1_3genE0ELNS1_11target_archE4294967295ELNS1_3gpuE0ELNS1_3repE0EEENS1_30default_config_static_selectorELNS0_4arch9wavefront6targetE0EEEvSK_.kd
    .uniform_work_group_size: 1
    .uses_dynamic_stack: false
    .vgpr_count:     0
    .vgpr_spill_count: 0
    .wavefront_size: 32
    .workgroup_processor_mode: 1
  - .args:
      - .offset:         0
        .size:           64
        .value_kind:     by_value
    .group_segment_fixed_size: 0
    .kernarg_segment_align: 8
    .kernarg_segment_size: 64
    .language:       OpenCL C
    .language_version:
      - 2
      - 0
    .max_flat_workgroup_size: 256
    .name:           _ZN7rocprim17ROCPRIM_400000_NS6detail17trampoline_kernelINS0_14default_configENS1_37merge_sort_block_sort_config_selectorIxNS0_10empty_typeEEEZNS1_21merge_sort_block_sortIS3_N6thrust23THRUST_200600_302600_NS6detail15normal_iteratorINS9_10device_ptrIxEEEESE_PS5_SF_11less_div_10IxEEE10hipError_tT0_T1_T2_T3_mRjT4_P12ihipStream_tbNS1_7vsmem_tEEUlT_E_NS1_11comp_targetILNS1_3genE5ELNS1_11target_archE942ELNS1_3gpuE9ELNS1_3repE0EEENS1_30default_config_static_selectorELNS0_4arch9wavefront6targetE0EEEvSK_
    .private_segment_fixed_size: 0
    .sgpr_count:     0
    .sgpr_spill_count: 0
    .symbol:         _ZN7rocprim17ROCPRIM_400000_NS6detail17trampoline_kernelINS0_14default_configENS1_37merge_sort_block_sort_config_selectorIxNS0_10empty_typeEEEZNS1_21merge_sort_block_sortIS3_N6thrust23THRUST_200600_302600_NS6detail15normal_iteratorINS9_10device_ptrIxEEEESE_PS5_SF_11less_div_10IxEEE10hipError_tT0_T1_T2_T3_mRjT4_P12ihipStream_tbNS1_7vsmem_tEEUlT_E_NS1_11comp_targetILNS1_3genE5ELNS1_11target_archE942ELNS1_3gpuE9ELNS1_3repE0EEENS1_30default_config_static_selectorELNS0_4arch9wavefront6targetE0EEEvSK_.kd
    .uniform_work_group_size: 1
    .uses_dynamic_stack: false
    .vgpr_count:     0
    .vgpr_spill_count: 0
    .wavefront_size: 32
    .workgroup_processor_mode: 1
  - .args:
      - .offset:         0
        .size:           64
        .value_kind:     by_value
    .group_segment_fixed_size: 0
    .kernarg_segment_align: 8
    .kernarg_segment_size: 64
    .language:       OpenCL C
    .language_version:
      - 2
      - 0
    .max_flat_workgroup_size: 256
    .name:           _ZN7rocprim17ROCPRIM_400000_NS6detail17trampoline_kernelINS0_14default_configENS1_37merge_sort_block_sort_config_selectorIxNS0_10empty_typeEEEZNS1_21merge_sort_block_sortIS3_N6thrust23THRUST_200600_302600_NS6detail15normal_iteratorINS9_10device_ptrIxEEEESE_PS5_SF_11less_div_10IxEEE10hipError_tT0_T1_T2_T3_mRjT4_P12ihipStream_tbNS1_7vsmem_tEEUlT_E_NS1_11comp_targetILNS1_3genE4ELNS1_11target_archE910ELNS1_3gpuE8ELNS1_3repE0EEENS1_30default_config_static_selectorELNS0_4arch9wavefront6targetE0EEEvSK_
    .private_segment_fixed_size: 0
    .sgpr_count:     0
    .sgpr_spill_count: 0
    .symbol:         _ZN7rocprim17ROCPRIM_400000_NS6detail17trampoline_kernelINS0_14default_configENS1_37merge_sort_block_sort_config_selectorIxNS0_10empty_typeEEEZNS1_21merge_sort_block_sortIS3_N6thrust23THRUST_200600_302600_NS6detail15normal_iteratorINS9_10device_ptrIxEEEESE_PS5_SF_11less_div_10IxEEE10hipError_tT0_T1_T2_T3_mRjT4_P12ihipStream_tbNS1_7vsmem_tEEUlT_E_NS1_11comp_targetILNS1_3genE4ELNS1_11target_archE910ELNS1_3gpuE8ELNS1_3repE0EEENS1_30default_config_static_selectorELNS0_4arch9wavefront6targetE0EEEvSK_.kd
    .uniform_work_group_size: 1
    .uses_dynamic_stack: false
    .vgpr_count:     0
    .vgpr_spill_count: 0
    .wavefront_size: 32
    .workgroup_processor_mode: 1
  - .args:
      - .offset:         0
        .size:           64
        .value_kind:     by_value
    .group_segment_fixed_size: 0
    .kernarg_segment_align: 8
    .kernarg_segment_size: 64
    .language:       OpenCL C
    .language_version:
      - 2
      - 0
    .max_flat_workgroup_size: 256
    .name:           _ZN7rocprim17ROCPRIM_400000_NS6detail17trampoline_kernelINS0_14default_configENS1_37merge_sort_block_sort_config_selectorIxNS0_10empty_typeEEEZNS1_21merge_sort_block_sortIS3_N6thrust23THRUST_200600_302600_NS6detail15normal_iteratorINS9_10device_ptrIxEEEESE_PS5_SF_11less_div_10IxEEE10hipError_tT0_T1_T2_T3_mRjT4_P12ihipStream_tbNS1_7vsmem_tEEUlT_E_NS1_11comp_targetILNS1_3genE3ELNS1_11target_archE908ELNS1_3gpuE7ELNS1_3repE0EEENS1_30default_config_static_selectorELNS0_4arch9wavefront6targetE0EEEvSK_
    .private_segment_fixed_size: 0
    .sgpr_count:     0
    .sgpr_spill_count: 0
    .symbol:         _ZN7rocprim17ROCPRIM_400000_NS6detail17trampoline_kernelINS0_14default_configENS1_37merge_sort_block_sort_config_selectorIxNS0_10empty_typeEEEZNS1_21merge_sort_block_sortIS3_N6thrust23THRUST_200600_302600_NS6detail15normal_iteratorINS9_10device_ptrIxEEEESE_PS5_SF_11less_div_10IxEEE10hipError_tT0_T1_T2_T3_mRjT4_P12ihipStream_tbNS1_7vsmem_tEEUlT_E_NS1_11comp_targetILNS1_3genE3ELNS1_11target_archE908ELNS1_3gpuE7ELNS1_3repE0EEENS1_30default_config_static_selectorELNS0_4arch9wavefront6targetE0EEEvSK_.kd
    .uniform_work_group_size: 1
    .uses_dynamic_stack: false
    .vgpr_count:     0
    .vgpr_spill_count: 0
    .wavefront_size: 32
    .workgroup_processor_mode: 1
  - .args:
      - .offset:         0
        .size:           64
        .value_kind:     by_value
    .group_segment_fixed_size: 0
    .kernarg_segment_align: 8
    .kernarg_segment_size: 64
    .language:       OpenCL C
    .language_version:
      - 2
      - 0
    .max_flat_workgroup_size: 256
    .name:           _ZN7rocprim17ROCPRIM_400000_NS6detail17trampoline_kernelINS0_14default_configENS1_37merge_sort_block_sort_config_selectorIxNS0_10empty_typeEEEZNS1_21merge_sort_block_sortIS3_N6thrust23THRUST_200600_302600_NS6detail15normal_iteratorINS9_10device_ptrIxEEEESE_PS5_SF_11less_div_10IxEEE10hipError_tT0_T1_T2_T3_mRjT4_P12ihipStream_tbNS1_7vsmem_tEEUlT_E_NS1_11comp_targetILNS1_3genE2ELNS1_11target_archE906ELNS1_3gpuE6ELNS1_3repE0EEENS1_30default_config_static_selectorELNS0_4arch9wavefront6targetE0EEEvSK_
    .private_segment_fixed_size: 0
    .sgpr_count:     0
    .sgpr_spill_count: 0
    .symbol:         _ZN7rocprim17ROCPRIM_400000_NS6detail17trampoline_kernelINS0_14default_configENS1_37merge_sort_block_sort_config_selectorIxNS0_10empty_typeEEEZNS1_21merge_sort_block_sortIS3_N6thrust23THRUST_200600_302600_NS6detail15normal_iteratorINS9_10device_ptrIxEEEESE_PS5_SF_11less_div_10IxEEE10hipError_tT0_T1_T2_T3_mRjT4_P12ihipStream_tbNS1_7vsmem_tEEUlT_E_NS1_11comp_targetILNS1_3genE2ELNS1_11target_archE906ELNS1_3gpuE6ELNS1_3repE0EEENS1_30default_config_static_selectorELNS0_4arch9wavefront6targetE0EEEvSK_.kd
    .uniform_work_group_size: 1
    .uses_dynamic_stack: false
    .vgpr_count:     0
    .vgpr_spill_count: 0
    .wavefront_size: 32
    .workgroup_processor_mode: 1
  - .args:
      - .offset:         0
        .size:           64
        .value_kind:     by_value
    .group_segment_fixed_size: 0
    .kernarg_segment_align: 8
    .kernarg_segment_size: 64
    .language:       OpenCL C
    .language_version:
      - 2
      - 0
    .max_flat_workgroup_size: 256
    .name:           _ZN7rocprim17ROCPRIM_400000_NS6detail17trampoline_kernelINS0_14default_configENS1_37merge_sort_block_sort_config_selectorIxNS0_10empty_typeEEEZNS1_21merge_sort_block_sortIS3_N6thrust23THRUST_200600_302600_NS6detail15normal_iteratorINS9_10device_ptrIxEEEESE_PS5_SF_11less_div_10IxEEE10hipError_tT0_T1_T2_T3_mRjT4_P12ihipStream_tbNS1_7vsmem_tEEUlT_E_NS1_11comp_targetILNS1_3genE10ELNS1_11target_archE1201ELNS1_3gpuE5ELNS1_3repE0EEENS1_30default_config_static_selectorELNS0_4arch9wavefront6targetE0EEEvSK_
    .private_segment_fixed_size: 0
    .sgpr_count:     0
    .sgpr_spill_count: 0
    .symbol:         _ZN7rocprim17ROCPRIM_400000_NS6detail17trampoline_kernelINS0_14default_configENS1_37merge_sort_block_sort_config_selectorIxNS0_10empty_typeEEEZNS1_21merge_sort_block_sortIS3_N6thrust23THRUST_200600_302600_NS6detail15normal_iteratorINS9_10device_ptrIxEEEESE_PS5_SF_11less_div_10IxEEE10hipError_tT0_T1_T2_T3_mRjT4_P12ihipStream_tbNS1_7vsmem_tEEUlT_E_NS1_11comp_targetILNS1_3genE10ELNS1_11target_archE1201ELNS1_3gpuE5ELNS1_3repE0EEENS1_30default_config_static_selectorELNS0_4arch9wavefront6targetE0EEEvSK_.kd
    .uniform_work_group_size: 1
    .uses_dynamic_stack: false
    .vgpr_count:     0
    .vgpr_spill_count: 0
    .wavefront_size: 32
    .workgroup_processor_mode: 1
  - .args:
      - .offset:         0
        .size:           64
        .value_kind:     by_value
    .group_segment_fixed_size: 0
    .kernarg_segment_align: 8
    .kernarg_segment_size: 64
    .language:       OpenCL C
    .language_version:
      - 2
      - 0
    .max_flat_workgroup_size: 512
    .name:           _ZN7rocprim17ROCPRIM_400000_NS6detail17trampoline_kernelINS0_14default_configENS1_37merge_sort_block_sort_config_selectorIxNS0_10empty_typeEEEZNS1_21merge_sort_block_sortIS3_N6thrust23THRUST_200600_302600_NS6detail15normal_iteratorINS9_10device_ptrIxEEEESE_PS5_SF_11less_div_10IxEEE10hipError_tT0_T1_T2_T3_mRjT4_P12ihipStream_tbNS1_7vsmem_tEEUlT_E_NS1_11comp_targetILNS1_3genE10ELNS1_11target_archE1200ELNS1_3gpuE4ELNS1_3repE0EEENS1_30default_config_static_selectorELNS0_4arch9wavefront6targetE0EEEvSK_
    .private_segment_fixed_size: 0
    .sgpr_count:     0
    .sgpr_spill_count: 0
    .symbol:         _ZN7rocprim17ROCPRIM_400000_NS6detail17trampoline_kernelINS0_14default_configENS1_37merge_sort_block_sort_config_selectorIxNS0_10empty_typeEEEZNS1_21merge_sort_block_sortIS3_N6thrust23THRUST_200600_302600_NS6detail15normal_iteratorINS9_10device_ptrIxEEEESE_PS5_SF_11less_div_10IxEEE10hipError_tT0_T1_T2_T3_mRjT4_P12ihipStream_tbNS1_7vsmem_tEEUlT_E_NS1_11comp_targetILNS1_3genE10ELNS1_11target_archE1200ELNS1_3gpuE4ELNS1_3repE0EEENS1_30default_config_static_selectorELNS0_4arch9wavefront6targetE0EEEvSK_.kd
    .uniform_work_group_size: 1
    .uses_dynamic_stack: false
    .vgpr_count:     0
    .vgpr_spill_count: 0
    .wavefront_size: 32
    .workgroup_processor_mode: 1
  - .args:
      - .offset:         0
        .size:           64
        .value_kind:     by_value
    .group_segment_fixed_size: 0
    .kernarg_segment_align: 8
    .kernarg_segment_size: 64
    .language:       OpenCL C
    .language_version:
      - 2
      - 0
    .max_flat_workgroup_size: 256
    .name:           _ZN7rocprim17ROCPRIM_400000_NS6detail17trampoline_kernelINS0_14default_configENS1_37merge_sort_block_sort_config_selectorIxNS0_10empty_typeEEEZNS1_21merge_sort_block_sortIS3_N6thrust23THRUST_200600_302600_NS6detail15normal_iteratorINS9_10device_ptrIxEEEESE_PS5_SF_11less_div_10IxEEE10hipError_tT0_T1_T2_T3_mRjT4_P12ihipStream_tbNS1_7vsmem_tEEUlT_E_NS1_11comp_targetILNS1_3genE9ELNS1_11target_archE1100ELNS1_3gpuE3ELNS1_3repE0EEENS1_30default_config_static_selectorELNS0_4arch9wavefront6targetE0EEEvSK_
    .private_segment_fixed_size: 0
    .sgpr_count:     0
    .sgpr_spill_count: 0
    .symbol:         _ZN7rocprim17ROCPRIM_400000_NS6detail17trampoline_kernelINS0_14default_configENS1_37merge_sort_block_sort_config_selectorIxNS0_10empty_typeEEEZNS1_21merge_sort_block_sortIS3_N6thrust23THRUST_200600_302600_NS6detail15normal_iteratorINS9_10device_ptrIxEEEESE_PS5_SF_11less_div_10IxEEE10hipError_tT0_T1_T2_T3_mRjT4_P12ihipStream_tbNS1_7vsmem_tEEUlT_E_NS1_11comp_targetILNS1_3genE9ELNS1_11target_archE1100ELNS1_3gpuE3ELNS1_3repE0EEENS1_30default_config_static_selectorELNS0_4arch9wavefront6targetE0EEEvSK_.kd
    .uniform_work_group_size: 1
    .uses_dynamic_stack: false
    .vgpr_count:     0
    .vgpr_spill_count: 0
    .wavefront_size: 32
    .workgroup_processor_mode: 1
  - .args:
      - .offset:         0
        .size:           64
        .value_kind:     by_value
      - .offset:         64
        .size:           4
        .value_kind:     hidden_block_count_x
      - .offset:         68
        .size:           4
        .value_kind:     hidden_block_count_y
      - .offset:         72
        .size:           4
        .value_kind:     hidden_block_count_z
      - .offset:         76
        .size:           2
        .value_kind:     hidden_group_size_x
      - .offset:         78
        .size:           2
        .value_kind:     hidden_group_size_y
      - .offset:         80
        .size:           2
        .value_kind:     hidden_group_size_z
      - .offset:         82
        .size:           2
        .value_kind:     hidden_remainder_x
      - .offset:         84
        .size:           2
        .value_kind:     hidden_remainder_y
      - .offset:         86
        .size:           2
        .value_kind:     hidden_remainder_z
      - .offset:         104
        .size:           8
        .value_kind:     hidden_global_offset_x
      - .offset:         112
        .size:           8
        .value_kind:     hidden_global_offset_y
      - .offset:         120
        .size:           8
        .value_kind:     hidden_global_offset_z
      - .offset:         128
        .size:           2
        .value_kind:     hidden_grid_dims
    .group_segment_fixed_size: 8448
    .kernarg_segment_align: 8
    .kernarg_segment_size: 320
    .language:       OpenCL C
    .language_version:
      - 2
      - 0
    .max_flat_workgroup_size: 256
    .name:           _ZN7rocprim17ROCPRIM_400000_NS6detail17trampoline_kernelINS0_14default_configENS1_37merge_sort_block_sort_config_selectorIxNS0_10empty_typeEEEZNS1_21merge_sort_block_sortIS3_N6thrust23THRUST_200600_302600_NS6detail15normal_iteratorINS9_10device_ptrIxEEEESE_PS5_SF_11less_div_10IxEEE10hipError_tT0_T1_T2_T3_mRjT4_P12ihipStream_tbNS1_7vsmem_tEEUlT_E_NS1_11comp_targetILNS1_3genE8ELNS1_11target_archE1030ELNS1_3gpuE2ELNS1_3repE0EEENS1_30default_config_static_selectorELNS0_4arch9wavefront6targetE0EEEvSK_
    .private_segment_fixed_size: 0
    .sgpr_count:     22
    .sgpr_spill_count: 0
    .symbol:         _ZN7rocprim17ROCPRIM_400000_NS6detail17trampoline_kernelINS0_14default_configENS1_37merge_sort_block_sort_config_selectorIxNS0_10empty_typeEEEZNS1_21merge_sort_block_sortIS3_N6thrust23THRUST_200600_302600_NS6detail15normal_iteratorINS9_10device_ptrIxEEEESE_PS5_SF_11less_div_10IxEEE10hipError_tT0_T1_T2_T3_mRjT4_P12ihipStream_tbNS1_7vsmem_tEEUlT_E_NS1_11comp_targetILNS1_3genE8ELNS1_11target_archE1030ELNS1_3gpuE2ELNS1_3repE0EEENS1_30default_config_static_selectorELNS0_4arch9wavefront6targetE0EEEvSK_.kd
    .uniform_work_group_size: 1
    .uses_dynamic_stack: false
    .vgpr_count:     42
    .vgpr_spill_count: 0
    .wavefront_size: 32
    .workgroup_processor_mode: 1
  - .args:
      - .offset:         0
        .size:           48
        .value_kind:     by_value
    .group_segment_fixed_size: 0
    .kernarg_segment_align: 8
    .kernarg_segment_size: 48
    .language:       OpenCL C
    .language_version:
      - 2
      - 0
    .max_flat_workgroup_size: 128
    .name:           _ZN7rocprim17ROCPRIM_400000_NS6detail17trampoline_kernelINS0_14default_configENS1_38merge_sort_block_merge_config_selectorIxNS0_10empty_typeEEEZZNS1_27merge_sort_block_merge_implIS3_N6thrust23THRUST_200600_302600_NS6detail15normal_iteratorINS9_10device_ptrIxEEEEPS5_m11less_div_10IxEEE10hipError_tT0_T1_T2_jT3_P12ihipStream_tbPNSt15iterator_traitsISJ_E10value_typeEPNSP_ISK_E10value_typeEPSL_NS1_7vsmem_tEENKUlT_SJ_SK_SL_E_clIPxSE_SF_SF_EESI_SY_SJ_SK_SL_EUlSY_E_NS1_11comp_targetILNS1_3genE0ELNS1_11target_archE4294967295ELNS1_3gpuE0ELNS1_3repE0EEENS1_48merge_mergepath_partition_config_static_selectorELNS0_4arch9wavefront6targetE0EEEvSK_
    .private_segment_fixed_size: 0
    .sgpr_count:     0
    .sgpr_spill_count: 0
    .symbol:         _ZN7rocprim17ROCPRIM_400000_NS6detail17trampoline_kernelINS0_14default_configENS1_38merge_sort_block_merge_config_selectorIxNS0_10empty_typeEEEZZNS1_27merge_sort_block_merge_implIS3_N6thrust23THRUST_200600_302600_NS6detail15normal_iteratorINS9_10device_ptrIxEEEEPS5_m11less_div_10IxEEE10hipError_tT0_T1_T2_jT3_P12ihipStream_tbPNSt15iterator_traitsISJ_E10value_typeEPNSP_ISK_E10value_typeEPSL_NS1_7vsmem_tEENKUlT_SJ_SK_SL_E_clIPxSE_SF_SF_EESI_SY_SJ_SK_SL_EUlSY_E_NS1_11comp_targetILNS1_3genE0ELNS1_11target_archE4294967295ELNS1_3gpuE0ELNS1_3repE0EEENS1_48merge_mergepath_partition_config_static_selectorELNS0_4arch9wavefront6targetE0EEEvSK_.kd
    .uniform_work_group_size: 1
    .uses_dynamic_stack: false
    .vgpr_count:     0
    .vgpr_spill_count: 0
    .wavefront_size: 32
    .workgroup_processor_mode: 1
  - .args:
      - .offset:         0
        .size:           48
        .value_kind:     by_value
    .group_segment_fixed_size: 0
    .kernarg_segment_align: 8
    .kernarg_segment_size: 48
    .language:       OpenCL C
    .language_version:
      - 2
      - 0
    .max_flat_workgroup_size: 128
    .name:           _ZN7rocprim17ROCPRIM_400000_NS6detail17trampoline_kernelINS0_14default_configENS1_38merge_sort_block_merge_config_selectorIxNS0_10empty_typeEEEZZNS1_27merge_sort_block_merge_implIS3_N6thrust23THRUST_200600_302600_NS6detail15normal_iteratorINS9_10device_ptrIxEEEEPS5_m11less_div_10IxEEE10hipError_tT0_T1_T2_jT3_P12ihipStream_tbPNSt15iterator_traitsISJ_E10value_typeEPNSP_ISK_E10value_typeEPSL_NS1_7vsmem_tEENKUlT_SJ_SK_SL_E_clIPxSE_SF_SF_EESI_SY_SJ_SK_SL_EUlSY_E_NS1_11comp_targetILNS1_3genE10ELNS1_11target_archE1201ELNS1_3gpuE5ELNS1_3repE0EEENS1_48merge_mergepath_partition_config_static_selectorELNS0_4arch9wavefront6targetE0EEEvSK_
    .private_segment_fixed_size: 0
    .sgpr_count:     0
    .sgpr_spill_count: 0
    .symbol:         _ZN7rocprim17ROCPRIM_400000_NS6detail17trampoline_kernelINS0_14default_configENS1_38merge_sort_block_merge_config_selectorIxNS0_10empty_typeEEEZZNS1_27merge_sort_block_merge_implIS3_N6thrust23THRUST_200600_302600_NS6detail15normal_iteratorINS9_10device_ptrIxEEEEPS5_m11less_div_10IxEEE10hipError_tT0_T1_T2_jT3_P12ihipStream_tbPNSt15iterator_traitsISJ_E10value_typeEPNSP_ISK_E10value_typeEPSL_NS1_7vsmem_tEENKUlT_SJ_SK_SL_E_clIPxSE_SF_SF_EESI_SY_SJ_SK_SL_EUlSY_E_NS1_11comp_targetILNS1_3genE10ELNS1_11target_archE1201ELNS1_3gpuE5ELNS1_3repE0EEENS1_48merge_mergepath_partition_config_static_selectorELNS0_4arch9wavefront6targetE0EEEvSK_.kd
    .uniform_work_group_size: 1
    .uses_dynamic_stack: false
    .vgpr_count:     0
    .vgpr_spill_count: 0
    .wavefront_size: 32
    .workgroup_processor_mode: 1
  - .args:
      - .offset:         0
        .size:           48
        .value_kind:     by_value
    .group_segment_fixed_size: 0
    .kernarg_segment_align: 8
    .kernarg_segment_size: 48
    .language:       OpenCL C
    .language_version:
      - 2
      - 0
    .max_flat_workgroup_size: 128
    .name:           _ZN7rocprim17ROCPRIM_400000_NS6detail17trampoline_kernelINS0_14default_configENS1_38merge_sort_block_merge_config_selectorIxNS0_10empty_typeEEEZZNS1_27merge_sort_block_merge_implIS3_N6thrust23THRUST_200600_302600_NS6detail15normal_iteratorINS9_10device_ptrIxEEEEPS5_m11less_div_10IxEEE10hipError_tT0_T1_T2_jT3_P12ihipStream_tbPNSt15iterator_traitsISJ_E10value_typeEPNSP_ISK_E10value_typeEPSL_NS1_7vsmem_tEENKUlT_SJ_SK_SL_E_clIPxSE_SF_SF_EESI_SY_SJ_SK_SL_EUlSY_E_NS1_11comp_targetILNS1_3genE5ELNS1_11target_archE942ELNS1_3gpuE9ELNS1_3repE0EEENS1_48merge_mergepath_partition_config_static_selectorELNS0_4arch9wavefront6targetE0EEEvSK_
    .private_segment_fixed_size: 0
    .sgpr_count:     0
    .sgpr_spill_count: 0
    .symbol:         _ZN7rocprim17ROCPRIM_400000_NS6detail17trampoline_kernelINS0_14default_configENS1_38merge_sort_block_merge_config_selectorIxNS0_10empty_typeEEEZZNS1_27merge_sort_block_merge_implIS3_N6thrust23THRUST_200600_302600_NS6detail15normal_iteratorINS9_10device_ptrIxEEEEPS5_m11less_div_10IxEEE10hipError_tT0_T1_T2_jT3_P12ihipStream_tbPNSt15iterator_traitsISJ_E10value_typeEPNSP_ISK_E10value_typeEPSL_NS1_7vsmem_tEENKUlT_SJ_SK_SL_E_clIPxSE_SF_SF_EESI_SY_SJ_SK_SL_EUlSY_E_NS1_11comp_targetILNS1_3genE5ELNS1_11target_archE942ELNS1_3gpuE9ELNS1_3repE0EEENS1_48merge_mergepath_partition_config_static_selectorELNS0_4arch9wavefront6targetE0EEEvSK_.kd
    .uniform_work_group_size: 1
    .uses_dynamic_stack: false
    .vgpr_count:     0
    .vgpr_spill_count: 0
    .wavefront_size: 32
    .workgroup_processor_mode: 1
  - .args:
      - .offset:         0
        .size:           48
        .value_kind:     by_value
    .group_segment_fixed_size: 0
    .kernarg_segment_align: 8
    .kernarg_segment_size: 48
    .language:       OpenCL C
    .language_version:
      - 2
      - 0
    .max_flat_workgroup_size: 128
    .name:           _ZN7rocprim17ROCPRIM_400000_NS6detail17trampoline_kernelINS0_14default_configENS1_38merge_sort_block_merge_config_selectorIxNS0_10empty_typeEEEZZNS1_27merge_sort_block_merge_implIS3_N6thrust23THRUST_200600_302600_NS6detail15normal_iteratorINS9_10device_ptrIxEEEEPS5_m11less_div_10IxEEE10hipError_tT0_T1_T2_jT3_P12ihipStream_tbPNSt15iterator_traitsISJ_E10value_typeEPNSP_ISK_E10value_typeEPSL_NS1_7vsmem_tEENKUlT_SJ_SK_SL_E_clIPxSE_SF_SF_EESI_SY_SJ_SK_SL_EUlSY_E_NS1_11comp_targetILNS1_3genE4ELNS1_11target_archE910ELNS1_3gpuE8ELNS1_3repE0EEENS1_48merge_mergepath_partition_config_static_selectorELNS0_4arch9wavefront6targetE0EEEvSK_
    .private_segment_fixed_size: 0
    .sgpr_count:     0
    .sgpr_spill_count: 0
    .symbol:         _ZN7rocprim17ROCPRIM_400000_NS6detail17trampoline_kernelINS0_14default_configENS1_38merge_sort_block_merge_config_selectorIxNS0_10empty_typeEEEZZNS1_27merge_sort_block_merge_implIS3_N6thrust23THRUST_200600_302600_NS6detail15normal_iteratorINS9_10device_ptrIxEEEEPS5_m11less_div_10IxEEE10hipError_tT0_T1_T2_jT3_P12ihipStream_tbPNSt15iterator_traitsISJ_E10value_typeEPNSP_ISK_E10value_typeEPSL_NS1_7vsmem_tEENKUlT_SJ_SK_SL_E_clIPxSE_SF_SF_EESI_SY_SJ_SK_SL_EUlSY_E_NS1_11comp_targetILNS1_3genE4ELNS1_11target_archE910ELNS1_3gpuE8ELNS1_3repE0EEENS1_48merge_mergepath_partition_config_static_selectorELNS0_4arch9wavefront6targetE0EEEvSK_.kd
    .uniform_work_group_size: 1
    .uses_dynamic_stack: false
    .vgpr_count:     0
    .vgpr_spill_count: 0
    .wavefront_size: 32
    .workgroup_processor_mode: 1
  - .args:
      - .offset:         0
        .size:           48
        .value_kind:     by_value
    .group_segment_fixed_size: 0
    .kernarg_segment_align: 8
    .kernarg_segment_size: 48
    .language:       OpenCL C
    .language_version:
      - 2
      - 0
    .max_flat_workgroup_size: 128
    .name:           _ZN7rocprim17ROCPRIM_400000_NS6detail17trampoline_kernelINS0_14default_configENS1_38merge_sort_block_merge_config_selectorIxNS0_10empty_typeEEEZZNS1_27merge_sort_block_merge_implIS3_N6thrust23THRUST_200600_302600_NS6detail15normal_iteratorINS9_10device_ptrIxEEEEPS5_m11less_div_10IxEEE10hipError_tT0_T1_T2_jT3_P12ihipStream_tbPNSt15iterator_traitsISJ_E10value_typeEPNSP_ISK_E10value_typeEPSL_NS1_7vsmem_tEENKUlT_SJ_SK_SL_E_clIPxSE_SF_SF_EESI_SY_SJ_SK_SL_EUlSY_E_NS1_11comp_targetILNS1_3genE3ELNS1_11target_archE908ELNS1_3gpuE7ELNS1_3repE0EEENS1_48merge_mergepath_partition_config_static_selectorELNS0_4arch9wavefront6targetE0EEEvSK_
    .private_segment_fixed_size: 0
    .sgpr_count:     0
    .sgpr_spill_count: 0
    .symbol:         _ZN7rocprim17ROCPRIM_400000_NS6detail17trampoline_kernelINS0_14default_configENS1_38merge_sort_block_merge_config_selectorIxNS0_10empty_typeEEEZZNS1_27merge_sort_block_merge_implIS3_N6thrust23THRUST_200600_302600_NS6detail15normal_iteratorINS9_10device_ptrIxEEEEPS5_m11less_div_10IxEEE10hipError_tT0_T1_T2_jT3_P12ihipStream_tbPNSt15iterator_traitsISJ_E10value_typeEPNSP_ISK_E10value_typeEPSL_NS1_7vsmem_tEENKUlT_SJ_SK_SL_E_clIPxSE_SF_SF_EESI_SY_SJ_SK_SL_EUlSY_E_NS1_11comp_targetILNS1_3genE3ELNS1_11target_archE908ELNS1_3gpuE7ELNS1_3repE0EEENS1_48merge_mergepath_partition_config_static_selectorELNS0_4arch9wavefront6targetE0EEEvSK_.kd
    .uniform_work_group_size: 1
    .uses_dynamic_stack: false
    .vgpr_count:     0
    .vgpr_spill_count: 0
    .wavefront_size: 32
    .workgroup_processor_mode: 1
  - .args:
      - .offset:         0
        .size:           48
        .value_kind:     by_value
    .group_segment_fixed_size: 0
    .kernarg_segment_align: 8
    .kernarg_segment_size: 48
    .language:       OpenCL C
    .language_version:
      - 2
      - 0
    .max_flat_workgroup_size: 128
    .name:           _ZN7rocprim17ROCPRIM_400000_NS6detail17trampoline_kernelINS0_14default_configENS1_38merge_sort_block_merge_config_selectorIxNS0_10empty_typeEEEZZNS1_27merge_sort_block_merge_implIS3_N6thrust23THRUST_200600_302600_NS6detail15normal_iteratorINS9_10device_ptrIxEEEEPS5_m11less_div_10IxEEE10hipError_tT0_T1_T2_jT3_P12ihipStream_tbPNSt15iterator_traitsISJ_E10value_typeEPNSP_ISK_E10value_typeEPSL_NS1_7vsmem_tEENKUlT_SJ_SK_SL_E_clIPxSE_SF_SF_EESI_SY_SJ_SK_SL_EUlSY_E_NS1_11comp_targetILNS1_3genE2ELNS1_11target_archE906ELNS1_3gpuE6ELNS1_3repE0EEENS1_48merge_mergepath_partition_config_static_selectorELNS0_4arch9wavefront6targetE0EEEvSK_
    .private_segment_fixed_size: 0
    .sgpr_count:     0
    .sgpr_spill_count: 0
    .symbol:         _ZN7rocprim17ROCPRIM_400000_NS6detail17trampoline_kernelINS0_14default_configENS1_38merge_sort_block_merge_config_selectorIxNS0_10empty_typeEEEZZNS1_27merge_sort_block_merge_implIS3_N6thrust23THRUST_200600_302600_NS6detail15normal_iteratorINS9_10device_ptrIxEEEEPS5_m11less_div_10IxEEE10hipError_tT0_T1_T2_jT3_P12ihipStream_tbPNSt15iterator_traitsISJ_E10value_typeEPNSP_ISK_E10value_typeEPSL_NS1_7vsmem_tEENKUlT_SJ_SK_SL_E_clIPxSE_SF_SF_EESI_SY_SJ_SK_SL_EUlSY_E_NS1_11comp_targetILNS1_3genE2ELNS1_11target_archE906ELNS1_3gpuE6ELNS1_3repE0EEENS1_48merge_mergepath_partition_config_static_selectorELNS0_4arch9wavefront6targetE0EEEvSK_.kd
    .uniform_work_group_size: 1
    .uses_dynamic_stack: false
    .vgpr_count:     0
    .vgpr_spill_count: 0
    .wavefront_size: 32
    .workgroup_processor_mode: 1
  - .args:
      - .offset:         0
        .size:           48
        .value_kind:     by_value
    .group_segment_fixed_size: 0
    .kernarg_segment_align: 8
    .kernarg_segment_size: 48
    .language:       OpenCL C
    .language_version:
      - 2
      - 0
    .max_flat_workgroup_size: 128
    .name:           _ZN7rocprim17ROCPRIM_400000_NS6detail17trampoline_kernelINS0_14default_configENS1_38merge_sort_block_merge_config_selectorIxNS0_10empty_typeEEEZZNS1_27merge_sort_block_merge_implIS3_N6thrust23THRUST_200600_302600_NS6detail15normal_iteratorINS9_10device_ptrIxEEEEPS5_m11less_div_10IxEEE10hipError_tT0_T1_T2_jT3_P12ihipStream_tbPNSt15iterator_traitsISJ_E10value_typeEPNSP_ISK_E10value_typeEPSL_NS1_7vsmem_tEENKUlT_SJ_SK_SL_E_clIPxSE_SF_SF_EESI_SY_SJ_SK_SL_EUlSY_E_NS1_11comp_targetILNS1_3genE9ELNS1_11target_archE1100ELNS1_3gpuE3ELNS1_3repE0EEENS1_48merge_mergepath_partition_config_static_selectorELNS0_4arch9wavefront6targetE0EEEvSK_
    .private_segment_fixed_size: 0
    .sgpr_count:     0
    .sgpr_spill_count: 0
    .symbol:         _ZN7rocprim17ROCPRIM_400000_NS6detail17trampoline_kernelINS0_14default_configENS1_38merge_sort_block_merge_config_selectorIxNS0_10empty_typeEEEZZNS1_27merge_sort_block_merge_implIS3_N6thrust23THRUST_200600_302600_NS6detail15normal_iteratorINS9_10device_ptrIxEEEEPS5_m11less_div_10IxEEE10hipError_tT0_T1_T2_jT3_P12ihipStream_tbPNSt15iterator_traitsISJ_E10value_typeEPNSP_ISK_E10value_typeEPSL_NS1_7vsmem_tEENKUlT_SJ_SK_SL_E_clIPxSE_SF_SF_EESI_SY_SJ_SK_SL_EUlSY_E_NS1_11comp_targetILNS1_3genE9ELNS1_11target_archE1100ELNS1_3gpuE3ELNS1_3repE0EEENS1_48merge_mergepath_partition_config_static_selectorELNS0_4arch9wavefront6targetE0EEEvSK_.kd
    .uniform_work_group_size: 1
    .uses_dynamic_stack: false
    .vgpr_count:     0
    .vgpr_spill_count: 0
    .wavefront_size: 32
    .workgroup_processor_mode: 1
  - .args:
      - .offset:         0
        .size:           48
        .value_kind:     by_value
    .group_segment_fixed_size: 0
    .kernarg_segment_align: 8
    .kernarg_segment_size: 48
    .language:       OpenCL C
    .language_version:
      - 2
      - 0
    .max_flat_workgroup_size: 128
    .name:           _ZN7rocprim17ROCPRIM_400000_NS6detail17trampoline_kernelINS0_14default_configENS1_38merge_sort_block_merge_config_selectorIxNS0_10empty_typeEEEZZNS1_27merge_sort_block_merge_implIS3_N6thrust23THRUST_200600_302600_NS6detail15normal_iteratorINS9_10device_ptrIxEEEEPS5_m11less_div_10IxEEE10hipError_tT0_T1_T2_jT3_P12ihipStream_tbPNSt15iterator_traitsISJ_E10value_typeEPNSP_ISK_E10value_typeEPSL_NS1_7vsmem_tEENKUlT_SJ_SK_SL_E_clIPxSE_SF_SF_EESI_SY_SJ_SK_SL_EUlSY_E_NS1_11comp_targetILNS1_3genE8ELNS1_11target_archE1030ELNS1_3gpuE2ELNS1_3repE0EEENS1_48merge_mergepath_partition_config_static_selectorELNS0_4arch9wavefront6targetE0EEEvSK_
    .private_segment_fixed_size: 0
    .sgpr_count:     10
    .sgpr_spill_count: 0
    .symbol:         _ZN7rocprim17ROCPRIM_400000_NS6detail17trampoline_kernelINS0_14default_configENS1_38merge_sort_block_merge_config_selectorIxNS0_10empty_typeEEEZZNS1_27merge_sort_block_merge_implIS3_N6thrust23THRUST_200600_302600_NS6detail15normal_iteratorINS9_10device_ptrIxEEEEPS5_m11less_div_10IxEEE10hipError_tT0_T1_T2_jT3_P12ihipStream_tbPNSt15iterator_traitsISJ_E10value_typeEPNSP_ISK_E10value_typeEPSL_NS1_7vsmem_tEENKUlT_SJ_SK_SL_E_clIPxSE_SF_SF_EESI_SY_SJ_SK_SL_EUlSY_E_NS1_11comp_targetILNS1_3genE8ELNS1_11target_archE1030ELNS1_3gpuE2ELNS1_3repE0EEENS1_48merge_mergepath_partition_config_static_selectorELNS0_4arch9wavefront6targetE0EEEvSK_.kd
    .uniform_work_group_size: 1
    .uses_dynamic_stack: false
    .vgpr_count:     18
    .vgpr_spill_count: 0
    .wavefront_size: 32
    .workgroup_processor_mode: 1
  - .args:
      - .offset:         0
        .size:           72
        .value_kind:     by_value
    .group_segment_fixed_size: 0
    .kernarg_segment_align: 8
    .kernarg_segment_size: 72
    .language:       OpenCL C
    .language_version:
      - 2
      - 0
    .max_flat_workgroup_size: 128
    .name:           _ZN7rocprim17ROCPRIM_400000_NS6detail17trampoline_kernelINS0_14default_configENS1_38merge_sort_block_merge_config_selectorIxNS0_10empty_typeEEEZZNS1_27merge_sort_block_merge_implIS3_N6thrust23THRUST_200600_302600_NS6detail15normal_iteratorINS9_10device_ptrIxEEEEPS5_m11less_div_10IxEEE10hipError_tT0_T1_T2_jT3_P12ihipStream_tbPNSt15iterator_traitsISJ_E10value_typeEPNSP_ISK_E10value_typeEPSL_NS1_7vsmem_tEENKUlT_SJ_SK_SL_E_clIPxSE_SF_SF_EESI_SY_SJ_SK_SL_EUlSY_E0_NS1_11comp_targetILNS1_3genE0ELNS1_11target_archE4294967295ELNS1_3gpuE0ELNS1_3repE0EEENS1_38merge_mergepath_config_static_selectorELNS0_4arch9wavefront6targetE0EEEvSK_
    .private_segment_fixed_size: 0
    .sgpr_count:     0
    .sgpr_spill_count: 0
    .symbol:         _ZN7rocprim17ROCPRIM_400000_NS6detail17trampoline_kernelINS0_14default_configENS1_38merge_sort_block_merge_config_selectorIxNS0_10empty_typeEEEZZNS1_27merge_sort_block_merge_implIS3_N6thrust23THRUST_200600_302600_NS6detail15normal_iteratorINS9_10device_ptrIxEEEEPS5_m11less_div_10IxEEE10hipError_tT0_T1_T2_jT3_P12ihipStream_tbPNSt15iterator_traitsISJ_E10value_typeEPNSP_ISK_E10value_typeEPSL_NS1_7vsmem_tEENKUlT_SJ_SK_SL_E_clIPxSE_SF_SF_EESI_SY_SJ_SK_SL_EUlSY_E0_NS1_11comp_targetILNS1_3genE0ELNS1_11target_archE4294967295ELNS1_3gpuE0ELNS1_3repE0EEENS1_38merge_mergepath_config_static_selectorELNS0_4arch9wavefront6targetE0EEEvSK_.kd
    .uniform_work_group_size: 1
    .uses_dynamic_stack: false
    .vgpr_count:     0
    .vgpr_spill_count: 0
    .wavefront_size: 32
    .workgroup_processor_mode: 1
  - .args:
      - .offset:         0
        .size:           72
        .value_kind:     by_value
    .group_segment_fixed_size: 0
    .kernarg_segment_align: 8
    .kernarg_segment_size: 72
    .language:       OpenCL C
    .language_version:
      - 2
      - 0
    .max_flat_workgroup_size: 512
    .name:           _ZN7rocprim17ROCPRIM_400000_NS6detail17trampoline_kernelINS0_14default_configENS1_38merge_sort_block_merge_config_selectorIxNS0_10empty_typeEEEZZNS1_27merge_sort_block_merge_implIS3_N6thrust23THRUST_200600_302600_NS6detail15normal_iteratorINS9_10device_ptrIxEEEEPS5_m11less_div_10IxEEE10hipError_tT0_T1_T2_jT3_P12ihipStream_tbPNSt15iterator_traitsISJ_E10value_typeEPNSP_ISK_E10value_typeEPSL_NS1_7vsmem_tEENKUlT_SJ_SK_SL_E_clIPxSE_SF_SF_EESI_SY_SJ_SK_SL_EUlSY_E0_NS1_11comp_targetILNS1_3genE10ELNS1_11target_archE1201ELNS1_3gpuE5ELNS1_3repE0EEENS1_38merge_mergepath_config_static_selectorELNS0_4arch9wavefront6targetE0EEEvSK_
    .private_segment_fixed_size: 0
    .sgpr_count:     0
    .sgpr_spill_count: 0
    .symbol:         _ZN7rocprim17ROCPRIM_400000_NS6detail17trampoline_kernelINS0_14default_configENS1_38merge_sort_block_merge_config_selectorIxNS0_10empty_typeEEEZZNS1_27merge_sort_block_merge_implIS3_N6thrust23THRUST_200600_302600_NS6detail15normal_iteratorINS9_10device_ptrIxEEEEPS5_m11less_div_10IxEEE10hipError_tT0_T1_T2_jT3_P12ihipStream_tbPNSt15iterator_traitsISJ_E10value_typeEPNSP_ISK_E10value_typeEPSL_NS1_7vsmem_tEENKUlT_SJ_SK_SL_E_clIPxSE_SF_SF_EESI_SY_SJ_SK_SL_EUlSY_E0_NS1_11comp_targetILNS1_3genE10ELNS1_11target_archE1201ELNS1_3gpuE5ELNS1_3repE0EEENS1_38merge_mergepath_config_static_selectorELNS0_4arch9wavefront6targetE0EEEvSK_.kd
    .uniform_work_group_size: 1
    .uses_dynamic_stack: false
    .vgpr_count:     0
    .vgpr_spill_count: 0
    .wavefront_size: 32
    .workgroup_processor_mode: 1
  - .args:
      - .offset:         0
        .size:           72
        .value_kind:     by_value
    .group_segment_fixed_size: 0
    .kernarg_segment_align: 8
    .kernarg_segment_size: 72
    .language:       OpenCL C
    .language_version:
      - 2
      - 0
    .max_flat_workgroup_size: 128
    .name:           _ZN7rocprim17ROCPRIM_400000_NS6detail17trampoline_kernelINS0_14default_configENS1_38merge_sort_block_merge_config_selectorIxNS0_10empty_typeEEEZZNS1_27merge_sort_block_merge_implIS3_N6thrust23THRUST_200600_302600_NS6detail15normal_iteratorINS9_10device_ptrIxEEEEPS5_m11less_div_10IxEEE10hipError_tT0_T1_T2_jT3_P12ihipStream_tbPNSt15iterator_traitsISJ_E10value_typeEPNSP_ISK_E10value_typeEPSL_NS1_7vsmem_tEENKUlT_SJ_SK_SL_E_clIPxSE_SF_SF_EESI_SY_SJ_SK_SL_EUlSY_E0_NS1_11comp_targetILNS1_3genE5ELNS1_11target_archE942ELNS1_3gpuE9ELNS1_3repE0EEENS1_38merge_mergepath_config_static_selectorELNS0_4arch9wavefront6targetE0EEEvSK_
    .private_segment_fixed_size: 0
    .sgpr_count:     0
    .sgpr_spill_count: 0
    .symbol:         _ZN7rocprim17ROCPRIM_400000_NS6detail17trampoline_kernelINS0_14default_configENS1_38merge_sort_block_merge_config_selectorIxNS0_10empty_typeEEEZZNS1_27merge_sort_block_merge_implIS3_N6thrust23THRUST_200600_302600_NS6detail15normal_iteratorINS9_10device_ptrIxEEEEPS5_m11less_div_10IxEEE10hipError_tT0_T1_T2_jT3_P12ihipStream_tbPNSt15iterator_traitsISJ_E10value_typeEPNSP_ISK_E10value_typeEPSL_NS1_7vsmem_tEENKUlT_SJ_SK_SL_E_clIPxSE_SF_SF_EESI_SY_SJ_SK_SL_EUlSY_E0_NS1_11comp_targetILNS1_3genE5ELNS1_11target_archE942ELNS1_3gpuE9ELNS1_3repE0EEENS1_38merge_mergepath_config_static_selectorELNS0_4arch9wavefront6targetE0EEEvSK_.kd
    .uniform_work_group_size: 1
    .uses_dynamic_stack: false
    .vgpr_count:     0
    .vgpr_spill_count: 0
    .wavefront_size: 32
    .workgroup_processor_mode: 1
  - .args:
      - .offset:         0
        .size:           72
        .value_kind:     by_value
    .group_segment_fixed_size: 0
    .kernarg_segment_align: 8
    .kernarg_segment_size: 72
    .language:       OpenCL C
    .language_version:
      - 2
      - 0
    .max_flat_workgroup_size: 256
    .name:           _ZN7rocprim17ROCPRIM_400000_NS6detail17trampoline_kernelINS0_14default_configENS1_38merge_sort_block_merge_config_selectorIxNS0_10empty_typeEEEZZNS1_27merge_sort_block_merge_implIS3_N6thrust23THRUST_200600_302600_NS6detail15normal_iteratorINS9_10device_ptrIxEEEEPS5_m11less_div_10IxEEE10hipError_tT0_T1_T2_jT3_P12ihipStream_tbPNSt15iterator_traitsISJ_E10value_typeEPNSP_ISK_E10value_typeEPSL_NS1_7vsmem_tEENKUlT_SJ_SK_SL_E_clIPxSE_SF_SF_EESI_SY_SJ_SK_SL_EUlSY_E0_NS1_11comp_targetILNS1_3genE4ELNS1_11target_archE910ELNS1_3gpuE8ELNS1_3repE0EEENS1_38merge_mergepath_config_static_selectorELNS0_4arch9wavefront6targetE0EEEvSK_
    .private_segment_fixed_size: 0
    .sgpr_count:     0
    .sgpr_spill_count: 0
    .symbol:         _ZN7rocprim17ROCPRIM_400000_NS6detail17trampoline_kernelINS0_14default_configENS1_38merge_sort_block_merge_config_selectorIxNS0_10empty_typeEEEZZNS1_27merge_sort_block_merge_implIS3_N6thrust23THRUST_200600_302600_NS6detail15normal_iteratorINS9_10device_ptrIxEEEEPS5_m11less_div_10IxEEE10hipError_tT0_T1_T2_jT3_P12ihipStream_tbPNSt15iterator_traitsISJ_E10value_typeEPNSP_ISK_E10value_typeEPSL_NS1_7vsmem_tEENKUlT_SJ_SK_SL_E_clIPxSE_SF_SF_EESI_SY_SJ_SK_SL_EUlSY_E0_NS1_11comp_targetILNS1_3genE4ELNS1_11target_archE910ELNS1_3gpuE8ELNS1_3repE0EEENS1_38merge_mergepath_config_static_selectorELNS0_4arch9wavefront6targetE0EEEvSK_.kd
    .uniform_work_group_size: 1
    .uses_dynamic_stack: false
    .vgpr_count:     0
    .vgpr_spill_count: 0
    .wavefront_size: 32
    .workgroup_processor_mode: 1
  - .args:
      - .offset:         0
        .size:           72
        .value_kind:     by_value
    .group_segment_fixed_size: 0
    .kernarg_segment_align: 8
    .kernarg_segment_size: 72
    .language:       OpenCL C
    .language_version:
      - 2
      - 0
    .max_flat_workgroup_size: 128
    .name:           _ZN7rocprim17ROCPRIM_400000_NS6detail17trampoline_kernelINS0_14default_configENS1_38merge_sort_block_merge_config_selectorIxNS0_10empty_typeEEEZZNS1_27merge_sort_block_merge_implIS3_N6thrust23THRUST_200600_302600_NS6detail15normal_iteratorINS9_10device_ptrIxEEEEPS5_m11less_div_10IxEEE10hipError_tT0_T1_T2_jT3_P12ihipStream_tbPNSt15iterator_traitsISJ_E10value_typeEPNSP_ISK_E10value_typeEPSL_NS1_7vsmem_tEENKUlT_SJ_SK_SL_E_clIPxSE_SF_SF_EESI_SY_SJ_SK_SL_EUlSY_E0_NS1_11comp_targetILNS1_3genE3ELNS1_11target_archE908ELNS1_3gpuE7ELNS1_3repE0EEENS1_38merge_mergepath_config_static_selectorELNS0_4arch9wavefront6targetE0EEEvSK_
    .private_segment_fixed_size: 0
    .sgpr_count:     0
    .sgpr_spill_count: 0
    .symbol:         _ZN7rocprim17ROCPRIM_400000_NS6detail17trampoline_kernelINS0_14default_configENS1_38merge_sort_block_merge_config_selectorIxNS0_10empty_typeEEEZZNS1_27merge_sort_block_merge_implIS3_N6thrust23THRUST_200600_302600_NS6detail15normal_iteratorINS9_10device_ptrIxEEEEPS5_m11less_div_10IxEEE10hipError_tT0_T1_T2_jT3_P12ihipStream_tbPNSt15iterator_traitsISJ_E10value_typeEPNSP_ISK_E10value_typeEPSL_NS1_7vsmem_tEENKUlT_SJ_SK_SL_E_clIPxSE_SF_SF_EESI_SY_SJ_SK_SL_EUlSY_E0_NS1_11comp_targetILNS1_3genE3ELNS1_11target_archE908ELNS1_3gpuE7ELNS1_3repE0EEENS1_38merge_mergepath_config_static_selectorELNS0_4arch9wavefront6targetE0EEEvSK_.kd
    .uniform_work_group_size: 1
    .uses_dynamic_stack: false
    .vgpr_count:     0
    .vgpr_spill_count: 0
    .wavefront_size: 32
    .workgroup_processor_mode: 1
  - .args:
      - .offset:         0
        .size:           72
        .value_kind:     by_value
    .group_segment_fixed_size: 0
    .kernarg_segment_align: 8
    .kernarg_segment_size: 72
    .language:       OpenCL C
    .language_version:
      - 2
      - 0
    .max_flat_workgroup_size: 256
    .name:           _ZN7rocprim17ROCPRIM_400000_NS6detail17trampoline_kernelINS0_14default_configENS1_38merge_sort_block_merge_config_selectorIxNS0_10empty_typeEEEZZNS1_27merge_sort_block_merge_implIS3_N6thrust23THRUST_200600_302600_NS6detail15normal_iteratorINS9_10device_ptrIxEEEEPS5_m11less_div_10IxEEE10hipError_tT0_T1_T2_jT3_P12ihipStream_tbPNSt15iterator_traitsISJ_E10value_typeEPNSP_ISK_E10value_typeEPSL_NS1_7vsmem_tEENKUlT_SJ_SK_SL_E_clIPxSE_SF_SF_EESI_SY_SJ_SK_SL_EUlSY_E0_NS1_11comp_targetILNS1_3genE2ELNS1_11target_archE906ELNS1_3gpuE6ELNS1_3repE0EEENS1_38merge_mergepath_config_static_selectorELNS0_4arch9wavefront6targetE0EEEvSK_
    .private_segment_fixed_size: 0
    .sgpr_count:     0
    .sgpr_spill_count: 0
    .symbol:         _ZN7rocprim17ROCPRIM_400000_NS6detail17trampoline_kernelINS0_14default_configENS1_38merge_sort_block_merge_config_selectorIxNS0_10empty_typeEEEZZNS1_27merge_sort_block_merge_implIS3_N6thrust23THRUST_200600_302600_NS6detail15normal_iteratorINS9_10device_ptrIxEEEEPS5_m11less_div_10IxEEE10hipError_tT0_T1_T2_jT3_P12ihipStream_tbPNSt15iterator_traitsISJ_E10value_typeEPNSP_ISK_E10value_typeEPSL_NS1_7vsmem_tEENKUlT_SJ_SK_SL_E_clIPxSE_SF_SF_EESI_SY_SJ_SK_SL_EUlSY_E0_NS1_11comp_targetILNS1_3genE2ELNS1_11target_archE906ELNS1_3gpuE6ELNS1_3repE0EEENS1_38merge_mergepath_config_static_selectorELNS0_4arch9wavefront6targetE0EEEvSK_.kd
    .uniform_work_group_size: 1
    .uses_dynamic_stack: false
    .vgpr_count:     0
    .vgpr_spill_count: 0
    .wavefront_size: 32
    .workgroup_processor_mode: 1
  - .args:
      - .offset:         0
        .size:           72
        .value_kind:     by_value
    .group_segment_fixed_size: 0
    .kernarg_segment_align: 8
    .kernarg_segment_size: 72
    .language:       OpenCL C
    .language_version:
      - 2
      - 0
    .max_flat_workgroup_size: 512
    .name:           _ZN7rocprim17ROCPRIM_400000_NS6detail17trampoline_kernelINS0_14default_configENS1_38merge_sort_block_merge_config_selectorIxNS0_10empty_typeEEEZZNS1_27merge_sort_block_merge_implIS3_N6thrust23THRUST_200600_302600_NS6detail15normal_iteratorINS9_10device_ptrIxEEEEPS5_m11less_div_10IxEEE10hipError_tT0_T1_T2_jT3_P12ihipStream_tbPNSt15iterator_traitsISJ_E10value_typeEPNSP_ISK_E10value_typeEPSL_NS1_7vsmem_tEENKUlT_SJ_SK_SL_E_clIPxSE_SF_SF_EESI_SY_SJ_SK_SL_EUlSY_E0_NS1_11comp_targetILNS1_3genE9ELNS1_11target_archE1100ELNS1_3gpuE3ELNS1_3repE0EEENS1_38merge_mergepath_config_static_selectorELNS0_4arch9wavefront6targetE0EEEvSK_
    .private_segment_fixed_size: 0
    .sgpr_count:     0
    .sgpr_spill_count: 0
    .symbol:         _ZN7rocprim17ROCPRIM_400000_NS6detail17trampoline_kernelINS0_14default_configENS1_38merge_sort_block_merge_config_selectorIxNS0_10empty_typeEEEZZNS1_27merge_sort_block_merge_implIS3_N6thrust23THRUST_200600_302600_NS6detail15normal_iteratorINS9_10device_ptrIxEEEEPS5_m11less_div_10IxEEE10hipError_tT0_T1_T2_jT3_P12ihipStream_tbPNSt15iterator_traitsISJ_E10value_typeEPNSP_ISK_E10value_typeEPSL_NS1_7vsmem_tEENKUlT_SJ_SK_SL_E_clIPxSE_SF_SF_EESI_SY_SJ_SK_SL_EUlSY_E0_NS1_11comp_targetILNS1_3genE9ELNS1_11target_archE1100ELNS1_3gpuE3ELNS1_3repE0EEENS1_38merge_mergepath_config_static_selectorELNS0_4arch9wavefront6targetE0EEEvSK_.kd
    .uniform_work_group_size: 1
    .uses_dynamic_stack: false
    .vgpr_count:     0
    .vgpr_spill_count: 0
    .wavefront_size: 32
    .workgroup_processor_mode: 1
  - .args:
      - .offset:         0
        .size:           72
        .value_kind:     by_value
      - .offset:         72
        .size:           4
        .value_kind:     hidden_block_count_x
      - .offset:         76
        .size:           4
        .value_kind:     hidden_block_count_y
      - .offset:         80
        .size:           4
        .value_kind:     hidden_block_count_z
      - .offset:         84
        .size:           2
        .value_kind:     hidden_group_size_x
      - .offset:         86
        .size:           2
        .value_kind:     hidden_group_size_y
      - .offset:         88
        .size:           2
        .value_kind:     hidden_group_size_z
      - .offset:         90
        .size:           2
        .value_kind:     hidden_remainder_x
      - .offset:         92
        .size:           2
        .value_kind:     hidden_remainder_y
      - .offset:         94
        .size:           2
        .value_kind:     hidden_remainder_z
      - .offset:         112
        .size:           8
        .value_kind:     hidden_global_offset_x
      - .offset:         120
        .size:           8
        .value_kind:     hidden_global_offset_y
      - .offset:         128
        .size:           8
        .value_kind:     hidden_global_offset_z
      - .offset:         136
        .size:           2
        .value_kind:     hidden_grid_dims
    .group_segment_fixed_size: 8208
    .kernarg_segment_align: 8
    .kernarg_segment_size: 328
    .language:       OpenCL C
    .language_version:
      - 2
      - 0
    .max_flat_workgroup_size: 1024
    .name:           _ZN7rocprim17ROCPRIM_400000_NS6detail17trampoline_kernelINS0_14default_configENS1_38merge_sort_block_merge_config_selectorIxNS0_10empty_typeEEEZZNS1_27merge_sort_block_merge_implIS3_N6thrust23THRUST_200600_302600_NS6detail15normal_iteratorINS9_10device_ptrIxEEEEPS5_m11less_div_10IxEEE10hipError_tT0_T1_T2_jT3_P12ihipStream_tbPNSt15iterator_traitsISJ_E10value_typeEPNSP_ISK_E10value_typeEPSL_NS1_7vsmem_tEENKUlT_SJ_SK_SL_E_clIPxSE_SF_SF_EESI_SY_SJ_SK_SL_EUlSY_E0_NS1_11comp_targetILNS1_3genE8ELNS1_11target_archE1030ELNS1_3gpuE2ELNS1_3repE0EEENS1_38merge_mergepath_config_static_selectorELNS0_4arch9wavefront6targetE0EEEvSK_
    .private_segment_fixed_size: 0
    .sgpr_count:     25
    .sgpr_spill_count: 0
    .symbol:         _ZN7rocprim17ROCPRIM_400000_NS6detail17trampoline_kernelINS0_14default_configENS1_38merge_sort_block_merge_config_selectorIxNS0_10empty_typeEEEZZNS1_27merge_sort_block_merge_implIS3_N6thrust23THRUST_200600_302600_NS6detail15normal_iteratorINS9_10device_ptrIxEEEEPS5_m11less_div_10IxEEE10hipError_tT0_T1_T2_jT3_P12ihipStream_tbPNSt15iterator_traitsISJ_E10value_typeEPNSP_ISK_E10value_typeEPSL_NS1_7vsmem_tEENKUlT_SJ_SK_SL_E_clIPxSE_SF_SF_EESI_SY_SJ_SK_SL_EUlSY_E0_NS1_11comp_targetILNS1_3genE8ELNS1_11target_archE1030ELNS1_3gpuE2ELNS1_3repE0EEENS1_38merge_mergepath_config_static_selectorELNS0_4arch9wavefront6targetE0EEEvSK_.kd
    .uniform_work_group_size: 1
    .uses_dynamic_stack: false
    .vgpr_count:     13
    .vgpr_spill_count: 0
    .wavefront_size: 32
    .workgroup_processor_mode: 1
  - .args:
      - .offset:         0
        .size:           56
        .value_kind:     by_value
    .group_segment_fixed_size: 0
    .kernarg_segment_align: 8
    .kernarg_segment_size: 56
    .language:       OpenCL C
    .language_version:
      - 2
      - 0
    .max_flat_workgroup_size: 256
    .name:           _ZN7rocprim17ROCPRIM_400000_NS6detail17trampoline_kernelINS0_14default_configENS1_38merge_sort_block_merge_config_selectorIxNS0_10empty_typeEEEZZNS1_27merge_sort_block_merge_implIS3_N6thrust23THRUST_200600_302600_NS6detail15normal_iteratorINS9_10device_ptrIxEEEEPS5_m11less_div_10IxEEE10hipError_tT0_T1_T2_jT3_P12ihipStream_tbPNSt15iterator_traitsISJ_E10value_typeEPNSP_ISK_E10value_typeEPSL_NS1_7vsmem_tEENKUlT_SJ_SK_SL_E_clIPxSE_SF_SF_EESI_SY_SJ_SK_SL_EUlSY_E1_NS1_11comp_targetILNS1_3genE0ELNS1_11target_archE4294967295ELNS1_3gpuE0ELNS1_3repE0EEENS1_36merge_oddeven_config_static_selectorELNS0_4arch9wavefront6targetE0EEEvSK_
    .private_segment_fixed_size: 0
    .sgpr_count:     0
    .sgpr_spill_count: 0
    .symbol:         _ZN7rocprim17ROCPRIM_400000_NS6detail17trampoline_kernelINS0_14default_configENS1_38merge_sort_block_merge_config_selectorIxNS0_10empty_typeEEEZZNS1_27merge_sort_block_merge_implIS3_N6thrust23THRUST_200600_302600_NS6detail15normal_iteratorINS9_10device_ptrIxEEEEPS5_m11less_div_10IxEEE10hipError_tT0_T1_T2_jT3_P12ihipStream_tbPNSt15iterator_traitsISJ_E10value_typeEPNSP_ISK_E10value_typeEPSL_NS1_7vsmem_tEENKUlT_SJ_SK_SL_E_clIPxSE_SF_SF_EESI_SY_SJ_SK_SL_EUlSY_E1_NS1_11comp_targetILNS1_3genE0ELNS1_11target_archE4294967295ELNS1_3gpuE0ELNS1_3repE0EEENS1_36merge_oddeven_config_static_selectorELNS0_4arch9wavefront6targetE0EEEvSK_.kd
    .uniform_work_group_size: 1
    .uses_dynamic_stack: false
    .vgpr_count:     0
    .vgpr_spill_count: 0
    .wavefront_size: 32
    .workgroup_processor_mode: 1
  - .args:
      - .offset:         0
        .size:           56
        .value_kind:     by_value
    .group_segment_fixed_size: 0
    .kernarg_segment_align: 8
    .kernarg_segment_size: 56
    .language:       OpenCL C
    .language_version:
      - 2
      - 0
    .max_flat_workgroup_size: 256
    .name:           _ZN7rocprim17ROCPRIM_400000_NS6detail17trampoline_kernelINS0_14default_configENS1_38merge_sort_block_merge_config_selectorIxNS0_10empty_typeEEEZZNS1_27merge_sort_block_merge_implIS3_N6thrust23THRUST_200600_302600_NS6detail15normal_iteratorINS9_10device_ptrIxEEEEPS5_m11less_div_10IxEEE10hipError_tT0_T1_T2_jT3_P12ihipStream_tbPNSt15iterator_traitsISJ_E10value_typeEPNSP_ISK_E10value_typeEPSL_NS1_7vsmem_tEENKUlT_SJ_SK_SL_E_clIPxSE_SF_SF_EESI_SY_SJ_SK_SL_EUlSY_E1_NS1_11comp_targetILNS1_3genE10ELNS1_11target_archE1201ELNS1_3gpuE5ELNS1_3repE0EEENS1_36merge_oddeven_config_static_selectorELNS0_4arch9wavefront6targetE0EEEvSK_
    .private_segment_fixed_size: 0
    .sgpr_count:     0
    .sgpr_spill_count: 0
    .symbol:         _ZN7rocprim17ROCPRIM_400000_NS6detail17trampoline_kernelINS0_14default_configENS1_38merge_sort_block_merge_config_selectorIxNS0_10empty_typeEEEZZNS1_27merge_sort_block_merge_implIS3_N6thrust23THRUST_200600_302600_NS6detail15normal_iteratorINS9_10device_ptrIxEEEEPS5_m11less_div_10IxEEE10hipError_tT0_T1_T2_jT3_P12ihipStream_tbPNSt15iterator_traitsISJ_E10value_typeEPNSP_ISK_E10value_typeEPSL_NS1_7vsmem_tEENKUlT_SJ_SK_SL_E_clIPxSE_SF_SF_EESI_SY_SJ_SK_SL_EUlSY_E1_NS1_11comp_targetILNS1_3genE10ELNS1_11target_archE1201ELNS1_3gpuE5ELNS1_3repE0EEENS1_36merge_oddeven_config_static_selectorELNS0_4arch9wavefront6targetE0EEEvSK_.kd
    .uniform_work_group_size: 1
    .uses_dynamic_stack: false
    .vgpr_count:     0
    .vgpr_spill_count: 0
    .wavefront_size: 32
    .workgroup_processor_mode: 1
  - .args:
      - .offset:         0
        .size:           56
        .value_kind:     by_value
    .group_segment_fixed_size: 0
    .kernarg_segment_align: 8
    .kernarg_segment_size: 56
    .language:       OpenCL C
    .language_version:
      - 2
      - 0
    .max_flat_workgroup_size: 256
    .name:           _ZN7rocprim17ROCPRIM_400000_NS6detail17trampoline_kernelINS0_14default_configENS1_38merge_sort_block_merge_config_selectorIxNS0_10empty_typeEEEZZNS1_27merge_sort_block_merge_implIS3_N6thrust23THRUST_200600_302600_NS6detail15normal_iteratorINS9_10device_ptrIxEEEEPS5_m11less_div_10IxEEE10hipError_tT0_T1_T2_jT3_P12ihipStream_tbPNSt15iterator_traitsISJ_E10value_typeEPNSP_ISK_E10value_typeEPSL_NS1_7vsmem_tEENKUlT_SJ_SK_SL_E_clIPxSE_SF_SF_EESI_SY_SJ_SK_SL_EUlSY_E1_NS1_11comp_targetILNS1_3genE5ELNS1_11target_archE942ELNS1_3gpuE9ELNS1_3repE0EEENS1_36merge_oddeven_config_static_selectorELNS0_4arch9wavefront6targetE0EEEvSK_
    .private_segment_fixed_size: 0
    .sgpr_count:     0
    .sgpr_spill_count: 0
    .symbol:         _ZN7rocprim17ROCPRIM_400000_NS6detail17trampoline_kernelINS0_14default_configENS1_38merge_sort_block_merge_config_selectorIxNS0_10empty_typeEEEZZNS1_27merge_sort_block_merge_implIS3_N6thrust23THRUST_200600_302600_NS6detail15normal_iteratorINS9_10device_ptrIxEEEEPS5_m11less_div_10IxEEE10hipError_tT0_T1_T2_jT3_P12ihipStream_tbPNSt15iterator_traitsISJ_E10value_typeEPNSP_ISK_E10value_typeEPSL_NS1_7vsmem_tEENKUlT_SJ_SK_SL_E_clIPxSE_SF_SF_EESI_SY_SJ_SK_SL_EUlSY_E1_NS1_11comp_targetILNS1_3genE5ELNS1_11target_archE942ELNS1_3gpuE9ELNS1_3repE0EEENS1_36merge_oddeven_config_static_selectorELNS0_4arch9wavefront6targetE0EEEvSK_.kd
    .uniform_work_group_size: 1
    .uses_dynamic_stack: false
    .vgpr_count:     0
    .vgpr_spill_count: 0
    .wavefront_size: 32
    .workgroup_processor_mode: 1
  - .args:
      - .offset:         0
        .size:           56
        .value_kind:     by_value
    .group_segment_fixed_size: 0
    .kernarg_segment_align: 8
    .kernarg_segment_size: 56
    .language:       OpenCL C
    .language_version:
      - 2
      - 0
    .max_flat_workgroup_size: 256
    .name:           _ZN7rocprim17ROCPRIM_400000_NS6detail17trampoline_kernelINS0_14default_configENS1_38merge_sort_block_merge_config_selectorIxNS0_10empty_typeEEEZZNS1_27merge_sort_block_merge_implIS3_N6thrust23THRUST_200600_302600_NS6detail15normal_iteratorINS9_10device_ptrIxEEEEPS5_m11less_div_10IxEEE10hipError_tT0_T1_T2_jT3_P12ihipStream_tbPNSt15iterator_traitsISJ_E10value_typeEPNSP_ISK_E10value_typeEPSL_NS1_7vsmem_tEENKUlT_SJ_SK_SL_E_clIPxSE_SF_SF_EESI_SY_SJ_SK_SL_EUlSY_E1_NS1_11comp_targetILNS1_3genE4ELNS1_11target_archE910ELNS1_3gpuE8ELNS1_3repE0EEENS1_36merge_oddeven_config_static_selectorELNS0_4arch9wavefront6targetE0EEEvSK_
    .private_segment_fixed_size: 0
    .sgpr_count:     0
    .sgpr_spill_count: 0
    .symbol:         _ZN7rocprim17ROCPRIM_400000_NS6detail17trampoline_kernelINS0_14default_configENS1_38merge_sort_block_merge_config_selectorIxNS0_10empty_typeEEEZZNS1_27merge_sort_block_merge_implIS3_N6thrust23THRUST_200600_302600_NS6detail15normal_iteratorINS9_10device_ptrIxEEEEPS5_m11less_div_10IxEEE10hipError_tT0_T1_T2_jT3_P12ihipStream_tbPNSt15iterator_traitsISJ_E10value_typeEPNSP_ISK_E10value_typeEPSL_NS1_7vsmem_tEENKUlT_SJ_SK_SL_E_clIPxSE_SF_SF_EESI_SY_SJ_SK_SL_EUlSY_E1_NS1_11comp_targetILNS1_3genE4ELNS1_11target_archE910ELNS1_3gpuE8ELNS1_3repE0EEENS1_36merge_oddeven_config_static_selectorELNS0_4arch9wavefront6targetE0EEEvSK_.kd
    .uniform_work_group_size: 1
    .uses_dynamic_stack: false
    .vgpr_count:     0
    .vgpr_spill_count: 0
    .wavefront_size: 32
    .workgroup_processor_mode: 1
  - .args:
      - .offset:         0
        .size:           56
        .value_kind:     by_value
    .group_segment_fixed_size: 0
    .kernarg_segment_align: 8
    .kernarg_segment_size: 56
    .language:       OpenCL C
    .language_version:
      - 2
      - 0
    .max_flat_workgroup_size: 256
    .name:           _ZN7rocprim17ROCPRIM_400000_NS6detail17trampoline_kernelINS0_14default_configENS1_38merge_sort_block_merge_config_selectorIxNS0_10empty_typeEEEZZNS1_27merge_sort_block_merge_implIS3_N6thrust23THRUST_200600_302600_NS6detail15normal_iteratorINS9_10device_ptrIxEEEEPS5_m11less_div_10IxEEE10hipError_tT0_T1_T2_jT3_P12ihipStream_tbPNSt15iterator_traitsISJ_E10value_typeEPNSP_ISK_E10value_typeEPSL_NS1_7vsmem_tEENKUlT_SJ_SK_SL_E_clIPxSE_SF_SF_EESI_SY_SJ_SK_SL_EUlSY_E1_NS1_11comp_targetILNS1_3genE3ELNS1_11target_archE908ELNS1_3gpuE7ELNS1_3repE0EEENS1_36merge_oddeven_config_static_selectorELNS0_4arch9wavefront6targetE0EEEvSK_
    .private_segment_fixed_size: 0
    .sgpr_count:     0
    .sgpr_spill_count: 0
    .symbol:         _ZN7rocprim17ROCPRIM_400000_NS6detail17trampoline_kernelINS0_14default_configENS1_38merge_sort_block_merge_config_selectorIxNS0_10empty_typeEEEZZNS1_27merge_sort_block_merge_implIS3_N6thrust23THRUST_200600_302600_NS6detail15normal_iteratorINS9_10device_ptrIxEEEEPS5_m11less_div_10IxEEE10hipError_tT0_T1_T2_jT3_P12ihipStream_tbPNSt15iterator_traitsISJ_E10value_typeEPNSP_ISK_E10value_typeEPSL_NS1_7vsmem_tEENKUlT_SJ_SK_SL_E_clIPxSE_SF_SF_EESI_SY_SJ_SK_SL_EUlSY_E1_NS1_11comp_targetILNS1_3genE3ELNS1_11target_archE908ELNS1_3gpuE7ELNS1_3repE0EEENS1_36merge_oddeven_config_static_selectorELNS0_4arch9wavefront6targetE0EEEvSK_.kd
    .uniform_work_group_size: 1
    .uses_dynamic_stack: false
    .vgpr_count:     0
    .vgpr_spill_count: 0
    .wavefront_size: 32
    .workgroup_processor_mode: 1
  - .args:
      - .offset:         0
        .size:           56
        .value_kind:     by_value
    .group_segment_fixed_size: 0
    .kernarg_segment_align: 8
    .kernarg_segment_size: 56
    .language:       OpenCL C
    .language_version:
      - 2
      - 0
    .max_flat_workgroup_size: 256
    .name:           _ZN7rocprim17ROCPRIM_400000_NS6detail17trampoline_kernelINS0_14default_configENS1_38merge_sort_block_merge_config_selectorIxNS0_10empty_typeEEEZZNS1_27merge_sort_block_merge_implIS3_N6thrust23THRUST_200600_302600_NS6detail15normal_iteratorINS9_10device_ptrIxEEEEPS5_m11less_div_10IxEEE10hipError_tT0_T1_T2_jT3_P12ihipStream_tbPNSt15iterator_traitsISJ_E10value_typeEPNSP_ISK_E10value_typeEPSL_NS1_7vsmem_tEENKUlT_SJ_SK_SL_E_clIPxSE_SF_SF_EESI_SY_SJ_SK_SL_EUlSY_E1_NS1_11comp_targetILNS1_3genE2ELNS1_11target_archE906ELNS1_3gpuE6ELNS1_3repE0EEENS1_36merge_oddeven_config_static_selectorELNS0_4arch9wavefront6targetE0EEEvSK_
    .private_segment_fixed_size: 0
    .sgpr_count:     0
    .sgpr_spill_count: 0
    .symbol:         _ZN7rocprim17ROCPRIM_400000_NS6detail17trampoline_kernelINS0_14default_configENS1_38merge_sort_block_merge_config_selectorIxNS0_10empty_typeEEEZZNS1_27merge_sort_block_merge_implIS3_N6thrust23THRUST_200600_302600_NS6detail15normal_iteratorINS9_10device_ptrIxEEEEPS5_m11less_div_10IxEEE10hipError_tT0_T1_T2_jT3_P12ihipStream_tbPNSt15iterator_traitsISJ_E10value_typeEPNSP_ISK_E10value_typeEPSL_NS1_7vsmem_tEENKUlT_SJ_SK_SL_E_clIPxSE_SF_SF_EESI_SY_SJ_SK_SL_EUlSY_E1_NS1_11comp_targetILNS1_3genE2ELNS1_11target_archE906ELNS1_3gpuE6ELNS1_3repE0EEENS1_36merge_oddeven_config_static_selectorELNS0_4arch9wavefront6targetE0EEEvSK_.kd
    .uniform_work_group_size: 1
    .uses_dynamic_stack: false
    .vgpr_count:     0
    .vgpr_spill_count: 0
    .wavefront_size: 32
    .workgroup_processor_mode: 1
  - .args:
      - .offset:         0
        .size:           56
        .value_kind:     by_value
    .group_segment_fixed_size: 0
    .kernarg_segment_align: 8
    .kernarg_segment_size: 56
    .language:       OpenCL C
    .language_version:
      - 2
      - 0
    .max_flat_workgroup_size: 256
    .name:           _ZN7rocprim17ROCPRIM_400000_NS6detail17trampoline_kernelINS0_14default_configENS1_38merge_sort_block_merge_config_selectorIxNS0_10empty_typeEEEZZNS1_27merge_sort_block_merge_implIS3_N6thrust23THRUST_200600_302600_NS6detail15normal_iteratorINS9_10device_ptrIxEEEEPS5_m11less_div_10IxEEE10hipError_tT0_T1_T2_jT3_P12ihipStream_tbPNSt15iterator_traitsISJ_E10value_typeEPNSP_ISK_E10value_typeEPSL_NS1_7vsmem_tEENKUlT_SJ_SK_SL_E_clIPxSE_SF_SF_EESI_SY_SJ_SK_SL_EUlSY_E1_NS1_11comp_targetILNS1_3genE9ELNS1_11target_archE1100ELNS1_3gpuE3ELNS1_3repE0EEENS1_36merge_oddeven_config_static_selectorELNS0_4arch9wavefront6targetE0EEEvSK_
    .private_segment_fixed_size: 0
    .sgpr_count:     0
    .sgpr_spill_count: 0
    .symbol:         _ZN7rocprim17ROCPRIM_400000_NS6detail17trampoline_kernelINS0_14default_configENS1_38merge_sort_block_merge_config_selectorIxNS0_10empty_typeEEEZZNS1_27merge_sort_block_merge_implIS3_N6thrust23THRUST_200600_302600_NS6detail15normal_iteratorINS9_10device_ptrIxEEEEPS5_m11less_div_10IxEEE10hipError_tT0_T1_T2_jT3_P12ihipStream_tbPNSt15iterator_traitsISJ_E10value_typeEPNSP_ISK_E10value_typeEPSL_NS1_7vsmem_tEENKUlT_SJ_SK_SL_E_clIPxSE_SF_SF_EESI_SY_SJ_SK_SL_EUlSY_E1_NS1_11comp_targetILNS1_3genE9ELNS1_11target_archE1100ELNS1_3gpuE3ELNS1_3repE0EEENS1_36merge_oddeven_config_static_selectorELNS0_4arch9wavefront6targetE0EEEvSK_.kd
    .uniform_work_group_size: 1
    .uses_dynamic_stack: false
    .vgpr_count:     0
    .vgpr_spill_count: 0
    .wavefront_size: 32
    .workgroup_processor_mode: 1
  - .args:
      - .offset:         0
        .size:           56
        .value_kind:     by_value
    .group_segment_fixed_size: 0
    .kernarg_segment_align: 8
    .kernarg_segment_size: 56
    .language:       OpenCL C
    .language_version:
      - 2
      - 0
    .max_flat_workgroup_size: 256
    .name:           _ZN7rocprim17ROCPRIM_400000_NS6detail17trampoline_kernelINS0_14default_configENS1_38merge_sort_block_merge_config_selectorIxNS0_10empty_typeEEEZZNS1_27merge_sort_block_merge_implIS3_N6thrust23THRUST_200600_302600_NS6detail15normal_iteratorINS9_10device_ptrIxEEEEPS5_m11less_div_10IxEEE10hipError_tT0_T1_T2_jT3_P12ihipStream_tbPNSt15iterator_traitsISJ_E10value_typeEPNSP_ISK_E10value_typeEPSL_NS1_7vsmem_tEENKUlT_SJ_SK_SL_E_clIPxSE_SF_SF_EESI_SY_SJ_SK_SL_EUlSY_E1_NS1_11comp_targetILNS1_3genE8ELNS1_11target_archE1030ELNS1_3gpuE2ELNS1_3repE0EEENS1_36merge_oddeven_config_static_selectorELNS0_4arch9wavefront6targetE0EEEvSK_
    .private_segment_fixed_size: 0
    .sgpr_count:     18
    .sgpr_spill_count: 0
    .symbol:         _ZN7rocprim17ROCPRIM_400000_NS6detail17trampoline_kernelINS0_14default_configENS1_38merge_sort_block_merge_config_selectorIxNS0_10empty_typeEEEZZNS1_27merge_sort_block_merge_implIS3_N6thrust23THRUST_200600_302600_NS6detail15normal_iteratorINS9_10device_ptrIxEEEEPS5_m11less_div_10IxEEE10hipError_tT0_T1_T2_jT3_P12ihipStream_tbPNSt15iterator_traitsISJ_E10value_typeEPNSP_ISK_E10value_typeEPSL_NS1_7vsmem_tEENKUlT_SJ_SK_SL_E_clIPxSE_SF_SF_EESI_SY_SJ_SK_SL_EUlSY_E1_NS1_11comp_targetILNS1_3genE8ELNS1_11target_archE1030ELNS1_3gpuE2ELNS1_3repE0EEENS1_36merge_oddeven_config_static_selectorELNS0_4arch9wavefront6targetE0EEEvSK_.kd
    .uniform_work_group_size: 1
    .uses_dynamic_stack: false
    .vgpr_count:     10
    .vgpr_spill_count: 0
    .wavefront_size: 32
    .workgroup_processor_mode: 1
  - .args:
      - .offset:         0
        .size:           48
        .value_kind:     by_value
    .group_segment_fixed_size: 0
    .kernarg_segment_align: 8
    .kernarg_segment_size: 48
    .language:       OpenCL C
    .language_version:
      - 2
      - 0
    .max_flat_workgroup_size: 128
    .name:           _ZN7rocprim17ROCPRIM_400000_NS6detail17trampoline_kernelINS0_14default_configENS1_38merge_sort_block_merge_config_selectorIxNS0_10empty_typeEEEZZNS1_27merge_sort_block_merge_implIS3_N6thrust23THRUST_200600_302600_NS6detail15normal_iteratorINS9_10device_ptrIxEEEEPS5_m11less_div_10IxEEE10hipError_tT0_T1_T2_jT3_P12ihipStream_tbPNSt15iterator_traitsISJ_E10value_typeEPNSP_ISK_E10value_typeEPSL_NS1_7vsmem_tEENKUlT_SJ_SK_SL_E_clISE_PxSF_SF_EESI_SY_SJ_SK_SL_EUlSY_E_NS1_11comp_targetILNS1_3genE0ELNS1_11target_archE4294967295ELNS1_3gpuE0ELNS1_3repE0EEENS1_48merge_mergepath_partition_config_static_selectorELNS0_4arch9wavefront6targetE0EEEvSK_
    .private_segment_fixed_size: 0
    .sgpr_count:     0
    .sgpr_spill_count: 0
    .symbol:         _ZN7rocprim17ROCPRIM_400000_NS6detail17trampoline_kernelINS0_14default_configENS1_38merge_sort_block_merge_config_selectorIxNS0_10empty_typeEEEZZNS1_27merge_sort_block_merge_implIS3_N6thrust23THRUST_200600_302600_NS6detail15normal_iteratorINS9_10device_ptrIxEEEEPS5_m11less_div_10IxEEE10hipError_tT0_T1_T2_jT3_P12ihipStream_tbPNSt15iterator_traitsISJ_E10value_typeEPNSP_ISK_E10value_typeEPSL_NS1_7vsmem_tEENKUlT_SJ_SK_SL_E_clISE_PxSF_SF_EESI_SY_SJ_SK_SL_EUlSY_E_NS1_11comp_targetILNS1_3genE0ELNS1_11target_archE4294967295ELNS1_3gpuE0ELNS1_3repE0EEENS1_48merge_mergepath_partition_config_static_selectorELNS0_4arch9wavefront6targetE0EEEvSK_.kd
    .uniform_work_group_size: 1
    .uses_dynamic_stack: false
    .vgpr_count:     0
    .vgpr_spill_count: 0
    .wavefront_size: 32
    .workgroup_processor_mode: 1
  - .args:
      - .offset:         0
        .size:           48
        .value_kind:     by_value
    .group_segment_fixed_size: 0
    .kernarg_segment_align: 8
    .kernarg_segment_size: 48
    .language:       OpenCL C
    .language_version:
      - 2
      - 0
    .max_flat_workgroup_size: 128
    .name:           _ZN7rocprim17ROCPRIM_400000_NS6detail17trampoline_kernelINS0_14default_configENS1_38merge_sort_block_merge_config_selectorIxNS0_10empty_typeEEEZZNS1_27merge_sort_block_merge_implIS3_N6thrust23THRUST_200600_302600_NS6detail15normal_iteratorINS9_10device_ptrIxEEEEPS5_m11less_div_10IxEEE10hipError_tT0_T1_T2_jT3_P12ihipStream_tbPNSt15iterator_traitsISJ_E10value_typeEPNSP_ISK_E10value_typeEPSL_NS1_7vsmem_tEENKUlT_SJ_SK_SL_E_clISE_PxSF_SF_EESI_SY_SJ_SK_SL_EUlSY_E_NS1_11comp_targetILNS1_3genE10ELNS1_11target_archE1201ELNS1_3gpuE5ELNS1_3repE0EEENS1_48merge_mergepath_partition_config_static_selectorELNS0_4arch9wavefront6targetE0EEEvSK_
    .private_segment_fixed_size: 0
    .sgpr_count:     0
    .sgpr_spill_count: 0
    .symbol:         _ZN7rocprim17ROCPRIM_400000_NS6detail17trampoline_kernelINS0_14default_configENS1_38merge_sort_block_merge_config_selectorIxNS0_10empty_typeEEEZZNS1_27merge_sort_block_merge_implIS3_N6thrust23THRUST_200600_302600_NS6detail15normal_iteratorINS9_10device_ptrIxEEEEPS5_m11less_div_10IxEEE10hipError_tT0_T1_T2_jT3_P12ihipStream_tbPNSt15iterator_traitsISJ_E10value_typeEPNSP_ISK_E10value_typeEPSL_NS1_7vsmem_tEENKUlT_SJ_SK_SL_E_clISE_PxSF_SF_EESI_SY_SJ_SK_SL_EUlSY_E_NS1_11comp_targetILNS1_3genE10ELNS1_11target_archE1201ELNS1_3gpuE5ELNS1_3repE0EEENS1_48merge_mergepath_partition_config_static_selectorELNS0_4arch9wavefront6targetE0EEEvSK_.kd
    .uniform_work_group_size: 1
    .uses_dynamic_stack: false
    .vgpr_count:     0
    .vgpr_spill_count: 0
    .wavefront_size: 32
    .workgroup_processor_mode: 1
  - .args:
      - .offset:         0
        .size:           48
        .value_kind:     by_value
    .group_segment_fixed_size: 0
    .kernarg_segment_align: 8
    .kernarg_segment_size: 48
    .language:       OpenCL C
    .language_version:
      - 2
      - 0
    .max_flat_workgroup_size: 128
    .name:           _ZN7rocprim17ROCPRIM_400000_NS6detail17trampoline_kernelINS0_14default_configENS1_38merge_sort_block_merge_config_selectorIxNS0_10empty_typeEEEZZNS1_27merge_sort_block_merge_implIS3_N6thrust23THRUST_200600_302600_NS6detail15normal_iteratorINS9_10device_ptrIxEEEEPS5_m11less_div_10IxEEE10hipError_tT0_T1_T2_jT3_P12ihipStream_tbPNSt15iterator_traitsISJ_E10value_typeEPNSP_ISK_E10value_typeEPSL_NS1_7vsmem_tEENKUlT_SJ_SK_SL_E_clISE_PxSF_SF_EESI_SY_SJ_SK_SL_EUlSY_E_NS1_11comp_targetILNS1_3genE5ELNS1_11target_archE942ELNS1_3gpuE9ELNS1_3repE0EEENS1_48merge_mergepath_partition_config_static_selectorELNS0_4arch9wavefront6targetE0EEEvSK_
    .private_segment_fixed_size: 0
    .sgpr_count:     0
    .sgpr_spill_count: 0
    .symbol:         _ZN7rocprim17ROCPRIM_400000_NS6detail17trampoline_kernelINS0_14default_configENS1_38merge_sort_block_merge_config_selectorIxNS0_10empty_typeEEEZZNS1_27merge_sort_block_merge_implIS3_N6thrust23THRUST_200600_302600_NS6detail15normal_iteratorINS9_10device_ptrIxEEEEPS5_m11less_div_10IxEEE10hipError_tT0_T1_T2_jT3_P12ihipStream_tbPNSt15iterator_traitsISJ_E10value_typeEPNSP_ISK_E10value_typeEPSL_NS1_7vsmem_tEENKUlT_SJ_SK_SL_E_clISE_PxSF_SF_EESI_SY_SJ_SK_SL_EUlSY_E_NS1_11comp_targetILNS1_3genE5ELNS1_11target_archE942ELNS1_3gpuE9ELNS1_3repE0EEENS1_48merge_mergepath_partition_config_static_selectorELNS0_4arch9wavefront6targetE0EEEvSK_.kd
    .uniform_work_group_size: 1
    .uses_dynamic_stack: false
    .vgpr_count:     0
    .vgpr_spill_count: 0
    .wavefront_size: 32
    .workgroup_processor_mode: 1
  - .args:
      - .offset:         0
        .size:           48
        .value_kind:     by_value
    .group_segment_fixed_size: 0
    .kernarg_segment_align: 8
    .kernarg_segment_size: 48
    .language:       OpenCL C
    .language_version:
      - 2
      - 0
    .max_flat_workgroup_size: 128
    .name:           _ZN7rocprim17ROCPRIM_400000_NS6detail17trampoline_kernelINS0_14default_configENS1_38merge_sort_block_merge_config_selectorIxNS0_10empty_typeEEEZZNS1_27merge_sort_block_merge_implIS3_N6thrust23THRUST_200600_302600_NS6detail15normal_iteratorINS9_10device_ptrIxEEEEPS5_m11less_div_10IxEEE10hipError_tT0_T1_T2_jT3_P12ihipStream_tbPNSt15iterator_traitsISJ_E10value_typeEPNSP_ISK_E10value_typeEPSL_NS1_7vsmem_tEENKUlT_SJ_SK_SL_E_clISE_PxSF_SF_EESI_SY_SJ_SK_SL_EUlSY_E_NS1_11comp_targetILNS1_3genE4ELNS1_11target_archE910ELNS1_3gpuE8ELNS1_3repE0EEENS1_48merge_mergepath_partition_config_static_selectorELNS0_4arch9wavefront6targetE0EEEvSK_
    .private_segment_fixed_size: 0
    .sgpr_count:     0
    .sgpr_spill_count: 0
    .symbol:         _ZN7rocprim17ROCPRIM_400000_NS6detail17trampoline_kernelINS0_14default_configENS1_38merge_sort_block_merge_config_selectorIxNS0_10empty_typeEEEZZNS1_27merge_sort_block_merge_implIS3_N6thrust23THRUST_200600_302600_NS6detail15normal_iteratorINS9_10device_ptrIxEEEEPS5_m11less_div_10IxEEE10hipError_tT0_T1_T2_jT3_P12ihipStream_tbPNSt15iterator_traitsISJ_E10value_typeEPNSP_ISK_E10value_typeEPSL_NS1_7vsmem_tEENKUlT_SJ_SK_SL_E_clISE_PxSF_SF_EESI_SY_SJ_SK_SL_EUlSY_E_NS1_11comp_targetILNS1_3genE4ELNS1_11target_archE910ELNS1_3gpuE8ELNS1_3repE0EEENS1_48merge_mergepath_partition_config_static_selectorELNS0_4arch9wavefront6targetE0EEEvSK_.kd
    .uniform_work_group_size: 1
    .uses_dynamic_stack: false
    .vgpr_count:     0
    .vgpr_spill_count: 0
    .wavefront_size: 32
    .workgroup_processor_mode: 1
  - .args:
      - .offset:         0
        .size:           48
        .value_kind:     by_value
    .group_segment_fixed_size: 0
    .kernarg_segment_align: 8
    .kernarg_segment_size: 48
    .language:       OpenCL C
    .language_version:
      - 2
      - 0
    .max_flat_workgroup_size: 128
    .name:           _ZN7rocprim17ROCPRIM_400000_NS6detail17trampoline_kernelINS0_14default_configENS1_38merge_sort_block_merge_config_selectorIxNS0_10empty_typeEEEZZNS1_27merge_sort_block_merge_implIS3_N6thrust23THRUST_200600_302600_NS6detail15normal_iteratorINS9_10device_ptrIxEEEEPS5_m11less_div_10IxEEE10hipError_tT0_T1_T2_jT3_P12ihipStream_tbPNSt15iterator_traitsISJ_E10value_typeEPNSP_ISK_E10value_typeEPSL_NS1_7vsmem_tEENKUlT_SJ_SK_SL_E_clISE_PxSF_SF_EESI_SY_SJ_SK_SL_EUlSY_E_NS1_11comp_targetILNS1_3genE3ELNS1_11target_archE908ELNS1_3gpuE7ELNS1_3repE0EEENS1_48merge_mergepath_partition_config_static_selectorELNS0_4arch9wavefront6targetE0EEEvSK_
    .private_segment_fixed_size: 0
    .sgpr_count:     0
    .sgpr_spill_count: 0
    .symbol:         _ZN7rocprim17ROCPRIM_400000_NS6detail17trampoline_kernelINS0_14default_configENS1_38merge_sort_block_merge_config_selectorIxNS0_10empty_typeEEEZZNS1_27merge_sort_block_merge_implIS3_N6thrust23THRUST_200600_302600_NS6detail15normal_iteratorINS9_10device_ptrIxEEEEPS5_m11less_div_10IxEEE10hipError_tT0_T1_T2_jT3_P12ihipStream_tbPNSt15iterator_traitsISJ_E10value_typeEPNSP_ISK_E10value_typeEPSL_NS1_7vsmem_tEENKUlT_SJ_SK_SL_E_clISE_PxSF_SF_EESI_SY_SJ_SK_SL_EUlSY_E_NS1_11comp_targetILNS1_3genE3ELNS1_11target_archE908ELNS1_3gpuE7ELNS1_3repE0EEENS1_48merge_mergepath_partition_config_static_selectorELNS0_4arch9wavefront6targetE0EEEvSK_.kd
    .uniform_work_group_size: 1
    .uses_dynamic_stack: false
    .vgpr_count:     0
    .vgpr_spill_count: 0
    .wavefront_size: 32
    .workgroup_processor_mode: 1
  - .args:
      - .offset:         0
        .size:           48
        .value_kind:     by_value
    .group_segment_fixed_size: 0
    .kernarg_segment_align: 8
    .kernarg_segment_size: 48
    .language:       OpenCL C
    .language_version:
      - 2
      - 0
    .max_flat_workgroup_size: 128
    .name:           _ZN7rocprim17ROCPRIM_400000_NS6detail17trampoline_kernelINS0_14default_configENS1_38merge_sort_block_merge_config_selectorIxNS0_10empty_typeEEEZZNS1_27merge_sort_block_merge_implIS3_N6thrust23THRUST_200600_302600_NS6detail15normal_iteratorINS9_10device_ptrIxEEEEPS5_m11less_div_10IxEEE10hipError_tT0_T1_T2_jT3_P12ihipStream_tbPNSt15iterator_traitsISJ_E10value_typeEPNSP_ISK_E10value_typeEPSL_NS1_7vsmem_tEENKUlT_SJ_SK_SL_E_clISE_PxSF_SF_EESI_SY_SJ_SK_SL_EUlSY_E_NS1_11comp_targetILNS1_3genE2ELNS1_11target_archE906ELNS1_3gpuE6ELNS1_3repE0EEENS1_48merge_mergepath_partition_config_static_selectorELNS0_4arch9wavefront6targetE0EEEvSK_
    .private_segment_fixed_size: 0
    .sgpr_count:     0
    .sgpr_spill_count: 0
    .symbol:         _ZN7rocprim17ROCPRIM_400000_NS6detail17trampoline_kernelINS0_14default_configENS1_38merge_sort_block_merge_config_selectorIxNS0_10empty_typeEEEZZNS1_27merge_sort_block_merge_implIS3_N6thrust23THRUST_200600_302600_NS6detail15normal_iteratorINS9_10device_ptrIxEEEEPS5_m11less_div_10IxEEE10hipError_tT0_T1_T2_jT3_P12ihipStream_tbPNSt15iterator_traitsISJ_E10value_typeEPNSP_ISK_E10value_typeEPSL_NS1_7vsmem_tEENKUlT_SJ_SK_SL_E_clISE_PxSF_SF_EESI_SY_SJ_SK_SL_EUlSY_E_NS1_11comp_targetILNS1_3genE2ELNS1_11target_archE906ELNS1_3gpuE6ELNS1_3repE0EEENS1_48merge_mergepath_partition_config_static_selectorELNS0_4arch9wavefront6targetE0EEEvSK_.kd
    .uniform_work_group_size: 1
    .uses_dynamic_stack: false
    .vgpr_count:     0
    .vgpr_spill_count: 0
    .wavefront_size: 32
    .workgroup_processor_mode: 1
  - .args:
      - .offset:         0
        .size:           48
        .value_kind:     by_value
    .group_segment_fixed_size: 0
    .kernarg_segment_align: 8
    .kernarg_segment_size: 48
    .language:       OpenCL C
    .language_version:
      - 2
      - 0
    .max_flat_workgroup_size: 128
    .name:           _ZN7rocprim17ROCPRIM_400000_NS6detail17trampoline_kernelINS0_14default_configENS1_38merge_sort_block_merge_config_selectorIxNS0_10empty_typeEEEZZNS1_27merge_sort_block_merge_implIS3_N6thrust23THRUST_200600_302600_NS6detail15normal_iteratorINS9_10device_ptrIxEEEEPS5_m11less_div_10IxEEE10hipError_tT0_T1_T2_jT3_P12ihipStream_tbPNSt15iterator_traitsISJ_E10value_typeEPNSP_ISK_E10value_typeEPSL_NS1_7vsmem_tEENKUlT_SJ_SK_SL_E_clISE_PxSF_SF_EESI_SY_SJ_SK_SL_EUlSY_E_NS1_11comp_targetILNS1_3genE9ELNS1_11target_archE1100ELNS1_3gpuE3ELNS1_3repE0EEENS1_48merge_mergepath_partition_config_static_selectorELNS0_4arch9wavefront6targetE0EEEvSK_
    .private_segment_fixed_size: 0
    .sgpr_count:     0
    .sgpr_spill_count: 0
    .symbol:         _ZN7rocprim17ROCPRIM_400000_NS6detail17trampoline_kernelINS0_14default_configENS1_38merge_sort_block_merge_config_selectorIxNS0_10empty_typeEEEZZNS1_27merge_sort_block_merge_implIS3_N6thrust23THRUST_200600_302600_NS6detail15normal_iteratorINS9_10device_ptrIxEEEEPS5_m11less_div_10IxEEE10hipError_tT0_T1_T2_jT3_P12ihipStream_tbPNSt15iterator_traitsISJ_E10value_typeEPNSP_ISK_E10value_typeEPSL_NS1_7vsmem_tEENKUlT_SJ_SK_SL_E_clISE_PxSF_SF_EESI_SY_SJ_SK_SL_EUlSY_E_NS1_11comp_targetILNS1_3genE9ELNS1_11target_archE1100ELNS1_3gpuE3ELNS1_3repE0EEENS1_48merge_mergepath_partition_config_static_selectorELNS0_4arch9wavefront6targetE0EEEvSK_.kd
    .uniform_work_group_size: 1
    .uses_dynamic_stack: false
    .vgpr_count:     0
    .vgpr_spill_count: 0
    .wavefront_size: 32
    .workgroup_processor_mode: 1
  - .args:
      - .offset:         0
        .size:           48
        .value_kind:     by_value
    .group_segment_fixed_size: 0
    .kernarg_segment_align: 8
    .kernarg_segment_size: 48
    .language:       OpenCL C
    .language_version:
      - 2
      - 0
    .max_flat_workgroup_size: 128
    .name:           _ZN7rocprim17ROCPRIM_400000_NS6detail17trampoline_kernelINS0_14default_configENS1_38merge_sort_block_merge_config_selectorIxNS0_10empty_typeEEEZZNS1_27merge_sort_block_merge_implIS3_N6thrust23THRUST_200600_302600_NS6detail15normal_iteratorINS9_10device_ptrIxEEEEPS5_m11less_div_10IxEEE10hipError_tT0_T1_T2_jT3_P12ihipStream_tbPNSt15iterator_traitsISJ_E10value_typeEPNSP_ISK_E10value_typeEPSL_NS1_7vsmem_tEENKUlT_SJ_SK_SL_E_clISE_PxSF_SF_EESI_SY_SJ_SK_SL_EUlSY_E_NS1_11comp_targetILNS1_3genE8ELNS1_11target_archE1030ELNS1_3gpuE2ELNS1_3repE0EEENS1_48merge_mergepath_partition_config_static_selectorELNS0_4arch9wavefront6targetE0EEEvSK_
    .private_segment_fixed_size: 0
    .sgpr_count:     10
    .sgpr_spill_count: 0
    .symbol:         _ZN7rocprim17ROCPRIM_400000_NS6detail17trampoline_kernelINS0_14default_configENS1_38merge_sort_block_merge_config_selectorIxNS0_10empty_typeEEEZZNS1_27merge_sort_block_merge_implIS3_N6thrust23THRUST_200600_302600_NS6detail15normal_iteratorINS9_10device_ptrIxEEEEPS5_m11less_div_10IxEEE10hipError_tT0_T1_T2_jT3_P12ihipStream_tbPNSt15iterator_traitsISJ_E10value_typeEPNSP_ISK_E10value_typeEPSL_NS1_7vsmem_tEENKUlT_SJ_SK_SL_E_clISE_PxSF_SF_EESI_SY_SJ_SK_SL_EUlSY_E_NS1_11comp_targetILNS1_3genE8ELNS1_11target_archE1030ELNS1_3gpuE2ELNS1_3repE0EEENS1_48merge_mergepath_partition_config_static_selectorELNS0_4arch9wavefront6targetE0EEEvSK_.kd
    .uniform_work_group_size: 1
    .uses_dynamic_stack: false
    .vgpr_count:     18
    .vgpr_spill_count: 0
    .wavefront_size: 32
    .workgroup_processor_mode: 1
  - .args:
      - .offset:         0
        .size:           72
        .value_kind:     by_value
    .group_segment_fixed_size: 0
    .kernarg_segment_align: 8
    .kernarg_segment_size: 72
    .language:       OpenCL C
    .language_version:
      - 2
      - 0
    .max_flat_workgroup_size: 128
    .name:           _ZN7rocprim17ROCPRIM_400000_NS6detail17trampoline_kernelINS0_14default_configENS1_38merge_sort_block_merge_config_selectorIxNS0_10empty_typeEEEZZNS1_27merge_sort_block_merge_implIS3_N6thrust23THRUST_200600_302600_NS6detail15normal_iteratorINS9_10device_ptrIxEEEEPS5_m11less_div_10IxEEE10hipError_tT0_T1_T2_jT3_P12ihipStream_tbPNSt15iterator_traitsISJ_E10value_typeEPNSP_ISK_E10value_typeEPSL_NS1_7vsmem_tEENKUlT_SJ_SK_SL_E_clISE_PxSF_SF_EESI_SY_SJ_SK_SL_EUlSY_E0_NS1_11comp_targetILNS1_3genE0ELNS1_11target_archE4294967295ELNS1_3gpuE0ELNS1_3repE0EEENS1_38merge_mergepath_config_static_selectorELNS0_4arch9wavefront6targetE0EEEvSK_
    .private_segment_fixed_size: 0
    .sgpr_count:     0
    .sgpr_spill_count: 0
    .symbol:         _ZN7rocprim17ROCPRIM_400000_NS6detail17trampoline_kernelINS0_14default_configENS1_38merge_sort_block_merge_config_selectorIxNS0_10empty_typeEEEZZNS1_27merge_sort_block_merge_implIS3_N6thrust23THRUST_200600_302600_NS6detail15normal_iteratorINS9_10device_ptrIxEEEEPS5_m11less_div_10IxEEE10hipError_tT0_T1_T2_jT3_P12ihipStream_tbPNSt15iterator_traitsISJ_E10value_typeEPNSP_ISK_E10value_typeEPSL_NS1_7vsmem_tEENKUlT_SJ_SK_SL_E_clISE_PxSF_SF_EESI_SY_SJ_SK_SL_EUlSY_E0_NS1_11comp_targetILNS1_3genE0ELNS1_11target_archE4294967295ELNS1_3gpuE0ELNS1_3repE0EEENS1_38merge_mergepath_config_static_selectorELNS0_4arch9wavefront6targetE0EEEvSK_.kd
    .uniform_work_group_size: 1
    .uses_dynamic_stack: false
    .vgpr_count:     0
    .vgpr_spill_count: 0
    .wavefront_size: 32
    .workgroup_processor_mode: 1
  - .args:
      - .offset:         0
        .size:           72
        .value_kind:     by_value
    .group_segment_fixed_size: 0
    .kernarg_segment_align: 8
    .kernarg_segment_size: 72
    .language:       OpenCL C
    .language_version:
      - 2
      - 0
    .max_flat_workgroup_size: 512
    .name:           _ZN7rocprim17ROCPRIM_400000_NS6detail17trampoline_kernelINS0_14default_configENS1_38merge_sort_block_merge_config_selectorIxNS0_10empty_typeEEEZZNS1_27merge_sort_block_merge_implIS3_N6thrust23THRUST_200600_302600_NS6detail15normal_iteratorINS9_10device_ptrIxEEEEPS5_m11less_div_10IxEEE10hipError_tT0_T1_T2_jT3_P12ihipStream_tbPNSt15iterator_traitsISJ_E10value_typeEPNSP_ISK_E10value_typeEPSL_NS1_7vsmem_tEENKUlT_SJ_SK_SL_E_clISE_PxSF_SF_EESI_SY_SJ_SK_SL_EUlSY_E0_NS1_11comp_targetILNS1_3genE10ELNS1_11target_archE1201ELNS1_3gpuE5ELNS1_3repE0EEENS1_38merge_mergepath_config_static_selectorELNS0_4arch9wavefront6targetE0EEEvSK_
    .private_segment_fixed_size: 0
    .sgpr_count:     0
    .sgpr_spill_count: 0
    .symbol:         _ZN7rocprim17ROCPRIM_400000_NS6detail17trampoline_kernelINS0_14default_configENS1_38merge_sort_block_merge_config_selectorIxNS0_10empty_typeEEEZZNS1_27merge_sort_block_merge_implIS3_N6thrust23THRUST_200600_302600_NS6detail15normal_iteratorINS9_10device_ptrIxEEEEPS5_m11less_div_10IxEEE10hipError_tT0_T1_T2_jT3_P12ihipStream_tbPNSt15iterator_traitsISJ_E10value_typeEPNSP_ISK_E10value_typeEPSL_NS1_7vsmem_tEENKUlT_SJ_SK_SL_E_clISE_PxSF_SF_EESI_SY_SJ_SK_SL_EUlSY_E0_NS1_11comp_targetILNS1_3genE10ELNS1_11target_archE1201ELNS1_3gpuE5ELNS1_3repE0EEENS1_38merge_mergepath_config_static_selectorELNS0_4arch9wavefront6targetE0EEEvSK_.kd
    .uniform_work_group_size: 1
    .uses_dynamic_stack: false
    .vgpr_count:     0
    .vgpr_spill_count: 0
    .wavefront_size: 32
    .workgroup_processor_mode: 1
  - .args:
      - .offset:         0
        .size:           72
        .value_kind:     by_value
    .group_segment_fixed_size: 0
    .kernarg_segment_align: 8
    .kernarg_segment_size: 72
    .language:       OpenCL C
    .language_version:
      - 2
      - 0
    .max_flat_workgroup_size: 128
    .name:           _ZN7rocprim17ROCPRIM_400000_NS6detail17trampoline_kernelINS0_14default_configENS1_38merge_sort_block_merge_config_selectorIxNS0_10empty_typeEEEZZNS1_27merge_sort_block_merge_implIS3_N6thrust23THRUST_200600_302600_NS6detail15normal_iteratorINS9_10device_ptrIxEEEEPS5_m11less_div_10IxEEE10hipError_tT0_T1_T2_jT3_P12ihipStream_tbPNSt15iterator_traitsISJ_E10value_typeEPNSP_ISK_E10value_typeEPSL_NS1_7vsmem_tEENKUlT_SJ_SK_SL_E_clISE_PxSF_SF_EESI_SY_SJ_SK_SL_EUlSY_E0_NS1_11comp_targetILNS1_3genE5ELNS1_11target_archE942ELNS1_3gpuE9ELNS1_3repE0EEENS1_38merge_mergepath_config_static_selectorELNS0_4arch9wavefront6targetE0EEEvSK_
    .private_segment_fixed_size: 0
    .sgpr_count:     0
    .sgpr_spill_count: 0
    .symbol:         _ZN7rocprim17ROCPRIM_400000_NS6detail17trampoline_kernelINS0_14default_configENS1_38merge_sort_block_merge_config_selectorIxNS0_10empty_typeEEEZZNS1_27merge_sort_block_merge_implIS3_N6thrust23THRUST_200600_302600_NS6detail15normal_iteratorINS9_10device_ptrIxEEEEPS5_m11less_div_10IxEEE10hipError_tT0_T1_T2_jT3_P12ihipStream_tbPNSt15iterator_traitsISJ_E10value_typeEPNSP_ISK_E10value_typeEPSL_NS1_7vsmem_tEENKUlT_SJ_SK_SL_E_clISE_PxSF_SF_EESI_SY_SJ_SK_SL_EUlSY_E0_NS1_11comp_targetILNS1_3genE5ELNS1_11target_archE942ELNS1_3gpuE9ELNS1_3repE0EEENS1_38merge_mergepath_config_static_selectorELNS0_4arch9wavefront6targetE0EEEvSK_.kd
    .uniform_work_group_size: 1
    .uses_dynamic_stack: false
    .vgpr_count:     0
    .vgpr_spill_count: 0
    .wavefront_size: 32
    .workgroup_processor_mode: 1
  - .args:
      - .offset:         0
        .size:           72
        .value_kind:     by_value
    .group_segment_fixed_size: 0
    .kernarg_segment_align: 8
    .kernarg_segment_size: 72
    .language:       OpenCL C
    .language_version:
      - 2
      - 0
    .max_flat_workgroup_size: 256
    .name:           _ZN7rocprim17ROCPRIM_400000_NS6detail17trampoline_kernelINS0_14default_configENS1_38merge_sort_block_merge_config_selectorIxNS0_10empty_typeEEEZZNS1_27merge_sort_block_merge_implIS3_N6thrust23THRUST_200600_302600_NS6detail15normal_iteratorINS9_10device_ptrIxEEEEPS5_m11less_div_10IxEEE10hipError_tT0_T1_T2_jT3_P12ihipStream_tbPNSt15iterator_traitsISJ_E10value_typeEPNSP_ISK_E10value_typeEPSL_NS1_7vsmem_tEENKUlT_SJ_SK_SL_E_clISE_PxSF_SF_EESI_SY_SJ_SK_SL_EUlSY_E0_NS1_11comp_targetILNS1_3genE4ELNS1_11target_archE910ELNS1_3gpuE8ELNS1_3repE0EEENS1_38merge_mergepath_config_static_selectorELNS0_4arch9wavefront6targetE0EEEvSK_
    .private_segment_fixed_size: 0
    .sgpr_count:     0
    .sgpr_spill_count: 0
    .symbol:         _ZN7rocprim17ROCPRIM_400000_NS6detail17trampoline_kernelINS0_14default_configENS1_38merge_sort_block_merge_config_selectorIxNS0_10empty_typeEEEZZNS1_27merge_sort_block_merge_implIS3_N6thrust23THRUST_200600_302600_NS6detail15normal_iteratorINS9_10device_ptrIxEEEEPS5_m11less_div_10IxEEE10hipError_tT0_T1_T2_jT3_P12ihipStream_tbPNSt15iterator_traitsISJ_E10value_typeEPNSP_ISK_E10value_typeEPSL_NS1_7vsmem_tEENKUlT_SJ_SK_SL_E_clISE_PxSF_SF_EESI_SY_SJ_SK_SL_EUlSY_E0_NS1_11comp_targetILNS1_3genE4ELNS1_11target_archE910ELNS1_3gpuE8ELNS1_3repE0EEENS1_38merge_mergepath_config_static_selectorELNS0_4arch9wavefront6targetE0EEEvSK_.kd
    .uniform_work_group_size: 1
    .uses_dynamic_stack: false
    .vgpr_count:     0
    .vgpr_spill_count: 0
    .wavefront_size: 32
    .workgroup_processor_mode: 1
  - .args:
      - .offset:         0
        .size:           72
        .value_kind:     by_value
    .group_segment_fixed_size: 0
    .kernarg_segment_align: 8
    .kernarg_segment_size: 72
    .language:       OpenCL C
    .language_version:
      - 2
      - 0
    .max_flat_workgroup_size: 128
    .name:           _ZN7rocprim17ROCPRIM_400000_NS6detail17trampoline_kernelINS0_14default_configENS1_38merge_sort_block_merge_config_selectorIxNS0_10empty_typeEEEZZNS1_27merge_sort_block_merge_implIS3_N6thrust23THRUST_200600_302600_NS6detail15normal_iteratorINS9_10device_ptrIxEEEEPS5_m11less_div_10IxEEE10hipError_tT0_T1_T2_jT3_P12ihipStream_tbPNSt15iterator_traitsISJ_E10value_typeEPNSP_ISK_E10value_typeEPSL_NS1_7vsmem_tEENKUlT_SJ_SK_SL_E_clISE_PxSF_SF_EESI_SY_SJ_SK_SL_EUlSY_E0_NS1_11comp_targetILNS1_3genE3ELNS1_11target_archE908ELNS1_3gpuE7ELNS1_3repE0EEENS1_38merge_mergepath_config_static_selectorELNS0_4arch9wavefront6targetE0EEEvSK_
    .private_segment_fixed_size: 0
    .sgpr_count:     0
    .sgpr_spill_count: 0
    .symbol:         _ZN7rocprim17ROCPRIM_400000_NS6detail17trampoline_kernelINS0_14default_configENS1_38merge_sort_block_merge_config_selectorIxNS0_10empty_typeEEEZZNS1_27merge_sort_block_merge_implIS3_N6thrust23THRUST_200600_302600_NS6detail15normal_iteratorINS9_10device_ptrIxEEEEPS5_m11less_div_10IxEEE10hipError_tT0_T1_T2_jT3_P12ihipStream_tbPNSt15iterator_traitsISJ_E10value_typeEPNSP_ISK_E10value_typeEPSL_NS1_7vsmem_tEENKUlT_SJ_SK_SL_E_clISE_PxSF_SF_EESI_SY_SJ_SK_SL_EUlSY_E0_NS1_11comp_targetILNS1_3genE3ELNS1_11target_archE908ELNS1_3gpuE7ELNS1_3repE0EEENS1_38merge_mergepath_config_static_selectorELNS0_4arch9wavefront6targetE0EEEvSK_.kd
    .uniform_work_group_size: 1
    .uses_dynamic_stack: false
    .vgpr_count:     0
    .vgpr_spill_count: 0
    .wavefront_size: 32
    .workgroup_processor_mode: 1
  - .args:
      - .offset:         0
        .size:           72
        .value_kind:     by_value
    .group_segment_fixed_size: 0
    .kernarg_segment_align: 8
    .kernarg_segment_size: 72
    .language:       OpenCL C
    .language_version:
      - 2
      - 0
    .max_flat_workgroup_size: 256
    .name:           _ZN7rocprim17ROCPRIM_400000_NS6detail17trampoline_kernelINS0_14default_configENS1_38merge_sort_block_merge_config_selectorIxNS0_10empty_typeEEEZZNS1_27merge_sort_block_merge_implIS3_N6thrust23THRUST_200600_302600_NS6detail15normal_iteratorINS9_10device_ptrIxEEEEPS5_m11less_div_10IxEEE10hipError_tT0_T1_T2_jT3_P12ihipStream_tbPNSt15iterator_traitsISJ_E10value_typeEPNSP_ISK_E10value_typeEPSL_NS1_7vsmem_tEENKUlT_SJ_SK_SL_E_clISE_PxSF_SF_EESI_SY_SJ_SK_SL_EUlSY_E0_NS1_11comp_targetILNS1_3genE2ELNS1_11target_archE906ELNS1_3gpuE6ELNS1_3repE0EEENS1_38merge_mergepath_config_static_selectorELNS0_4arch9wavefront6targetE0EEEvSK_
    .private_segment_fixed_size: 0
    .sgpr_count:     0
    .sgpr_spill_count: 0
    .symbol:         _ZN7rocprim17ROCPRIM_400000_NS6detail17trampoline_kernelINS0_14default_configENS1_38merge_sort_block_merge_config_selectorIxNS0_10empty_typeEEEZZNS1_27merge_sort_block_merge_implIS3_N6thrust23THRUST_200600_302600_NS6detail15normal_iteratorINS9_10device_ptrIxEEEEPS5_m11less_div_10IxEEE10hipError_tT0_T1_T2_jT3_P12ihipStream_tbPNSt15iterator_traitsISJ_E10value_typeEPNSP_ISK_E10value_typeEPSL_NS1_7vsmem_tEENKUlT_SJ_SK_SL_E_clISE_PxSF_SF_EESI_SY_SJ_SK_SL_EUlSY_E0_NS1_11comp_targetILNS1_3genE2ELNS1_11target_archE906ELNS1_3gpuE6ELNS1_3repE0EEENS1_38merge_mergepath_config_static_selectorELNS0_4arch9wavefront6targetE0EEEvSK_.kd
    .uniform_work_group_size: 1
    .uses_dynamic_stack: false
    .vgpr_count:     0
    .vgpr_spill_count: 0
    .wavefront_size: 32
    .workgroup_processor_mode: 1
  - .args:
      - .offset:         0
        .size:           72
        .value_kind:     by_value
    .group_segment_fixed_size: 0
    .kernarg_segment_align: 8
    .kernarg_segment_size: 72
    .language:       OpenCL C
    .language_version:
      - 2
      - 0
    .max_flat_workgroup_size: 512
    .name:           _ZN7rocprim17ROCPRIM_400000_NS6detail17trampoline_kernelINS0_14default_configENS1_38merge_sort_block_merge_config_selectorIxNS0_10empty_typeEEEZZNS1_27merge_sort_block_merge_implIS3_N6thrust23THRUST_200600_302600_NS6detail15normal_iteratorINS9_10device_ptrIxEEEEPS5_m11less_div_10IxEEE10hipError_tT0_T1_T2_jT3_P12ihipStream_tbPNSt15iterator_traitsISJ_E10value_typeEPNSP_ISK_E10value_typeEPSL_NS1_7vsmem_tEENKUlT_SJ_SK_SL_E_clISE_PxSF_SF_EESI_SY_SJ_SK_SL_EUlSY_E0_NS1_11comp_targetILNS1_3genE9ELNS1_11target_archE1100ELNS1_3gpuE3ELNS1_3repE0EEENS1_38merge_mergepath_config_static_selectorELNS0_4arch9wavefront6targetE0EEEvSK_
    .private_segment_fixed_size: 0
    .sgpr_count:     0
    .sgpr_spill_count: 0
    .symbol:         _ZN7rocprim17ROCPRIM_400000_NS6detail17trampoline_kernelINS0_14default_configENS1_38merge_sort_block_merge_config_selectorIxNS0_10empty_typeEEEZZNS1_27merge_sort_block_merge_implIS3_N6thrust23THRUST_200600_302600_NS6detail15normal_iteratorINS9_10device_ptrIxEEEEPS5_m11less_div_10IxEEE10hipError_tT0_T1_T2_jT3_P12ihipStream_tbPNSt15iterator_traitsISJ_E10value_typeEPNSP_ISK_E10value_typeEPSL_NS1_7vsmem_tEENKUlT_SJ_SK_SL_E_clISE_PxSF_SF_EESI_SY_SJ_SK_SL_EUlSY_E0_NS1_11comp_targetILNS1_3genE9ELNS1_11target_archE1100ELNS1_3gpuE3ELNS1_3repE0EEENS1_38merge_mergepath_config_static_selectorELNS0_4arch9wavefront6targetE0EEEvSK_.kd
    .uniform_work_group_size: 1
    .uses_dynamic_stack: false
    .vgpr_count:     0
    .vgpr_spill_count: 0
    .wavefront_size: 32
    .workgroup_processor_mode: 1
  - .args:
      - .offset:         0
        .size:           72
        .value_kind:     by_value
      - .offset:         72
        .size:           4
        .value_kind:     hidden_block_count_x
      - .offset:         76
        .size:           4
        .value_kind:     hidden_block_count_y
      - .offset:         80
        .size:           4
        .value_kind:     hidden_block_count_z
      - .offset:         84
        .size:           2
        .value_kind:     hidden_group_size_x
      - .offset:         86
        .size:           2
        .value_kind:     hidden_group_size_y
      - .offset:         88
        .size:           2
        .value_kind:     hidden_group_size_z
      - .offset:         90
        .size:           2
        .value_kind:     hidden_remainder_x
      - .offset:         92
        .size:           2
        .value_kind:     hidden_remainder_y
      - .offset:         94
        .size:           2
        .value_kind:     hidden_remainder_z
      - .offset:         112
        .size:           8
        .value_kind:     hidden_global_offset_x
      - .offset:         120
        .size:           8
        .value_kind:     hidden_global_offset_y
      - .offset:         128
        .size:           8
        .value_kind:     hidden_global_offset_z
      - .offset:         136
        .size:           2
        .value_kind:     hidden_grid_dims
    .group_segment_fixed_size: 8208
    .kernarg_segment_align: 8
    .kernarg_segment_size: 328
    .language:       OpenCL C
    .language_version:
      - 2
      - 0
    .max_flat_workgroup_size: 1024
    .name:           _ZN7rocprim17ROCPRIM_400000_NS6detail17trampoline_kernelINS0_14default_configENS1_38merge_sort_block_merge_config_selectorIxNS0_10empty_typeEEEZZNS1_27merge_sort_block_merge_implIS3_N6thrust23THRUST_200600_302600_NS6detail15normal_iteratorINS9_10device_ptrIxEEEEPS5_m11less_div_10IxEEE10hipError_tT0_T1_T2_jT3_P12ihipStream_tbPNSt15iterator_traitsISJ_E10value_typeEPNSP_ISK_E10value_typeEPSL_NS1_7vsmem_tEENKUlT_SJ_SK_SL_E_clISE_PxSF_SF_EESI_SY_SJ_SK_SL_EUlSY_E0_NS1_11comp_targetILNS1_3genE8ELNS1_11target_archE1030ELNS1_3gpuE2ELNS1_3repE0EEENS1_38merge_mergepath_config_static_selectorELNS0_4arch9wavefront6targetE0EEEvSK_
    .private_segment_fixed_size: 0
    .sgpr_count:     28
    .sgpr_spill_count: 0
    .symbol:         _ZN7rocprim17ROCPRIM_400000_NS6detail17trampoline_kernelINS0_14default_configENS1_38merge_sort_block_merge_config_selectorIxNS0_10empty_typeEEEZZNS1_27merge_sort_block_merge_implIS3_N6thrust23THRUST_200600_302600_NS6detail15normal_iteratorINS9_10device_ptrIxEEEEPS5_m11less_div_10IxEEE10hipError_tT0_T1_T2_jT3_P12ihipStream_tbPNSt15iterator_traitsISJ_E10value_typeEPNSP_ISK_E10value_typeEPSL_NS1_7vsmem_tEENKUlT_SJ_SK_SL_E_clISE_PxSF_SF_EESI_SY_SJ_SK_SL_EUlSY_E0_NS1_11comp_targetILNS1_3genE8ELNS1_11target_archE1030ELNS1_3gpuE2ELNS1_3repE0EEENS1_38merge_mergepath_config_static_selectorELNS0_4arch9wavefront6targetE0EEEvSK_.kd
    .uniform_work_group_size: 1
    .uses_dynamic_stack: false
    .vgpr_count:     14
    .vgpr_spill_count: 0
    .wavefront_size: 32
    .workgroup_processor_mode: 1
  - .args:
      - .offset:         0
        .size:           56
        .value_kind:     by_value
    .group_segment_fixed_size: 0
    .kernarg_segment_align: 8
    .kernarg_segment_size: 56
    .language:       OpenCL C
    .language_version:
      - 2
      - 0
    .max_flat_workgroup_size: 256
    .name:           _ZN7rocprim17ROCPRIM_400000_NS6detail17trampoline_kernelINS0_14default_configENS1_38merge_sort_block_merge_config_selectorIxNS0_10empty_typeEEEZZNS1_27merge_sort_block_merge_implIS3_N6thrust23THRUST_200600_302600_NS6detail15normal_iteratorINS9_10device_ptrIxEEEEPS5_m11less_div_10IxEEE10hipError_tT0_T1_T2_jT3_P12ihipStream_tbPNSt15iterator_traitsISJ_E10value_typeEPNSP_ISK_E10value_typeEPSL_NS1_7vsmem_tEENKUlT_SJ_SK_SL_E_clISE_PxSF_SF_EESI_SY_SJ_SK_SL_EUlSY_E1_NS1_11comp_targetILNS1_3genE0ELNS1_11target_archE4294967295ELNS1_3gpuE0ELNS1_3repE0EEENS1_36merge_oddeven_config_static_selectorELNS0_4arch9wavefront6targetE0EEEvSK_
    .private_segment_fixed_size: 0
    .sgpr_count:     0
    .sgpr_spill_count: 0
    .symbol:         _ZN7rocprim17ROCPRIM_400000_NS6detail17trampoline_kernelINS0_14default_configENS1_38merge_sort_block_merge_config_selectorIxNS0_10empty_typeEEEZZNS1_27merge_sort_block_merge_implIS3_N6thrust23THRUST_200600_302600_NS6detail15normal_iteratorINS9_10device_ptrIxEEEEPS5_m11less_div_10IxEEE10hipError_tT0_T1_T2_jT3_P12ihipStream_tbPNSt15iterator_traitsISJ_E10value_typeEPNSP_ISK_E10value_typeEPSL_NS1_7vsmem_tEENKUlT_SJ_SK_SL_E_clISE_PxSF_SF_EESI_SY_SJ_SK_SL_EUlSY_E1_NS1_11comp_targetILNS1_3genE0ELNS1_11target_archE4294967295ELNS1_3gpuE0ELNS1_3repE0EEENS1_36merge_oddeven_config_static_selectorELNS0_4arch9wavefront6targetE0EEEvSK_.kd
    .uniform_work_group_size: 1
    .uses_dynamic_stack: false
    .vgpr_count:     0
    .vgpr_spill_count: 0
    .wavefront_size: 32
    .workgroup_processor_mode: 1
  - .args:
      - .offset:         0
        .size:           56
        .value_kind:     by_value
    .group_segment_fixed_size: 0
    .kernarg_segment_align: 8
    .kernarg_segment_size: 56
    .language:       OpenCL C
    .language_version:
      - 2
      - 0
    .max_flat_workgroup_size: 256
    .name:           _ZN7rocprim17ROCPRIM_400000_NS6detail17trampoline_kernelINS0_14default_configENS1_38merge_sort_block_merge_config_selectorIxNS0_10empty_typeEEEZZNS1_27merge_sort_block_merge_implIS3_N6thrust23THRUST_200600_302600_NS6detail15normal_iteratorINS9_10device_ptrIxEEEEPS5_m11less_div_10IxEEE10hipError_tT0_T1_T2_jT3_P12ihipStream_tbPNSt15iterator_traitsISJ_E10value_typeEPNSP_ISK_E10value_typeEPSL_NS1_7vsmem_tEENKUlT_SJ_SK_SL_E_clISE_PxSF_SF_EESI_SY_SJ_SK_SL_EUlSY_E1_NS1_11comp_targetILNS1_3genE10ELNS1_11target_archE1201ELNS1_3gpuE5ELNS1_3repE0EEENS1_36merge_oddeven_config_static_selectorELNS0_4arch9wavefront6targetE0EEEvSK_
    .private_segment_fixed_size: 0
    .sgpr_count:     0
    .sgpr_spill_count: 0
    .symbol:         _ZN7rocprim17ROCPRIM_400000_NS6detail17trampoline_kernelINS0_14default_configENS1_38merge_sort_block_merge_config_selectorIxNS0_10empty_typeEEEZZNS1_27merge_sort_block_merge_implIS3_N6thrust23THRUST_200600_302600_NS6detail15normal_iteratorINS9_10device_ptrIxEEEEPS5_m11less_div_10IxEEE10hipError_tT0_T1_T2_jT3_P12ihipStream_tbPNSt15iterator_traitsISJ_E10value_typeEPNSP_ISK_E10value_typeEPSL_NS1_7vsmem_tEENKUlT_SJ_SK_SL_E_clISE_PxSF_SF_EESI_SY_SJ_SK_SL_EUlSY_E1_NS1_11comp_targetILNS1_3genE10ELNS1_11target_archE1201ELNS1_3gpuE5ELNS1_3repE0EEENS1_36merge_oddeven_config_static_selectorELNS0_4arch9wavefront6targetE0EEEvSK_.kd
    .uniform_work_group_size: 1
    .uses_dynamic_stack: false
    .vgpr_count:     0
    .vgpr_spill_count: 0
    .wavefront_size: 32
    .workgroup_processor_mode: 1
  - .args:
      - .offset:         0
        .size:           56
        .value_kind:     by_value
    .group_segment_fixed_size: 0
    .kernarg_segment_align: 8
    .kernarg_segment_size: 56
    .language:       OpenCL C
    .language_version:
      - 2
      - 0
    .max_flat_workgroup_size: 256
    .name:           _ZN7rocprim17ROCPRIM_400000_NS6detail17trampoline_kernelINS0_14default_configENS1_38merge_sort_block_merge_config_selectorIxNS0_10empty_typeEEEZZNS1_27merge_sort_block_merge_implIS3_N6thrust23THRUST_200600_302600_NS6detail15normal_iteratorINS9_10device_ptrIxEEEEPS5_m11less_div_10IxEEE10hipError_tT0_T1_T2_jT3_P12ihipStream_tbPNSt15iterator_traitsISJ_E10value_typeEPNSP_ISK_E10value_typeEPSL_NS1_7vsmem_tEENKUlT_SJ_SK_SL_E_clISE_PxSF_SF_EESI_SY_SJ_SK_SL_EUlSY_E1_NS1_11comp_targetILNS1_3genE5ELNS1_11target_archE942ELNS1_3gpuE9ELNS1_3repE0EEENS1_36merge_oddeven_config_static_selectorELNS0_4arch9wavefront6targetE0EEEvSK_
    .private_segment_fixed_size: 0
    .sgpr_count:     0
    .sgpr_spill_count: 0
    .symbol:         _ZN7rocprim17ROCPRIM_400000_NS6detail17trampoline_kernelINS0_14default_configENS1_38merge_sort_block_merge_config_selectorIxNS0_10empty_typeEEEZZNS1_27merge_sort_block_merge_implIS3_N6thrust23THRUST_200600_302600_NS6detail15normal_iteratorINS9_10device_ptrIxEEEEPS5_m11less_div_10IxEEE10hipError_tT0_T1_T2_jT3_P12ihipStream_tbPNSt15iterator_traitsISJ_E10value_typeEPNSP_ISK_E10value_typeEPSL_NS1_7vsmem_tEENKUlT_SJ_SK_SL_E_clISE_PxSF_SF_EESI_SY_SJ_SK_SL_EUlSY_E1_NS1_11comp_targetILNS1_3genE5ELNS1_11target_archE942ELNS1_3gpuE9ELNS1_3repE0EEENS1_36merge_oddeven_config_static_selectorELNS0_4arch9wavefront6targetE0EEEvSK_.kd
    .uniform_work_group_size: 1
    .uses_dynamic_stack: false
    .vgpr_count:     0
    .vgpr_spill_count: 0
    .wavefront_size: 32
    .workgroup_processor_mode: 1
  - .args:
      - .offset:         0
        .size:           56
        .value_kind:     by_value
    .group_segment_fixed_size: 0
    .kernarg_segment_align: 8
    .kernarg_segment_size: 56
    .language:       OpenCL C
    .language_version:
      - 2
      - 0
    .max_flat_workgroup_size: 256
    .name:           _ZN7rocprim17ROCPRIM_400000_NS6detail17trampoline_kernelINS0_14default_configENS1_38merge_sort_block_merge_config_selectorIxNS0_10empty_typeEEEZZNS1_27merge_sort_block_merge_implIS3_N6thrust23THRUST_200600_302600_NS6detail15normal_iteratorINS9_10device_ptrIxEEEEPS5_m11less_div_10IxEEE10hipError_tT0_T1_T2_jT3_P12ihipStream_tbPNSt15iterator_traitsISJ_E10value_typeEPNSP_ISK_E10value_typeEPSL_NS1_7vsmem_tEENKUlT_SJ_SK_SL_E_clISE_PxSF_SF_EESI_SY_SJ_SK_SL_EUlSY_E1_NS1_11comp_targetILNS1_3genE4ELNS1_11target_archE910ELNS1_3gpuE8ELNS1_3repE0EEENS1_36merge_oddeven_config_static_selectorELNS0_4arch9wavefront6targetE0EEEvSK_
    .private_segment_fixed_size: 0
    .sgpr_count:     0
    .sgpr_spill_count: 0
    .symbol:         _ZN7rocprim17ROCPRIM_400000_NS6detail17trampoline_kernelINS0_14default_configENS1_38merge_sort_block_merge_config_selectorIxNS0_10empty_typeEEEZZNS1_27merge_sort_block_merge_implIS3_N6thrust23THRUST_200600_302600_NS6detail15normal_iteratorINS9_10device_ptrIxEEEEPS5_m11less_div_10IxEEE10hipError_tT0_T1_T2_jT3_P12ihipStream_tbPNSt15iterator_traitsISJ_E10value_typeEPNSP_ISK_E10value_typeEPSL_NS1_7vsmem_tEENKUlT_SJ_SK_SL_E_clISE_PxSF_SF_EESI_SY_SJ_SK_SL_EUlSY_E1_NS1_11comp_targetILNS1_3genE4ELNS1_11target_archE910ELNS1_3gpuE8ELNS1_3repE0EEENS1_36merge_oddeven_config_static_selectorELNS0_4arch9wavefront6targetE0EEEvSK_.kd
    .uniform_work_group_size: 1
    .uses_dynamic_stack: false
    .vgpr_count:     0
    .vgpr_spill_count: 0
    .wavefront_size: 32
    .workgroup_processor_mode: 1
  - .args:
      - .offset:         0
        .size:           56
        .value_kind:     by_value
    .group_segment_fixed_size: 0
    .kernarg_segment_align: 8
    .kernarg_segment_size: 56
    .language:       OpenCL C
    .language_version:
      - 2
      - 0
    .max_flat_workgroup_size: 256
    .name:           _ZN7rocprim17ROCPRIM_400000_NS6detail17trampoline_kernelINS0_14default_configENS1_38merge_sort_block_merge_config_selectorIxNS0_10empty_typeEEEZZNS1_27merge_sort_block_merge_implIS3_N6thrust23THRUST_200600_302600_NS6detail15normal_iteratorINS9_10device_ptrIxEEEEPS5_m11less_div_10IxEEE10hipError_tT0_T1_T2_jT3_P12ihipStream_tbPNSt15iterator_traitsISJ_E10value_typeEPNSP_ISK_E10value_typeEPSL_NS1_7vsmem_tEENKUlT_SJ_SK_SL_E_clISE_PxSF_SF_EESI_SY_SJ_SK_SL_EUlSY_E1_NS1_11comp_targetILNS1_3genE3ELNS1_11target_archE908ELNS1_3gpuE7ELNS1_3repE0EEENS1_36merge_oddeven_config_static_selectorELNS0_4arch9wavefront6targetE0EEEvSK_
    .private_segment_fixed_size: 0
    .sgpr_count:     0
    .sgpr_spill_count: 0
    .symbol:         _ZN7rocprim17ROCPRIM_400000_NS6detail17trampoline_kernelINS0_14default_configENS1_38merge_sort_block_merge_config_selectorIxNS0_10empty_typeEEEZZNS1_27merge_sort_block_merge_implIS3_N6thrust23THRUST_200600_302600_NS6detail15normal_iteratorINS9_10device_ptrIxEEEEPS5_m11less_div_10IxEEE10hipError_tT0_T1_T2_jT3_P12ihipStream_tbPNSt15iterator_traitsISJ_E10value_typeEPNSP_ISK_E10value_typeEPSL_NS1_7vsmem_tEENKUlT_SJ_SK_SL_E_clISE_PxSF_SF_EESI_SY_SJ_SK_SL_EUlSY_E1_NS1_11comp_targetILNS1_3genE3ELNS1_11target_archE908ELNS1_3gpuE7ELNS1_3repE0EEENS1_36merge_oddeven_config_static_selectorELNS0_4arch9wavefront6targetE0EEEvSK_.kd
    .uniform_work_group_size: 1
    .uses_dynamic_stack: false
    .vgpr_count:     0
    .vgpr_spill_count: 0
    .wavefront_size: 32
    .workgroup_processor_mode: 1
  - .args:
      - .offset:         0
        .size:           56
        .value_kind:     by_value
    .group_segment_fixed_size: 0
    .kernarg_segment_align: 8
    .kernarg_segment_size: 56
    .language:       OpenCL C
    .language_version:
      - 2
      - 0
    .max_flat_workgroup_size: 256
    .name:           _ZN7rocprim17ROCPRIM_400000_NS6detail17trampoline_kernelINS0_14default_configENS1_38merge_sort_block_merge_config_selectorIxNS0_10empty_typeEEEZZNS1_27merge_sort_block_merge_implIS3_N6thrust23THRUST_200600_302600_NS6detail15normal_iteratorINS9_10device_ptrIxEEEEPS5_m11less_div_10IxEEE10hipError_tT0_T1_T2_jT3_P12ihipStream_tbPNSt15iterator_traitsISJ_E10value_typeEPNSP_ISK_E10value_typeEPSL_NS1_7vsmem_tEENKUlT_SJ_SK_SL_E_clISE_PxSF_SF_EESI_SY_SJ_SK_SL_EUlSY_E1_NS1_11comp_targetILNS1_3genE2ELNS1_11target_archE906ELNS1_3gpuE6ELNS1_3repE0EEENS1_36merge_oddeven_config_static_selectorELNS0_4arch9wavefront6targetE0EEEvSK_
    .private_segment_fixed_size: 0
    .sgpr_count:     0
    .sgpr_spill_count: 0
    .symbol:         _ZN7rocprim17ROCPRIM_400000_NS6detail17trampoline_kernelINS0_14default_configENS1_38merge_sort_block_merge_config_selectorIxNS0_10empty_typeEEEZZNS1_27merge_sort_block_merge_implIS3_N6thrust23THRUST_200600_302600_NS6detail15normal_iteratorINS9_10device_ptrIxEEEEPS5_m11less_div_10IxEEE10hipError_tT0_T1_T2_jT3_P12ihipStream_tbPNSt15iterator_traitsISJ_E10value_typeEPNSP_ISK_E10value_typeEPSL_NS1_7vsmem_tEENKUlT_SJ_SK_SL_E_clISE_PxSF_SF_EESI_SY_SJ_SK_SL_EUlSY_E1_NS1_11comp_targetILNS1_3genE2ELNS1_11target_archE906ELNS1_3gpuE6ELNS1_3repE0EEENS1_36merge_oddeven_config_static_selectorELNS0_4arch9wavefront6targetE0EEEvSK_.kd
    .uniform_work_group_size: 1
    .uses_dynamic_stack: false
    .vgpr_count:     0
    .vgpr_spill_count: 0
    .wavefront_size: 32
    .workgroup_processor_mode: 1
  - .args:
      - .offset:         0
        .size:           56
        .value_kind:     by_value
    .group_segment_fixed_size: 0
    .kernarg_segment_align: 8
    .kernarg_segment_size: 56
    .language:       OpenCL C
    .language_version:
      - 2
      - 0
    .max_flat_workgroup_size: 256
    .name:           _ZN7rocprim17ROCPRIM_400000_NS6detail17trampoline_kernelINS0_14default_configENS1_38merge_sort_block_merge_config_selectorIxNS0_10empty_typeEEEZZNS1_27merge_sort_block_merge_implIS3_N6thrust23THRUST_200600_302600_NS6detail15normal_iteratorINS9_10device_ptrIxEEEEPS5_m11less_div_10IxEEE10hipError_tT0_T1_T2_jT3_P12ihipStream_tbPNSt15iterator_traitsISJ_E10value_typeEPNSP_ISK_E10value_typeEPSL_NS1_7vsmem_tEENKUlT_SJ_SK_SL_E_clISE_PxSF_SF_EESI_SY_SJ_SK_SL_EUlSY_E1_NS1_11comp_targetILNS1_3genE9ELNS1_11target_archE1100ELNS1_3gpuE3ELNS1_3repE0EEENS1_36merge_oddeven_config_static_selectorELNS0_4arch9wavefront6targetE0EEEvSK_
    .private_segment_fixed_size: 0
    .sgpr_count:     0
    .sgpr_spill_count: 0
    .symbol:         _ZN7rocprim17ROCPRIM_400000_NS6detail17trampoline_kernelINS0_14default_configENS1_38merge_sort_block_merge_config_selectorIxNS0_10empty_typeEEEZZNS1_27merge_sort_block_merge_implIS3_N6thrust23THRUST_200600_302600_NS6detail15normal_iteratorINS9_10device_ptrIxEEEEPS5_m11less_div_10IxEEE10hipError_tT0_T1_T2_jT3_P12ihipStream_tbPNSt15iterator_traitsISJ_E10value_typeEPNSP_ISK_E10value_typeEPSL_NS1_7vsmem_tEENKUlT_SJ_SK_SL_E_clISE_PxSF_SF_EESI_SY_SJ_SK_SL_EUlSY_E1_NS1_11comp_targetILNS1_3genE9ELNS1_11target_archE1100ELNS1_3gpuE3ELNS1_3repE0EEENS1_36merge_oddeven_config_static_selectorELNS0_4arch9wavefront6targetE0EEEvSK_.kd
    .uniform_work_group_size: 1
    .uses_dynamic_stack: false
    .vgpr_count:     0
    .vgpr_spill_count: 0
    .wavefront_size: 32
    .workgroup_processor_mode: 1
  - .args:
      - .offset:         0
        .size:           56
        .value_kind:     by_value
    .group_segment_fixed_size: 0
    .kernarg_segment_align: 8
    .kernarg_segment_size: 56
    .language:       OpenCL C
    .language_version:
      - 2
      - 0
    .max_flat_workgroup_size: 256
    .name:           _ZN7rocprim17ROCPRIM_400000_NS6detail17trampoline_kernelINS0_14default_configENS1_38merge_sort_block_merge_config_selectorIxNS0_10empty_typeEEEZZNS1_27merge_sort_block_merge_implIS3_N6thrust23THRUST_200600_302600_NS6detail15normal_iteratorINS9_10device_ptrIxEEEEPS5_m11less_div_10IxEEE10hipError_tT0_T1_T2_jT3_P12ihipStream_tbPNSt15iterator_traitsISJ_E10value_typeEPNSP_ISK_E10value_typeEPSL_NS1_7vsmem_tEENKUlT_SJ_SK_SL_E_clISE_PxSF_SF_EESI_SY_SJ_SK_SL_EUlSY_E1_NS1_11comp_targetILNS1_3genE8ELNS1_11target_archE1030ELNS1_3gpuE2ELNS1_3repE0EEENS1_36merge_oddeven_config_static_selectorELNS0_4arch9wavefront6targetE0EEEvSK_
    .private_segment_fixed_size: 0
    .sgpr_count:     18
    .sgpr_spill_count: 0
    .symbol:         _ZN7rocprim17ROCPRIM_400000_NS6detail17trampoline_kernelINS0_14default_configENS1_38merge_sort_block_merge_config_selectorIxNS0_10empty_typeEEEZZNS1_27merge_sort_block_merge_implIS3_N6thrust23THRUST_200600_302600_NS6detail15normal_iteratorINS9_10device_ptrIxEEEEPS5_m11less_div_10IxEEE10hipError_tT0_T1_T2_jT3_P12ihipStream_tbPNSt15iterator_traitsISJ_E10value_typeEPNSP_ISK_E10value_typeEPSL_NS1_7vsmem_tEENKUlT_SJ_SK_SL_E_clISE_PxSF_SF_EESI_SY_SJ_SK_SL_EUlSY_E1_NS1_11comp_targetILNS1_3genE8ELNS1_11target_archE1030ELNS1_3gpuE2ELNS1_3repE0EEENS1_36merge_oddeven_config_static_selectorELNS0_4arch9wavefront6targetE0EEEvSK_.kd
    .uniform_work_group_size: 1
    .uses_dynamic_stack: false
    .vgpr_count:     10
    .vgpr_spill_count: 0
    .wavefront_size: 32
    .workgroup_processor_mode: 1
  - .args:
      - .offset:         0
        .size:           40
        .value_kind:     by_value
    .group_segment_fixed_size: 0
    .kernarg_segment_align: 8
    .kernarg_segment_size: 40
    .language:       OpenCL C
    .language_version:
      - 2
      - 0
    .max_flat_workgroup_size: 128
    .name:           _ZN7rocprim17ROCPRIM_400000_NS6detail17trampoline_kernelINS0_14default_configENS1_25transform_config_selectorIxLb0EEEZNS1_14transform_implILb0ES3_S5_PxN6thrust23THRUST_200600_302600_NS6detail15normal_iteratorINS9_10device_ptrIxEEEENS0_8identityIxEEEE10hipError_tT2_T3_mT4_P12ihipStream_tbEUlT_E_NS1_11comp_targetILNS1_3genE0ELNS1_11target_archE4294967295ELNS1_3gpuE0ELNS1_3repE0EEENS1_30default_config_static_selectorELNS0_4arch9wavefront6targetE0EEEvT1_
    .private_segment_fixed_size: 0
    .sgpr_count:     0
    .sgpr_spill_count: 0
    .symbol:         _ZN7rocprim17ROCPRIM_400000_NS6detail17trampoline_kernelINS0_14default_configENS1_25transform_config_selectorIxLb0EEEZNS1_14transform_implILb0ES3_S5_PxN6thrust23THRUST_200600_302600_NS6detail15normal_iteratorINS9_10device_ptrIxEEEENS0_8identityIxEEEE10hipError_tT2_T3_mT4_P12ihipStream_tbEUlT_E_NS1_11comp_targetILNS1_3genE0ELNS1_11target_archE4294967295ELNS1_3gpuE0ELNS1_3repE0EEENS1_30default_config_static_selectorELNS0_4arch9wavefront6targetE0EEEvT1_.kd
    .uniform_work_group_size: 1
    .uses_dynamic_stack: false
    .vgpr_count:     0
    .vgpr_spill_count: 0
    .wavefront_size: 32
    .workgroup_processor_mode: 1
  - .args:
      - .offset:         0
        .size:           40
        .value_kind:     by_value
    .group_segment_fixed_size: 0
    .kernarg_segment_align: 8
    .kernarg_segment_size: 40
    .language:       OpenCL C
    .language_version:
      - 2
      - 0
    .max_flat_workgroup_size: 512
    .name:           _ZN7rocprim17ROCPRIM_400000_NS6detail17trampoline_kernelINS0_14default_configENS1_25transform_config_selectorIxLb0EEEZNS1_14transform_implILb0ES3_S5_PxN6thrust23THRUST_200600_302600_NS6detail15normal_iteratorINS9_10device_ptrIxEEEENS0_8identityIxEEEE10hipError_tT2_T3_mT4_P12ihipStream_tbEUlT_E_NS1_11comp_targetILNS1_3genE5ELNS1_11target_archE942ELNS1_3gpuE9ELNS1_3repE0EEENS1_30default_config_static_selectorELNS0_4arch9wavefront6targetE0EEEvT1_
    .private_segment_fixed_size: 0
    .sgpr_count:     0
    .sgpr_spill_count: 0
    .symbol:         _ZN7rocprim17ROCPRIM_400000_NS6detail17trampoline_kernelINS0_14default_configENS1_25transform_config_selectorIxLb0EEEZNS1_14transform_implILb0ES3_S5_PxN6thrust23THRUST_200600_302600_NS6detail15normal_iteratorINS9_10device_ptrIxEEEENS0_8identityIxEEEE10hipError_tT2_T3_mT4_P12ihipStream_tbEUlT_E_NS1_11comp_targetILNS1_3genE5ELNS1_11target_archE942ELNS1_3gpuE9ELNS1_3repE0EEENS1_30default_config_static_selectorELNS0_4arch9wavefront6targetE0EEEvT1_.kd
    .uniform_work_group_size: 1
    .uses_dynamic_stack: false
    .vgpr_count:     0
    .vgpr_spill_count: 0
    .wavefront_size: 32
    .workgroup_processor_mode: 1
  - .args:
      - .offset:         0
        .size:           40
        .value_kind:     by_value
    .group_segment_fixed_size: 0
    .kernarg_segment_align: 8
    .kernarg_segment_size: 40
    .language:       OpenCL C
    .language_version:
      - 2
      - 0
    .max_flat_workgroup_size: 256
    .name:           _ZN7rocprim17ROCPRIM_400000_NS6detail17trampoline_kernelINS0_14default_configENS1_25transform_config_selectorIxLb0EEEZNS1_14transform_implILb0ES3_S5_PxN6thrust23THRUST_200600_302600_NS6detail15normal_iteratorINS9_10device_ptrIxEEEENS0_8identityIxEEEE10hipError_tT2_T3_mT4_P12ihipStream_tbEUlT_E_NS1_11comp_targetILNS1_3genE4ELNS1_11target_archE910ELNS1_3gpuE8ELNS1_3repE0EEENS1_30default_config_static_selectorELNS0_4arch9wavefront6targetE0EEEvT1_
    .private_segment_fixed_size: 0
    .sgpr_count:     0
    .sgpr_spill_count: 0
    .symbol:         _ZN7rocprim17ROCPRIM_400000_NS6detail17trampoline_kernelINS0_14default_configENS1_25transform_config_selectorIxLb0EEEZNS1_14transform_implILb0ES3_S5_PxN6thrust23THRUST_200600_302600_NS6detail15normal_iteratorINS9_10device_ptrIxEEEENS0_8identityIxEEEE10hipError_tT2_T3_mT4_P12ihipStream_tbEUlT_E_NS1_11comp_targetILNS1_3genE4ELNS1_11target_archE910ELNS1_3gpuE8ELNS1_3repE0EEENS1_30default_config_static_selectorELNS0_4arch9wavefront6targetE0EEEvT1_.kd
    .uniform_work_group_size: 1
    .uses_dynamic_stack: false
    .vgpr_count:     0
    .vgpr_spill_count: 0
    .wavefront_size: 32
    .workgroup_processor_mode: 1
  - .args:
      - .offset:         0
        .size:           40
        .value_kind:     by_value
    .group_segment_fixed_size: 0
    .kernarg_segment_align: 8
    .kernarg_segment_size: 40
    .language:       OpenCL C
    .language_version:
      - 2
      - 0
    .max_flat_workgroup_size: 128
    .name:           _ZN7rocprim17ROCPRIM_400000_NS6detail17trampoline_kernelINS0_14default_configENS1_25transform_config_selectorIxLb0EEEZNS1_14transform_implILb0ES3_S5_PxN6thrust23THRUST_200600_302600_NS6detail15normal_iteratorINS9_10device_ptrIxEEEENS0_8identityIxEEEE10hipError_tT2_T3_mT4_P12ihipStream_tbEUlT_E_NS1_11comp_targetILNS1_3genE3ELNS1_11target_archE908ELNS1_3gpuE7ELNS1_3repE0EEENS1_30default_config_static_selectorELNS0_4arch9wavefront6targetE0EEEvT1_
    .private_segment_fixed_size: 0
    .sgpr_count:     0
    .sgpr_spill_count: 0
    .symbol:         _ZN7rocprim17ROCPRIM_400000_NS6detail17trampoline_kernelINS0_14default_configENS1_25transform_config_selectorIxLb0EEEZNS1_14transform_implILb0ES3_S5_PxN6thrust23THRUST_200600_302600_NS6detail15normal_iteratorINS9_10device_ptrIxEEEENS0_8identityIxEEEE10hipError_tT2_T3_mT4_P12ihipStream_tbEUlT_E_NS1_11comp_targetILNS1_3genE3ELNS1_11target_archE908ELNS1_3gpuE7ELNS1_3repE0EEENS1_30default_config_static_selectorELNS0_4arch9wavefront6targetE0EEEvT1_.kd
    .uniform_work_group_size: 1
    .uses_dynamic_stack: false
    .vgpr_count:     0
    .vgpr_spill_count: 0
    .wavefront_size: 32
    .workgroup_processor_mode: 1
  - .args:
      - .offset:         0
        .size:           40
        .value_kind:     by_value
    .group_segment_fixed_size: 0
    .kernarg_segment_align: 8
    .kernarg_segment_size: 40
    .language:       OpenCL C
    .language_version:
      - 2
      - 0
    .max_flat_workgroup_size: 512
    .name:           _ZN7rocprim17ROCPRIM_400000_NS6detail17trampoline_kernelINS0_14default_configENS1_25transform_config_selectorIxLb0EEEZNS1_14transform_implILb0ES3_S5_PxN6thrust23THRUST_200600_302600_NS6detail15normal_iteratorINS9_10device_ptrIxEEEENS0_8identityIxEEEE10hipError_tT2_T3_mT4_P12ihipStream_tbEUlT_E_NS1_11comp_targetILNS1_3genE2ELNS1_11target_archE906ELNS1_3gpuE6ELNS1_3repE0EEENS1_30default_config_static_selectorELNS0_4arch9wavefront6targetE0EEEvT1_
    .private_segment_fixed_size: 0
    .sgpr_count:     0
    .sgpr_spill_count: 0
    .symbol:         _ZN7rocprim17ROCPRIM_400000_NS6detail17trampoline_kernelINS0_14default_configENS1_25transform_config_selectorIxLb0EEEZNS1_14transform_implILb0ES3_S5_PxN6thrust23THRUST_200600_302600_NS6detail15normal_iteratorINS9_10device_ptrIxEEEENS0_8identityIxEEEE10hipError_tT2_T3_mT4_P12ihipStream_tbEUlT_E_NS1_11comp_targetILNS1_3genE2ELNS1_11target_archE906ELNS1_3gpuE6ELNS1_3repE0EEENS1_30default_config_static_selectorELNS0_4arch9wavefront6targetE0EEEvT1_.kd
    .uniform_work_group_size: 1
    .uses_dynamic_stack: false
    .vgpr_count:     0
    .vgpr_spill_count: 0
    .wavefront_size: 32
    .workgroup_processor_mode: 1
  - .args:
      - .offset:         0
        .size:           40
        .value_kind:     by_value
    .group_segment_fixed_size: 0
    .kernarg_segment_align: 8
    .kernarg_segment_size: 40
    .language:       OpenCL C
    .language_version:
      - 2
      - 0
    .max_flat_workgroup_size: 1024
    .name:           _ZN7rocprim17ROCPRIM_400000_NS6detail17trampoline_kernelINS0_14default_configENS1_25transform_config_selectorIxLb0EEEZNS1_14transform_implILb0ES3_S5_PxN6thrust23THRUST_200600_302600_NS6detail15normal_iteratorINS9_10device_ptrIxEEEENS0_8identityIxEEEE10hipError_tT2_T3_mT4_P12ihipStream_tbEUlT_E_NS1_11comp_targetILNS1_3genE10ELNS1_11target_archE1201ELNS1_3gpuE5ELNS1_3repE0EEENS1_30default_config_static_selectorELNS0_4arch9wavefront6targetE0EEEvT1_
    .private_segment_fixed_size: 0
    .sgpr_count:     0
    .sgpr_spill_count: 0
    .symbol:         _ZN7rocprim17ROCPRIM_400000_NS6detail17trampoline_kernelINS0_14default_configENS1_25transform_config_selectorIxLb0EEEZNS1_14transform_implILb0ES3_S5_PxN6thrust23THRUST_200600_302600_NS6detail15normal_iteratorINS9_10device_ptrIxEEEENS0_8identityIxEEEE10hipError_tT2_T3_mT4_P12ihipStream_tbEUlT_E_NS1_11comp_targetILNS1_3genE10ELNS1_11target_archE1201ELNS1_3gpuE5ELNS1_3repE0EEENS1_30default_config_static_selectorELNS0_4arch9wavefront6targetE0EEEvT1_.kd
    .uniform_work_group_size: 1
    .uses_dynamic_stack: false
    .vgpr_count:     0
    .vgpr_spill_count: 0
    .wavefront_size: 32
    .workgroup_processor_mode: 1
  - .args:
      - .offset:         0
        .size:           40
        .value_kind:     by_value
    .group_segment_fixed_size: 0
    .kernarg_segment_align: 8
    .kernarg_segment_size: 40
    .language:       OpenCL C
    .language_version:
      - 2
      - 0
    .max_flat_workgroup_size: 512
    .name:           _ZN7rocprim17ROCPRIM_400000_NS6detail17trampoline_kernelINS0_14default_configENS1_25transform_config_selectorIxLb0EEEZNS1_14transform_implILb0ES3_S5_PxN6thrust23THRUST_200600_302600_NS6detail15normal_iteratorINS9_10device_ptrIxEEEENS0_8identityIxEEEE10hipError_tT2_T3_mT4_P12ihipStream_tbEUlT_E_NS1_11comp_targetILNS1_3genE10ELNS1_11target_archE1200ELNS1_3gpuE4ELNS1_3repE0EEENS1_30default_config_static_selectorELNS0_4arch9wavefront6targetE0EEEvT1_
    .private_segment_fixed_size: 0
    .sgpr_count:     0
    .sgpr_spill_count: 0
    .symbol:         _ZN7rocprim17ROCPRIM_400000_NS6detail17trampoline_kernelINS0_14default_configENS1_25transform_config_selectorIxLb0EEEZNS1_14transform_implILb0ES3_S5_PxN6thrust23THRUST_200600_302600_NS6detail15normal_iteratorINS9_10device_ptrIxEEEENS0_8identityIxEEEE10hipError_tT2_T3_mT4_P12ihipStream_tbEUlT_E_NS1_11comp_targetILNS1_3genE10ELNS1_11target_archE1200ELNS1_3gpuE4ELNS1_3repE0EEENS1_30default_config_static_selectorELNS0_4arch9wavefront6targetE0EEEvT1_.kd
    .uniform_work_group_size: 1
    .uses_dynamic_stack: false
    .vgpr_count:     0
    .vgpr_spill_count: 0
    .wavefront_size: 32
    .workgroup_processor_mode: 1
  - .args:
      - .offset:         0
        .size:           40
        .value_kind:     by_value
    .group_segment_fixed_size: 0
    .kernarg_segment_align: 8
    .kernarg_segment_size: 40
    .language:       OpenCL C
    .language_version:
      - 2
      - 0
    .max_flat_workgroup_size: 512
    .name:           _ZN7rocprim17ROCPRIM_400000_NS6detail17trampoline_kernelINS0_14default_configENS1_25transform_config_selectorIxLb0EEEZNS1_14transform_implILb0ES3_S5_PxN6thrust23THRUST_200600_302600_NS6detail15normal_iteratorINS9_10device_ptrIxEEEENS0_8identityIxEEEE10hipError_tT2_T3_mT4_P12ihipStream_tbEUlT_E_NS1_11comp_targetILNS1_3genE9ELNS1_11target_archE1100ELNS1_3gpuE3ELNS1_3repE0EEENS1_30default_config_static_selectorELNS0_4arch9wavefront6targetE0EEEvT1_
    .private_segment_fixed_size: 0
    .sgpr_count:     0
    .sgpr_spill_count: 0
    .symbol:         _ZN7rocprim17ROCPRIM_400000_NS6detail17trampoline_kernelINS0_14default_configENS1_25transform_config_selectorIxLb0EEEZNS1_14transform_implILb0ES3_S5_PxN6thrust23THRUST_200600_302600_NS6detail15normal_iteratorINS9_10device_ptrIxEEEENS0_8identityIxEEEE10hipError_tT2_T3_mT4_P12ihipStream_tbEUlT_E_NS1_11comp_targetILNS1_3genE9ELNS1_11target_archE1100ELNS1_3gpuE3ELNS1_3repE0EEENS1_30default_config_static_selectorELNS0_4arch9wavefront6targetE0EEEvT1_.kd
    .uniform_work_group_size: 1
    .uses_dynamic_stack: false
    .vgpr_count:     0
    .vgpr_spill_count: 0
    .wavefront_size: 32
    .workgroup_processor_mode: 1
  - .args:
      - .offset:         0
        .size:           40
        .value_kind:     by_value
      - .offset:         40
        .size:           4
        .value_kind:     hidden_block_count_x
      - .offset:         44
        .size:           4
        .value_kind:     hidden_block_count_y
      - .offset:         48
        .size:           4
        .value_kind:     hidden_block_count_z
      - .offset:         52
        .size:           2
        .value_kind:     hidden_group_size_x
      - .offset:         54
        .size:           2
        .value_kind:     hidden_group_size_y
      - .offset:         56
        .size:           2
        .value_kind:     hidden_group_size_z
      - .offset:         58
        .size:           2
        .value_kind:     hidden_remainder_x
      - .offset:         60
        .size:           2
        .value_kind:     hidden_remainder_y
      - .offset:         62
        .size:           2
        .value_kind:     hidden_remainder_z
      - .offset:         80
        .size:           8
        .value_kind:     hidden_global_offset_x
      - .offset:         88
        .size:           8
        .value_kind:     hidden_global_offset_y
      - .offset:         96
        .size:           8
        .value_kind:     hidden_global_offset_z
      - .offset:         104
        .size:           2
        .value_kind:     hidden_grid_dims
    .group_segment_fixed_size: 0
    .kernarg_segment_align: 8
    .kernarg_segment_size: 296
    .language:       OpenCL C
    .language_version:
      - 2
      - 0
    .max_flat_workgroup_size: 512
    .name:           _ZN7rocprim17ROCPRIM_400000_NS6detail17trampoline_kernelINS0_14default_configENS1_25transform_config_selectorIxLb0EEEZNS1_14transform_implILb0ES3_S5_PxN6thrust23THRUST_200600_302600_NS6detail15normal_iteratorINS9_10device_ptrIxEEEENS0_8identityIxEEEE10hipError_tT2_T3_mT4_P12ihipStream_tbEUlT_E_NS1_11comp_targetILNS1_3genE8ELNS1_11target_archE1030ELNS1_3gpuE2ELNS1_3repE0EEENS1_30default_config_static_selectorELNS0_4arch9wavefront6targetE0EEEvT1_
    .private_segment_fixed_size: 0
    .sgpr_count:     18
    .sgpr_spill_count: 0
    .symbol:         _ZN7rocprim17ROCPRIM_400000_NS6detail17trampoline_kernelINS0_14default_configENS1_25transform_config_selectorIxLb0EEEZNS1_14transform_implILb0ES3_S5_PxN6thrust23THRUST_200600_302600_NS6detail15normal_iteratorINS9_10device_ptrIxEEEENS0_8identityIxEEEE10hipError_tT2_T3_mT4_P12ihipStream_tbEUlT_E_NS1_11comp_targetILNS1_3genE8ELNS1_11target_archE1030ELNS1_3gpuE2ELNS1_3repE0EEENS1_30default_config_static_selectorELNS0_4arch9wavefront6targetE0EEEvT1_.kd
    .uniform_work_group_size: 1
    .uses_dynamic_stack: false
    .vgpr_count:     8
    .vgpr_spill_count: 0
    .wavefront_size: 32
    .workgroup_processor_mode: 1
  - .args:
      - .offset:         0
        .size:           104
        .value_kind:     by_value
    .group_segment_fixed_size: 0
    .kernarg_segment_align: 8
    .kernarg_segment_size: 104
    .language:       OpenCL C
    .language_version:
      - 2
      - 0
    .max_flat_workgroup_size: 128
    .name:           _ZN7rocprim17ROCPRIM_400000_NS6detail17trampoline_kernelINS0_14default_configENS1_22reduce_config_selectorIN6thrust23THRUST_200600_302600_NS5tupleIblNS6_9null_typeES8_S8_S8_S8_S8_S8_S8_EEEEZNS1_11reduce_implILb1ES3_NS6_12zip_iteratorINS7_INS6_11hip_rocprim26transform_input_iterator_tIbNSD_35transform_pair_of_input_iterators_tIbNS6_6detail15normal_iteratorINS6_10device_ptrIKxEEEESL_NS6_8equal_toIxEEEENSG_9not_fun_tINSD_8identityEEEEENSD_19counting_iterator_tIlEES8_S8_S8_S8_S8_S8_S8_S8_EEEEPS9_S9_NSD_9__find_if7functorIS9_EEEE10hipError_tPvRmT1_T2_T3_mT4_P12ihipStream_tbEUlT_E0_NS1_11comp_targetILNS1_3genE0ELNS1_11target_archE4294967295ELNS1_3gpuE0ELNS1_3repE0EEENS1_30default_config_static_selectorELNS0_4arch9wavefront6targetE0EEEvS14_
    .private_segment_fixed_size: 0
    .sgpr_count:     0
    .sgpr_spill_count: 0
    .symbol:         _ZN7rocprim17ROCPRIM_400000_NS6detail17trampoline_kernelINS0_14default_configENS1_22reduce_config_selectorIN6thrust23THRUST_200600_302600_NS5tupleIblNS6_9null_typeES8_S8_S8_S8_S8_S8_S8_EEEEZNS1_11reduce_implILb1ES3_NS6_12zip_iteratorINS7_INS6_11hip_rocprim26transform_input_iterator_tIbNSD_35transform_pair_of_input_iterators_tIbNS6_6detail15normal_iteratorINS6_10device_ptrIKxEEEESL_NS6_8equal_toIxEEEENSG_9not_fun_tINSD_8identityEEEEENSD_19counting_iterator_tIlEES8_S8_S8_S8_S8_S8_S8_S8_EEEEPS9_S9_NSD_9__find_if7functorIS9_EEEE10hipError_tPvRmT1_T2_T3_mT4_P12ihipStream_tbEUlT_E0_NS1_11comp_targetILNS1_3genE0ELNS1_11target_archE4294967295ELNS1_3gpuE0ELNS1_3repE0EEENS1_30default_config_static_selectorELNS0_4arch9wavefront6targetE0EEEvS14_.kd
    .uniform_work_group_size: 1
    .uses_dynamic_stack: false
    .vgpr_count:     0
    .vgpr_spill_count: 0
    .wavefront_size: 32
    .workgroup_processor_mode: 1
  - .args:
      - .offset:         0
        .size:           104
        .value_kind:     by_value
    .group_segment_fixed_size: 0
    .kernarg_segment_align: 8
    .kernarg_segment_size: 104
    .language:       OpenCL C
    .language_version:
      - 2
      - 0
    .max_flat_workgroup_size: 256
    .name:           _ZN7rocprim17ROCPRIM_400000_NS6detail17trampoline_kernelINS0_14default_configENS1_22reduce_config_selectorIN6thrust23THRUST_200600_302600_NS5tupleIblNS6_9null_typeES8_S8_S8_S8_S8_S8_S8_EEEEZNS1_11reduce_implILb1ES3_NS6_12zip_iteratorINS7_INS6_11hip_rocprim26transform_input_iterator_tIbNSD_35transform_pair_of_input_iterators_tIbNS6_6detail15normal_iteratorINS6_10device_ptrIKxEEEESL_NS6_8equal_toIxEEEENSG_9not_fun_tINSD_8identityEEEEENSD_19counting_iterator_tIlEES8_S8_S8_S8_S8_S8_S8_S8_EEEEPS9_S9_NSD_9__find_if7functorIS9_EEEE10hipError_tPvRmT1_T2_T3_mT4_P12ihipStream_tbEUlT_E0_NS1_11comp_targetILNS1_3genE5ELNS1_11target_archE942ELNS1_3gpuE9ELNS1_3repE0EEENS1_30default_config_static_selectorELNS0_4arch9wavefront6targetE0EEEvS14_
    .private_segment_fixed_size: 0
    .sgpr_count:     0
    .sgpr_spill_count: 0
    .symbol:         _ZN7rocprim17ROCPRIM_400000_NS6detail17trampoline_kernelINS0_14default_configENS1_22reduce_config_selectorIN6thrust23THRUST_200600_302600_NS5tupleIblNS6_9null_typeES8_S8_S8_S8_S8_S8_S8_EEEEZNS1_11reduce_implILb1ES3_NS6_12zip_iteratorINS7_INS6_11hip_rocprim26transform_input_iterator_tIbNSD_35transform_pair_of_input_iterators_tIbNS6_6detail15normal_iteratorINS6_10device_ptrIKxEEEESL_NS6_8equal_toIxEEEENSG_9not_fun_tINSD_8identityEEEEENSD_19counting_iterator_tIlEES8_S8_S8_S8_S8_S8_S8_S8_EEEEPS9_S9_NSD_9__find_if7functorIS9_EEEE10hipError_tPvRmT1_T2_T3_mT4_P12ihipStream_tbEUlT_E0_NS1_11comp_targetILNS1_3genE5ELNS1_11target_archE942ELNS1_3gpuE9ELNS1_3repE0EEENS1_30default_config_static_selectorELNS0_4arch9wavefront6targetE0EEEvS14_.kd
    .uniform_work_group_size: 1
    .uses_dynamic_stack: false
    .vgpr_count:     0
    .vgpr_spill_count: 0
    .wavefront_size: 32
    .workgroup_processor_mode: 1
  - .args:
      - .offset:         0
        .size:           104
        .value_kind:     by_value
    .group_segment_fixed_size: 0
    .kernarg_segment_align: 8
    .kernarg_segment_size: 104
    .language:       OpenCL C
    .language_version:
      - 2
      - 0
    .max_flat_workgroup_size: 256
    .name:           _ZN7rocprim17ROCPRIM_400000_NS6detail17trampoline_kernelINS0_14default_configENS1_22reduce_config_selectorIN6thrust23THRUST_200600_302600_NS5tupleIblNS6_9null_typeES8_S8_S8_S8_S8_S8_S8_EEEEZNS1_11reduce_implILb1ES3_NS6_12zip_iteratorINS7_INS6_11hip_rocprim26transform_input_iterator_tIbNSD_35transform_pair_of_input_iterators_tIbNS6_6detail15normal_iteratorINS6_10device_ptrIKxEEEESL_NS6_8equal_toIxEEEENSG_9not_fun_tINSD_8identityEEEEENSD_19counting_iterator_tIlEES8_S8_S8_S8_S8_S8_S8_S8_EEEEPS9_S9_NSD_9__find_if7functorIS9_EEEE10hipError_tPvRmT1_T2_T3_mT4_P12ihipStream_tbEUlT_E0_NS1_11comp_targetILNS1_3genE4ELNS1_11target_archE910ELNS1_3gpuE8ELNS1_3repE0EEENS1_30default_config_static_selectorELNS0_4arch9wavefront6targetE0EEEvS14_
    .private_segment_fixed_size: 0
    .sgpr_count:     0
    .sgpr_spill_count: 0
    .symbol:         _ZN7rocprim17ROCPRIM_400000_NS6detail17trampoline_kernelINS0_14default_configENS1_22reduce_config_selectorIN6thrust23THRUST_200600_302600_NS5tupleIblNS6_9null_typeES8_S8_S8_S8_S8_S8_S8_EEEEZNS1_11reduce_implILb1ES3_NS6_12zip_iteratorINS7_INS6_11hip_rocprim26transform_input_iterator_tIbNSD_35transform_pair_of_input_iterators_tIbNS6_6detail15normal_iteratorINS6_10device_ptrIKxEEEESL_NS6_8equal_toIxEEEENSG_9not_fun_tINSD_8identityEEEEENSD_19counting_iterator_tIlEES8_S8_S8_S8_S8_S8_S8_S8_EEEEPS9_S9_NSD_9__find_if7functorIS9_EEEE10hipError_tPvRmT1_T2_T3_mT4_P12ihipStream_tbEUlT_E0_NS1_11comp_targetILNS1_3genE4ELNS1_11target_archE910ELNS1_3gpuE8ELNS1_3repE0EEENS1_30default_config_static_selectorELNS0_4arch9wavefront6targetE0EEEvS14_.kd
    .uniform_work_group_size: 1
    .uses_dynamic_stack: false
    .vgpr_count:     0
    .vgpr_spill_count: 0
    .wavefront_size: 32
    .workgroup_processor_mode: 1
  - .args:
      - .offset:         0
        .size:           104
        .value_kind:     by_value
    .group_segment_fixed_size: 0
    .kernarg_segment_align: 8
    .kernarg_segment_size: 104
    .language:       OpenCL C
    .language_version:
      - 2
      - 0
    .max_flat_workgroup_size: 128
    .name:           _ZN7rocprim17ROCPRIM_400000_NS6detail17trampoline_kernelINS0_14default_configENS1_22reduce_config_selectorIN6thrust23THRUST_200600_302600_NS5tupleIblNS6_9null_typeES8_S8_S8_S8_S8_S8_S8_EEEEZNS1_11reduce_implILb1ES3_NS6_12zip_iteratorINS7_INS6_11hip_rocprim26transform_input_iterator_tIbNSD_35transform_pair_of_input_iterators_tIbNS6_6detail15normal_iteratorINS6_10device_ptrIKxEEEESL_NS6_8equal_toIxEEEENSG_9not_fun_tINSD_8identityEEEEENSD_19counting_iterator_tIlEES8_S8_S8_S8_S8_S8_S8_S8_EEEEPS9_S9_NSD_9__find_if7functorIS9_EEEE10hipError_tPvRmT1_T2_T3_mT4_P12ihipStream_tbEUlT_E0_NS1_11comp_targetILNS1_3genE3ELNS1_11target_archE908ELNS1_3gpuE7ELNS1_3repE0EEENS1_30default_config_static_selectorELNS0_4arch9wavefront6targetE0EEEvS14_
    .private_segment_fixed_size: 0
    .sgpr_count:     0
    .sgpr_spill_count: 0
    .symbol:         _ZN7rocprim17ROCPRIM_400000_NS6detail17trampoline_kernelINS0_14default_configENS1_22reduce_config_selectorIN6thrust23THRUST_200600_302600_NS5tupleIblNS6_9null_typeES8_S8_S8_S8_S8_S8_S8_EEEEZNS1_11reduce_implILb1ES3_NS6_12zip_iteratorINS7_INS6_11hip_rocprim26transform_input_iterator_tIbNSD_35transform_pair_of_input_iterators_tIbNS6_6detail15normal_iteratorINS6_10device_ptrIKxEEEESL_NS6_8equal_toIxEEEENSG_9not_fun_tINSD_8identityEEEEENSD_19counting_iterator_tIlEES8_S8_S8_S8_S8_S8_S8_S8_EEEEPS9_S9_NSD_9__find_if7functorIS9_EEEE10hipError_tPvRmT1_T2_T3_mT4_P12ihipStream_tbEUlT_E0_NS1_11comp_targetILNS1_3genE3ELNS1_11target_archE908ELNS1_3gpuE7ELNS1_3repE0EEENS1_30default_config_static_selectorELNS0_4arch9wavefront6targetE0EEEvS14_.kd
    .uniform_work_group_size: 1
    .uses_dynamic_stack: false
    .vgpr_count:     0
    .vgpr_spill_count: 0
    .wavefront_size: 32
    .workgroup_processor_mode: 1
  - .args:
      - .offset:         0
        .size:           104
        .value_kind:     by_value
    .group_segment_fixed_size: 0
    .kernarg_segment_align: 8
    .kernarg_segment_size: 104
    .language:       OpenCL C
    .language_version:
      - 2
      - 0
    .max_flat_workgroup_size: 128
    .name:           _ZN7rocprim17ROCPRIM_400000_NS6detail17trampoline_kernelINS0_14default_configENS1_22reduce_config_selectorIN6thrust23THRUST_200600_302600_NS5tupleIblNS6_9null_typeES8_S8_S8_S8_S8_S8_S8_EEEEZNS1_11reduce_implILb1ES3_NS6_12zip_iteratorINS7_INS6_11hip_rocprim26transform_input_iterator_tIbNSD_35transform_pair_of_input_iterators_tIbNS6_6detail15normal_iteratorINS6_10device_ptrIKxEEEESL_NS6_8equal_toIxEEEENSG_9not_fun_tINSD_8identityEEEEENSD_19counting_iterator_tIlEES8_S8_S8_S8_S8_S8_S8_S8_EEEEPS9_S9_NSD_9__find_if7functorIS9_EEEE10hipError_tPvRmT1_T2_T3_mT4_P12ihipStream_tbEUlT_E0_NS1_11comp_targetILNS1_3genE2ELNS1_11target_archE906ELNS1_3gpuE6ELNS1_3repE0EEENS1_30default_config_static_selectorELNS0_4arch9wavefront6targetE0EEEvS14_
    .private_segment_fixed_size: 0
    .sgpr_count:     0
    .sgpr_spill_count: 0
    .symbol:         _ZN7rocprim17ROCPRIM_400000_NS6detail17trampoline_kernelINS0_14default_configENS1_22reduce_config_selectorIN6thrust23THRUST_200600_302600_NS5tupleIblNS6_9null_typeES8_S8_S8_S8_S8_S8_S8_EEEEZNS1_11reduce_implILb1ES3_NS6_12zip_iteratorINS7_INS6_11hip_rocprim26transform_input_iterator_tIbNSD_35transform_pair_of_input_iterators_tIbNS6_6detail15normal_iteratorINS6_10device_ptrIKxEEEESL_NS6_8equal_toIxEEEENSG_9not_fun_tINSD_8identityEEEEENSD_19counting_iterator_tIlEES8_S8_S8_S8_S8_S8_S8_S8_EEEEPS9_S9_NSD_9__find_if7functorIS9_EEEE10hipError_tPvRmT1_T2_T3_mT4_P12ihipStream_tbEUlT_E0_NS1_11comp_targetILNS1_3genE2ELNS1_11target_archE906ELNS1_3gpuE6ELNS1_3repE0EEENS1_30default_config_static_selectorELNS0_4arch9wavefront6targetE0EEEvS14_.kd
    .uniform_work_group_size: 1
    .uses_dynamic_stack: false
    .vgpr_count:     0
    .vgpr_spill_count: 0
    .wavefront_size: 32
    .workgroup_processor_mode: 1
  - .args:
      - .offset:         0
        .size:           104
        .value_kind:     by_value
    .group_segment_fixed_size: 0
    .kernarg_segment_align: 8
    .kernarg_segment_size: 104
    .language:       OpenCL C
    .language_version:
      - 2
      - 0
    .max_flat_workgroup_size: 256
    .name:           _ZN7rocprim17ROCPRIM_400000_NS6detail17trampoline_kernelINS0_14default_configENS1_22reduce_config_selectorIN6thrust23THRUST_200600_302600_NS5tupleIblNS6_9null_typeES8_S8_S8_S8_S8_S8_S8_EEEEZNS1_11reduce_implILb1ES3_NS6_12zip_iteratorINS7_INS6_11hip_rocprim26transform_input_iterator_tIbNSD_35transform_pair_of_input_iterators_tIbNS6_6detail15normal_iteratorINS6_10device_ptrIKxEEEESL_NS6_8equal_toIxEEEENSG_9not_fun_tINSD_8identityEEEEENSD_19counting_iterator_tIlEES8_S8_S8_S8_S8_S8_S8_S8_EEEEPS9_S9_NSD_9__find_if7functorIS9_EEEE10hipError_tPvRmT1_T2_T3_mT4_P12ihipStream_tbEUlT_E0_NS1_11comp_targetILNS1_3genE10ELNS1_11target_archE1201ELNS1_3gpuE5ELNS1_3repE0EEENS1_30default_config_static_selectorELNS0_4arch9wavefront6targetE0EEEvS14_
    .private_segment_fixed_size: 0
    .sgpr_count:     0
    .sgpr_spill_count: 0
    .symbol:         _ZN7rocprim17ROCPRIM_400000_NS6detail17trampoline_kernelINS0_14default_configENS1_22reduce_config_selectorIN6thrust23THRUST_200600_302600_NS5tupleIblNS6_9null_typeES8_S8_S8_S8_S8_S8_S8_EEEEZNS1_11reduce_implILb1ES3_NS6_12zip_iteratorINS7_INS6_11hip_rocprim26transform_input_iterator_tIbNSD_35transform_pair_of_input_iterators_tIbNS6_6detail15normal_iteratorINS6_10device_ptrIKxEEEESL_NS6_8equal_toIxEEEENSG_9not_fun_tINSD_8identityEEEEENSD_19counting_iterator_tIlEES8_S8_S8_S8_S8_S8_S8_S8_EEEEPS9_S9_NSD_9__find_if7functorIS9_EEEE10hipError_tPvRmT1_T2_T3_mT4_P12ihipStream_tbEUlT_E0_NS1_11comp_targetILNS1_3genE10ELNS1_11target_archE1201ELNS1_3gpuE5ELNS1_3repE0EEENS1_30default_config_static_selectorELNS0_4arch9wavefront6targetE0EEEvS14_.kd
    .uniform_work_group_size: 1
    .uses_dynamic_stack: false
    .vgpr_count:     0
    .vgpr_spill_count: 0
    .wavefront_size: 32
    .workgroup_processor_mode: 1
  - .args:
      - .offset:         0
        .size:           104
        .value_kind:     by_value
    .group_segment_fixed_size: 0
    .kernarg_segment_align: 8
    .kernarg_segment_size: 104
    .language:       OpenCL C
    .language_version:
      - 2
      - 0
    .max_flat_workgroup_size: 256
    .name:           _ZN7rocprim17ROCPRIM_400000_NS6detail17trampoline_kernelINS0_14default_configENS1_22reduce_config_selectorIN6thrust23THRUST_200600_302600_NS5tupleIblNS6_9null_typeES8_S8_S8_S8_S8_S8_S8_EEEEZNS1_11reduce_implILb1ES3_NS6_12zip_iteratorINS7_INS6_11hip_rocprim26transform_input_iterator_tIbNSD_35transform_pair_of_input_iterators_tIbNS6_6detail15normal_iteratorINS6_10device_ptrIKxEEEESL_NS6_8equal_toIxEEEENSG_9not_fun_tINSD_8identityEEEEENSD_19counting_iterator_tIlEES8_S8_S8_S8_S8_S8_S8_S8_EEEEPS9_S9_NSD_9__find_if7functorIS9_EEEE10hipError_tPvRmT1_T2_T3_mT4_P12ihipStream_tbEUlT_E0_NS1_11comp_targetILNS1_3genE10ELNS1_11target_archE1200ELNS1_3gpuE4ELNS1_3repE0EEENS1_30default_config_static_selectorELNS0_4arch9wavefront6targetE0EEEvS14_
    .private_segment_fixed_size: 0
    .sgpr_count:     0
    .sgpr_spill_count: 0
    .symbol:         _ZN7rocprim17ROCPRIM_400000_NS6detail17trampoline_kernelINS0_14default_configENS1_22reduce_config_selectorIN6thrust23THRUST_200600_302600_NS5tupleIblNS6_9null_typeES8_S8_S8_S8_S8_S8_S8_EEEEZNS1_11reduce_implILb1ES3_NS6_12zip_iteratorINS7_INS6_11hip_rocprim26transform_input_iterator_tIbNSD_35transform_pair_of_input_iterators_tIbNS6_6detail15normal_iteratorINS6_10device_ptrIKxEEEESL_NS6_8equal_toIxEEEENSG_9not_fun_tINSD_8identityEEEEENSD_19counting_iterator_tIlEES8_S8_S8_S8_S8_S8_S8_S8_EEEEPS9_S9_NSD_9__find_if7functorIS9_EEEE10hipError_tPvRmT1_T2_T3_mT4_P12ihipStream_tbEUlT_E0_NS1_11comp_targetILNS1_3genE10ELNS1_11target_archE1200ELNS1_3gpuE4ELNS1_3repE0EEENS1_30default_config_static_selectorELNS0_4arch9wavefront6targetE0EEEvS14_.kd
    .uniform_work_group_size: 1
    .uses_dynamic_stack: false
    .vgpr_count:     0
    .vgpr_spill_count: 0
    .wavefront_size: 32
    .workgroup_processor_mode: 1
  - .args:
      - .offset:         0
        .size:           104
        .value_kind:     by_value
    .group_segment_fixed_size: 0
    .kernarg_segment_align: 8
    .kernarg_segment_size: 104
    .language:       OpenCL C
    .language_version:
      - 2
      - 0
    .max_flat_workgroup_size: 256
    .name:           _ZN7rocprim17ROCPRIM_400000_NS6detail17trampoline_kernelINS0_14default_configENS1_22reduce_config_selectorIN6thrust23THRUST_200600_302600_NS5tupleIblNS6_9null_typeES8_S8_S8_S8_S8_S8_S8_EEEEZNS1_11reduce_implILb1ES3_NS6_12zip_iteratorINS7_INS6_11hip_rocprim26transform_input_iterator_tIbNSD_35transform_pair_of_input_iterators_tIbNS6_6detail15normal_iteratorINS6_10device_ptrIKxEEEESL_NS6_8equal_toIxEEEENSG_9not_fun_tINSD_8identityEEEEENSD_19counting_iterator_tIlEES8_S8_S8_S8_S8_S8_S8_S8_EEEEPS9_S9_NSD_9__find_if7functorIS9_EEEE10hipError_tPvRmT1_T2_T3_mT4_P12ihipStream_tbEUlT_E0_NS1_11comp_targetILNS1_3genE9ELNS1_11target_archE1100ELNS1_3gpuE3ELNS1_3repE0EEENS1_30default_config_static_selectorELNS0_4arch9wavefront6targetE0EEEvS14_
    .private_segment_fixed_size: 0
    .sgpr_count:     0
    .sgpr_spill_count: 0
    .symbol:         _ZN7rocprim17ROCPRIM_400000_NS6detail17trampoline_kernelINS0_14default_configENS1_22reduce_config_selectorIN6thrust23THRUST_200600_302600_NS5tupleIblNS6_9null_typeES8_S8_S8_S8_S8_S8_S8_EEEEZNS1_11reduce_implILb1ES3_NS6_12zip_iteratorINS7_INS6_11hip_rocprim26transform_input_iterator_tIbNSD_35transform_pair_of_input_iterators_tIbNS6_6detail15normal_iteratorINS6_10device_ptrIKxEEEESL_NS6_8equal_toIxEEEENSG_9not_fun_tINSD_8identityEEEEENSD_19counting_iterator_tIlEES8_S8_S8_S8_S8_S8_S8_S8_EEEEPS9_S9_NSD_9__find_if7functorIS9_EEEE10hipError_tPvRmT1_T2_T3_mT4_P12ihipStream_tbEUlT_E0_NS1_11comp_targetILNS1_3genE9ELNS1_11target_archE1100ELNS1_3gpuE3ELNS1_3repE0EEENS1_30default_config_static_selectorELNS0_4arch9wavefront6targetE0EEEvS14_.kd
    .uniform_work_group_size: 1
    .uses_dynamic_stack: false
    .vgpr_count:     0
    .vgpr_spill_count: 0
    .wavefront_size: 32
    .workgroup_processor_mode: 1
  - .args:
      - .offset:         0
        .size:           104
        .value_kind:     by_value
    .group_segment_fixed_size: 256
    .kernarg_segment_align: 8
    .kernarg_segment_size: 104
    .language:       OpenCL C
    .language_version:
      - 2
      - 0
    .max_flat_workgroup_size: 256
    .name:           _ZN7rocprim17ROCPRIM_400000_NS6detail17trampoline_kernelINS0_14default_configENS1_22reduce_config_selectorIN6thrust23THRUST_200600_302600_NS5tupleIblNS6_9null_typeES8_S8_S8_S8_S8_S8_S8_EEEEZNS1_11reduce_implILb1ES3_NS6_12zip_iteratorINS7_INS6_11hip_rocprim26transform_input_iterator_tIbNSD_35transform_pair_of_input_iterators_tIbNS6_6detail15normal_iteratorINS6_10device_ptrIKxEEEESL_NS6_8equal_toIxEEEENSG_9not_fun_tINSD_8identityEEEEENSD_19counting_iterator_tIlEES8_S8_S8_S8_S8_S8_S8_S8_EEEEPS9_S9_NSD_9__find_if7functorIS9_EEEE10hipError_tPvRmT1_T2_T3_mT4_P12ihipStream_tbEUlT_E0_NS1_11comp_targetILNS1_3genE8ELNS1_11target_archE1030ELNS1_3gpuE2ELNS1_3repE0EEENS1_30default_config_static_selectorELNS0_4arch9wavefront6targetE0EEEvS14_
    .private_segment_fixed_size: 0
    .sgpr_count:     30
    .sgpr_spill_count: 0
    .symbol:         _ZN7rocprim17ROCPRIM_400000_NS6detail17trampoline_kernelINS0_14default_configENS1_22reduce_config_selectorIN6thrust23THRUST_200600_302600_NS5tupleIblNS6_9null_typeES8_S8_S8_S8_S8_S8_S8_EEEEZNS1_11reduce_implILb1ES3_NS6_12zip_iteratorINS7_INS6_11hip_rocprim26transform_input_iterator_tIbNSD_35transform_pair_of_input_iterators_tIbNS6_6detail15normal_iteratorINS6_10device_ptrIKxEEEESL_NS6_8equal_toIxEEEENSG_9not_fun_tINSD_8identityEEEEENSD_19counting_iterator_tIlEES8_S8_S8_S8_S8_S8_S8_S8_EEEEPS9_S9_NSD_9__find_if7functorIS9_EEEE10hipError_tPvRmT1_T2_T3_mT4_P12ihipStream_tbEUlT_E0_NS1_11comp_targetILNS1_3genE8ELNS1_11target_archE1030ELNS1_3gpuE2ELNS1_3repE0EEENS1_30default_config_static_selectorELNS0_4arch9wavefront6targetE0EEEvS14_.kd
    .uniform_work_group_size: 1
    .uses_dynamic_stack: false
    .vgpr_count:     14
    .vgpr_spill_count: 0
    .wavefront_size: 32
    .workgroup_processor_mode: 1
  - .args:
      - .offset:         0
        .size:           88
        .value_kind:     by_value
    .group_segment_fixed_size: 0
    .kernarg_segment_align: 8
    .kernarg_segment_size: 88
    .language:       OpenCL C
    .language_version:
      - 2
      - 0
    .max_flat_workgroup_size: 128
    .name:           _ZN7rocprim17ROCPRIM_400000_NS6detail17trampoline_kernelINS0_14default_configENS1_22reduce_config_selectorIN6thrust23THRUST_200600_302600_NS5tupleIblNS6_9null_typeES8_S8_S8_S8_S8_S8_S8_EEEEZNS1_11reduce_implILb1ES3_NS6_12zip_iteratorINS7_INS6_11hip_rocprim26transform_input_iterator_tIbNSD_35transform_pair_of_input_iterators_tIbNS6_6detail15normal_iteratorINS6_10device_ptrIKxEEEESL_NS6_8equal_toIxEEEENSG_9not_fun_tINSD_8identityEEEEENSD_19counting_iterator_tIlEES8_S8_S8_S8_S8_S8_S8_S8_EEEEPS9_S9_NSD_9__find_if7functorIS9_EEEE10hipError_tPvRmT1_T2_T3_mT4_P12ihipStream_tbEUlT_E1_NS1_11comp_targetILNS1_3genE0ELNS1_11target_archE4294967295ELNS1_3gpuE0ELNS1_3repE0EEENS1_30default_config_static_selectorELNS0_4arch9wavefront6targetE0EEEvS14_
    .private_segment_fixed_size: 0
    .sgpr_count:     0
    .sgpr_spill_count: 0
    .symbol:         _ZN7rocprim17ROCPRIM_400000_NS6detail17trampoline_kernelINS0_14default_configENS1_22reduce_config_selectorIN6thrust23THRUST_200600_302600_NS5tupleIblNS6_9null_typeES8_S8_S8_S8_S8_S8_S8_EEEEZNS1_11reduce_implILb1ES3_NS6_12zip_iteratorINS7_INS6_11hip_rocprim26transform_input_iterator_tIbNSD_35transform_pair_of_input_iterators_tIbNS6_6detail15normal_iteratorINS6_10device_ptrIKxEEEESL_NS6_8equal_toIxEEEENSG_9not_fun_tINSD_8identityEEEEENSD_19counting_iterator_tIlEES8_S8_S8_S8_S8_S8_S8_S8_EEEEPS9_S9_NSD_9__find_if7functorIS9_EEEE10hipError_tPvRmT1_T2_T3_mT4_P12ihipStream_tbEUlT_E1_NS1_11comp_targetILNS1_3genE0ELNS1_11target_archE4294967295ELNS1_3gpuE0ELNS1_3repE0EEENS1_30default_config_static_selectorELNS0_4arch9wavefront6targetE0EEEvS14_.kd
    .uniform_work_group_size: 1
    .uses_dynamic_stack: false
    .vgpr_count:     0
    .vgpr_spill_count: 0
    .wavefront_size: 32
    .workgroup_processor_mode: 1
  - .args:
      - .offset:         0
        .size:           88
        .value_kind:     by_value
    .group_segment_fixed_size: 0
    .kernarg_segment_align: 8
    .kernarg_segment_size: 88
    .language:       OpenCL C
    .language_version:
      - 2
      - 0
    .max_flat_workgroup_size: 256
    .name:           _ZN7rocprim17ROCPRIM_400000_NS6detail17trampoline_kernelINS0_14default_configENS1_22reduce_config_selectorIN6thrust23THRUST_200600_302600_NS5tupleIblNS6_9null_typeES8_S8_S8_S8_S8_S8_S8_EEEEZNS1_11reduce_implILb1ES3_NS6_12zip_iteratorINS7_INS6_11hip_rocprim26transform_input_iterator_tIbNSD_35transform_pair_of_input_iterators_tIbNS6_6detail15normal_iteratorINS6_10device_ptrIKxEEEESL_NS6_8equal_toIxEEEENSG_9not_fun_tINSD_8identityEEEEENSD_19counting_iterator_tIlEES8_S8_S8_S8_S8_S8_S8_S8_EEEEPS9_S9_NSD_9__find_if7functorIS9_EEEE10hipError_tPvRmT1_T2_T3_mT4_P12ihipStream_tbEUlT_E1_NS1_11comp_targetILNS1_3genE5ELNS1_11target_archE942ELNS1_3gpuE9ELNS1_3repE0EEENS1_30default_config_static_selectorELNS0_4arch9wavefront6targetE0EEEvS14_
    .private_segment_fixed_size: 0
    .sgpr_count:     0
    .sgpr_spill_count: 0
    .symbol:         _ZN7rocprim17ROCPRIM_400000_NS6detail17trampoline_kernelINS0_14default_configENS1_22reduce_config_selectorIN6thrust23THRUST_200600_302600_NS5tupleIblNS6_9null_typeES8_S8_S8_S8_S8_S8_S8_EEEEZNS1_11reduce_implILb1ES3_NS6_12zip_iteratorINS7_INS6_11hip_rocprim26transform_input_iterator_tIbNSD_35transform_pair_of_input_iterators_tIbNS6_6detail15normal_iteratorINS6_10device_ptrIKxEEEESL_NS6_8equal_toIxEEEENSG_9not_fun_tINSD_8identityEEEEENSD_19counting_iterator_tIlEES8_S8_S8_S8_S8_S8_S8_S8_EEEEPS9_S9_NSD_9__find_if7functorIS9_EEEE10hipError_tPvRmT1_T2_T3_mT4_P12ihipStream_tbEUlT_E1_NS1_11comp_targetILNS1_3genE5ELNS1_11target_archE942ELNS1_3gpuE9ELNS1_3repE0EEENS1_30default_config_static_selectorELNS0_4arch9wavefront6targetE0EEEvS14_.kd
    .uniform_work_group_size: 1
    .uses_dynamic_stack: false
    .vgpr_count:     0
    .vgpr_spill_count: 0
    .wavefront_size: 32
    .workgroup_processor_mode: 1
  - .args:
      - .offset:         0
        .size:           88
        .value_kind:     by_value
    .group_segment_fixed_size: 0
    .kernarg_segment_align: 8
    .kernarg_segment_size: 88
    .language:       OpenCL C
    .language_version:
      - 2
      - 0
    .max_flat_workgroup_size: 256
    .name:           _ZN7rocprim17ROCPRIM_400000_NS6detail17trampoline_kernelINS0_14default_configENS1_22reduce_config_selectorIN6thrust23THRUST_200600_302600_NS5tupleIblNS6_9null_typeES8_S8_S8_S8_S8_S8_S8_EEEEZNS1_11reduce_implILb1ES3_NS6_12zip_iteratorINS7_INS6_11hip_rocprim26transform_input_iterator_tIbNSD_35transform_pair_of_input_iterators_tIbNS6_6detail15normal_iteratorINS6_10device_ptrIKxEEEESL_NS6_8equal_toIxEEEENSG_9not_fun_tINSD_8identityEEEEENSD_19counting_iterator_tIlEES8_S8_S8_S8_S8_S8_S8_S8_EEEEPS9_S9_NSD_9__find_if7functorIS9_EEEE10hipError_tPvRmT1_T2_T3_mT4_P12ihipStream_tbEUlT_E1_NS1_11comp_targetILNS1_3genE4ELNS1_11target_archE910ELNS1_3gpuE8ELNS1_3repE0EEENS1_30default_config_static_selectorELNS0_4arch9wavefront6targetE0EEEvS14_
    .private_segment_fixed_size: 0
    .sgpr_count:     0
    .sgpr_spill_count: 0
    .symbol:         _ZN7rocprim17ROCPRIM_400000_NS6detail17trampoline_kernelINS0_14default_configENS1_22reduce_config_selectorIN6thrust23THRUST_200600_302600_NS5tupleIblNS6_9null_typeES8_S8_S8_S8_S8_S8_S8_EEEEZNS1_11reduce_implILb1ES3_NS6_12zip_iteratorINS7_INS6_11hip_rocprim26transform_input_iterator_tIbNSD_35transform_pair_of_input_iterators_tIbNS6_6detail15normal_iteratorINS6_10device_ptrIKxEEEESL_NS6_8equal_toIxEEEENSG_9not_fun_tINSD_8identityEEEEENSD_19counting_iterator_tIlEES8_S8_S8_S8_S8_S8_S8_S8_EEEEPS9_S9_NSD_9__find_if7functorIS9_EEEE10hipError_tPvRmT1_T2_T3_mT4_P12ihipStream_tbEUlT_E1_NS1_11comp_targetILNS1_3genE4ELNS1_11target_archE910ELNS1_3gpuE8ELNS1_3repE0EEENS1_30default_config_static_selectorELNS0_4arch9wavefront6targetE0EEEvS14_.kd
    .uniform_work_group_size: 1
    .uses_dynamic_stack: false
    .vgpr_count:     0
    .vgpr_spill_count: 0
    .wavefront_size: 32
    .workgroup_processor_mode: 1
  - .args:
      - .offset:         0
        .size:           88
        .value_kind:     by_value
    .group_segment_fixed_size: 0
    .kernarg_segment_align: 8
    .kernarg_segment_size: 88
    .language:       OpenCL C
    .language_version:
      - 2
      - 0
    .max_flat_workgroup_size: 128
    .name:           _ZN7rocprim17ROCPRIM_400000_NS6detail17trampoline_kernelINS0_14default_configENS1_22reduce_config_selectorIN6thrust23THRUST_200600_302600_NS5tupleIblNS6_9null_typeES8_S8_S8_S8_S8_S8_S8_EEEEZNS1_11reduce_implILb1ES3_NS6_12zip_iteratorINS7_INS6_11hip_rocprim26transform_input_iterator_tIbNSD_35transform_pair_of_input_iterators_tIbNS6_6detail15normal_iteratorINS6_10device_ptrIKxEEEESL_NS6_8equal_toIxEEEENSG_9not_fun_tINSD_8identityEEEEENSD_19counting_iterator_tIlEES8_S8_S8_S8_S8_S8_S8_S8_EEEEPS9_S9_NSD_9__find_if7functorIS9_EEEE10hipError_tPvRmT1_T2_T3_mT4_P12ihipStream_tbEUlT_E1_NS1_11comp_targetILNS1_3genE3ELNS1_11target_archE908ELNS1_3gpuE7ELNS1_3repE0EEENS1_30default_config_static_selectorELNS0_4arch9wavefront6targetE0EEEvS14_
    .private_segment_fixed_size: 0
    .sgpr_count:     0
    .sgpr_spill_count: 0
    .symbol:         _ZN7rocprim17ROCPRIM_400000_NS6detail17trampoline_kernelINS0_14default_configENS1_22reduce_config_selectorIN6thrust23THRUST_200600_302600_NS5tupleIblNS6_9null_typeES8_S8_S8_S8_S8_S8_S8_EEEEZNS1_11reduce_implILb1ES3_NS6_12zip_iteratorINS7_INS6_11hip_rocprim26transform_input_iterator_tIbNSD_35transform_pair_of_input_iterators_tIbNS6_6detail15normal_iteratorINS6_10device_ptrIKxEEEESL_NS6_8equal_toIxEEEENSG_9not_fun_tINSD_8identityEEEEENSD_19counting_iterator_tIlEES8_S8_S8_S8_S8_S8_S8_S8_EEEEPS9_S9_NSD_9__find_if7functorIS9_EEEE10hipError_tPvRmT1_T2_T3_mT4_P12ihipStream_tbEUlT_E1_NS1_11comp_targetILNS1_3genE3ELNS1_11target_archE908ELNS1_3gpuE7ELNS1_3repE0EEENS1_30default_config_static_selectorELNS0_4arch9wavefront6targetE0EEEvS14_.kd
    .uniform_work_group_size: 1
    .uses_dynamic_stack: false
    .vgpr_count:     0
    .vgpr_spill_count: 0
    .wavefront_size: 32
    .workgroup_processor_mode: 1
  - .args:
      - .offset:         0
        .size:           88
        .value_kind:     by_value
    .group_segment_fixed_size: 0
    .kernarg_segment_align: 8
    .kernarg_segment_size: 88
    .language:       OpenCL C
    .language_version:
      - 2
      - 0
    .max_flat_workgroup_size: 128
    .name:           _ZN7rocprim17ROCPRIM_400000_NS6detail17trampoline_kernelINS0_14default_configENS1_22reduce_config_selectorIN6thrust23THRUST_200600_302600_NS5tupleIblNS6_9null_typeES8_S8_S8_S8_S8_S8_S8_EEEEZNS1_11reduce_implILb1ES3_NS6_12zip_iteratorINS7_INS6_11hip_rocprim26transform_input_iterator_tIbNSD_35transform_pair_of_input_iterators_tIbNS6_6detail15normal_iteratorINS6_10device_ptrIKxEEEESL_NS6_8equal_toIxEEEENSG_9not_fun_tINSD_8identityEEEEENSD_19counting_iterator_tIlEES8_S8_S8_S8_S8_S8_S8_S8_EEEEPS9_S9_NSD_9__find_if7functorIS9_EEEE10hipError_tPvRmT1_T2_T3_mT4_P12ihipStream_tbEUlT_E1_NS1_11comp_targetILNS1_3genE2ELNS1_11target_archE906ELNS1_3gpuE6ELNS1_3repE0EEENS1_30default_config_static_selectorELNS0_4arch9wavefront6targetE0EEEvS14_
    .private_segment_fixed_size: 0
    .sgpr_count:     0
    .sgpr_spill_count: 0
    .symbol:         _ZN7rocprim17ROCPRIM_400000_NS6detail17trampoline_kernelINS0_14default_configENS1_22reduce_config_selectorIN6thrust23THRUST_200600_302600_NS5tupleIblNS6_9null_typeES8_S8_S8_S8_S8_S8_S8_EEEEZNS1_11reduce_implILb1ES3_NS6_12zip_iteratorINS7_INS6_11hip_rocprim26transform_input_iterator_tIbNSD_35transform_pair_of_input_iterators_tIbNS6_6detail15normal_iteratorINS6_10device_ptrIKxEEEESL_NS6_8equal_toIxEEEENSG_9not_fun_tINSD_8identityEEEEENSD_19counting_iterator_tIlEES8_S8_S8_S8_S8_S8_S8_S8_EEEEPS9_S9_NSD_9__find_if7functorIS9_EEEE10hipError_tPvRmT1_T2_T3_mT4_P12ihipStream_tbEUlT_E1_NS1_11comp_targetILNS1_3genE2ELNS1_11target_archE906ELNS1_3gpuE6ELNS1_3repE0EEENS1_30default_config_static_selectorELNS0_4arch9wavefront6targetE0EEEvS14_.kd
    .uniform_work_group_size: 1
    .uses_dynamic_stack: false
    .vgpr_count:     0
    .vgpr_spill_count: 0
    .wavefront_size: 32
    .workgroup_processor_mode: 1
  - .args:
      - .offset:         0
        .size:           88
        .value_kind:     by_value
    .group_segment_fixed_size: 0
    .kernarg_segment_align: 8
    .kernarg_segment_size: 88
    .language:       OpenCL C
    .language_version:
      - 2
      - 0
    .max_flat_workgroup_size: 256
    .name:           _ZN7rocprim17ROCPRIM_400000_NS6detail17trampoline_kernelINS0_14default_configENS1_22reduce_config_selectorIN6thrust23THRUST_200600_302600_NS5tupleIblNS6_9null_typeES8_S8_S8_S8_S8_S8_S8_EEEEZNS1_11reduce_implILb1ES3_NS6_12zip_iteratorINS7_INS6_11hip_rocprim26transform_input_iterator_tIbNSD_35transform_pair_of_input_iterators_tIbNS6_6detail15normal_iteratorINS6_10device_ptrIKxEEEESL_NS6_8equal_toIxEEEENSG_9not_fun_tINSD_8identityEEEEENSD_19counting_iterator_tIlEES8_S8_S8_S8_S8_S8_S8_S8_EEEEPS9_S9_NSD_9__find_if7functorIS9_EEEE10hipError_tPvRmT1_T2_T3_mT4_P12ihipStream_tbEUlT_E1_NS1_11comp_targetILNS1_3genE10ELNS1_11target_archE1201ELNS1_3gpuE5ELNS1_3repE0EEENS1_30default_config_static_selectorELNS0_4arch9wavefront6targetE0EEEvS14_
    .private_segment_fixed_size: 0
    .sgpr_count:     0
    .sgpr_spill_count: 0
    .symbol:         _ZN7rocprim17ROCPRIM_400000_NS6detail17trampoline_kernelINS0_14default_configENS1_22reduce_config_selectorIN6thrust23THRUST_200600_302600_NS5tupleIblNS6_9null_typeES8_S8_S8_S8_S8_S8_S8_EEEEZNS1_11reduce_implILb1ES3_NS6_12zip_iteratorINS7_INS6_11hip_rocprim26transform_input_iterator_tIbNSD_35transform_pair_of_input_iterators_tIbNS6_6detail15normal_iteratorINS6_10device_ptrIKxEEEESL_NS6_8equal_toIxEEEENSG_9not_fun_tINSD_8identityEEEEENSD_19counting_iterator_tIlEES8_S8_S8_S8_S8_S8_S8_S8_EEEEPS9_S9_NSD_9__find_if7functorIS9_EEEE10hipError_tPvRmT1_T2_T3_mT4_P12ihipStream_tbEUlT_E1_NS1_11comp_targetILNS1_3genE10ELNS1_11target_archE1201ELNS1_3gpuE5ELNS1_3repE0EEENS1_30default_config_static_selectorELNS0_4arch9wavefront6targetE0EEEvS14_.kd
    .uniform_work_group_size: 1
    .uses_dynamic_stack: false
    .vgpr_count:     0
    .vgpr_spill_count: 0
    .wavefront_size: 32
    .workgroup_processor_mode: 1
  - .args:
      - .offset:         0
        .size:           88
        .value_kind:     by_value
    .group_segment_fixed_size: 0
    .kernarg_segment_align: 8
    .kernarg_segment_size: 88
    .language:       OpenCL C
    .language_version:
      - 2
      - 0
    .max_flat_workgroup_size: 256
    .name:           _ZN7rocprim17ROCPRIM_400000_NS6detail17trampoline_kernelINS0_14default_configENS1_22reduce_config_selectorIN6thrust23THRUST_200600_302600_NS5tupleIblNS6_9null_typeES8_S8_S8_S8_S8_S8_S8_EEEEZNS1_11reduce_implILb1ES3_NS6_12zip_iteratorINS7_INS6_11hip_rocprim26transform_input_iterator_tIbNSD_35transform_pair_of_input_iterators_tIbNS6_6detail15normal_iteratorINS6_10device_ptrIKxEEEESL_NS6_8equal_toIxEEEENSG_9not_fun_tINSD_8identityEEEEENSD_19counting_iterator_tIlEES8_S8_S8_S8_S8_S8_S8_S8_EEEEPS9_S9_NSD_9__find_if7functorIS9_EEEE10hipError_tPvRmT1_T2_T3_mT4_P12ihipStream_tbEUlT_E1_NS1_11comp_targetILNS1_3genE10ELNS1_11target_archE1200ELNS1_3gpuE4ELNS1_3repE0EEENS1_30default_config_static_selectorELNS0_4arch9wavefront6targetE0EEEvS14_
    .private_segment_fixed_size: 0
    .sgpr_count:     0
    .sgpr_spill_count: 0
    .symbol:         _ZN7rocprim17ROCPRIM_400000_NS6detail17trampoline_kernelINS0_14default_configENS1_22reduce_config_selectorIN6thrust23THRUST_200600_302600_NS5tupleIblNS6_9null_typeES8_S8_S8_S8_S8_S8_S8_EEEEZNS1_11reduce_implILb1ES3_NS6_12zip_iteratorINS7_INS6_11hip_rocprim26transform_input_iterator_tIbNSD_35transform_pair_of_input_iterators_tIbNS6_6detail15normal_iteratorINS6_10device_ptrIKxEEEESL_NS6_8equal_toIxEEEENSG_9not_fun_tINSD_8identityEEEEENSD_19counting_iterator_tIlEES8_S8_S8_S8_S8_S8_S8_S8_EEEEPS9_S9_NSD_9__find_if7functorIS9_EEEE10hipError_tPvRmT1_T2_T3_mT4_P12ihipStream_tbEUlT_E1_NS1_11comp_targetILNS1_3genE10ELNS1_11target_archE1200ELNS1_3gpuE4ELNS1_3repE0EEENS1_30default_config_static_selectorELNS0_4arch9wavefront6targetE0EEEvS14_.kd
    .uniform_work_group_size: 1
    .uses_dynamic_stack: false
    .vgpr_count:     0
    .vgpr_spill_count: 0
    .wavefront_size: 32
    .workgroup_processor_mode: 1
  - .args:
      - .offset:         0
        .size:           88
        .value_kind:     by_value
    .group_segment_fixed_size: 0
    .kernarg_segment_align: 8
    .kernarg_segment_size: 88
    .language:       OpenCL C
    .language_version:
      - 2
      - 0
    .max_flat_workgroup_size: 256
    .name:           _ZN7rocprim17ROCPRIM_400000_NS6detail17trampoline_kernelINS0_14default_configENS1_22reduce_config_selectorIN6thrust23THRUST_200600_302600_NS5tupleIblNS6_9null_typeES8_S8_S8_S8_S8_S8_S8_EEEEZNS1_11reduce_implILb1ES3_NS6_12zip_iteratorINS7_INS6_11hip_rocprim26transform_input_iterator_tIbNSD_35transform_pair_of_input_iterators_tIbNS6_6detail15normal_iteratorINS6_10device_ptrIKxEEEESL_NS6_8equal_toIxEEEENSG_9not_fun_tINSD_8identityEEEEENSD_19counting_iterator_tIlEES8_S8_S8_S8_S8_S8_S8_S8_EEEEPS9_S9_NSD_9__find_if7functorIS9_EEEE10hipError_tPvRmT1_T2_T3_mT4_P12ihipStream_tbEUlT_E1_NS1_11comp_targetILNS1_3genE9ELNS1_11target_archE1100ELNS1_3gpuE3ELNS1_3repE0EEENS1_30default_config_static_selectorELNS0_4arch9wavefront6targetE0EEEvS14_
    .private_segment_fixed_size: 0
    .sgpr_count:     0
    .sgpr_spill_count: 0
    .symbol:         _ZN7rocprim17ROCPRIM_400000_NS6detail17trampoline_kernelINS0_14default_configENS1_22reduce_config_selectorIN6thrust23THRUST_200600_302600_NS5tupleIblNS6_9null_typeES8_S8_S8_S8_S8_S8_S8_EEEEZNS1_11reduce_implILb1ES3_NS6_12zip_iteratorINS7_INS6_11hip_rocprim26transform_input_iterator_tIbNSD_35transform_pair_of_input_iterators_tIbNS6_6detail15normal_iteratorINS6_10device_ptrIKxEEEESL_NS6_8equal_toIxEEEENSG_9not_fun_tINSD_8identityEEEEENSD_19counting_iterator_tIlEES8_S8_S8_S8_S8_S8_S8_S8_EEEEPS9_S9_NSD_9__find_if7functorIS9_EEEE10hipError_tPvRmT1_T2_T3_mT4_P12ihipStream_tbEUlT_E1_NS1_11comp_targetILNS1_3genE9ELNS1_11target_archE1100ELNS1_3gpuE3ELNS1_3repE0EEENS1_30default_config_static_selectorELNS0_4arch9wavefront6targetE0EEEvS14_.kd
    .uniform_work_group_size: 1
    .uses_dynamic_stack: false
    .vgpr_count:     0
    .vgpr_spill_count: 0
    .wavefront_size: 32
    .workgroup_processor_mode: 1
  - .args:
      - .offset:         0
        .size:           88
        .value_kind:     by_value
    .group_segment_fixed_size: 640
    .kernarg_segment_align: 8
    .kernarg_segment_size: 88
    .language:       OpenCL C
    .language_version:
      - 2
      - 0
    .max_flat_workgroup_size: 256
    .name:           _ZN7rocprim17ROCPRIM_400000_NS6detail17trampoline_kernelINS0_14default_configENS1_22reduce_config_selectorIN6thrust23THRUST_200600_302600_NS5tupleIblNS6_9null_typeES8_S8_S8_S8_S8_S8_S8_EEEEZNS1_11reduce_implILb1ES3_NS6_12zip_iteratorINS7_INS6_11hip_rocprim26transform_input_iterator_tIbNSD_35transform_pair_of_input_iterators_tIbNS6_6detail15normal_iteratorINS6_10device_ptrIKxEEEESL_NS6_8equal_toIxEEEENSG_9not_fun_tINSD_8identityEEEEENSD_19counting_iterator_tIlEES8_S8_S8_S8_S8_S8_S8_S8_EEEEPS9_S9_NSD_9__find_if7functorIS9_EEEE10hipError_tPvRmT1_T2_T3_mT4_P12ihipStream_tbEUlT_E1_NS1_11comp_targetILNS1_3genE8ELNS1_11target_archE1030ELNS1_3gpuE2ELNS1_3repE0EEENS1_30default_config_static_selectorELNS0_4arch9wavefront6targetE0EEEvS14_
    .private_segment_fixed_size: 0
    .sgpr_count:     34
    .sgpr_spill_count: 0
    .symbol:         _ZN7rocprim17ROCPRIM_400000_NS6detail17trampoline_kernelINS0_14default_configENS1_22reduce_config_selectorIN6thrust23THRUST_200600_302600_NS5tupleIblNS6_9null_typeES8_S8_S8_S8_S8_S8_S8_EEEEZNS1_11reduce_implILb1ES3_NS6_12zip_iteratorINS7_INS6_11hip_rocprim26transform_input_iterator_tIbNSD_35transform_pair_of_input_iterators_tIbNS6_6detail15normal_iteratorINS6_10device_ptrIKxEEEESL_NS6_8equal_toIxEEEENSG_9not_fun_tINSD_8identityEEEEENSD_19counting_iterator_tIlEES8_S8_S8_S8_S8_S8_S8_S8_EEEEPS9_S9_NSD_9__find_if7functorIS9_EEEE10hipError_tPvRmT1_T2_T3_mT4_P12ihipStream_tbEUlT_E1_NS1_11comp_targetILNS1_3genE8ELNS1_11target_archE1030ELNS1_3gpuE2ELNS1_3repE0EEENS1_30default_config_static_selectorELNS0_4arch9wavefront6targetE0EEEvS14_.kd
    .uniform_work_group_size: 1
    .uses_dynamic_stack: false
    .vgpr_count:     36
    .vgpr_spill_count: 0
    .wavefront_size: 32
    .workgroup_processor_mode: 1
  - .args:           []
    .group_segment_fixed_size: 0
    .kernarg_segment_align: 4
    .kernarg_segment_size: 0
    .language:       OpenCL C
    .language_version:
      - 2
      - 0
    .max_flat_workgroup_size: 1024
    .name:           _ZN7rocprim17ROCPRIM_400000_NS6detail44device_merge_sort_compile_time_verifier_archINS1_11comp_targetILNS1_3genE0ELNS1_11target_archE4294967295ELNS1_3gpuE0ELNS1_3repE0EEES8_NS0_14default_configES9_NS1_37merge_sort_block_sort_config_selectorIiNS0_10empty_typeEEENS1_38merge_sort_block_merge_config_selectorIiSB_EEEEvv
    .private_segment_fixed_size: 0
    .sgpr_count:     0
    .sgpr_spill_count: 0
    .symbol:         _ZN7rocprim17ROCPRIM_400000_NS6detail44device_merge_sort_compile_time_verifier_archINS1_11comp_targetILNS1_3genE0ELNS1_11target_archE4294967295ELNS1_3gpuE0ELNS1_3repE0EEES8_NS0_14default_configES9_NS1_37merge_sort_block_sort_config_selectorIiNS0_10empty_typeEEENS1_38merge_sort_block_merge_config_selectorIiSB_EEEEvv.kd
    .uniform_work_group_size: 1
    .uses_dynamic_stack: false
    .vgpr_count:     0
    .vgpr_spill_count: 0
    .wavefront_size: 32
    .workgroup_processor_mode: 1
  - .args:           []
    .group_segment_fixed_size: 0
    .kernarg_segment_align: 4
    .kernarg_segment_size: 0
    .language:       OpenCL C
    .language_version:
      - 2
      - 0
    .max_flat_workgroup_size: 1024
    .name:           _ZN7rocprim17ROCPRIM_400000_NS6detail44device_merge_sort_compile_time_verifier_archINS1_11comp_targetILNS1_3genE5ELNS1_11target_archE942ELNS1_3gpuE9ELNS1_3repE0EEES8_NS0_14default_configES9_NS1_37merge_sort_block_sort_config_selectorIiNS0_10empty_typeEEENS1_38merge_sort_block_merge_config_selectorIiSB_EEEEvv
    .private_segment_fixed_size: 0
    .sgpr_count:     0
    .sgpr_spill_count: 0
    .symbol:         _ZN7rocprim17ROCPRIM_400000_NS6detail44device_merge_sort_compile_time_verifier_archINS1_11comp_targetILNS1_3genE5ELNS1_11target_archE942ELNS1_3gpuE9ELNS1_3repE0EEES8_NS0_14default_configES9_NS1_37merge_sort_block_sort_config_selectorIiNS0_10empty_typeEEENS1_38merge_sort_block_merge_config_selectorIiSB_EEEEvv.kd
    .uniform_work_group_size: 1
    .uses_dynamic_stack: false
    .vgpr_count:     0
    .vgpr_spill_count: 0
    .wavefront_size: 32
    .workgroup_processor_mode: 1
  - .args:           []
    .group_segment_fixed_size: 0
    .kernarg_segment_align: 4
    .kernarg_segment_size: 0
    .language:       OpenCL C
    .language_version:
      - 2
      - 0
    .max_flat_workgroup_size: 1024
    .name:           _ZN7rocprim17ROCPRIM_400000_NS6detail44device_merge_sort_compile_time_verifier_archINS1_11comp_targetILNS1_3genE4ELNS1_11target_archE910ELNS1_3gpuE8ELNS1_3repE0EEES8_NS0_14default_configES9_NS1_37merge_sort_block_sort_config_selectorIiNS0_10empty_typeEEENS1_38merge_sort_block_merge_config_selectorIiSB_EEEEvv
    .private_segment_fixed_size: 0
    .sgpr_count:     0
    .sgpr_spill_count: 0
    .symbol:         _ZN7rocprim17ROCPRIM_400000_NS6detail44device_merge_sort_compile_time_verifier_archINS1_11comp_targetILNS1_3genE4ELNS1_11target_archE910ELNS1_3gpuE8ELNS1_3repE0EEES8_NS0_14default_configES9_NS1_37merge_sort_block_sort_config_selectorIiNS0_10empty_typeEEENS1_38merge_sort_block_merge_config_selectorIiSB_EEEEvv.kd
    .uniform_work_group_size: 1
    .uses_dynamic_stack: false
    .vgpr_count:     0
    .vgpr_spill_count: 0
    .wavefront_size: 32
    .workgroup_processor_mode: 1
  - .args:           []
    .group_segment_fixed_size: 0
    .kernarg_segment_align: 4
    .kernarg_segment_size: 0
    .language:       OpenCL C
    .language_version:
      - 2
      - 0
    .max_flat_workgroup_size: 1024
    .name:           _ZN7rocprim17ROCPRIM_400000_NS6detail44device_merge_sort_compile_time_verifier_archINS1_11comp_targetILNS1_3genE3ELNS1_11target_archE908ELNS1_3gpuE7ELNS1_3repE0EEES8_NS0_14default_configES9_NS1_37merge_sort_block_sort_config_selectorIiNS0_10empty_typeEEENS1_38merge_sort_block_merge_config_selectorIiSB_EEEEvv
    .private_segment_fixed_size: 0
    .sgpr_count:     0
    .sgpr_spill_count: 0
    .symbol:         _ZN7rocprim17ROCPRIM_400000_NS6detail44device_merge_sort_compile_time_verifier_archINS1_11comp_targetILNS1_3genE3ELNS1_11target_archE908ELNS1_3gpuE7ELNS1_3repE0EEES8_NS0_14default_configES9_NS1_37merge_sort_block_sort_config_selectorIiNS0_10empty_typeEEENS1_38merge_sort_block_merge_config_selectorIiSB_EEEEvv.kd
    .uniform_work_group_size: 1
    .uses_dynamic_stack: false
    .vgpr_count:     0
    .vgpr_spill_count: 0
    .wavefront_size: 32
    .workgroup_processor_mode: 1
  - .args:           []
    .group_segment_fixed_size: 0
    .kernarg_segment_align: 4
    .kernarg_segment_size: 0
    .language:       OpenCL C
    .language_version:
      - 2
      - 0
    .max_flat_workgroup_size: 1024
    .name:           _ZN7rocprim17ROCPRIM_400000_NS6detail44device_merge_sort_compile_time_verifier_archINS1_11comp_targetILNS1_3genE2ELNS1_11target_archE906ELNS1_3gpuE6ELNS1_3repE0EEES8_NS0_14default_configES9_NS1_37merge_sort_block_sort_config_selectorIiNS0_10empty_typeEEENS1_38merge_sort_block_merge_config_selectorIiSB_EEEEvv
    .private_segment_fixed_size: 0
    .sgpr_count:     0
    .sgpr_spill_count: 0
    .symbol:         _ZN7rocprim17ROCPRIM_400000_NS6detail44device_merge_sort_compile_time_verifier_archINS1_11comp_targetILNS1_3genE2ELNS1_11target_archE906ELNS1_3gpuE6ELNS1_3repE0EEES8_NS0_14default_configES9_NS1_37merge_sort_block_sort_config_selectorIiNS0_10empty_typeEEENS1_38merge_sort_block_merge_config_selectorIiSB_EEEEvv.kd
    .uniform_work_group_size: 1
    .uses_dynamic_stack: false
    .vgpr_count:     0
    .vgpr_spill_count: 0
    .wavefront_size: 32
    .workgroup_processor_mode: 1
  - .args:           []
    .group_segment_fixed_size: 0
    .kernarg_segment_align: 4
    .kernarg_segment_size: 0
    .language:       OpenCL C
    .language_version:
      - 2
      - 0
    .max_flat_workgroup_size: 1024
    .name:           _ZN7rocprim17ROCPRIM_400000_NS6detail44device_merge_sort_compile_time_verifier_archINS1_11comp_targetILNS1_3genE10ELNS1_11target_archE1201ELNS1_3gpuE5ELNS1_3repE0EEES8_NS0_14default_configES9_NS1_37merge_sort_block_sort_config_selectorIiNS0_10empty_typeEEENS1_38merge_sort_block_merge_config_selectorIiSB_EEEEvv
    .private_segment_fixed_size: 0
    .sgpr_count:     0
    .sgpr_spill_count: 0
    .symbol:         _ZN7rocprim17ROCPRIM_400000_NS6detail44device_merge_sort_compile_time_verifier_archINS1_11comp_targetILNS1_3genE10ELNS1_11target_archE1201ELNS1_3gpuE5ELNS1_3repE0EEES8_NS0_14default_configES9_NS1_37merge_sort_block_sort_config_selectorIiNS0_10empty_typeEEENS1_38merge_sort_block_merge_config_selectorIiSB_EEEEvv.kd
    .uniform_work_group_size: 1
    .uses_dynamic_stack: false
    .vgpr_count:     0
    .vgpr_spill_count: 0
    .wavefront_size: 32
    .workgroup_processor_mode: 1
  - .args:           []
    .group_segment_fixed_size: 0
    .kernarg_segment_align: 4
    .kernarg_segment_size: 0
    .language:       OpenCL C
    .language_version:
      - 2
      - 0
    .max_flat_workgroup_size: 1024
    .name:           _ZN7rocprim17ROCPRIM_400000_NS6detail44device_merge_sort_compile_time_verifier_archINS1_11comp_targetILNS1_3genE10ELNS1_11target_archE1200ELNS1_3gpuE4ELNS1_3repE0EEENS3_ILS4_10ELS5_1201ELS6_5ELS7_0EEENS0_14default_configESA_NS1_37merge_sort_block_sort_config_selectorIiNS0_10empty_typeEEENS1_38merge_sort_block_merge_config_selectorIiSC_EEEEvv
    .private_segment_fixed_size: 0
    .sgpr_count:     0
    .sgpr_spill_count: 0
    .symbol:         _ZN7rocprim17ROCPRIM_400000_NS6detail44device_merge_sort_compile_time_verifier_archINS1_11comp_targetILNS1_3genE10ELNS1_11target_archE1200ELNS1_3gpuE4ELNS1_3repE0EEENS3_ILS4_10ELS5_1201ELS6_5ELS7_0EEENS0_14default_configESA_NS1_37merge_sort_block_sort_config_selectorIiNS0_10empty_typeEEENS1_38merge_sort_block_merge_config_selectorIiSC_EEEEvv.kd
    .uniform_work_group_size: 1
    .uses_dynamic_stack: false
    .vgpr_count:     0
    .vgpr_spill_count: 0
    .wavefront_size: 32
    .workgroup_processor_mode: 1
  - .args:           []
    .group_segment_fixed_size: 0
    .kernarg_segment_align: 4
    .kernarg_segment_size: 0
    .language:       OpenCL C
    .language_version:
      - 2
      - 0
    .max_flat_workgroup_size: 1024
    .name:           _ZN7rocprim17ROCPRIM_400000_NS6detail44device_merge_sort_compile_time_verifier_archINS1_11comp_targetILNS1_3genE9ELNS1_11target_archE1100ELNS1_3gpuE3ELNS1_3repE0EEES8_NS0_14default_configES9_NS1_37merge_sort_block_sort_config_selectorIiNS0_10empty_typeEEENS1_38merge_sort_block_merge_config_selectorIiSB_EEEEvv
    .private_segment_fixed_size: 0
    .sgpr_count:     0
    .sgpr_spill_count: 0
    .symbol:         _ZN7rocprim17ROCPRIM_400000_NS6detail44device_merge_sort_compile_time_verifier_archINS1_11comp_targetILNS1_3genE9ELNS1_11target_archE1100ELNS1_3gpuE3ELNS1_3repE0EEES8_NS0_14default_configES9_NS1_37merge_sort_block_sort_config_selectorIiNS0_10empty_typeEEENS1_38merge_sort_block_merge_config_selectorIiSB_EEEEvv.kd
    .uniform_work_group_size: 1
    .uses_dynamic_stack: false
    .vgpr_count:     0
    .vgpr_spill_count: 0
    .wavefront_size: 32
    .workgroup_processor_mode: 1
  - .args:           []
    .group_segment_fixed_size: 0
    .kernarg_segment_align: 4
    .kernarg_segment_size: 0
    .language:       OpenCL C
    .language_version:
      - 2
      - 0
    .max_flat_workgroup_size: 1024
    .name:           _ZN7rocprim17ROCPRIM_400000_NS6detail44device_merge_sort_compile_time_verifier_archINS1_11comp_targetILNS1_3genE8ELNS1_11target_archE1030ELNS1_3gpuE2ELNS1_3repE0EEES8_NS0_14default_configES9_NS1_37merge_sort_block_sort_config_selectorIiNS0_10empty_typeEEENS1_38merge_sort_block_merge_config_selectorIiSB_EEEEvv
    .private_segment_fixed_size: 0
    .sgpr_count:     0
    .sgpr_spill_count: 0
    .symbol:         _ZN7rocprim17ROCPRIM_400000_NS6detail44device_merge_sort_compile_time_verifier_archINS1_11comp_targetILNS1_3genE8ELNS1_11target_archE1030ELNS1_3gpuE2ELNS1_3repE0EEES8_NS0_14default_configES9_NS1_37merge_sort_block_sort_config_selectorIiNS0_10empty_typeEEENS1_38merge_sort_block_merge_config_selectorIiSB_EEEEvv.kd
    .uniform_work_group_size: 1
    .uses_dynamic_stack: false
    .vgpr_count:     0
    .vgpr_spill_count: 0
    .wavefront_size: 32
    .workgroup_processor_mode: 1
  - .args:
      - .offset:         0
        .size:           64
        .value_kind:     by_value
    .group_segment_fixed_size: 0
    .kernarg_segment_align: 8
    .kernarg_segment_size: 64
    .language:       OpenCL C
    .language_version:
      - 2
      - 0
    .max_flat_workgroup_size: 256
    .name:           _ZN7rocprim17ROCPRIM_400000_NS6detail17trampoline_kernelINS0_14default_configENS1_37merge_sort_block_sort_config_selectorIiNS0_10empty_typeEEEZNS1_21merge_sort_block_sortIS3_N6thrust23THRUST_200600_302600_NS6detail15normal_iteratorINS9_10device_ptrIiEEEESE_PS5_SF_11less_div_10IiEEE10hipError_tT0_T1_T2_T3_mRjT4_P12ihipStream_tbNS1_7vsmem_tEEUlT_E_NS1_11comp_targetILNS1_3genE0ELNS1_11target_archE4294967295ELNS1_3gpuE0ELNS1_3repE0EEENS1_30default_config_static_selectorELNS0_4arch9wavefront6targetE0EEEvSK_
    .private_segment_fixed_size: 0
    .sgpr_count:     0
    .sgpr_spill_count: 0
    .symbol:         _ZN7rocprim17ROCPRIM_400000_NS6detail17trampoline_kernelINS0_14default_configENS1_37merge_sort_block_sort_config_selectorIiNS0_10empty_typeEEEZNS1_21merge_sort_block_sortIS3_N6thrust23THRUST_200600_302600_NS6detail15normal_iteratorINS9_10device_ptrIiEEEESE_PS5_SF_11less_div_10IiEEE10hipError_tT0_T1_T2_T3_mRjT4_P12ihipStream_tbNS1_7vsmem_tEEUlT_E_NS1_11comp_targetILNS1_3genE0ELNS1_11target_archE4294967295ELNS1_3gpuE0ELNS1_3repE0EEENS1_30default_config_static_selectorELNS0_4arch9wavefront6targetE0EEEvSK_.kd
    .uniform_work_group_size: 1
    .uses_dynamic_stack: false
    .vgpr_count:     0
    .vgpr_spill_count: 0
    .wavefront_size: 32
    .workgroup_processor_mode: 1
  - .args:
      - .offset:         0
        .size:           64
        .value_kind:     by_value
    .group_segment_fixed_size: 0
    .kernarg_segment_align: 8
    .kernarg_segment_size: 64
    .language:       OpenCL C
    .language_version:
      - 2
      - 0
    .max_flat_workgroup_size: 256
    .name:           _ZN7rocprim17ROCPRIM_400000_NS6detail17trampoline_kernelINS0_14default_configENS1_37merge_sort_block_sort_config_selectorIiNS0_10empty_typeEEEZNS1_21merge_sort_block_sortIS3_N6thrust23THRUST_200600_302600_NS6detail15normal_iteratorINS9_10device_ptrIiEEEESE_PS5_SF_11less_div_10IiEEE10hipError_tT0_T1_T2_T3_mRjT4_P12ihipStream_tbNS1_7vsmem_tEEUlT_E_NS1_11comp_targetILNS1_3genE5ELNS1_11target_archE942ELNS1_3gpuE9ELNS1_3repE0EEENS1_30default_config_static_selectorELNS0_4arch9wavefront6targetE0EEEvSK_
    .private_segment_fixed_size: 0
    .sgpr_count:     0
    .sgpr_spill_count: 0
    .symbol:         _ZN7rocprim17ROCPRIM_400000_NS6detail17trampoline_kernelINS0_14default_configENS1_37merge_sort_block_sort_config_selectorIiNS0_10empty_typeEEEZNS1_21merge_sort_block_sortIS3_N6thrust23THRUST_200600_302600_NS6detail15normal_iteratorINS9_10device_ptrIiEEEESE_PS5_SF_11less_div_10IiEEE10hipError_tT0_T1_T2_T3_mRjT4_P12ihipStream_tbNS1_7vsmem_tEEUlT_E_NS1_11comp_targetILNS1_3genE5ELNS1_11target_archE942ELNS1_3gpuE9ELNS1_3repE0EEENS1_30default_config_static_selectorELNS0_4arch9wavefront6targetE0EEEvSK_.kd
    .uniform_work_group_size: 1
    .uses_dynamic_stack: false
    .vgpr_count:     0
    .vgpr_spill_count: 0
    .wavefront_size: 32
    .workgroup_processor_mode: 1
  - .args:
      - .offset:         0
        .size:           64
        .value_kind:     by_value
    .group_segment_fixed_size: 0
    .kernarg_segment_align: 8
    .kernarg_segment_size: 64
    .language:       OpenCL C
    .language_version:
      - 2
      - 0
    .max_flat_workgroup_size: 256
    .name:           _ZN7rocprim17ROCPRIM_400000_NS6detail17trampoline_kernelINS0_14default_configENS1_37merge_sort_block_sort_config_selectorIiNS0_10empty_typeEEEZNS1_21merge_sort_block_sortIS3_N6thrust23THRUST_200600_302600_NS6detail15normal_iteratorINS9_10device_ptrIiEEEESE_PS5_SF_11less_div_10IiEEE10hipError_tT0_T1_T2_T3_mRjT4_P12ihipStream_tbNS1_7vsmem_tEEUlT_E_NS1_11comp_targetILNS1_3genE4ELNS1_11target_archE910ELNS1_3gpuE8ELNS1_3repE0EEENS1_30default_config_static_selectorELNS0_4arch9wavefront6targetE0EEEvSK_
    .private_segment_fixed_size: 0
    .sgpr_count:     0
    .sgpr_spill_count: 0
    .symbol:         _ZN7rocprim17ROCPRIM_400000_NS6detail17trampoline_kernelINS0_14default_configENS1_37merge_sort_block_sort_config_selectorIiNS0_10empty_typeEEEZNS1_21merge_sort_block_sortIS3_N6thrust23THRUST_200600_302600_NS6detail15normal_iteratorINS9_10device_ptrIiEEEESE_PS5_SF_11less_div_10IiEEE10hipError_tT0_T1_T2_T3_mRjT4_P12ihipStream_tbNS1_7vsmem_tEEUlT_E_NS1_11comp_targetILNS1_3genE4ELNS1_11target_archE910ELNS1_3gpuE8ELNS1_3repE0EEENS1_30default_config_static_selectorELNS0_4arch9wavefront6targetE0EEEvSK_.kd
    .uniform_work_group_size: 1
    .uses_dynamic_stack: false
    .vgpr_count:     0
    .vgpr_spill_count: 0
    .wavefront_size: 32
    .workgroup_processor_mode: 1
  - .args:
      - .offset:         0
        .size:           64
        .value_kind:     by_value
    .group_segment_fixed_size: 0
    .kernarg_segment_align: 8
    .kernarg_segment_size: 64
    .language:       OpenCL C
    .language_version:
      - 2
      - 0
    .max_flat_workgroup_size: 256
    .name:           _ZN7rocprim17ROCPRIM_400000_NS6detail17trampoline_kernelINS0_14default_configENS1_37merge_sort_block_sort_config_selectorIiNS0_10empty_typeEEEZNS1_21merge_sort_block_sortIS3_N6thrust23THRUST_200600_302600_NS6detail15normal_iteratorINS9_10device_ptrIiEEEESE_PS5_SF_11less_div_10IiEEE10hipError_tT0_T1_T2_T3_mRjT4_P12ihipStream_tbNS1_7vsmem_tEEUlT_E_NS1_11comp_targetILNS1_3genE3ELNS1_11target_archE908ELNS1_3gpuE7ELNS1_3repE0EEENS1_30default_config_static_selectorELNS0_4arch9wavefront6targetE0EEEvSK_
    .private_segment_fixed_size: 0
    .sgpr_count:     0
    .sgpr_spill_count: 0
    .symbol:         _ZN7rocprim17ROCPRIM_400000_NS6detail17trampoline_kernelINS0_14default_configENS1_37merge_sort_block_sort_config_selectorIiNS0_10empty_typeEEEZNS1_21merge_sort_block_sortIS3_N6thrust23THRUST_200600_302600_NS6detail15normal_iteratorINS9_10device_ptrIiEEEESE_PS5_SF_11less_div_10IiEEE10hipError_tT0_T1_T2_T3_mRjT4_P12ihipStream_tbNS1_7vsmem_tEEUlT_E_NS1_11comp_targetILNS1_3genE3ELNS1_11target_archE908ELNS1_3gpuE7ELNS1_3repE0EEENS1_30default_config_static_selectorELNS0_4arch9wavefront6targetE0EEEvSK_.kd
    .uniform_work_group_size: 1
    .uses_dynamic_stack: false
    .vgpr_count:     0
    .vgpr_spill_count: 0
    .wavefront_size: 32
    .workgroup_processor_mode: 1
  - .args:
      - .offset:         0
        .size:           64
        .value_kind:     by_value
    .group_segment_fixed_size: 0
    .kernarg_segment_align: 8
    .kernarg_segment_size: 64
    .language:       OpenCL C
    .language_version:
      - 2
      - 0
    .max_flat_workgroup_size: 256
    .name:           _ZN7rocprim17ROCPRIM_400000_NS6detail17trampoline_kernelINS0_14default_configENS1_37merge_sort_block_sort_config_selectorIiNS0_10empty_typeEEEZNS1_21merge_sort_block_sortIS3_N6thrust23THRUST_200600_302600_NS6detail15normal_iteratorINS9_10device_ptrIiEEEESE_PS5_SF_11less_div_10IiEEE10hipError_tT0_T1_T2_T3_mRjT4_P12ihipStream_tbNS1_7vsmem_tEEUlT_E_NS1_11comp_targetILNS1_3genE2ELNS1_11target_archE906ELNS1_3gpuE6ELNS1_3repE0EEENS1_30default_config_static_selectorELNS0_4arch9wavefront6targetE0EEEvSK_
    .private_segment_fixed_size: 0
    .sgpr_count:     0
    .sgpr_spill_count: 0
    .symbol:         _ZN7rocprim17ROCPRIM_400000_NS6detail17trampoline_kernelINS0_14default_configENS1_37merge_sort_block_sort_config_selectorIiNS0_10empty_typeEEEZNS1_21merge_sort_block_sortIS3_N6thrust23THRUST_200600_302600_NS6detail15normal_iteratorINS9_10device_ptrIiEEEESE_PS5_SF_11less_div_10IiEEE10hipError_tT0_T1_T2_T3_mRjT4_P12ihipStream_tbNS1_7vsmem_tEEUlT_E_NS1_11comp_targetILNS1_3genE2ELNS1_11target_archE906ELNS1_3gpuE6ELNS1_3repE0EEENS1_30default_config_static_selectorELNS0_4arch9wavefront6targetE0EEEvSK_.kd
    .uniform_work_group_size: 1
    .uses_dynamic_stack: false
    .vgpr_count:     0
    .vgpr_spill_count: 0
    .wavefront_size: 32
    .workgroup_processor_mode: 1
  - .args:
      - .offset:         0
        .size:           64
        .value_kind:     by_value
    .group_segment_fixed_size: 0
    .kernarg_segment_align: 8
    .kernarg_segment_size: 64
    .language:       OpenCL C
    .language_version:
      - 2
      - 0
    .max_flat_workgroup_size: 256
    .name:           _ZN7rocprim17ROCPRIM_400000_NS6detail17trampoline_kernelINS0_14default_configENS1_37merge_sort_block_sort_config_selectorIiNS0_10empty_typeEEEZNS1_21merge_sort_block_sortIS3_N6thrust23THRUST_200600_302600_NS6detail15normal_iteratorINS9_10device_ptrIiEEEESE_PS5_SF_11less_div_10IiEEE10hipError_tT0_T1_T2_T3_mRjT4_P12ihipStream_tbNS1_7vsmem_tEEUlT_E_NS1_11comp_targetILNS1_3genE10ELNS1_11target_archE1201ELNS1_3gpuE5ELNS1_3repE0EEENS1_30default_config_static_selectorELNS0_4arch9wavefront6targetE0EEEvSK_
    .private_segment_fixed_size: 0
    .sgpr_count:     0
    .sgpr_spill_count: 0
    .symbol:         _ZN7rocprim17ROCPRIM_400000_NS6detail17trampoline_kernelINS0_14default_configENS1_37merge_sort_block_sort_config_selectorIiNS0_10empty_typeEEEZNS1_21merge_sort_block_sortIS3_N6thrust23THRUST_200600_302600_NS6detail15normal_iteratorINS9_10device_ptrIiEEEESE_PS5_SF_11less_div_10IiEEE10hipError_tT0_T1_T2_T3_mRjT4_P12ihipStream_tbNS1_7vsmem_tEEUlT_E_NS1_11comp_targetILNS1_3genE10ELNS1_11target_archE1201ELNS1_3gpuE5ELNS1_3repE0EEENS1_30default_config_static_selectorELNS0_4arch9wavefront6targetE0EEEvSK_.kd
    .uniform_work_group_size: 1
    .uses_dynamic_stack: false
    .vgpr_count:     0
    .vgpr_spill_count: 0
    .wavefront_size: 32
    .workgroup_processor_mode: 1
  - .args:
      - .offset:         0
        .size:           64
        .value_kind:     by_value
    .group_segment_fixed_size: 0
    .kernarg_segment_align: 8
    .kernarg_segment_size: 64
    .language:       OpenCL C
    .language_version:
      - 2
      - 0
    .max_flat_workgroup_size: 256
    .name:           _ZN7rocprim17ROCPRIM_400000_NS6detail17trampoline_kernelINS0_14default_configENS1_37merge_sort_block_sort_config_selectorIiNS0_10empty_typeEEEZNS1_21merge_sort_block_sortIS3_N6thrust23THRUST_200600_302600_NS6detail15normal_iteratorINS9_10device_ptrIiEEEESE_PS5_SF_11less_div_10IiEEE10hipError_tT0_T1_T2_T3_mRjT4_P12ihipStream_tbNS1_7vsmem_tEEUlT_E_NS1_11comp_targetILNS1_3genE10ELNS1_11target_archE1200ELNS1_3gpuE4ELNS1_3repE0EEENS1_30default_config_static_selectorELNS0_4arch9wavefront6targetE0EEEvSK_
    .private_segment_fixed_size: 0
    .sgpr_count:     0
    .sgpr_spill_count: 0
    .symbol:         _ZN7rocprim17ROCPRIM_400000_NS6detail17trampoline_kernelINS0_14default_configENS1_37merge_sort_block_sort_config_selectorIiNS0_10empty_typeEEEZNS1_21merge_sort_block_sortIS3_N6thrust23THRUST_200600_302600_NS6detail15normal_iteratorINS9_10device_ptrIiEEEESE_PS5_SF_11less_div_10IiEEE10hipError_tT0_T1_T2_T3_mRjT4_P12ihipStream_tbNS1_7vsmem_tEEUlT_E_NS1_11comp_targetILNS1_3genE10ELNS1_11target_archE1200ELNS1_3gpuE4ELNS1_3repE0EEENS1_30default_config_static_selectorELNS0_4arch9wavefront6targetE0EEEvSK_.kd
    .uniform_work_group_size: 1
    .uses_dynamic_stack: false
    .vgpr_count:     0
    .vgpr_spill_count: 0
    .wavefront_size: 32
    .workgroup_processor_mode: 1
  - .args:
      - .offset:         0
        .size:           64
        .value_kind:     by_value
    .group_segment_fixed_size: 0
    .kernarg_segment_align: 8
    .kernarg_segment_size: 64
    .language:       OpenCL C
    .language_version:
      - 2
      - 0
    .max_flat_workgroup_size: 256
    .name:           _ZN7rocprim17ROCPRIM_400000_NS6detail17trampoline_kernelINS0_14default_configENS1_37merge_sort_block_sort_config_selectorIiNS0_10empty_typeEEEZNS1_21merge_sort_block_sortIS3_N6thrust23THRUST_200600_302600_NS6detail15normal_iteratorINS9_10device_ptrIiEEEESE_PS5_SF_11less_div_10IiEEE10hipError_tT0_T1_T2_T3_mRjT4_P12ihipStream_tbNS1_7vsmem_tEEUlT_E_NS1_11comp_targetILNS1_3genE9ELNS1_11target_archE1100ELNS1_3gpuE3ELNS1_3repE0EEENS1_30default_config_static_selectorELNS0_4arch9wavefront6targetE0EEEvSK_
    .private_segment_fixed_size: 0
    .sgpr_count:     0
    .sgpr_spill_count: 0
    .symbol:         _ZN7rocprim17ROCPRIM_400000_NS6detail17trampoline_kernelINS0_14default_configENS1_37merge_sort_block_sort_config_selectorIiNS0_10empty_typeEEEZNS1_21merge_sort_block_sortIS3_N6thrust23THRUST_200600_302600_NS6detail15normal_iteratorINS9_10device_ptrIiEEEESE_PS5_SF_11less_div_10IiEEE10hipError_tT0_T1_T2_T3_mRjT4_P12ihipStream_tbNS1_7vsmem_tEEUlT_E_NS1_11comp_targetILNS1_3genE9ELNS1_11target_archE1100ELNS1_3gpuE3ELNS1_3repE0EEENS1_30default_config_static_selectorELNS0_4arch9wavefront6targetE0EEEvSK_.kd
    .uniform_work_group_size: 1
    .uses_dynamic_stack: false
    .vgpr_count:     0
    .vgpr_spill_count: 0
    .wavefront_size: 32
    .workgroup_processor_mode: 1
  - .args:
      - .offset:         0
        .size:           64
        .value_kind:     by_value
      - .offset:         64
        .size:           4
        .value_kind:     hidden_block_count_x
      - .offset:         68
        .size:           4
        .value_kind:     hidden_block_count_y
      - .offset:         72
        .size:           4
        .value_kind:     hidden_block_count_z
      - .offset:         76
        .size:           2
        .value_kind:     hidden_group_size_x
      - .offset:         78
        .size:           2
        .value_kind:     hidden_group_size_y
      - .offset:         80
        .size:           2
        .value_kind:     hidden_group_size_z
      - .offset:         82
        .size:           2
        .value_kind:     hidden_remainder_x
      - .offset:         84
        .size:           2
        .value_kind:     hidden_remainder_y
      - .offset:         86
        .size:           2
        .value_kind:     hidden_remainder_z
      - .offset:         104
        .size:           8
        .value_kind:     hidden_global_offset_x
      - .offset:         112
        .size:           8
        .value_kind:     hidden_global_offset_y
      - .offset:         120
        .size:           8
        .value_kind:     hidden_global_offset_z
      - .offset:         128
        .size:           2
        .value_kind:     hidden_grid_dims
    .group_segment_fixed_size: 8448
    .kernarg_segment_align: 8
    .kernarg_segment_size: 320
    .language:       OpenCL C
    .language_version:
      - 2
      - 0
    .max_flat_workgroup_size: 256
    .name:           _ZN7rocprim17ROCPRIM_400000_NS6detail17trampoline_kernelINS0_14default_configENS1_37merge_sort_block_sort_config_selectorIiNS0_10empty_typeEEEZNS1_21merge_sort_block_sortIS3_N6thrust23THRUST_200600_302600_NS6detail15normal_iteratorINS9_10device_ptrIiEEEESE_PS5_SF_11less_div_10IiEEE10hipError_tT0_T1_T2_T3_mRjT4_P12ihipStream_tbNS1_7vsmem_tEEUlT_E_NS1_11comp_targetILNS1_3genE8ELNS1_11target_archE1030ELNS1_3gpuE2ELNS1_3repE0EEENS1_30default_config_static_selectorELNS0_4arch9wavefront6targetE0EEEvSK_
    .private_segment_fixed_size: 0
    .sgpr_count:     24
    .sgpr_spill_count: 0
    .symbol:         _ZN7rocprim17ROCPRIM_400000_NS6detail17trampoline_kernelINS0_14default_configENS1_37merge_sort_block_sort_config_selectorIiNS0_10empty_typeEEEZNS1_21merge_sort_block_sortIS3_N6thrust23THRUST_200600_302600_NS6detail15normal_iteratorINS9_10device_ptrIiEEEESE_PS5_SF_11less_div_10IiEEE10hipError_tT0_T1_T2_T3_mRjT4_P12ihipStream_tbNS1_7vsmem_tEEUlT_E_NS1_11comp_targetILNS1_3genE8ELNS1_11target_archE1030ELNS1_3gpuE2ELNS1_3repE0EEENS1_30default_config_static_selectorELNS0_4arch9wavefront6targetE0EEEvSK_.kd
    .uniform_work_group_size: 1
    .uses_dynamic_stack: false
    .vgpr_count:     50
    .vgpr_spill_count: 0
    .wavefront_size: 32
    .workgroup_processor_mode: 1
  - .args:
      - .offset:         0
        .size:           48
        .value_kind:     by_value
    .group_segment_fixed_size: 0
    .kernarg_segment_align: 8
    .kernarg_segment_size: 48
    .language:       OpenCL C
    .language_version:
      - 2
      - 0
    .max_flat_workgroup_size: 128
    .name:           _ZN7rocprim17ROCPRIM_400000_NS6detail17trampoline_kernelINS0_14default_configENS1_38merge_sort_block_merge_config_selectorIiNS0_10empty_typeEEEZZNS1_27merge_sort_block_merge_implIS3_N6thrust23THRUST_200600_302600_NS6detail15normal_iteratorINS9_10device_ptrIiEEEEPS5_m11less_div_10IiEEE10hipError_tT0_T1_T2_jT3_P12ihipStream_tbPNSt15iterator_traitsISJ_E10value_typeEPNSP_ISK_E10value_typeEPSL_NS1_7vsmem_tEENKUlT_SJ_SK_SL_E_clIPiSE_SF_SF_EESI_SY_SJ_SK_SL_EUlSY_E_NS1_11comp_targetILNS1_3genE0ELNS1_11target_archE4294967295ELNS1_3gpuE0ELNS1_3repE0EEENS1_48merge_mergepath_partition_config_static_selectorELNS0_4arch9wavefront6targetE0EEEvSK_
    .private_segment_fixed_size: 0
    .sgpr_count:     0
    .sgpr_spill_count: 0
    .symbol:         _ZN7rocprim17ROCPRIM_400000_NS6detail17trampoline_kernelINS0_14default_configENS1_38merge_sort_block_merge_config_selectorIiNS0_10empty_typeEEEZZNS1_27merge_sort_block_merge_implIS3_N6thrust23THRUST_200600_302600_NS6detail15normal_iteratorINS9_10device_ptrIiEEEEPS5_m11less_div_10IiEEE10hipError_tT0_T1_T2_jT3_P12ihipStream_tbPNSt15iterator_traitsISJ_E10value_typeEPNSP_ISK_E10value_typeEPSL_NS1_7vsmem_tEENKUlT_SJ_SK_SL_E_clIPiSE_SF_SF_EESI_SY_SJ_SK_SL_EUlSY_E_NS1_11comp_targetILNS1_3genE0ELNS1_11target_archE4294967295ELNS1_3gpuE0ELNS1_3repE0EEENS1_48merge_mergepath_partition_config_static_selectorELNS0_4arch9wavefront6targetE0EEEvSK_.kd
    .uniform_work_group_size: 1
    .uses_dynamic_stack: false
    .vgpr_count:     0
    .vgpr_spill_count: 0
    .wavefront_size: 32
    .workgroup_processor_mode: 1
  - .args:
      - .offset:         0
        .size:           48
        .value_kind:     by_value
    .group_segment_fixed_size: 0
    .kernarg_segment_align: 8
    .kernarg_segment_size: 48
    .language:       OpenCL C
    .language_version:
      - 2
      - 0
    .max_flat_workgroup_size: 128
    .name:           _ZN7rocprim17ROCPRIM_400000_NS6detail17trampoline_kernelINS0_14default_configENS1_38merge_sort_block_merge_config_selectorIiNS0_10empty_typeEEEZZNS1_27merge_sort_block_merge_implIS3_N6thrust23THRUST_200600_302600_NS6detail15normal_iteratorINS9_10device_ptrIiEEEEPS5_m11less_div_10IiEEE10hipError_tT0_T1_T2_jT3_P12ihipStream_tbPNSt15iterator_traitsISJ_E10value_typeEPNSP_ISK_E10value_typeEPSL_NS1_7vsmem_tEENKUlT_SJ_SK_SL_E_clIPiSE_SF_SF_EESI_SY_SJ_SK_SL_EUlSY_E_NS1_11comp_targetILNS1_3genE10ELNS1_11target_archE1201ELNS1_3gpuE5ELNS1_3repE0EEENS1_48merge_mergepath_partition_config_static_selectorELNS0_4arch9wavefront6targetE0EEEvSK_
    .private_segment_fixed_size: 0
    .sgpr_count:     0
    .sgpr_spill_count: 0
    .symbol:         _ZN7rocprim17ROCPRIM_400000_NS6detail17trampoline_kernelINS0_14default_configENS1_38merge_sort_block_merge_config_selectorIiNS0_10empty_typeEEEZZNS1_27merge_sort_block_merge_implIS3_N6thrust23THRUST_200600_302600_NS6detail15normal_iteratorINS9_10device_ptrIiEEEEPS5_m11less_div_10IiEEE10hipError_tT0_T1_T2_jT3_P12ihipStream_tbPNSt15iterator_traitsISJ_E10value_typeEPNSP_ISK_E10value_typeEPSL_NS1_7vsmem_tEENKUlT_SJ_SK_SL_E_clIPiSE_SF_SF_EESI_SY_SJ_SK_SL_EUlSY_E_NS1_11comp_targetILNS1_3genE10ELNS1_11target_archE1201ELNS1_3gpuE5ELNS1_3repE0EEENS1_48merge_mergepath_partition_config_static_selectorELNS0_4arch9wavefront6targetE0EEEvSK_.kd
    .uniform_work_group_size: 1
    .uses_dynamic_stack: false
    .vgpr_count:     0
    .vgpr_spill_count: 0
    .wavefront_size: 32
    .workgroup_processor_mode: 1
  - .args:
      - .offset:         0
        .size:           48
        .value_kind:     by_value
    .group_segment_fixed_size: 0
    .kernarg_segment_align: 8
    .kernarg_segment_size: 48
    .language:       OpenCL C
    .language_version:
      - 2
      - 0
    .max_flat_workgroup_size: 128
    .name:           _ZN7rocprim17ROCPRIM_400000_NS6detail17trampoline_kernelINS0_14default_configENS1_38merge_sort_block_merge_config_selectorIiNS0_10empty_typeEEEZZNS1_27merge_sort_block_merge_implIS3_N6thrust23THRUST_200600_302600_NS6detail15normal_iteratorINS9_10device_ptrIiEEEEPS5_m11less_div_10IiEEE10hipError_tT0_T1_T2_jT3_P12ihipStream_tbPNSt15iterator_traitsISJ_E10value_typeEPNSP_ISK_E10value_typeEPSL_NS1_7vsmem_tEENKUlT_SJ_SK_SL_E_clIPiSE_SF_SF_EESI_SY_SJ_SK_SL_EUlSY_E_NS1_11comp_targetILNS1_3genE5ELNS1_11target_archE942ELNS1_3gpuE9ELNS1_3repE0EEENS1_48merge_mergepath_partition_config_static_selectorELNS0_4arch9wavefront6targetE0EEEvSK_
    .private_segment_fixed_size: 0
    .sgpr_count:     0
    .sgpr_spill_count: 0
    .symbol:         _ZN7rocprim17ROCPRIM_400000_NS6detail17trampoline_kernelINS0_14default_configENS1_38merge_sort_block_merge_config_selectorIiNS0_10empty_typeEEEZZNS1_27merge_sort_block_merge_implIS3_N6thrust23THRUST_200600_302600_NS6detail15normal_iteratorINS9_10device_ptrIiEEEEPS5_m11less_div_10IiEEE10hipError_tT0_T1_T2_jT3_P12ihipStream_tbPNSt15iterator_traitsISJ_E10value_typeEPNSP_ISK_E10value_typeEPSL_NS1_7vsmem_tEENKUlT_SJ_SK_SL_E_clIPiSE_SF_SF_EESI_SY_SJ_SK_SL_EUlSY_E_NS1_11comp_targetILNS1_3genE5ELNS1_11target_archE942ELNS1_3gpuE9ELNS1_3repE0EEENS1_48merge_mergepath_partition_config_static_selectorELNS0_4arch9wavefront6targetE0EEEvSK_.kd
    .uniform_work_group_size: 1
    .uses_dynamic_stack: false
    .vgpr_count:     0
    .vgpr_spill_count: 0
    .wavefront_size: 32
    .workgroup_processor_mode: 1
  - .args:
      - .offset:         0
        .size:           48
        .value_kind:     by_value
    .group_segment_fixed_size: 0
    .kernarg_segment_align: 8
    .kernarg_segment_size: 48
    .language:       OpenCL C
    .language_version:
      - 2
      - 0
    .max_flat_workgroup_size: 128
    .name:           _ZN7rocprim17ROCPRIM_400000_NS6detail17trampoline_kernelINS0_14default_configENS1_38merge_sort_block_merge_config_selectorIiNS0_10empty_typeEEEZZNS1_27merge_sort_block_merge_implIS3_N6thrust23THRUST_200600_302600_NS6detail15normal_iteratorINS9_10device_ptrIiEEEEPS5_m11less_div_10IiEEE10hipError_tT0_T1_T2_jT3_P12ihipStream_tbPNSt15iterator_traitsISJ_E10value_typeEPNSP_ISK_E10value_typeEPSL_NS1_7vsmem_tEENKUlT_SJ_SK_SL_E_clIPiSE_SF_SF_EESI_SY_SJ_SK_SL_EUlSY_E_NS1_11comp_targetILNS1_3genE4ELNS1_11target_archE910ELNS1_3gpuE8ELNS1_3repE0EEENS1_48merge_mergepath_partition_config_static_selectorELNS0_4arch9wavefront6targetE0EEEvSK_
    .private_segment_fixed_size: 0
    .sgpr_count:     0
    .sgpr_spill_count: 0
    .symbol:         _ZN7rocprim17ROCPRIM_400000_NS6detail17trampoline_kernelINS0_14default_configENS1_38merge_sort_block_merge_config_selectorIiNS0_10empty_typeEEEZZNS1_27merge_sort_block_merge_implIS3_N6thrust23THRUST_200600_302600_NS6detail15normal_iteratorINS9_10device_ptrIiEEEEPS5_m11less_div_10IiEEE10hipError_tT0_T1_T2_jT3_P12ihipStream_tbPNSt15iterator_traitsISJ_E10value_typeEPNSP_ISK_E10value_typeEPSL_NS1_7vsmem_tEENKUlT_SJ_SK_SL_E_clIPiSE_SF_SF_EESI_SY_SJ_SK_SL_EUlSY_E_NS1_11comp_targetILNS1_3genE4ELNS1_11target_archE910ELNS1_3gpuE8ELNS1_3repE0EEENS1_48merge_mergepath_partition_config_static_selectorELNS0_4arch9wavefront6targetE0EEEvSK_.kd
    .uniform_work_group_size: 1
    .uses_dynamic_stack: false
    .vgpr_count:     0
    .vgpr_spill_count: 0
    .wavefront_size: 32
    .workgroup_processor_mode: 1
  - .args:
      - .offset:         0
        .size:           48
        .value_kind:     by_value
    .group_segment_fixed_size: 0
    .kernarg_segment_align: 8
    .kernarg_segment_size: 48
    .language:       OpenCL C
    .language_version:
      - 2
      - 0
    .max_flat_workgroup_size: 128
    .name:           _ZN7rocprim17ROCPRIM_400000_NS6detail17trampoline_kernelINS0_14default_configENS1_38merge_sort_block_merge_config_selectorIiNS0_10empty_typeEEEZZNS1_27merge_sort_block_merge_implIS3_N6thrust23THRUST_200600_302600_NS6detail15normal_iteratorINS9_10device_ptrIiEEEEPS5_m11less_div_10IiEEE10hipError_tT0_T1_T2_jT3_P12ihipStream_tbPNSt15iterator_traitsISJ_E10value_typeEPNSP_ISK_E10value_typeEPSL_NS1_7vsmem_tEENKUlT_SJ_SK_SL_E_clIPiSE_SF_SF_EESI_SY_SJ_SK_SL_EUlSY_E_NS1_11comp_targetILNS1_3genE3ELNS1_11target_archE908ELNS1_3gpuE7ELNS1_3repE0EEENS1_48merge_mergepath_partition_config_static_selectorELNS0_4arch9wavefront6targetE0EEEvSK_
    .private_segment_fixed_size: 0
    .sgpr_count:     0
    .sgpr_spill_count: 0
    .symbol:         _ZN7rocprim17ROCPRIM_400000_NS6detail17trampoline_kernelINS0_14default_configENS1_38merge_sort_block_merge_config_selectorIiNS0_10empty_typeEEEZZNS1_27merge_sort_block_merge_implIS3_N6thrust23THRUST_200600_302600_NS6detail15normal_iteratorINS9_10device_ptrIiEEEEPS5_m11less_div_10IiEEE10hipError_tT0_T1_T2_jT3_P12ihipStream_tbPNSt15iterator_traitsISJ_E10value_typeEPNSP_ISK_E10value_typeEPSL_NS1_7vsmem_tEENKUlT_SJ_SK_SL_E_clIPiSE_SF_SF_EESI_SY_SJ_SK_SL_EUlSY_E_NS1_11comp_targetILNS1_3genE3ELNS1_11target_archE908ELNS1_3gpuE7ELNS1_3repE0EEENS1_48merge_mergepath_partition_config_static_selectorELNS0_4arch9wavefront6targetE0EEEvSK_.kd
    .uniform_work_group_size: 1
    .uses_dynamic_stack: false
    .vgpr_count:     0
    .vgpr_spill_count: 0
    .wavefront_size: 32
    .workgroup_processor_mode: 1
  - .args:
      - .offset:         0
        .size:           48
        .value_kind:     by_value
    .group_segment_fixed_size: 0
    .kernarg_segment_align: 8
    .kernarg_segment_size: 48
    .language:       OpenCL C
    .language_version:
      - 2
      - 0
    .max_flat_workgroup_size: 128
    .name:           _ZN7rocprim17ROCPRIM_400000_NS6detail17trampoline_kernelINS0_14default_configENS1_38merge_sort_block_merge_config_selectorIiNS0_10empty_typeEEEZZNS1_27merge_sort_block_merge_implIS3_N6thrust23THRUST_200600_302600_NS6detail15normal_iteratorINS9_10device_ptrIiEEEEPS5_m11less_div_10IiEEE10hipError_tT0_T1_T2_jT3_P12ihipStream_tbPNSt15iterator_traitsISJ_E10value_typeEPNSP_ISK_E10value_typeEPSL_NS1_7vsmem_tEENKUlT_SJ_SK_SL_E_clIPiSE_SF_SF_EESI_SY_SJ_SK_SL_EUlSY_E_NS1_11comp_targetILNS1_3genE2ELNS1_11target_archE906ELNS1_3gpuE6ELNS1_3repE0EEENS1_48merge_mergepath_partition_config_static_selectorELNS0_4arch9wavefront6targetE0EEEvSK_
    .private_segment_fixed_size: 0
    .sgpr_count:     0
    .sgpr_spill_count: 0
    .symbol:         _ZN7rocprim17ROCPRIM_400000_NS6detail17trampoline_kernelINS0_14default_configENS1_38merge_sort_block_merge_config_selectorIiNS0_10empty_typeEEEZZNS1_27merge_sort_block_merge_implIS3_N6thrust23THRUST_200600_302600_NS6detail15normal_iteratorINS9_10device_ptrIiEEEEPS5_m11less_div_10IiEEE10hipError_tT0_T1_T2_jT3_P12ihipStream_tbPNSt15iterator_traitsISJ_E10value_typeEPNSP_ISK_E10value_typeEPSL_NS1_7vsmem_tEENKUlT_SJ_SK_SL_E_clIPiSE_SF_SF_EESI_SY_SJ_SK_SL_EUlSY_E_NS1_11comp_targetILNS1_3genE2ELNS1_11target_archE906ELNS1_3gpuE6ELNS1_3repE0EEENS1_48merge_mergepath_partition_config_static_selectorELNS0_4arch9wavefront6targetE0EEEvSK_.kd
    .uniform_work_group_size: 1
    .uses_dynamic_stack: false
    .vgpr_count:     0
    .vgpr_spill_count: 0
    .wavefront_size: 32
    .workgroup_processor_mode: 1
  - .args:
      - .offset:         0
        .size:           48
        .value_kind:     by_value
    .group_segment_fixed_size: 0
    .kernarg_segment_align: 8
    .kernarg_segment_size: 48
    .language:       OpenCL C
    .language_version:
      - 2
      - 0
    .max_flat_workgroup_size: 128
    .name:           _ZN7rocprim17ROCPRIM_400000_NS6detail17trampoline_kernelINS0_14default_configENS1_38merge_sort_block_merge_config_selectorIiNS0_10empty_typeEEEZZNS1_27merge_sort_block_merge_implIS3_N6thrust23THRUST_200600_302600_NS6detail15normal_iteratorINS9_10device_ptrIiEEEEPS5_m11less_div_10IiEEE10hipError_tT0_T1_T2_jT3_P12ihipStream_tbPNSt15iterator_traitsISJ_E10value_typeEPNSP_ISK_E10value_typeEPSL_NS1_7vsmem_tEENKUlT_SJ_SK_SL_E_clIPiSE_SF_SF_EESI_SY_SJ_SK_SL_EUlSY_E_NS1_11comp_targetILNS1_3genE9ELNS1_11target_archE1100ELNS1_3gpuE3ELNS1_3repE0EEENS1_48merge_mergepath_partition_config_static_selectorELNS0_4arch9wavefront6targetE0EEEvSK_
    .private_segment_fixed_size: 0
    .sgpr_count:     0
    .sgpr_spill_count: 0
    .symbol:         _ZN7rocprim17ROCPRIM_400000_NS6detail17trampoline_kernelINS0_14default_configENS1_38merge_sort_block_merge_config_selectorIiNS0_10empty_typeEEEZZNS1_27merge_sort_block_merge_implIS3_N6thrust23THRUST_200600_302600_NS6detail15normal_iteratorINS9_10device_ptrIiEEEEPS5_m11less_div_10IiEEE10hipError_tT0_T1_T2_jT3_P12ihipStream_tbPNSt15iterator_traitsISJ_E10value_typeEPNSP_ISK_E10value_typeEPSL_NS1_7vsmem_tEENKUlT_SJ_SK_SL_E_clIPiSE_SF_SF_EESI_SY_SJ_SK_SL_EUlSY_E_NS1_11comp_targetILNS1_3genE9ELNS1_11target_archE1100ELNS1_3gpuE3ELNS1_3repE0EEENS1_48merge_mergepath_partition_config_static_selectorELNS0_4arch9wavefront6targetE0EEEvSK_.kd
    .uniform_work_group_size: 1
    .uses_dynamic_stack: false
    .vgpr_count:     0
    .vgpr_spill_count: 0
    .wavefront_size: 32
    .workgroup_processor_mode: 1
  - .args:
      - .offset:         0
        .size:           48
        .value_kind:     by_value
    .group_segment_fixed_size: 0
    .kernarg_segment_align: 8
    .kernarg_segment_size: 48
    .language:       OpenCL C
    .language_version:
      - 2
      - 0
    .max_flat_workgroup_size: 128
    .name:           _ZN7rocprim17ROCPRIM_400000_NS6detail17trampoline_kernelINS0_14default_configENS1_38merge_sort_block_merge_config_selectorIiNS0_10empty_typeEEEZZNS1_27merge_sort_block_merge_implIS3_N6thrust23THRUST_200600_302600_NS6detail15normal_iteratorINS9_10device_ptrIiEEEEPS5_m11less_div_10IiEEE10hipError_tT0_T1_T2_jT3_P12ihipStream_tbPNSt15iterator_traitsISJ_E10value_typeEPNSP_ISK_E10value_typeEPSL_NS1_7vsmem_tEENKUlT_SJ_SK_SL_E_clIPiSE_SF_SF_EESI_SY_SJ_SK_SL_EUlSY_E_NS1_11comp_targetILNS1_3genE8ELNS1_11target_archE1030ELNS1_3gpuE2ELNS1_3repE0EEENS1_48merge_mergepath_partition_config_static_selectorELNS0_4arch9wavefront6targetE0EEEvSK_
    .private_segment_fixed_size: 0
    .sgpr_count:     10
    .sgpr_spill_count: 0
    .symbol:         _ZN7rocprim17ROCPRIM_400000_NS6detail17trampoline_kernelINS0_14default_configENS1_38merge_sort_block_merge_config_selectorIiNS0_10empty_typeEEEZZNS1_27merge_sort_block_merge_implIS3_N6thrust23THRUST_200600_302600_NS6detail15normal_iteratorINS9_10device_ptrIiEEEEPS5_m11less_div_10IiEEE10hipError_tT0_T1_T2_jT3_P12ihipStream_tbPNSt15iterator_traitsISJ_E10value_typeEPNSP_ISK_E10value_typeEPSL_NS1_7vsmem_tEENKUlT_SJ_SK_SL_E_clIPiSE_SF_SF_EESI_SY_SJ_SK_SL_EUlSY_E_NS1_11comp_targetILNS1_3genE8ELNS1_11target_archE1030ELNS1_3gpuE2ELNS1_3repE0EEENS1_48merge_mergepath_partition_config_static_selectorELNS0_4arch9wavefront6targetE0EEEvSK_.kd
    .uniform_work_group_size: 1
    .uses_dynamic_stack: false
    .vgpr_count:     18
    .vgpr_spill_count: 0
    .wavefront_size: 32
    .workgroup_processor_mode: 1
  - .args:
      - .offset:         0
        .size:           72
        .value_kind:     by_value
    .group_segment_fixed_size: 0
    .kernarg_segment_align: 8
    .kernarg_segment_size: 72
    .language:       OpenCL C
    .language_version:
      - 2
      - 0
    .max_flat_workgroup_size: 128
    .name:           _ZN7rocprim17ROCPRIM_400000_NS6detail17trampoline_kernelINS0_14default_configENS1_38merge_sort_block_merge_config_selectorIiNS0_10empty_typeEEEZZNS1_27merge_sort_block_merge_implIS3_N6thrust23THRUST_200600_302600_NS6detail15normal_iteratorINS9_10device_ptrIiEEEEPS5_m11less_div_10IiEEE10hipError_tT0_T1_T2_jT3_P12ihipStream_tbPNSt15iterator_traitsISJ_E10value_typeEPNSP_ISK_E10value_typeEPSL_NS1_7vsmem_tEENKUlT_SJ_SK_SL_E_clIPiSE_SF_SF_EESI_SY_SJ_SK_SL_EUlSY_E0_NS1_11comp_targetILNS1_3genE0ELNS1_11target_archE4294967295ELNS1_3gpuE0ELNS1_3repE0EEENS1_38merge_mergepath_config_static_selectorELNS0_4arch9wavefront6targetE0EEEvSK_
    .private_segment_fixed_size: 0
    .sgpr_count:     0
    .sgpr_spill_count: 0
    .symbol:         _ZN7rocprim17ROCPRIM_400000_NS6detail17trampoline_kernelINS0_14default_configENS1_38merge_sort_block_merge_config_selectorIiNS0_10empty_typeEEEZZNS1_27merge_sort_block_merge_implIS3_N6thrust23THRUST_200600_302600_NS6detail15normal_iteratorINS9_10device_ptrIiEEEEPS5_m11less_div_10IiEEE10hipError_tT0_T1_T2_jT3_P12ihipStream_tbPNSt15iterator_traitsISJ_E10value_typeEPNSP_ISK_E10value_typeEPSL_NS1_7vsmem_tEENKUlT_SJ_SK_SL_E_clIPiSE_SF_SF_EESI_SY_SJ_SK_SL_EUlSY_E0_NS1_11comp_targetILNS1_3genE0ELNS1_11target_archE4294967295ELNS1_3gpuE0ELNS1_3repE0EEENS1_38merge_mergepath_config_static_selectorELNS0_4arch9wavefront6targetE0EEEvSK_.kd
    .uniform_work_group_size: 1
    .uses_dynamic_stack: false
    .vgpr_count:     0
    .vgpr_spill_count: 0
    .wavefront_size: 32
    .workgroup_processor_mode: 1
  - .args:
      - .offset:         0
        .size:           72
        .value_kind:     by_value
    .group_segment_fixed_size: 0
    .kernarg_segment_align: 8
    .kernarg_segment_size: 72
    .language:       OpenCL C
    .language_version:
      - 2
      - 0
    .max_flat_workgroup_size: 256
    .name:           _ZN7rocprim17ROCPRIM_400000_NS6detail17trampoline_kernelINS0_14default_configENS1_38merge_sort_block_merge_config_selectorIiNS0_10empty_typeEEEZZNS1_27merge_sort_block_merge_implIS3_N6thrust23THRUST_200600_302600_NS6detail15normal_iteratorINS9_10device_ptrIiEEEEPS5_m11less_div_10IiEEE10hipError_tT0_T1_T2_jT3_P12ihipStream_tbPNSt15iterator_traitsISJ_E10value_typeEPNSP_ISK_E10value_typeEPSL_NS1_7vsmem_tEENKUlT_SJ_SK_SL_E_clIPiSE_SF_SF_EESI_SY_SJ_SK_SL_EUlSY_E0_NS1_11comp_targetILNS1_3genE10ELNS1_11target_archE1201ELNS1_3gpuE5ELNS1_3repE0EEENS1_38merge_mergepath_config_static_selectorELNS0_4arch9wavefront6targetE0EEEvSK_
    .private_segment_fixed_size: 0
    .sgpr_count:     0
    .sgpr_spill_count: 0
    .symbol:         _ZN7rocprim17ROCPRIM_400000_NS6detail17trampoline_kernelINS0_14default_configENS1_38merge_sort_block_merge_config_selectorIiNS0_10empty_typeEEEZZNS1_27merge_sort_block_merge_implIS3_N6thrust23THRUST_200600_302600_NS6detail15normal_iteratorINS9_10device_ptrIiEEEEPS5_m11less_div_10IiEEE10hipError_tT0_T1_T2_jT3_P12ihipStream_tbPNSt15iterator_traitsISJ_E10value_typeEPNSP_ISK_E10value_typeEPSL_NS1_7vsmem_tEENKUlT_SJ_SK_SL_E_clIPiSE_SF_SF_EESI_SY_SJ_SK_SL_EUlSY_E0_NS1_11comp_targetILNS1_3genE10ELNS1_11target_archE1201ELNS1_3gpuE5ELNS1_3repE0EEENS1_38merge_mergepath_config_static_selectorELNS0_4arch9wavefront6targetE0EEEvSK_.kd
    .uniform_work_group_size: 1
    .uses_dynamic_stack: false
    .vgpr_count:     0
    .vgpr_spill_count: 0
    .wavefront_size: 32
    .workgroup_processor_mode: 1
  - .args:
      - .offset:         0
        .size:           72
        .value_kind:     by_value
    .group_segment_fixed_size: 0
    .kernarg_segment_align: 8
    .kernarg_segment_size: 72
    .language:       OpenCL C
    .language_version:
      - 2
      - 0
    .max_flat_workgroup_size: 128
    .name:           _ZN7rocprim17ROCPRIM_400000_NS6detail17trampoline_kernelINS0_14default_configENS1_38merge_sort_block_merge_config_selectorIiNS0_10empty_typeEEEZZNS1_27merge_sort_block_merge_implIS3_N6thrust23THRUST_200600_302600_NS6detail15normal_iteratorINS9_10device_ptrIiEEEEPS5_m11less_div_10IiEEE10hipError_tT0_T1_T2_jT3_P12ihipStream_tbPNSt15iterator_traitsISJ_E10value_typeEPNSP_ISK_E10value_typeEPSL_NS1_7vsmem_tEENKUlT_SJ_SK_SL_E_clIPiSE_SF_SF_EESI_SY_SJ_SK_SL_EUlSY_E0_NS1_11comp_targetILNS1_3genE5ELNS1_11target_archE942ELNS1_3gpuE9ELNS1_3repE0EEENS1_38merge_mergepath_config_static_selectorELNS0_4arch9wavefront6targetE0EEEvSK_
    .private_segment_fixed_size: 0
    .sgpr_count:     0
    .sgpr_spill_count: 0
    .symbol:         _ZN7rocprim17ROCPRIM_400000_NS6detail17trampoline_kernelINS0_14default_configENS1_38merge_sort_block_merge_config_selectorIiNS0_10empty_typeEEEZZNS1_27merge_sort_block_merge_implIS3_N6thrust23THRUST_200600_302600_NS6detail15normal_iteratorINS9_10device_ptrIiEEEEPS5_m11less_div_10IiEEE10hipError_tT0_T1_T2_jT3_P12ihipStream_tbPNSt15iterator_traitsISJ_E10value_typeEPNSP_ISK_E10value_typeEPSL_NS1_7vsmem_tEENKUlT_SJ_SK_SL_E_clIPiSE_SF_SF_EESI_SY_SJ_SK_SL_EUlSY_E0_NS1_11comp_targetILNS1_3genE5ELNS1_11target_archE942ELNS1_3gpuE9ELNS1_3repE0EEENS1_38merge_mergepath_config_static_selectorELNS0_4arch9wavefront6targetE0EEEvSK_.kd
    .uniform_work_group_size: 1
    .uses_dynamic_stack: false
    .vgpr_count:     0
    .vgpr_spill_count: 0
    .wavefront_size: 32
    .workgroup_processor_mode: 1
  - .args:
      - .offset:         0
        .size:           72
        .value_kind:     by_value
    .group_segment_fixed_size: 0
    .kernarg_segment_align: 8
    .kernarg_segment_size: 72
    .language:       OpenCL C
    .language_version:
      - 2
      - 0
    .max_flat_workgroup_size: 128
    .name:           _ZN7rocprim17ROCPRIM_400000_NS6detail17trampoline_kernelINS0_14default_configENS1_38merge_sort_block_merge_config_selectorIiNS0_10empty_typeEEEZZNS1_27merge_sort_block_merge_implIS3_N6thrust23THRUST_200600_302600_NS6detail15normal_iteratorINS9_10device_ptrIiEEEEPS5_m11less_div_10IiEEE10hipError_tT0_T1_T2_jT3_P12ihipStream_tbPNSt15iterator_traitsISJ_E10value_typeEPNSP_ISK_E10value_typeEPSL_NS1_7vsmem_tEENKUlT_SJ_SK_SL_E_clIPiSE_SF_SF_EESI_SY_SJ_SK_SL_EUlSY_E0_NS1_11comp_targetILNS1_3genE4ELNS1_11target_archE910ELNS1_3gpuE8ELNS1_3repE0EEENS1_38merge_mergepath_config_static_selectorELNS0_4arch9wavefront6targetE0EEEvSK_
    .private_segment_fixed_size: 0
    .sgpr_count:     0
    .sgpr_spill_count: 0
    .symbol:         _ZN7rocprim17ROCPRIM_400000_NS6detail17trampoline_kernelINS0_14default_configENS1_38merge_sort_block_merge_config_selectorIiNS0_10empty_typeEEEZZNS1_27merge_sort_block_merge_implIS3_N6thrust23THRUST_200600_302600_NS6detail15normal_iteratorINS9_10device_ptrIiEEEEPS5_m11less_div_10IiEEE10hipError_tT0_T1_T2_jT3_P12ihipStream_tbPNSt15iterator_traitsISJ_E10value_typeEPNSP_ISK_E10value_typeEPSL_NS1_7vsmem_tEENKUlT_SJ_SK_SL_E_clIPiSE_SF_SF_EESI_SY_SJ_SK_SL_EUlSY_E0_NS1_11comp_targetILNS1_3genE4ELNS1_11target_archE910ELNS1_3gpuE8ELNS1_3repE0EEENS1_38merge_mergepath_config_static_selectorELNS0_4arch9wavefront6targetE0EEEvSK_.kd
    .uniform_work_group_size: 1
    .uses_dynamic_stack: false
    .vgpr_count:     0
    .vgpr_spill_count: 0
    .wavefront_size: 32
    .workgroup_processor_mode: 1
  - .args:
      - .offset:         0
        .size:           72
        .value_kind:     by_value
    .group_segment_fixed_size: 0
    .kernarg_segment_align: 8
    .kernarg_segment_size: 72
    .language:       OpenCL C
    .language_version:
      - 2
      - 0
    .max_flat_workgroup_size: 128
    .name:           _ZN7rocprim17ROCPRIM_400000_NS6detail17trampoline_kernelINS0_14default_configENS1_38merge_sort_block_merge_config_selectorIiNS0_10empty_typeEEEZZNS1_27merge_sort_block_merge_implIS3_N6thrust23THRUST_200600_302600_NS6detail15normal_iteratorINS9_10device_ptrIiEEEEPS5_m11less_div_10IiEEE10hipError_tT0_T1_T2_jT3_P12ihipStream_tbPNSt15iterator_traitsISJ_E10value_typeEPNSP_ISK_E10value_typeEPSL_NS1_7vsmem_tEENKUlT_SJ_SK_SL_E_clIPiSE_SF_SF_EESI_SY_SJ_SK_SL_EUlSY_E0_NS1_11comp_targetILNS1_3genE3ELNS1_11target_archE908ELNS1_3gpuE7ELNS1_3repE0EEENS1_38merge_mergepath_config_static_selectorELNS0_4arch9wavefront6targetE0EEEvSK_
    .private_segment_fixed_size: 0
    .sgpr_count:     0
    .sgpr_spill_count: 0
    .symbol:         _ZN7rocprim17ROCPRIM_400000_NS6detail17trampoline_kernelINS0_14default_configENS1_38merge_sort_block_merge_config_selectorIiNS0_10empty_typeEEEZZNS1_27merge_sort_block_merge_implIS3_N6thrust23THRUST_200600_302600_NS6detail15normal_iteratorINS9_10device_ptrIiEEEEPS5_m11less_div_10IiEEE10hipError_tT0_T1_T2_jT3_P12ihipStream_tbPNSt15iterator_traitsISJ_E10value_typeEPNSP_ISK_E10value_typeEPSL_NS1_7vsmem_tEENKUlT_SJ_SK_SL_E_clIPiSE_SF_SF_EESI_SY_SJ_SK_SL_EUlSY_E0_NS1_11comp_targetILNS1_3genE3ELNS1_11target_archE908ELNS1_3gpuE7ELNS1_3repE0EEENS1_38merge_mergepath_config_static_selectorELNS0_4arch9wavefront6targetE0EEEvSK_.kd
    .uniform_work_group_size: 1
    .uses_dynamic_stack: false
    .vgpr_count:     0
    .vgpr_spill_count: 0
    .wavefront_size: 32
    .workgroup_processor_mode: 1
  - .args:
      - .offset:         0
        .size:           72
        .value_kind:     by_value
    .group_segment_fixed_size: 0
    .kernarg_segment_align: 8
    .kernarg_segment_size: 72
    .language:       OpenCL C
    .language_version:
      - 2
      - 0
    .max_flat_workgroup_size: 128
    .name:           _ZN7rocprim17ROCPRIM_400000_NS6detail17trampoline_kernelINS0_14default_configENS1_38merge_sort_block_merge_config_selectorIiNS0_10empty_typeEEEZZNS1_27merge_sort_block_merge_implIS3_N6thrust23THRUST_200600_302600_NS6detail15normal_iteratorINS9_10device_ptrIiEEEEPS5_m11less_div_10IiEEE10hipError_tT0_T1_T2_jT3_P12ihipStream_tbPNSt15iterator_traitsISJ_E10value_typeEPNSP_ISK_E10value_typeEPSL_NS1_7vsmem_tEENKUlT_SJ_SK_SL_E_clIPiSE_SF_SF_EESI_SY_SJ_SK_SL_EUlSY_E0_NS1_11comp_targetILNS1_3genE2ELNS1_11target_archE906ELNS1_3gpuE6ELNS1_3repE0EEENS1_38merge_mergepath_config_static_selectorELNS0_4arch9wavefront6targetE0EEEvSK_
    .private_segment_fixed_size: 0
    .sgpr_count:     0
    .sgpr_spill_count: 0
    .symbol:         _ZN7rocprim17ROCPRIM_400000_NS6detail17trampoline_kernelINS0_14default_configENS1_38merge_sort_block_merge_config_selectorIiNS0_10empty_typeEEEZZNS1_27merge_sort_block_merge_implIS3_N6thrust23THRUST_200600_302600_NS6detail15normal_iteratorINS9_10device_ptrIiEEEEPS5_m11less_div_10IiEEE10hipError_tT0_T1_T2_jT3_P12ihipStream_tbPNSt15iterator_traitsISJ_E10value_typeEPNSP_ISK_E10value_typeEPSL_NS1_7vsmem_tEENKUlT_SJ_SK_SL_E_clIPiSE_SF_SF_EESI_SY_SJ_SK_SL_EUlSY_E0_NS1_11comp_targetILNS1_3genE2ELNS1_11target_archE906ELNS1_3gpuE6ELNS1_3repE0EEENS1_38merge_mergepath_config_static_selectorELNS0_4arch9wavefront6targetE0EEEvSK_.kd
    .uniform_work_group_size: 1
    .uses_dynamic_stack: false
    .vgpr_count:     0
    .vgpr_spill_count: 0
    .wavefront_size: 32
    .workgroup_processor_mode: 1
  - .args:
      - .offset:         0
        .size:           72
        .value_kind:     by_value
    .group_segment_fixed_size: 0
    .kernarg_segment_align: 8
    .kernarg_segment_size: 72
    .language:       OpenCL C
    .language_version:
      - 2
      - 0
    .max_flat_workgroup_size: 256
    .name:           _ZN7rocprim17ROCPRIM_400000_NS6detail17trampoline_kernelINS0_14default_configENS1_38merge_sort_block_merge_config_selectorIiNS0_10empty_typeEEEZZNS1_27merge_sort_block_merge_implIS3_N6thrust23THRUST_200600_302600_NS6detail15normal_iteratorINS9_10device_ptrIiEEEEPS5_m11less_div_10IiEEE10hipError_tT0_T1_T2_jT3_P12ihipStream_tbPNSt15iterator_traitsISJ_E10value_typeEPNSP_ISK_E10value_typeEPSL_NS1_7vsmem_tEENKUlT_SJ_SK_SL_E_clIPiSE_SF_SF_EESI_SY_SJ_SK_SL_EUlSY_E0_NS1_11comp_targetILNS1_3genE9ELNS1_11target_archE1100ELNS1_3gpuE3ELNS1_3repE0EEENS1_38merge_mergepath_config_static_selectorELNS0_4arch9wavefront6targetE0EEEvSK_
    .private_segment_fixed_size: 0
    .sgpr_count:     0
    .sgpr_spill_count: 0
    .symbol:         _ZN7rocprim17ROCPRIM_400000_NS6detail17trampoline_kernelINS0_14default_configENS1_38merge_sort_block_merge_config_selectorIiNS0_10empty_typeEEEZZNS1_27merge_sort_block_merge_implIS3_N6thrust23THRUST_200600_302600_NS6detail15normal_iteratorINS9_10device_ptrIiEEEEPS5_m11less_div_10IiEEE10hipError_tT0_T1_T2_jT3_P12ihipStream_tbPNSt15iterator_traitsISJ_E10value_typeEPNSP_ISK_E10value_typeEPSL_NS1_7vsmem_tEENKUlT_SJ_SK_SL_E_clIPiSE_SF_SF_EESI_SY_SJ_SK_SL_EUlSY_E0_NS1_11comp_targetILNS1_3genE9ELNS1_11target_archE1100ELNS1_3gpuE3ELNS1_3repE0EEENS1_38merge_mergepath_config_static_selectorELNS0_4arch9wavefront6targetE0EEEvSK_.kd
    .uniform_work_group_size: 1
    .uses_dynamic_stack: false
    .vgpr_count:     0
    .vgpr_spill_count: 0
    .wavefront_size: 32
    .workgroup_processor_mode: 1
  - .args:
      - .offset:         0
        .size:           72
        .value_kind:     by_value
      - .offset:         72
        .size:           4
        .value_kind:     hidden_block_count_x
      - .offset:         76
        .size:           4
        .value_kind:     hidden_block_count_y
      - .offset:         80
        .size:           4
        .value_kind:     hidden_block_count_z
      - .offset:         84
        .size:           2
        .value_kind:     hidden_group_size_x
      - .offset:         86
        .size:           2
        .value_kind:     hidden_group_size_y
      - .offset:         88
        .size:           2
        .value_kind:     hidden_group_size_z
      - .offset:         90
        .size:           2
        .value_kind:     hidden_remainder_x
      - .offset:         92
        .size:           2
        .value_kind:     hidden_remainder_y
      - .offset:         94
        .size:           2
        .value_kind:     hidden_remainder_z
      - .offset:         112
        .size:           8
        .value_kind:     hidden_global_offset_x
      - .offset:         120
        .size:           8
        .value_kind:     hidden_global_offset_y
      - .offset:         128
        .size:           8
        .value_kind:     hidden_global_offset_z
      - .offset:         136
        .size:           2
        .value_kind:     hidden_grid_dims
    .group_segment_fixed_size: 4224
    .kernarg_segment_align: 8
    .kernarg_segment_size: 328
    .language:       OpenCL C
    .language_version:
      - 2
      - 0
    .max_flat_workgroup_size: 512
    .name:           _ZN7rocprim17ROCPRIM_400000_NS6detail17trampoline_kernelINS0_14default_configENS1_38merge_sort_block_merge_config_selectorIiNS0_10empty_typeEEEZZNS1_27merge_sort_block_merge_implIS3_N6thrust23THRUST_200600_302600_NS6detail15normal_iteratorINS9_10device_ptrIiEEEEPS5_m11less_div_10IiEEE10hipError_tT0_T1_T2_jT3_P12ihipStream_tbPNSt15iterator_traitsISJ_E10value_typeEPNSP_ISK_E10value_typeEPSL_NS1_7vsmem_tEENKUlT_SJ_SK_SL_E_clIPiSE_SF_SF_EESI_SY_SJ_SK_SL_EUlSY_E0_NS1_11comp_targetILNS1_3genE8ELNS1_11target_archE1030ELNS1_3gpuE2ELNS1_3repE0EEENS1_38merge_mergepath_config_static_selectorELNS0_4arch9wavefront6targetE0EEEvSK_
    .private_segment_fixed_size: 0
    .sgpr_count:     33
    .sgpr_spill_count: 0
    .symbol:         _ZN7rocprim17ROCPRIM_400000_NS6detail17trampoline_kernelINS0_14default_configENS1_38merge_sort_block_merge_config_selectorIiNS0_10empty_typeEEEZZNS1_27merge_sort_block_merge_implIS3_N6thrust23THRUST_200600_302600_NS6detail15normal_iteratorINS9_10device_ptrIiEEEEPS5_m11less_div_10IiEEE10hipError_tT0_T1_T2_jT3_P12ihipStream_tbPNSt15iterator_traitsISJ_E10value_typeEPNSP_ISK_E10value_typeEPSL_NS1_7vsmem_tEENKUlT_SJ_SK_SL_E_clIPiSE_SF_SF_EESI_SY_SJ_SK_SL_EUlSY_E0_NS1_11comp_targetILNS1_3genE8ELNS1_11target_archE1030ELNS1_3gpuE2ELNS1_3repE0EEENS1_38merge_mergepath_config_static_selectorELNS0_4arch9wavefront6targetE0EEEvSK_.kd
    .uniform_work_group_size: 1
    .uses_dynamic_stack: false
    .vgpr_count:     15
    .vgpr_spill_count: 0
    .wavefront_size: 32
    .workgroup_processor_mode: 1
  - .args:
      - .offset:         0
        .size:           56
        .value_kind:     by_value
    .group_segment_fixed_size: 0
    .kernarg_segment_align: 8
    .kernarg_segment_size: 56
    .language:       OpenCL C
    .language_version:
      - 2
      - 0
    .max_flat_workgroup_size: 256
    .name:           _ZN7rocprim17ROCPRIM_400000_NS6detail17trampoline_kernelINS0_14default_configENS1_38merge_sort_block_merge_config_selectorIiNS0_10empty_typeEEEZZNS1_27merge_sort_block_merge_implIS3_N6thrust23THRUST_200600_302600_NS6detail15normal_iteratorINS9_10device_ptrIiEEEEPS5_m11less_div_10IiEEE10hipError_tT0_T1_T2_jT3_P12ihipStream_tbPNSt15iterator_traitsISJ_E10value_typeEPNSP_ISK_E10value_typeEPSL_NS1_7vsmem_tEENKUlT_SJ_SK_SL_E_clIPiSE_SF_SF_EESI_SY_SJ_SK_SL_EUlSY_E1_NS1_11comp_targetILNS1_3genE0ELNS1_11target_archE4294967295ELNS1_3gpuE0ELNS1_3repE0EEENS1_36merge_oddeven_config_static_selectorELNS0_4arch9wavefront6targetE0EEEvSK_
    .private_segment_fixed_size: 0
    .sgpr_count:     0
    .sgpr_spill_count: 0
    .symbol:         _ZN7rocprim17ROCPRIM_400000_NS6detail17trampoline_kernelINS0_14default_configENS1_38merge_sort_block_merge_config_selectorIiNS0_10empty_typeEEEZZNS1_27merge_sort_block_merge_implIS3_N6thrust23THRUST_200600_302600_NS6detail15normal_iteratorINS9_10device_ptrIiEEEEPS5_m11less_div_10IiEEE10hipError_tT0_T1_T2_jT3_P12ihipStream_tbPNSt15iterator_traitsISJ_E10value_typeEPNSP_ISK_E10value_typeEPSL_NS1_7vsmem_tEENKUlT_SJ_SK_SL_E_clIPiSE_SF_SF_EESI_SY_SJ_SK_SL_EUlSY_E1_NS1_11comp_targetILNS1_3genE0ELNS1_11target_archE4294967295ELNS1_3gpuE0ELNS1_3repE0EEENS1_36merge_oddeven_config_static_selectorELNS0_4arch9wavefront6targetE0EEEvSK_.kd
    .uniform_work_group_size: 1
    .uses_dynamic_stack: false
    .vgpr_count:     0
    .vgpr_spill_count: 0
    .wavefront_size: 32
    .workgroup_processor_mode: 1
  - .args:
      - .offset:         0
        .size:           56
        .value_kind:     by_value
    .group_segment_fixed_size: 0
    .kernarg_segment_align: 8
    .kernarg_segment_size: 56
    .language:       OpenCL C
    .language_version:
      - 2
      - 0
    .max_flat_workgroup_size: 256
    .name:           _ZN7rocprim17ROCPRIM_400000_NS6detail17trampoline_kernelINS0_14default_configENS1_38merge_sort_block_merge_config_selectorIiNS0_10empty_typeEEEZZNS1_27merge_sort_block_merge_implIS3_N6thrust23THRUST_200600_302600_NS6detail15normal_iteratorINS9_10device_ptrIiEEEEPS5_m11less_div_10IiEEE10hipError_tT0_T1_T2_jT3_P12ihipStream_tbPNSt15iterator_traitsISJ_E10value_typeEPNSP_ISK_E10value_typeEPSL_NS1_7vsmem_tEENKUlT_SJ_SK_SL_E_clIPiSE_SF_SF_EESI_SY_SJ_SK_SL_EUlSY_E1_NS1_11comp_targetILNS1_3genE10ELNS1_11target_archE1201ELNS1_3gpuE5ELNS1_3repE0EEENS1_36merge_oddeven_config_static_selectorELNS0_4arch9wavefront6targetE0EEEvSK_
    .private_segment_fixed_size: 0
    .sgpr_count:     0
    .sgpr_spill_count: 0
    .symbol:         _ZN7rocprim17ROCPRIM_400000_NS6detail17trampoline_kernelINS0_14default_configENS1_38merge_sort_block_merge_config_selectorIiNS0_10empty_typeEEEZZNS1_27merge_sort_block_merge_implIS3_N6thrust23THRUST_200600_302600_NS6detail15normal_iteratorINS9_10device_ptrIiEEEEPS5_m11less_div_10IiEEE10hipError_tT0_T1_T2_jT3_P12ihipStream_tbPNSt15iterator_traitsISJ_E10value_typeEPNSP_ISK_E10value_typeEPSL_NS1_7vsmem_tEENKUlT_SJ_SK_SL_E_clIPiSE_SF_SF_EESI_SY_SJ_SK_SL_EUlSY_E1_NS1_11comp_targetILNS1_3genE10ELNS1_11target_archE1201ELNS1_3gpuE5ELNS1_3repE0EEENS1_36merge_oddeven_config_static_selectorELNS0_4arch9wavefront6targetE0EEEvSK_.kd
    .uniform_work_group_size: 1
    .uses_dynamic_stack: false
    .vgpr_count:     0
    .vgpr_spill_count: 0
    .wavefront_size: 32
    .workgroup_processor_mode: 1
  - .args:
      - .offset:         0
        .size:           56
        .value_kind:     by_value
    .group_segment_fixed_size: 0
    .kernarg_segment_align: 8
    .kernarg_segment_size: 56
    .language:       OpenCL C
    .language_version:
      - 2
      - 0
    .max_flat_workgroup_size: 256
    .name:           _ZN7rocprim17ROCPRIM_400000_NS6detail17trampoline_kernelINS0_14default_configENS1_38merge_sort_block_merge_config_selectorIiNS0_10empty_typeEEEZZNS1_27merge_sort_block_merge_implIS3_N6thrust23THRUST_200600_302600_NS6detail15normal_iteratorINS9_10device_ptrIiEEEEPS5_m11less_div_10IiEEE10hipError_tT0_T1_T2_jT3_P12ihipStream_tbPNSt15iterator_traitsISJ_E10value_typeEPNSP_ISK_E10value_typeEPSL_NS1_7vsmem_tEENKUlT_SJ_SK_SL_E_clIPiSE_SF_SF_EESI_SY_SJ_SK_SL_EUlSY_E1_NS1_11comp_targetILNS1_3genE5ELNS1_11target_archE942ELNS1_3gpuE9ELNS1_3repE0EEENS1_36merge_oddeven_config_static_selectorELNS0_4arch9wavefront6targetE0EEEvSK_
    .private_segment_fixed_size: 0
    .sgpr_count:     0
    .sgpr_spill_count: 0
    .symbol:         _ZN7rocprim17ROCPRIM_400000_NS6detail17trampoline_kernelINS0_14default_configENS1_38merge_sort_block_merge_config_selectorIiNS0_10empty_typeEEEZZNS1_27merge_sort_block_merge_implIS3_N6thrust23THRUST_200600_302600_NS6detail15normal_iteratorINS9_10device_ptrIiEEEEPS5_m11less_div_10IiEEE10hipError_tT0_T1_T2_jT3_P12ihipStream_tbPNSt15iterator_traitsISJ_E10value_typeEPNSP_ISK_E10value_typeEPSL_NS1_7vsmem_tEENKUlT_SJ_SK_SL_E_clIPiSE_SF_SF_EESI_SY_SJ_SK_SL_EUlSY_E1_NS1_11comp_targetILNS1_3genE5ELNS1_11target_archE942ELNS1_3gpuE9ELNS1_3repE0EEENS1_36merge_oddeven_config_static_selectorELNS0_4arch9wavefront6targetE0EEEvSK_.kd
    .uniform_work_group_size: 1
    .uses_dynamic_stack: false
    .vgpr_count:     0
    .vgpr_spill_count: 0
    .wavefront_size: 32
    .workgroup_processor_mode: 1
  - .args:
      - .offset:         0
        .size:           56
        .value_kind:     by_value
    .group_segment_fixed_size: 0
    .kernarg_segment_align: 8
    .kernarg_segment_size: 56
    .language:       OpenCL C
    .language_version:
      - 2
      - 0
    .max_flat_workgroup_size: 256
    .name:           _ZN7rocprim17ROCPRIM_400000_NS6detail17trampoline_kernelINS0_14default_configENS1_38merge_sort_block_merge_config_selectorIiNS0_10empty_typeEEEZZNS1_27merge_sort_block_merge_implIS3_N6thrust23THRUST_200600_302600_NS6detail15normal_iteratorINS9_10device_ptrIiEEEEPS5_m11less_div_10IiEEE10hipError_tT0_T1_T2_jT3_P12ihipStream_tbPNSt15iterator_traitsISJ_E10value_typeEPNSP_ISK_E10value_typeEPSL_NS1_7vsmem_tEENKUlT_SJ_SK_SL_E_clIPiSE_SF_SF_EESI_SY_SJ_SK_SL_EUlSY_E1_NS1_11comp_targetILNS1_3genE4ELNS1_11target_archE910ELNS1_3gpuE8ELNS1_3repE0EEENS1_36merge_oddeven_config_static_selectorELNS0_4arch9wavefront6targetE0EEEvSK_
    .private_segment_fixed_size: 0
    .sgpr_count:     0
    .sgpr_spill_count: 0
    .symbol:         _ZN7rocprim17ROCPRIM_400000_NS6detail17trampoline_kernelINS0_14default_configENS1_38merge_sort_block_merge_config_selectorIiNS0_10empty_typeEEEZZNS1_27merge_sort_block_merge_implIS3_N6thrust23THRUST_200600_302600_NS6detail15normal_iteratorINS9_10device_ptrIiEEEEPS5_m11less_div_10IiEEE10hipError_tT0_T1_T2_jT3_P12ihipStream_tbPNSt15iterator_traitsISJ_E10value_typeEPNSP_ISK_E10value_typeEPSL_NS1_7vsmem_tEENKUlT_SJ_SK_SL_E_clIPiSE_SF_SF_EESI_SY_SJ_SK_SL_EUlSY_E1_NS1_11comp_targetILNS1_3genE4ELNS1_11target_archE910ELNS1_3gpuE8ELNS1_3repE0EEENS1_36merge_oddeven_config_static_selectorELNS0_4arch9wavefront6targetE0EEEvSK_.kd
    .uniform_work_group_size: 1
    .uses_dynamic_stack: false
    .vgpr_count:     0
    .vgpr_spill_count: 0
    .wavefront_size: 32
    .workgroup_processor_mode: 1
  - .args:
      - .offset:         0
        .size:           56
        .value_kind:     by_value
    .group_segment_fixed_size: 0
    .kernarg_segment_align: 8
    .kernarg_segment_size: 56
    .language:       OpenCL C
    .language_version:
      - 2
      - 0
    .max_flat_workgroup_size: 256
    .name:           _ZN7rocprim17ROCPRIM_400000_NS6detail17trampoline_kernelINS0_14default_configENS1_38merge_sort_block_merge_config_selectorIiNS0_10empty_typeEEEZZNS1_27merge_sort_block_merge_implIS3_N6thrust23THRUST_200600_302600_NS6detail15normal_iteratorINS9_10device_ptrIiEEEEPS5_m11less_div_10IiEEE10hipError_tT0_T1_T2_jT3_P12ihipStream_tbPNSt15iterator_traitsISJ_E10value_typeEPNSP_ISK_E10value_typeEPSL_NS1_7vsmem_tEENKUlT_SJ_SK_SL_E_clIPiSE_SF_SF_EESI_SY_SJ_SK_SL_EUlSY_E1_NS1_11comp_targetILNS1_3genE3ELNS1_11target_archE908ELNS1_3gpuE7ELNS1_3repE0EEENS1_36merge_oddeven_config_static_selectorELNS0_4arch9wavefront6targetE0EEEvSK_
    .private_segment_fixed_size: 0
    .sgpr_count:     0
    .sgpr_spill_count: 0
    .symbol:         _ZN7rocprim17ROCPRIM_400000_NS6detail17trampoline_kernelINS0_14default_configENS1_38merge_sort_block_merge_config_selectorIiNS0_10empty_typeEEEZZNS1_27merge_sort_block_merge_implIS3_N6thrust23THRUST_200600_302600_NS6detail15normal_iteratorINS9_10device_ptrIiEEEEPS5_m11less_div_10IiEEE10hipError_tT0_T1_T2_jT3_P12ihipStream_tbPNSt15iterator_traitsISJ_E10value_typeEPNSP_ISK_E10value_typeEPSL_NS1_7vsmem_tEENKUlT_SJ_SK_SL_E_clIPiSE_SF_SF_EESI_SY_SJ_SK_SL_EUlSY_E1_NS1_11comp_targetILNS1_3genE3ELNS1_11target_archE908ELNS1_3gpuE7ELNS1_3repE0EEENS1_36merge_oddeven_config_static_selectorELNS0_4arch9wavefront6targetE0EEEvSK_.kd
    .uniform_work_group_size: 1
    .uses_dynamic_stack: false
    .vgpr_count:     0
    .vgpr_spill_count: 0
    .wavefront_size: 32
    .workgroup_processor_mode: 1
  - .args:
      - .offset:         0
        .size:           56
        .value_kind:     by_value
    .group_segment_fixed_size: 0
    .kernarg_segment_align: 8
    .kernarg_segment_size: 56
    .language:       OpenCL C
    .language_version:
      - 2
      - 0
    .max_flat_workgroup_size: 256
    .name:           _ZN7rocprim17ROCPRIM_400000_NS6detail17trampoline_kernelINS0_14default_configENS1_38merge_sort_block_merge_config_selectorIiNS0_10empty_typeEEEZZNS1_27merge_sort_block_merge_implIS3_N6thrust23THRUST_200600_302600_NS6detail15normal_iteratorINS9_10device_ptrIiEEEEPS5_m11less_div_10IiEEE10hipError_tT0_T1_T2_jT3_P12ihipStream_tbPNSt15iterator_traitsISJ_E10value_typeEPNSP_ISK_E10value_typeEPSL_NS1_7vsmem_tEENKUlT_SJ_SK_SL_E_clIPiSE_SF_SF_EESI_SY_SJ_SK_SL_EUlSY_E1_NS1_11comp_targetILNS1_3genE2ELNS1_11target_archE906ELNS1_3gpuE6ELNS1_3repE0EEENS1_36merge_oddeven_config_static_selectorELNS0_4arch9wavefront6targetE0EEEvSK_
    .private_segment_fixed_size: 0
    .sgpr_count:     0
    .sgpr_spill_count: 0
    .symbol:         _ZN7rocprim17ROCPRIM_400000_NS6detail17trampoline_kernelINS0_14default_configENS1_38merge_sort_block_merge_config_selectorIiNS0_10empty_typeEEEZZNS1_27merge_sort_block_merge_implIS3_N6thrust23THRUST_200600_302600_NS6detail15normal_iteratorINS9_10device_ptrIiEEEEPS5_m11less_div_10IiEEE10hipError_tT0_T1_T2_jT3_P12ihipStream_tbPNSt15iterator_traitsISJ_E10value_typeEPNSP_ISK_E10value_typeEPSL_NS1_7vsmem_tEENKUlT_SJ_SK_SL_E_clIPiSE_SF_SF_EESI_SY_SJ_SK_SL_EUlSY_E1_NS1_11comp_targetILNS1_3genE2ELNS1_11target_archE906ELNS1_3gpuE6ELNS1_3repE0EEENS1_36merge_oddeven_config_static_selectorELNS0_4arch9wavefront6targetE0EEEvSK_.kd
    .uniform_work_group_size: 1
    .uses_dynamic_stack: false
    .vgpr_count:     0
    .vgpr_spill_count: 0
    .wavefront_size: 32
    .workgroup_processor_mode: 1
  - .args:
      - .offset:         0
        .size:           56
        .value_kind:     by_value
    .group_segment_fixed_size: 0
    .kernarg_segment_align: 8
    .kernarg_segment_size: 56
    .language:       OpenCL C
    .language_version:
      - 2
      - 0
    .max_flat_workgroup_size: 256
    .name:           _ZN7rocprim17ROCPRIM_400000_NS6detail17trampoline_kernelINS0_14default_configENS1_38merge_sort_block_merge_config_selectorIiNS0_10empty_typeEEEZZNS1_27merge_sort_block_merge_implIS3_N6thrust23THRUST_200600_302600_NS6detail15normal_iteratorINS9_10device_ptrIiEEEEPS5_m11less_div_10IiEEE10hipError_tT0_T1_T2_jT3_P12ihipStream_tbPNSt15iterator_traitsISJ_E10value_typeEPNSP_ISK_E10value_typeEPSL_NS1_7vsmem_tEENKUlT_SJ_SK_SL_E_clIPiSE_SF_SF_EESI_SY_SJ_SK_SL_EUlSY_E1_NS1_11comp_targetILNS1_3genE9ELNS1_11target_archE1100ELNS1_3gpuE3ELNS1_3repE0EEENS1_36merge_oddeven_config_static_selectorELNS0_4arch9wavefront6targetE0EEEvSK_
    .private_segment_fixed_size: 0
    .sgpr_count:     0
    .sgpr_spill_count: 0
    .symbol:         _ZN7rocprim17ROCPRIM_400000_NS6detail17trampoline_kernelINS0_14default_configENS1_38merge_sort_block_merge_config_selectorIiNS0_10empty_typeEEEZZNS1_27merge_sort_block_merge_implIS3_N6thrust23THRUST_200600_302600_NS6detail15normal_iteratorINS9_10device_ptrIiEEEEPS5_m11less_div_10IiEEE10hipError_tT0_T1_T2_jT3_P12ihipStream_tbPNSt15iterator_traitsISJ_E10value_typeEPNSP_ISK_E10value_typeEPSL_NS1_7vsmem_tEENKUlT_SJ_SK_SL_E_clIPiSE_SF_SF_EESI_SY_SJ_SK_SL_EUlSY_E1_NS1_11comp_targetILNS1_3genE9ELNS1_11target_archE1100ELNS1_3gpuE3ELNS1_3repE0EEENS1_36merge_oddeven_config_static_selectorELNS0_4arch9wavefront6targetE0EEEvSK_.kd
    .uniform_work_group_size: 1
    .uses_dynamic_stack: false
    .vgpr_count:     0
    .vgpr_spill_count: 0
    .wavefront_size: 32
    .workgroup_processor_mode: 1
  - .args:
      - .offset:         0
        .size:           56
        .value_kind:     by_value
    .group_segment_fixed_size: 0
    .kernarg_segment_align: 8
    .kernarg_segment_size: 56
    .language:       OpenCL C
    .language_version:
      - 2
      - 0
    .max_flat_workgroup_size: 256
    .name:           _ZN7rocprim17ROCPRIM_400000_NS6detail17trampoline_kernelINS0_14default_configENS1_38merge_sort_block_merge_config_selectorIiNS0_10empty_typeEEEZZNS1_27merge_sort_block_merge_implIS3_N6thrust23THRUST_200600_302600_NS6detail15normal_iteratorINS9_10device_ptrIiEEEEPS5_m11less_div_10IiEEE10hipError_tT0_T1_T2_jT3_P12ihipStream_tbPNSt15iterator_traitsISJ_E10value_typeEPNSP_ISK_E10value_typeEPSL_NS1_7vsmem_tEENKUlT_SJ_SK_SL_E_clIPiSE_SF_SF_EESI_SY_SJ_SK_SL_EUlSY_E1_NS1_11comp_targetILNS1_3genE8ELNS1_11target_archE1030ELNS1_3gpuE2ELNS1_3repE0EEENS1_36merge_oddeven_config_static_selectorELNS0_4arch9wavefront6targetE0EEEvSK_
    .private_segment_fixed_size: 0
    .sgpr_count:     18
    .sgpr_spill_count: 0
    .symbol:         _ZN7rocprim17ROCPRIM_400000_NS6detail17trampoline_kernelINS0_14default_configENS1_38merge_sort_block_merge_config_selectorIiNS0_10empty_typeEEEZZNS1_27merge_sort_block_merge_implIS3_N6thrust23THRUST_200600_302600_NS6detail15normal_iteratorINS9_10device_ptrIiEEEEPS5_m11less_div_10IiEEE10hipError_tT0_T1_T2_jT3_P12ihipStream_tbPNSt15iterator_traitsISJ_E10value_typeEPNSP_ISK_E10value_typeEPSL_NS1_7vsmem_tEENKUlT_SJ_SK_SL_E_clIPiSE_SF_SF_EESI_SY_SJ_SK_SL_EUlSY_E1_NS1_11comp_targetILNS1_3genE8ELNS1_11target_archE1030ELNS1_3gpuE2ELNS1_3repE0EEENS1_36merge_oddeven_config_static_selectorELNS0_4arch9wavefront6targetE0EEEvSK_.kd
    .uniform_work_group_size: 1
    .uses_dynamic_stack: false
    .vgpr_count:     9
    .vgpr_spill_count: 0
    .wavefront_size: 32
    .workgroup_processor_mode: 1
  - .args:
      - .offset:         0
        .size:           48
        .value_kind:     by_value
    .group_segment_fixed_size: 0
    .kernarg_segment_align: 8
    .kernarg_segment_size: 48
    .language:       OpenCL C
    .language_version:
      - 2
      - 0
    .max_flat_workgroup_size: 128
    .name:           _ZN7rocprim17ROCPRIM_400000_NS6detail17trampoline_kernelINS0_14default_configENS1_38merge_sort_block_merge_config_selectorIiNS0_10empty_typeEEEZZNS1_27merge_sort_block_merge_implIS3_N6thrust23THRUST_200600_302600_NS6detail15normal_iteratorINS9_10device_ptrIiEEEEPS5_m11less_div_10IiEEE10hipError_tT0_T1_T2_jT3_P12ihipStream_tbPNSt15iterator_traitsISJ_E10value_typeEPNSP_ISK_E10value_typeEPSL_NS1_7vsmem_tEENKUlT_SJ_SK_SL_E_clISE_PiSF_SF_EESI_SY_SJ_SK_SL_EUlSY_E_NS1_11comp_targetILNS1_3genE0ELNS1_11target_archE4294967295ELNS1_3gpuE0ELNS1_3repE0EEENS1_48merge_mergepath_partition_config_static_selectorELNS0_4arch9wavefront6targetE0EEEvSK_
    .private_segment_fixed_size: 0
    .sgpr_count:     0
    .sgpr_spill_count: 0
    .symbol:         _ZN7rocprim17ROCPRIM_400000_NS6detail17trampoline_kernelINS0_14default_configENS1_38merge_sort_block_merge_config_selectorIiNS0_10empty_typeEEEZZNS1_27merge_sort_block_merge_implIS3_N6thrust23THRUST_200600_302600_NS6detail15normal_iteratorINS9_10device_ptrIiEEEEPS5_m11less_div_10IiEEE10hipError_tT0_T1_T2_jT3_P12ihipStream_tbPNSt15iterator_traitsISJ_E10value_typeEPNSP_ISK_E10value_typeEPSL_NS1_7vsmem_tEENKUlT_SJ_SK_SL_E_clISE_PiSF_SF_EESI_SY_SJ_SK_SL_EUlSY_E_NS1_11comp_targetILNS1_3genE0ELNS1_11target_archE4294967295ELNS1_3gpuE0ELNS1_3repE0EEENS1_48merge_mergepath_partition_config_static_selectorELNS0_4arch9wavefront6targetE0EEEvSK_.kd
    .uniform_work_group_size: 1
    .uses_dynamic_stack: false
    .vgpr_count:     0
    .vgpr_spill_count: 0
    .wavefront_size: 32
    .workgroup_processor_mode: 1
  - .args:
      - .offset:         0
        .size:           48
        .value_kind:     by_value
    .group_segment_fixed_size: 0
    .kernarg_segment_align: 8
    .kernarg_segment_size: 48
    .language:       OpenCL C
    .language_version:
      - 2
      - 0
    .max_flat_workgroup_size: 128
    .name:           _ZN7rocprim17ROCPRIM_400000_NS6detail17trampoline_kernelINS0_14default_configENS1_38merge_sort_block_merge_config_selectorIiNS0_10empty_typeEEEZZNS1_27merge_sort_block_merge_implIS3_N6thrust23THRUST_200600_302600_NS6detail15normal_iteratorINS9_10device_ptrIiEEEEPS5_m11less_div_10IiEEE10hipError_tT0_T1_T2_jT3_P12ihipStream_tbPNSt15iterator_traitsISJ_E10value_typeEPNSP_ISK_E10value_typeEPSL_NS1_7vsmem_tEENKUlT_SJ_SK_SL_E_clISE_PiSF_SF_EESI_SY_SJ_SK_SL_EUlSY_E_NS1_11comp_targetILNS1_3genE10ELNS1_11target_archE1201ELNS1_3gpuE5ELNS1_3repE0EEENS1_48merge_mergepath_partition_config_static_selectorELNS0_4arch9wavefront6targetE0EEEvSK_
    .private_segment_fixed_size: 0
    .sgpr_count:     0
    .sgpr_spill_count: 0
    .symbol:         _ZN7rocprim17ROCPRIM_400000_NS6detail17trampoline_kernelINS0_14default_configENS1_38merge_sort_block_merge_config_selectorIiNS0_10empty_typeEEEZZNS1_27merge_sort_block_merge_implIS3_N6thrust23THRUST_200600_302600_NS6detail15normal_iteratorINS9_10device_ptrIiEEEEPS5_m11less_div_10IiEEE10hipError_tT0_T1_T2_jT3_P12ihipStream_tbPNSt15iterator_traitsISJ_E10value_typeEPNSP_ISK_E10value_typeEPSL_NS1_7vsmem_tEENKUlT_SJ_SK_SL_E_clISE_PiSF_SF_EESI_SY_SJ_SK_SL_EUlSY_E_NS1_11comp_targetILNS1_3genE10ELNS1_11target_archE1201ELNS1_3gpuE5ELNS1_3repE0EEENS1_48merge_mergepath_partition_config_static_selectorELNS0_4arch9wavefront6targetE0EEEvSK_.kd
    .uniform_work_group_size: 1
    .uses_dynamic_stack: false
    .vgpr_count:     0
    .vgpr_spill_count: 0
    .wavefront_size: 32
    .workgroup_processor_mode: 1
  - .args:
      - .offset:         0
        .size:           48
        .value_kind:     by_value
    .group_segment_fixed_size: 0
    .kernarg_segment_align: 8
    .kernarg_segment_size: 48
    .language:       OpenCL C
    .language_version:
      - 2
      - 0
    .max_flat_workgroup_size: 128
    .name:           _ZN7rocprim17ROCPRIM_400000_NS6detail17trampoline_kernelINS0_14default_configENS1_38merge_sort_block_merge_config_selectorIiNS0_10empty_typeEEEZZNS1_27merge_sort_block_merge_implIS3_N6thrust23THRUST_200600_302600_NS6detail15normal_iteratorINS9_10device_ptrIiEEEEPS5_m11less_div_10IiEEE10hipError_tT0_T1_T2_jT3_P12ihipStream_tbPNSt15iterator_traitsISJ_E10value_typeEPNSP_ISK_E10value_typeEPSL_NS1_7vsmem_tEENKUlT_SJ_SK_SL_E_clISE_PiSF_SF_EESI_SY_SJ_SK_SL_EUlSY_E_NS1_11comp_targetILNS1_3genE5ELNS1_11target_archE942ELNS1_3gpuE9ELNS1_3repE0EEENS1_48merge_mergepath_partition_config_static_selectorELNS0_4arch9wavefront6targetE0EEEvSK_
    .private_segment_fixed_size: 0
    .sgpr_count:     0
    .sgpr_spill_count: 0
    .symbol:         _ZN7rocprim17ROCPRIM_400000_NS6detail17trampoline_kernelINS0_14default_configENS1_38merge_sort_block_merge_config_selectorIiNS0_10empty_typeEEEZZNS1_27merge_sort_block_merge_implIS3_N6thrust23THRUST_200600_302600_NS6detail15normal_iteratorINS9_10device_ptrIiEEEEPS5_m11less_div_10IiEEE10hipError_tT0_T1_T2_jT3_P12ihipStream_tbPNSt15iterator_traitsISJ_E10value_typeEPNSP_ISK_E10value_typeEPSL_NS1_7vsmem_tEENKUlT_SJ_SK_SL_E_clISE_PiSF_SF_EESI_SY_SJ_SK_SL_EUlSY_E_NS1_11comp_targetILNS1_3genE5ELNS1_11target_archE942ELNS1_3gpuE9ELNS1_3repE0EEENS1_48merge_mergepath_partition_config_static_selectorELNS0_4arch9wavefront6targetE0EEEvSK_.kd
    .uniform_work_group_size: 1
    .uses_dynamic_stack: false
    .vgpr_count:     0
    .vgpr_spill_count: 0
    .wavefront_size: 32
    .workgroup_processor_mode: 1
  - .args:
      - .offset:         0
        .size:           48
        .value_kind:     by_value
    .group_segment_fixed_size: 0
    .kernarg_segment_align: 8
    .kernarg_segment_size: 48
    .language:       OpenCL C
    .language_version:
      - 2
      - 0
    .max_flat_workgroup_size: 128
    .name:           _ZN7rocprim17ROCPRIM_400000_NS6detail17trampoline_kernelINS0_14default_configENS1_38merge_sort_block_merge_config_selectorIiNS0_10empty_typeEEEZZNS1_27merge_sort_block_merge_implIS3_N6thrust23THRUST_200600_302600_NS6detail15normal_iteratorINS9_10device_ptrIiEEEEPS5_m11less_div_10IiEEE10hipError_tT0_T1_T2_jT3_P12ihipStream_tbPNSt15iterator_traitsISJ_E10value_typeEPNSP_ISK_E10value_typeEPSL_NS1_7vsmem_tEENKUlT_SJ_SK_SL_E_clISE_PiSF_SF_EESI_SY_SJ_SK_SL_EUlSY_E_NS1_11comp_targetILNS1_3genE4ELNS1_11target_archE910ELNS1_3gpuE8ELNS1_3repE0EEENS1_48merge_mergepath_partition_config_static_selectorELNS0_4arch9wavefront6targetE0EEEvSK_
    .private_segment_fixed_size: 0
    .sgpr_count:     0
    .sgpr_spill_count: 0
    .symbol:         _ZN7rocprim17ROCPRIM_400000_NS6detail17trampoline_kernelINS0_14default_configENS1_38merge_sort_block_merge_config_selectorIiNS0_10empty_typeEEEZZNS1_27merge_sort_block_merge_implIS3_N6thrust23THRUST_200600_302600_NS6detail15normal_iteratorINS9_10device_ptrIiEEEEPS5_m11less_div_10IiEEE10hipError_tT0_T1_T2_jT3_P12ihipStream_tbPNSt15iterator_traitsISJ_E10value_typeEPNSP_ISK_E10value_typeEPSL_NS1_7vsmem_tEENKUlT_SJ_SK_SL_E_clISE_PiSF_SF_EESI_SY_SJ_SK_SL_EUlSY_E_NS1_11comp_targetILNS1_3genE4ELNS1_11target_archE910ELNS1_3gpuE8ELNS1_3repE0EEENS1_48merge_mergepath_partition_config_static_selectorELNS0_4arch9wavefront6targetE0EEEvSK_.kd
    .uniform_work_group_size: 1
    .uses_dynamic_stack: false
    .vgpr_count:     0
    .vgpr_spill_count: 0
    .wavefront_size: 32
    .workgroup_processor_mode: 1
  - .args:
      - .offset:         0
        .size:           48
        .value_kind:     by_value
    .group_segment_fixed_size: 0
    .kernarg_segment_align: 8
    .kernarg_segment_size: 48
    .language:       OpenCL C
    .language_version:
      - 2
      - 0
    .max_flat_workgroup_size: 128
    .name:           _ZN7rocprim17ROCPRIM_400000_NS6detail17trampoline_kernelINS0_14default_configENS1_38merge_sort_block_merge_config_selectorIiNS0_10empty_typeEEEZZNS1_27merge_sort_block_merge_implIS3_N6thrust23THRUST_200600_302600_NS6detail15normal_iteratorINS9_10device_ptrIiEEEEPS5_m11less_div_10IiEEE10hipError_tT0_T1_T2_jT3_P12ihipStream_tbPNSt15iterator_traitsISJ_E10value_typeEPNSP_ISK_E10value_typeEPSL_NS1_7vsmem_tEENKUlT_SJ_SK_SL_E_clISE_PiSF_SF_EESI_SY_SJ_SK_SL_EUlSY_E_NS1_11comp_targetILNS1_3genE3ELNS1_11target_archE908ELNS1_3gpuE7ELNS1_3repE0EEENS1_48merge_mergepath_partition_config_static_selectorELNS0_4arch9wavefront6targetE0EEEvSK_
    .private_segment_fixed_size: 0
    .sgpr_count:     0
    .sgpr_spill_count: 0
    .symbol:         _ZN7rocprim17ROCPRIM_400000_NS6detail17trampoline_kernelINS0_14default_configENS1_38merge_sort_block_merge_config_selectorIiNS0_10empty_typeEEEZZNS1_27merge_sort_block_merge_implIS3_N6thrust23THRUST_200600_302600_NS6detail15normal_iteratorINS9_10device_ptrIiEEEEPS5_m11less_div_10IiEEE10hipError_tT0_T1_T2_jT3_P12ihipStream_tbPNSt15iterator_traitsISJ_E10value_typeEPNSP_ISK_E10value_typeEPSL_NS1_7vsmem_tEENKUlT_SJ_SK_SL_E_clISE_PiSF_SF_EESI_SY_SJ_SK_SL_EUlSY_E_NS1_11comp_targetILNS1_3genE3ELNS1_11target_archE908ELNS1_3gpuE7ELNS1_3repE0EEENS1_48merge_mergepath_partition_config_static_selectorELNS0_4arch9wavefront6targetE0EEEvSK_.kd
    .uniform_work_group_size: 1
    .uses_dynamic_stack: false
    .vgpr_count:     0
    .vgpr_spill_count: 0
    .wavefront_size: 32
    .workgroup_processor_mode: 1
  - .args:
      - .offset:         0
        .size:           48
        .value_kind:     by_value
    .group_segment_fixed_size: 0
    .kernarg_segment_align: 8
    .kernarg_segment_size: 48
    .language:       OpenCL C
    .language_version:
      - 2
      - 0
    .max_flat_workgroup_size: 128
    .name:           _ZN7rocprim17ROCPRIM_400000_NS6detail17trampoline_kernelINS0_14default_configENS1_38merge_sort_block_merge_config_selectorIiNS0_10empty_typeEEEZZNS1_27merge_sort_block_merge_implIS3_N6thrust23THRUST_200600_302600_NS6detail15normal_iteratorINS9_10device_ptrIiEEEEPS5_m11less_div_10IiEEE10hipError_tT0_T1_T2_jT3_P12ihipStream_tbPNSt15iterator_traitsISJ_E10value_typeEPNSP_ISK_E10value_typeEPSL_NS1_7vsmem_tEENKUlT_SJ_SK_SL_E_clISE_PiSF_SF_EESI_SY_SJ_SK_SL_EUlSY_E_NS1_11comp_targetILNS1_3genE2ELNS1_11target_archE906ELNS1_3gpuE6ELNS1_3repE0EEENS1_48merge_mergepath_partition_config_static_selectorELNS0_4arch9wavefront6targetE0EEEvSK_
    .private_segment_fixed_size: 0
    .sgpr_count:     0
    .sgpr_spill_count: 0
    .symbol:         _ZN7rocprim17ROCPRIM_400000_NS6detail17trampoline_kernelINS0_14default_configENS1_38merge_sort_block_merge_config_selectorIiNS0_10empty_typeEEEZZNS1_27merge_sort_block_merge_implIS3_N6thrust23THRUST_200600_302600_NS6detail15normal_iteratorINS9_10device_ptrIiEEEEPS5_m11less_div_10IiEEE10hipError_tT0_T1_T2_jT3_P12ihipStream_tbPNSt15iterator_traitsISJ_E10value_typeEPNSP_ISK_E10value_typeEPSL_NS1_7vsmem_tEENKUlT_SJ_SK_SL_E_clISE_PiSF_SF_EESI_SY_SJ_SK_SL_EUlSY_E_NS1_11comp_targetILNS1_3genE2ELNS1_11target_archE906ELNS1_3gpuE6ELNS1_3repE0EEENS1_48merge_mergepath_partition_config_static_selectorELNS0_4arch9wavefront6targetE0EEEvSK_.kd
    .uniform_work_group_size: 1
    .uses_dynamic_stack: false
    .vgpr_count:     0
    .vgpr_spill_count: 0
    .wavefront_size: 32
    .workgroup_processor_mode: 1
  - .args:
      - .offset:         0
        .size:           48
        .value_kind:     by_value
    .group_segment_fixed_size: 0
    .kernarg_segment_align: 8
    .kernarg_segment_size: 48
    .language:       OpenCL C
    .language_version:
      - 2
      - 0
    .max_flat_workgroup_size: 128
    .name:           _ZN7rocprim17ROCPRIM_400000_NS6detail17trampoline_kernelINS0_14default_configENS1_38merge_sort_block_merge_config_selectorIiNS0_10empty_typeEEEZZNS1_27merge_sort_block_merge_implIS3_N6thrust23THRUST_200600_302600_NS6detail15normal_iteratorINS9_10device_ptrIiEEEEPS5_m11less_div_10IiEEE10hipError_tT0_T1_T2_jT3_P12ihipStream_tbPNSt15iterator_traitsISJ_E10value_typeEPNSP_ISK_E10value_typeEPSL_NS1_7vsmem_tEENKUlT_SJ_SK_SL_E_clISE_PiSF_SF_EESI_SY_SJ_SK_SL_EUlSY_E_NS1_11comp_targetILNS1_3genE9ELNS1_11target_archE1100ELNS1_3gpuE3ELNS1_3repE0EEENS1_48merge_mergepath_partition_config_static_selectorELNS0_4arch9wavefront6targetE0EEEvSK_
    .private_segment_fixed_size: 0
    .sgpr_count:     0
    .sgpr_spill_count: 0
    .symbol:         _ZN7rocprim17ROCPRIM_400000_NS6detail17trampoline_kernelINS0_14default_configENS1_38merge_sort_block_merge_config_selectorIiNS0_10empty_typeEEEZZNS1_27merge_sort_block_merge_implIS3_N6thrust23THRUST_200600_302600_NS6detail15normal_iteratorINS9_10device_ptrIiEEEEPS5_m11less_div_10IiEEE10hipError_tT0_T1_T2_jT3_P12ihipStream_tbPNSt15iterator_traitsISJ_E10value_typeEPNSP_ISK_E10value_typeEPSL_NS1_7vsmem_tEENKUlT_SJ_SK_SL_E_clISE_PiSF_SF_EESI_SY_SJ_SK_SL_EUlSY_E_NS1_11comp_targetILNS1_3genE9ELNS1_11target_archE1100ELNS1_3gpuE3ELNS1_3repE0EEENS1_48merge_mergepath_partition_config_static_selectorELNS0_4arch9wavefront6targetE0EEEvSK_.kd
    .uniform_work_group_size: 1
    .uses_dynamic_stack: false
    .vgpr_count:     0
    .vgpr_spill_count: 0
    .wavefront_size: 32
    .workgroup_processor_mode: 1
  - .args:
      - .offset:         0
        .size:           48
        .value_kind:     by_value
    .group_segment_fixed_size: 0
    .kernarg_segment_align: 8
    .kernarg_segment_size: 48
    .language:       OpenCL C
    .language_version:
      - 2
      - 0
    .max_flat_workgroup_size: 128
    .name:           _ZN7rocprim17ROCPRIM_400000_NS6detail17trampoline_kernelINS0_14default_configENS1_38merge_sort_block_merge_config_selectorIiNS0_10empty_typeEEEZZNS1_27merge_sort_block_merge_implIS3_N6thrust23THRUST_200600_302600_NS6detail15normal_iteratorINS9_10device_ptrIiEEEEPS5_m11less_div_10IiEEE10hipError_tT0_T1_T2_jT3_P12ihipStream_tbPNSt15iterator_traitsISJ_E10value_typeEPNSP_ISK_E10value_typeEPSL_NS1_7vsmem_tEENKUlT_SJ_SK_SL_E_clISE_PiSF_SF_EESI_SY_SJ_SK_SL_EUlSY_E_NS1_11comp_targetILNS1_3genE8ELNS1_11target_archE1030ELNS1_3gpuE2ELNS1_3repE0EEENS1_48merge_mergepath_partition_config_static_selectorELNS0_4arch9wavefront6targetE0EEEvSK_
    .private_segment_fixed_size: 0
    .sgpr_count:     10
    .sgpr_spill_count: 0
    .symbol:         _ZN7rocprim17ROCPRIM_400000_NS6detail17trampoline_kernelINS0_14default_configENS1_38merge_sort_block_merge_config_selectorIiNS0_10empty_typeEEEZZNS1_27merge_sort_block_merge_implIS3_N6thrust23THRUST_200600_302600_NS6detail15normal_iteratorINS9_10device_ptrIiEEEEPS5_m11less_div_10IiEEE10hipError_tT0_T1_T2_jT3_P12ihipStream_tbPNSt15iterator_traitsISJ_E10value_typeEPNSP_ISK_E10value_typeEPSL_NS1_7vsmem_tEENKUlT_SJ_SK_SL_E_clISE_PiSF_SF_EESI_SY_SJ_SK_SL_EUlSY_E_NS1_11comp_targetILNS1_3genE8ELNS1_11target_archE1030ELNS1_3gpuE2ELNS1_3repE0EEENS1_48merge_mergepath_partition_config_static_selectorELNS0_4arch9wavefront6targetE0EEEvSK_.kd
    .uniform_work_group_size: 1
    .uses_dynamic_stack: false
    .vgpr_count:     18
    .vgpr_spill_count: 0
    .wavefront_size: 32
    .workgroup_processor_mode: 1
  - .args:
      - .offset:         0
        .size:           72
        .value_kind:     by_value
    .group_segment_fixed_size: 0
    .kernarg_segment_align: 8
    .kernarg_segment_size: 72
    .language:       OpenCL C
    .language_version:
      - 2
      - 0
    .max_flat_workgroup_size: 128
    .name:           _ZN7rocprim17ROCPRIM_400000_NS6detail17trampoline_kernelINS0_14default_configENS1_38merge_sort_block_merge_config_selectorIiNS0_10empty_typeEEEZZNS1_27merge_sort_block_merge_implIS3_N6thrust23THRUST_200600_302600_NS6detail15normal_iteratorINS9_10device_ptrIiEEEEPS5_m11less_div_10IiEEE10hipError_tT0_T1_T2_jT3_P12ihipStream_tbPNSt15iterator_traitsISJ_E10value_typeEPNSP_ISK_E10value_typeEPSL_NS1_7vsmem_tEENKUlT_SJ_SK_SL_E_clISE_PiSF_SF_EESI_SY_SJ_SK_SL_EUlSY_E0_NS1_11comp_targetILNS1_3genE0ELNS1_11target_archE4294967295ELNS1_3gpuE0ELNS1_3repE0EEENS1_38merge_mergepath_config_static_selectorELNS0_4arch9wavefront6targetE0EEEvSK_
    .private_segment_fixed_size: 0
    .sgpr_count:     0
    .sgpr_spill_count: 0
    .symbol:         _ZN7rocprim17ROCPRIM_400000_NS6detail17trampoline_kernelINS0_14default_configENS1_38merge_sort_block_merge_config_selectorIiNS0_10empty_typeEEEZZNS1_27merge_sort_block_merge_implIS3_N6thrust23THRUST_200600_302600_NS6detail15normal_iteratorINS9_10device_ptrIiEEEEPS5_m11less_div_10IiEEE10hipError_tT0_T1_T2_jT3_P12ihipStream_tbPNSt15iterator_traitsISJ_E10value_typeEPNSP_ISK_E10value_typeEPSL_NS1_7vsmem_tEENKUlT_SJ_SK_SL_E_clISE_PiSF_SF_EESI_SY_SJ_SK_SL_EUlSY_E0_NS1_11comp_targetILNS1_3genE0ELNS1_11target_archE4294967295ELNS1_3gpuE0ELNS1_3repE0EEENS1_38merge_mergepath_config_static_selectorELNS0_4arch9wavefront6targetE0EEEvSK_.kd
    .uniform_work_group_size: 1
    .uses_dynamic_stack: false
    .vgpr_count:     0
    .vgpr_spill_count: 0
    .wavefront_size: 32
    .workgroup_processor_mode: 1
  - .args:
      - .offset:         0
        .size:           72
        .value_kind:     by_value
    .group_segment_fixed_size: 0
    .kernarg_segment_align: 8
    .kernarg_segment_size: 72
    .language:       OpenCL C
    .language_version:
      - 2
      - 0
    .max_flat_workgroup_size: 256
    .name:           _ZN7rocprim17ROCPRIM_400000_NS6detail17trampoline_kernelINS0_14default_configENS1_38merge_sort_block_merge_config_selectorIiNS0_10empty_typeEEEZZNS1_27merge_sort_block_merge_implIS3_N6thrust23THRUST_200600_302600_NS6detail15normal_iteratorINS9_10device_ptrIiEEEEPS5_m11less_div_10IiEEE10hipError_tT0_T1_T2_jT3_P12ihipStream_tbPNSt15iterator_traitsISJ_E10value_typeEPNSP_ISK_E10value_typeEPSL_NS1_7vsmem_tEENKUlT_SJ_SK_SL_E_clISE_PiSF_SF_EESI_SY_SJ_SK_SL_EUlSY_E0_NS1_11comp_targetILNS1_3genE10ELNS1_11target_archE1201ELNS1_3gpuE5ELNS1_3repE0EEENS1_38merge_mergepath_config_static_selectorELNS0_4arch9wavefront6targetE0EEEvSK_
    .private_segment_fixed_size: 0
    .sgpr_count:     0
    .sgpr_spill_count: 0
    .symbol:         _ZN7rocprim17ROCPRIM_400000_NS6detail17trampoline_kernelINS0_14default_configENS1_38merge_sort_block_merge_config_selectorIiNS0_10empty_typeEEEZZNS1_27merge_sort_block_merge_implIS3_N6thrust23THRUST_200600_302600_NS6detail15normal_iteratorINS9_10device_ptrIiEEEEPS5_m11less_div_10IiEEE10hipError_tT0_T1_T2_jT3_P12ihipStream_tbPNSt15iterator_traitsISJ_E10value_typeEPNSP_ISK_E10value_typeEPSL_NS1_7vsmem_tEENKUlT_SJ_SK_SL_E_clISE_PiSF_SF_EESI_SY_SJ_SK_SL_EUlSY_E0_NS1_11comp_targetILNS1_3genE10ELNS1_11target_archE1201ELNS1_3gpuE5ELNS1_3repE0EEENS1_38merge_mergepath_config_static_selectorELNS0_4arch9wavefront6targetE0EEEvSK_.kd
    .uniform_work_group_size: 1
    .uses_dynamic_stack: false
    .vgpr_count:     0
    .vgpr_spill_count: 0
    .wavefront_size: 32
    .workgroup_processor_mode: 1
  - .args:
      - .offset:         0
        .size:           72
        .value_kind:     by_value
    .group_segment_fixed_size: 0
    .kernarg_segment_align: 8
    .kernarg_segment_size: 72
    .language:       OpenCL C
    .language_version:
      - 2
      - 0
    .max_flat_workgroup_size: 128
    .name:           _ZN7rocprim17ROCPRIM_400000_NS6detail17trampoline_kernelINS0_14default_configENS1_38merge_sort_block_merge_config_selectorIiNS0_10empty_typeEEEZZNS1_27merge_sort_block_merge_implIS3_N6thrust23THRUST_200600_302600_NS6detail15normal_iteratorINS9_10device_ptrIiEEEEPS5_m11less_div_10IiEEE10hipError_tT0_T1_T2_jT3_P12ihipStream_tbPNSt15iterator_traitsISJ_E10value_typeEPNSP_ISK_E10value_typeEPSL_NS1_7vsmem_tEENKUlT_SJ_SK_SL_E_clISE_PiSF_SF_EESI_SY_SJ_SK_SL_EUlSY_E0_NS1_11comp_targetILNS1_3genE5ELNS1_11target_archE942ELNS1_3gpuE9ELNS1_3repE0EEENS1_38merge_mergepath_config_static_selectorELNS0_4arch9wavefront6targetE0EEEvSK_
    .private_segment_fixed_size: 0
    .sgpr_count:     0
    .sgpr_spill_count: 0
    .symbol:         _ZN7rocprim17ROCPRIM_400000_NS6detail17trampoline_kernelINS0_14default_configENS1_38merge_sort_block_merge_config_selectorIiNS0_10empty_typeEEEZZNS1_27merge_sort_block_merge_implIS3_N6thrust23THRUST_200600_302600_NS6detail15normal_iteratorINS9_10device_ptrIiEEEEPS5_m11less_div_10IiEEE10hipError_tT0_T1_T2_jT3_P12ihipStream_tbPNSt15iterator_traitsISJ_E10value_typeEPNSP_ISK_E10value_typeEPSL_NS1_7vsmem_tEENKUlT_SJ_SK_SL_E_clISE_PiSF_SF_EESI_SY_SJ_SK_SL_EUlSY_E0_NS1_11comp_targetILNS1_3genE5ELNS1_11target_archE942ELNS1_3gpuE9ELNS1_3repE0EEENS1_38merge_mergepath_config_static_selectorELNS0_4arch9wavefront6targetE0EEEvSK_.kd
    .uniform_work_group_size: 1
    .uses_dynamic_stack: false
    .vgpr_count:     0
    .vgpr_spill_count: 0
    .wavefront_size: 32
    .workgroup_processor_mode: 1
  - .args:
      - .offset:         0
        .size:           72
        .value_kind:     by_value
    .group_segment_fixed_size: 0
    .kernarg_segment_align: 8
    .kernarg_segment_size: 72
    .language:       OpenCL C
    .language_version:
      - 2
      - 0
    .max_flat_workgroup_size: 128
    .name:           _ZN7rocprim17ROCPRIM_400000_NS6detail17trampoline_kernelINS0_14default_configENS1_38merge_sort_block_merge_config_selectorIiNS0_10empty_typeEEEZZNS1_27merge_sort_block_merge_implIS3_N6thrust23THRUST_200600_302600_NS6detail15normal_iteratorINS9_10device_ptrIiEEEEPS5_m11less_div_10IiEEE10hipError_tT0_T1_T2_jT3_P12ihipStream_tbPNSt15iterator_traitsISJ_E10value_typeEPNSP_ISK_E10value_typeEPSL_NS1_7vsmem_tEENKUlT_SJ_SK_SL_E_clISE_PiSF_SF_EESI_SY_SJ_SK_SL_EUlSY_E0_NS1_11comp_targetILNS1_3genE4ELNS1_11target_archE910ELNS1_3gpuE8ELNS1_3repE0EEENS1_38merge_mergepath_config_static_selectorELNS0_4arch9wavefront6targetE0EEEvSK_
    .private_segment_fixed_size: 0
    .sgpr_count:     0
    .sgpr_spill_count: 0
    .symbol:         _ZN7rocprim17ROCPRIM_400000_NS6detail17trampoline_kernelINS0_14default_configENS1_38merge_sort_block_merge_config_selectorIiNS0_10empty_typeEEEZZNS1_27merge_sort_block_merge_implIS3_N6thrust23THRUST_200600_302600_NS6detail15normal_iteratorINS9_10device_ptrIiEEEEPS5_m11less_div_10IiEEE10hipError_tT0_T1_T2_jT3_P12ihipStream_tbPNSt15iterator_traitsISJ_E10value_typeEPNSP_ISK_E10value_typeEPSL_NS1_7vsmem_tEENKUlT_SJ_SK_SL_E_clISE_PiSF_SF_EESI_SY_SJ_SK_SL_EUlSY_E0_NS1_11comp_targetILNS1_3genE4ELNS1_11target_archE910ELNS1_3gpuE8ELNS1_3repE0EEENS1_38merge_mergepath_config_static_selectorELNS0_4arch9wavefront6targetE0EEEvSK_.kd
    .uniform_work_group_size: 1
    .uses_dynamic_stack: false
    .vgpr_count:     0
    .vgpr_spill_count: 0
    .wavefront_size: 32
    .workgroup_processor_mode: 1
  - .args:
      - .offset:         0
        .size:           72
        .value_kind:     by_value
    .group_segment_fixed_size: 0
    .kernarg_segment_align: 8
    .kernarg_segment_size: 72
    .language:       OpenCL C
    .language_version:
      - 2
      - 0
    .max_flat_workgroup_size: 128
    .name:           _ZN7rocprim17ROCPRIM_400000_NS6detail17trampoline_kernelINS0_14default_configENS1_38merge_sort_block_merge_config_selectorIiNS0_10empty_typeEEEZZNS1_27merge_sort_block_merge_implIS3_N6thrust23THRUST_200600_302600_NS6detail15normal_iteratorINS9_10device_ptrIiEEEEPS5_m11less_div_10IiEEE10hipError_tT0_T1_T2_jT3_P12ihipStream_tbPNSt15iterator_traitsISJ_E10value_typeEPNSP_ISK_E10value_typeEPSL_NS1_7vsmem_tEENKUlT_SJ_SK_SL_E_clISE_PiSF_SF_EESI_SY_SJ_SK_SL_EUlSY_E0_NS1_11comp_targetILNS1_3genE3ELNS1_11target_archE908ELNS1_3gpuE7ELNS1_3repE0EEENS1_38merge_mergepath_config_static_selectorELNS0_4arch9wavefront6targetE0EEEvSK_
    .private_segment_fixed_size: 0
    .sgpr_count:     0
    .sgpr_spill_count: 0
    .symbol:         _ZN7rocprim17ROCPRIM_400000_NS6detail17trampoline_kernelINS0_14default_configENS1_38merge_sort_block_merge_config_selectorIiNS0_10empty_typeEEEZZNS1_27merge_sort_block_merge_implIS3_N6thrust23THRUST_200600_302600_NS6detail15normal_iteratorINS9_10device_ptrIiEEEEPS5_m11less_div_10IiEEE10hipError_tT0_T1_T2_jT3_P12ihipStream_tbPNSt15iterator_traitsISJ_E10value_typeEPNSP_ISK_E10value_typeEPSL_NS1_7vsmem_tEENKUlT_SJ_SK_SL_E_clISE_PiSF_SF_EESI_SY_SJ_SK_SL_EUlSY_E0_NS1_11comp_targetILNS1_3genE3ELNS1_11target_archE908ELNS1_3gpuE7ELNS1_3repE0EEENS1_38merge_mergepath_config_static_selectorELNS0_4arch9wavefront6targetE0EEEvSK_.kd
    .uniform_work_group_size: 1
    .uses_dynamic_stack: false
    .vgpr_count:     0
    .vgpr_spill_count: 0
    .wavefront_size: 32
    .workgroup_processor_mode: 1
  - .args:
      - .offset:         0
        .size:           72
        .value_kind:     by_value
    .group_segment_fixed_size: 0
    .kernarg_segment_align: 8
    .kernarg_segment_size: 72
    .language:       OpenCL C
    .language_version:
      - 2
      - 0
    .max_flat_workgroup_size: 128
    .name:           _ZN7rocprim17ROCPRIM_400000_NS6detail17trampoline_kernelINS0_14default_configENS1_38merge_sort_block_merge_config_selectorIiNS0_10empty_typeEEEZZNS1_27merge_sort_block_merge_implIS3_N6thrust23THRUST_200600_302600_NS6detail15normal_iteratorINS9_10device_ptrIiEEEEPS5_m11less_div_10IiEEE10hipError_tT0_T1_T2_jT3_P12ihipStream_tbPNSt15iterator_traitsISJ_E10value_typeEPNSP_ISK_E10value_typeEPSL_NS1_7vsmem_tEENKUlT_SJ_SK_SL_E_clISE_PiSF_SF_EESI_SY_SJ_SK_SL_EUlSY_E0_NS1_11comp_targetILNS1_3genE2ELNS1_11target_archE906ELNS1_3gpuE6ELNS1_3repE0EEENS1_38merge_mergepath_config_static_selectorELNS0_4arch9wavefront6targetE0EEEvSK_
    .private_segment_fixed_size: 0
    .sgpr_count:     0
    .sgpr_spill_count: 0
    .symbol:         _ZN7rocprim17ROCPRIM_400000_NS6detail17trampoline_kernelINS0_14default_configENS1_38merge_sort_block_merge_config_selectorIiNS0_10empty_typeEEEZZNS1_27merge_sort_block_merge_implIS3_N6thrust23THRUST_200600_302600_NS6detail15normal_iteratorINS9_10device_ptrIiEEEEPS5_m11less_div_10IiEEE10hipError_tT0_T1_T2_jT3_P12ihipStream_tbPNSt15iterator_traitsISJ_E10value_typeEPNSP_ISK_E10value_typeEPSL_NS1_7vsmem_tEENKUlT_SJ_SK_SL_E_clISE_PiSF_SF_EESI_SY_SJ_SK_SL_EUlSY_E0_NS1_11comp_targetILNS1_3genE2ELNS1_11target_archE906ELNS1_3gpuE6ELNS1_3repE0EEENS1_38merge_mergepath_config_static_selectorELNS0_4arch9wavefront6targetE0EEEvSK_.kd
    .uniform_work_group_size: 1
    .uses_dynamic_stack: false
    .vgpr_count:     0
    .vgpr_spill_count: 0
    .wavefront_size: 32
    .workgroup_processor_mode: 1
  - .args:
      - .offset:         0
        .size:           72
        .value_kind:     by_value
    .group_segment_fixed_size: 0
    .kernarg_segment_align: 8
    .kernarg_segment_size: 72
    .language:       OpenCL C
    .language_version:
      - 2
      - 0
    .max_flat_workgroup_size: 256
    .name:           _ZN7rocprim17ROCPRIM_400000_NS6detail17trampoline_kernelINS0_14default_configENS1_38merge_sort_block_merge_config_selectorIiNS0_10empty_typeEEEZZNS1_27merge_sort_block_merge_implIS3_N6thrust23THRUST_200600_302600_NS6detail15normal_iteratorINS9_10device_ptrIiEEEEPS5_m11less_div_10IiEEE10hipError_tT0_T1_T2_jT3_P12ihipStream_tbPNSt15iterator_traitsISJ_E10value_typeEPNSP_ISK_E10value_typeEPSL_NS1_7vsmem_tEENKUlT_SJ_SK_SL_E_clISE_PiSF_SF_EESI_SY_SJ_SK_SL_EUlSY_E0_NS1_11comp_targetILNS1_3genE9ELNS1_11target_archE1100ELNS1_3gpuE3ELNS1_3repE0EEENS1_38merge_mergepath_config_static_selectorELNS0_4arch9wavefront6targetE0EEEvSK_
    .private_segment_fixed_size: 0
    .sgpr_count:     0
    .sgpr_spill_count: 0
    .symbol:         _ZN7rocprim17ROCPRIM_400000_NS6detail17trampoline_kernelINS0_14default_configENS1_38merge_sort_block_merge_config_selectorIiNS0_10empty_typeEEEZZNS1_27merge_sort_block_merge_implIS3_N6thrust23THRUST_200600_302600_NS6detail15normal_iteratorINS9_10device_ptrIiEEEEPS5_m11less_div_10IiEEE10hipError_tT0_T1_T2_jT3_P12ihipStream_tbPNSt15iterator_traitsISJ_E10value_typeEPNSP_ISK_E10value_typeEPSL_NS1_7vsmem_tEENKUlT_SJ_SK_SL_E_clISE_PiSF_SF_EESI_SY_SJ_SK_SL_EUlSY_E0_NS1_11comp_targetILNS1_3genE9ELNS1_11target_archE1100ELNS1_3gpuE3ELNS1_3repE0EEENS1_38merge_mergepath_config_static_selectorELNS0_4arch9wavefront6targetE0EEEvSK_.kd
    .uniform_work_group_size: 1
    .uses_dynamic_stack: false
    .vgpr_count:     0
    .vgpr_spill_count: 0
    .wavefront_size: 32
    .workgroup_processor_mode: 1
  - .args:
      - .offset:         0
        .size:           72
        .value_kind:     by_value
      - .offset:         72
        .size:           4
        .value_kind:     hidden_block_count_x
      - .offset:         76
        .size:           4
        .value_kind:     hidden_block_count_y
      - .offset:         80
        .size:           4
        .value_kind:     hidden_block_count_z
      - .offset:         84
        .size:           2
        .value_kind:     hidden_group_size_x
      - .offset:         86
        .size:           2
        .value_kind:     hidden_group_size_y
      - .offset:         88
        .size:           2
        .value_kind:     hidden_group_size_z
      - .offset:         90
        .size:           2
        .value_kind:     hidden_remainder_x
      - .offset:         92
        .size:           2
        .value_kind:     hidden_remainder_y
      - .offset:         94
        .size:           2
        .value_kind:     hidden_remainder_z
      - .offset:         112
        .size:           8
        .value_kind:     hidden_global_offset_x
      - .offset:         120
        .size:           8
        .value_kind:     hidden_global_offset_y
      - .offset:         128
        .size:           8
        .value_kind:     hidden_global_offset_z
      - .offset:         136
        .size:           2
        .value_kind:     hidden_grid_dims
    .group_segment_fixed_size: 4224
    .kernarg_segment_align: 8
    .kernarg_segment_size: 328
    .language:       OpenCL C
    .language_version:
      - 2
      - 0
    .max_flat_workgroup_size: 512
    .name:           _ZN7rocprim17ROCPRIM_400000_NS6detail17trampoline_kernelINS0_14default_configENS1_38merge_sort_block_merge_config_selectorIiNS0_10empty_typeEEEZZNS1_27merge_sort_block_merge_implIS3_N6thrust23THRUST_200600_302600_NS6detail15normal_iteratorINS9_10device_ptrIiEEEEPS5_m11less_div_10IiEEE10hipError_tT0_T1_T2_jT3_P12ihipStream_tbPNSt15iterator_traitsISJ_E10value_typeEPNSP_ISK_E10value_typeEPSL_NS1_7vsmem_tEENKUlT_SJ_SK_SL_E_clISE_PiSF_SF_EESI_SY_SJ_SK_SL_EUlSY_E0_NS1_11comp_targetILNS1_3genE8ELNS1_11target_archE1030ELNS1_3gpuE2ELNS1_3repE0EEENS1_38merge_mergepath_config_static_selectorELNS0_4arch9wavefront6targetE0EEEvSK_
    .private_segment_fixed_size: 0
    .sgpr_count:     33
    .sgpr_spill_count: 0
    .symbol:         _ZN7rocprim17ROCPRIM_400000_NS6detail17trampoline_kernelINS0_14default_configENS1_38merge_sort_block_merge_config_selectorIiNS0_10empty_typeEEEZZNS1_27merge_sort_block_merge_implIS3_N6thrust23THRUST_200600_302600_NS6detail15normal_iteratorINS9_10device_ptrIiEEEEPS5_m11less_div_10IiEEE10hipError_tT0_T1_T2_jT3_P12ihipStream_tbPNSt15iterator_traitsISJ_E10value_typeEPNSP_ISK_E10value_typeEPSL_NS1_7vsmem_tEENKUlT_SJ_SK_SL_E_clISE_PiSF_SF_EESI_SY_SJ_SK_SL_EUlSY_E0_NS1_11comp_targetILNS1_3genE8ELNS1_11target_archE1030ELNS1_3gpuE2ELNS1_3repE0EEENS1_38merge_mergepath_config_static_selectorELNS0_4arch9wavefront6targetE0EEEvSK_.kd
    .uniform_work_group_size: 1
    .uses_dynamic_stack: false
    .vgpr_count:     15
    .vgpr_spill_count: 0
    .wavefront_size: 32
    .workgroup_processor_mode: 1
  - .args:
      - .offset:         0
        .size:           56
        .value_kind:     by_value
    .group_segment_fixed_size: 0
    .kernarg_segment_align: 8
    .kernarg_segment_size: 56
    .language:       OpenCL C
    .language_version:
      - 2
      - 0
    .max_flat_workgroup_size: 256
    .name:           _ZN7rocprim17ROCPRIM_400000_NS6detail17trampoline_kernelINS0_14default_configENS1_38merge_sort_block_merge_config_selectorIiNS0_10empty_typeEEEZZNS1_27merge_sort_block_merge_implIS3_N6thrust23THRUST_200600_302600_NS6detail15normal_iteratorINS9_10device_ptrIiEEEEPS5_m11less_div_10IiEEE10hipError_tT0_T1_T2_jT3_P12ihipStream_tbPNSt15iterator_traitsISJ_E10value_typeEPNSP_ISK_E10value_typeEPSL_NS1_7vsmem_tEENKUlT_SJ_SK_SL_E_clISE_PiSF_SF_EESI_SY_SJ_SK_SL_EUlSY_E1_NS1_11comp_targetILNS1_3genE0ELNS1_11target_archE4294967295ELNS1_3gpuE0ELNS1_3repE0EEENS1_36merge_oddeven_config_static_selectorELNS0_4arch9wavefront6targetE0EEEvSK_
    .private_segment_fixed_size: 0
    .sgpr_count:     0
    .sgpr_spill_count: 0
    .symbol:         _ZN7rocprim17ROCPRIM_400000_NS6detail17trampoline_kernelINS0_14default_configENS1_38merge_sort_block_merge_config_selectorIiNS0_10empty_typeEEEZZNS1_27merge_sort_block_merge_implIS3_N6thrust23THRUST_200600_302600_NS6detail15normal_iteratorINS9_10device_ptrIiEEEEPS5_m11less_div_10IiEEE10hipError_tT0_T1_T2_jT3_P12ihipStream_tbPNSt15iterator_traitsISJ_E10value_typeEPNSP_ISK_E10value_typeEPSL_NS1_7vsmem_tEENKUlT_SJ_SK_SL_E_clISE_PiSF_SF_EESI_SY_SJ_SK_SL_EUlSY_E1_NS1_11comp_targetILNS1_3genE0ELNS1_11target_archE4294967295ELNS1_3gpuE0ELNS1_3repE0EEENS1_36merge_oddeven_config_static_selectorELNS0_4arch9wavefront6targetE0EEEvSK_.kd
    .uniform_work_group_size: 1
    .uses_dynamic_stack: false
    .vgpr_count:     0
    .vgpr_spill_count: 0
    .wavefront_size: 32
    .workgroup_processor_mode: 1
  - .args:
      - .offset:         0
        .size:           56
        .value_kind:     by_value
    .group_segment_fixed_size: 0
    .kernarg_segment_align: 8
    .kernarg_segment_size: 56
    .language:       OpenCL C
    .language_version:
      - 2
      - 0
    .max_flat_workgroup_size: 256
    .name:           _ZN7rocprim17ROCPRIM_400000_NS6detail17trampoline_kernelINS0_14default_configENS1_38merge_sort_block_merge_config_selectorIiNS0_10empty_typeEEEZZNS1_27merge_sort_block_merge_implIS3_N6thrust23THRUST_200600_302600_NS6detail15normal_iteratorINS9_10device_ptrIiEEEEPS5_m11less_div_10IiEEE10hipError_tT0_T1_T2_jT3_P12ihipStream_tbPNSt15iterator_traitsISJ_E10value_typeEPNSP_ISK_E10value_typeEPSL_NS1_7vsmem_tEENKUlT_SJ_SK_SL_E_clISE_PiSF_SF_EESI_SY_SJ_SK_SL_EUlSY_E1_NS1_11comp_targetILNS1_3genE10ELNS1_11target_archE1201ELNS1_3gpuE5ELNS1_3repE0EEENS1_36merge_oddeven_config_static_selectorELNS0_4arch9wavefront6targetE0EEEvSK_
    .private_segment_fixed_size: 0
    .sgpr_count:     0
    .sgpr_spill_count: 0
    .symbol:         _ZN7rocprim17ROCPRIM_400000_NS6detail17trampoline_kernelINS0_14default_configENS1_38merge_sort_block_merge_config_selectorIiNS0_10empty_typeEEEZZNS1_27merge_sort_block_merge_implIS3_N6thrust23THRUST_200600_302600_NS6detail15normal_iteratorINS9_10device_ptrIiEEEEPS5_m11less_div_10IiEEE10hipError_tT0_T1_T2_jT3_P12ihipStream_tbPNSt15iterator_traitsISJ_E10value_typeEPNSP_ISK_E10value_typeEPSL_NS1_7vsmem_tEENKUlT_SJ_SK_SL_E_clISE_PiSF_SF_EESI_SY_SJ_SK_SL_EUlSY_E1_NS1_11comp_targetILNS1_3genE10ELNS1_11target_archE1201ELNS1_3gpuE5ELNS1_3repE0EEENS1_36merge_oddeven_config_static_selectorELNS0_4arch9wavefront6targetE0EEEvSK_.kd
    .uniform_work_group_size: 1
    .uses_dynamic_stack: false
    .vgpr_count:     0
    .vgpr_spill_count: 0
    .wavefront_size: 32
    .workgroup_processor_mode: 1
  - .args:
      - .offset:         0
        .size:           56
        .value_kind:     by_value
    .group_segment_fixed_size: 0
    .kernarg_segment_align: 8
    .kernarg_segment_size: 56
    .language:       OpenCL C
    .language_version:
      - 2
      - 0
    .max_flat_workgroup_size: 256
    .name:           _ZN7rocprim17ROCPRIM_400000_NS6detail17trampoline_kernelINS0_14default_configENS1_38merge_sort_block_merge_config_selectorIiNS0_10empty_typeEEEZZNS1_27merge_sort_block_merge_implIS3_N6thrust23THRUST_200600_302600_NS6detail15normal_iteratorINS9_10device_ptrIiEEEEPS5_m11less_div_10IiEEE10hipError_tT0_T1_T2_jT3_P12ihipStream_tbPNSt15iterator_traitsISJ_E10value_typeEPNSP_ISK_E10value_typeEPSL_NS1_7vsmem_tEENKUlT_SJ_SK_SL_E_clISE_PiSF_SF_EESI_SY_SJ_SK_SL_EUlSY_E1_NS1_11comp_targetILNS1_3genE5ELNS1_11target_archE942ELNS1_3gpuE9ELNS1_3repE0EEENS1_36merge_oddeven_config_static_selectorELNS0_4arch9wavefront6targetE0EEEvSK_
    .private_segment_fixed_size: 0
    .sgpr_count:     0
    .sgpr_spill_count: 0
    .symbol:         _ZN7rocprim17ROCPRIM_400000_NS6detail17trampoline_kernelINS0_14default_configENS1_38merge_sort_block_merge_config_selectorIiNS0_10empty_typeEEEZZNS1_27merge_sort_block_merge_implIS3_N6thrust23THRUST_200600_302600_NS6detail15normal_iteratorINS9_10device_ptrIiEEEEPS5_m11less_div_10IiEEE10hipError_tT0_T1_T2_jT3_P12ihipStream_tbPNSt15iterator_traitsISJ_E10value_typeEPNSP_ISK_E10value_typeEPSL_NS1_7vsmem_tEENKUlT_SJ_SK_SL_E_clISE_PiSF_SF_EESI_SY_SJ_SK_SL_EUlSY_E1_NS1_11comp_targetILNS1_3genE5ELNS1_11target_archE942ELNS1_3gpuE9ELNS1_3repE0EEENS1_36merge_oddeven_config_static_selectorELNS0_4arch9wavefront6targetE0EEEvSK_.kd
    .uniform_work_group_size: 1
    .uses_dynamic_stack: false
    .vgpr_count:     0
    .vgpr_spill_count: 0
    .wavefront_size: 32
    .workgroup_processor_mode: 1
  - .args:
      - .offset:         0
        .size:           56
        .value_kind:     by_value
    .group_segment_fixed_size: 0
    .kernarg_segment_align: 8
    .kernarg_segment_size: 56
    .language:       OpenCL C
    .language_version:
      - 2
      - 0
    .max_flat_workgroup_size: 256
    .name:           _ZN7rocprim17ROCPRIM_400000_NS6detail17trampoline_kernelINS0_14default_configENS1_38merge_sort_block_merge_config_selectorIiNS0_10empty_typeEEEZZNS1_27merge_sort_block_merge_implIS3_N6thrust23THRUST_200600_302600_NS6detail15normal_iteratorINS9_10device_ptrIiEEEEPS5_m11less_div_10IiEEE10hipError_tT0_T1_T2_jT3_P12ihipStream_tbPNSt15iterator_traitsISJ_E10value_typeEPNSP_ISK_E10value_typeEPSL_NS1_7vsmem_tEENKUlT_SJ_SK_SL_E_clISE_PiSF_SF_EESI_SY_SJ_SK_SL_EUlSY_E1_NS1_11comp_targetILNS1_3genE4ELNS1_11target_archE910ELNS1_3gpuE8ELNS1_3repE0EEENS1_36merge_oddeven_config_static_selectorELNS0_4arch9wavefront6targetE0EEEvSK_
    .private_segment_fixed_size: 0
    .sgpr_count:     0
    .sgpr_spill_count: 0
    .symbol:         _ZN7rocprim17ROCPRIM_400000_NS6detail17trampoline_kernelINS0_14default_configENS1_38merge_sort_block_merge_config_selectorIiNS0_10empty_typeEEEZZNS1_27merge_sort_block_merge_implIS3_N6thrust23THRUST_200600_302600_NS6detail15normal_iteratorINS9_10device_ptrIiEEEEPS5_m11less_div_10IiEEE10hipError_tT0_T1_T2_jT3_P12ihipStream_tbPNSt15iterator_traitsISJ_E10value_typeEPNSP_ISK_E10value_typeEPSL_NS1_7vsmem_tEENKUlT_SJ_SK_SL_E_clISE_PiSF_SF_EESI_SY_SJ_SK_SL_EUlSY_E1_NS1_11comp_targetILNS1_3genE4ELNS1_11target_archE910ELNS1_3gpuE8ELNS1_3repE0EEENS1_36merge_oddeven_config_static_selectorELNS0_4arch9wavefront6targetE0EEEvSK_.kd
    .uniform_work_group_size: 1
    .uses_dynamic_stack: false
    .vgpr_count:     0
    .vgpr_spill_count: 0
    .wavefront_size: 32
    .workgroup_processor_mode: 1
  - .args:
      - .offset:         0
        .size:           56
        .value_kind:     by_value
    .group_segment_fixed_size: 0
    .kernarg_segment_align: 8
    .kernarg_segment_size: 56
    .language:       OpenCL C
    .language_version:
      - 2
      - 0
    .max_flat_workgroup_size: 256
    .name:           _ZN7rocprim17ROCPRIM_400000_NS6detail17trampoline_kernelINS0_14default_configENS1_38merge_sort_block_merge_config_selectorIiNS0_10empty_typeEEEZZNS1_27merge_sort_block_merge_implIS3_N6thrust23THRUST_200600_302600_NS6detail15normal_iteratorINS9_10device_ptrIiEEEEPS5_m11less_div_10IiEEE10hipError_tT0_T1_T2_jT3_P12ihipStream_tbPNSt15iterator_traitsISJ_E10value_typeEPNSP_ISK_E10value_typeEPSL_NS1_7vsmem_tEENKUlT_SJ_SK_SL_E_clISE_PiSF_SF_EESI_SY_SJ_SK_SL_EUlSY_E1_NS1_11comp_targetILNS1_3genE3ELNS1_11target_archE908ELNS1_3gpuE7ELNS1_3repE0EEENS1_36merge_oddeven_config_static_selectorELNS0_4arch9wavefront6targetE0EEEvSK_
    .private_segment_fixed_size: 0
    .sgpr_count:     0
    .sgpr_spill_count: 0
    .symbol:         _ZN7rocprim17ROCPRIM_400000_NS6detail17trampoline_kernelINS0_14default_configENS1_38merge_sort_block_merge_config_selectorIiNS0_10empty_typeEEEZZNS1_27merge_sort_block_merge_implIS3_N6thrust23THRUST_200600_302600_NS6detail15normal_iteratorINS9_10device_ptrIiEEEEPS5_m11less_div_10IiEEE10hipError_tT0_T1_T2_jT3_P12ihipStream_tbPNSt15iterator_traitsISJ_E10value_typeEPNSP_ISK_E10value_typeEPSL_NS1_7vsmem_tEENKUlT_SJ_SK_SL_E_clISE_PiSF_SF_EESI_SY_SJ_SK_SL_EUlSY_E1_NS1_11comp_targetILNS1_3genE3ELNS1_11target_archE908ELNS1_3gpuE7ELNS1_3repE0EEENS1_36merge_oddeven_config_static_selectorELNS0_4arch9wavefront6targetE0EEEvSK_.kd
    .uniform_work_group_size: 1
    .uses_dynamic_stack: false
    .vgpr_count:     0
    .vgpr_spill_count: 0
    .wavefront_size: 32
    .workgroup_processor_mode: 1
  - .args:
      - .offset:         0
        .size:           56
        .value_kind:     by_value
    .group_segment_fixed_size: 0
    .kernarg_segment_align: 8
    .kernarg_segment_size: 56
    .language:       OpenCL C
    .language_version:
      - 2
      - 0
    .max_flat_workgroup_size: 256
    .name:           _ZN7rocprim17ROCPRIM_400000_NS6detail17trampoline_kernelINS0_14default_configENS1_38merge_sort_block_merge_config_selectorIiNS0_10empty_typeEEEZZNS1_27merge_sort_block_merge_implIS3_N6thrust23THRUST_200600_302600_NS6detail15normal_iteratorINS9_10device_ptrIiEEEEPS5_m11less_div_10IiEEE10hipError_tT0_T1_T2_jT3_P12ihipStream_tbPNSt15iterator_traitsISJ_E10value_typeEPNSP_ISK_E10value_typeEPSL_NS1_7vsmem_tEENKUlT_SJ_SK_SL_E_clISE_PiSF_SF_EESI_SY_SJ_SK_SL_EUlSY_E1_NS1_11comp_targetILNS1_3genE2ELNS1_11target_archE906ELNS1_3gpuE6ELNS1_3repE0EEENS1_36merge_oddeven_config_static_selectorELNS0_4arch9wavefront6targetE0EEEvSK_
    .private_segment_fixed_size: 0
    .sgpr_count:     0
    .sgpr_spill_count: 0
    .symbol:         _ZN7rocprim17ROCPRIM_400000_NS6detail17trampoline_kernelINS0_14default_configENS1_38merge_sort_block_merge_config_selectorIiNS0_10empty_typeEEEZZNS1_27merge_sort_block_merge_implIS3_N6thrust23THRUST_200600_302600_NS6detail15normal_iteratorINS9_10device_ptrIiEEEEPS5_m11less_div_10IiEEE10hipError_tT0_T1_T2_jT3_P12ihipStream_tbPNSt15iterator_traitsISJ_E10value_typeEPNSP_ISK_E10value_typeEPSL_NS1_7vsmem_tEENKUlT_SJ_SK_SL_E_clISE_PiSF_SF_EESI_SY_SJ_SK_SL_EUlSY_E1_NS1_11comp_targetILNS1_3genE2ELNS1_11target_archE906ELNS1_3gpuE6ELNS1_3repE0EEENS1_36merge_oddeven_config_static_selectorELNS0_4arch9wavefront6targetE0EEEvSK_.kd
    .uniform_work_group_size: 1
    .uses_dynamic_stack: false
    .vgpr_count:     0
    .vgpr_spill_count: 0
    .wavefront_size: 32
    .workgroup_processor_mode: 1
  - .args:
      - .offset:         0
        .size:           56
        .value_kind:     by_value
    .group_segment_fixed_size: 0
    .kernarg_segment_align: 8
    .kernarg_segment_size: 56
    .language:       OpenCL C
    .language_version:
      - 2
      - 0
    .max_flat_workgroup_size: 256
    .name:           _ZN7rocprim17ROCPRIM_400000_NS6detail17trampoline_kernelINS0_14default_configENS1_38merge_sort_block_merge_config_selectorIiNS0_10empty_typeEEEZZNS1_27merge_sort_block_merge_implIS3_N6thrust23THRUST_200600_302600_NS6detail15normal_iteratorINS9_10device_ptrIiEEEEPS5_m11less_div_10IiEEE10hipError_tT0_T1_T2_jT3_P12ihipStream_tbPNSt15iterator_traitsISJ_E10value_typeEPNSP_ISK_E10value_typeEPSL_NS1_7vsmem_tEENKUlT_SJ_SK_SL_E_clISE_PiSF_SF_EESI_SY_SJ_SK_SL_EUlSY_E1_NS1_11comp_targetILNS1_3genE9ELNS1_11target_archE1100ELNS1_3gpuE3ELNS1_3repE0EEENS1_36merge_oddeven_config_static_selectorELNS0_4arch9wavefront6targetE0EEEvSK_
    .private_segment_fixed_size: 0
    .sgpr_count:     0
    .sgpr_spill_count: 0
    .symbol:         _ZN7rocprim17ROCPRIM_400000_NS6detail17trampoline_kernelINS0_14default_configENS1_38merge_sort_block_merge_config_selectorIiNS0_10empty_typeEEEZZNS1_27merge_sort_block_merge_implIS3_N6thrust23THRUST_200600_302600_NS6detail15normal_iteratorINS9_10device_ptrIiEEEEPS5_m11less_div_10IiEEE10hipError_tT0_T1_T2_jT3_P12ihipStream_tbPNSt15iterator_traitsISJ_E10value_typeEPNSP_ISK_E10value_typeEPSL_NS1_7vsmem_tEENKUlT_SJ_SK_SL_E_clISE_PiSF_SF_EESI_SY_SJ_SK_SL_EUlSY_E1_NS1_11comp_targetILNS1_3genE9ELNS1_11target_archE1100ELNS1_3gpuE3ELNS1_3repE0EEENS1_36merge_oddeven_config_static_selectorELNS0_4arch9wavefront6targetE0EEEvSK_.kd
    .uniform_work_group_size: 1
    .uses_dynamic_stack: false
    .vgpr_count:     0
    .vgpr_spill_count: 0
    .wavefront_size: 32
    .workgroup_processor_mode: 1
  - .args:
      - .offset:         0
        .size:           56
        .value_kind:     by_value
    .group_segment_fixed_size: 0
    .kernarg_segment_align: 8
    .kernarg_segment_size: 56
    .language:       OpenCL C
    .language_version:
      - 2
      - 0
    .max_flat_workgroup_size: 256
    .name:           _ZN7rocprim17ROCPRIM_400000_NS6detail17trampoline_kernelINS0_14default_configENS1_38merge_sort_block_merge_config_selectorIiNS0_10empty_typeEEEZZNS1_27merge_sort_block_merge_implIS3_N6thrust23THRUST_200600_302600_NS6detail15normal_iteratorINS9_10device_ptrIiEEEEPS5_m11less_div_10IiEEE10hipError_tT0_T1_T2_jT3_P12ihipStream_tbPNSt15iterator_traitsISJ_E10value_typeEPNSP_ISK_E10value_typeEPSL_NS1_7vsmem_tEENKUlT_SJ_SK_SL_E_clISE_PiSF_SF_EESI_SY_SJ_SK_SL_EUlSY_E1_NS1_11comp_targetILNS1_3genE8ELNS1_11target_archE1030ELNS1_3gpuE2ELNS1_3repE0EEENS1_36merge_oddeven_config_static_selectorELNS0_4arch9wavefront6targetE0EEEvSK_
    .private_segment_fixed_size: 0
    .sgpr_count:     18
    .sgpr_spill_count: 0
    .symbol:         _ZN7rocprim17ROCPRIM_400000_NS6detail17trampoline_kernelINS0_14default_configENS1_38merge_sort_block_merge_config_selectorIiNS0_10empty_typeEEEZZNS1_27merge_sort_block_merge_implIS3_N6thrust23THRUST_200600_302600_NS6detail15normal_iteratorINS9_10device_ptrIiEEEEPS5_m11less_div_10IiEEE10hipError_tT0_T1_T2_jT3_P12ihipStream_tbPNSt15iterator_traitsISJ_E10value_typeEPNSP_ISK_E10value_typeEPSL_NS1_7vsmem_tEENKUlT_SJ_SK_SL_E_clISE_PiSF_SF_EESI_SY_SJ_SK_SL_EUlSY_E1_NS1_11comp_targetILNS1_3genE8ELNS1_11target_archE1030ELNS1_3gpuE2ELNS1_3repE0EEENS1_36merge_oddeven_config_static_selectorELNS0_4arch9wavefront6targetE0EEEvSK_.kd
    .uniform_work_group_size: 1
    .uses_dynamic_stack: false
    .vgpr_count:     9
    .vgpr_spill_count: 0
    .wavefront_size: 32
    .workgroup_processor_mode: 1
  - .args:
      - .offset:         0
        .size:           40
        .value_kind:     by_value
    .group_segment_fixed_size: 0
    .kernarg_segment_align: 8
    .kernarg_segment_size: 40
    .language:       OpenCL C
    .language_version:
      - 2
      - 0
    .max_flat_workgroup_size: 128
    .name:           _ZN7rocprim17ROCPRIM_400000_NS6detail17trampoline_kernelINS0_14default_configENS1_25transform_config_selectorIiLb0EEEZNS1_14transform_implILb0ES3_S5_PiN6thrust23THRUST_200600_302600_NS6detail15normal_iteratorINS9_10device_ptrIiEEEENS0_8identityIiEEEE10hipError_tT2_T3_mT4_P12ihipStream_tbEUlT_E_NS1_11comp_targetILNS1_3genE0ELNS1_11target_archE4294967295ELNS1_3gpuE0ELNS1_3repE0EEENS1_30default_config_static_selectorELNS0_4arch9wavefront6targetE0EEEvT1_
    .private_segment_fixed_size: 0
    .sgpr_count:     0
    .sgpr_spill_count: 0
    .symbol:         _ZN7rocprim17ROCPRIM_400000_NS6detail17trampoline_kernelINS0_14default_configENS1_25transform_config_selectorIiLb0EEEZNS1_14transform_implILb0ES3_S5_PiN6thrust23THRUST_200600_302600_NS6detail15normal_iteratorINS9_10device_ptrIiEEEENS0_8identityIiEEEE10hipError_tT2_T3_mT4_P12ihipStream_tbEUlT_E_NS1_11comp_targetILNS1_3genE0ELNS1_11target_archE4294967295ELNS1_3gpuE0ELNS1_3repE0EEENS1_30default_config_static_selectorELNS0_4arch9wavefront6targetE0EEEvT1_.kd
    .uniform_work_group_size: 1
    .uses_dynamic_stack: false
    .vgpr_count:     0
    .vgpr_spill_count: 0
    .wavefront_size: 32
    .workgroup_processor_mode: 1
  - .args:
      - .offset:         0
        .size:           40
        .value_kind:     by_value
    .group_segment_fixed_size: 0
    .kernarg_segment_align: 8
    .kernarg_segment_size: 40
    .language:       OpenCL C
    .language_version:
      - 2
      - 0
    .max_flat_workgroup_size: 512
    .name:           _ZN7rocprim17ROCPRIM_400000_NS6detail17trampoline_kernelINS0_14default_configENS1_25transform_config_selectorIiLb0EEEZNS1_14transform_implILb0ES3_S5_PiN6thrust23THRUST_200600_302600_NS6detail15normal_iteratorINS9_10device_ptrIiEEEENS0_8identityIiEEEE10hipError_tT2_T3_mT4_P12ihipStream_tbEUlT_E_NS1_11comp_targetILNS1_3genE5ELNS1_11target_archE942ELNS1_3gpuE9ELNS1_3repE0EEENS1_30default_config_static_selectorELNS0_4arch9wavefront6targetE0EEEvT1_
    .private_segment_fixed_size: 0
    .sgpr_count:     0
    .sgpr_spill_count: 0
    .symbol:         _ZN7rocprim17ROCPRIM_400000_NS6detail17trampoline_kernelINS0_14default_configENS1_25transform_config_selectorIiLb0EEEZNS1_14transform_implILb0ES3_S5_PiN6thrust23THRUST_200600_302600_NS6detail15normal_iteratorINS9_10device_ptrIiEEEENS0_8identityIiEEEE10hipError_tT2_T3_mT4_P12ihipStream_tbEUlT_E_NS1_11comp_targetILNS1_3genE5ELNS1_11target_archE942ELNS1_3gpuE9ELNS1_3repE0EEENS1_30default_config_static_selectorELNS0_4arch9wavefront6targetE0EEEvT1_.kd
    .uniform_work_group_size: 1
    .uses_dynamic_stack: false
    .vgpr_count:     0
    .vgpr_spill_count: 0
    .wavefront_size: 32
    .workgroup_processor_mode: 1
  - .args:
      - .offset:         0
        .size:           40
        .value_kind:     by_value
    .group_segment_fixed_size: 0
    .kernarg_segment_align: 8
    .kernarg_segment_size: 40
    .language:       OpenCL C
    .language_version:
      - 2
      - 0
    .max_flat_workgroup_size: 1024
    .name:           _ZN7rocprim17ROCPRIM_400000_NS6detail17trampoline_kernelINS0_14default_configENS1_25transform_config_selectorIiLb0EEEZNS1_14transform_implILb0ES3_S5_PiN6thrust23THRUST_200600_302600_NS6detail15normal_iteratorINS9_10device_ptrIiEEEENS0_8identityIiEEEE10hipError_tT2_T3_mT4_P12ihipStream_tbEUlT_E_NS1_11comp_targetILNS1_3genE4ELNS1_11target_archE910ELNS1_3gpuE8ELNS1_3repE0EEENS1_30default_config_static_selectorELNS0_4arch9wavefront6targetE0EEEvT1_
    .private_segment_fixed_size: 0
    .sgpr_count:     0
    .sgpr_spill_count: 0
    .symbol:         _ZN7rocprim17ROCPRIM_400000_NS6detail17trampoline_kernelINS0_14default_configENS1_25transform_config_selectorIiLb0EEEZNS1_14transform_implILb0ES3_S5_PiN6thrust23THRUST_200600_302600_NS6detail15normal_iteratorINS9_10device_ptrIiEEEENS0_8identityIiEEEE10hipError_tT2_T3_mT4_P12ihipStream_tbEUlT_E_NS1_11comp_targetILNS1_3genE4ELNS1_11target_archE910ELNS1_3gpuE8ELNS1_3repE0EEENS1_30default_config_static_selectorELNS0_4arch9wavefront6targetE0EEEvT1_.kd
    .uniform_work_group_size: 1
    .uses_dynamic_stack: false
    .vgpr_count:     0
    .vgpr_spill_count: 0
    .wavefront_size: 32
    .workgroup_processor_mode: 1
  - .args:
      - .offset:         0
        .size:           40
        .value_kind:     by_value
    .group_segment_fixed_size: 0
    .kernarg_segment_align: 8
    .kernarg_segment_size: 40
    .language:       OpenCL C
    .language_version:
      - 2
      - 0
    .max_flat_workgroup_size: 128
    .name:           _ZN7rocprim17ROCPRIM_400000_NS6detail17trampoline_kernelINS0_14default_configENS1_25transform_config_selectorIiLb0EEEZNS1_14transform_implILb0ES3_S5_PiN6thrust23THRUST_200600_302600_NS6detail15normal_iteratorINS9_10device_ptrIiEEEENS0_8identityIiEEEE10hipError_tT2_T3_mT4_P12ihipStream_tbEUlT_E_NS1_11comp_targetILNS1_3genE3ELNS1_11target_archE908ELNS1_3gpuE7ELNS1_3repE0EEENS1_30default_config_static_selectorELNS0_4arch9wavefront6targetE0EEEvT1_
    .private_segment_fixed_size: 0
    .sgpr_count:     0
    .sgpr_spill_count: 0
    .symbol:         _ZN7rocprim17ROCPRIM_400000_NS6detail17trampoline_kernelINS0_14default_configENS1_25transform_config_selectorIiLb0EEEZNS1_14transform_implILb0ES3_S5_PiN6thrust23THRUST_200600_302600_NS6detail15normal_iteratorINS9_10device_ptrIiEEEENS0_8identityIiEEEE10hipError_tT2_T3_mT4_P12ihipStream_tbEUlT_E_NS1_11comp_targetILNS1_3genE3ELNS1_11target_archE908ELNS1_3gpuE7ELNS1_3repE0EEENS1_30default_config_static_selectorELNS0_4arch9wavefront6targetE0EEEvT1_.kd
    .uniform_work_group_size: 1
    .uses_dynamic_stack: false
    .vgpr_count:     0
    .vgpr_spill_count: 0
    .wavefront_size: 32
    .workgroup_processor_mode: 1
  - .args:
      - .offset:         0
        .size:           40
        .value_kind:     by_value
    .group_segment_fixed_size: 0
    .kernarg_segment_align: 8
    .kernarg_segment_size: 40
    .language:       OpenCL C
    .language_version:
      - 2
      - 0
    .max_flat_workgroup_size: 1024
    .name:           _ZN7rocprim17ROCPRIM_400000_NS6detail17trampoline_kernelINS0_14default_configENS1_25transform_config_selectorIiLb0EEEZNS1_14transform_implILb0ES3_S5_PiN6thrust23THRUST_200600_302600_NS6detail15normal_iteratorINS9_10device_ptrIiEEEENS0_8identityIiEEEE10hipError_tT2_T3_mT4_P12ihipStream_tbEUlT_E_NS1_11comp_targetILNS1_3genE2ELNS1_11target_archE906ELNS1_3gpuE6ELNS1_3repE0EEENS1_30default_config_static_selectorELNS0_4arch9wavefront6targetE0EEEvT1_
    .private_segment_fixed_size: 0
    .sgpr_count:     0
    .sgpr_spill_count: 0
    .symbol:         _ZN7rocprim17ROCPRIM_400000_NS6detail17trampoline_kernelINS0_14default_configENS1_25transform_config_selectorIiLb0EEEZNS1_14transform_implILb0ES3_S5_PiN6thrust23THRUST_200600_302600_NS6detail15normal_iteratorINS9_10device_ptrIiEEEENS0_8identityIiEEEE10hipError_tT2_T3_mT4_P12ihipStream_tbEUlT_E_NS1_11comp_targetILNS1_3genE2ELNS1_11target_archE906ELNS1_3gpuE6ELNS1_3repE0EEENS1_30default_config_static_selectorELNS0_4arch9wavefront6targetE0EEEvT1_.kd
    .uniform_work_group_size: 1
    .uses_dynamic_stack: false
    .vgpr_count:     0
    .vgpr_spill_count: 0
    .wavefront_size: 32
    .workgroup_processor_mode: 1
  - .args:
      - .offset:         0
        .size:           40
        .value_kind:     by_value
    .group_segment_fixed_size: 0
    .kernarg_segment_align: 8
    .kernarg_segment_size: 40
    .language:       OpenCL C
    .language_version:
      - 2
      - 0
    .max_flat_workgroup_size: 1024
    .name:           _ZN7rocprim17ROCPRIM_400000_NS6detail17trampoline_kernelINS0_14default_configENS1_25transform_config_selectorIiLb0EEEZNS1_14transform_implILb0ES3_S5_PiN6thrust23THRUST_200600_302600_NS6detail15normal_iteratorINS9_10device_ptrIiEEEENS0_8identityIiEEEE10hipError_tT2_T3_mT4_P12ihipStream_tbEUlT_E_NS1_11comp_targetILNS1_3genE10ELNS1_11target_archE1201ELNS1_3gpuE5ELNS1_3repE0EEENS1_30default_config_static_selectorELNS0_4arch9wavefront6targetE0EEEvT1_
    .private_segment_fixed_size: 0
    .sgpr_count:     0
    .sgpr_spill_count: 0
    .symbol:         _ZN7rocprim17ROCPRIM_400000_NS6detail17trampoline_kernelINS0_14default_configENS1_25transform_config_selectorIiLb0EEEZNS1_14transform_implILb0ES3_S5_PiN6thrust23THRUST_200600_302600_NS6detail15normal_iteratorINS9_10device_ptrIiEEEENS0_8identityIiEEEE10hipError_tT2_T3_mT4_P12ihipStream_tbEUlT_E_NS1_11comp_targetILNS1_3genE10ELNS1_11target_archE1201ELNS1_3gpuE5ELNS1_3repE0EEENS1_30default_config_static_selectorELNS0_4arch9wavefront6targetE0EEEvT1_.kd
    .uniform_work_group_size: 1
    .uses_dynamic_stack: false
    .vgpr_count:     0
    .vgpr_spill_count: 0
    .wavefront_size: 32
    .workgroup_processor_mode: 1
  - .args:
      - .offset:         0
        .size:           40
        .value_kind:     by_value
    .group_segment_fixed_size: 0
    .kernarg_segment_align: 8
    .kernarg_segment_size: 40
    .language:       OpenCL C
    .language_version:
      - 2
      - 0
    .max_flat_workgroup_size: 512
    .name:           _ZN7rocprim17ROCPRIM_400000_NS6detail17trampoline_kernelINS0_14default_configENS1_25transform_config_selectorIiLb0EEEZNS1_14transform_implILb0ES3_S5_PiN6thrust23THRUST_200600_302600_NS6detail15normal_iteratorINS9_10device_ptrIiEEEENS0_8identityIiEEEE10hipError_tT2_T3_mT4_P12ihipStream_tbEUlT_E_NS1_11comp_targetILNS1_3genE10ELNS1_11target_archE1200ELNS1_3gpuE4ELNS1_3repE0EEENS1_30default_config_static_selectorELNS0_4arch9wavefront6targetE0EEEvT1_
    .private_segment_fixed_size: 0
    .sgpr_count:     0
    .sgpr_spill_count: 0
    .symbol:         _ZN7rocprim17ROCPRIM_400000_NS6detail17trampoline_kernelINS0_14default_configENS1_25transform_config_selectorIiLb0EEEZNS1_14transform_implILb0ES3_S5_PiN6thrust23THRUST_200600_302600_NS6detail15normal_iteratorINS9_10device_ptrIiEEEENS0_8identityIiEEEE10hipError_tT2_T3_mT4_P12ihipStream_tbEUlT_E_NS1_11comp_targetILNS1_3genE10ELNS1_11target_archE1200ELNS1_3gpuE4ELNS1_3repE0EEENS1_30default_config_static_selectorELNS0_4arch9wavefront6targetE0EEEvT1_.kd
    .uniform_work_group_size: 1
    .uses_dynamic_stack: false
    .vgpr_count:     0
    .vgpr_spill_count: 0
    .wavefront_size: 32
    .workgroup_processor_mode: 1
  - .args:
      - .offset:         0
        .size:           40
        .value_kind:     by_value
    .group_segment_fixed_size: 0
    .kernarg_segment_align: 8
    .kernarg_segment_size: 40
    .language:       OpenCL C
    .language_version:
      - 2
      - 0
    .max_flat_workgroup_size: 64
    .name:           _ZN7rocprim17ROCPRIM_400000_NS6detail17trampoline_kernelINS0_14default_configENS1_25transform_config_selectorIiLb0EEEZNS1_14transform_implILb0ES3_S5_PiN6thrust23THRUST_200600_302600_NS6detail15normal_iteratorINS9_10device_ptrIiEEEENS0_8identityIiEEEE10hipError_tT2_T3_mT4_P12ihipStream_tbEUlT_E_NS1_11comp_targetILNS1_3genE9ELNS1_11target_archE1100ELNS1_3gpuE3ELNS1_3repE0EEENS1_30default_config_static_selectorELNS0_4arch9wavefront6targetE0EEEvT1_
    .private_segment_fixed_size: 0
    .sgpr_count:     0
    .sgpr_spill_count: 0
    .symbol:         _ZN7rocprim17ROCPRIM_400000_NS6detail17trampoline_kernelINS0_14default_configENS1_25transform_config_selectorIiLb0EEEZNS1_14transform_implILb0ES3_S5_PiN6thrust23THRUST_200600_302600_NS6detail15normal_iteratorINS9_10device_ptrIiEEEENS0_8identityIiEEEE10hipError_tT2_T3_mT4_P12ihipStream_tbEUlT_E_NS1_11comp_targetILNS1_3genE9ELNS1_11target_archE1100ELNS1_3gpuE3ELNS1_3repE0EEENS1_30default_config_static_selectorELNS0_4arch9wavefront6targetE0EEEvT1_.kd
    .uniform_work_group_size: 1
    .uses_dynamic_stack: false
    .vgpr_count:     0
    .vgpr_spill_count: 0
    .wavefront_size: 32
    .workgroup_processor_mode: 1
  - .args:
      - .offset:         0
        .size:           40
        .value_kind:     by_value
      - .offset:         40
        .size:           4
        .value_kind:     hidden_block_count_x
      - .offset:         44
        .size:           4
        .value_kind:     hidden_block_count_y
      - .offset:         48
        .size:           4
        .value_kind:     hidden_block_count_z
      - .offset:         52
        .size:           2
        .value_kind:     hidden_group_size_x
      - .offset:         54
        .size:           2
        .value_kind:     hidden_group_size_y
      - .offset:         56
        .size:           2
        .value_kind:     hidden_group_size_z
      - .offset:         58
        .size:           2
        .value_kind:     hidden_remainder_x
      - .offset:         60
        .size:           2
        .value_kind:     hidden_remainder_y
      - .offset:         62
        .size:           2
        .value_kind:     hidden_remainder_z
      - .offset:         80
        .size:           8
        .value_kind:     hidden_global_offset_x
      - .offset:         88
        .size:           8
        .value_kind:     hidden_global_offset_y
      - .offset:         96
        .size:           8
        .value_kind:     hidden_global_offset_z
      - .offset:         104
        .size:           2
        .value_kind:     hidden_grid_dims
    .group_segment_fixed_size: 0
    .kernarg_segment_align: 8
    .kernarg_segment_size: 296
    .language:       OpenCL C
    .language_version:
      - 2
      - 0
    .max_flat_workgroup_size: 256
    .name:           _ZN7rocprim17ROCPRIM_400000_NS6detail17trampoline_kernelINS0_14default_configENS1_25transform_config_selectorIiLb0EEEZNS1_14transform_implILb0ES3_S5_PiN6thrust23THRUST_200600_302600_NS6detail15normal_iteratorINS9_10device_ptrIiEEEENS0_8identityIiEEEE10hipError_tT2_T3_mT4_P12ihipStream_tbEUlT_E_NS1_11comp_targetILNS1_3genE8ELNS1_11target_archE1030ELNS1_3gpuE2ELNS1_3repE0EEENS1_30default_config_static_selectorELNS0_4arch9wavefront6targetE0EEEvT1_
    .private_segment_fixed_size: 0
    .sgpr_count:     14
    .sgpr_spill_count: 0
    .symbol:         _ZN7rocprim17ROCPRIM_400000_NS6detail17trampoline_kernelINS0_14default_configENS1_25transform_config_selectorIiLb0EEEZNS1_14transform_implILb0ES3_S5_PiN6thrust23THRUST_200600_302600_NS6detail15normal_iteratorINS9_10device_ptrIiEEEENS0_8identityIiEEEE10hipError_tT2_T3_mT4_P12ihipStream_tbEUlT_E_NS1_11comp_targetILNS1_3genE8ELNS1_11target_archE1030ELNS1_3gpuE2ELNS1_3repE0EEENS1_30default_config_static_selectorELNS0_4arch9wavefront6targetE0EEEvT1_.kd
    .uniform_work_group_size: 1
    .uses_dynamic_stack: false
    .vgpr_count:     3
    .vgpr_spill_count: 0
    .wavefront_size: 32
    .workgroup_processor_mode: 1
  - .args:
      - .offset:         0
        .size:           104
        .value_kind:     by_value
    .group_segment_fixed_size: 0
    .kernarg_segment_align: 8
    .kernarg_segment_size: 104
    .language:       OpenCL C
    .language_version:
      - 2
      - 0
    .max_flat_workgroup_size: 128
    .name:           _ZN7rocprim17ROCPRIM_400000_NS6detail17trampoline_kernelINS0_14default_configENS1_22reduce_config_selectorIN6thrust23THRUST_200600_302600_NS5tupleIblNS6_9null_typeES8_S8_S8_S8_S8_S8_S8_EEEEZNS1_11reduce_implILb1ES3_NS6_12zip_iteratorINS7_INS6_11hip_rocprim26transform_input_iterator_tIbNSD_35transform_pair_of_input_iterators_tIbNS6_6detail15normal_iteratorINS6_10device_ptrIKiEEEESL_NS6_8equal_toIiEEEENSG_9not_fun_tINSD_8identityEEEEENSD_19counting_iterator_tIlEES8_S8_S8_S8_S8_S8_S8_S8_EEEEPS9_S9_NSD_9__find_if7functorIS9_EEEE10hipError_tPvRmT1_T2_T3_mT4_P12ihipStream_tbEUlT_E0_NS1_11comp_targetILNS1_3genE0ELNS1_11target_archE4294967295ELNS1_3gpuE0ELNS1_3repE0EEENS1_30default_config_static_selectorELNS0_4arch9wavefront6targetE0EEEvS14_
    .private_segment_fixed_size: 0
    .sgpr_count:     0
    .sgpr_spill_count: 0
    .symbol:         _ZN7rocprim17ROCPRIM_400000_NS6detail17trampoline_kernelINS0_14default_configENS1_22reduce_config_selectorIN6thrust23THRUST_200600_302600_NS5tupleIblNS6_9null_typeES8_S8_S8_S8_S8_S8_S8_EEEEZNS1_11reduce_implILb1ES3_NS6_12zip_iteratorINS7_INS6_11hip_rocprim26transform_input_iterator_tIbNSD_35transform_pair_of_input_iterators_tIbNS6_6detail15normal_iteratorINS6_10device_ptrIKiEEEESL_NS6_8equal_toIiEEEENSG_9not_fun_tINSD_8identityEEEEENSD_19counting_iterator_tIlEES8_S8_S8_S8_S8_S8_S8_S8_EEEEPS9_S9_NSD_9__find_if7functorIS9_EEEE10hipError_tPvRmT1_T2_T3_mT4_P12ihipStream_tbEUlT_E0_NS1_11comp_targetILNS1_3genE0ELNS1_11target_archE4294967295ELNS1_3gpuE0ELNS1_3repE0EEENS1_30default_config_static_selectorELNS0_4arch9wavefront6targetE0EEEvS14_.kd
    .uniform_work_group_size: 1
    .uses_dynamic_stack: false
    .vgpr_count:     0
    .vgpr_spill_count: 0
    .wavefront_size: 32
    .workgroup_processor_mode: 1
  - .args:
      - .offset:         0
        .size:           104
        .value_kind:     by_value
    .group_segment_fixed_size: 0
    .kernarg_segment_align: 8
    .kernarg_segment_size: 104
    .language:       OpenCL C
    .language_version:
      - 2
      - 0
    .max_flat_workgroup_size: 256
    .name:           _ZN7rocprim17ROCPRIM_400000_NS6detail17trampoline_kernelINS0_14default_configENS1_22reduce_config_selectorIN6thrust23THRUST_200600_302600_NS5tupleIblNS6_9null_typeES8_S8_S8_S8_S8_S8_S8_EEEEZNS1_11reduce_implILb1ES3_NS6_12zip_iteratorINS7_INS6_11hip_rocprim26transform_input_iterator_tIbNSD_35transform_pair_of_input_iterators_tIbNS6_6detail15normal_iteratorINS6_10device_ptrIKiEEEESL_NS6_8equal_toIiEEEENSG_9not_fun_tINSD_8identityEEEEENSD_19counting_iterator_tIlEES8_S8_S8_S8_S8_S8_S8_S8_EEEEPS9_S9_NSD_9__find_if7functorIS9_EEEE10hipError_tPvRmT1_T2_T3_mT4_P12ihipStream_tbEUlT_E0_NS1_11comp_targetILNS1_3genE5ELNS1_11target_archE942ELNS1_3gpuE9ELNS1_3repE0EEENS1_30default_config_static_selectorELNS0_4arch9wavefront6targetE0EEEvS14_
    .private_segment_fixed_size: 0
    .sgpr_count:     0
    .sgpr_spill_count: 0
    .symbol:         _ZN7rocprim17ROCPRIM_400000_NS6detail17trampoline_kernelINS0_14default_configENS1_22reduce_config_selectorIN6thrust23THRUST_200600_302600_NS5tupleIblNS6_9null_typeES8_S8_S8_S8_S8_S8_S8_EEEEZNS1_11reduce_implILb1ES3_NS6_12zip_iteratorINS7_INS6_11hip_rocprim26transform_input_iterator_tIbNSD_35transform_pair_of_input_iterators_tIbNS6_6detail15normal_iteratorINS6_10device_ptrIKiEEEESL_NS6_8equal_toIiEEEENSG_9not_fun_tINSD_8identityEEEEENSD_19counting_iterator_tIlEES8_S8_S8_S8_S8_S8_S8_S8_EEEEPS9_S9_NSD_9__find_if7functorIS9_EEEE10hipError_tPvRmT1_T2_T3_mT4_P12ihipStream_tbEUlT_E0_NS1_11comp_targetILNS1_3genE5ELNS1_11target_archE942ELNS1_3gpuE9ELNS1_3repE0EEENS1_30default_config_static_selectorELNS0_4arch9wavefront6targetE0EEEvS14_.kd
    .uniform_work_group_size: 1
    .uses_dynamic_stack: false
    .vgpr_count:     0
    .vgpr_spill_count: 0
    .wavefront_size: 32
    .workgroup_processor_mode: 1
  - .args:
      - .offset:         0
        .size:           104
        .value_kind:     by_value
    .group_segment_fixed_size: 0
    .kernarg_segment_align: 8
    .kernarg_segment_size: 104
    .language:       OpenCL C
    .language_version:
      - 2
      - 0
    .max_flat_workgroup_size: 256
    .name:           _ZN7rocprim17ROCPRIM_400000_NS6detail17trampoline_kernelINS0_14default_configENS1_22reduce_config_selectorIN6thrust23THRUST_200600_302600_NS5tupleIblNS6_9null_typeES8_S8_S8_S8_S8_S8_S8_EEEEZNS1_11reduce_implILb1ES3_NS6_12zip_iteratorINS7_INS6_11hip_rocprim26transform_input_iterator_tIbNSD_35transform_pair_of_input_iterators_tIbNS6_6detail15normal_iteratorINS6_10device_ptrIKiEEEESL_NS6_8equal_toIiEEEENSG_9not_fun_tINSD_8identityEEEEENSD_19counting_iterator_tIlEES8_S8_S8_S8_S8_S8_S8_S8_EEEEPS9_S9_NSD_9__find_if7functorIS9_EEEE10hipError_tPvRmT1_T2_T3_mT4_P12ihipStream_tbEUlT_E0_NS1_11comp_targetILNS1_3genE4ELNS1_11target_archE910ELNS1_3gpuE8ELNS1_3repE0EEENS1_30default_config_static_selectorELNS0_4arch9wavefront6targetE0EEEvS14_
    .private_segment_fixed_size: 0
    .sgpr_count:     0
    .sgpr_spill_count: 0
    .symbol:         _ZN7rocprim17ROCPRIM_400000_NS6detail17trampoline_kernelINS0_14default_configENS1_22reduce_config_selectorIN6thrust23THRUST_200600_302600_NS5tupleIblNS6_9null_typeES8_S8_S8_S8_S8_S8_S8_EEEEZNS1_11reduce_implILb1ES3_NS6_12zip_iteratorINS7_INS6_11hip_rocprim26transform_input_iterator_tIbNSD_35transform_pair_of_input_iterators_tIbNS6_6detail15normal_iteratorINS6_10device_ptrIKiEEEESL_NS6_8equal_toIiEEEENSG_9not_fun_tINSD_8identityEEEEENSD_19counting_iterator_tIlEES8_S8_S8_S8_S8_S8_S8_S8_EEEEPS9_S9_NSD_9__find_if7functorIS9_EEEE10hipError_tPvRmT1_T2_T3_mT4_P12ihipStream_tbEUlT_E0_NS1_11comp_targetILNS1_3genE4ELNS1_11target_archE910ELNS1_3gpuE8ELNS1_3repE0EEENS1_30default_config_static_selectorELNS0_4arch9wavefront6targetE0EEEvS14_.kd
    .uniform_work_group_size: 1
    .uses_dynamic_stack: false
    .vgpr_count:     0
    .vgpr_spill_count: 0
    .wavefront_size: 32
    .workgroup_processor_mode: 1
  - .args:
      - .offset:         0
        .size:           104
        .value_kind:     by_value
    .group_segment_fixed_size: 0
    .kernarg_segment_align: 8
    .kernarg_segment_size: 104
    .language:       OpenCL C
    .language_version:
      - 2
      - 0
    .max_flat_workgroup_size: 128
    .name:           _ZN7rocprim17ROCPRIM_400000_NS6detail17trampoline_kernelINS0_14default_configENS1_22reduce_config_selectorIN6thrust23THRUST_200600_302600_NS5tupleIblNS6_9null_typeES8_S8_S8_S8_S8_S8_S8_EEEEZNS1_11reduce_implILb1ES3_NS6_12zip_iteratorINS7_INS6_11hip_rocprim26transform_input_iterator_tIbNSD_35transform_pair_of_input_iterators_tIbNS6_6detail15normal_iteratorINS6_10device_ptrIKiEEEESL_NS6_8equal_toIiEEEENSG_9not_fun_tINSD_8identityEEEEENSD_19counting_iterator_tIlEES8_S8_S8_S8_S8_S8_S8_S8_EEEEPS9_S9_NSD_9__find_if7functorIS9_EEEE10hipError_tPvRmT1_T2_T3_mT4_P12ihipStream_tbEUlT_E0_NS1_11comp_targetILNS1_3genE3ELNS1_11target_archE908ELNS1_3gpuE7ELNS1_3repE0EEENS1_30default_config_static_selectorELNS0_4arch9wavefront6targetE0EEEvS14_
    .private_segment_fixed_size: 0
    .sgpr_count:     0
    .sgpr_spill_count: 0
    .symbol:         _ZN7rocprim17ROCPRIM_400000_NS6detail17trampoline_kernelINS0_14default_configENS1_22reduce_config_selectorIN6thrust23THRUST_200600_302600_NS5tupleIblNS6_9null_typeES8_S8_S8_S8_S8_S8_S8_EEEEZNS1_11reduce_implILb1ES3_NS6_12zip_iteratorINS7_INS6_11hip_rocprim26transform_input_iterator_tIbNSD_35transform_pair_of_input_iterators_tIbNS6_6detail15normal_iteratorINS6_10device_ptrIKiEEEESL_NS6_8equal_toIiEEEENSG_9not_fun_tINSD_8identityEEEEENSD_19counting_iterator_tIlEES8_S8_S8_S8_S8_S8_S8_S8_EEEEPS9_S9_NSD_9__find_if7functorIS9_EEEE10hipError_tPvRmT1_T2_T3_mT4_P12ihipStream_tbEUlT_E0_NS1_11comp_targetILNS1_3genE3ELNS1_11target_archE908ELNS1_3gpuE7ELNS1_3repE0EEENS1_30default_config_static_selectorELNS0_4arch9wavefront6targetE0EEEvS14_.kd
    .uniform_work_group_size: 1
    .uses_dynamic_stack: false
    .vgpr_count:     0
    .vgpr_spill_count: 0
    .wavefront_size: 32
    .workgroup_processor_mode: 1
  - .args:
      - .offset:         0
        .size:           104
        .value_kind:     by_value
    .group_segment_fixed_size: 0
    .kernarg_segment_align: 8
    .kernarg_segment_size: 104
    .language:       OpenCL C
    .language_version:
      - 2
      - 0
    .max_flat_workgroup_size: 128
    .name:           _ZN7rocprim17ROCPRIM_400000_NS6detail17trampoline_kernelINS0_14default_configENS1_22reduce_config_selectorIN6thrust23THRUST_200600_302600_NS5tupleIblNS6_9null_typeES8_S8_S8_S8_S8_S8_S8_EEEEZNS1_11reduce_implILb1ES3_NS6_12zip_iteratorINS7_INS6_11hip_rocprim26transform_input_iterator_tIbNSD_35transform_pair_of_input_iterators_tIbNS6_6detail15normal_iteratorINS6_10device_ptrIKiEEEESL_NS6_8equal_toIiEEEENSG_9not_fun_tINSD_8identityEEEEENSD_19counting_iterator_tIlEES8_S8_S8_S8_S8_S8_S8_S8_EEEEPS9_S9_NSD_9__find_if7functorIS9_EEEE10hipError_tPvRmT1_T2_T3_mT4_P12ihipStream_tbEUlT_E0_NS1_11comp_targetILNS1_3genE2ELNS1_11target_archE906ELNS1_3gpuE6ELNS1_3repE0EEENS1_30default_config_static_selectorELNS0_4arch9wavefront6targetE0EEEvS14_
    .private_segment_fixed_size: 0
    .sgpr_count:     0
    .sgpr_spill_count: 0
    .symbol:         _ZN7rocprim17ROCPRIM_400000_NS6detail17trampoline_kernelINS0_14default_configENS1_22reduce_config_selectorIN6thrust23THRUST_200600_302600_NS5tupleIblNS6_9null_typeES8_S8_S8_S8_S8_S8_S8_EEEEZNS1_11reduce_implILb1ES3_NS6_12zip_iteratorINS7_INS6_11hip_rocprim26transform_input_iterator_tIbNSD_35transform_pair_of_input_iterators_tIbNS6_6detail15normal_iteratorINS6_10device_ptrIKiEEEESL_NS6_8equal_toIiEEEENSG_9not_fun_tINSD_8identityEEEEENSD_19counting_iterator_tIlEES8_S8_S8_S8_S8_S8_S8_S8_EEEEPS9_S9_NSD_9__find_if7functorIS9_EEEE10hipError_tPvRmT1_T2_T3_mT4_P12ihipStream_tbEUlT_E0_NS1_11comp_targetILNS1_3genE2ELNS1_11target_archE906ELNS1_3gpuE6ELNS1_3repE0EEENS1_30default_config_static_selectorELNS0_4arch9wavefront6targetE0EEEvS14_.kd
    .uniform_work_group_size: 1
    .uses_dynamic_stack: false
    .vgpr_count:     0
    .vgpr_spill_count: 0
    .wavefront_size: 32
    .workgroup_processor_mode: 1
  - .args:
      - .offset:         0
        .size:           104
        .value_kind:     by_value
    .group_segment_fixed_size: 0
    .kernarg_segment_align: 8
    .kernarg_segment_size: 104
    .language:       OpenCL C
    .language_version:
      - 2
      - 0
    .max_flat_workgroup_size: 256
    .name:           _ZN7rocprim17ROCPRIM_400000_NS6detail17trampoline_kernelINS0_14default_configENS1_22reduce_config_selectorIN6thrust23THRUST_200600_302600_NS5tupleIblNS6_9null_typeES8_S8_S8_S8_S8_S8_S8_EEEEZNS1_11reduce_implILb1ES3_NS6_12zip_iteratorINS7_INS6_11hip_rocprim26transform_input_iterator_tIbNSD_35transform_pair_of_input_iterators_tIbNS6_6detail15normal_iteratorINS6_10device_ptrIKiEEEESL_NS6_8equal_toIiEEEENSG_9not_fun_tINSD_8identityEEEEENSD_19counting_iterator_tIlEES8_S8_S8_S8_S8_S8_S8_S8_EEEEPS9_S9_NSD_9__find_if7functorIS9_EEEE10hipError_tPvRmT1_T2_T3_mT4_P12ihipStream_tbEUlT_E0_NS1_11comp_targetILNS1_3genE10ELNS1_11target_archE1201ELNS1_3gpuE5ELNS1_3repE0EEENS1_30default_config_static_selectorELNS0_4arch9wavefront6targetE0EEEvS14_
    .private_segment_fixed_size: 0
    .sgpr_count:     0
    .sgpr_spill_count: 0
    .symbol:         _ZN7rocprim17ROCPRIM_400000_NS6detail17trampoline_kernelINS0_14default_configENS1_22reduce_config_selectorIN6thrust23THRUST_200600_302600_NS5tupleIblNS6_9null_typeES8_S8_S8_S8_S8_S8_S8_EEEEZNS1_11reduce_implILb1ES3_NS6_12zip_iteratorINS7_INS6_11hip_rocprim26transform_input_iterator_tIbNSD_35transform_pair_of_input_iterators_tIbNS6_6detail15normal_iteratorINS6_10device_ptrIKiEEEESL_NS6_8equal_toIiEEEENSG_9not_fun_tINSD_8identityEEEEENSD_19counting_iterator_tIlEES8_S8_S8_S8_S8_S8_S8_S8_EEEEPS9_S9_NSD_9__find_if7functorIS9_EEEE10hipError_tPvRmT1_T2_T3_mT4_P12ihipStream_tbEUlT_E0_NS1_11comp_targetILNS1_3genE10ELNS1_11target_archE1201ELNS1_3gpuE5ELNS1_3repE0EEENS1_30default_config_static_selectorELNS0_4arch9wavefront6targetE0EEEvS14_.kd
    .uniform_work_group_size: 1
    .uses_dynamic_stack: false
    .vgpr_count:     0
    .vgpr_spill_count: 0
    .wavefront_size: 32
    .workgroup_processor_mode: 1
  - .args:
      - .offset:         0
        .size:           104
        .value_kind:     by_value
    .group_segment_fixed_size: 0
    .kernarg_segment_align: 8
    .kernarg_segment_size: 104
    .language:       OpenCL C
    .language_version:
      - 2
      - 0
    .max_flat_workgroup_size: 256
    .name:           _ZN7rocprim17ROCPRIM_400000_NS6detail17trampoline_kernelINS0_14default_configENS1_22reduce_config_selectorIN6thrust23THRUST_200600_302600_NS5tupleIblNS6_9null_typeES8_S8_S8_S8_S8_S8_S8_EEEEZNS1_11reduce_implILb1ES3_NS6_12zip_iteratorINS7_INS6_11hip_rocprim26transform_input_iterator_tIbNSD_35transform_pair_of_input_iterators_tIbNS6_6detail15normal_iteratorINS6_10device_ptrIKiEEEESL_NS6_8equal_toIiEEEENSG_9not_fun_tINSD_8identityEEEEENSD_19counting_iterator_tIlEES8_S8_S8_S8_S8_S8_S8_S8_EEEEPS9_S9_NSD_9__find_if7functorIS9_EEEE10hipError_tPvRmT1_T2_T3_mT4_P12ihipStream_tbEUlT_E0_NS1_11comp_targetILNS1_3genE10ELNS1_11target_archE1200ELNS1_3gpuE4ELNS1_3repE0EEENS1_30default_config_static_selectorELNS0_4arch9wavefront6targetE0EEEvS14_
    .private_segment_fixed_size: 0
    .sgpr_count:     0
    .sgpr_spill_count: 0
    .symbol:         _ZN7rocprim17ROCPRIM_400000_NS6detail17trampoline_kernelINS0_14default_configENS1_22reduce_config_selectorIN6thrust23THRUST_200600_302600_NS5tupleIblNS6_9null_typeES8_S8_S8_S8_S8_S8_S8_EEEEZNS1_11reduce_implILb1ES3_NS6_12zip_iteratorINS7_INS6_11hip_rocprim26transform_input_iterator_tIbNSD_35transform_pair_of_input_iterators_tIbNS6_6detail15normal_iteratorINS6_10device_ptrIKiEEEESL_NS6_8equal_toIiEEEENSG_9not_fun_tINSD_8identityEEEEENSD_19counting_iterator_tIlEES8_S8_S8_S8_S8_S8_S8_S8_EEEEPS9_S9_NSD_9__find_if7functorIS9_EEEE10hipError_tPvRmT1_T2_T3_mT4_P12ihipStream_tbEUlT_E0_NS1_11comp_targetILNS1_3genE10ELNS1_11target_archE1200ELNS1_3gpuE4ELNS1_3repE0EEENS1_30default_config_static_selectorELNS0_4arch9wavefront6targetE0EEEvS14_.kd
    .uniform_work_group_size: 1
    .uses_dynamic_stack: false
    .vgpr_count:     0
    .vgpr_spill_count: 0
    .wavefront_size: 32
    .workgroup_processor_mode: 1
  - .args:
      - .offset:         0
        .size:           104
        .value_kind:     by_value
    .group_segment_fixed_size: 0
    .kernarg_segment_align: 8
    .kernarg_segment_size: 104
    .language:       OpenCL C
    .language_version:
      - 2
      - 0
    .max_flat_workgroup_size: 256
    .name:           _ZN7rocprim17ROCPRIM_400000_NS6detail17trampoline_kernelINS0_14default_configENS1_22reduce_config_selectorIN6thrust23THRUST_200600_302600_NS5tupleIblNS6_9null_typeES8_S8_S8_S8_S8_S8_S8_EEEEZNS1_11reduce_implILb1ES3_NS6_12zip_iteratorINS7_INS6_11hip_rocprim26transform_input_iterator_tIbNSD_35transform_pair_of_input_iterators_tIbNS6_6detail15normal_iteratorINS6_10device_ptrIKiEEEESL_NS6_8equal_toIiEEEENSG_9not_fun_tINSD_8identityEEEEENSD_19counting_iterator_tIlEES8_S8_S8_S8_S8_S8_S8_S8_EEEEPS9_S9_NSD_9__find_if7functorIS9_EEEE10hipError_tPvRmT1_T2_T3_mT4_P12ihipStream_tbEUlT_E0_NS1_11comp_targetILNS1_3genE9ELNS1_11target_archE1100ELNS1_3gpuE3ELNS1_3repE0EEENS1_30default_config_static_selectorELNS0_4arch9wavefront6targetE0EEEvS14_
    .private_segment_fixed_size: 0
    .sgpr_count:     0
    .sgpr_spill_count: 0
    .symbol:         _ZN7rocprim17ROCPRIM_400000_NS6detail17trampoline_kernelINS0_14default_configENS1_22reduce_config_selectorIN6thrust23THRUST_200600_302600_NS5tupleIblNS6_9null_typeES8_S8_S8_S8_S8_S8_S8_EEEEZNS1_11reduce_implILb1ES3_NS6_12zip_iteratorINS7_INS6_11hip_rocprim26transform_input_iterator_tIbNSD_35transform_pair_of_input_iterators_tIbNS6_6detail15normal_iteratorINS6_10device_ptrIKiEEEESL_NS6_8equal_toIiEEEENSG_9not_fun_tINSD_8identityEEEEENSD_19counting_iterator_tIlEES8_S8_S8_S8_S8_S8_S8_S8_EEEEPS9_S9_NSD_9__find_if7functorIS9_EEEE10hipError_tPvRmT1_T2_T3_mT4_P12ihipStream_tbEUlT_E0_NS1_11comp_targetILNS1_3genE9ELNS1_11target_archE1100ELNS1_3gpuE3ELNS1_3repE0EEENS1_30default_config_static_selectorELNS0_4arch9wavefront6targetE0EEEvS14_.kd
    .uniform_work_group_size: 1
    .uses_dynamic_stack: false
    .vgpr_count:     0
    .vgpr_spill_count: 0
    .wavefront_size: 32
    .workgroup_processor_mode: 1
  - .args:
      - .offset:         0
        .size:           104
        .value_kind:     by_value
    .group_segment_fixed_size: 256
    .kernarg_segment_align: 8
    .kernarg_segment_size: 104
    .language:       OpenCL C
    .language_version:
      - 2
      - 0
    .max_flat_workgroup_size: 256
    .name:           _ZN7rocprim17ROCPRIM_400000_NS6detail17trampoline_kernelINS0_14default_configENS1_22reduce_config_selectorIN6thrust23THRUST_200600_302600_NS5tupleIblNS6_9null_typeES8_S8_S8_S8_S8_S8_S8_EEEEZNS1_11reduce_implILb1ES3_NS6_12zip_iteratorINS7_INS6_11hip_rocprim26transform_input_iterator_tIbNSD_35transform_pair_of_input_iterators_tIbNS6_6detail15normal_iteratorINS6_10device_ptrIKiEEEESL_NS6_8equal_toIiEEEENSG_9not_fun_tINSD_8identityEEEEENSD_19counting_iterator_tIlEES8_S8_S8_S8_S8_S8_S8_S8_EEEEPS9_S9_NSD_9__find_if7functorIS9_EEEE10hipError_tPvRmT1_T2_T3_mT4_P12ihipStream_tbEUlT_E0_NS1_11comp_targetILNS1_3genE8ELNS1_11target_archE1030ELNS1_3gpuE2ELNS1_3repE0EEENS1_30default_config_static_selectorELNS0_4arch9wavefront6targetE0EEEvS14_
    .private_segment_fixed_size: 0
    .sgpr_count:     30
    .sgpr_spill_count: 0
    .symbol:         _ZN7rocprim17ROCPRIM_400000_NS6detail17trampoline_kernelINS0_14default_configENS1_22reduce_config_selectorIN6thrust23THRUST_200600_302600_NS5tupleIblNS6_9null_typeES8_S8_S8_S8_S8_S8_S8_EEEEZNS1_11reduce_implILb1ES3_NS6_12zip_iteratorINS7_INS6_11hip_rocprim26transform_input_iterator_tIbNSD_35transform_pair_of_input_iterators_tIbNS6_6detail15normal_iteratorINS6_10device_ptrIKiEEEESL_NS6_8equal_toIiEEEENSG_9not_fun_tINSD_8identityEEEEENSD_19counting_iterator_tIlEES8_S8_S8_S8_S8_S8_S8_S8_EEEEPS9_S9_NSD_9__find_if7functorIS9_EEEE10hipError_tPvRmT1_T2_T3_mT4_P12ihipStream_tbEUlT_E0_NS1_11comp_targetILNS1_3genE8ELNS1_11target_archE1030ELNS1_3gpuE2ELNS1_3repE0EEENS1_30default_config_static_selectorELNS0_4arch9wavefront6targetE0EEEvS14_.kd
    .uniform_work_group_size: 1
    .uses_dynamic_stack: false
    .vgpr_count:     13
    .vgpr_spill_count: 0
    .wavefront_size: 32
    .workgroup_processor_mode: 1
  - .args:
      - .offset:         0
        .size:           88
        .value_kind:     by_value
    .group_segment_fixed_size: 0
    .kernarg_segment_align: 8
    .kernarg_segment_size: 88
    .language:       OpenCL C
    .language_version:
      - 2
      - 0
    .max_flat_workgroup_size: 128
    .name:           _ZN7rocprim17ROCPRIM_400000_NS6detail17trampoline_kernelINS0_14default_configENS1_22reduce_config_selectorIN6thrust23THRUST_200600_302600_NS5tupleIblNS6_9null_typeES8_S8_S8_S8_S8_S8_S8_EEEEZNS1_11reduce_implILb1ES3_NS6_12zip_iteratorINS7_INS6_11hip_rocprim26transform_input_iterator_tIbNSD_35transform_pair_of_input_iterators_tIbNS6_6detail15normal_iteratorINS6_10device_ptrIKiEEEESL_NS6_8equal_toIiEEEENSG_9not_fun_tINSD_8identityEEEEENSD_19counting_iterator_tIlEES8_S8_S8_S8_S8_S8_S8_S8_EEEEPS9_S9_NSD_9__find_if7functorIS9_EEEE10hipError_tPvRmT1_T2_T3_mT4_P12ihipStream_tbEUlT_E1_NS1_11comp_targetILNS1_3genE0ELNS1_11target_archE4294967295ELNS1_3gpuE0ELNS1_3repE0EEENS1_30default_config_static_selectorELNS0_4arch9wavefront6targetE0EEEvS14_
    .private_segment_fixed_size: 0
    .sgpr_count:     0
    .sgpr_spill_count: 0
    .symbol:         _ZN7rocprim17ROCPRIM_400000_NS6detail17trampoline_kernelINS0_14default_configENS1_22reduce_config_selectorIN6thrust23THRUST_200600_302600_NS5tupleIblNS6_9null_typeES8_S8_S8_S8_S8_S8_S8_EEEEZNS1_11reduce_implILb1ES3_NS6_12zip_iteratorINS7_INS6_11hip_rocprim26transform_input_iterator_tIbNSD_35transform_pair_of_input_iterators_tIbNS6_6detail15normal_iteratorINS6_10device_ptrIKiEEEESL_NS6_8equal_toIiEEEENSG_9not_fun_tINSD_8identityEEEEENSD_19counting_iterator_tIlEES8_S8_S8_S8_S8_S8_S8_S8_EEEEPS9_S9_NSD_9__find_if7functorIS9_EEEE10hipError_tPvRmT1_T2_T3_mT4_P12ihipStream_tbEUlT_E1_NS1_11comp_targetILNS1_3genE0ELNS1_11target_archE4294967295ELNS1_3gpuE0ELNS1_3repE0EEENS1_30default_config_static_selectorELNS0_4arch9wavefront6targetE0EEEvS14_.kd
    .uniform_work_group_size: 1
    .uses_dynamic_stack: false
    .vgpr_count:     0
    .vgpr_spill_count: 0
    .wavefront_size: 32
    .workgroup_processor_mode: 1
  - .args:
      - .offset:         0
        .size:           88
        .value_kind:     by_value
    .group_segment_fixed_size: 0
    .kernarg_segment_align: 8
    .kernarg_segment_size: 88
    .language:       OpenCL C
    .language_version:
      - 2
      - 0
    .max_flat_workgroup_size: 256
    .name:           _ZN7rocprim17ROCPRIM_400000_NS6detail17trampoline_kernelINS0_14default_configENS1_22reduce_config_selectorIN6thrust23THRUST_200600_302600_NS5tupleIblNS6_9null_typeES8_S8_S8_S8_S8_S8_S8_EEEEZNS1_11reduce_implILb1ES3_NS6_12zip_iteratorINS7_INS6_11hip_rocprim26transform_input_iterator_tIbNSD_35transform_pair_of_input_iterators_tIbNS6_6detail15normal_iteratorINS6_10device_ptrIKiEEEESL_NS6_8equal_toIiEEEENSG_9not_fun_tINSD_8identityEEEEENSD_19counting_iterator_tIlEES8_S8_S8_S8_S8_S8_S8_S8_EEEEPS9_S9_NSD_9__find_if7functorIS9_EEEE10hipError_tPvRmT1_T2_T3_mT4_P12ihipStream_tbEUlT_E1_NS1_11comp_targetILNS1_3genE5ELNS1_11target_archE942ELNS1_3gpuE9ELNS1_3repE0EEENS1_30default_config_static_selectorELNS0_4arch9wavefront6targetE0EEEvS14_
    .private_segment_fixed_size: 0
    .sgpr_count:     0
    .sgpr_spill_count: 0
    .symbol:         _ZN7rocprim17ROCPRIM_400000_NS6detail17trampoline_kernelINS0_14default_configENS1_22reduce_config_selectorIN6thrust23THRUST_200600_302600_NS5tupleIblNS6_9null_typeES8_S8_S8_S8_S8_S8_S8_EEEEZNS1_11reduce_implILb1ES3_NS6_12zip_iteratorINS7_INS6_11hip_rocprim26transform_input_iterator_tIbNSD_35transform_pair_of_input_iterators_tIbNS6_6detail15normal_iteratorINS6_10device_ptrIKiEEEESL_NS6_8equal_toIiEEEENSG_9not_fun_tINSD_8identityEEEEENSD_19counting_iterator_tIlEES8_S8_S8_S8_S8_S8_S8_S8_EEEEPS9_S9_NSD_9__find_if7functorIS9_EEEE10hipError_tPvRmT1_T2_T3_mT4_P12ihipStream_tbEUlT_E1_NS1_11comp_targetILNS1_3genE5ELNS1_11target_archE942ELNS1_3gpuE9ELNS1_3repE0EEENS1_30default_config_static_selectorELNS0_4arch9wavefront6targetE0EEEvS14_.kd
    .uniform_work_group_size: 1
    .uses_dynamic_stack: false
    .vgpr_count:     0
    .vgpr_spill_count: 0
    .wavefront_size: 32
    .workgroup_processor_mode: 1
  - .args:
      - .offset:         0
        .size:           88
        .value_kind:     by_value
    .group_segment_fixed_size: 0
    .kernarg_segment_align: 8
    .kernarg_segment_size: 88
    .language:       OpenCL C
    .language_version:
      - 2
      - 0
    .max_flat_workgroup_size: 256
    .name:           _ZN7rocprim17ROCPRIM_400000_NS6detail17trampoline_kernelINS0_14default_configENS1_22reduce_config_selectorIN6thrust23THRUST_200600_302600_NS5tupleIblNS6_9null_typeES8_S8_S8_S8_S8_S8_S8_EEEEZNS1_11reduce_implILb1ES3_NS6_12zip_iteratorINS7_INS6_11hip_rocprim26transform_input_iterator_tIbNSD_35transform_pair_of_input_iterators_tIbNS6_6detail15normal_iteratorINS6_10device_ptrIKiEEEESL_NS6_8equal_toIiEEEENSG_9not_fun_tINSD_8identityEEEEENSD_19counting_iterator_tIlEES8_S8_S8_S8_S8_S8_S8_S8_EEEEPS9_S9_NSD_9__find_if7functorIS9_EEEE10hipError_tPvRmT1_T2_T3_mT4_P12ihipStream_tbEUlT_E1_NS1_11comp_targetILNS1_3genE4ELNS1_11target_archE910ELNS1_3gpuE8ELNS1_3repE0EEENS1_30default_config_static_selectorELNS0_4arch9wavefront6targetE0EEEvS14_
    .private_segment_fixed_size: 0
    .sgpr_count:     0
    .sgpr_spill_count: 0
    .symbol:         _ZN7rocprim17ROCPRIM_400000_NS6detail17trampoline_kernelINS0_14default_configENS1_22reduce_config_selectorIN6thrust23THRUST_200600_302600_NS5tupleIblNS6_9null_typeES8_S8_S8_S8_S8_S8_S8_EEEEZNS1_11reduce_implILb1ES3_NS6_12zip_iteratorINS7_INS6_11hip_rocprim26transform_input_iterator_tIbNSD_35transform_pair_of_input_iterators_tIbNS6_6detail15normal_iteratorINS6_10device_ptrIKiEEEESL_NS6_8equal_toIiEEEENSG_9not_fun_tINSD_8identityEEEEENSD_19counting_iterator_tIlEES8_S8_S8_S8_S8_S8_S8_S8_EEEEPS9_S9_NSD_9__find_if7functorIS9_EEEE10hipError_tPvRmT1_T2_T3_mT4_P12ihipStream_tbEUlT_E1_NS1_11comp_targetILNS1_3genE4ELNS1_11target_archE910ELNS1_3gpuE8ELNS1_3repE0EEENS1_30default_config_static_selectorELNS0_4arch9wavefront6targetE0EEEvS14_.kd
    .uniform_work_group_size: 1
    .uses_dynamic_stack: false
    .vgpr_count:     0
    .vgpr_spill_count: 0
    .wavefront_size: 32
    .workgroup_processor_mode: 1
  - .args:
      - .offset:         0
        .size:           88
        .value_kind:     by_value
    .group_segment_fixed_size: 0
    .kernarg_segment_align: 8
    .kernarg_segment_size: 88
    .language:       OpenCL C
    .language_version:
      - 2
      - 0
    .max_flat_workgroup_size: 128
    .name:           _ZN7rocprim17ROCPRIM_400000_NS6detail17trampoline_kernelINS0_14default_configENS1_22reduce_config_selectorIN6thrust23THRUST_200600_302600_NS5tupleIblNS6_9null_typeES8_S8_S8_S8_S8_S8_S8_EEEEZNS1_11reduce_implILb1ES3_NS6_12zip_iteratorINS7_INS6_11hip_rocprim26transform_input_iterator_tIbNSD_35transform_pair_of_input_iterators_tIbNS6_6detail15normal_iteratorINS6_10device_ptrIKiEEEESL_NS6_8equal_toIiEEEENSG_9not_fun_tINSD_8identityEEEEENSD_19counting_iterator_tIlEES8_S8_S8_S8_S8_S8_S8_S8_EEEEPS9_S9_NSD_9__find_if7functorIS9_EEEE10hipError_tPvRmT1_T2_T3_mT4_P12ihipStream_tbEUlT_E1_NS1_11comp_targetILNS1_3genE3ELNS1_11target_archE908ELNS1_3gpuE7ELNS1_3repE0EEENS1_30default_config_static_selectorELNS0_4arch9wavefront6targetE0EEEvS14_
    .private_segment_fixed_size: 0
    .sgpr_count:     0
    .sgpr_spill_count: 0
    .symbol:         _ZN7rocprim17ROCPRIM_400000_NS6detail17trampoline_kernelINS0_14default_configENS1_22reduce_config_selectorIN6thrust23THRUST_200600_302600_NS5tupleIblNS6_9null_typeES8_S8_S8_S8_S8_S8_S8_EEEEZNS1_11reduce_implILb1ES3_NS6_12zip_iteratorINS7_INS6_11hip_rocprim26transform_input_iterator_tIbNSD_35transform_pair_of_input_iterators_tIbNS6_6detail15normal_iteratorINS6_10device_ptrIKiEEEESL_NS6_8equal_toIiEEEENSG_9not_fun_tINSD_8identityEEEEENSD_19counting_iterator_tIlEES8_S8_S8_S8_S8_S8_S8_S8_EEEEPS9_S9_NSD_9__find_if7functorIS9_EEEE10hipError_tPvRmT1_T2_T3_mT4_P12ihipStream_tbEUlT_E1_NS1_11comp_targetILNS1_3genE3ELNS1_11target_archE908ELNS1_3gpuE7ELNS1_3repE0EEENS1_30default_config_static_selectorELNS0_4arch9wavefront6targetE0EEEvS14_.kd
    .uniform_work_group_size: 1
    .uses_dynamic_stack: false
    .vgpr_count:     0
    .vgpr_spill_count: 0
    .wavefront_size: 32
    .workgroup_processor_mode: 1
  - .args:
      - .offset:         0
        .size:           88
        .value_kind:     by_value
    .group_segment_fixed_size: 0
    .kernarg_segment_align: 8
    .kernarg_segment_size: 88
    .language:       OpenCL C
    .language_version:
      - 2
      - 0
    .max_flat_workgroup_size: 128
    .name:           _ZN7rocprim17ROCPRIM_400000_NS6detail17trampoline_kernelINS0_14default_configENS1_22reduce_config_selectorIN6thrust23THRUST_200600_302600_NS5tupleIblNS6_9null_typeES8_S8_S8_S8_S8_S8_S8_EEEEZNS1_11reduce_implILb1ES3_NS6_12zip_iteratorINS7_INS6_11hip_rocprim26transform_input_iterator_tIbNSD_35transform_pair_of_input_iterators_tIbNS6_6detail15normal_iteratorINS6_10device_ptrIKiEEEESL_NS6_8equal_toIiEEEENSG_9not_fun_tINSD_8identityEEEEENSD_19counting_iterator_tIlEES8_S8_S8_S8_S8_S8_S8_S8_EEEEPS9_S9_NSD_9__find_if7functorIS9_EEEE10hipError_tPvRmT1_T2_T3_mT4_P12ihipStream_tbEUlT_E1_NS1_11comp_targetILNS1_3genE2ELNS1_11target_archE906ELNS1_3gpuE6ELNS1_3repE0EEENS1_30default_config_static_selectorELNS0_4arch9wavefront6targetE0EEEvS14_
    .private_segment_fixed_size: 0
    .sgpr_count:     0
    .sgpr_spill_count: 0
    .symbol:         _ZN7rocprim17ROCPRIM_400000_NS6detail17trampoline_kernelINS0_14default_configENS1_22reduce_config_selectorIN6thrust23THRUST_200600_302600_NS5tupleIblNS6_9null_typeES8_S8_S8_S8_S8_S8_S8_EEEEZNS1_11reduce_implILb1ES3_NS6_12zip_iteratorINS7_INS6_11hip_rocprim26transform_input_iterator_tIbNSD_35transform_pair_of_input_iterators_tIbNS6_6detail15normal_iteratorINS6_10device_ptrIKiEEEESL_NS6_8equal_toIiEEEENSG_9not_fun_tINSD_8identityEEEEENSD_19counting_iterator_tIlEES8_S8_S8_S8_S8_S8_S8_S8_EEEEPS9_S9_NSD_9__find_if7functorIS9_EEEE10hipError_tPvRmT1_T2_T3_mT4_P12ihipStream_tbEUlT_E1_NS1_11comp_targetILNS1_3genE2ELNS1_11target_archE906ELNS1_3gpuE6ELNS1_3repE0EEENS1_30default_config_static_selectorELNS0_4arch9wavefront6targetE0EEEvS14_.kd
    .uniform_work_group_size: 1
    .uses_dynamic_stack: false
    .vgpr_count:     0
    .vgpr_spill_count: 0
    .wavefront_size: 32
    .workgroup_processor_mode: 1
  - .args:
      - .offset:         0
        .size:           88
        .value_kind:     by_value
    .group_segment_fixed_size: 0
    .kernarg_segment_align: 8
    .kernarg_segment_size: 88
    .language:       OpenCL C
    .language_version:
      - 2
      - 0
    .max_flat_workgroup_size: 256
    .name:           _ZN7rocprim17ROCPRIM_400000_NS6detail17trampoline_kernelINS0_14default_configENS1_22reduce_config_selectorIN6thrust23THRUST_200600_302600_NS5tupleIblNS6_9null_typeES8_S8_S8_S8_S8_S8_S8_EEEEZNS1_11reduce_implILb1ES3_NS6_12zip_iteratorINS7_INS6_11hip_rocprim26transform_input_iterator_tIbNSD_35transform_pair_of_input_iterators_tIbNS6_6detail15normal_iteratorINS6_10device_ptrIKiEEEESL_NS6_8equal_toIiEEEENSG_9not_fun_tINSD_8identityEEEEENSD_19counting_iterator_tIlEES8_S8_S8_S8_S8_S8_S8_S8_EEEEPS9_S9_NSD_9__find_if7functorIS9_EEEE10hipError_tPvRmT1_T2_T3_mT4_P12ihipStream_tbEUlT_E1_NS1_11comp_targetILNS1_3genE10ELNS1_11target_archE1201ELNS1_3gpuE5ELNS1_3repE0EEENS1_30default_config_static_selectorELNS0_4arch9wavefront6targetE0EEEvS14_
    .private_segment_fixed_size: 0
    .sgpr_count:     0
    .sgpr_spill_count: 0
    .symbol:         _ZN7rocprim17ROCPRIM_400000_NS6detail17trampoline_kernelINS0_14default_configENS1_22reduce_config_selectorIN6thrust23THRUST_200600_302600_NS5tupleIblNS6_9null_typeES8_S8_S8_S8_S8_S8_S8_EEEEZNS1_11reduce_implILb1ES3_NS6_12zip_iteratorINS7_INS6_11hip_rocprim26transform_input_iterator_tIbNSD_35transform_pair_of_input_iterators_tIbNS6_6detail15normal_iteratorINS6_10device_ptrIKiEEEESL_NS6_8equal_toIiEEEENSG_9not_fun_tINSD_8identityEEEEENSD_19counting_iterator_tIlEES8_S8_S8_S8_S8_S8_S8_S8_EEEEPS9_S9_NSD_9__find_if7functorIS9_EEEE10hipError_tPvRmT1_T2_T3_mT4_P12ihipStream_tbEUlT_E1_NS1_11comp_targetILNS1_3genE10ELNS1_11target_archE1201ELNS1_3gpuE5ELNS1_3repE0EEENS1_30default_config_static_selectorELNS0_4arch9wavefront6targetE0EEEvS14_.kd
    .uniform_work_group_size: 1
    .uses_dynamic_stack: false
    .vgpr_count:     0
    .vgpr_spill_count: 0
    .wavefront_size: 32
    .workgroup_processor_mode: 1
  - .args:
      - .offset:         0
        .size:           88
        .value_kind:     by_value
    .group_segment_fixed_size: 0
    .kernarg_segment_align: 8
    .kernarg_segment_size: 88
    .language:       OpenCL C
    .language_version:
      - 2
      - 0
    .max_flat_workgroup_size: 256
    .name:           _ZN7rocprim17ROCPRIM_400000_NS6detail17trampoline_kernelINS0_14default_configENS1_22reduce_config_selectorIN6thrust23THRUST_200600_302600_NS5tupleIblNS6_9null_typeES8_S8_S8_S8_S8_S8_S8_EEEEZNS1_11reduce_implILb1ES3_NS6_12zip_iteratorINS7_INS6_11hip_rocprim26transform_input_iterator_tIbNSD_35transform_pair_of_input_iterators_tIbNS6_6detail15normal_iteratorINS6_10device_ptrIKiEEEESL_NS6_8equal_toIiEEEENSG_9not_fun_tINSD_8identityEEEEENSD_19counting_iterator_tIlEES8_S8_S8_S8_S8_S8_S8_S8_EEEEPS9_S9_NSD_9__find_if7functorIS9_EEEE10hipError_tPvRmT1_T2_T3_mT4_P12ihipStream_tbEUlT_E1_NS1_11comp_targetILNS1_3genE10ELNS1_11target_archE1200ELNS1_3gpuE4ELNS1_3repE0EEENS1_30default_config_static_selectorELNS0_4arch9wavefront6targetE0EEEvS14_
    .private_segment_fixed_size: 0
    .sgpr_count:     0
    .sgpr_spill_count: 0
    .symbol:         _ZN7rocprim17ROCPRIM_400000_NS6detail17trampoline_kernelINS0_14default_configENS1_22reduce_config_selectorIN6thrust23THRUST_200600_302600_NS5tupleIblNS6_9null_typeES8_S8_S8_S8_S8_S8_S8_EEEEZNS1_11reduce_implILb1ES3_NS6_12zip_iteratorINS7_INS6_11hip_rocprim26transform_input_iterator_tIbNSD_35transform_pair_of_input_iterators_tIbNS6_6detail15normal_iteratorINS6_10device_ptrIKiEEEESL_NS6_8equal_toIiEEEENSG_9not_fun_tINSD_8identityEEEEENSD_19counting_iterator_tIlEES8_S8_S8_S8_S8_S8_S8_S8_EEEEPS9_S9_NSD_9__find_if7functorIS9_EEEE10hipError_tPvRmT1_T2_T3_mT4_P12ihipStream_tbEUlT_E1_NS1_11comp_targetILNS1_3genE10ELNS1_11target_archE1200ELNS1_3gpuE4ELNS1_3repE0EEENS1_30default_config_static_selectorELNS0_4arch9wavefront6targetE0EEEvS14_.kd
    .uniform_work_group_size: 1
    .uses_dynamic_stack: false
    .vgpr_count:     0
    .vgpr_spill_count: 0
    .wavefront_size: 32
    .workgroup_processor_mode: 1
  - .args:
      - .offset:         0
        .size:           88
        .value_kind:     by_value
    .group_segment_fixed_size: 0
    .kernarg_segment_align: 8
    .kernarg_segment_size: 88
    .language:       OpenCL C
    .language_version:
      - 2
      - 0
    .max_flat_workgroup_size: 256
    .name:           _ZN7rocprim17ROCPRIM_400000_NS6detail17trampoline_kernelINS0_14default_configENS1_22reduce_config_selectorIN6thrust23THRUST_200600_302600_NS5tupleIblNS6_9null_typeES8_S8_S8_S8_S8_S8_S8_EEEEZNS1_11reduce_implILb1ES3_NS6_12zip_iteratorINS7_INS6_11hip_rocprim26transform_input_iterator_tIbNSD_35transform_pair_of_input_iterators_tIbNS6_6detail15normal_iteratorINS6_10device_ptrIKiEEEESL_NS6_8equal_toIiEEEENSG_9not_fun_tINSD_8identityEEEEENSD_19counting_iterator_tIlEES8_S8_S8_S8_S8_S8_S8_S8_EEEEPS9_S9_NSD_9__find_if7functorIS9_EEEE10hipError_tPvRmT1_T2_T3_mT4_P12ihipStream_tbEUlT_E1_NS1_11comp_targetILNS1_3genE9ELNS1_11target_archE1100ELNS1_3gpuE3ELNS1_3repE0EEENS1_30default_config_static_selectorELNS0_4arch9wavefront6targetE0EEEvS14_
    .private_segment_fixed_size: 0
    .sgpr_count:     0
    .sgpr_spill_count: 0
    .symbol:         _ZN7rocprim17ROCPRIM_400000_NS6detail17trampoline_kernelINS0_14default_configENS1_22reduce_config_selectorIN6thrust23THRUST_200600_302600_NS5tupleIblNS6_9null_typeES8_S8_S8_S8_S8_S8_S8_EEEEZNS1_11reduce_implILb1ES3_NS6_12zip_iteratorINS7_INS6_11hip_rocprim26transform_input_iterator_tIbNSD_35transform_pair_of_input_iterators_tIbNS6_6detail15normal_iteratorINS6_10device_ptrIKiEEEESL_NS6_8equal_toIiEEEENSG_9not_fun_tINSD_8identityEEEEENSD_19counting_iterator_tIlEES8_S8_S8_S8_S8_S8_S8_S8_EEEEPS9_S9_NSD_9__find_if7functorIS9_EEEE10hipError_tPvRmT1_T2_T3_mT4_P12ihipStream_tbEUlT_E1_NS1_11comp_targetILNS1_3genE9ELNS1_11target_archE1100ELNS1_3gpuE3ELNS1_3repE0EEENS1_30default_config_static_selectorELNS0_4arch9wavefront6targetE0EEEvS14_.kd
    .uniform_work_group_size: 1
    .uses_dynamic_stack: false
    .vgpr_count:     0
    .vgpr_spill_count: 0
    .wavefront_size: 32
    .workgroup_processor_mode: 1
  - .args:
      - .offset:         0
        .size:           88
        .value_kind:     by_value
    .group_segment_fixed_size: 640
    .kernarg_segment_align: 8
    .kernarg_segment_size: 88
    .language:       OpenCL C
    .language_version:
      - 2
      - 0
    .max_flat_workgroup_size: 256
    .name:           _ZN7rocprim17ROCPRIM_400000_NS6detail17trampoline_kernelINS0_14default_configENS1_22reduce_config_selectorIN6thrust23THRUST_200600_302600_NS5tupleIblNS6_9null_typeES8_S8_S8_S8_S8_S8_S8_EEEEZNS1_11reduce_implILb1ES3_NS6_12zip_iteratorINS7_INS6_11hip_rocprim26transform_input_iterator_tIbNSD_35transform_pair_of_input_iterators_tIbNS6_6detail15normal_iteratorINS6_10device_ptrIKiEEEESL_NS6_8equal_toIiEEEENSG_9not_fun_tINSD_8identityEEEEENSD_19counting_iterator_tIlEES8_S8_S8_S8_S8_S8_S8_S8_EEEEPS9_S9_NSD_9__find_if7functorIS9_EEEE10hipError_tPvRmT1_T2_T3_mT4_P12ihipStream_tbEUlT_E1_NS1_11comp_targetILNS1_3genE8ELNS1_11target_archE1030ELNS1_3gpuE2ELNS1_3repE0EEENS1_30default_config_static_selectorELNS0_4arch9wavefront6targetE0EEEvS14_
    .private_segment_fixed_size: 0
    .sgpr_count:     34
    .sgpr_spill_count: 0
    .symbol:         _ZN7rocprim17ROCPRIM_400000_NS6detail17trampoline_kernelINS0_14default_configENS1_22reduce_config_selectorIN6thrust23THRUST_200600_302600_NS5tupleIblNS6_9null_typeES8_S8_S8_S8_S8_S8_S8_EEEEZNS1_11reduce_implILb1ES3_NS6_12zip_iteratorINS7_INS6_11hip_rocprim26transform_input_iterator_tIbNSD_35transform_pair_of_input_iterators_tIbNS6_6detail15normal_iteratorINS6_10device_ptrIKiEEEESL_NS6_8equal_toIiEEEENSG_9not_fun_tINSD_8identityEEEEENSD_19counting_iterator_tIlEES8_S8_S8_S8_S8_S8_S8_S8_EEEEPS9_S9_NSD_9__find_if7functorIS9_EEEE10hipError_tPvRmT1_T2_T3_mT4_P12ihipStream_tbEUlT_E1_NS1_11comp_targetILNS1_3genE8ELNS1_11target_archE1030ELNS1_3gpuE2ELNS1_3repE0EEENS1_30default_config_static_selectorELNS0_4arch9wavefront6targetE0EEEvS14_.kd
    .uniform_work_group_size: 1
    .uses_dynamic_stack: false
    .vgpr_count:     27
    .vgpr_spill_count: 0
    .wavefront_size: 32
    .workgroup_processor_mode: 1
  - .args:
      - .offset:         0
        .size:           16
        .value_kind:     by_value
      - .offset:         16
        .size:           8
        .value_kind:     by_value
      - .offset:         24
        .size:           8
        .value_kind:     by_value
    .group_segment_fixed_size: 0
    .kernarg_segment_align: 8
    .kernarg_segment_size: 32
    .language:       OpenCL C
    .language_version:
      - 2
      - 0
    .max_flat_workgroup_size: 256
    .name:           _ZN6thrust23THRUST_200600_302600_NS11hip_rocprim14__parallel_for6kernelILj256ENS1_20__uninitialized_fill7functorINS0_10device_ptrIsEEsEEmLj1EEEvT0_T1_SA_
    .private_segment_fixed_size: 0
    .sgpr_count:     14
    .sgpr_spill_count: 0
    .symbol:         _ZN6thrust23THRUST_200600_302600_NS11hip_rocprim14__parallel_for6kernelILj256ENS1_20__uninitialized_fill7functorINS0_10device_ptrIsEEsEEmLj1EEEvT0_T1_SA_.kd
    .uniform_work_group_size: 1
    .uses_dynamic_stack: false
    .vgpr_count:     4
    .vgpr_spill_count: 0
    .wavefront_size: 32
    .workgroup_processor_mode: 1
  - .args:           []
    .group_segment_fixed_size: 0
    .kernarg_segment_align: 4
    .kernarg_segment_size: 0
    .language:       OpenCL C
    .language_version:
      - 2
      - 0
    .max_flat_workgroup_size: 1024
    .name:           _ZN7rocprim17ROCPRIM_400000_NS6detail44device_merge_sort_compile_time_verifier_archINS1_11comp_targetILNS1_3genE0ELNS1_11target_archE4294967295ELNS1_3gpuE0ELNS1_3repE0EEES8_NS0_14default_configES9_NS1_37merge_sort_block_sort_config_selectorIsNS0_10empty_typeEEENS1_38merge_sort_block_merge_config_selectorIsSB_EEEEvv
    .private_segment_fixed_size: 0
    .sgpr_count:     0
    .sgpr_spill_count: 0
    .symbol:         _ZN7rocprim17ROCPRIM_400000_NS6detail44device_merge_sort_compile_time_verifier_archINS1_11comp_targetILNS1_3genE0ELNS1_11target_archE4294967295ELNS1_3gpuE0ELNS1_3repE0EEES8_NS0_14default_configES9_NS1_37merge_sort_block_sort_config_selectorIsNS0_10empty_typeEEENS1_38merge_sort_block_merge_config_selectorIsSB_EEEEvv.kd
    .uniform_work_group_size: 1
    .uses_dynamic_stack: false
    .vgpr_count:     0
    .vgpr_spill_count: 0
    .wavefront_size: 32
    .workgroup_processor_mode: 1
  - .args:           []
    .group_segment_fixed_size: 0
    .kernarg_segment_align: 4
    .kernarg_segment_size: 0
    .language:       OpenCL C
    .language_version:
      - 2
      - 0
    .max_flat_workgroup_size: 1024
    .name:           _ZN7rocprim17ROCPRIM_400000_NS6detail44device_merge_sort_compile_time_verifier_archINS1_11comp_targetILNS1_3genE5ELNS1_11target_archE942ELNS1_3gpuE9ELNS1_3repE0EEES8_NS0_14default_configES9_NS1_37merge_sort_block_sort_config_selectorIsNS0_10empty_typeEEENS1_38merge_sort_block_merge_config_selectorIsSB_EEEEvv
    .private_segment_fixed_size: 0
    .sgpr_count:     0
    .sgpr_spill_count: 0
    .symbol:         _ZN7rocprim17ROCPRIM_400000_NS6detail44device_merge_sort_compile_time_verifier_archINS1_11comp_targetILNS1_3genE5ELNS1_11target_archE942ELNS1_3gpuE9ELNS1_3repE0EEES8_NS0_14default_configES9_NS1_37merge_sort_block_sort_config_selectorIsNS0_10empty_typeEEENS1_38merge_sort_block_merge_config_selectorIsSB_EEEEvv.kd
    .uniform_work_group_size: 1
    .uses_dynamic_stack: false
    .vgpr_count:     0
    .vgpr_spill_count: 0
    .wavefront_size: 32
    .workgroup_processor_mode: 1
  - .args:           []
    .group_segment_fixed_size: 0
    .kernarg_segment_align: 4
    .kernarg_segment_size: 0
    .language:       OpenCL C
    .language_version:
      - 2
      - 0
    .max_flat_workgroup_size: 1024
    .name:           _ZN7rocprim17ROCPRIM_400000_NS6detail44device_merge_sort_compile_time_verifier_archINS1_11comp_targetILNS1_3genE4ELNS1_11target_archE910ELNS1_3gpuE8ELNS1_3repE0EEES8_NS0_14default_configES9_NS1_37merge_sort_block_sort_config_selectorIsNS0_10empty_typeEEENS1_38merge_sort_block_merge_config_selectorIsSB_EEEEvv
    .private_segment_fixed_size: 0
    .sgpr_count:     0
    .sgpr_spill_count: 0
    .symbol:         _ZN7rocprim17ROCPRIM_400000_NS6detail44device_merge_sort_compile_time_verifier_archINS1_11comp_targetILNS1_3genE4ELNS1_11target_archE910ELNS1_3gpuE8ELNS1_3repE0EEES8_NS0_14default_configES9_NS1_37merge_sort_block_sort_config_selectorIsNS0_10empty_typeEEENS1_38merge_sort_block_merge_config_selectorIsSB_EEEEvv.kd
    .uniform_work_group_size: 1
    .uses_dynamic_stack: false
    .vgpr_count:     0
    .vgpr_spill_count: 0
    .wavefront_size: 32
    .workgroup_processor_mode: 1
  - .args:           []
    .group_segment_fixed_size: 0
    .kernarg_segment_align: 4
    .kernarg_segment_size: 0
    .language:       OpenCL C
    .language_version:
      - 2
      - 0
    .max_flat_workgroup_size: 1024
    .name:           _ZN7rocprim17ROCPRIM_400000_NS6detail44device_merge_sort_compile_time_verifier_archINS1_11comp_targetILNS1_3genE3ELNS1_11target_archE908ELNS1_3gpuE7ELNS1_3repE0EEES8_NS0_14default_configES9_NS1_37merge_sort_block_sort_config_selectorIsNS0_10empty_typeEEENS1_38merge_sort_block_merge_config_selectorIsSB_EEEEvv
    .private_segment_fixed_size: 0
    .sgpr_count:     0
    .sgpr_spill_count: 0
    .symbol:         _ZN7rocprim17ROCPRIM_400000_NS6detail44device_merge_sort_compile_time_verifier_archINS1_11comp_targetILNS1_3genE3ELNS1_11target_archE908ELNS1_3gpuE7ELNS1_3repE0EEES8_NS0_14default_configES9_NS1_37merge_sort_block_sort_config_selectorIsNS0_10empty_typeEEENS1_38merge_sort_block_merge_config_selectorIsSB_EEEEvv.kd
    .uniform_work_group_size: 1
    .uses_dynamic_stack: false
    .vgpr_count:     0
    .vgpr_spill_count: 0
    .wavefront_size: 32
    .workgroup_processor_mode: 1
  - .args:           []
    .group_segment_fixed_size: 0
    .kernarg_segment_align: 4
    .kernarg_segment_size: 0
    .language:       OpenCL C
    .language_version:
      - 2
      - 0
    .max_flat_workgroup_size: 1024
    .name:           _ZN7rocprim17ROCPRIM_400000_NS6detail44device_merge_sort_compile_time_verifier_archINS1_11comp_targetILNS1_3genE2ELNS1_11target_archE906ELNS1_3gpuE6ELNS1_3repE0EEES8_NS0_14default_configES9_NS1_37merge_sort_block_sort_config_selectorIsNS0_10empty_typeEEENS1_38merge_sort_block_merge_config_selectorIsSB_EEEEvv
    .private_segment_fixed_size: 0
    .sgpr_count:     0
    .sgpr_spill_count: 0
    .symbol:         _ZN7rocprim17ROCPRIM_400000_NS6detail44device_merge_sort_compile_time_verifier_archINS1_11comp_targetILNS1_3genE2ELNS1_11target_archE906ELNS1_3gpuE6ELNS1_3repE0EEES8_NS0_14default_configES9_NS1_37merge_sort_block_sort_config_selectorIsNS0_10empty_typeEEENS1_38merge_sort_block_merge_config_selectorIsSB_EEEEvv.kd
    .uniform_work_group_size: 1
    .uses_dynamic_stack: false
    .vgpr_count:     0
    .vgpr_spill_count: 0
    .wavefront_size: 32
    .workgroup_processor_mode: 1
  - .args:           []
    .group_segment_fixed_size: 0
    .kernarg_segment_align: 4
    .kernarg_segment_size: 0
    .language:       OpenCL C
    .language_version:
      - 2
      - 0
    .max_flat_workgroup_size: 1024
    .name:           _ZN7rocprim17ROCPRIM_400000_NS6detail44device_merge_sort_compile_time_verifier_archINS1_11comp_targetILNS1_3genE10ELNS1_11target_archE1201ELNS1_3gpuE5ELNS1_3repE0EEES8_NS0_14default_configES9_NS1_37merge_sort_block_sort_config_selectorIsNS0_10empty_typeEEENS1_38merge_sort_block_merge_config_selectorIsSB_EEEEvv
    .private_segment_fixed_size: 0
    .sgpr_count:     0
    .sgpr_spill_count: 0
    .symbol:         _ZN7rocprim17ROCPRIM_400000_NS6detail44device_merge_sort_compile_time_verifier_archINS1_11comp_targetILNS1_3genE10ELNS1_11target_archE1201ELNS1_3gpuE5ELNS1_3repE0EEES8_NS0_14default_configES9_NS1_37merge_sort_block_sort_config_selectorIsNS0_10empty_typeEEENS1_38merge_sort_block_merge_config_selectorIsSB_EEEEvv.kd
    .uniform_work_group_size: 1
    .uses_dynamic_stack: false
    .vgpr_count:     0
    .vgpr_spill_count: 0
    .wavefront_size: 32
    .workgroup_processor_mode: 1
  - .args:           []
    .group_segment_fixed_size: 0
    .kernarg_segment_align: 4
    .kernarg_segment_size: 0
    .language:       OpenCL C
    .language_version:
      - 2
      - 0
    .max_flat_workgroup_size: 1024
    .name:           _ZN7rocprim17ROCPRIM_400000_NS6detail44device_merge_sort_compile_time_verifier_archINS1_11comp_targetILNS1_3genE10ELNS1_11target_archE1200ELNS1_3gpuE4ELNS1_3repE0EEENS3_ILS4_10ELS5_1201ELS6_5ELS7_0EEENS0_14default_configESA_NS1_37merge_sort_block_sort_config_selectorIsNS0_10empty_typeEEENS1_38merge_sort_block_merge_config_selectorIsSC_EEEEvv
    .private_segment_fixed_size: 0
    .sgpr_count:     0
    .sgpr_spill_count: 0
    .symbol:         _ZN7rocprim17ROCPRIM_400000_NS6detail44device_merge_sort_compile_time_verifier_archINS1_11comp_targetILNS1_3genE10ELNS1_11target_archE1200ELNS1_3gpuE4ELNS1_3repE0EEENS3_ILS4_10ELS5_1201ELS6_5ELS7_0EEENS0_14default_configESA_NS1_37merge_sort_block_sort_config_selectorIsNS0_10empty_typeEEENS1_38merge_sort_block_merge_config_selectorIsSC_EEEEvv.kd
    .uniform_work_group_size: 1
    .uses_dynamic_stack: false
    .vgpr_count:     0
    .vgpr_spill_count: 0
    .wavefront_size: 32
    .workgroup_processor_mode: 1
  - .args:           []
    .group_segment_fixed_size: 0
    .kernarg_segment_align: 4
    .kernarg_segment_size: 0
    .language:       OpenCL C
    .language_version:
      - 2
      - 0
    .max_flat_workgroup_size: 1024
    .name:           _ZN7rocprim17ROCPRIM_400000_NS6detail44device_merge_sort_compile_time_verifier_archINS1_11comp_targetILNS1_3genE9ELNS1_11target_archE1100ELNS1_3gpuE3ELNS1_3repE0EEES8_NS0_14default_configES9_NS1_37merge_sort_block_sort_config_selectorIsNS0_10empty_typeEEENS1_38merge_sort_block_merge_config_selectorIsSB_EEEEvv
    .private_segment_fixed_size: 0
    .sgpr_count:     0
    .sgpr_spill_count: 0
    .symbol:         _ZN7rocprim17ROCPRIM_400000_NS6detail44device_merge_sort_compile_time_verifier_archINS1_11comp_targetILNS1_3genE9ELNS1_11target_archE1100ELNS1_3gpuE3ELNS1_3repE0EEES8_NS0_14default_configES9_NS1_37merge_sort_block_sort_config_selectorIsNS0_10empty_typeEEENS1_38merge_sort_block_merge_config_selectorIsSB_EEEEvv.kd
    .uniform_work_group_size: 1
    .uses_dynamic_stack: false
    .vgpr_count:     0
    .vgpr_spill_count: 0
    .wavefront_size: 32
    .workgroup_processor_mode: 1
  - .args:           []
    .group_segment_fixed_size: 0
    .kernarg_segment_align: 4
    .kernarg_segment_size: 0
    .language:       OpenCL C
    .language_version:
      - 2
      - 0
    .max_flat_workgroup_size: 1024
    .name:           _ZN7rocprim17ROCPRIM_400000_NS6detail44device_merge_sort_compile_time_verifier_archINS1_11comp_targetILNS1_3genE8ELNS1_11target_archE1030ELNS1_3gpuE2ELNS1_3repE0EEES8_NS0_14default_configES9_NS1_37merge_sort_block_sort_config_selectorIsNS0_10empty_typeEEENS1_38merge_sort_block_merge_config_selectorIsSB_EEEEvv
    .private_segment_fixed_size: 0
    .sgpr_count:     0
    .sgpr_spill_count: 0
    .symbol:         _ZN7rocprim17ROCPRIM_400000_NS6detail44device_merge_sort_compile_time_verifier_archINS1_11comp_targetILNS1_3genE8ELNS1_11target_archE1030ELNS1_3gpuE2ELNS1_3repE0EEES8_NS0_14default_configES9_NS1_37merge_sort_block_sort_config_selectorIsNS0_10empty_typeEEENS1_38merge_sort_block_merge_config_selectorIsSB_EEEEvv.kd
    .uniform_work_group_size: 1
    .uses_dynamic_stack: false
    .vgpr_count:     0
    .vgpr_spill_count: 0
    .wavefront_size: 32
    .workgroup_processor_mode: 1
  - .args:
      - .offset:         0
        .size:           64
        .value_kind:     by_value
    .group_segment_fixed_size: 0
    .kernarg_segment_align: 8
    .kernarg_segment_size: 64
    .language:       OpenCL C
    .language_version:
      - 2
      - 0
    .max_flat_workgroup_size: 256
    .name:           _ZN7rocprim17ROCPRIM_400000_NS6detail17trampoline_kernelINS0_14default_configENS1_37merge_sort_block_sort_config_selectorIsNS0_10empty_typeEEEZNS1_21merge_sort_block_sortIS3_N6thrust23THRUST_200600_302600_NS6detail15normal_iteratorINS9_10device_ptrIsEEEESE_PS5_SF_11less_div_10IsEEE10hipError_tT0_T1_T2_T3_mRjT4_P12ihipStream_tbNS1_7vsmem_tEEUlT_E_NS1_11comp_targetILNS1_3genE0ELNS1_11target_archE4294967295ELNS1_3gpuE0ELNS1_3repE0EEENS1_30default_config_static_selectorELNS0_4arch9wavefront6targetE0EEEvSK_
    .private_segment_fixed_size: 0
    .sgpr_count:     0
    .sgpr_spill_count: 0
    .symbol:         _ZN7rocprim17ROCPRIM_400000_NS6detail17trampoline_kernelINS0_14default_configENS1_37merge_sort_block_sort_config_selectorIsNS0_10empty_typeEEEZNS1_21merge_sort_block_sortIS3_N6thrust23THRUST_200600_302600_NS6detail15normal_iteratorINS9_10device_ptrIsEEEESE_PS5_SF_11less_div_10IsEEE10hipError_tT0_T1_T2_T3_mRjT4_P12ihipStream_tbNS1_7vsmem_tEEUlT_E_NS1_11comp_targetILNS1_3genE0ELNS1_11target_archE4294967295ELNS1_3gpuE0ELNS1_3repE0EEENS1_30default_config_static_selectorELNS0_4arch9wavefront6targetE0EEEvSK_.kd
    .uniform_work_group_size: 1
    .uses_dynamic_stack: false
    .vgpr_count:     0
    .vgpr_spill_count: 0
    .wavefront_size: 32
    .workgroup_processor_mode: 1
  - .args:
      - .offset:         0
        .size:           64
        .value_kind:     by_value
    .group_segment_fixed_size: 0
    .kernarg_segment_align: 8
    .kernarg_segment_size: 64
    .language:       OpenCL C
    .language_version:
      - 2
      - 0
    .max_flat_workgroup_size: 256
    .name:           _ZN7rocprim17ROCPRIM_400000_NS6detail17trampoline_kernelINS0_14default_configENS1_37merge_sort_block_sort_config_selectorIsNS0_10empty_typeEEEZNS1_21merge_sort_block_sortIS3_N6thrust23THRUST_200600_302600_NS6detail15normal_iteratorINS9_10device_ptrIsEEEESE_PS5_SF_11less_div_10IsEEE10hipError_tT0_T1_T2_T3_mRjT4_P12ihipStream_tbNS1_7vsmem_tEEUlT_E_NS1_11comp_targetILNS1_3genE5ELNS1_11target_archE942ELNS1_3gpuE9ELNS1_3repE0EEENS1_30default_config_static_selectorELNS0_4arch9wavefront6targetE0EEEvSK_
    .private_segment_fixed_size: 0
    .sgpr_count:     0
    .sgpr_spill_count: 0
    .symbol:         _ZN7rocprim17ROCPRIM_400000_NS6detail17trampoline_kernelINS0_14default_configENS1_37merge_sort_block_sort_config_selectorIsNS0_10empty_typeEEEZNS1_21merge_sort_block_sortIS3_N6thrust23THRUST_200600_302600_NS6detail15normal_iteratorINS9_10device_ptrIsEEEESE_PS5_SF_11less_div_10IsEEE10hipError_tT0_T1_T2_T3_mRjT4_P12ihipStream_tbNS1_7vsmem_tEEUlT_E_NS1_11comp_targetILNS1_3genE5ELNS1_11target_archE942ELNS1_3gpuE9ELNS1_3repE0EEENS1_30default_config_static_selectorELNS0_4arch9wavefront6targetE0EEEvSK_.kd
    .uniform_work_group_size: 1
    .uses_dynamic_stack: false
    .vgpr_count:     0
    .vgpr_spill_count: 0
    .wavefront_size: 32
    .workgroup_processor_mode: 1
  - .args:
      - .offset:         0
        .size:           64
        .value_kind:     by_value
    .group_segment_fixed_size: 0
    .kernarg_segment_align: 8
    .kernarg_segment_size: 64
    .language:       OpenCL C
    .language_version:
      - 2
      - 0
    .max_flat_workgroup_size: 256
    .name:           _ZN7rocprim17ROCPRIM_400000_NS6detail17trampoline_kernelINS0_14default_configENS1_37merge_sort_block_sort_config_selectorIsNS0_10empty_typeEEEZNS1_21merge_sort_block_sortIS3_N6thrust23THRUST_200600_302600_NS6detail15normal_iteratorINS9_10device_ptrIsEEEESE_PS5_SF_11less_div_10IsEEE10hipError_tT0_T1_T2_T3_mRjT4_P12ihipStream_tbNS1_7vsmem_tEEUlT_E_NS1_11comp_targetILNS1_3genE4ELNS1_11target_archE910ELNS1_3gpuE8ELNS1_3repE0EEENS1_30default_config_static_selectorELNS0_4arch9wavefront6targetE0EEEvSK_
    .private_segment_fixed_size: 0
    .sgpr_count:     0
    .sgpr_spill_count: 0
    .symbol:         _ZN7rocprim17ROCPRIM_400000_NS6detail17trampoline_kernelINS0_14default_configENS1_37merge_sort_block_sort_config_selectorIsNS0_10empty_typeEEEZNS1_21merge_sort_block_sortIS3_N6thrust23THRUST_200600_302600_NS6detail15normal_iteratorINS9_10device_ptrIsEEEESE_PS5_SF_11less_div_10IsEEE10hipError_tT0_T1_T2_T3_mRjT4_P12ihipStream_tbNS1_7vsmem_tEEUlT_E_NS1_11comp_targetILNS1_3genE4ELNS1_11target_archE910ELNS1_3gpuE8ELNS1_3repE0EEENS1_30default_config_static_selectorELNS0_4arch9wavefront6targetE0EEEvSK_.kd
    .uniform_work_group_size: 1
    .uses_dynamic_stack: false
    .vgpr_count:     0
    .vgpr_spill_count: 0
    .wavefront_size: 32
    .workgroup_processor_mode: 1
  - .args:
      - .offset:         0
        .size:           64
        .value_kind:     by_value
    .group_segment_fixed_size: 0
    .kernarg_segment_align: 8
    .kernarg_segment_size: 64
    .language:       OpenCL C
    .language_version:
      - 2
      - 0
    .max_flat_workgroup_size: 256
    .name:           _ZN7rocprim17ROCPRIM_400000_NS6detail17trampoline_kernelINS0_14default_configENS1_37merge_sort_block_sort_config_selectorIsNS0_10empty_typeEEEZNS1_21merge_sort_block_sortIS3_N6thrust23THRUST_200600_302600_NS6detail15normal_iteratorINS9_10device_ptrIsEEEESE_PS5_SF_11less_div_10IsEEE10hipError_tT0_T1_T2_T3_mRjT4_P12ihipStream_tbNS1_7vsmem_tEEUlT_E_NS1_11comp_targetILNS1_3genE3ELNS1_11target_archE908ELNS1_3gpuE7ELNS1_3repE0EEENS1_30default_config_static_selectorELNS0_4arch9wavefront6targetE0EEEvSK_
    .private_segment_fixed_size: 0
    .sgpr_count:     0
    .sgpr_spill_count: 0
    .symbol:         _ZN7rocprim17ROCPRIM_400000_NS6detail17trampoline_kernelINS0_14default_configENS1_37merge_sort_block_sort_config_selectorIsNS0_10empty_typeEEEZNS1_21merge_sort_block_sortIS3_N6thrust23THRUST_200600_302600_NS6detail15normal_iteratorINS9_10device_ptrIsEEEESE_PS5_SF_11less_div_10IsEEE10hipError_tT0_T1_T2_T3_mRjT4_P12ihipStream_tbNS1_7vsmem_tEEUlT_E_NS1_11comp_targetILNS1_3genE3ELNS1_11target_archE908ELNS1_3gpuE7ELNS1_3repE0EEENS1_30default_config_static_selectorELNS0_4arch9wavefront6targetE0EEEvSK_.kd
    .uniform_work_group_size: 1
    .uses_dynamic_stack: false
    .vgpr_count:     0
    .vgpr_spill_count: 0
    .wavefront_size: 32
    .workgroup_processor_mode: 1
  - .args:
      - .offset:         0
        .size:           64
        .value_kind:     by_value
    .group_segment_fixed_size: 0
    .kernarg_segment_align: 8
    .kernarg_segment_size: 64
    .language:       OpenCL C
    .language_version:
      - 2
      - 0
    .max_flat_workgroup_size: 256
    .name:           _ZN7rocprim17ROCPRIM_400000_NS6detail17trampoline_kernelINS0_14default_configENS1_37merge_sort_block_sort_config_selectorIsNS0_10empty_typeEEEZNS1_21merge_sort_block_sortIS3_N6thrust23THRUST_200600_302600_NS6detail15normal_iteratorINS9_10device_ptrIsEEEESE_PS5_SF_11less_div_10IsEEE10hipError_tT0_T1_T2_T3_mRjT4_P12ihipStream_tbNS1_7vsmem_tEEUlT_E_NS1_11comp_targetILNS1_3genE2ELNS1_11target_archE906ELNS1_3gpuE6ELNS1_3repE0EEENS1_30default_config_static_selectorELNS0_4arch9wavefront6targetE0EEEvSK_
    .private_segment_fixed_size: 0
    .sgpr_count:     0
    .sgpr_spill_count: 0
    .symbol:         _ZN7rocprim17ROCPRIM_400000_NS6detail17trampoline_kernelINS0_14default_configENS1_37merge_sort_block_sort_config_selectorIsNS0_10empty_typeEEEZNS1_21merge_sort_block_sortIS3_N6thrust23THRUST_200600_302600_NS6detail15normal_iteratorINS9_10device_ptrIsEEEESE_PS5_SF_11less_div_10IsEEE10hipError_tT0_T1_T2_T3_mRjT4_P12ihipStream_tbNS1_7vsmem_tEEUlT_E_NS1_11comp_targetILNS1_3genE2ELNS1_11target_archE906ELNS1_3gpuE6ELNS1_3repE0EEENS1_30default_config_static_selectorELNS0_4arch9wavefront6targetE0EEEvSK_.kd
    .uniform_work_group_size: 1
    .uses_dynamic_stack: false
    .vgpr_count:     0
    .vgpr_spill_count: 0
    .wavefront_size: 32
    .workgroup_processor_mode: 1
  - .args:
      - .offset:         0
        .size:           64
        .value_kind:     by_value
    .group_segment_fixed_size: 0
    .kernarg_segment_align: 8
    .kernarg_segment_size: 64
    .language:       OpenCL C
    .language_version:
      - 2
      - 0
    .max_flat_workgroup_size: 256
    .name:           _ZN7rocprim17ROCPRIM_400000_NS6detail17trampoline_kernelINS0_14default_configENS1_37merge_sort_block_sort_config_selectorIsNS0_10empty_typeEEEZNS1_21merge_sort_block_sortIS3_N6thrust23THRUST_200600_302600_NS6detail15normal_iteratorINS9_10device_ptrIsEEEESE_PS5_SF_11less_div_10IsEEE10hipError_tT0_T1_T2_T3_mRjT4_P12ihipStream_tbNS1_7vsmem_tEEUlT_E_NS1_11comp_targetILNS1_3genE10ELNS1_11target_archE1201ELNS1_3gpuE5ELNS1_3repE0EEENS1_30default_config_static_selectorELNS0_4arch9wavefront6targetE0EEEvSK_
    .private_segment_fixed_size: 0
    .sgpr_count:     0
    .sgpr_spill_count: 0
    .symbol:         _ZN7rocprim17ROCPRIM_400000_NS6detail17trampoline_kernelINS0_14default_configENS1_37merge_sort_block_sort_config_selectorIsNS0_10empty_typeEEEZNS1_21merge_sort_block_sortIS3_N6thrust23THRUST_200600_302600_NS6detail15normal_iteratorINS9_10device_ptrIsEEEESE_PS5_SF_11less_div_10IsEEE10hipError_tT0_T1_T2_T3_mRjT4_P12ihipStream_tbNS1_7vsmem_tEEUlT_E_NS1_11comp_targetILNS1_3genE10ELNS1_11target_archE1201ELNS1_3gpuE5ELNS1_3repE0EEENS1_30default_config_static_selectorELNS0_4arch9wavefront6targetE0EEEvSK_.kd
    .uniform_work_group_size: 1
    .uses_dynamic_stack: false
    .vgpr_count:     0
    .vgpr_spill_count: 0
    .wavefront_size: 32
    .workgroup_processor_mode: 1
  - .args:
      - .offset:         0
        .size:           64
        .value_kind:     by_value
    .group_segment_fixed_size: 0
    .kernarg_segment_align: 8
    .kernarg_segment_size: 64
    .language:       OpenCL C
    .language_version:
      - 2
      - 0
    .max_flat_workgroup_size: 256
    .name:           _ZN7rocprim17ROCPRIM_400000_NS6detail17trampoline_kernelINS0_14default_configENS1_37merge_sort_block_sort_config_selectorIsNS0_10empty_typeEEEZNS1_21merge_sort_block_sortIS3_N6thrust23THRUST_200600_302600_NS6detail15normal_iteratorINS9_10device_ptrIsEEEESE_PS5_SF_11less_div_10IsEEE10hipError_tT0_T1_T2_T3_mRjT4_P12ihipStream_tbNS1_7vsmem_tEEUlT_E_NS1_11comp_targetILNS1_3genE10ELNS1_11target_archE1200ELNS1_3gpuE4ELNS1_3repE0EEENS1_30default_config_static_selectorELNS0_4arch9wavefront6targetE0EEEvSK_
    .private_segment_fixed_size: 0
    .sgpr_count:     0
    .sgpr_spill_count: 0
    .symbol:         _ZN7rocprim17ROCPRIM_400000_NS6detail17trampoline_kernelINS0_14default_configENS1_37merge_sort_block_sort_config_selectorIsNS0_10empty_typeEEEZNS1_21merge_sort_block_sortIS3_N6thrust23THRUST_200600_302600_NS6detail15normal_iteratorINS9_10device_ptrIsEEEESE_PS5_SF_11less_div_10IsEEE10hipError_tT0_T1_T2_T3_mRjT4_P12ihipStream_tbNS1_7vsmem_tEEUlT_E_NS1_11comp_targetILNS1_3genE10ELNS1_11target_archE1200ELNS1_3gpuE4ELNS1_3repE0EEENS1_30default_config_static_selectorELNS0_4arch9wavefront6targetE0EEEvSK_.kd
    .uniform_work_group_size: 1
    .uses_dynamic_stack: false
    .vgpr_count:     0
    .vgpr_spill_count: 0
    .wavefront_size: 32
    .workgroup_processor_mode: 1
  - .args:
      - .offset:         0
        .size:           64
        .value_kind:     by_value
    .group_segment_fixed_size: 0
    .kernarg_segment_align: 8
    .kernarg_segment_size: 64
    .language:       OpenCL C
    .language_version:
      - 2
      - 0
    .max_flat_workgroup_size: 256
    .name:           _ZN7rocprim17ROCPRIM_400000_NS6detail17trampoline_kernelINS0_14default_configENS1_37merge_sort_block_sort_config_selectorIsNS0_10empty_typeEEEZNS1_21merge_sort_block_sortIS3_N6thrust23THRUST_200600_302600_NS6detail15normal_iteratorINS9_10device_ptrIsEEEESE_PS5_SF_11less_div_10IsEEE10hipError_tT0_T1_T2_T3_mRjT4_P12ihipStream_tbNS1_7vsmem_tEEUlT_E_NS1_11comp_targetILNS1_3genE9ELNS1_11target_archE1100ELNS1_3gpuE3ELNS1_3repE0EEENS1_30default_config_static_selectorELNS0_4arch9wavefront6targetE0EEEvSK_
    .private_segment_fixed_size: 0
    .sgpr_count:     0
    .sgpr_spill_count: 0
    .symbol:         _ZN7rocprim17ROCPRIM_400000_NS6detail17trampoline_kernelINS0_14default_configENS1_37merge_sort_block_sort_config_selectorIsNS0_10empty_typeEEEZNS1_21merge_sort_block_sortIS3_N6thrust23THRUST_200600_302600_NS6detail15normal_iteratorINS9_10device_ptrIsEEEESE_PS5_SF_11less_div_10IsEEE10hipError_tT0_T1_T2_T3_mRjT4_P12ihipStream_tbNS1_7vsmem_tEEUlT_E_NS1_11comp_targetILNS1_3genE9ELNS1_11target_archE1100ELNS1_3gpuE3ELNS1_3repE0EEENS1_30default_config_static_selectorELNS0_4arch9wavefront6targetE0EEEvSK_.kd
    .uniform_work_group_size: 1
    .uses_dynamic_stack: false
    .vgpr_count:     0
    .vgpr_spill_count: 0
    .wavefront_size: 32
    .workgroup_processor_mode: 1
  - .args:
      - .offset:         0
        .size:           64
        .value_kind:     by_value
      - .offset:         64
        .size:           4
        .value_kind:     hidden_block_count_x
      - .offset:         68
        .size:           4
        .value_kind:     hidden_block_count_y
      - .offset:         72
        .size:           4
        .value_kind:     hidden_block_count_z
      - .offset:         76
        .size:           2
        .value_kind:     hidden_group_size_x
      - .offset:         78
        .size:           2
        .value_kind:     hidden_group_size_y
      - .offset:         80
        .size:           2
        .value_kind:     hidden_group_size_z
      - .offset:         82
        .size:           2
        .value_kind:     hidden_remainder_x
      - .offset:         84
        .size:           2
        .value_kind:     hidden_remainder_y
      - .offset:         86
        .size:           2
        .value_kind:     hidden_remainder_z
      - .offset:         104
        .size:           8
        .value_kind:     hidden_global_offset_x
      - .offset:         112
        .size:           8
        .value_kind:     hidden_global_offset_y
      - .offset:         120
        .size:           8
        .value_kind:     hidden_global_offset_z
      - .offset:         128
        .size:           2
        .value_kind:     hidden_grid_dims
    .group_segment_fixed_size: 16896
    .kernarg_segment_align: 8
    .kernarg_segment_size: 320
    .language:       OpenCL C
    .language_version:
      - 2
      - 0
    .max_flat_workgroup_size: 256
    .name:           _ZN7rocprim17ROCPRIM_400000_NS6detail17trampoline_kernelINS0_14default_configENS1_37merge_sort_block_sort_config_selectorIsNS0_10empty_typeEEEZNS1_21merge_sort_block_sortIS3_N6thrust23THRUST_200600_302600_NS6detail15normal_iteratorINS9_10device_ptrIsEEEESE_PS5_SF_11less_div_10IsEEE10hipError_tT0_T1_T2_T3_mRjT4_P12ihipStream_tbNS1_7vsmem_tEEUlT_E_NS1_11comp_targetILNS1_3genE8ELNS1_11target_archE1030ELNS1_3gpuE2ELNS1_3repE0EEENS1_30default_config_static_selectorELNS0_4arch9wavefront6targetE0EEEvSK_
    .private_segment_fixed_size: 132
    .sgpr_count:     98
    .sgpr_spill_count: 0
    .symbol:         _ZN7rocprim17ROCPRIM_400000_NS6detail17trampoline_kernelINS0_14default_configENS1_37merge_sort_block_sort_config_selectorIsNS0_10empty_typeEEEZNS1_21merge_sort_block_sortIS3_N6thrust23THRUST_200600_302600_NS6detail15normal_iteratorINS9_10device_ptrIsEEEESE_PS5_SF_11less_div_10IsEEE10hipError_tT0_T1_T2_T3_mRjT4_P12ihipStream_tbNS1_7vsmem_tEEUlT_E_NS1_11comp_targetILNS1_3genE8ELNS1_11target_archE1030ELNS1_3gpuE2ELNS1_3repE0EEENS1_30default_config_static_selectorELNS0_4arch9wavefront6targetE0EEEvSK_.kd
    .uniform_work_group_size: 1
    .uses_dynamic_stack: false
    .vgpr_count:     248
    .vgpr_spill_count: 0
    .wavefront_size: 32
    .workgroup_processor_mode: 1
  - .args:
      - .offset:         0
        .size:           48
        .value_kind:     by_value
    .group_segment_fixed_size: 0
    .kernarg_segment_align: 8
    .kernarg_segment_size: 48
    .language:       OpenCL C
    .language_version:
      - 2
      - 0
    .max_flat_workgroup_size: 128
    .name:           _ZN7rocprim17ROCPRIM_400000_NS6detail17trampoline_kernelINS0_14default_configENS1_38merge_sort_block_merge_config_selectorIsNS0_10empty_typeEEEZZNS1_27merge_sort_block_merge_implIS3_N6thrust23THRUST_200600_302600_NS6detail15normal_iteratorINS9_10device_ptrIsEEEEPS5_m11less_div_10IsEEE10hipError_tT0_T1_T2_jT3_P12ihipStream_tbPNSt15iterator_traitsISJ_E10value_typeEPNSP_ISK_E10value_typeEPSL_NS1_7vsmem_tEENKUlT_SJ_SK_SL_E_clIPsSE_SF_SF_EESI_SY_SJ_SK_SL_EUlSY_E_NS1_11comp_targetILNS1_3genE0ELNS1_11target_archE4294967295ELNS1_3gpuE0ELNS1_3repE0EEENS1_48merge_mergepath_partition_config_static_selectorELNS0_4arch9wavefront6targetE0EEEvSK_
    .private_segment_fixed_size: 0
    .sgpr_count:     0
    .sgpr_spill_count: 0
    .symbol:         _ZN7rocprim17ROCPRIM_400000_NS6detail17trampoline_kernelINS0_14default_configENS1_38merge_sort_block_merge_config_selectorIsNS0_10empty_typeEEEZZNS1_27merge_sort_block_merge_implIS3_N6thrust23THRUST_200600_302600_NS6detail15normal_iteratorINS9_10device_ptrIsEEEEPS5_m11less_div_10IsEEE10hipError_tT0_T1_T2_jT3_P12ihipStream_tbPNSt15iterator_traitsISJ_E10value_typeEPNSP_ISK_E10value_typeEPSL_NS1_7vsmem_tEENKUlT_SJ_SK_SL_E_clIPsSE_SF_SF_EESI_SY_SJ_SK_SL_EUlSY_E_NS1_11comp_targetILNS1_3genE0ELNS1_11target_archE4294967295ELNS1_3gpuE0ELNS1_3repE0EEENS1_48merge_mergepath_partition_config_static_selectorELNS0_4arch9wavefront6targetE0EEEvSK_.kd
    .uniform_work_group_size: 1
    .uses_dynamic_stack: false
    .vgpr_count:     0
    .vgpr_spill_count: 0
    .wavefront_size: 32
    .workgroup_processor_mode: 1
  - .args:
      - .offset:         0
        .size:           48
        .value_kind:     by_value
    .group_segment_fixed_size: 0
    .kernarg_segment_align: 8
    .kernarg_segment_size: 48
    .language:       OpenCL C
    .language_version:
      - 2
      - 0
    .max_flat_workgroup_size: 128
    .name:           _ZN7rocprim17ROCPRIM_400000_NS6detail17trampoline_kernelINS0_14default_configENS1_38merge_sort_block_merge_config_selectorIsNS0_10empty_typeEEEZZNS1_27merge_sort_block_merge_implIS3_N6thrust23THRUST_200600_302600_NS6detail15normal_iteratorINS9_10device_ptrIsEEEEPS5_m11less_div_10IsEEE10hipError_tT0_T1_T2_jT3_P12ihipStream_tbPNSt15iterator_traitsISJ_E10value_typeEPNSP_ISK_E10value_typeEPSL_NS1_7vsmem_tEENKUlT_SJ_SK_SL_E_clIPsSE_SF_SF_EESI_SY_SJ_SK_SL_EUlSY_E_NS1_11comp_targetILNS1_3genE10ELNS1_11target_archE1201ELNS1_3gpuE5ELNS1_3repE0EEENS1_48merge_mergepath_partition_config_static_selectorELNS0_4arch9wavefront6targetE0EEEvSK_
    .private_segment_fixed_size: 0
    .sgpr_count:     0
    .sgpr_spill_count: 0
    .symbol:         _ZN7rocprim17ROCPRIM_400000_NS6detail17trampoline_kernelINS0_14default_configENS1_38merge_sort_block_merge_config_selectorIsNS0_10empty_typeEEEZZNS1_27merge_sort_block_merge_implIS3_N6thrust23THRUST_200600_302600_NS6detail15normal_iteratorINS9_10device_ptrIsEEEEPS5_m11less_div_10IsEEE10hipError_tT0_T1_T2_jT3_P12ihipStream_tbPNSt15iterator_traitsISJ_E10value_typeEPNSP_ISK_E10value_typeEPSL_NS1_7vsmem_tEENKUlT_SJ_SK_SL_E_clIPsSE_SF_SF_EESI_SY_SJ_SK_SL_EUlSY_E_NS1_11comp_targetILNS1_3genE10ELNS1_11target_archE1201ELNS1_3gpuE5ELNS1_3repE0EEENS1_48merge_mergepath_partition_config_static_selectorELNS0_4arch9wavefront6targetE0EEEvSK_.kd
    .uniform_work_group_size: 1
    .uses_dynamic_stack: false
    .vgpr_count:     0
    .vgpr_spill_count: 0
    .wavefront_size: 32
    .workgroup_processor_mode: 1
  - .args:
      - .offset:         0
        .size:           48
        .value_kind:     by_value
    .group_segment_fixed_size: 0
    .kernarg_segment_align: 8
    .kernarg_segment_size: 48
    .language:       OpenCL C
    .language_version:
      - 2
      - 0
    .max_flat_workgroup_size: 128
    .name:           _ZN7rocprim17ROCPRIM_400000_NS6detail17trampoline_kernelINS0_14default_configENS1_38merge_sort_block_merge_config_selectorIsNS0_10empty_typeEEEZZNS1_27merge_sort_block_merge_implIS3_N6thrust23THRUST_200600_302600_NS6detail15normal_iteratorINS9_10device_ptrIsEEEEPS5_m11less_div_10IsEEE10hipError_tT0_T1_T2_jT3_P12ihipStream_tbPNSt15iterator_traitsISJ_E10value_typeEPNSP_ISK_E10value_typeEPSL_NS1_7vsmem_tEENKUlT_SJ_SK_SL_E_clIPsSE_SF_SF_EESI_SY_SJ_SK_SL_EUlSY_E_NS1_11comp_targetILNS1_3genE5ELNS1_11target_archE942ELNS1_3gpuE9ELNS1_3repE0EEENS1_48merge_mergepath_partition_config_static_selectorELNS0_4arch9wavefront6targetE0EEEvSK_
    .private_segment_fixed_size: 0
    .sgpr_count:     0
    .sgpr_spill_count: 0
    .symbol:         _ZN7rocprim17ROCPRIM_400000_NS6detail17trampoline_kernelINS0_14default_configENS1_38merge_sort_block_merge_config_selectorIsNS0_10empty_typeEEEZZNS1_27merge_sort_block_merge_implIS3_N6thrust23THRUST_200600_302600_NS6detail15normal_iteratorINS9_10device_ptrIsEEEEPS5_m11less_div_10IsEEE10hipError_tT0_T1_T2_jT3_P12ihipStream_tbPNSt15iterator_traitsISJ_E10value_typeEPNSP_ISK_E10value_typeEPSL_NS1_7vsmem_tEENKUlT_SJ_SK_SL_E_clIPsSE_SF_SF_EESI_SY_SJ_SK_SL_EUlSY_E_NS1_11comp_targetILNS1_3genE5ELNS1_11target_archE942ELNS1_3gpuE9ELNS1_3repE0EEENS1_48merge_mergepath_partition_config_static_selectorELNS0_4arch9wavefront6targetE0EEEvSK_.kd
    .uniform_work_group_size: 1
    .uses_dynamic_stack: false
    .vgpr_count:     0
    .vgpr_spill_count: 0
    .wavefront_size: 32
    .workgroup_processor_mode: 1
  - .args:
      - .offset:         0
        .size:           48
        .value_kind:     by_value
    .group_segment_fixed_size: 0
    .kernarg_segment_align: 8
    .kernarg_segment_size: 48
    .language:       OpenCL C
    .language_version:
      - 2
      - 0
    .max_flat_workgroup_size: 128
    .name:           _ZN7rocprim17ROCPRIM_400000_NS6detail17trampoline_kernelINS0_14default_configENS1_38merge_sort_block_merge_config_selectorIsNS0_10empty_typeEEEZZNS1_27merge_sort_block_merge_implIS3_N6thrust23THRUST_200600_302600_NS6detail15normal_iteratorINS9_10device_ptrIsEEEEPS5_m11less_div_10IsEEE10hipError_tT0_T1_T2_jT3_P12ihipStream_tbPNSt15iterator_traitsISJ_E10value_typeEPNSP_ISK_E10value_typeEPSL_NS1_7vsmem_tEENKUlT_SJ_SK_SL_E_clIPsSE_SF_SF_EESI_SY_SJ_SK_SL_EUlSY_E_NS1_11comp_targetILNS1_3genE4ELNS1_11target_archE910ELNS1_3gpuE8ELNS1_3repE0EEENS1_48merge_mergepath_partition_config_static_selectorELNS0_4arch9wavefront6targetE0EEEvSK_
    .private_segment_fixed_size: 0
    .sgpr_count:     0
    .sgpr_spill_count: 0
    .symbol:         _ZN7rocprim17ROCPRIM_400000_NS6detail17trampoline_kernelINS0_14default_configENS1_38merge_sort_block_merge_config_selectorIsNS0_10empty_typeEEEZZNS1_27merge_sort_block_merge_implIS3_N6thrust23THRUST_200600_302600_NS6detail15normal_iteratorINS9_10device_ptrIsEEEEPS5_m11less_div_10IsEEE10hipError_tT0_T1_T2_jT3_P12ihipStream_tbPNSt15iterator_traitsISJ_E10value_typeEPNSP_ISK_E10value_typeEPSL_NS1_7vsmem_tEENKUlT_SJ_SK_SL_E_clIPsSE_SF_SF_EESI_SY_SJ_SK_SL_EUlSY_E_NS1_11comp_targetILNS1_3genE4ELNS1_11target_archE910ELNS1_3gpuE8ELNS1_3repE0EEENS1_48merge_mergepath_partition_config_static_selectorELNS0_4arch9wavefront6targetE0EEEvSK_.kd
    .uniform_work_group_size: 1
    .uses_dynamic_stack: false
    .vgpr_count:     0
    .vgpr_spill_count: 0
    .wavefront_size: 32
    .workgroup_processor_mode: 1
  - .args:
      - .offset:         0
        .size:           48
        .value_kind:     by_value
    .group_segment_fixed_size: 0
    .kernarg_segment_align: 8
    .kernarg_segment_size: 48
    .language:       OpenCL C
    .language_version:
      - 2
      - 0
    .max_flat_workgroup_size: 128
    .name:           _ZN7rocprim17ROCPRIM_400000_NS6detail17trampoline_kernelINS0_14default_configENS1_38merge_sort_block_merge_config_selectorIsNS0_10empty_typeEEEZZNS1_27merge_sort_block_merge_implIS3_N6thrust23THRUST_200600_302600_NS6detail15normal_iteratorINS9_10device_ptrIsEEEEPS5_m11less_div_10IsEEE10hipError_tT0_T1_T2_jT3_P12ihipStream_tbPNSt15iterator_traitsISJ_E10value_typeEPNSP_ISK_E10value_typeEPSL_NS1_7vsmem_tEENKUlT_SJ_SK_SL_E_clIPsSE_SF_SF_EESI_SY_SJ_SK_SL_EUlSY_E_NS1_11comp_targetILNS1_3genE3ELNS1_11target_archE908ELNS1_3gpuE7ELNS1_3repE0EEENS1_48merge_mergepath_partition_config_static_selectorELNS0_4arch9wavefront6targetE0EEEvSK_
    .private_segment_fixed_size: 0
    .sgpr_count:     0
    .sgpr_spill_count: 0
    .symbol:         _ZN7rocprim17ROCPRIM_400000_NS6detail17trampoline_kernelINS0_14default_configENS1_38merge_sort_block_merge_config_selectorIsNS0_10empty_typeEEEZZNS1_27merge_sort_block_merge_implIS3_N6thrust23THRUST_200600_302600_NS6detail15normal_iteratorINS9_10device_ptrIsEEEEPS5_m11less_div_10IsEEE10hipError_tT0_T1_T2_jT3_P12ihipStream_tbPNSt15iterator_traitsISJ_E10value_typeEPNSP_ISK_E10value_typeEPSL_NS1_7vsmem_tEENKUlT_SJ_SK_SL_E_clIPsSE_SF_SF_EESI_SY_SJ_SK_SL_EUlSY_E_NS1_11comp_targetILNS1_3genE3ELNS1_11target_archE908ELNS1_3gpuE7ELNS1_3repE0EEENS1_48merge_mergepath_partition_config_static_selectorELNS0_4arch9wavefront6targetE0EEEvSK_.kd
    .uniform_work_group_size: 1
    .uses_dynamic_stack: false
    .vgpr_count:     0
    .vgpr_spill_count: 0
    .wavefront_size: 32
    .workgroup_processor_mode: 1
  - .args:
      - .offset:         0
        .size:           48
        .value_kind:     by_value
    .group_segment_fixed_size: 0
    .kernarg_segment_align: 8
    .kernarg_segment_size: 48
    .language:       OpenCL C
    .language_version:
      - 2
      - 0
    .max_flat_workgroup_size: 128
    .name:           _ZN7rocprim17ROCPRIM_400000_NS6detail17trampoline_kernelINS0_14default_configENS1_38merge_sort_block_merge_config_selectorIsNS0_10empty_typeEEEZZNS1_27merge_sort_block_merge_implIS3_N6thrust23THRUST_200600_302600_NS6detail15normal_iteratorINS9_10device_ptrIsEEEEPS5_m11less_div_10IsEEE10hipError_tT0_T1_T2_jT3_P12ihipStream_tbPNSt15iterator_traitsISJ_E10value_typeEPNSP_ISK_E10value_typeEPSL_NS1_7vsmem_tEENKUlT_SJ_SK_SL_E_clIPsSE_SF_SF_EESI_SY_SJ_SK_SL_EUlSY_E_NS1_11comp_targetILNS1_3genE2ELNS1_11target_archE906ELNS1_3gpuE6ELNS1_3repE0EEENS1_48merge_mergepath_partition_config_static_selectorELNS0_4arch9wavefront6targetE0EEEvSK_
    .private_segment_fixed_size: 0
    .sgpr_count:     0
    .sgpr_spill_count: 0
    .symbol:         _ZN7rocprim17ROCPRIM_400000_NS6detail17trampoline_kernelINS0_14default_configENS1_38merge_sort_block_merge_config_selectorIsNS0_10empty_typeEEEZZNS1_27merge_sort_block_merge_implIS3_N6thrust23THRUST_200600_302600_NS6detail15normal_iteratorINS9_10device_ptrIsEEEEPS5_m11less_div_10IsEEE10hipError_tT0_T1_T2_jT3_P12ihipStream_tbPNSt15iterator_traitsISJ_E10value_typeEPNSP_ISK_E10value_typeEPSL_NS1_7vsmem_tEENKUlT_SJ_SK_SL_E_clIPsSE_SF_SF_EESI_SY_SJ_SK_SL_EUlSY_E_NS1_11comp_targetILNS1_3genE2ELNS1_11target_archE906ELNS1_3gpuE6ELNS1_3repE0EEENS1_48merge_mergepath_partition_config_static_selectorELNS0_4arch9wavefront6targetE0EEEvSK_.kd
    .uniform_work_group_size: 1
    .uses_dynamic_stack: false
    .vgpr_count:     0
    .vgpr_spill_count: 0
    .wavefront_size: 32
    .workgroup_processor_mode: 1
  - .args:
      - .offset:         0
        .size:           48
        .value_kind:     by_value
    .group_segment_fixed_size: 0
    .kernarg_segment_align: 8
    .kernarg_segment_size: 48
    .language:       OpenCL C
    .language_version:
      - 2
      - 0
    .max_flat_workgroup_size: 128
    .name:           _ZN7rocprim17ROCPRIM_400000_NS6detail17trampoline_kernelINS0_14default_configENS1_38merge_sort_block_merge_config_selectorIsNS0_10empty_typeEEEZZNS1_27merge_sort_block_merge_implIS3_N6thrust23THRUST_200600_302600_NS6detail15normal_iteratorINS9_10device_ptrIsEEEEPS5_m11less_div_10IsEEE10hipError_tT0_T1_T2_jT3_P12ihipStream_tbPNSt15iterator_traitsISJ_E10value_typeEPNSP_ISK_E10value_typeEPSL_NS1_7vsmem_tEENKUlT_SJ_SK_SL_E_clIPsSE_SF_SF_EESI_SY_SJ_SK_SL_EUlSY_E_NS1_11comp_targetILNS1_3genE9ELNS1_11target_archE1100ELNS1_3gpuE3ELNS1_3repE0EEENS1_48merge_mergepath_partition_config_static_selectorELNS0_4arch9wavefront6targetE0EEEvSK_
    .private_segment_fixed_size: 0
    .sgpr_count:     0
    .sgpr_spill_count: 0
    .symbol:         _ZN7rocprim17ROCPRIM_400000_NS6detail17trampoline_kernelINS0_14default_configENS1_38merge_sort_block_merge_config_selectorIsNS0_10empty_typeEEEZZNS1_27merge_sort_block_merge_implIS3_N6thrust23THRUST_200600_302600_NS6detail15normal_iteratorINS9_10device_ptrIsEEEEPS5_m11less_div_10IsEEE10hipError_tT0_T1_T2_jT3_P12ihipStream_tbPNSt15iterator_traitsISJ_E10value_typeEPNSP_ISK_E10value_typeEPSL_NS1_7vsmem_tEENKUlT_SJ_SK_SL_E_clIPsSE_SF_SF_EESI_SY_SJ_SK_SL_EUlSY_E_NS1_11comp_targetILNS1_3genE9ELNS1_11target_archE1100ELNS1_3gpuE3ELNS1_3repE0EEENS1_48merge_mergepath_partition_config_static_selectorELNS0_4arch9wavefront6targetE0EEEvSK_.kd
    .uniform_work_group_size: 1
    .uses_dynamic_stack: false
    .vgpr_count:     0
    .vgpr_spill_count: 0
    .wavefront_size: 32
    .workgroup_processor_mode: 1
  - .args:
      - .offset:         0
        .size:           48
        .value_kind:     by_value
    .group_segment_fixed_size: 0
    .kernarg_segment_align: 8
    .kernarg_segment_size: 48
    .language:       OpenCL C
    .language_version:
      - 2
      - 0
    .max_flat_workgroup_size: 128
    .name:           _ZN7rocprim17ROCPRIM_400000_NS6detail17trampoline_kernelINS0_14default_configENS1_38merge_sort_block_merge_config_selectorIsNS0_10empty_typeEEEZZNS1_27merge_sort_block_merge_implIS3_N6thrust23THRUST_200600_302600_NS6detail15normal_iteratorINS9_10device_ptrIsEEEEPS5_m11less_div_10IsEEE10hipError_tT0_T1_T2_jT3_P12ihipStream_tbPNSt15iterator_traitsISJ_E10value_typeEPNSP_ISK_E10value_typeEPSL_NS1_7vsmem_tEENKUlT_SJ_SK_SL_E_clIPsSE_SF_SF_EESI_SY_SJ_SK_SL_EUlSY_E_NS1_11comp_targetILNS1_3genE8ELNS1_11target_archE1030ELNS1_3gpuE2ELNS1_3repE0EEENS1_48merge_mergepath_partition_config_static_selectorELNS0_4arch9wavefront6targetE0EEEvSK_
    .private_segment_fixed_size: 0
    .sgpr_count:     10
    .sgpr_spill_count: 0
    .symbol:         _ZN7rocprim17ROCPRIM_400000_NS6detail17trampoline_kernelINS0_14default_configENS1_38merge_sort_block_merge_config_selectorIsNS0_10empty_typeEEEZZNS1_27merge_sort_block_merge_implIS3_N6thrust23THRUST_200600_302600_NS6detail15normal_iteratorINS9_10device_ptrIsEEEEPS5_m11less_div_10IsEEE10hipError_tT0_T1_T2_jT3_P12ihipStream_tbPNSt15iterator_traitsISJ_E10value_typeEPNSP_ISK_E10value_typeEPSL_NS1_7vsmem_tEENKUlT_SJ_SK_SL_E_clIPsSE_SF_SF_EESI_SY_SJ_SK_SL_EUlSY_E_NS1_11comp_targetILNS1_3genE8ELNS1_11target_archE1030ELNS1_3gpuE2ELNS1_3repE0EEENS1_48merge_mergepath_partition_config_static_selectorELNS0_4arch9wavefront6targetE0EEEvSK_.kd
    .uniform_work_group_size: 1
    .uses_dynamic_stack: false
    .vgpr_count:     18
    .vgpr_spill_count: 0
    .wavefront_size: 32
    .workgroup_processor_mode: 1
  - .args:
      - .offset:         0
        .size:           72
        .value_kind:     by_value
    .group_segment_fixed_size: 0
    .kernarg_segment_align: 8
    .kernarg_segment_size: 72
    .language:       OpenCL C
    .language_version:
      - 2
      - 0
    .max_flat_workgroup_size: 128
    .name:           _ZN7rocprim17ROCPRIM_400000_NS6detail17trampoline_kernelINS0_14default_configENS1_38merge_sort_block_merge_config_selectorIsNS0_10empty_typeEEEZZNS1_27merge_sort_block_merge_implIS3_N6thrust23THRUST_200600_302600_NS6detail15normal_iteratorINS9_10device_ptrIsEEEEPS5_m11less_div_10IsEEE10hipError_tT0_T1_T2_jT3_P12ihipStream_tbPNSt15iterator_traitsISJ_E10value_typeEPNSP_ISK_E10value_typeEPSL_NS1_7vsmem_tEENKUlT_SJ_SK_SL_E_clIPsSE_SF_SF_EESI_SY_SJ_SK_SL_EUlSY_E0_NS1_11comp_targetILNS1_3genE0ELNS1_11target_archE4294967295ELNS1_3gpuE0ELNS1_3repE0EEENS1_38merge_mergepath_config_static_selectorELNS0_4arch9wavefront6targetE0EEEvSK_
    .private_segment_fixed_size: 0
    .sgpr_count:     0
    .sgpr_spill_count: 0
    .symbol:         _ZN7rocprim17ROCPRIM_400000_NS6detail17trampoline_kernelINS0_14default_configENS1_38merge_sort_block_merge_config_selectorIsNS0_10empty_typeEEEZZNS1_27merge_sort_block_merge_implIS3_N6thrust23THRUST_200600_302600_NS6detail15normal_iteratorINS9_10device_ptrIsEEEEPS5_m11less_div_10IsEEE10hipError_tT0_T1_T2_jT3_P12ihipStream_tbPNSt15iterator_traitsISJ_E10value_typeEPNSP_ISK_E10value_typeEPSL_NS1_7vsmem_tEENKUlT_SJ_SK_SL_E_clIPsSE_SF_SF_EESI_SY_SJ_SK_SL_EUlSY_E0_NS1_11comp_targetILNS1_3genE0ELNS1_11target_archE4294967295ELNS1_3gpuE0ELNS1_3repE0EEENS1_38merge_mergepath_config_static_selectorELNS0_4arch9wavefront6targetE0EEEvSK_.kd
    .uniform_work_group_size: 1
    .uses_dynamic_stack: false
    .vgpr_count:     0
    .vgpr_spill_count: 0
    .wavefront_size: 32
    .workgroup_processor_mode: 1
  - .args:
      - .offset:         0
        .size:           72
        .value_kind:     by_value
    .group_segment_fixed_size: 0
    .kernarg_segment_align: 8
    .kernarg_segment_size: 72
    .language:       OpenCL C
    .language_version:
      - 2
      - 0
    .max_flat_workgroup_size: 128
    .name:           _ZN7rocprim17ROCPRIM_400000_NS6detail17trampoline_kernelINS0_14default_configENS1_38merge_sort_block_merge_config_selectorIsNS0_10empty_typeEEEZZNS1_27merge_sort_block_merge_implIS3_N6thrust23THRUST_200600_302600_NS6detail15normal_iteratorINS9_10device_ptrIsEEEEPS5_m11less_div_10IsEEE10hipError_tT0_T1_T2_jT3_P12ihipStream_tbPNSt15iterator_traitsISJ_E10value_typeEPNSP_ISK_E10value_typeEPSL_NS1_7vsmem_tEENKUlT_SJ_SK_SL_E_clIPsSE_SF_SF_EESI_SY_SJ_SK_SL_EUlSY_E0_NS1_11comp_targetILNS1_3genE10ELNS1_11target_archE1201ELNS1_3gpuE5ELNS1_3repE0EEENS1_38merge_mergepath_config_static_selectorELNS0_4arch9wavefront6targetE0EEEvSK_
    .private_segment_fixed_size: 0
    .sgpr_count:     0
    .sgpr_spill_count: 0
    .symbol:         _ZN7rocprim17ROCPRIM_400000_NS6detail17trampoline_kernelINS0_14default_configENS1_38merge_sort_block_merge_config_selectorIsNS0_10empty_typeEEEZZNS1_27merge_sort_block_merge_implIS3_N6thrust23THRUST_200600_302600_NS6detail15normal_iteratorINS9_10device_ptrIsEEEEPS5_m11less_div_10IsEEE10hipError_tT0_T1_T2_jT3_P12ihipStream_tbPNSt15iterator_traitsISJ_E10value_typeEPNSP_ISK_E10value_typeEPSL_NS1_7vsmem_tEENKUlT_SJ_SK_SL_E_clIPsSE_SF_SF_EESI_SY_SJ_SK_SL_EUlSY_E0_NS1_11comp_targetILNS1_3genE10ELNS1_11target_archE1201ELNS1_3gpuE5ELNS1_3repE0EEENS1_38merge_mergepath_config_static_selectorELNS0_4arch9wavefront6targetE0EEEvSK_.kd
    .uniform_work_group_size: 1
    .uses_dynamic_stack: false
    .vgpr_count:     0
    .vgpr_spill_count: 0
    .wavefront_size: 32
    .workgroup_processor_mode: 1
  - .args:
      - .offset:         0
        .size:           72
        .value_kind:     by_value
    .group_segment_fixed_size: 0
    .kernarg_segment_align: 8
    .kernarg_segment_size: 72
    .language:       OpenCL C
    .language_version:
      - 2
      - 0
    .max_flat_workgroup_size: 128
    .name:           _ZN7rocprim17ROCPRIM_400000_NS6detail17trampoline_kernelINS0_14default_configENS1_38merge_sort_block_merge_config_selectorIsNS0_10empty_typeEEEZZNS1_27merge_sort_block_merge_implIS3_N6thrust23THRUST_200600_302600_NS6detail15normal_iteratorINS9_10device_ptrIsEEEEPS5_m11less_div_10IsEEE10hipError_tT0_T1_T2_jT3_P12ihipStream_tbPNSt15iterator_traitsISJ_E10value_typeEPNSP_ISK_E10value_typeEPSL_NS1_7vsmem_tEENKUlT_SJ_SK_SL_E_clIPsSE_SF_SF_EESI_SY_SJ_SK_SL_EUlSY_E0_NS1_11comp_targetILNS1_3genE5ELNS1_11target_archE942ELNS1_3gpuE9ELNS1_3repE0EEENS1_38merge_mergepath_config_static_selectorELNS0_4arch9wavefront6targetE0EEEvSK_
    .private_segment_fixed_size: 0
    .sgpr_count:     0
    .sgpr_spill_count: 0
    .symbol:         _ZN7rocprim17ROCPRIM_400000_NS6detail17trampoline_kernelINS0_14default_configENS1_38merge_sort_block_merge_config_selectorIsNS0_10empty_typeEEEZZNS1_27merge_sort_block_merge_implIS3_N6thrust23THRUST_200600_302600_NS6detail15normal_iteratorINS9_10device_ptrIsEEEEPS5_m11less_div_10IsEEE10hipError_tT0_T1_T2_jT3_P12ihipStream_tbPNSt15iterator_traitsISJ_E10value_typeEPNSP_ISK_E10value_typeEPSL_NS1_7vsmem_tEENKUlT_SJ_SK_SL_E_clIPsSE_SF_SF_EESI_SY_SJ_SK_SL_EUlSY_E0_NS1_11comp_targetILNS1_3genE5ELNS1_11target_archE942ELNS1_3gpuE9ELNS1_3repE0EEENS1_38merge_mergepath_config_static_selectorELNS0_4arch9wavefront6targetE0EEEvSK_.kd
    .uniform_work_group_size: 1
    .uses_dynamic_stack: false
    .vgpr_count:     0
    .vgpr_spill_count: 0
    .wavefront_size: 32
    .workgroup_processor_mode: 1
  - .args:
      - .offset:         0
        .size:           72
        .value_kind:     by_value
    .group_segment_fixed_size: 0
    .kernarg_segment_align: 8
    .kernarg_segment_size: 72
    .language:       OpenCL C
    .language_version:
      - 2
      - 0
    .max_flat_workgroup_size: 128
    .name:           _ZN7rocprim17ROCPRIM_400000_NS6detail17trampoline_kernelINS0_14default_configENS1_38merge_sort_block_merge_config_selectorIsNS0_10empty_typeEEEZZNS1_27merge_sort_block_merge_implIS3_N6thrust23THRUST_200600_302600_NS6detail15normal_iteratorINS9_10device_ptrIsEEEEPS5_m11less_div_10IsEEE10hipError_tT0_T1_T2_jT3_P12ihipStream_tbPNSt15iterator_traitsISJ_E10value_typeEPNSP_ISK_E10value_typeEPSL_NS1_7vsmem_tEENKUlT_SJ_SK_SL_E_clIPsSE_SF_SF_EESI_SY_SJ_SK_SL_EUlSY_E0_NS1_11comp_targetILNS1_3genE4ELNS1_11target_archE910ELNS1_3gpuE8ELNS1_3repE0EEENS1_38merge_mergepath_config_static_selectorELNS0_4arch9wavefront6targetE0EEEvSK_
    .private_segment_fixed_size: 0
    .sgpr_count:     0
    .sgpr_spill_count: 0
    .symbol:         _ZN7rocprim17ROCPRIM_400000_NS6detail17trampoline_kernelINS0_14default_configENS1_38merge_sort_block_merge_config_selectorIsNS0_10empty_typeEEEZZNS1_27merge_sort_block_merge_implIS3_N6thrust23THRUST_200600_302600_NS6detail15normal_iteratorINS9_10device_ptrIsEEEEPS5_m11less_div_10IsEEE10hipError_tT0_T1_T2_jT3_P12ihipStream_tbPNSt15iterator_traitsISJ_E10value_typeEPNSP_ISK_E10value_typeEPSL_NS1_7vsmem_tEENKUlT_SJ_SK_SL_E_clIPsSE_SF_SF_EESI_SY_SJ_SK_SL_EUlSY_E0_NS1_11comp_targetILNS1_3genE4ELNS1_11target_archE910ELNS1_3gpuE8ELNS1_3repE0EEENS1_38merge_mergepath_config_static_selectorELNS0_4arch9wavefront6targetE0EEEvSK_.kd
    .uniform_work_group_size: 1
    .uses_dynamic_stack: false
    .vgpr_count:     0
    .vgpr_spill_count: 0
    .wavefront_size: 32
    .workgroup_processor_mode: 1
  - .args:
      - .offset:         0
        .size:           72
        .value_kind:     by_value
    .group_segment_fixed_size: 0
    .kernarg_segment_align: 8
    .kernarg_segment_size: 72
    .language:       OpenCL C
    .language_version:
      - 2
      - 0
    .max_flat_workgroup_size: 128
    .name:           _ZN7rocprim17ROCPRIM_400000_NS6detail17trampoline_kernelINS0_14default_configENS1_38merge_sort_block_merge_config_selectorIsNS0_10empty_typeEEEZZNS1_27merge_sort_block_merge_implIS3_N6thrust23THRUST_200600_302600_NS6detail15normal_iteratorINS9_10device_ptrIsEEEEPS5_m11less_div_10IsEEE10hipError_tT0_T1_T2_jT3_P12ihipStream_tbPNSt15iterator_traitsISJ_E10value_typeEPNSP_ISK_E10value_typeEPSL_NS1_7vsmem_tEENKUlT_SJ_SK_SL_E_clIPsSE_SF_SF_EESI_SY_SJ_SK_SL_EUlSY_E0_NS1_11comp_targetILNS1_3genE3ELNS1_11target_archE908ELNS1_3gpuE7ELNS1_3repE0EEENS1_38merge_mergepath_config_static_selectorELNS0_4arch9wavefront6targetE0EEEvSK_
    .private_segment_fixed_size: 0
    .sgpr_count:     0
    .sgpr_spill_count: 0
    .symbol:         _ZN7rocprim17ROCPRIM_400000_NS6detail17trampoline_kernelINS0_14default_configENS1_38merge_sort_block_merge_config_selectorIsNS0_10empty_typeEEEZZNS1_27merge_sort_block_merge_implIS3_N6thrust23THRUST_200600_302600_NS6detail15normal_iteratorINS9_10device_ptrIsEEEEPS5_m11less_div_10IsEEE10hipError_tT0_T1_T2_jT3_P12ihipStream_tbPNSt15iterator_traitsISJ_E10value_typeEPNSP_ISK_E10value_typeEPSL_NS1_7vsmem_tEENKUlT_SJ_SK_SL_E_clIPsSE_SF_SF_EESI_SY_SJ_SK_SL_EUlSY_E0_NS1_11comp_targetILNS1_3genE3ELNS1_11target_archE908ELNS1_3gpuE7ELNS1_3repE0EEENS1_38merge_mergepath_config_static_selectorELNS0_4arch9wavefront6targetE0EEEvSK_.kd
    .uniform_work_group_size: 1
    .uses_dynamic_stack: false
    .vgpr_count:     0
    .vgpr_spill_count: 0
    .wavefront_size: 32
    .workgroup_processor_mode: 1
  - .args:
      - .offset:         0
        .size:           72
        .value_kind:     by_value
    .group_segment_fixed_size: 0
    .kernarg_segment_align: 8
    .kernarg_segment_size: 72
    .language:       OpenCL C
    .language_version:
      - 2
      - 0
    .max_flat_workgroup_size: 128
    .name:           _ZN7rocprim17ROCPRIM_400000_NS6detail17trampoline_kernelINS0_14default_configENS1_38merge_sort_block_merge_config_selectorIsNS0_10empty_typeEEEZZNS1_27merge_sort_block_merge_implIS3_N6thrust23THRUST_200600_302600_NS6detail15normal_iteratorINS9_10device_ptrIsEEEEPS5_m11less_div_10IsEEE10hipError_tT0_T1_T2_jT3_P12ihipStream_tbPNSt15iterator_traitsISJ_E10value_typeEPNSP_ISK_E10value_typeEPSL_NS1_7vsmem_tEENKUlT_SJ_SK_SL_E_clIPsSE_SF_SF_EESI_SY_SJ_SK_SL_EUlSY_E0_NS1_11comp_targetILNS1_3genE2ELNS1_11target_archE906ELNS1_3gpuE6ELNS1_3repE0EEENS1_38merge_mergepath_config_static_selectorELNS0_4arch9wavefront6targetE0EEEvSK_
    .private_segment_fixed_size: 0
    .sgpr_count:     0
    .sgpr_spill_count: 0
    .symbol:         _ZN7rocprim17ROCPRIM_400000_NS6detail17trampoline_kernelINS0_14default_configENS1_38merge_sort_block_merge_config_selectorIsNS0_10empty_typeEEEZZNS1_27merge_sort_block_merge_implIS3_N6thrust23THRUST_200600_302600_NS6detail15normal_iteratorINS9_10device_ptrIsEEEEPS5_m11less_div_10IsEEE10hipError_tT0_T1_T2_jT3_P12ihipStream_tbPNSt15iterator_traitsISJ_E10value_typeEPNSP_ISK_E10value_typeEPSL_NS1_7vsmem_tEENKUlT_SJ_SK_SL_E_clIPsSE_SF_SF_EESI_SY_SJ_SK_SL_EUlSY_E0_NS1_11comp_targetILNS1_3genE2ELNS1_11target_archE906ELNS1_3gpuE6ELNS1_3repE0EEENS1_38merge_mergepath_config_static_selectorELNS0_4arch9wavefront6targetE0EEEvSK_.kd
    .uniform_work_group_size: 1
    .uses_dynamic_stack: false
    .vgpr_count:     0
    .vgpr_spill_count: 0
    .wavefront_size: 32
    .workgroup_processor_mode: 1
  - .args:
      - .offset:         0
        .size:           72
        .value_kind:     by_value
    .group_segment_fixed_size: 0
    .kernarg_segment_align: 8
    .kernarg_segment_size: 72
    .language:       OpenCL C
    .language_version:
      - 2
      - 0
    .max_flat_workgroup_size: 128
    .name:           _ZN7rocprim17ROCPRIM_400000_NS6detail17trampoline_kernelINS0_14default_configENS1_38merge_sort_block_merge_config_selectorIsNS0_10empty_typeEEEZZNS1_27merge_sort_block_merge_implIS3_N6thrust23THRUST_200600_302600_NS6detail15normal_iteratorINS9_10device_ptrIsEEEEPS5_m11less_div_10IsEEE10hipError_tT0_T1_T2_jT3_P12ihipStream_tbPNSt15iterator_traitsISJ_E10value_typeEPNSP_ISK_E10value_typeEPSL_NS1_7vsmem_tEENKUlT_SJ_SK_SL_E_clIPsSE_SF_SF_EESI_SY_SJ_SK_SL_EUlSY_E0_NS1_11comp_targetILNS1_3genE9ELNS1_11target_archE1100ELNS1_3gpuE3ELNS1_3repE0EEENS1_38merge_mergepath_config_static_selectorELNS0_4arch9wavefront6targetE0EEEvSK_
    .private_segment_fixed_size: 0
    .sgpr_count:     0
    .sgpr_spill_count: 0
    .symbol:         _ZN7rocprim17ROCPRIM_400000_NS6detail17trampoline_kernelINS0_14default_configENS1_38merge_sort_block_merge_config_selectorIsNS0_10empty_typeEEEZZNS1_27merge_sort_block_merge_implIS3_N6thrust23THRUST_200600_302600_NS6detail15normal_iteratorINS9_10device_ptrIsEEEEPS5_m11less_div_10IsEEE10hipError_tT0_T1_T2_jT3_P12ihipStream_tbPNSt15iterator_traitsISJ_E10value_typeEPNSP_ISK_E10value_typeEPSL_NS1_7vsmem_tEENKUlT_SJ_SK_SL_E_clIPsSE_SF_SF_EESI_SY_SJ_SK_SL_EUlSY_E0_NS1_11comp_targetILNS1_3genE9ELNS1_11target_archE1100ELNS1_3gpuE3ELNS1_3repE0EEENS1_38merge_mergepath_config_static_selectorELNS0_4arch9wavefront6targetE0EEEvSK_.kd
    .uniform_work_group_size: 1
    .uses_dynamic_stack: false
    .vgpr_count:     0
    .vgpr_spill_count: 0
    .wavefront_size: 32
    .workgroup_processor_mode: 1
  - .args:
      - .offset:         0
        .size:           72
        .value_kind:     by_value
      - .offset:         72
        .size:           4
        .value_kind:     hidden_block_count_x
      - .offset:         76
        .size:           4
        .value_kind:     hidden_block_count_y
      - .offset:         80
        .size:           4
        .value_kind:     hidden_block_count_z
      - .offset:         84
        .size:           2
        .value_kind:     hidden_group_size_x
      - .offset:         86
        .size:           2
        .value_kind:     hidden_group_size_y
      - .offset:         88
        .size:           2
        .value_kind:     hidden_group_size_z
      - .offset:         90
        .size:           2
        .value_kind:     hidden_remainder_x
      - .offset:         92
        .size:           2
        .value_kind:     hidden_remainder_y
      - .offset:         94
        .size:           2
        .value_kind:     hidden_remainder_z
      - .offset:         112
        .size:           8
        .value_kind:     hidden_global_offset_x
      - .offset:         120
        .size:           8
        .value_kind:     hidden_global_offset_y
      - .offset:         128
        .size:           8
        .value_kind:     hidden_global_offset_z
      - .offset:         136
        .size:           2
        .value_kind:     hidden_grid_dims
    .group_segment_fixed_size: 2112
    .kernarg_segment_align: 8
    .kernarg_segment_size: 328
    .language:       OpenCL C
    .language_version:
      - 2
      - 0
    .max_flat_workgroup_size: 128
    .name:           _ZN7rocprim17ROCPRIM_400000_NS6detail17trampoline_kernelINS0_14default_configENS1_38merge_sort_block_merge_config_selectorIsNS0_10empty_typeEEEZZNS1_27merge_sort_block_merge_implIS3_N6thrust23THRUST_200600_302600_NS6detail15normal_iteratorINS9_10device_ptrIsEEEEPS5_m11less_div_10IsEEE10hipError_tT0_T1_T2_jT3_P12ihipStream_tbPNSt15iterator_traitsISJ_E10value_typeEPNSP_ISK_E10value_typeEPSL_NS1_7vsmem_tEENKUlT_SJ_SK_SL_E_clIPsSE_SF_SF_EESI_SY_SJ_SK_SL_EUlSY_E0_NS1_11comp_targetILNS1_3genE8ELNS1_11target_archE1030ELNS1_3gpuE2ELNS1_3repE0EEENS1_38merge_mergepath_config_static_selectorELNS0_4arch9wavefront6targetE0EEEvSK_
    .private_segment_fixed_size: 0
    .sgpr_count:     33
    .sgpr_spill_count: 0
    .symbol:         _ZN7rocprim17ROCPRIM_400000_NS6detail17trampoline_kernelINS0_14default_configENS1_38merge_sort_block_merge_config_selectorIsNS0_10empty_typeEEEZZNS1_27merge_sort_block_merge_implIS3_N6thrust23THRUST_200600_302600_NS6detail15normal_iteratorINS9_10device_ptrIsEEEEPS5_m11less_div_10IsEEE10hipError_tT0_T1_T2_jT3_P12ihipStream_tbPNSt15iterator_traitsISJ_E10value_typeEPNSP_ISK_E10value_typeEPSL_NS1_7vsmem_tEENKUlT_SJ_SK_SL_E_clIPsSE_SF_SF_EESI_SY_SJ_SK_SL_EUlSY_E0_NS1_11comp_targetILNS1_3genE8ELNS1_11target_archE1030ELNS1_3gpuE2ELNS1_3repE0EEENS1_38merge_mergepath_config_static_selectorELNS0_4arch9wavefront6targetE0EEEvSK_.kd
    .uniform_work_group_size: 1
    .uses_dynamic_stack: false
    .vgpr_count:     33
    .vgpr_spill_count: 0
    .wavefront_size: 32
    .workgroup_processor_mode: 1
  - .args:
      - .offset:         0
        .size:           56
        .value_kind:     by_value
    .group_segment_fixed_size: 0
    .kernarg_segment_align: 8
    .kernarg_segment_size: 56
    .language:       OpenCL C
    .language_version:
      - 2
      - 0
    .max_flat_workgroup_size: 256
    .name:           _ZN7rocprim17ROCPRIM_400000_NS6detail17trampoline_kernelINS0_14default_configENS1_38merge_sort_block_merge_config_selectorIsNS0_10empty_typeEEEZZNS1_27merge_sort_block_merge_implIS3_N6thrust23THRUST_200600_302600_NS6detail15normal_iteratorINS9_10device_ptrIsEEEEPS5_m11less_div_10IsEEE10hipError_tT0_T1_T2_jT3_P12ihipStream_tbPNSt15iterator_traitsISJ_E10value_typeEPNSP_ISK_E10value_typeEPSL_NS1_7vsmem_tEENKUlT_SJ_SK_SL_E_clIPsSE_SF_SF_EESI_SY_SJ_SK_SL_EUlSY_E1_NS1_11comp_targetILNS1_3genE0ELNS1_11target_archE4294967295ELNS1_3gpuE0ELNS1_3repE0EEENS1_36merge_oddeven_config_static_selectorELNS0_4arch9wavefront6targetE0EEEvSK_
    .private_segment_fixed_size: 0
    .sgpr_count:     0
    .sgpr_spill_count: 0
    .symbol:         _ZN7rocprim17ROCPRIM_400000_NS6detail17trampoline_kernelINS0_14default_configENS1_38merge_sort_block_merge_config_selectorIsNS0_10empty_typeEEEZZNS1_27merge_sort_block_merge_implIS3_N6thrust23THRUST_200600_302600_NS6detail15normal_iteratorINS9_10device_ptrIsEEEEPS5_m11less_div_10IsEEE10hipError_tT0_T1_T2_jT3_P12ihipStream_tbPNSt15iterator_traitsISJ_E10value_typeEPNSP_ISK_E10value_typeEPSL_NS1_7vsmem_tEENKUlT_SJ_SK_SL_E_clIPsSE_SF_SF_EESI_SY_SJ_SK_SL_EUlSY_E1_NS1_11comp_targetILNS1_3genE0ELNS1_11target_archE4294967295ELNS1_3gpuE0ELNS1_3repE0EEENS1_36merge_oddeven_config_static_selectorELNS0_4arch9wavefront6targetE0EEEvSK_.kd
    .uniform_work_group_size: 1
    .uses_dynamic_stack: false
    .vgpr_count:     0
    .vgpr_spill_count: 0
    .wavefront_size: 32
    .workgroup_processor_mode: 1
  - .args:
      - .offset:         0
        .size:           56
        .value_kind:     by_value
    .group_segment_fixed_size: 0
    .kernarg_segment_align: 8
    .kernarg_segment_size: 56
    .language:       OpenCL C
    .language_version:
      - 2
      - 0
    .max_flat_workgroup_size: 256
    .name:           _ZN7rocprim17ROCPRIM_400000_NS6detail17trampoline_kernelINS0_14default_configENS1_38merge_sort_block_merge_config_selectorIsNS0_10empty_typeEEEZZNS1_27merge_sort_block_merge_implIS3_N6thrust23THRUST_200600_302600_NS6detail15normal_iteratorINS9_10device_ptrIsEEEEPS5_m11less_div_10IsEEE10hipError_tT0_T1_T2_jT3_P12ihipStream_tbPNSt15iterator_traitsISJ_E10value_typeEPNSP_ISK_E10value_typeEPSL_NS1_7vsmem_tEENKUlT_SJ_SK_SL_E_clIPsSE_SF_SF_EESI_SY_SJ_SK_SL_EUlSY_E1_NS1_11comp_targetILNS1_3genE10ELNS1_11target_archE1201ELNS1_3gpuE5ELNS1_3repE0EEENS1_36merge_oddeven_config_static_selectorELNS0_4arch9wavefront6targetE0EEEvSK_
    .private_segment_fixed_size: 0
    .sgpr_count:     0
    .sgpr_spill_count: 0
    .symbol:         _ZN7rocprim17ROCPRIM_400000_NS6detail17trampoline_kernelINS0_14default_configENS1_38merge_sort_block_merge_config_selectorIsNS0_10empty_typeEEEZZNS1_27merge_sort_block_merge_implIS3_N6thrust23THRUST_200600_302600_NS6detail15normal_iteratorINS9_10device_ptrIsEEEEPS5_m11less_div_10IsEEE10hipError_tT0_T1_T2_jT3_P12ihipStream_tbPNSt15iterator_traitsISJ_E10value_typeEPNSP_ISK_E10value_typeEPSL_NS1_7vsmem_tEENKUlT_SJ_SK_SL_E_clIPsSE_SF_SF_EESI_SY_SJ_SK_SL_EUlSY_E1_NS1_11comp_targetILNS1_3genE10ELNS1_11target_archE1201ELNS1_3gpuE5ELNS1_3repE0EEENS1_36merge_oddeven_config_static_selectorELNS0_4arch9wavefront6targetE0EEEvSK_.kd
    .uniform_work_group_size: 1
    .uses_dynamic_stack: false
    .vgpr_count:     0
    .vgpr_spill_count: 0
    .wavefront_size: 32
    .workgroup_processor_mode: 1
  - .args:
      - .offset:         0
        .size:           56
        .value_kind:     by_value
    .group_segment_fixed_size: 0
    .kernarg_segment_align: 8
    .kernarg_segment_size: 56
    .language:       OpenCL C
    .language_version:
      - 2
      - 0
    .max_flat_workgroup_size: 256
    .name:           _ZN7rocprim17ROCPRIM_400000_NS6detail17trampoline_kernelINS0_14default_configENS1_38merge_sort_block_merge_config_selectorIsNS0_10empty_typeEEEZZNS1_27merge_sort_block_merge_implIS3_N6thrust23THRUST_200600_302600_NS6detail15normal_iteratorINS9_10device_ptrIsEEEEPS5_m11less_div_10IsEEE10hipError_tT0_T1_T2_jT3_P12ihipStream_tbPNSt15iterator_traitsISJ_E10value_typeEPNSP_ISK_E10value_typeEPSL_NS1_7vsmem_tEENKUlT_SJ_SK_SL_E_clIPsSE_SF_SF_EESI_SY_SJ_SK_SL_EUlSY_E1_NS1_11comp_targetILNS1_3genE5ELNS1_11target_archE942ELNS1_3gpuE9ELNS1_3repE0EEENS1_36merge_oddeven_config_static_selectorELNS0_4arch9wavefront6targetE0EEEvSK_
    .private_segment_fixed_size: 0
    .sgpr_count:     0
    .sgpr_spill_count: 0
    .symbol:         _ZN7rocprim17ROCPRIM_400000_NS6detail17trampoline_kernelINS0_14default_configENS1_38merge_sort_block_merge_config_selectorIsNS0_10empty_typeEEEZZNS1_27merge_sort_block_merge_implIS3_N6thrust23THRUST_200600_302600_NS6detail15normal_iteratorINS9_10device_ptrIsEEEEPS5_m11less_div_10IsEEE10hipError_tT0_T1_T2_jT3_P12ihipStream_tbPNSt15iterator_traitsISJ_E10value_typeEPNSP_ISK_E10value_typeEPSL_NS1_7vsmem_tEENKUlT_SJ_SK_SL_E_clIPsSE_SF_SF_EESI_SY_SJ_SK_SL_EUlSY_E1_NS1_11comp_targetILNS1_3genE5ELNS1_11target_archE942ELNS1_3gpuE9ELNS1_3repE0EEENS1_36merge_oddeven_config_static_selectorELNS0_4arch9wavefront6targetE0EEEvSK_.kd
    .uniform_work_group_size: 1
    .uses_dynamic_stack: false
    .vgpr_count:     0
    .vgpr_spill_count: 0
    .wavefront_size: 32
    .workgroup_processor_mode: 1
  - .args:
      - .offset:         0
        .size:           56
        .value_kind:     by_value
    .group_segment_fixed_size: 0
    .kernarg_segment_align: 8
    .kernarg_segment_size: 56
    .language:       OpenCL C
    .language_version:
      - 2
      - 0
    .max_flat_workgroup_size: 256
    .name:           _ZN7rocprim17ROCPRIM_400000_NS6detail17trampoline_kernelINS0_14default_configENS1_38merge_sort_block_merge_config_selectorIsNS0_10empty_typeEEEZZNS1_27merge_sort_block_merge_implIS3_N6thrust23THRUST_200600_302600_NS6detail15normal_iteratorINS9_10device_ptrIsEEEEPS5_m11less_div_10IsEEE10hipError_tT0_T1_T2_jT3_P12ihipStream_tbPNSt15iterator_traitsISJ_E10value_typeEPNSP_ISK_E10value_typeEPSL_NS1_7vsmem_tEENKUlT_SJ_SK_SL_E_clIPsSE_SF_SF_EESI_SY_SJ_SK_SL_EUlSY_E1_NS1_11comp_targetILNS1_3genE4ELNS1_11target_archE910ELNS1_3gpuE8ELNS1_3repE0EEENS1_36merge_oddeven_config_static_selectorELNS0_4arch9wavefront6targetE0EEEvSK_
    .private_segment_fixed_size: 0
    .sgpr_count:     0
    .sgpr_spill_count: 0
    .symbol:         _ZN7rocprim17ROCPRIM_400000_NS6detail17trampoline_kernelINS0_14default_configENS1_38merge_sort_block_merge_config_selectorIsNS0_10empty_typeEEEZZNS1_27merge_sort_block_merge_implIS3_N6thrust23THRUST_200600_302600_NS6detail15normal_iteratorINS9_10device_ptrIsEEEEPS5_m11less_div_10IsEEE10hipError_tT0_T1_T2_jT3_P12ihipStream_tbPNSt15iterator_traitsISJ_E10value_typeEPNSP_ISK_E10value_typeEPSL_NS1_7vsmem_tEENKUlT_SJ_SK_SL_E_clIPsSE_SF_SF_EESI_SY_SJ_SK_SL_EUlSY_E1_NS1_11comp_targetILNS1_3genE4ELNS1_11target_archE910ELNS1_3gpuE8ELNS1_3repE0EEENS1_36merge_oddeven_config_static_selectorELNS0_4arch9wavefront6targetE0EEEvSK_.kd
    .uniform_work_group_size: 1
    .uses_dynamic_stack: false
    .vgpr_count:     0
    .vgpr_spill_count: 0
    .wavefront_size: 32
    .workgroup_processor_mode: 1
  - .args:
      - .offset:         0
        .size:           56
        .value_kind:     by_value
    .group_segment_fixed_size: 0
    .kernarg_segment_align: 8
    .kernarg_segment_size: 56
    .language:       OpenCL C
    .language_version:
      - 2
      - 0
    .max_flat_workgroup_size: 256
    .name:           _ZN7rocprim17ROCPRIM_400000_NS6detail17trampoline_kernelINS0_14default_configENS1_38merge_sort_block_merge_config_selectorIsNS0_10empty_typeEEEZZNS1_27merge_sort_block_merge_implIS3_N6thrust23THRUST_200600_302600_NS6detail15normal_iteratorINS9_10device_ptrIsEEEEPS5_m11less_div_10IsEEE10hipError_tT0_T1_T2_jT3_P12ihipStream_tbPNSt15iterator_traitsISJ_E10value_typeEPNSP_ISK_E10value_typeEPSL_NS1_7vsmem_tEENKUlT_SJ_SK_SL_E_clIPsSE_SF_SF_EESI_SY_SJ_SK_SL_EUlSY_E1_NS1_11comp_targetILNS1_3genE3ELNS1_11target_archE908ELNS1_3gpuE7ELNS1_3repE0EEENS1_36merge_oddeven_config_static_selectorELNS0_4arch9wavefront6targetE0EEEvSK_
    .private_segment_fixed_size: 0
    .sgpr_count:     0
    .sgpr_spill_count: 0
    .symbol:         _ZN7rocprim17ROCPRIM_400000_NS6detail17trampoline_kernelINS0_14default_configENS1_38merge_sort_block_merge_config_selectorIsNS0_10empty_typeEEEZZNS1_27merge_sort_block_merge_implIS3_N6thrust23THRUST_200600_302600_NS6detail15normal_iteratorINS9_10device_ptrIsEEEEPS5_m11less_div_10IsEEE10hipError_tT0_T1_T2_jT3_P12ihipStream_tbPNSt15iterator_traitsISJ_E10value_typeEPNSP_ISK_E10value_typeEPSL_NS1_7vsmem_tEENKUlT_SJ_SK_SL_E_clIPsSE_SF_SF_EESI_SY_SJ_SK_SL_EUlSY_E1_NS1_11comp_targetILNS1_3genE3ELNS1_11target_archE908ELNS1_3gpuE7ELNS1_3repE0EEENS1_36merge_oddeven_config_static_selectorELNS0_4arch9wavefront6targetE0EEEvSK_.kd
    .uniform_work_group_size: 1
    .uses_dynamic_stack: false
    .vgpr_count:     0
    .vgpr_spill_count: 0
    .wavefront_size: 32
    .workgroup_processor_mode: 1
  - .args:
      - .offset:         0
        .size:           56
        .value_kind:     by_value
    .group_segment_fixed_size: 0
    .kernarg_segment_align: 8
    .kernarg_segment_size: 56
    .language:       OpenCL C
    .language_version:
      - 2
      - 0
    .max_flat_workgroup_size: 256
    .name:           _ZN7rocprim17ROCPRIM_400000_NS6detail17trampoline_kernelINS0_14default_configENS1_38merge_sort_block_merge_config_selectorIsNS0_10empty_typeEEEZZNS1_27merge_sort_block_merge_implIS3_N6thrust23THRUST_200600_302600_NS6detail15normal_iteratorINS9_10device_ptrIsEEEEPS5_m11less_div_10IsEEE10hipError_tT0_T1_T2_jT3_P12ihipStream_tbPNSt15iterator_traitsISJ_E10value_typeEPNSP_ISK_E10value_typeEPSL_NS1_7vsmem_tEENKUlT_SJ_SK_SL_E_clIPsSE_SF_SF_EESI_SY_SJ_SK_SL_EUlSY_E1_NS1_11comp_targetILNS1_3genE2ELNS1_11target_archE906ELNS1_3gpuE6ELNS1_3repE0EEENS1_36merge_oddeven_config_static_selectorELNS0_4arch9wavefront6targetE0EEEvSK_
    .private_segment_fixed_size: 0
    .sgpr_count:     0
    .sgpr_spill_count: 0
    .symbol:         _ZN7rocprim17ROCPRIM_400000_NS6detail17trampoline_kernelINS0_14default_configENS1_38merge_sort_block_merge_config_selectorIsNS0_10empty_typeEEEZZNS1_27merge_sort_block_merge_implIS3_N6thrust23THRUST_200600_302600_NS6detail15normal_iteratorINS9_10device_ptrIsEEEEPS5_m11less_div_10IsEEE10hipError_tT0_T1_T2_jT3_P12ihipStream_tbPNSt15iterator_traitsISJ_E10value_typeEPNSP_ISK_E10value_typeEPSL_NS1_7vsmem_tEENKUlT_SJ_SK_SL_E_clIPsSE_SF_SF_EESI_SY_SJ_SK_SL_EUlSY_E1_NS1_11comp_targetILNS1_3genE2ELNS1_11target_archE906ELNS1_3gpuE6ELNS1_3repE0EEENS1_36merge_oddeven_config_static_selectorELNS0_4arch9wavefront6targetE0EEEvSK_.kd
    .uniform_work_group_size: 1
    .uses_dynamic_stack: false
    .vgpr_count:     0
    .vgpr_spill_count: 0
    .wavefront_size: 32
    .workgroup_processor_mode: 1
  - .args:
      - .offset:         0
        .size:           56
        .value_kind:     by_value
    .group_segment_fixed_size: 0
    .kernarg_segment_align: 8
    .kernarg_segment_size: 56
    .language:       OpenCL C
    .language_version:
      - 2
      - 0
    .max_flat_workgroup_size: 256
    .name:           _ZN7rocprim17ROCPRIM_400000_NS6detail17trampoline_kernelINS0_14default_configENS1_38merge_sort_block_merge_config_selectorIsNS0_10empty_typeEEEZZNS1_27merge_sort_block_merge_implIS3_N6thrust23THRUST_200600_302600_NS6detail15normal_iteratorINS9_10device_ptrIsEEEEPS5_m11less_div_10IsEEE10hipError_tT0_T1_T2_jT3_P12ihipStream_tbPNSt15iterator_traitsISJ_E10value_typeEPNSP_ISK_E10value_typeEPSL_NS1_7vsmem_tEENKUlT_SJ_SK_SL_E_clIPsSE_SF_SF_EESI_SY_SJ_SK_SL_EUlSY_E1_NS1_11comp_targetILNS1_3genE9ELNS1_11target_archE1100ELNS1_3gpuE3ELNS1_3repE0EEENS1_36merge_oddeven_config_static_selectorELNS0_4arch9wavefront6targetE0EEEvSK_
    .private_segment_fixed_size: 0
    .sgpr_count:     0
    .sgpr_spill_count: 0
    .symbol:         _ZN7rocprim17ROCPRIM_400000_NS6detail17trampoline_kernelINS0_14default_configENS1_38merge_sort_block_merge_config_selectorIsNS0_10empty_typeEEEZZNS1_27merge_sort_block_merge_implIS3_N6thrust23THRUST_200600_302600_NS6detail15normal_iteratorINS9_10device_ptrIsEEEEPS5_m11less_div_10IsEEE10hipError_tT0_T1_T2_jT3_P12ihipStream_tbPNSt15iterator_traitsISJ_E10value_typeEPNSP_ISK_E10value_typeEPSL_NS1_7vsmem_tEENKUlT_SJ_SK_SL_E_clIPsSE_SF_SF_EESI_SY_SJ_SK_SL_EUlSY_E1_NS1_11comp_targetILNS1_3genE9ELNS1_11target_archE1100ELNS1_3gpuE3ELNS1_3repE0EEENS1_36merge_oddeven_config_static_selectorELNS0_4arch9wavefront6targetE0EEEvSK_.kd
    .uniform_work_group_size: 1
    .uses_dynamic_stack: false
    .vgpr_count:     0
    .vgpr_spill_count: 0
    .wavefront_size: 32
    .workgroup_processor_mode: 1
  - .args:
      - .offset:         0
        .size:           56
        .value_kind:     by_value
    .group_segment_fixed_size: 0
    .kernarg_segment_align: 8
    .kernarg_segment_size: 56
    .language:       OpenCL C
    .language_version:
      - 2
      - 0
    .max_flat_workgroup_size: 256
    .name:           _ZN7rocprim17ROCPRIM_400000_NS6detail17trampoline_kernelINS0_14default_configENS1_38merge_sort_block_merge_config_selectorIsNS0_10empty_typeEEEZZNS1_27merge_sort_block_merge_implIS3_N6thrust23THRUST_200600_302600_NS6detail15normal_iteratorINS9_10device_ptrIsEEEEPS5_m11less_div_10IsEEE10hipError_tT0_T1_T2_jT3_P12ihipStream_tbPNSt15iterator_traitsISJ_E10value_typeEPNSP_ISK_E10value_typeEPSL_NS1_7vsmem_tEENKUlT_SJ_SK_SL_E_clIPsSE_SF_SF_EESI_SY_SJ_SK_SL_EUlSY_E1_NS1_11comp_targetILNS1_3genE8ELNS1_11target_archE1030ELNS1_3gpuE2ELNS1_3repE0EEENS1_36merge_oddeven_config_static_selectorELNS0_4arch9wavefront6targetE0EEEvSK_
    .private_segment_fixed_size: 0
    .sgpr_count:     18
    .sgpr_spill_count: 0
    .symbol:         _ZN7rocprim17ROCPRIM_400000_NS6detail17trampoline_kernelINS0_14default_configENS1_38merge_sort_block_merge_config_selectorIsNS0_10empty_typeEEEZZNS1_27merge_sort_block_merge_implIS3_N6thrust23THRUST_200600_302600_NS6detail15normal_iteratorINS9_10device_ptrIsEEEEPS5_m11less_div_10IsEEE10hipError_tT0_T1_T2_jT3_P12ihipStream_tbPNSt15iterator_traitsISJ_E10value_typeEPNSP_ISK_E10value_typeEPSL_NS1_7vsmem_tEENKUlT_SJ_SK_SL_E_clIPsSE_SF_SF_EESI_SY_SJ_SK_SL_EUlSY_E1_NS1_11comp_targetILNS1_3genE8ELNS1_11target_archE1030ELNS1_3gpuE2ELNS1_3repE0EEENS1_36merge_oddeven_config_static_selectorELNS0_4arch9wavefront6targetE0EEEvSK_.kd
    .uniform_work_group_size: 1
    .uses_dynamic_stack: false
    .vgpr_count:     8
    .vgpr_spill_count: 0
    .wavefront_size: 32
    .workgroup_processor_mode: 1
  - .args:
      - .offset:         0
        .size:           48
        .value_kind:     by_value
    .group_segment_fixed_size: 0
    .kernarg_segment_align: 8
    .kernarg_segment_size: 48
    .language:       OpenCL C
    .language_version:
      - 2
      - 0
    .max_flat_workgroup_size: 128
    .name:           _ZN7rocprim17ROCPRIM_400000_NS6detail17trampoline_kernelINS0_14default_configENS1_38merge_sort_block_merge_config_selectorIsNS0_10empty_typeEEEZZNS1_27merge_sort_block_merge_implIS3_N6thrust23THRUST_200600_302600_NS6detail15normal_iteratorINS9_10device_ptrIsEEEEPS5_m11less_div_10IsEEE10hipError_tT0_T1_T2_jT3_P12ihipStream_tbPNSt15iterator_traitsISJ_E10value_typeEPNSP_ISK_E10value_typeEPSL_NS1_7vsmem_tEENKUlT_SJ_SK_SL_E_clISE_PsSF_SF_EESI_SY_SJ_SK_SL_EUlSY_E_NS1_11comp_targetILNS1_3genE0ELNS1_11target_archE4294967295ELNS1_3gpuE0ELNS1_3repE0EEENS1_48merge_mergepath_partition_config_static_selectorELNS0_4arch9wavefront6targetE0EEEvSK_
    .private_segment_fixed_size: 0
    .sgpr_count:     0
    .sgpr_spill_count: 0
    .symbol:         _ZN7rocprim17ROCPRIM_400000_NS6detail17trampoline_kernelINS0_14default_configENS1_38merge_sort_block_merge_config_selectorIsNS0_10empty_typeEEEZZNS1_27merge_sort_block_merge_implIS3_N6thrust23THRUST_200600_302600_NS6detail15normal_iteratorINS9_10device_ptrIsEEEEPS5_m11less_div_10IsEEE10hipError_tT0_T1_T2_jT3_P12ihipStream_tbPNSt15iterator_traitsISJ_E10value_typeEPNSP_ISK_E10value_typeEPSL_NS1_7vsmem_tEENKUlT_SJ_SK_SL_E_clISE_PsSF_SF_EESI_SY_SJ_SK_SL_EUlSY_E_NS1_11comp_targetILNS1_3genE0ELNS1_11target_archE4294967295ELNS1_3gpuE0ELNS1_3repE0EEENS1_48merge_mergepath_partition_config_static_selectorELNS0_4arch9wavefront6targetE0EEEvSK_.kd
    .uniform_work_group_size: 1
    .uses_dynamic_stack: false
    .vgpr_count:     0
    .vgpr_spill_count: 0
    .wavefront_size: 32
    .workgroup_processor_mode: 1
  - .args:
      - .offset:         0
        .size:           48
        .value_kind:     by_value
    .group_segment_fixed_size: 0
    .kernarg_segment_align: 8
    .kernarg_segment_size: 48
    .language:       OpenCL C
    .language_version:
      - 2
      - 0
    .max_flat_workgroup_size: 128
    .name:           _ZN7rocprim17ROCPRIM_400000_NS6detail17trampoline_kernelINS0_14default_configENS1_38merge_sort_block_merge_config_selectorIsNS0_10empty_typeEEEZZNS1_27merge_sort_block_merge_implIS3_N6thrust23THRUST_200600_302600_NS6detail15normal_iteratorINS9_10device_ptrIsEEEEPS5_m11less_div_10IsEEE10hipError_tT0_T1_T2_jT3_P12ihipStream_tbPNSt15iterator_traitsISJ_E10value_typeEPNSP_ISK_E10value_typeEPSL_NS1_7vsmem_tEENKUlT_SJ_SK_SL_E_clISE_PsSF_SF_EESI_SY_SJ_SK_SL_EUlSY_E_NS1_11comp_targetILNS1_3genE10ELNS1_11target_archE1201ELNS1_3gpuE5ELNS1_3repE0EEENS1_48merge_mergepath_partition_config_static_selectorELNS0_4arch9wavefront6targetE0EEEvSK_
    .private_segment_fixed_size: 0
    .sgpr_count:     0
    .sgpr_spill_count: 0
    .symbol:         _ZN7rocprim17ROCPRIM_400000_NS6detail17trampoline_kernelINS0_14default_configENS1_38merge_sort_block_merge_config_selectorIsNS0_10empty_typeEEEZZNS1_27merge_sort_block_merge_implIS3_N6thrust23THRUST_200600_302600_NS6detail15normal_iteratorINS9_10device_ptrIsEEEEPS5_m11less_div_10IsEEE10hipError_tT0_T1_T2_jT3_P12ihipStream_tbPNSt15iterator_traitsISJ_E10value_typeEPNSP_ISK_E10value_typeEPSL_NS1_7vsmem_tEENKUlT_SJ_SK_SL_E_clISE_PsSF_SF_EESI_SY_SJ_SK_SL_EUlSY_E_NS1_11comp_targetILNS1_3genE10ELNS1_11target_archE1201ELNS1_3gpuE5ELNS1_3repE0EEENS1_48merge_mergepath_partition_config_static_selectorELNS0_4arch9wavefront6targetE0EEEvSK_.kd
    .uniform_work_group_size: 1
    .uses_dynamic_stack: false
    .vgpr_count:     0
    .vgpr_spill_count: 0
    .wavefront_size: 32
    .workgroup_processor_mode: 1
  - .args:
      - .offset:         0
        .size:           48
        .value_kind:     by_value
    .group_segment_fixed_size: 0
    .kernarg_segment_align: 8
    .kernarg_segment_size: 48
    .language:       OpenCL C
    .language_version:
      - 2
      - 0
    .max_flat_workgroup_size: 128
    .name:           _ZN7rocprim17ROCPRIM_400000_NS6detail17trampoline_kernelINS0_14default_configENS1_38merge_sort_block_merge_config_selectorIsNS0_10empty_typeEEEZZNS1_27merge_sort_block_merge_implIS3_N6thrust23THRUST_200600_302600_NS6detail15normal_iteratorINS9_10device_ptrIsEEEEPS5_m11less_div_10IsEEE10hipError_tT0_T1_T2_jT3_P12ihipStream_tbPNSt15iterator_traitsISJ_E10value_typeEPNSP_ISK_E10value_typeEPSL_NS1_7vsmem_tEENKUlT_SJ_SK_SL_E_clISE_PsSF_SF_EESI_SY_SJ_SK_SL_EUlSY_E_NS1_11comp_targetILNS1_3genE5ELNS1_11target_archE942ELNS1_3gpuE9ELNS1_3repE0EEENS1_48merge_mergepath_partition_config_static_selectorELNS0_4arch9wavefront6targetE0EEEvSK_
    .private_segment_fixed_size: 0
    .sgpr_count:     0
    .sgpr_spill_count: 0
    .symbol:         _ZN7rocprim17ROCPRIM_400000_NS6detail17trampoline_kernelINS0_14default_configENS1_38merge_sort_block_merge_config_selectorIsNS0_10empty_typeEEEZZNS1_27merge_sort_block_merge_implIS3_N6thrust23THRUST_200600_302600_NS6detail15normal_iteratorINS9_10device_ptrIsEEEEPS5_m11less_div_10IsEEE10hipError_tT0_T1_T2_jT3_P12ihipStream_tbPNSt15iterator_traitsISJ_E10value_typeEPNSP_ISK_E10value_typeEPSL_NS1_7vsmem_tEENKUlT_SJ_SK_SL_E_clISE_PsSF_SF_EESI_SY_SJ_SK_SL_EUlSY_E_NS1_11comp_targetILNS1_3genE5ELNS1_11target_archE942ELNS1_3gpuE9ELNS1_3repE0EEENS1_48merge_mergepath_partition_config_static_selectorELNS0_4arch9wavefront6targetE0EEEvSK_.kd
    .uniform_work_group_size: 1
    .uses_dynamic_stack: false
    .vgpr_count:     0
    .vgpr_spill_count: 0
    .wavefront_size: 32
    .workgroup_processor_mode: 1
  - .args:
      - .offset:         0
        .size:           48
        .value_kind:     by_value
    .group_segment_fixed_size: 0
    .kernarg_segment_align: 8
    .kernarg_segment_size: 48
    .language:       OpenCL C
    .language_version:
      - 2
      - 0
    .max_flat_workgroup_size: 128
    .name:           _ZN7rocprim17ROCPRIM_400000_NS6detail17trampoline_kernelINS0_14default_configENS1_38merge_sort_block_merge_config_selectorIsNS0_10empty_typeEEEZZNS1_27merge_sort_block_merge_implIS3_N6thrust23THRUST_200600_302600_NS6detail15normal_iteratorINS9_10device_ptrIsEEEEPS5_m11less_div_10IsEEE10hipError_tT0_T1_T2_jT3_P12ihipStream_tbPNSt15iterator_traitsISJ_E10value_typeEPNSP_ISK_E10value_typeEPSL_NS1_7vsmem_tEENKUlT_SJ_SK_SL_E_clISE_PsSF_SF_EESI_SY_SJ_SK_SL_EUlSY_E_NS1_11comp_targetILNS1_3genE4ELNS1_11target_archE910ELNS1_3gpuE8ELNS1_3repE0EEENS1_48merge_mergepath_partition_config_static_selectorELNS0_4arch9wavefront6targetE0EEEvSK_
    .private_segment_fixed_size: 0
    .sgpr_count:     0
    .sgpr_spill_count: 0
    .symbol:         _ZN7rocprim17ROCPRIM_400000_NS6detail17trampoline_kernelINS0_14default_configENS1_38merge_sort_block_merge_config_selectorIsNS0_10empty_typeEEEZZNS1_27merge_sort_block_merge_implIS3_N6thrust23THRUST_200600_302600_NS6detail15normal_iteratorINS9_10device_ptrIsEEEEPS5_m11less_div_10IsEEE10hipError_tT0_T1_T2_jT3_P12ihipStream_tbPNSt15iterator_traitsISJ_E10value_typeEPNSP_ISK_E10value_typeEPSL_NS1_7vsmem_tEENKUlT_SJ_SK_SL_E_clISE_PsSF_SF_EESI_SY_SJ_SK_SL_EUlSY_E_NS1_11comp_targetILNS1_3genE4ELNS1_11target_archE910ELNS1_3gpuE8ELNS1_3repE0EEENS1_48merge_mergepath_partition_config_static_selectorELNS0_4arch9wavefront6targetE0EEEvSK_.kd
    .uniform_work_group_size: 1
    .uses_dynamic_stack: false
    .vgpr_count:     0
    .vgpr_spill_count: 0
    .wavefront_size: 32
    .workgroup_processor_mode: 1
  - .args:
      - .offset:         0
        .size:           48
        .value_kind:     by_value
    .group_segment_fixed_size: 0
    .kernarg_segment_align: 8
    .kernarg_segment_size: 48
    .language:       OpenCL C
    .language_version:
      - 2
      - 0
    .max_flat_workgroup_size: 128
    .name:           _ZN7rocprim17ROCPRIM_400000_NS6detail17trampoline_kernelINS0_14default_configENS1_38merge_sort_block_merge_config_selectorIsNS0_10empty_typeEEEZZNS1_27merge_sort_block_merge_implIS3_N6thrust23THRUST_200600_302600_NS6detail15normal_iteratorINS9_10device_ptrIsEEEEPS5_m11less_div_10IsEEE10hipError_tT0_T1_T2_jT3_P12ihipStream_tbPNSt15iterator_traitsISJ_E10value_typeEPNSP_ISK_E10value_typeEPSL_NS1_7vsmem_tEENKUlT_SJ_SK_SL_E_clISE_PsSF_SF_EESI_SY_SJ_SK_SL_EUlSY_E_NS1_11comp_targetILNS1_3genE3ELNS1_11target_archE908ELNS1_3gpuE7ELNS1_3repE0EEENS1_48merge_mergepath_partition_config_static_selectorELNS0_4arch9wavefront6targetE0EEEvSK_
    .private_segment_fixed_size: 0
    .sgpr_count:     0
    .sgpr_spill_count: 0
    .symbol:         _ZN7rocprim17ROCPRIM_400000_NS6detail17trampoline_kernelINS0_14default_configENS1_38merge_sort_block_merge_config_selectorIsNS0_10empty_typeEEEZZNS1_27merge_sort_block_merge_implIS3_N6thrust23THRUST_200600_302600_NS6detail15normal_iteratorINS9_10device_ptrIsEEEEPS5_m11less_div_10IsEEE10hipError_tT0_T1_T2_jT3_P12ihipStream_tbPNSt15iterator_traitsISJ_E10value_typeEPNSP_ISK_E10value_typeEPSL_NS1_7vsmem_tEENKUlT_SJ_SK_SL_E_clISE_PsSF_SF_EESI_SY_SJ_SK_SL_EUlSY_E_NS1_11comp_targetILNS1_3genE3ELNS1_11target_archE908ELNS1_3gpuE7ELNS1_3repE0EEENS1_48merge_mergepath_partition_config_static_selectorELNS0_4arch9wavefront6targetE0EEEvSK_.kd
    .uniform_work_group_size: 1
    .uses_dynamic_stack: false
    .vgpr_count:     0
    .vgpr_spill_count: 0
    .wavefront_size: 32
    .workgroup_processor_mode: 1
  - .args:
      - .offset:         0
        .size:           48
        .value_kind:     by_value
    .group_segment_fixed_size: 0
    .kernarg_segment_align: 8
    .kernarg_segment_size: 48
    .language:       OpenCL C
    .language_version:
      - 2
      - 0
    .max_flat_workgroup_size: 128
    .name:           _ZN7rocprim17ROCPRIM_400000_NS6detail17trampoline_kernelINS0_14default_configENS1_38merge_sort_block_merge_config_selectorIsNS0_10empty_typeEEEZZNS1_27merge_sort_block_merge_implIS3_N6thrust23THRUST_200600_302600_NS6detail15normal_iteratorINS9_10device_ptrIsEEEEPS5_m11less_div_10IsEEE10hipError_tT0_T1_T2_jT3_P12ihipStream_tbPNSt15iterator_traitsISJ_E10value_typeEPNSP_ISK_E10value_typeEPSL_NS1_7vsmem_tEENKUlT_SJ_SK_SL_E_clISE_PsSF_SF_EESI_SY_SJ_SK_SL_EUlSY_E_NS1_11comp_targetILNS1_3genE2ELNS1_11target_archE906ELNS1_3gpuE6ELNS1_3repE0EEENS1_48merge_mergepath_partition_config_static_selectorELNS0_4arch9wavefront6targetE0EEEvSK_
    .private_segment_fixed_size: 0
    .sgpr_count:     0
    .sgpr_spill_count: 0
    .symbol:         _ZN7rocprim17ROCPRIM_400000_NS6detail17trampoline_kernelINS0_14default_configENS1_38merge_sort_block_merge_config_selectorIsNS0_10empty_typeEEEZZNS1_27merge_sort_block_merge_implIS3_N6thrust23THRUST_200600_302600_NS6detail15normal_iteratorINS9_10device_ptrIsEEEEPS5_m11less_div_10IsEEE10hipError_tT0_T1_T2_jT3_P12ihipStream_tbPNSt15iterator_traitsISJ_E10value_typeEPNSP_ISK_E10value_typeEPSL_NS1_7vsmem_tEENKUlT_SJ_SK_SL_E_clISE_PsSF_SF_EESI_SY_SJ_SK_SL_EUlSY_E_NS1_11comp_targetILNS1_3genE2ELNS1_11target_archE906ELNS1_3gpuE6ELNS1_3repE0EEENS1_48merge_mergepath_partition_config_static_selectorELNS0_4arch9wavefront6targetE0EEEvSK_.kd
    .uniform_work_group_size: 1
    .uses_dynamic_stack: false
    .vgpr_count:     0
    .vgpr_spill_count: 0
    .wavefront_size: 32
    .workgroup_processor_mode: 1
  - .args:
      - .offset:         0
        .size:           48
        .value_kind:     by_value
    .group_segment_fixed_size: 0
    .kernarg_segment_align: 8
    .kernarg_segment_size: 48
    .language:       OpenCL C
    .language_version:
      - 2
      - 0
    .max_flat_workgroup_size: 128
    .name:           _ZN7rocprim17ROCPRIM_400000_NS6detail17trampoline_kernelINS0_14default_configENS1_38merge_sort_block_merge_config_selectorIsNS0_10empty_typeEEEZZNS1_27merge_sort_block_merge_implIS3_N6thrust23THRUST_200600_302600_NS6detail15normal_iteratorINS9_10device_ptrIsEEEEPS5_m11less_div_10IsEEE10hipError_tT0_T1_T2_jT3_P12ihipStream_tbPNSt15iterator_traitsISJ_E10value_typeEPNSP_ISK_E10value_typeEPSL_NS1_7vsmem_tEENKUlT_SJ_SK_SL_E_clISE_PsSF_SF_EESI_SY_SJ_SK_SL_EUlSY_E_NS1_11comp_targetILNS1_3genE9ELNS1_11target_archE1100ELNS1_3gpuE3ELNS1_3repE0EEENS1_48merge_mergepath_partition_config_static_selectorELNS0_4arch9wavefront6targetE0EEEvSK_
    .private_segment_fixed_size: 0
    .sgpr_count:     0
    .sgpr_spill_count: 0
    .symbol:         _ZN7rocprim17ROCPRIM_400000_NS6detail17trampoline_kernelINS0_14default_configENS1_38merge_sort_block_merge_config_selectorIsNS0_10empty_typeEEEZZNS1_27merge_sort_block_merge_implIS3_N6thrust23THRUST_200600_302600_NS6detail15normal_iteratorINS9_10device_ptrIsEEEEPS5_m11less_div_10IsEEE10hipError_tT0_T1_T2_jT3_P12ihipStream_tbPNSt15iterator_traitsISJ_E10value_typeEPNSP_ISK_E10value_typeEPSL_NS1_7vsmem_tEENKUlT_SJ_SK_SL_E_clISE_PsSF_SF_EESI_SY_SJ_SK_SL_EUlSY_E_NS1_11comp_targetILNS1_3genE9ELNS1_11target_archE1100ELNS1_3gpuE3ELNS1_3repE0EEENS1_48merge_mergepath_partition_config_static_selectorELNS0_4arch9wavefront6targetE0EEEvSK_.kd
    .uniform_work_group_size: 1
    .uses_dynamic_stack: false
    .vgpr_count:     0
    .vgpr_spill_count: 0
    .wavefront_size: 32
    .workgroup_processor_mode: 1
  - .args:
      - .offset:         0
        .size:           48
        .value_kind:     by_value
    .group_segment_fixed_size: 0
    .kernarg_segment_align: 8
    .kernarg_segment_size: 48
    .language:       OpenCL C
    .language_version:
      - 2
      - 0
    .max_flat_workgroup_size: 128
    .name:           _ZN7rocprim17ROCPRIM_400000_NS6detail17trampoline_kernelINS0_14default_configENS1_38merge_sort_block_merge_config_selectorIsNS0_10empty_typeEEEZZNS1_27merge_sort_block_merge_implIS3_N6thrust23THRUST_200600_302600_NS6detail15normal_iteratorINS9_10device_ptrIsEEEEPS5_m11less_div_10IsEEE10hipError_tT0_T1_T2_jT3_P12ihipStream_tbPNSt15iterator_traitsISJ_E10value_typeEPNSP_ISK_E10value_typeEPSL_NS1_7vsmem_tEENKUlT_SJ_SK_SL_E_clISE_PsSF_SF_EESI_SY_SJ_SK_SL_EUlSY_E_NS1_11comp_targetILNS1_3genE8ELNS1_11target_archE1030ELNS1_3gpuE2ELNS1_3repE0EEENS1_48merge_mergepath_partition_config_static_selectorELNS0_4arch9wavefront6targetE0EEEvSK_
    .private_segment_fixed_size: 0
    .sgpr_count:     10
    .sgpr_spill_count: 0
    .symbol:         _ZN7rocprim17ROCPRIM_400000_NS6detail17trampoline_kernelINS0_14default_configENS1_38merge_sort_block_merge_config_selectorIsNS0_10empty_typeEEEZZNS1_27merge_sort_block_merge_implIS3_N6thrust23THRUST_200600_302600_NS6detail15normal_iteratorINS9_10device_ptrIsEEEEPS5_m11less_div_10IsEEE10hipError_tT0_T1_T2_jT3_P12ihipStream_tbPNSt15iterator_traitsISJ_E10value_typeEPNSP_ISK_E10value_typeEPSL_NS1_7vsmem_tEENKUlT_SJ_SK_SL_E_clISE_PsSF_SF_EESI_SY_SJ_SK_SL_EUlSY_E_NS1_11comp_targetILNS1_3genE8ELNS1_11target_archE1030ELNS1_3gpuE2ELNS1_3repE0EEENS1_48merge_mergepath_partition_config_static_selectorELNS0_4arch9wavefront6targetE0EEEvSK_.kd
    .uniform_work_group_size: 1
    .uses_dynamic_stack: false
    .vgpr_count:     18
    .vgpr_spill_count: 0
    .wavefront_size: 32
    .workgroup_processor_mode: 1
  - .args:
      - .offset:         0
        .size:           72
        .value_kind:     by_value
    .group_segment_fixed_size: 0
    .kernarg_segment_align: 8
    .kernarg_segment_size: 72
    .language:       OpenCL C
    .language_version:
      - 2
      - 0
    .max_flat_workgroup_size: 128
    .name:           _ZN7rocprim17ROCPRIM_400000_NS6detail17trampoline_kernelINS0_14default_configENS1_38merge_sort_block_merge_config_selectorIsNS0_10empty_typeEEEZZNS1_27merge_sort_block_merge_implIS3_N6thrust23THRUST_200600_302600_NS6detail15normal_iteratorINS9_10device_ptrIsEEEEPS5_m11less_div_10IsEEE10hipError_tT0_T1_T2_jT3_P12ihipStream_tbPNSt15iterator_traitsISJ_E10value_typeEPNSP_ISK_E10value_typeEPSL_NS1_7vsmem_tEENKUlT_SJ_SK_SL_E_clISE_PsSF_SF_EESI_SY_SJ_SK_SL_EUlSY_E0_NS1_11comp_targetILNS1_3genE0ELNS1_11target_archE4294967295ELNS1_3gpuE0ELNS1_3repE0EEENS1_38merge_mergepath_config_static_selectorELNS0_4arch9wavefront6targetE0EEEvSK_
    .private_segment_fixed_size: 0
    .sgpr_count:     0
    .sgpr_spill_count: 0
    .symbol:         _ZN7rocprim17ROCPRIM_400000_NS6detail17trampoline_kernelINS0_14default_configENS1_38merge_sort_block_merge_config_selectorIsNS0_10empty_typeEEEZZNS1_27merge_sort_block_merge_implIS3_N6thrust23THRUST_200600_302600_NS6detail15normal_iteratorINS9_10device_ptrIsEEEEPS5_m11less_div_10IsEEE10hipError_tT0_T1_T2_jT3_P12ihipStream_tbPNSt15iterator_traitsISJ_E10value_typeEPNSP_ISK_E10value_typeEPSL_NS1_7vsmem_tEENKUlT_SJ_SK_SL_E_clISE_PsSF_SF_EESI_SY_SJ_SK_SL_EUlSY_E0_NS1_11comp_targetILNS1_3genE0ELNS1_11target_archE4294967295ELNS1_3gpuE0ELNS1_3repE0EEENS1_38merge_mergepath_config_static_selectorELNS0_4arch9wavefront6targetE0EEEvSK_.kd
    .uniform_work_group_size: 1
    .uses_dynamic_stack: false
    .vgpr_count:     0
    .vgpr_spill_count: 0
    .wavefront_size: 32
    .workgroup_processor_mode: 1
  - .args:
      - .offset:         0
        .size:           72
        .value_kind:     by_value
    .group_segment_fixed_size: 0
    .kernarg_segment_align: 8
    .kernarg_segment_size: 72
    .language:       OpenCL C
    .language_version:
      - 2
      - 0
    .max_flat_workgroup_size: 128
    .name:           _ZN7rocprim17ROCPRIM_400000_NS6detail17trampoline_kernelINS0_14default_configENS1_38merge_sort_block_merge_config_selectorIsNS0_10empty_typeEEEZZNS1_27merge_sort_block_merge_implIS3_N6thrust23THRUST_200600_302600_NS6detail15normal_iteratorINS9_10device_ptrIsEEEEPS5_m11less_div_10IsEEE10hipError_tT0_T1_T2_jT3_P12ihipStream_tbPNSt15iterator_traitsISJ_E10value_typeEPNSP_ISK_E10value_typeEPSL_NS1_7vsmem_tEENKUlT_SJ_SK_SL_E_clISE_PsSF_SF_EESI_SY_SJ_SK_SL_EUlSY_E0_NS1_11comp_targetILNS1_3genE10ELNS1_11target_archE1201ELNS1_3gpuE5ELNS1_3repE0EEENS1_38merge_mergepath_config_static_selectorELNS0_4arch9wavefront6targetE0EEEvSK_
    .private_segment_fixed_size: 0
    .sgpr_count:     0
    .sgpr_spill_count: 0
    .symbol:         _ZN7rocprim17ROCPRIM_400000_NS6detail17trampoline_kernelINS0_14default_configENS1_38merge_sort_block_merge_config_selectorIsNS0_10empty_typeEEEZZNS1_27merge_sort_block_merge_implIS3_N6thrust23THRUST_200600_302600_NS6detail15normal_iteratorINS9_10device_ptrIsEEEEPS5_m11less_div_10IsEEE10hipError_tT0_T1_T2_jT3_P12ihipStream_tbPNSt15iterator_traitsISJ_E10value_typeEPNSP_ISK_E10value_typeEPSL_NS1_7vsmem_tEENKUlT_SJ_SK_SL_E_clISE_PsSF_SF_EESI_SY_SJ_SK_SL_EUlSY_E0_NS1_11comp_targetILNS1_3genE10ELNS1_11target_archE1201ELNS1_3gpuE5ELNS1_3repE0EEENS1_38merge_mergepath_config_static_selectorELNS0_4arch9wavefront6targetE0EEEvSK_.kd
    .uniform_work_group_size: 1
    .uses_dynamic_stack: false
    .vgpr_count:     0
    .vgpr_spill_count: 0
    .wavefront_size: 32
    .workgroup_processor_mode: 1
  - .args:
      - .offset:         0
        .size:           72
        .value_kind:     by_value
    .group_segment_fixed_size: 0
    .kernarg_segment_align: 8
    .kernarg_segment_size: 72
    .language:       OpenCL C
    .language_version:
      - 2
      - 0
    .max_flat_workgroup_size: 128
    .name:           _ZN7rocprim17ROCPRIM_400000_NS6detail17trampoline_kernelINS0_14default_configENS1_38merge_sort_block_merge_config_selectorIsNS0_10empty_typeEEEZZNS1_27merge_sort_block_merge_implIS3_N6thrust23THRUST_200600_302600_NS6detail15normal_iteratorINS9_10device_ptrIsEEEEPS5_m11less_div_10IsEEE10hipError_tT0_T1_T2_jT3_P12ihipStream_tbPNSt15iterator_traitsISJ_E10value_typeEPNSP_ISK_E10value_typeEPSL_NS1_7vsmem_tEENKUlT_SJ_SK_SL_E_clISE_PsSF_SF_EESI_SY_SJ_SK_SL_EUlSY_E0_NS1_11comp_targetILNS1_3genE5ELNS1_11target_archE942ELNS1_3gpuE9ELNS1_3repE0EEENS1_38merge_mergepath_config_static_selectorELNS0_4arch9wavefront6targetE0EEEvSK_
    .private_segment_fixed_size: 0
    .sgpr_count:     0
    .sgpr_spill_count: 0
    .symbol:         _ZN7rocprim17ROCPRIM_400000_NS6detail17trampoline_kernelINS0_14default_configENS1_38merge_sort_block_merge_config_selectorIsNS0_10empty_typeEEEZZNS1_27merge_sort_block_merge_implIS3_N6thrust23THRUST_200600_302600_NS6detail15normal_iteratorINS9_10device_ptrIsEEEEPS5_m11less_div_10IsEEE10hipError_tT0_T1_T2_jT3_P12ihipStream_tbPNSt15iterator_traitsISJ_E10value_typeEPNSP_ISK_E10value_typeEPSL_NS1_7vsmem_tEENKUlT_SJ_SK_SL_E_clISE_PsSF_SF_EESI_SY_SJ_SK_SL_EUlSY_E0_NS1_11comp_targetILNS1_3genE5ELNS1_11target_archE942ELNS1_3gpuE9ELNS1_3repE0EEENS1_38merge_mergepath_config_static_selectorELNS0_4arch9wavefront6targetE0EEEvSK_.kd
    .uniform_work_group_size: 1
    .uses_dynamic_stack: false
    .vgpr_count:     0
    .vgpr_spill_count: 0
    .wavefront_size: 32
    .workgroup_processor_mode: 1
  - .args:
      - .offset:         0
        .size:           72
        .value_kind:     by_value
    .group_segment_fixed_size: 0
    .kernarg_segment_align: 8
    .kernarg_segment_size: 72
    .language:       OpenCL C
    .language_version:
      - 2
      - 0
    .max_flat_workgroup_size: 128
    .name:           _ZN7rocprim17ROCPRIM_400000_NS6detail17trampoline_kernelINS0_14default_configENS1_38merge_sort_block_merge_config_selectorIsNS0_10empty_typeEEEZZNS1_27merge_sort_block_merge_implIS3_N6thrust23THRUST_200600_302600_NS6detail15normal_iteratorINS9_10device_ptrIsEEEEPS5_m11less_div_10IsEEE10hipError_tT0_T1_T2_jT3_P12ihipStream_tbPNSt15iterator_traitsISJ_E10value_typeEPNSP_ISK_E10value_typeEPSL_NS1_7vsmem_tEENKUlT_SJ_SK_SL_E_clISE_PsSF_SF_EESI_SY_SJ_SK_SL_EUlSY_E0_NS1_11comp_targetILNS1_3genE4ELNS1_11target_archE910ELNS1_3gpuE8ELNS1_3repE0EEENS1_38merge_mergepath_config_static_selectorELNS0_4arch9wavefront6targetE0EEEvSK_
    .private_segment_fixed_size: 0
    .sgpr_count:     0
    .sgpr_spill_count: 0
    .symbol:         _ZN7rocprim17ROCPRIM_400000_NS6detail17trampoline_kernelINS0_14default_configENS1_38merge_sort_block_merge_config_selectorIsNS0_10empty_typeEEEZZNS1_27merge_sort_block_merge_implIS3_N6thrust23THRUST_200600_302600_NS6detail15normal_iteratorINS9_10device_ptrIsEEEEPS5_m11less_div_10IsEEE10hipError_tT0_T1_T2_jT3_P12ihipStream_tbPNSt15iterator_traitsISJ_E10value_typeEPNSP_ISK_E10value_typeEPSL_NS1_7vsmem_tEENKUlT_SJ_SK_SL_E_clISE_PsSF_SF_EESI_SY_SJ_SK_SL_EUlSY_E0_NS1_11comp_targetILNS1_3genE4ELNS1_11target_archE910ELNS1_3gpuE8ELNS1_3repE0EEENS1_38merge_mergepath_config_static_selectorELNS0_4arch9wavefront6targetE0EEEvSK_.kd
    .uniform_work_group_size: 1
    .uses_dynamic_stack: false
    .vgpr_count:     0
    .vgpr_spill_count: 0
    .wavefront_size: 32
    .workgroup_processor_mode: 1
  - .args:
      - .offset:         0
        .size:           72
        .value_kind:     by_value
    .group_segment_fixed_size: 0
    .kernarg_segment_align: 8
    .kernarg_segment_size: 72
    .language:       OpenCL C
    .language_version:
      - 2
      - 0
    .max_flat_workgroup_size: 128
    .name:           _ZN7rocprim17ROCPRIM_400000_NS6detail17trampoline_kernelINS0_14default_configENS1_38merge_sort_block_merge_config_selectorIsNS0_10empty_typeEEEZZNS1_27merge_sort_block_merge_implIS3_N6thrust23THRUST_200600_302600_NS6detail15normal_iteratorINS9_10device_ptrIsEEEEPS5_m11less_div_10IsEEE10hipError_tT0_T1_T2_jT3_P12ihipStream_tbPNSt15iterator_traitsISJ_E10value_typeEPNSP_ISK_E10value_typeEPSL_NS1_7vsmem_tEENKUlT_SJ_SK_SL_E_clISE_PsSF_SF_EESI_SY_SJ_SK_SL_EUlSY_E0_NS1_11comp_targetILNS1_3genE3ELNS1_11target_archE908ELNS1_3gpuE7ELNS1_3repE0EEENS1_38merge_mergepath_config_static_selectorELNS0_4arch9wavefront6targetE0EEEvSK_
    .private_segment_fixed_size: 0
    .sgpr_count:     0
    .sgpr_spill_count: 0
    .symbol:         _ZN7rocprim17ROCPRIM_400000_NS6detail17trampoline_kernelINS0_14default_configENS1_38merge_sort_block_merge_config_selectorIsNS0_10empty_typeEEEZZNS1_27merge_sort_block_merge_implIS3_N6thrust23THRUST_200600_302600_NS6detail15normal_iteratorINS9_10device_ptrIsEEEEPS5_m11less_div_10IsEEE10hipError_tT0_T1_T2_jT3_P12ihipStream_tbPNSt15iterator_traitsISJ_E10value_typeEPNSP_ISK_E10value_typeEPSL_NS1_7vsmem_tEENKUlT_SJ_SK_SL_E_clISE_PsSF_SF_EESI_SY_SJ_SK_SL_EUlSY_E0_NS1_11comp_targetILNS1_3genE3ELNS1_11target_archE908ELNS1_3gpuE7ELNS1_3repE0EEENS1_38merge_mergepath_config_static_selectorELNS0_4arch9wavefront6targetE0EEEvSK_.kd
    .uniform_work_group_size: 1
    .uses_dynamic_stack: false
    .vgpr_count:     0
    .vgpr_spill_count: 0
    .wavefront_size: 32
    .workgroup_processor_mode: 1
  - .args:
      - .offset:         0
        .size:           72
        .value_kind:     by_value
    .group_segment_fixed_size: 0
    .kernarg_segment_align: 8
    .kernarg_segment_size: 72
    .language:       OpenCL C
    .language_version:
      - 2
      - 0
    .max_flat_workgroup_size: 128
    .name:           _ZN7rocprim17ROCPRIM_400000_NS6detail17trampoline_kernelINS0_14default_configENS1_38merge_sort_block_merge_config_selectorIsNS0_10empty_typeEEEZZNS1_27merge_sort_block_merge_implIS3_N6thrust23THRUST_200600_302600_NS6detail15normal_iteratorINS9_10device_ptrIsEEEEPS5_m11less_div_10IsEEE10hipError_tT0_T1_T2_jT3_P12ihipStream_tbPNSt15iterator_traitsISJ_E10value_typeEPNSP_ISK_E10value_typeEPSL_NS1_7vsmem_tEENKUlT_SJ_SK_SL_E_clISE_PsSF_SF_EESI_SY_SJ_SK_SL_EUlSY_E0_NS1_11comp_targetILNS1_3genE2ELNS1_11target_archE906ELNS1_3gpuE6ELNS1_3repE0EEENS1_38merge_mergepath_config_static_selectorELNS0_4arch9wavefront6targetE0EEEvSK_
    .private_segment_fixed_size: 0
    .sgpr_count:     0
    .sgpr_spill_count: 0
    .symbol:         _ZN7rocprim17ROCPRIM_400000_NS6detail17trampoline_kernelINS0_14default_configENS1_38merge_sort_block_merge_config_selectorIsNS0_10empty_typeEEEZZNS1_27merge_sort_block_merge_implIS3_N6thrust23THRUST_200600_302600_NS6detail15normal_iteratorINS9_10device_ptrIsEEEEPS5_m11less_div_10IsEEE10hipError_tT0_T1_T2_jT3_P12ihipStream_tbPNSt15iterator_traitsISJ_E10value_typeEPNSP_ISK_E10value_typeEPSL_NS1_7vsmem_tEENKUlT_SJ_SK_SL_E_clISE_PsSF_SF_EESI_SY_SJ_SK_SL_EUlSY_E0_NS1_11comp_targetILNS1_3genE2ELNS1_11target_archE906ELNS1_3gpuE6ELNS1_3repE0EEENS1_38merge_mergepath_config_static_selectorELNS0_4arch9wavefront6targetE0EEEvSK_.kd
    .uniform_work_group_size: 1
    .uses_dynamic_stack: false
    .vgpr_count:     0
    .vgpr_spill_count: 0
    .wavefront_size: 32
    .workgroup_processor_mode: 1
  - .args:
      - .offset:         0
        .size:           72
        .value_kind:     by_value
    .group_segment_fixed_size: 0
    .kernarg_segment_align: 8
    .kernarg_segment_size: 72
    .language:       OpenCL C
    .language_version:
      - 2
      - 0
    .max_flat_workgroup_size: 128
    .name:           _ZN7rocprim17ROCPRIM_400000_NS6detail17trampoline_kernelINS0_14default_configENS1_38merge_sort_block_merge_config_selectorIsNS0_10empty_typeEEEZZNS1_27merge_sort_block_merge_implIS3_N6thrust23THRUST_200600_302600_NS6detail15normal_iteratorINS9_10device_ptrIsEEEEPS5_m11less_div_10IsEEE10hipError_tT0_T1_T2_jT3_P12ihipStream_tbPNSt15iterator_traitsISJ_E10value_typeEPNSP_ISK_E10value_typeEPSL_NS1_7vsmem_tEENKUlT_SJ_SK_SL_E_clISE_PsSF_SF_EESI_SY_SJ_SK_SL_EUlSY_E0_NS1_11comp_targetILNS1_3genE9ELNS1_11target_archE1100ELNS1_3gpuE3ELNS1_3repE0EEENS1_38merge_mergepath_config_static_selectorELNS0_4arch9wavefront6targetE0EEEvSK_
    .private_segment_fixed_size: 0
    .sgpr_count:     0
    .sgpr_spill_count: 0
    .symbol:         _ZN7rocprim17ROCPRIM_400000_NS6detail17trampoline_kernelINS0_14default_configENS1_38merge_sort_block_merge_config_selectorIsNS0_10empty_typeEEEZZNS1_27merge_sort_block_merge_implIS3_N6thrust23THRUST_200600_302600_NS6detail15normal_iteratorINS9_10device_ptrIsEEEEPS5_m11less_div_10IsEEE10hipError_tT0_T1_T2_jT3_P12ihipStream_tbPNSt15iterator_traitsISJ_E10value_typeEPNSP_ISK_E10value_typeEPSL_NS1_7vsmem_tEENKUlT_SJ_SK_SL_E_clISE_PsSF_SF_EESI_SY_SJ_SK_SL_EUlSY_E0_NS1_11comp_targetILNS1_3genE9ELNS1_11target_archE1100ELNS1_3gpuE3ELNS1_3repE0EEENS1_38merge_mergepath_config_static_selectorELNS0_4arch9wavefront6targetE0EEEvSK_.kd
    .uniform_work_group_size: 1
    .uses_dynamic_stack: false
    .vgpr_count:     0
    .vgpr_spill_count: 0
    .wavefront_size: 32
    .workgroup_processor_mode: 1
  - .args:
      - .offset:         0
        .size:           72
        .value_kind:     by_value
      - .offset:         72
        .size:           4
        .value_kind:     hidden_block_count_x
      - .offset:         76
        .size:           4
        .value_kind:     hidden_block_count_y
      - .offset:         80
        .size:           4
        .value_kind:     hidden_block_count_z
      - .offset:         84
        .size:           2
        .value_kind:     hidden_group_size_x
      - .offset:         86
        .size:           2
        .value_kind:     hidden_group_size_y
      - .offset:         88
        .size:           2
        .value_kind:     hidden_group_size_z
      - .offset:         90
        .size:           2
        .value_kind:     hidden_remainder_x
      - .offset:         92
        .size:           2
        .value_kind:     hidden_remainder_y
      - .offset:         94
        .size:           2
        .value_kind:     hidden_remainder_z
      - .offset:         112
        .size:           8
        .value_kind:     hidden_global_offset_x
      - .offset:         120
        .size:           8
        .value_kind:     hidden_global_offset_y
      - .offset:         128
        .size:           8
        .value_kind:     hidden_global_offset_z
      - .offset:         136
        .size:           2
        .value_kind:     hidden_grid_dims
    .group_segment_fixed_size: 2112
    .kernarg_segment_align: 8
    .kernarg_segment_size: 328
    .language:       OpenCL C
    .language_version:
      - 2
      - 0
    .max_flat_workgroup_size: 128
    .name:           _ZN7rocprim17ROCPRIM_400000_NS6detail17trampoline_kernelINS0_14default_configENS1_38merge_sort_block_merge_config_selectorIsNS0_10empty_typeEEEZZNS1_27merge_sort_block_merge_implIS3_N6thrust23THRUST_200600_302600_NS6detail15normal_iteratorINS9_10device_ptrIsEEEEPS5_m11less_div_10IsEEE10hipError_tT0_T1_T2_jT3_P12ihipStream_tbPNSt15iterator_traitsISJ_E10value_typeEPNSP_ISK_E10value_typeEPSL_NS1_7vsmem_tEENKUlT_SJ_SK_SL_E_clISE_PsSF_SF_EESI_SY_SJ_SK_SL_EUlSY_E0_NS1_11comp_targetILNS1_3genE8ELNS1_11target_archE1030ELNS1_3gpuE2ELNS1_3repE0EEENS1_38merge_mergepath_config_static_selectorELNS0_4arch9wavefront6targetE0EEEvSK_
    .private_segment_fixed_size: 0
    .sgpr_count:     33
    .sgpr_spill_count: 0
    .symbol:         _ZN7rocprim17ROCPRIM_400000_NS6detail17trampoline_kernelINS0_14default_configENS1_38merge_sort_block_merge_config_selectorIsNS0_10empty_typeEEEZZNS1_27merge_sort_block_merge_implIS3_N6thrust23THRUST_200600_302600_NS6detail15normal_iteratorINS9_10device_ptrIsEEEEPS5_m11less_div_10IsEEE10hipError_tT0_T1_T2_jT3_P12ihipStream_tbPNSt15iterator_traitsISJ_E10value_typeEPNSP_ISK_E10value_typeEPSL_NS1_7vsmem_tEENKUlT_SJ_SK_SL_E_clISE_PsSF_SF_EESI_SY_SJ_SK_SL_EUlSY_E0_NS1_11comp_targetILNS1_3genE8ELNS1_11target_archE1030ELNS1_3gpuE2ELNS1_3repE0EEENS1_38merge_mergepath_config_static_selectorELNS0_4arch9wavefront6targetE0EEEvSK_.kd
    .uniform_work_group_size: 1
    .uses_dynamic_stack: false
    .vgpr_count:     29
    .vgpr_spill_count: 0
    .wavefront_size: 32
    .workgroup_processor_mode: 1
  - .args:
      - .offset:         0
        .size:           56
        .value_kind:     by_value
    .group_segment_fixed_size: 0
    .kernarg_segment_align: 8
    .kernarg_segment_size: 56
    .language:       OpenCL C
    .language_version:
      - 2
      - 0
    .max_flat_workgroup_size: 256
    .name:           _ZN7rocprim17ROCPRIM_400000_NS6detail17trampoline_kernelINS0_14default_configENS1_38merge_sort_block_merge_config_selectorIsNS0_10empty_typeEEEZZNS1_27merge_sort_block_merge_implIS3_N6thrust23THRUST_200600_302600_NS6detail15normal_iteratorINS9_10device_ptrIsEEEEPS5_m11less_div_10IsEEE10hipError_tT0_T1_T2_jT3_P12ihipStream_tbPNSt15iterator_traitsISJ_E10value_typeEPNSP_ISK_E10value_typeEPSL_NS1_7vsmem_tEENKUlT_SJ_SK_SL_E_clISE_PsSF_SF_EESI_SY_SJ_SK_SL_EUlSY_E1_NS1_11comp_targetILNS1_3genE0ELNS1_11target_archE4294967295ELNS1_3gpuE0ELNS1_3repE0EEENS1_36merge_oddeven_config_static_selectorELNS0_4arch9wavefront6targetE0EEEvSK_
    .private_segment_fixed_size: 0
    .sgpr_count:     0
    .sgpr_spill_count: 0
    .symbol:         _ZN7rocprim17ROCPRIM_400000_NS6detail17trampoline_kernelINS0_14default_configENS1_38merge_sort_block_merge_config_selectorIsNS0_10empty_typeEEEZZNS1_27merge_sort_block_merge_implIS3_N6thrust23THRUST_200600_302600_NS6detail15normal_iteratorINS9_10device_ptrIsEEEEPS5_m11less_div_10IsEEE10hipError_tT0_T1_T2_jT3_P12ihipStream_tbPNSt15iterator_traitsISJ_E10value_typeEPNSP_ISK_E10value_typeEPSL_NS1_7vsmem_tEENKUlT_SJ_SK_SL_E_clISE_PsSF_SF_EESI_SY_SJ_SK_SL_EUlSY_E1_NS1_11comp_targetILNS1_3genE0ELNS1_11target_archE4294967295ELNS1_3gpuE0ELNS1_3repE0EEENS1_36merge_oddeven_config_static_selectorELNS0_4arch9wavefront6targetE0EEEvSK_.kd
    .uniform_work_group_size: 1
    .uses_dynamic_stack: false
    .vgpr_count:     0
    .vgpr_spill_count: 0
    .wavefront_size: 32
    .workgroup_processor_mode: 1
  - .args:
      - .offset:         0
        .size:           56
        .value_kind:     by_value
    .group_segment_fixed_size: 0
    .kernarg_segment_align: 8
    .kernarg_segment_size: 56
    .language:       OpenCL C
    .language_version:
      - 2
      - 0
    .max_flat_workgroup_size: 256
    .name:           _ZN7rocprim17ROCPRIM_400000_NS6detail17trampoline_kernelINS0_14default_configENS1_38merge_sort_block_merge_config_selectorIsNS0_10empty_typeEEEZZNS1_27merge_sort_block_merge_implIS3_N6thrust23THRUST_200600_302600_NS6detail15normal_iteratorINS9_10device_ptrIsEEEEPS5_m11less_div_10IsEEE10hipError_tT0_T1_T2_jT3_P12ihipStream_tbPNSt15iterator_traitsISJ_E10value_typeEPNSP_ISK_E10value_typeEPSL_NS1_7vsmem_tEENKUlT_SJ_SK_SL_E_clISE_PsSF_SF_EESI_SY_SJ_SK_SL_EUlSY_E1_NS1_11comp_targetILNS1_3genE10ELNS1_11target_archE1201ELNS1_3gpuE5ELNS1_3repE0EEENS1_36merge_oddeven_config_static_selectorELNS0_4arch9wavefront6targetE0EEEvSK_
    .private_segment_fixed_size: 0
    .sgpr_count:     0
    .sgpr_spill_count: 0
    .symbol:         _ZN7rocprim17ROCPRIM_400000_NS6detail17trampoline_kernelINS0_14default_configENS1_38merge_sort_block_merge_config_selectorIsNS0_10empty_typeEEEZZNS1_27merge_sort_block_merge_implIS3_N6thrust23THRUST_200600_302600_NS6detail15normal_iteratorINS9_10device_ptrIsEEEEPS5_m11less_div_10IsEEE10hipError_tT0_T1_T2_jT3_P12ihipStream_tbPNSt15iterator_traitsISJ_E10value_typeEPNSP_ISK_E10value_typeEPSL_NS1_7vsmem_tEENKUlT_SJ_SK_SL_E_clISE_PsSF_SF_EESI_SY_SJ_SK_SL_EUlSY_E1_NS1_11comp_targetILNS1_3genE10ELNS1_11target_archE1201ELNS1_3gpuE5ELNS1_3repE0EEENS1_36merge_oddeven_config_static_selectorELNS0_4arch9wavefront6targetE0EEEvSK_.kd
    .uniform_work_group_size: 1
    .uses_dynamic_stack: false
    .vgpr_count:     0
    .vgpr_spill_count: 0
    .wavefront_size: 32
    .workgroup_processor_mode: 1
  - .args:
      - .offset:         0
        .size:           56
        .value_kind:     by_value
    .group_segment_fixed_size: 0
    .kernarg_segment_align: 8
    .kernarg_segment_size: 56
    .language:       OpenCL C
    .language_version:
      - 2
      - 0
    .max_flat_workgroup_size: 256
    .name:           _ZN7rocprim17ROCPRIM_400000_NS6detail17trampoline_kernelINS0_14default_configENS1_38merge_sort_block_merge_config_selectorIsNS0_10empty_typeEEEZZNS1_27merge_sort_block_merge_implIS3_N6thrust23THRUST_200600_302600_NS6detail15normal_iteratorINS9_10device_ptrIsEEEEPS5_m11less_div_10IsEEE10hipError_tT0_T1_T2_jT3_P12ihipStream_tbPNSt15iterator_traitsISJ_E10value_typeEPNSP_ISK_E10value_typeEPSL_NS1_7vsmem_tEENKUlT_SJ_SK_SL_E_clISE_PsSF_SF_EESI_SY_SJ_SK_SL_EUlSY_E1_NS1_11comp_targetILNS1_3genE5ELNS1_11target_archE942ELNS1_3gpuE9ELNS1_3repE0EEENS1_36merge_oddeven_config_static_selectorELNS0_4arch9wavefront6targetE0EEEvSK_
    .private_segment_fixed_size: 0
    .sgpr_count:     0
    .sgpr_spill_count: 0
    .symbol:         _ZN7rocprim17ROCPRIM_400000_NS6detail17trampoline_kernelINS0_14default_configENS1_38merge_sort_block_merge_config_selectorIsNS0_10empty_typeEEEZZNS1_27merge_sort_block_merge_implIS3_N6thrust23THRUST_200600_302600_NS6detail15normal_iteratorINS9_10device_ptrIsEEEEPS5_m11less_div_10IsEEE10hipError_tT0_T1_T2_jT3_P12ihipStream_tbPNSt15iterator_traitsISJ_E10value_typeEPNSP_ISK_E10value_typeEPSL_NS1_7vsmem_tEENKUlT_SJ_SK_SL_E_clISE_PsSF_SF_EESI_SY_SJ_SK_SL_EUlSY_E1_NS1_11comp_targetILNS1_3genE5ELNS1_11target_archE942ELNS1_3gpuE9ELNS1_3repE0EEENS1_36merge_oddeven_config_static_selectorELNS0_4arch9wavefront6targetE0EEEvSK_.kd
    .uniform_work_group_size: 1
    .uses_dynamic_stack: false
    .vgpr_count:     0
    .vgpr_spill_count: 0
    .wavefront_size: 32
    .workgroup_processor_mode: 1
  - .args:
      - .offset:         0
        .size:           56
        .value_kind:     by_value
    .group_segment_fixed_size: 0
    .kernarg_segment_align: 8
    .kernarg_segment_size: 56
    .language:       OpenCL C
    .language_version:
      - 2
      - 0
    .max_flat_workgroup_size: 256
    .name:           _ZN7rocprim17ROCPRIM_400000_NS6detail17trampoline_kernelINS0_14default_configENS1_38merge_sort_block_merge_config_selectorIsNS0_10empty_typeEEEZZNS1_27merge_sort_block_merge_implIS3_N6thrust23THRUST_200600_302600_NS6detail15normal_iteratorINS9_10device_ptrIsEEEEPS5_m11less_div_10IsEEE10hipError_tT0_T1_T2_jT3_P12ihipStream_tbPNSt15iterator_traitsISJ_E10value_typeEPNSP_ISK_E10value_typeEPSL_NS1_7vsmem_tEENKUlT_SJ_SK_SL_E_clISE_PsSF_SF_EESI_SY_SJ_SK_SL_EUlSY_E1_NS1_11comp_targetILNS1_3genE4ELNS1_11target_archE910ELNS1_3gpuE8ELNS1_3repE0EEENS1_36merge_oddeven_config_static_selectorELNS0_4arch9wavefront6targetE0EEEvSK_
    .private_segment_fixed_size: 0
    .sgpr_count:     0
    .sgpr_spill_count: 0
    .symbol:         _ZN7rocprim17ROCPRIM_400000_NS6detail17trampoline_kernelINS0_14default_configENS1_38merge_sort_block_merge_config_selectorIsNS0_10empty_typeEEEZZNS1_27merge_sort_block_merge_implIS3_N6thrust23THRUST_200600_302600_NS6detail15normal_iteratorINS9_10device_ptrIsEEEEPS5_m11less_div_10IsEEE10hipError_tT0_T1_T2_jT3_P12ihipStream_tbPNSt15iterator_traitsISJ_E10value_typeEPNSP_ISK_E10value_typeEPSL_NS1_7vsmem_tEENKUlT_SJ_SK_SL_E_clISE_PsSF_SF_EESI_SY_SJ_SK_SL_EUlSY_E1_NS1_11comp_targetILNS1_3genE4ELNS1_11target_archE910ELNS1_3gpuE8ELNS1_3repE0EEENS1_36merge_oddeven_config_static_selectorELNS0_4arch9wavefront6targetE0EEEvSK_.kd
    .uniform_work_group_size: 1
    .uses_dynamic_stack: false
    .vgpr_count:     0
    .vgpr_spill_count: 0
    .wavefront_size: 32
    .workgroup_processor_mode: 1
  - .args:
      - .offset:         0
        .size:           56
        .value_kind:     by_value
    .group_segment_fixed_size: 0
    .kernarg_segment_align: 8
    .kernarg_segment_size: 56
    .language:       OpenCL C
    .language_version:
      - 2
      - 0
    .max_flat_workgroup_size: 256
    .name:           _ZN7rocprim17ROCPRIM_400000_NS6detail17trampoline_kernelINS0_14default_configENS1_38merge_sort_block_merge_config_selectorIsNS0_10empty_typeEEEZZNS1_27merge_sort_block_merge_implIS3_N6thrust23THRUST_200600_302600_NS6detail15normal_iteratorINS9_10device_ptrIsEEEEPS5_m11less_div_10IsEEE10hipError_tT0_T1_T2_jT3_P12ihipStream_tbPNSt15iterator_traitsISJ_E10value_typeEPNSP_ISK_E10value_typeEPSL_NS1_7vsmem_tEENKUlT_SJ_SK_SL_E_clISE_PsSF_SF_EESI_SY_SJ_SK_SL_EUlSY_E1_NS1_11comp_targetILNS1_3genE3ELNS1_11target_archE908ELNS1_3gpuE7ELNS1_3repE0EEENS1_36merge_oddeven_config_static_selectorELNS0_4arch9wavefront6targetE0EEEvSK_
    .private_segment_fixed_size: 0
    .sgpr_count:     0
    .sgpr_spill_count: 0
    .symbol:         _ZN7rocprim17ROCPRIM_400000_NS6detail17trampoline_kernelINS0_14default_configENS1_38merge_sort_block_merge_config_selectorIsNS0_10empty_typeEEEZZNS1_27merge_sort_block_merge_implIS3_N6thrust23THRUST_200600_302600_NS6detail15normal_iteratorINS9_10device_ptrIsEEEEPS5_m11less_div_10IsEEE10hipError_tT0_T1_T2_jT3_P12ihipStream_tbPNSt15iterator_traitsISJ_E10value_typeEPNSP_ISK_E10value_typeEPSL_NS1_7vsmem_tEENKUlT_SJ_SK_SL_E_clISE_PsSF_SF_EESI_SY_SJ_SK_SL_EUlSY_E1_NS1_11comp_targetILNS1_3genE3ELNS1_11target_archE908ELNS1_3gpuE7ELNS1_3repE0EEENS1_36merge_oddeven_config_static_selectorELNS0_4arch9wavefront6targetE0EEEvSK_.kd
    .uniform_work_group_size: 1
    .uses_dynamic_stack: false
    .vgpr_count:     0
    .vgpr_spill_count: 0
    .wavefront_size: 32
    .workgroup_processor_mode: 1
  - .args:
      - .offset:         0
        .size:           56
        .value_kind:     by_value
    .group_segment_fixed_size: 0
    .kernarg_segment_align: 8
    .kernarg_segment_size: 56
    .language:       OpenCL C
    .language_version:
      - 2
      - 0
    .max_flat_workgroup_size: 256
    .name:           _ZN7rocprim17ROCPRIM_400000_NS6detail17trampoline_kernelINS0_14default_configENS1_38merge_sort_block_merge_config_selectorIsNS0_10empty_typeEEEZZNS1_27merge_sort_block_merge_implIS3_N6thrust23THRUST_200600_302600_NS6detail15normal_iteratorINS9_10device_ptrIsEEEEPS5_m11less_div_10IsEEE10hipError_tT0_T1_T2_jT3_P12ihipStream_tbPNSt15iterator_traitsISJ_E10value_typeEPNSP_ISK_E10value_typeEPSL_NS1_7vsmem_tEENKUlT_SJ_SK_SL_E_clISE_PsSF_SF_EESI_SY_SJ_SK_SL_EUlSY_E1_NS1_11comp_targetILNS1_3genE2ELNS1_11target_archE906ELNS1_3gpuE6ELNS1_3repE0EEENS1_36merge_oddeven_config_static_selectorELNS0_4arch9wavefront6targetE0EEEvSK_
    .private_segment_fixed_size: 0
    .sgpr_count:     0
    .sgpr_spill_count: 0
    .symbol:         _ZN7rocprim17ROCPRIM_400000_NS6detail17trampoline_kernelINS0_14default_configENS1_38merge_sort_block_merge_config_selectorIsNS0_10empty_typeEEEZZNS1_27merge_sort_block_merge_implIS3_N6thrust23THRUST_200600_302600_NS6detail15normal_iteratorINS9_10device_ptrIsEEEEPS5_m11less_div_10IsEEE10hipError_tT0_T1_T2_jT3_P12ihipStream_tbPNSt15iterator_traitsISJ_E10value_typeEPNSP_ISK_E10value_typeEPSL_NS1_7vsmem_tEENKUlT_SJ_SK_SL_E_clISE_PsSF_SF_EESI_SY_SJ_SK_SL_EUlSY_E1_NS1_11comp_targetILNS1_3genE2ELNS1_11target_archE906ELNS1_3gpuE6ELNS1_3repE0EEENS1_36merge_oddeven_config_static_selectorELNS0_4arch9wavefront6targetE0EEEvSK_.kd
    .uniform_work_group_size: 1
    .uses_dynamic_stack: false
    .vgpr_count:     0
    .vgpr_spill_count: 0
    .wavefront_size: 32
    .workgroup_processor_mode: 1
  - .args:
      - .offset:         0
        .size:           56
        .value_kind:     by_value
    .group_segment_fixed_size: 0
    .kernarg_segment_align: 8
    .kernarg_segment_size: 56
    .language:       OpenCL C
    .language_version:
      - 2
      - 0
    .max_flat_workgroup_size: 256
    .name:           _ZN7rocprim17ROCPRIM_400000_NS6detail17trampoline_kernelINS0_14default_configENS1_38merge_sort_block_merge_config_selectorIsNS0_10empty_typeEEEZZNS1_27merge_sort_block_merge_implIS3_N6thrust23THRUST_200600_302600_NS6detail15normal_iteratorINS9_10device_ptrIsEEEEPS5_m11less_div_10IsEEE10hipError_tT0_T1_T2_jT3_P12ihipStream_tbPNSt15iterator_traitsISJ_E10value_typeEPNSP_ISK_E10value_typeEPSL_NS1_7vsmem_tEENKUlT_SJ_SK_SL_E_clISE_PsSF_SF_EESI_SY_SJ_SK_SL_EUlSY_E1_NS1_11comp_targetILNS1_3genE9ELNS1_11target_archE1100ELNS1_3gpuE3ELNS1_3repE0EEENS1_36merge_oddeven_config_static_selectorELNS0_4arch9wavefront6targetE0EEEvSK_
    .private_segment_fixed_size: 0
    .sgpr_count:     0
    .sgpr_spill_count: 0
    .symbol:         _ZN7rocprim17ROCPRIM_400000_NS6detail17trampoline_kernelINS0_14default_configENS1_38merge_sort_block_merge_config_selectorIsNS0_10empty_typeEEEZZNS1_27merge_sort_block_merge_implIS3_N6thrust23THRUST_200600_302600_NS6detail15normal_iteratorINS9_10device_ptrIsEEEEPS5_m11less_div_10IsEEE10hipError_tT0_T1_T2_jT3_P12ihipStream_tbPNSt15iterator_traitsISJ_E10value_typeEPNSP_ISK_E10value_typeEPSL_NS1_7vsmem_tEENKUlT_SJ_SK_SL_E_clISE_PsSF_SF_EESI_SY_SJ_SK_SL_EUlSY_E1_NS1_11comp_targetILNS1_3genE9ELNS1_11target_archE1100ELNS1_3gpuE3ELNS1_3repE0EEENS1_36merge_oddeven_config_static_selectorELNS0_4arch9wavefront6targetE0EEEvSK_.kd
    .uniform_work_group_size: 1
    .uses_dynamic_stack: false
    .vgpr_count:     0
    .vgpr_spill_count: 0
    .wavefront_size: 32
    .workgroup_processor_mode: 1
  - .args:
      - .offset:         0
        .size:           56
        .value_kind:     by_value
    .group_segment_fixed_size: 0
    .kernarg_segment_align: 8
    .kernarg_segment_size: 56
    .language:       OpenCL C
    .language_version:
      - 2
      - 0
    .max_flat_workgroup_size: 256
    .name:           _ZN7rocprim17ROCPRIM_400000_NS6detail17trampoline_kernelINS0_14default_configENS1_38merge_sort_block_merge_config_selectorIsNS0_10empty_typeEEEZZNS1_27merge_sort_block_merge_implIS3_N6thrust23THRUST_200600_302600_NS6detail15normal_iteratorINS9_10device_ptrIsEEEEPS5_m11less_div_10IsEEE10hipError_tT0_T1_T2_jT3_P12ihipStream_tbPNSt15iterator_traitsISJ_E10value_typeEPNSP_ISK_E10value_typeEPSL_NS1_7vsmem_tEENKUlT_SJ_SK_SL_E_clISE_PsSF_SF_EESI_SY_SJ_SK_SL_EUlSY_E1_NS1_11comp_targetILNS1_3genE8ELNS1_11target_archE1030ELNS1_3gpuE2ELNS1_3repE0EEENS1_36merge_oddeven_config_static_selectorELNS0_4arch9wavefront6targetE0EEEvSK_
    .private_segment_fixed_size: 0
    .sgpr_count:     18
    .sgpr_spill_count: 0
    .symbol:         _ZN7rocprim17ROCPRIM_400000_NS6detail17trampoline_kernelINS0_14default_configENS1_38merge_sort_block_merge_config_selectorIsNS0_10empty_typeEEEZZNS1_27merge_sort_block_merge_implIS3_N6thrust23THRUST_200600_302600_NS6detail15normal_iteratorINS9_10device_ptrIsEEEEPS5_m11less_div_10IsEEE10hipError_tT0_T1_T2_jT3_P12ihipStream_tbPNSt15iterator_traitsISJ_E10value_typeEPNSP_ISK_E10value_typeEPSL_NS1_7vsmem_tEENKUlT_SJ_SK_SL_E_clISE_PsSF_SF_EESI_SY_SJ_SK_SL_EUlSY_E1_NS1_11comp_targetILNS1_3genE8ELNS1_11target_archE1030ELNS1_3gpuE2ELNS1_3repE0EEENS1_36merge_oddeven_config_static_selectorELNS0_4arch9wavefront6targetE0EEEvSK_.kd
    .uniform_work_group_size: 1
    .uses_dynamic_stack: false
    .vgpr_count:     8
    .vgpr_spill_count: 0
    .wavefront_size: 32
    .workgroup_processor_mode: 1
  - .args:
      - .offset:         0
        .size:           40
        .value_kind:     by_value
    .group_segment_fixed_size: 0
    .kernarg_segment_align: 8
    .kernarg_segment_size: 40
    .language:       OpenCL C
    .language_version:
      - 2
      - 0
    .max_flat_workgroup_size: 128
    .name:           _ZN7rocprim17ROCPRIM_400000_NS6detail17trampoline_kernelINS0_14default_configENS1_25transform_config_selectorIsLb0EEEZNS1_14transform_implILb0ES3_S5_PsN6thrust23THRUST_200600_302600_NS6detail15normal_iteratorINS9_10device_ptrIsEEEENS0_8identityIsEEEE10hipError_tT2_T3_mT4_P12ihipStream_tbEUlT_E_NS1_11comp_targetILNS1_3genE0ELNS1_11target_archE4294967295ELNS1_3gpuE0ELNS1_3repE0EEENS1_30default_config_static_selectorELNS0_4arch9wavefront6targetE0EEEvT1_
    .private_segment_fixed_size: 0
    .sgpr_count:     0
    .sgpr_spill_count: 0
    .symbol:         _ZN7rocprim17ROCPRIM_400000_NS6detail17trampoline_kernelINS0_14default_configENS1_25transform_config_selectorIsLb0EEEZNS1_14transform_implILb0ES3_S5_PsN6thrust23THRUST_200600_302600_NS6detail15normal_iteratorINS9_10device_ptrIsEEEENS0_8identityIsEEEE10hipError_tT2_T3_mT4_P12ihipStream_tbEUlT_E_NS1_11comp_targetILNS1_3genE0ELNS1_11target_archE4294967295ELNS1_3gpuE0ELNS1_3repE0EEENS1_30default_config_static_selectorELNS0_4arch9wavefront6targetE0EEEvT1_.kd
    .uniform_work_group_size: 1
    .uses_dynamic_stack: false
    .vgpr_count:     0
    .vgpr_spill_count: 0
    .wavefront_size: 32
    .workgroup_processor_mode: 1
  - .args:
      - .offset:         0
        .size:           40
        .value_kind:     by_value
    .group_segment_fixed_size: 0
    .kernarg_segment_align: 8
    .kernarg_segment_size: 40
    .language:       OpenCL C
    .language_version:
      - 2
      - 0
    .max_flat_workgroup_size: 256
    .name:           _ZN7rocprim17ROCPRIM_400000_NS6detail17trampoline_kernelINS0_14default_configENS1_25transform_config_selectorIsLb0EEEZNS1_14transform_implILb0ES3_S5_PsN6thrust23THRUST_200600_302600_NS6detail15normal_iteratorINS9_10device_ptrIsEEEENS0_8identityIsEEEE10hipError_tT2_T3_mT4_P12ihipStream_tbEUlT_E_NS1_11comp_targetILNS1_3genE5ELNS1_11target_archE942ELNS1_3gpuE9ELNS1_3repE0EEENS1_30default_config_static_selectorELNS0_4arch9wavefront6targetE0EEEvT1_
    .private_segment_fixed_size: 0
    .sgpr_count:     0
    .sgpr_spill_count: 0
    .symbol:         _ZN7rocprim17ROCPRIM_400000_NS6detail17trampoline_kernelINS0_14default_configENS1_25transform_config_selectorIsLb0EEEZNS1_14transform_implILb0ES3_S5_PsN6thrust23THRUST_200600_302600_NS6detail15normal_iteratorINS9_10device_ptrIsEEEENS0_8identityIsEEEE10hipError_tT2_T3_mT4_P12ihipStream_tbEUlT_E_NS1_11comp_targetILNS1_3genE5ELNS1_11target_archE942ELNS1_3gpuE9ELNS1_3repE0EEENS1_30default_config_static_selectorELNS0_4arch9wavefront6targetE0EEEvT1_.kd
    .uniform_work_group_size: 1
    .uses_dynamic_stack: false
    .vgpr_count:     0
    .vgpr_spill_count: 0
    .wavefront_size: 32
    .workgroup_processor_mode: 1
  - .args:
      - .offset:         0
        .size:           40
        .value_kind:     by_value
    .group_segment_fixed_size: 0
    .kernarg_segment_align: 8
    .kernarg_segment_size: 40
    .language:       OpenCL C
    .language_version:
      - 2
      - 0
    .max_flat_workgroup_size: 64
    .name:           _ZN7rocprim17ROCPRIM_400000_NS6detail17trampoline_kernelINS0_14default_configENS1_25transform_config_selectorIsLb0EEEZNS1_14transform_implILb0ES3_S5_PsN6thrust23THRUST_200600_302600_NS6detail15normal_iteratorINS9_10device_ptrIsEEEENS0_8identityIsEEEE10hipError_tT2_T3_mT4_P12ihipStream_tbEUlT_E_NS1_11comp_targetILNS1_3genE4ELNS1_11target_archE910ELNS1_3gpuE8ELNS1_3repE0EEENS1_30default_config_static_selectorELNS0_4arch9wavefront6targetE0EEEvT1_
    .private_segment_fixed_size: 0
    .sgpr_count:     0
    .sgpr_spill_count: 0
    .symbol:         _ZN7rocprim17ROCPRIM_400000_NS6detail17trampoline_kernelINS0_14default_configENS1_25transform_config_selectorIsLb0EEEZNS1_14transform_implILb0ES3_S5_PsN6thrust23THRUST_200600_302600_NS6detail15normal_iteratorINS9_10device_ptrIsEEEENS0_8identityIsEEEE10hipError_tT2_T3_mT4_P12ihipStream_tbEUlT_E_NS1_11comp_targetILNS1_3genE4ELNS1_11target_archE910ELNS1_3gpuE8ELNS1_3repE0EEENS1_30default_config_static_selectorELNS0_4arch9wavefront6targetE0EEEvT1_.kd
    .uniform_work_group_size: 1
    .uses_dynamic_stack: false
    .vgpr_count:     0
    .vgpr_spill_count: 0
    .wavefront_size: 32
    .workgroup_processor_mode: 1
  - .args:
      - .offset:         0
        .size:           40
        .value_kind:     by_value
    .group_segment_fixed_size: 0
    .kernarg_segment_align: 8
    .kernarg_segment_size: 40
    .language:       OpenCL C
    .language_version:
      - 2
      - 0
    .max_flat_workgroup_size: 128
    .name:           _ZN7rocprim17ROCPRIM_400000_NS6detail17trampoline_kernelINS0_14default_configENS1_25transform_config_selectorIsLb0EEEZNS1_14transform_implILb0ES3_S5_PsN6thrust23THRUST_200600_302600_NS6detail15normal_iteratorINS9_10device_ptrIsEEEENS0_8identityIsEEEE10hipError_tT2_T3_mT4_P12ihipStream_tbEUlT_E_NS1_11comp_targetILNS1_3genE3ELNS1_11target_archE908ELNS1_3gpuE7ELNS1_3repE0EEENS1_30default_config_static_selectorELNS0_4arch9wavefront6targetE0EEEvT1_
    .private_segment_fixed_size: 0
    .sgpr_count:     0
    .sgpr_spill_count: 0
    .symbol:         _ZN7rocprim17ROCPRIM_400000_NS6detail17trampoline_kernelINS0_14default_configENS1_25transform_config_selectorIsLb0EEEZNS1_14transform_implILb0ES3_S5_PsN6thrust23THRUST_200600_302600_NS6detail15normal_iteratorINS9_10device_ptrIsEEEENS0_8identityIsEEEE10hipError_tT2_T3_mT4_P12ihipStream_tbEUlT_E_NS1_11comp_targetILNS1_3genE3ELNS1_11target_archE908ELNS1_3gpuE7ELNS1_3repE0EEENS1_30default_config_static_selectorELNS0_4arch9wavefront6targetE0EEEvT1_.kd
    .uniform_work_group_size: 1
    .uses_dynamic_stack: false
    .vgpr_count:     0
    .vgpr_spill_count: 0
    .wavefront_size: 32
    .workgroup_processor_mode: 1
  - .args:
      - .offset:         0
        .size:           40
        .value_kind:     by_value
    .group_segment_fixed_size: 0
    .kernarg_segment_align: 8
    .kernarg_segment_size: 40
    .language:       OpenCL C
    .language_version:
      - 2
      - 0
    .max_flat_workgroup_size: 512
    .name:           _ZN7rocprim17ROCPRIM_400000_NS6detail17trampoline_kernelINS0_14default_configENS1_25transform_config_selectorIsLb0EEEZNS1_14transform_implILb0ES3_S5_PsN6thrust23THRUST_200600_302600_NS6detail15normal_iteratorINS9_10device_ptrIsEEEENS0_8identityIsEEEE10hipError_tT2_T3_mT4_P12ihipStream_tbEUlT_E_NS1_11comp_targetILNS1_3genE2ELNS1_11target_archE906ELNS1_3gpuE6ELNS1_3repE0EEENS1_30default_config_static_selectorELNS0_4arch9wavefront6targetE0EEEvT1_
    .private_segment_fixed_size: 0
    .sgpr_count:     0
    .sgpr_spill_count: 0
    .symbol:         _ZN7rocprim17ROCPRIM_400000_NS6detail17trampoline_kernelINS0_14default_configENS1_25transform_config_selectorIsLb0EEEZNS1_14transform_implILb0ES3_S5_PsN6thrust23THRUST_200600_302600_NS6detail15normal_iteratorINS9_10device_ptrIsEEEENS0_8identityIsEEEE10hipError_tT2_T3_mT4_P12ihipStream_tbEUlT_E_NS1_11comp_targetILNS1_3genE2ELNS1_11target_archE906ELNS1_3gpuE6ELNS1_3repE0EEENS1_30default_config_static_selectorELNS0_4arch9wavefront6targetE0EEEvT1_.kd
    .uniform_work_group_size: 1
    .uses_dynamic_stack: false
    .vgpr_count:     0
    .vgpr_spill_count: 0
    .wavefront_size: 32
    .workgroup_processor_mode: 1
  - .args:
      - .offset:         0
        .size:           40
        .value_kind:     by_value
    .group_segment_fixed_size: 0
    .kernarg_segment_align: 8
    .kernarg_segment_size: 40
    .language:       OpenCL C
    .language_version:
      - 2
      - 0
    .max_flat_workgroup_size: 1024
    .name:           _ZN7rocprim17ROCPRIM_400000_NS6detail17trampoline_kernelINS0_14default_configENS1_25transform_config_selectorIsLb0EEEZNS1_14transform_implILb0ES3_S5_PsN6thrust23THRUST_200600_302600_NS6detail15normal_iteratorINS9_10device_ptrIsEEEENS0_8identityIsEEEE10hipError_tT2_T3_mT4_P12ihipStream_tbEUlT_E_NS1_11comp_targetILNS1_3genE10ELNS1_11target_archE1201ELNS1_3gpuE5ELNS1_3repE0EEENS1_30default_config_static_selectorELNS0_4arch9wavefront6targetE0EEEvT1_
    .private_segment_fixed_size: 0
    .sgpr_count:     0
    .sgpr_spill_count: 0
    .symbol:         _ZN7rocprim17ROCPRIM_400000_NS6detail17trampoline_kernelINS0_14default_configENS1_25transform_config_selectorIsLb0EEEZNS1_14transform_implILb0ES3_S5_PsN6thrust23THRUST_200600_302600_NS6detail15normal_iteratorINS9_10device_ptrIsEEEENS0_8identityIsEEEE10hipError_tT2_T3_mT4_P12ihipStream_tbEUlT_E_NS1_11comp_targetILNS1_3genE10ELNS1_11target_archE1201ELNS1_3gpuE5ELNS1_3repE0EEENS1_30default_config_static_selectorELNS0_4arch9wavefront6targetE0EEEvT1_.kd
    .uniform_work_group_size: 1
    .uses_dynamic_stack: false
    .vgpr_count:     0
    .vgpr_spill_count: 0
    .wavefront_size: 32
    .workgroup_processor_mode: 1
  - .args:
      - .offset:         0
        .size:           40
        .value_kind:     by_value
    .group_segment_fixed_size: 0
    .kernarg_segment_align: 8
    .kernarg_segment_size: 40
    .language:       OpenCL C
    .language_version:
      - 2
      - 0
    .max_flat_workgroup_size: 512
    .name:           _ZN7rocprim17ROCPRIM_400000_NS6detail17trampoline_kernelINS0_14default_configENS1_25transform_config_selectorIsLb0EEEZNS1_14transform_implILb0ES3_S5_PsN6thrust23THRUST_200600_302600_NS6detail15normal_iteratorINS9_10device_ptrIsEEEENS0_8identityIsEEEE10hipError_tT2_T3_mT4_P12ihipStream_tbEUlT_E_NS1_11comp_targetILNS1_3genE10ELNS1_11target_archE1200ELNS1_3gpuE4ELNS1_3repE0EEENS1_30default_config_static_selectorELNS0_4arch9wavefront6targetE0EEEvT1_
    .private_segment_fixed_size: 0
    .sgpr_count:     0
    .sgpr_spill_count: 0
    .symbol:         _ZN7rocprim17ROCPRIM_400000_NS6detail17trampoline_kernelINS0_14default_configENS1_25transform_config_selectorIsLb0EEEZNS1_14transform_implILb0ES3_S5_PsN6thrust23THRUST_200600_302600_NS6detail15normal_iteratorINS9_10device_ptrIsEEEENS0_8identityIsEEEE10hipError_tT2_T3_mT4_P12ihipStream_tbEUlT_E_NS1_11comp_targetILNS1_3genE10ELNS1_11target_archE1200ELNS1_3gpuE4ELNS1_3repE0EEENS1_30default_config_static_selectorELNS0_4arch9wavefront6targetE0EEEvT1_.kd
    .uniform_work_group_size: 1
    .uses_dynamic_stack: false
    .vgpr_count:     0
    .vgpr_spill_count: 0
    .wavefront_size: 32
    .workgroup_processor_mode: 1
  - .args:
      - .offset:         0
        .size:           40
        .value_kind:     by_value
    .group_segment_fixed_size: 0
    .kernarg_segment_align: 8
    .kernarg_segment_size: 40
    .language:       OpenCL C
    .language_version:
      - 2
      - 0
    .max_flat_workgroup_size: 1024
    .name:           _ZN7rocprim17ROCPRIM_400000_NS6detail17trampoline_kernelINS0_14default_configENS1_25transform_config_selectorIsLb0EEEZNS1_14transform_implILb0ES3_S5_PsN6thrust23THRUST_200600_302600_NS6detail15normal_iteratorINS9_10device_ptrIsEEEENS0_8identityIsEEEE10hipError_tT2_T3_mT4_P12ihipStream_tbEUlT_E_NS1_11comp_targetILNS1_3genE9ELNS1_11target_archE1100ELNS1_3gpuE3ELNS1_3repE0EEENS1_30default_config_static_selectorELNS0_4arch9wavefront6targetE0EEEvT1_
    .private_segment_fixed_size: 0
    .sgpr_count:     0
    .sgpr_spill_count: 0
    .symbol:         _ZN7rocprim17ROCPRIM_400000_NS6detail17trampoline_kernelINS0_14default_configENS1_25transform_config_selectorIsLb0EEEZNS1_14transform_implILb0ES3_S5_PsN6thrust23THRUST_200600_302600_NS6detail15normal_iteratorINS9_10device_ptrIsEEEENS0_8identityIsEEEE10hipError_tT2_T3_mT4_P12ihipStream_tbEUlT_E_NS1_11comp_targetILNS1_3genE9ELNS1_11target_archE1100ELNS1_3gpuE3ELNS1_3repE0EEENS1_30default_config_static_selectorELNS0_4arch9wavefront6targetE0EEEvT1_.kd
    .uniform_work_group_size: 1
    .uses_dynamic_stack: false
    .vgpr_count:     0
    .vgpr_spill_count: 0
    .wavefront_size: 32
    .workgroup_processor_mode: 1
  - .args:
      - .offset:         0
        .size:           40
        .value_kind:     by_value
      - .offset:         40
        .size:           4
        .value_kind:     hidden_block_count_x
      - .offset:         44
        .size:           4
        .value_kind:     hidden_block_count_y
      - .offset:         48
        .size:           4
        .value_kind:     hidden_block_count_z
      - .offset:         52
        .size:           2
        .value_kind:     hidden_group_size_x
      - .offset:         54
        .size:           2
        .value_kind:     hidden_group_size_y
      - .offset:         56
        .size:           2
        .value_kind:     hidden_group_size_z
      - .offset:         58
        .size:           2
        .value_kind:     hidden_remainder_x
      - .offset:         60
        .size:           2
        .value_kind:     hidden_remainder_y
      - .offset:         62
        .size:           2
        .value_kind:     hidden_remainder_z
      - .offset:         80
        .size:           8
        .value_kind:     hidden_global_offset_x
      - .offset:         88
        .size:           8
        .value_kind:     hidden_global_offset_y
      - .offset:         96
        .size:           8
        .value_kind:     hidden_global_offset_z
      - .offset:         104
        .size:           2
        .value_kind:     hidden_grid_dims
    .group_segment_fixed_size: 0
    .kernarg_segment_align: 8
    .kernarg_segment_size: 296
    .language:       OpenCL C
    .language_version:
      - 2
      - 0
    .max_flat_workgroup_size: 1024
    .name:           _ZN7rocprim17ROCPRIM_400000_NS6detail17trampoline_kernelINS0_14default_configENS1_25transform_config_selectorIsLb0EEEZNS1_14transform_implILb0ES3_S5_PsN6thrust23THRUST_200600_302600_NS6detail15normal_iteratorINS9_10device_ptrIsEEEENS0_8identityIsEEEE10hipError_tT2_T3_mT4_P12ihipStream_tbEUlT_E_NS1_11comp_targetILNS1_3genE8ELNS1_11target_archE1030ELNS1_3gpuE2ELNS1_3repE0EEENS1_30default_config_static_selectorELNS0_4arch9wavefront6targetE0EEEvT1_
    .private_segment_fixed_size: 0
    .sgpr_count:     14
    .sgpr_spill_count: 0
    .symbol:         _ZN7rocprim17ROCPRIM_400000_NS6detail17trampoline_kernelINS0_14default_configENS1_25transform_config_selectorIsLb0EEEZNS1_14transform_implILb0ES3_S5_PsN6thrust23THRUST_200600_302600_NS6detail15normal_iteratorINS9_10device_ptrIsEEEENS0_8identityIsEEEE10hipError_tT2_T3_mT4_P12ihipStream_tbEUlT_E_NS1_11comp_targetILNS1_3genE8ELNS1_11target_archE1030ELNS1_3gpuE2ELNS1_3repE0EEENS1_30default_config_static_selectorELNS0_4arch9wavefront6targetE0EEEvT1_.kd
    .uniform_work_group_size: 1
    .uses_dynamic_stack: false
    .vgpr_count:     3
    .vgpr_spill_count: 0
    .wavefront_size: 32
    .workgroup_processor_mode: 1
  - .args:
      - .offset:         0
        .size:           104
        .value_kind:     by_value
    .group_segment_fixed_size: 0
    .kernarg_segment_align: 8
    .kernarg_segment_size: 104
    .language:       OpenCL C
    .language_version:
      - 2
      - 0
    .max_flat_workgroup_size: 128
    .name:           _ZN7rocprim17ROCPRIM_400000_NS6detail17trampoline_kernelINS0_14default_configENS1_22reduce_config_selectorIN6thrust23THRUST_200600_302600_NS5tupleIblNS6_9null_typeES8_S8_S8_S8_S8_S8_S8_EEEEZNS1_11reduce_implILb1ES3_NS6_12zip_iteratorINS7_INS6_11hip_rocprim26transform_input_iterator_tIbNSD_35transform_pair_of_input_iterators_tIbNS6_6detail15normal_iteratorINS6_10device_ptrIKsEEEESL_NS6_8equal_toIsEEEENSG_9not_fun_tINSD_8identityEEEEENSD_19counting_iterator_tIlEES8_S8_S8_S8_S8_S8_S8_S8_EEEEPS9_S9_NSD_9__find_if7functorIS9_EEEE10hipError_tPvRmT1_T2_T3_mT4_P12ihipStream_tbEUlT_E0_NS1_11comp_targetILNS1_3genE0ELNS1_11target_archE4294967295ELNS1_3gpuE0ELNS1_3repE0EEENS1_30default_config_static_selectorELNS0_4arch9wavefront6targetE0EEEvS14_
    .private_segment_fixed_size: 0
    .sgpr_count:     0
    .sgpr_spill_count: 0
    .symbol:         _ZN7rocprim17ROCPRIM_400000_NS6detail17trampoline_kernelINS0_14default_configENS1_22reduce_config_selectorIN6thrust23THRUST_200600_302600_NS5tupleIblNS6_9null_typeES8_S8_S8_S8_S8_S8_S8_EEEEZNS1_11reduce_implILb1ES3_NS6_12zip_iteratorINS7_INS6_11hip_rocprim26transform_input_iterator_tIbNSD_35transform_pair_of_input_iterators_tIbNS6_6detail15normal_iteratorINS6_10device_ptrIKsEEEESL_NS6_8equal_toIsEEEENSG_9not_fun_tINSD_8identityEEEEENSD_19counting_iterator_tIlEES8_S8_S8_S8_S8_S8_S8_S8_EEEEPS9_S9_NSD_9__find_if7functorIS9_EEEE10hipError_tPvRmT1_T2_T3_mT4_P12ihipStream_tbEUlT_E0_NS1_11comp_targetILNS1_3genE0ELNS1_11target_archE4294967295ELNS1_3gpuE0ELNS1_3repE0EEENS1_30default_config_static_selectorELNS0_4arch9wavefront6targetE0EEEvS14_.kd
    .uniform_work_group_size: 1
    .uses_dynamic_stack: false
    .vgpr_count:     0
    .vgpr_spill_count: 0
    .wavefront_size: 32
    .workgroup_processor_mode: 1
  - .args:
      - .offset:         0
        .size:           104
        .value_kind:     by_value
    .group_segment_fixed_size: 0
    .kernarg_segment_align: 8
    .kernarg_segment_size: 104
    .language:       OpenCL C
    .language_version:
      - 2
      - 0
    .max_flat_workgroup_size: 256
    .name:           _ZN7rocprim17ROCPRIM_400000_NS6detail17trampoline_kernelINS0_14default_configENS1_22reduce_config_selectorIN6thrust23THRUST_200600_302600_NS5tupleIblNS6_9null_typeES8_S8_S8_S8_S8_S8_S8_EEEEZNS1_11reduce_implILb1ES3_NS6_12zip_iteratorINS7_INS6_11hip_rocprim26transform_input_iterator_tIbNSD_35transform_pair_of_input_iterators_tIbNS6_6detail15normal_iteratorINS6_10device_ptrIKsEEEESL_NS6_8equal_toIsEEEENSG_9not_fun_tINSD_8identityEEEEENSD_19counting_iterator_tIlEES8_S8_S8_S8_S8_S8_S8_S8_EEEEPS9_S9_NSD_9__find_if7functorIS9_EEEE10hipError_tPvRmT1_T2_T3_mT4_P12ihipStream_tbEUlT_E0_NS1_11comp_targetILNS1_3genE5ELNS1_11target_archE942ELNS1_3gpuE9ELNS1_3repE0EEENS1_30default_config_static_selectorELNS0_4arch9wavefront6targetE0EEEvS14_
    .private_segment_fixed_size: 0
    .sgpr_count:     0
    .sgpr_spill_count: 0
    .symbol:         _ZN7rocprim17ROCPRIM_400000_NS6detail17trampoline_kernelINS0_14default_configENS1_22reduce_config_selectorIN6thrust23THRUST_200600_302600_NS5tupleIblNS6_9null_typeES8_S8_S8_S8_S8_S8_S8_EEEEZNS1_11reduce_implILb1ES3_NS6_12zip_iteratorINS7_INS6_11hip_rocprim26transform_input_iterator_tIbNSD_35transform_pair_of_input_iterators_tIbNS6_6detail15normal_iteratorINS6_10device_ptrIKsEEEESL_NS6_8equal_toIsEEEENSG_9not_fun_tINSD_8identityEEEEENSD_19counting_iterator_tIlEES8_S8_S8_S8_S8_S8_S8_S8_EEEEPS9_S9_NSD_9__find_if7functorIS9_EEEE10hipError_tPvRmT1_T2_T3_mT4_P12ihipStream_tbEUlT_E0_NS1_11comp_targetILNS1_3genE5ELNS1_11target_archE942ELNS1_3gpuE9ELNS1_3repE0EEENS1_30default_config_static_selectorELNS0_4arch9wavefront6targetE0EEEvS14_.kd
    .uniform_work_group_size: 1
    .uses_dynamic_stack: false
    .vgpr_count:     0
    .vgpr_spill_count: 0
    .wavefront_size: 32
    .workgroup_processor_mode: 1
  - .args:
      - .offset:         0
        .size:           104
        .value_kind:     by_value
    .group_segment_fixed_size: 0
    .kernarg_segment_align: 8
    .kernarg_segment_size: 104
    .language:       OpenCL C
    .language_version:
      - 2
      - 0
    .max_flat_workgroup_size: 256
    .name:           _ZN7rocprim17ROCPRIM_400000_NS6detail17trampoline_kernelINS0_14default_configENS1_22reduce_config_selectorIN6thrust23THRUST_200600_302600_NS5tupleIblNS6_9null_typeES8_S8_S8_S8_S8_S8_S8_EEEEZNS1_11reduce_implILb1ES3_NS6_12zip_iteratorINS7_INS6_11hip_rocprim26transform_input_iterator_tIbNSD_35transform_pair_of_input_iterators_tIbNS6_6detail15normal_iteratorINS6_10device_ptrIKsEEEESL_NS6_8equal_toIsEEEENSG_9not_fun_tINSD_8identityEEEEENSD_19counting_iterator_tIlEES8_S8_S8_S8_S8_S8_S8_S8_EEEEPS9_S9_NSD_9__find_if7functorIS9_EEEE10hipError_tPvRmT1_T2_T3_mT4_P12ihipStream_tbEUlT_E0_NS1_11comp_targetILNS1_3genE4ELNS1_11target_archE910ELNS1_3gpuE8ELNS1_3repE0EEENS1_30default_config_static_selectorELNS0_4arch9wavefront6targetE0EEEvS14_
    .private_segment_fixed_size: 0
    .sgpr_count:     0
    .sgpr_spill_count: 0
    .symbol:         _ZN7rocprim17ROCPRIM_400000_NS6detail17trampoline_kernelINS0_14default_configENS1_22reduce_config_selectorIN6thrust23THRUST_200600_302600_NS5tupleIblNS6_9null_typeES8_S8_S8_S8_S8_S8_S8_EEEEZNS1_11reduce_implILb1ES3_NS6_12zip_iteratorINS7_INS6_11hip_rocprim26transform_input_iterator_tIbNSD_35transform_pair_of_input_iterators_tIbNS6_6detail15normal_iteratorINS6_10device_ptrIKsEEEESL_NS6_8equal_toIsEEEENSG_9not_fun_tINSD_8identityEEEEENSD_19counting_iterator_tIlEES8_S8_S8_S8_S8_S8_S8_S8_EEEEPS9_S9_NSD_9__find_if7functorIS9_EEEE10hipError_tPvRmT1_T2_T3_mT4_P12ihipStream_tbEUlT_E0_NS1_11comp_targetILNS1_3genE4ELNS1_11target_archE910ELNS1_3gpuE8ELNS1_3repE0EEENS1_30default_config_static_selectorELNS0_4arch9wavefront6targetE0EEEvS14_.kd
    .uniform_work_group_size: 1
    .uses_dynamic_stack: false
    .vgpr_count:     0
    .vgpr_spill_count: 0
    .wavefront_size: 32
    .workgroup_processor_mode: 1
  - .args:
      - .offset:         0
        .size:           104
        .value_kind:     by_value
    .group_segment_fixed_size: 0
    .kernarg_segment_align: 8
    .kernarg_segment_size: 104
    .language:       OpenCL C
    .language_version:
      - 2
      - 0
    .max_flat_workgroup_size: 128
    .name:           _ZN7rocprim17ROCPRIM_400000_NS6detail17trampoline_kernelINS0_14default_configENS1_22reduce_config_selectorIN6thrust23THRUST_200600_302600_NS5tupleIblNS6_9null_typeES8_S8_S8_S8_S8_S8_S8_EEEEZNS1_11reduce_implILb1ES3_NS6_12zip_iteratorINS7_INS6_11hip_rocprim26transform_input_iterator_tIbNSD_35transform_pair_of_input_iterators_tIbNS6_6detail15normal_iteratorINS6_10device_ptrIKsEEEESL_NS6_8equal_toIsEEEENSG_9not_fun_tINSD_8identityEEEEENSD_19counting_iterator_tIlEES8_S8_S8_S8_S8_S8_S8_S8_EEEEPS9_S9_NSD_9__find_if7functorIS9_EEEE10hipError_tPvRmT1_T2_T3_mT4_P12ihipStream_tbEUlT_E0_NS1_11comp_targetILNS1_3genE3ELNS1_11target_archE908ELNS1_3gpuE7ELNS1_3repE0EEENS1_30default_config_static_selectorELNS0_4arch9wavefront6targetE0EEEvS14_
    .private_segment_fixed_size: 0
    .sgpr_count:     0
    .sgpr_spill_count: 0
    .symbol:         _ZN7rocprim17ROCPRIM_400000_NS6detail17trampoline_kernelINS0_14default_configENS1_22reduce_config_selectorIN6thrust23THRUST_200600_302600_NS5tupleIblNS6_9null_typeES8_S8_S8_S8_S8_S8_S8_EEEEZNS1_11reduce_implILb1ES3_NS6_12zip_iteratorINS7_INS6_11hip_rocprim26transform_input_iterator_tIbNSD_35transform_pair_of_input_iterators_tIbNS6_6detail15normal_iteratorINS6_10device_ptrIKsEEEESL_NS6_8equal_toIsEEEENSG_9not_fun_tINSD_8identityEEEEENSD_19counting_iterator_tIlEES8_S8_S8_S8_S8_S8_S8_S8_EEEEPS9_S9_NSD_9__find_if7functorIS9_EEEE10hipError_tPvRmT1_T2_T3_mT4_P12ihipStream_tbEUlT_E0_NS1_11comp_targetILNS1_3genE3ELNS1_11target_archE908ELNS1_3gpuE7ELNS1_3repE0EEENS1_30default_config_static_selectorELNS0_4arch9wavefront6targetE0EEEvS14_.kd
    .uniform_work_group_size: 1
    .uses_dynamic_stack: false
    .vgpr_count:     0
    .vgpr_spill_count: 0
    .wavefront_size: 32
    .workgroup_processor_mode: 1
  - .args:
      - .offset:         0
        .size:           104
        .value_kind:     by_value
    .group_segment_fixed_size: 0
    .kernarg_segment_align: 8
    .kernarg_segment_size: 104
    .language:       OpenCL C
    .language_version:
      - 2
      - 0
    .max_flat_workgroup_size: 128
    .name:           _ZN7rocprim17ROCPRIM_400000_NS6detail17trampoline_kernelINS0_14default_configENS1_22reduce_config_selectorIN6thrust23THRUST_200600_302600_NS5tupleIblNS6_9null_typeES8_S8_S8_S8_S8_S8_S8_EEEEZNS1_11reduce_implILb1ES3_NS6_12zip_iteratorINS7_INS6_11hip_rocprim26transform_input_iterator_tIbNSD_35transform_pair_of_input_iterators_tIbNS6_6detail15normal_iteratorINS6_10device_ptrIKsEEEESL_NS6_8equal_toIsEEEENSG_9not_fun_tINSD_8identityEEEEENSD_19counting_iterator_tIlEES8_S8_S8_S8_S8_S8_S8_S8_EEEEPS9_S9_NSD_9__find_if7functorIS9_EEEE10hipError_tPvRmT1_T2_T3_mT4_P12ihipStream_tbEUlT_E0_NS1_11comp_targetILNS1_3genE2ELNS1_11target_archE906ELNS1_3gpuE6ELNS1_3repE0EEENS1_30default_config_static_selectorELNS0_4arch9wavefront6targetE0EEEvS14_
    .private_segment_fixed_size: 0
    .sgpr_count:     0
    .sgpr_spill_count: 0
    .symbol:         _ZN7rocprim17ROCPRIM_400000_NS6detail17trampoline_kernelINS0_14default_configENS1_22reduce_config_selectorIN6thrust23THRUST_200600_302600_NS5tupleIblNS6_9null_typeES8_S8_S8_S8_S8_S8_S8_EEEEZNS1_11reduce_implILb1ES3_NS6_12zip_iteratorINS7_INS6_11hip_rocprim26transform_input_iterator_tIbNSD_35transform_pair_of_input_iterators_tIbNS6_6detail15normal_iteratorINS6_10device_ptrIKsEEEESL_NS6_8equal_toIsEEEENSG_9not_fun_tINSD_8identityEEEEENSD_19counting_iterator_tIlEES8_S8_S8_S8_S8_S8_S8_S8_EEEEPS9_S9_NSD_9__find_if7functorIS9_EEEE10hipError_tPvRmT1_T2_T3_mT4_P12ihipStream_tbEUlT_E0_NS1_11comp_targetILNS1_3genE2ELNS1_11target_archE906ELNS1_3gpuE6ELNS1_3repE0EEENS1_30default_config_static_selectorELNS0_4arch9wavefront6targetE0EEEvS14_.kd
    .uniform_work_group_size: 1
    .uses_dynamic_stack: false
    .vgpr_count:     0
    .vgpr_spill_count: 0
    .wavefront_size: 32
    .workgroup_processor_mode: 1
  - .args:
      - .offset:         0
        .size:           104
        .value_kind:     by_value
    .group_segment_fixed_size: 0
    .kernarg_segment_align: 8
    .kernarg_segment_size: 104
    .language:       OpenCL C
    .language_version:
      - 2
      - 0
    .max_flat_workgroup_size: 256
    .name:           _ZN7rocprim17ROCPRIM_400000_NS6detail17trampoline_kernelINS0_14default_configENS1_22reduce_config_selectorIN6thrust23THRUST_200600_302600_NS5tupleIblNS6_9null_typeES8_S8_S8_S8_S8_S8_S8_EEEEZNS1_11reduce_implILb1ES3_NS6_12zip_iteratorINS7_INS6_11hip_rocprim26transform_input_iterator_tIbNSD_35transform_pair_of_input_iterators_tIbNS6_6detail15normal_iteratorINS6_10device_ptrIKsEEEESL_NS6_8equal_toIsEEEENSG_9not_fun_tINSD_8identityEEEEENSD_19counting_iterator_tIlEES8_S8_S8_S8_S8_S8_S8_S8_EEEEPS9_S9_NSD_9__find_if7functorIS9_EEEE10hipError_tPvRmT1_T2_T3_mT4_P12ihipStream_tbEUlT_E0_NS1_11comp_targetILNS1_3genE10ELNS1_11target_archE1201ELNS1_3gpuE5ELNS1_3repE0EEENS1_30default_config_static_selectorELNS0_4arch9wavefront6targetE0EEEvS14_
    .private_segment_fixed_size: 0
    .sgpr_count:     0
    .sgpr_spill_count: 0
    .symbol:         _ZN7rocprim17ROCPRIM_400000_NS6detail17trampoline_kernelINS0_14default_configENS1_22reduce_config_selectorIN6thrust23THRUST_200600_302600_NS5tupleIblNS6_9null_typeES8_S8_S8_S8_S8_S8_S8_EEEEZNS1_11reduce_implILb1ES3_NS6_12zip_iteratorINS7_INS6_11hip_rocprim26transform_input_iterator_tIbNSD_35transform_pair_of_input_iterators_tIbNS6_6detail15normal_iteratorINS6_10device_ptrIKsEEEESL_NS6_8equal_toIsEEEENSG_9not_fun_tINSD_8identityEEEEENSD_19counting_iterator_tIlEES8_S8_S8_S8_S8_S8_S8_S8_EEEEPS9_S9_NSD_9__find_if7functorIS9_EEEE10hipError_tPvRmT1_T2_T3_mT4_P12ihipStream_tbEUlT_E0_NS1_11comp_targetILNS1_3genE10ELNS1_11target_archE1201ELNS1_3gpuE5ELNS1_3repE0EEENS1_30default_config_static_selectorELNS0_4arch9wavefront6targetE0EEEvS14_.kd
    .uniform_work_group_size: 1
    .uses_dynamic_stack: false
    .vgpr_count:     0
    .vgpr_spill_count: 0
    .wavefront_size: 32
    .workgroup_processor_mode: 1
  - .args:
      - .offset:         0
        .size:           104
        .value_kind:     by_value
    .group_segment_fixed_size: 0
    .kernarg_segment_align: 8
    .kernarg_segment_size: 104
    .language:       OpenCL C
    .language_version:
      - 2
      - 0
    .max_flat_workgroup_size: 256
    .name:           _ZN7rocprim17ROCPRIM_400000_NS6detail17trampoline_kernelINS0_14default_configENS1_22reduce_config_selectorIN6thrust23THRUST_200600_302600_NS5tupleIblNS6_9null_typeES8_S8_S8_S8_S8_S8_S8_EEEEZNS1_11reduce_implILb1ES3_NS6_12zip_iteratorINS7_INS6_11hip_rocprim26transform_input_iterator_tIbNSD_35transform_pair_of_input_iterators_tIbNS6_6detail15normal_iteratorINS6_10device_ptrIKsEEEESL_NS6_8equal_toIsEEEENSG_9not_fun_tINSD_8identityEEEEENSD_19counting_iterator_tIlEES8_S8_S8_S8_S8_S8_S8_S8_EEEEPS9_S9_NSD_9__find_if7functorIS9_EEEE10hipError_tPvRmT1_T2_T3_mT4_P12ihipStream_tbEUlT_E0_NS1_11comp_targetILNS1_3genE10ELNS1_11target_archE1200ELNS1_3gpuE4ELNS1_3repE0EEENS1_30default_config_static_selectorELNS0_4arch9wavefront6targetE0EEEvS14_
    .private_segment_fixed_size: 0
    .sgpr_count:     0
    .sgpr_spill_count: 0
    .symbol:         _ZN7rocprim17ROCPRIM_400000_NS6detail17trampoline_kernelINS0_14default_configENS1_22reduce_config_selectorIN6thrust23THRUST_200600_302600_NS5tupleIblNS6_9null_typeES8_S8_S8_S8_S8_S8_S8_EEEEZNS1_11reduce_implILb1ES3_NS6_12zip_iteratorINS7_INS6_11hip_rocprim26transform_input_iterator_tIbNSD_35transform_pair_of_input_iterators_tIbNS6_6detail15normal_iteratorINS6_10device_ptrIKsEEEESL_NS6_8equal_toIsEEEENSG_9not_fun_tINSD_8identityEEEEENSD_19counting_iterator_tIlEES8_S8_S8_S8_S8_S8_S8_S8_EEEEPS9_S9_NSD_9__find_if7functorIS9_EEEE10hipError_tPvRmT1_T2_T3_mT4_P12ihipStream_tbEUlT_E0_NS1_11comp_targetILNS1_3genE10ELNS1_11target_archE1200ELNS1_3gpuE4ELNS1_3repE0EEENS1_30default_config_static_selectorELNS0_4arch9wavefront6targetE0EEEvS14_.kd
    .uniform_work_group_size: 1
    .uses_dynamic_stack: false
    .vgpr_count:     0
    .vgpr_spill_count: 0
    .wavefront_size: 32
    .workgroup_processor_mode: 1
  - .args:
      - .offset:         0
        .size:           104
        .value_kind:     by_value
    .group_segment_fixed_size: 0
    .kernarg_segment_align: 8
    .kernarg_segment_size: 104
    .language:       OpenCL C
    .language_version:
      - 2
      - 0
    .max_flat_workgroup_size: 256
    .name:           _ZN7rocprim17ROCPRIM_400000_NS6detail17trampoline_kernelINS0_14default_configENS1_22reduce_config_selectorIN6thrust23THRUST_200600_302600_NS5tupleIblNS6_9null_typeES8_S8_S8_S8_S8_S8_S8_EEEEZNS1_11reduce_implILb1ES3_NS6_12zip_iteratorINS7_INS6_11hip_rocprim26transform_input_iterator_tIbNSD_35transform_pair_of_input_iterators_tIbNS6_6detail15normal_iteratorINS6_10device_ptrIKsEEEESL_NS6_8equal_toIsEEEENSG_9not_fun_tINSD_8identityEEEEENSD_19counting_iterator_tIlEES8_S8_S8_S8_S8_S8_S8_S8_EEEEPS9_S9_NSD_9__find_if7functorIS9_EEEE10hipError_tPvRmT1_T2_T3_mT4_P12ihipStream_tbEUlT_E0_NS1_11comp_targetILNS1_3genE9ELNS1_11target_archE1100ELNS1_3gpuE3ELNS1_3repE0EEENS1_30default_config_static_selectorELNS0_4arch9wavefront6targetE0EEEvS14_
    .private_segment_fixed_size: 0
    .sgpr_count:     0
    .sgpr_spill_count: 0
    .symbol:         _ZN7rocprim17ROCPRIM_400000_NS6detail17trampoline_kernelINS0_14default_configENS1_22reduce_config_selectorIN6thrust23THRUST_200600_302600_NS5tupleIblNS6_9null_typeES8_S8_S8_S8_S8_S8_S8_EEEEZNS1_11reduce_implILb1ES3_NS6_12zip_iteratorINS7_INS6_11hip_rocprim26transform_input_iterator_tIbNSD_35transform_pair_of_input_iterators_tIbNS6_6detail15normal_iteratorINS6_10device_ptrIKsEEEESL_NS6_8equal_toIsEEEENSG_9not_fun_tINSD_8identityEEEEENSD_19counting_iterator_tIlEES8_S8_S8_S8_S8_S8_S8_S8_EEEEPS9_S9_NSD_9__find_if7functorIS9_EEEE10hipError_tPvRmT1_T2_T3_mT4_P12ihipStream_tbEUlT_E0_NS1_11comp_targetILNS1_3genE9ELNS1_11target_archE1100ELNS1_3gpuE3ELNS1_3repE0EEENS1_30default_config_static_selectorELNS0_4arch9wavefront6targetE0EEEvS14_.kd
    .uniform_work_group_size: 1
    .uses_dynamic_stack: false
    .vgpr_count:     0
    .vgpr_spill_count: 0
    .wavefront_size: 32
    .workgroup_processor_mode: 1
  - .args:
      - .offset:         0
        .size:           104
        .value_kind:     by_value
    .group_segment_fixed_size: 256
    .kernarg_segment_align: 8
    .kernarg_segment_size: 104
    .language:       OpenCL C
    .language_version:
      - 2
      - 0
    .max_flat_workgroup_size: 256
    .name:           _ZN7rocprim17ROCPRIM_400000_NS6detail17trampoline_kernelINS0_14default_configENS1_22reduce_config_selectorIN6thrust23THRUST_200600_302600_NS5tupleIblNS6_9null_typeES8_S8_S8_S8_S8_S8_S8_EEEEZNS1_11reduce_implILb1ES3_NS6_12zip_iteratorINS7_INS6_11hip_rocprim26transform_input_iterator_tIbNSD_35transform_pair_of_input_iterators_tIbNS6_6detail15normal_iteratorINS6_10device_ptrIKsEEEESL_NS6_8equal_toIsEEEENSG_9not_fun_tINSD_8identityEEEEENSD_19counting_iterator_tIlEES8_S8_S8_S8_S8_S8_S8_S8_EEEEPS9_S9_NSD_9__find_if7functorIS9_EEEE10hipError_tPvRmT1_T2_T3_mT4_P12ihipStream_tbEUlT_E0_NS1_11comp_targetILNS1_3genE8ELNS1_11target_archE1030ELNS1_3gpuE2ELNS1_3repE0EEENS1_30default_config_static_selectorELNS0_4arch9wavefront6targetE0EEEvS14_
    .private_segment_fixed_size: 0
    .sgpr_count:     30
    .sgpr_spill_count: 0
    .symbol:         _ZN7rocprim17ROCPRIM_400000_NS6detail17trampoline_kernelINS0_14default_configENS1_22reduce_config_selectorIN6thrust23THRUST_200600_302600_NS5tupleIblNS6_9null_typeES8_S8_S8_S8_S8_S8_S8_EEEEZNS1_11reduce_implILb1ES3_NS6_12zip_iteratorINS7_INS6_11hip_rocprim26transform_input_iterator_tIbNSD_35transform_pair_of_input_iterators_tIbNS6_6detail15normal_iteratorINS6_10device_ptrIKsEEEESL_NS6_8equal_toIsEEEENSG_9not_fun_tINSD_8identityEEEEENSD_19counting_iterator_tIlEES8_S8_S8_S8_S8_S8_S8_S8_EEEEPS9_S9_NSD_9__find_if7functorIS9_EEEE10hipError_tPvRmT1_T2_T3_mT4_P12ihipStream_tbEUlT_E0_NS1_11comp_targetILNS1_3genE8ELNS1_11target_archE1030ELNS1_3gpuE2ELNS1_3repE0EEENS1_30default_config_static_selectorELNS0_4arch9wavefront6targetE0EEEvS14_.kd
    .uniform_work_group_size: 1
    .uses_dynamic_stack: false
    .vgpr_count:     13
    .vgpr_spill_count: 0
    .wavefront_size: 32
    .workgroup_processor_mode: 1
  - .args:
      - .offset:         0
        .size:           88
        .value_kind:     by_value
    .group_segment_fixed_size: 0
    .kernarg_segment_align: 8
    .kernarg_segment_size: 88
    .language:       OpenCL C
    .language_version:
      - 2
      - 0
    .max_flat_workgroup_size: 128
    .name:           _ZN7rocprim17ROCPRIM_400000_NS6detail17trampoline_kernelINS0_14default_configENS1_22reduce_config_selectorIN6thrust23THRUST_200600_302600_NS5tupleIblNS6_9null_typeES8_S8_S8_S8_S8_S8_S8_EEEEZNS1_11reduce_implILb1ES3_NS6_12zip_iteratorINS7_INS6_11hip_rocprim26transform_input_iterator_tIbNSD_35transform_pair_of_input_iterators_tIbNS6_6detail15normal_iteratorINS6_10device_ptrIKsEEEESL_NS6_8equal_toIsEEEENSG_9not_fun_tINSD_8identityEEEEENSD_19counting_iterator_tIlEES8_S8_S8_S8_S8_S8_S8_S8_EEEEPS9_S9_NSD_9__find_if7functorIS9_EEEE10hipError_tPvRmT1_T2_T3_mT4_P12ihipStream_tbEUlT_E1_NS1_11comp_targetILNS1_3genE0ELNS1_11target_archE4294967295ELNS1_3gpuE0ELNS1_3repE0EEENS1_30default_config_static_selectorELNS0_4arch9wavefront6targetE0EEEvS14_
    .private_segment_fixed_size: 0
    .sgpr_count:     0
    .sgpr_spill_count: 0
    .symbol:         _ZN7rocprim17ROCPRIM_400000_NS6detail17trampoline_kernelINS0_14default_configENS1_22reduce_config_selectorIN6thrust23THRUST_200600_302600_NS5tupleIblNS6_9null_typeES8_S8_S8_S8_S8_S8_S8_EEEEZNS1_11reduce_implILb1ES3_NS6_12zip_iteratorINS7_INS6_11hip_rocprim26transform_input_iterator_tIbNSD_35transform_pair_of_input_iterators_tIbNS6_6detail15normal_iteratorINS6_10device_ptrIKsEEEESL_NS6_8equal_toIsEEEENSG_9not_fun_tINSD_8identityEEEEENSD_19counting_iterator_tIlEES8_S8_S8_S8_S8_S8_S8_S8_EEEEPS9_S9_NSD_9__find_if7functorIS9_EEEE10hipError_tPvRmT1_T2_T3_mT4_P12ihipStream_tbEUlT_E1_NS1_11comp_targetILNS1_3genE0ELNS1_11target_archE4294967295ELNS1_3gpuE0ELNS1_3repE0EEENS1_30default_config_static_selectorELNS0_4arch9wavefront6targetE0EEEvS14_.kd
    .uniform_work_group_size: 1
    .uses_dynamic_stack: false
    .vgpr_count:     0
    .vgpr_spill_count: 0
    .wavefront_size: 32
    .workgroup_processor_mode: 1
  - .args:
      - .offset:         0
        .size:           88
        .value_kind:     by_value
    .group_segment_fixed_size: 0
    .kernarg_segment_align: 8
    .kernarg_segment_size: 88
    .language:       OpenCL C
    .language_version:
      - 2
      - 0
    .max_flat_workgroup_size: 256
    .name:           _ZN7rocprim17ROCPRIM_400000_NS6detail17trampoline_kernelINS0_14default_configENS1_22reduce_config_selectorIN6thrust23THRUST_200600_302600_NS5tupleIblNS6_9null_typeES8_S8_S8_S8_S8_S8_S8_EEEEZNS1_11reduce_implILb1ES3_NS6_12zip_iteratorINS7_INS6_11hip_rocprim26transform_input_iterator_tIbNSD_35transform_pair_of_input_iterators_tIbNS6_6detail15normal_iteratorINS6_10device_ptrIKsEEEESL_NS6_8equal_toIsEEEENSG_9not_fun_tINSD_8identityEEEEENSD_19counting_iterator_tIlEES8_S8_S8_S8_S8_S8_S8_S8_EEEEPS9_S9_NSD_9__find_if7functorIS9_EEEE10hipError_tPvRmT1_T2_T3_mT4_P12ihipStream_tbEUlT_E1_NS1_11comp_targetILNS1_3genE5ELNS1_11target_archE942ELNS1_3gpuE9ELNS1_3repE0EEENS1_30default_config_static_selectorELNS0_4arch9wavefront6targetE0EEEvS14_
    .private_segment_fixed_size: 0
    .sgpr_count:     0
    .sgpr_spill_count: 0
    .symbol:         _ZN7rocprim17ROCPRIM_400000_NS6detail17trampoline_kernelINS0_14default_configENS1_22reduce_config_selectorIN6thrust23THRUST_200600_302600_NS5tupleIblNS6_9null_typeES8_S8_S8_S8_S8_S8_S8_EEEEZNS1_11reduce_implILb1ES3_NS6_12zip_iteratorINS7_INS6_11hip_rocprim26transform_input_iterator_tIbNSD_35transform_pair_of_input_iterators_tIbNS6_6detail15normal_iteratorINS6_10device_ptrIKsEEEESL_NS6_8equal_toIsEEEENSG_9not_fun_tINSD_8identityEEEEENSD_19counting_iterator_tIlEES8_S8_S8_S8_S8_S8_S8_S8_EEEEPS9_S9_NSD_9__find_if7functorIS9_EEEE10hipError_tPvRmT1_T2_T3_mT4_P12ihipStream_tbEUlT_E1_NS1_11comp_targetILNS1_3genE5ELNS1_11target_archE942ELNS1_3gpuE9ELNS1_3repE0EEENS1_30default_config_static_selectorELNS0_4arch9wavefront6targetE0EEEvS14_.kd
    .uniform_work_group_size: 1
    .uses_dynamic_stack: false
    .vgpr_count:     0
    .vgpr_spill_count: 0
    .wavefront_size: 32
    .workgroup_processor_mode: 1
  - .args:
      - .offset:         0
        .size:           88
        .value_kind:     by_value
    .group_segment_fixed_size: 0
    .kernarg_segment_align: 8
    .kernarg_segment_size: 88
    .language:       OpenCL C
    .language_version:
      - 2
      - 0
    .max_flat_workgroup_size: 256
    .name:           _ZN7rocprim17ROCPRIM_400000_NS6detail17trampoline_kernelINS0_14default_configENS1_22reduce_config_selectorIN6thrust23THRUST_200600_302600_NS5tupleIblNS6_9null_typeES8_S8_S8_S8_S8_S8_S8_EEEEZNS1_11reduce_implILb1ES3_NS6_12zip_iteratorINS7_INS6_11hip_rocprim26transform_input_iterator_tIbNSD_35transform_pair_of_input_iterators_tIbNS6_6detail15normal_iteratorINS6_10device_ptrIKsEEEESL_NS6_8equal_toIsEEEENSG_9not_fun_tINSD_8identityEEEEENSD_19counting_iterator_tIlEES8_S8_S8_S8_S8_S8_S8_S8_EEEEPS9_S9_NSD_9__find_if7functorIS9_EEEE10hipError_tPvRmT1_T2_T3_mT4_P12ihipStream_tbEUlT_E1_NS1_11comp_targetILNS1_3genE4ELNS1_11target_archE910ELNS1_3gpuE8ELNS1_3repE0EEENS1_30default_config_static_selectorELNS0_4arch9wavefront6targetE0EEEvS14_
    .private_segment_fixed_size: 0
    .sgpr_count:     0
    .sgpr_spill_count: 0
    .symbol:         _ZN7rocprim17ROCPRIM_400000_NS6detail17trampoline_kernelINS0_14default_configENS1_22reduce_config_selectorIN6thrust23THRUST_200600_302600_NS5tupleIblNS6_9null_typeES8_S8_S8_S8_S8_S8_S8_EEEEZNS1_11reduce_implILb1ES3_NS6_12zip_iteratorINS7_INS6_11hip_rocprim26transform_input_iterator_tIbNSD_35transform_pair_of_input_iterators_tIbNS6_6detail15normal_iteratorINS6_10device_ptrIKsEEEESL_NS6_8equal_toIsEEEENSG_9not_fun_tINSD_8identityEEEEENSD_19counting_iterator_tIlEES8_S8_S8_S8_S8_S8_S8_S8_EEEEPS9_S9_NSD_9__find_if7functorIS9_EEEE10hipError_tPvRmT1_T2_T3_mT4_P12ihipStream_tbEUlT_E1_NS1_11comp_targetILNS1_3genE4ELNS1_11target_archE910ELNS1_3gpuE8ELNS1_3repE0EEENS1_30default_config_static_selectorELNS0_4arch9wavefront6targetE0EEEvS14_.kd
    .uniform_work_group_size: 1
    .uses_dynamic_stack: false
    .vgpr_count:     0
    .vgpr_spill_count: 0
    .wavefront_size: 32
    .workgroup_processor_mode: 1
  - .args:
      - .offset:         0
        .size:           88
        .value_kind:     by_value
    .group_segment_fixed_size: 0
    .kernarg_segment_align: 8
    .kernarg_segment_size: 88
    .language:       OpenCL C
    .language_version:
      - 2
      - 0
    .max_flat_workgroup_size: 128
    .name:           _ZN7rocprim17ROCPRIM_400000_NS6detail17trampoline_kernelINS0_14default_configENS1_22reduce_config_selectorIN6thrust23THRUST_200600_302600_NS5tupleIblNS6_9null_typeES8_S8_S8_S8_S8_S8_S8_EEEEZNS1_11reduce_implILb1ES3_NS6_12zip_iteratorINS7_INS6_11hip_rocprim26transform_input_iterator_tIbNSD_35transform_pair_of_input_iterators_tIbNS6_6detail15normal_iteratorINS6_10device_ptrIKsEEEESL_NS6_8equal_toIsEEEENSG_9not_fun_tINSD_8identityEEEEENSD_19counting_iterator_tIlEES8_S8_S8_S8_S8_S8_S8_S8_EEEEPS9_S9_NSD_9__find_if7functorIS9_EEEE10hipError_tPvRmT1_T2_T3_mT4_P12ihipStream_tbEUlT_E1_NS1_11comp_targetILNS1_3genE3ELNS1_11target_archE908ELNS1_3gpuE7ELNS1_3repE0EEENS1_30default_config_static_selectorELNS0_4arch9wavefront6targetE0EEEvS14_
    .private_segment_fixed_size: 0
    .sgpr_count:     0
    .sgpr_spill_count: 0
    .symbol:         _ZN7rocprim17ROCPRIM_400000_NS6detail17trampoline_kernelINS0_14default_configENS1_22reduce_config_selectorIN6thrust23THRUST_200600_302600_NS5tupleIblNS6_9null_typeES8_S8_S8_S8_S8_S8_S8_EEEEZNS1_11reduce_implILb1ES3_NS6_12zip_iteratorINS7_INS6_11hip_rocprim26transform_input_iterator_tIbNSD_35transform_pair_of_input_iterators_tIbNS6_6detail15normal_iteratorINS6_10device_ptrIKsEEEESL_NS6_8equal_toIsEEEENSG_9not_fun_tINSD_8identityEEEEENSD_19counting_iterator_tIlEES8_S8_S8_S8_S8_S8_S8_S8_EEEEPS9_S9_NSD_9__find_if7functorIS9_EEEE10hipError_tPvRmT1_T2_T3_mT4_P12ihipStream_tbEUlT_E1_NS1_11comp_targetILNS1_3genE3ELNS1_11target_archE908ELNS1_3gpuE7ELNS1_3repE0EEENS1_30default_config_static_selectorELNS0_4arch9wavefront6targetE0EEEvS14_.kd
    .uniform_work_group_size: 1
    .uses_dynamic_stack: false
    .vgpr_count:     0
    .vgpr_spill_count: 0
    .wavefront_size: 32
    .workgroup_processor_mode: 1
  - .args:
      - .offset:         0
        .size:           88
        .value_kind:     by_value
    .group_segment_fixed_size: 0
    .kernarg_segment_align: 8
    .kernarg_segment_size: 88
    .language:       OpenCL C
    .language_version:
      - 2
      - 0
    .max_flat_workgroup_size: 128
    .name:           _ZN7rocprim17ROCPRIM_400000_NS6detail17trampoline_kernelINS0_14default_configENS1_22reduce_config_selectorIN6thrust23THRUST_200600_302600_NS5tupleIblNS6_9null_typeES8_S8_S8_S8_S8_S8_S8_EEEEZNS1_11reduce_implILb1ES3_NS6_12zip_iteratorINS7_INS6_11hip_rocprim26transform_input_iterator_tIbNSD_35transform_pair_of_input_iterators_tIbNS6_6detail15normal_iteratorINS6_10device_ptrIKsEEEESL_NS6_8equal_toIsEEEENSG_9not_fun_tINSD_8identityEEEEENSD_19counting_iterator_tIlEES8_S8_S8_S8_S8_S8_S8_S8_EEEEPS9_S9_NSD_9__find_if7functorIS9_EEEE10hipError_tPvRmT1_T2_T3_mT4_P12ihipStream_tbEUlT_E1_NS1_11comp_targetILNS1_3genE2ELNS1_11target_archE906ELNS1_3gpuE6ELNS1_3repE0EEENS1_30default_config_static_selectorELNS0_4arch9wavefront6targetE0EEEvS14_
    .private_segment_fixed_size: 0
    .sgpr_count:     0
    .sgpr_spill_count: 0
    .symbol:         _ZN7rocprim17ROCPRIM_400000_NS6detail17trampoline_kernelINS0_14default_configENS1_22reduce_config_selectorIN6thrust23THRUST_200600_302600_NS5tupleIblNS6_9null_typeES8_S8_S8_S8_S8_S8_S8_EEEEZNS1_11reduce_implILb1ES3_NS6_12zip_iteratorINS7_INS6_11hip_rocprim26transform_input_iterator_tIbNSD_35transform_pair_of_input_iterators_tIbNS6_6detail15normal_iteratorINS6_10device_ptrIKsEEEESL_NS6_8equal_toIsEEEENSG_9not_fun_tINSD_8identityEEEEENSD_19counting_iterator_tIlEES8_S8_S8_S8_S8_S8_S8_S8_EEEEPS9_S9_NSD_9__find_if7functorIS9_EEEE10hipError_tPvRmT1_T2_T3_mT4_P12ihipStream_tbEUlT_E1_NS1_11comp_targetILNS1_3genE2ELNS1_11target_archE906ELNS1_3gpuE6ELNS1_3repE0EEENS1_30default_config_static_selectorELNS0_4arch9wavefront6targetE0EEEvS14_.kd
    .uniform_work_group_size: 1
    .uses_dynamic_stack: false
    .vgpr_count:     0
    .vgpr_spill_count: 0
    .wavefront_size: 32
    .workgroup_processor_mode: 1
  - .args:
      - .offset:         0
        .size:           88
        .value_kind:     by_value
    .group_segment_fixed_size: 0
    .kernarg_segment_align: 8
    .kernarg_segment_size: 88
    .language:       OpenCL C
    .language_version:
      - 2
      - 0
    .max_flat_workgroup_size: 256
    .name:           _ZN7rocprim17ROCPRIM_400000_NS6detail17trampoline_kernelINS0_14default_configENS1_22reduce_config_selectorIN6thrust23THRUST_200600_302600_NS5tupleIblNS6_9null_typeES8_S8_S8_S8_S8_S8_S8_EEEEZNS1_11reduce_implILb1ES3_NS6_12zip_iteratorINS7_INS6_11hip_rocprim26transform_input_iterator_tIbNSD_35transform_pair_of_input_iterators_tIbNS6_6detail15normal_iteratorINS6_10device_ptrIKsEEEESL_NS6_8equal_toIsEEEENSG_9not_fun_tINSD_8identityEEEEENSD_19counting_iterator_tIlEES8_S8_S8_S8_S8_S8_S8_S8_EEEEPS9_S9_NSD_9__find_if7functorIS9_EEEE10hipError_tPvRmT1_T2_T3_mT4_P12ihipStream_tbEUlT_E1_NS1_11comp_targetILNS1_3genE10ELNS1_11target_archE1201ELNS1_3gpuE5ELNS1_3repE0EEENS1_30default_config_static_selectorELNS0_4arch9wavefront6targetE0EEEvS14_
    .private_segment_fixed_size: 0
    .sgpr_count:     0
    .sgpr_spill_count: 0
    .symbol:         _ZN7rocprim17ROCPRIM_400000_NS6detail17trampoline_kernelINS0_14default_configENS1_22reduce_config_selectorIN6thrust23THRUST_200600_302600_NS5tupleIblNS6_9null_typeES8_S8_S8_S8_S8_S8_S8_EEEEZNS1_11reduce_implILb1ES3_NS6_12zip_iteratorINS7_INS6_11hip_rocprim26transform_input_iterator_tIbNSD_35transform_pair_of_input_iterators_tIbNS6_6detail15normal_iteratorINS6_10device_ptrIKsEEEESL_NS6_8equal_toIsEEEENSG_9not_fun_tINSD_8identityEEEEENSD_19counting_iterator_tIlEES8_S8_S8_S8_S8_S8_S8_S8_EEEEPS9_S9_NSD_9__find_if7functorIS9_EEEE10hipError_tPvRmT1_T2_T3_mT4_P12ihipStream_tbEUlT_E1_NS1_11comp_targetILNS1_3genE10ELNS1_11target_archE1201ELNS1_3gpuE5ELNS1_3repE0EEENS1_30default_config_static_selectorELNS0_4arch9wavefront6targetE0EEEvS14_.kd
    .uniform_work_group_size: 1
    .uses_dynamic_stack: false
    .vgpr_count:     0
    .vgpr_spill_count: 0
    .wavefront_size: 32
    .workgroup_processor_mode: 1
  - .args:
      - .offset:         0
        .size:           88
        .value_kind:     by_value
    .group_segment_fixed_size: 0
    .kernarg_segment_align: 8
    .kernarg_segment_size: 88
    .language:       OpenCL C
    .language_version:
      - 2
      - 0
    .max_flat_workgroup_size: 256
    .name:           _ZN7rocprim17ROCPRIM_400000_NS6detail17trampoline_kernelINS0_14default_configENS1_22reduce_config_selectorIN6thrust23THRUST_200600_302600_NS5tupleIblNS6_9null_typeES8_S8_S8_S8_S8_S8_S8_EEEEZNS1_11reduce_implILb1ES3_NS6_12zip_iteratorINS7_INS6_11hip_rocprim26transform_input_iterator_tIbNSD_35transform_pair_of_input_iterators_tIbNS6_6detail15normal_iteratorINS6_10device_ptrIKsEEEESL_NS6_8equal_toIsEEEENSG_9not_fun_tINSD_8identityEEEEENSD_19counting_iterator_tIlEES8_S8_S8_S8_S8_S8_S8_S8_EEEEPS9_S9_NSD_9__find_if7functorIS9_EEEE10hipError_tPvRmT1_T2_T3_mT4_P12ihipStream_tbEUlT_E1_NS1_11comp_targetILNS1_3genE10ELNS1_11target_archE1200ELNS1_3gpuE4ELNS1_3repE0EEENS1_30default_config_static_selectorELNS0_4arch9wavefront6targetE0EEEvS14_
    .private_segment_fixed_size: 0
    .sgpr_count:     0
    .sgpr_spill_count: 0
    .symbol:         _ZN7rocprim17ROCPRIM_400000_NS6detail17trampoline_kernelINS0_14default_configENS1_22reduce_config_selectorIN6thrust23THRUST_200600_302600_NS5tupleIblNS6_9null_typeES8_S8_S8_S8_S8_S8_S8_EEEEZNS1_11reduce_implILb1ES3_NS6_12zip_iteratorINS7_INS6_11hip_rocprim26transform_input_iterator_tIbNSD_35transform_pair_of_input_iterators_tIbNS6_6detail15normal_iteratorINS6_10device_ptrIKsEEEESL_NS6_8equal_toIsEEEENSG_9not_fun_tINSD_8identityEEEEENSD_19counting_iterator_tIlEES8_S8_S8_S8_S8_S8_S8_S8_EEEEPS9_S9_NSD_9__find_if7functorIS9_EEEE10hipError_tPvRmT1_T2_T3_mT4_P12ihipStream_tbEUlT_E1_NS1_11comp_targetILNS1_3genE10ELNS1_11target_archE1200ELNS1_3gpuE4ELNS1_3repE0EEENS1_30default_config_static_selectorELNS0_4arch9wavefront6targetE0EEEvS14_.kd
    .uniform_work_group_size: 1
    .uses_dynamic_stack: false
    .vgpr_count:     0
    .vgpr_spill_count: 0
    .wavefront_size: 32
    .workgroup_processor_mode: 1
  - .args:
      - .offset:         0
        .size:           88
        .value_kind:     by_value
    .group_segment_fixed_size: 0
    .kernarg_segment_align: 8
    .kernarg_segment_size: 88
    .language:       OpenCL C
    .language_version:
      - 2
      - 0
    .max_flat_workgroup_size: 256
    .name:           _ZN7rocprim17ROCPRIM_400000_NS6detail17trampoline_kernelINS0_14default_configENS1_22reduce_config_selectorIN6thrust23THRUST_200600_302600_NS5tupleIblNS6_9null_typeES8_S8_S8_S8_S8_S8_S8_EEEEZNS1_11reduce_implILb1ES3_NS6_12zip_iteratorINS7_INS6_11hip_rocprim26transform_input_iterator_tIbNSD_35transform_pair_of_input_iterators_tIbNS6_6detail15normal_iteratorINS6_10device_ptrIKsEEEESL_NS6_8equal_toIsEEEENSG_9not_fun_tINSD_8identityEEEEENSD_19counting_iterator_tIlEES8_S8_S8_S8_S8_S8_S8_S8_EEEEPS9_S9_NSD_9__find_if7functorIS9_EEEE10hipError_tPvRmT1_T2_T3_mT4_P12ihipStream_tbEUlT_E1_NS1_11comp_targetILNS1_3genE9ELNS1_11target_archE1100ELNS1_3gpuE3ELNS1_3repE0EEENS1_30default_config_static_selectorELNS0_4arch9wavefront6targetE0EEEvS14_
    .private_segment_fixed_size: 0
    .sgpr_count:     0
    .sgpr_spill_count: 0
    .symbol:         _ZN7rocprim17ROCPRIM_400000_NS6detail17trampoline_kernelINS0_14default_configENS1_22reduce_config_selectorIN6thrust23THRUST_200600_302600_NS5tupleIblNS6_9null_typeES8_S8_S8_S8_S8_S8_S8_EEEEZNS1_11reduce_implILb1ES3_NS6_12zip_iteratorINS7_INS6_11hip_rocprim26transform_input_iterator_tIbNSD_35transform_pair_of_input_iterators_tIbNS6_6detail15normal_iteratorINS6_10device_ptrIKsEEEESL_NS6_8equal_toIsEEEENSG_9not_fun_tINSD_8identityEEEEENSD_19counting_iterator_tIlEES8_S8_S8_S8_S8_S8_S8_S8_EEEEPS9_S9_NSD_9__find_if7functorIS9_EEEE10hipError_tPvRmT1_T2_T3_mT4_P12ihipStream_tbEUlT_E1_NS1_11comp_targetILNS1_3genE9ELNS1_11target_archE1100ELNS1_3gpuE3ELNS1_3repE0EEENS1_30default_config_static_selectorELNS0_4arch9wavefront6targetE0EEEvS14_.kd
    .uniform_work_group_size: 1
    .uses_dynamic_stack: false
    .vgpr_count:     0
    .vgpr_spill_count: 0
    .wavefront_size: 32
    .workgroup_processor_mode: 1
  - .args:
      - .offset:         0
        .size:           88
        .value_kind:     by_value
    .group_segment_fixed_size: 640
    .kernarg_segment_align: 8
    .kernarg_segment_size: 88
    .language:       OpenCL C
    .language_version:
      - 2
      - 0
    .max_flat_workgroup_size: 256
    .name:           _ZN7rocprim17ROCPRIM_400000_NS6detail17trampoline_kernelINS0_14default_configENS1_22reduce_config_selectorIN6thrust23THRUST_200600_302600_NS5tupleIblNS6_9null_typeES8_S8_S8_S8_S8_S8_S8_EEEEZNS1_11reduce_implILb1ES3_NS6_12zip_iteratorINS7_INS6_11hip_rocprim26transform_input_iterator_tIbNSD_35transform_pair_of_input_iterators_tIbNS6_6detail15normal_iteratorINS6_10device_ptrIKsEEEESL_NS6_8equal_toIsEEEENSG_9not_fun_tINSD_8identityEEEEENSD_19counting_iterator_tIlEES8_S8_S8_S8_S8_S8_S8_S8_EEEEPS9_S9_NSD_9__find_if7functorIS9_EEEE10hipError_tPvRmT1_T2_T3_mT4_P12ihipStream_tbEUlT_E1_NS1_11comp_targetILNS1_3genE8ELNS1_11target_archE1030ELNS1_3gpuE2ELNS1_3repE0EEENS1_30default_config_static_selectorELNS0_4arch9wavefront6targetE0EEEvS14_
    .private_segment_fixed_size: 0
    .sgpr_count:     34
    .sgpr_spill_count: 0
    .symbol:         _ZN7rocprim17ROCPRIM_400000_NS6detail17trampoline_kernelINS0_14default_configENS1_22reduce_config_selectorIN6thrust23THRUST_200600_302600_NS5tupleIblNS6_9null_typeES8_S8_S8_S8_S8_S8_S8_EEEEZNS1_11reduce_implILb1ES3_NS6_12zip_iteratorINS7_INS6_11hip_rocprim26transform_input_iterator_tIbNSD_35transform_pair_of_input_iterators_tIbNS6_6detail15normal_iteratorINS6_10device_ptrIKsEEEESL_NS6_8equal_toIsEEEENSG_9not_fun_tINSD_8identityEEEEENSD_19counting_iterator_tIlEES8_S8_S8_S8_S8_S8_S8_S8_EEEEPS9_S9_NSD_9__find_if7functorIS9_EEEE10hipError_tPvRmT1_T2_T3_mT4_P12ihipStream_tbEUlT_E1_NS1_11comp_targetILNS1_3genE8ELNS1_11target_archE1030ELNS1_3gpuE2ELNS1_3repE0EEENS1_30default_config_static_selectorELNS0_4arch9wavefront6targetE0EEEvS14_.kd
    .uniform_work_group_size: 1
    .uses_dynamic_stack: false
    .vgpr_count:     27
    .vgpr_spill_count: 0
    .wavefront_size: 32
    .workgroup_processor_mode: 1
  - .args:           []
    .group_segment_fixed_size: 0
    .kernarg_segment_align: 4
    .kernarg_segment_size: 0
    .language:       OpenCL C
    .language_version:
      - 2
      - 0
    .max_flat_workgroup_size: 1024
    .name:           _ZN7rocprim17ROCPRIM_400000_NS6detail44device_merge_sort_compile_time_verifier_archINS1_11comp_targetILNS1_3genE0ELNS1_11target_archE4294967295ELNS1_3gpuE0ELNS1_3repE0EEES8_NS0_14default_configES9_NS1_37merge_sort_block_sort_config_selectorImNS0_10empty_typeEEENS1_38merge_sort_block_merge_config_selectorImSB_EEEEvv
    .private_segment_fixed_size: 0
    .sgpr_count:     0
    .sgpr_spill_count: 0
    .symbol:         _ZN7rocprim17ROCPRIM_400000_NS6detail44device_merge_sort_compile_time_verifier_archINS1_11comp_targetILNS1_3genE0ELNS1_11target_archE4294967295ELNS1_3gpuE0ELNS1_3repE0EEES8_NS0_14default_configES9_NS1_37merge_sort_block_sort_config_selectorImNS0_10empty_typeEEENS1_38merge_sort_block_merge_config_selectorImSB_EEEEvv.kd
    .uniform_work_group_size: 1
    .uses_dynamic_stack: false
    .vgpr_count:     0
    .vgpr_spill_count: 0
    .wavefront_size: 32
    .workgroup_processor_mode: 1
  - .args:           []
    .group_segment_fixed_size: 0
    .kernarg_segment_align: 4
    .kernarg_segment_size: 0
    .language:       OpenCL C
    .language_version:
      - 2
      - 0
    .max_flat_workgroup_size: 1024
    .name:           _ZN7rocprim17ROCPRIM_400000_NS6detail44device_merge_sort_compile_time_verifier_archINS1_11comp_targetILNS1_3genE5ELNS1_11target_archE942ELNS1_3gpuE9ELNS1_3repE0EEES8_NS0_14default_configES9_NS1_37merge_sort_block_sort_config_selectorImNS0_10empty_typeEEENS1_38merge_sort_block_merge_config_selectorImSB_EEEEvv
    .private_segment_fixed_size: 0
    .sgpr_count:     0
    .sgpr_spill_count: 0
    .symbol:         _ZN7rocprim17ROCPRIM_400000_NS6detail44device_merge_sort_compile_time_verifier_archINS1_11comp_targetILNS1_3genE5ELNS1_11target_archE942ELNS1_3gpuE9ELNS1_3repE0EEES8_NS0_14default_configES9_NS1_37merge_sort_block_sort_config_selectorImNS0_10empty_typeEEENS1_38merge_sort_block_merge_config_selectorImSB_EEEEvv.kd
    .uniform_work_group_size: 1
    .uses_dynamic_stack: false
    .vgpr_count:     0
    .vgpr_spill_count: 0
    .wavefront_size: 32
    .workgroup_processor_mode: 1
  - .args:           []
    .group_segment_fixed_size: 0
    .kernarg_segment_align: 4
    .kernarg_segment_size: 0
    .language:       OpenCL C
    .language_version:
      - 2
      - 0
    .max_flat_workgroup_size: 1024
    .name:           _ZN7rocprim17ROCPRIM_400000_NS6detail44device_merge_sort_compile_time_verifier_archINS1_11comp_targetILNS1_3genE4ELNS1_11target_archE910ELNS1_3gpuE8ELNS1_3repE0EEES8_NS0_14default_configES9_NS1_37merge_sort_block_sort_config_selectorImNS0_10empty_typeEEENS1_38merge_sort_block_merge_config_selectorImSB_EEEEvv
    .private_segment_fixed_size: 0
    .sgpr_count:     0
    .sgpr_spill_count: 0
    .symbol:         _ZN7rocprim17ROCPRIM_400000_NS6detail44device_merge_sort_compile_time_verifier_archINS1_11comp_targetILNS1_3genE4ELNS1_11target_archE910ELNS1_3gpuE8ELNS1_3repE0EEES8_NS0_14default_configES9_NS1_37merge_sort_block_sort_config_selectorImNS0_10empty_typeEEENS1_38merge_sort_block_merge_config_selectorImSB_EEEEvv.kd
    .uniform_work_group_size: 1
    .uses_dynamic_stack: false
    .vgpr_count:     0
    .vgpr_spill_count: 0
    .wavefront_size: 32
    .workgroup_processor_mode: 1
  - .args:           []
    .group_segment_fixed_size: 0
    .kernarg_segment_align: 4
    .kernarg_segment_size: 0
    .language:       OpenCL C
    .language_version:
      - 2
      - 0
    .max_flat_workgroup_size: 1024
    .name:           _ZN7rocprim17ROCPRIM_400000_NS6detail44device_merge_sort_compile_time_verifier_archINS1_11comp_targetILNS1_3genE3ELNS1_11target_archE908ELNS1_3gpuE7ELNS1_3repE0EEES8_NS0_14default_configES9_NS1_37merge_sort_block_sort_config_selectorImNS0_10empty_typeEEENS1_38merge_sort_block_merge_config_selectorImSB_EEEEvv
    .private_segment_fixed_size: 0
    .sgpr_count:     0
    .sgpr_spill_count: 0
    .symbol:         _ZN7rocprim17ROCPRIM_400000_NS6detail44device_merge_sort_compile_time_verifier_archINS1_11comp_targetILNS1_3genE3ELNS1_11target_archE908ELNS1_3gpuE7ELNS1_3repE0EEES8_NS0_14default_configES9_NS1_37merge_sort_block_sort_config_selectorImNS0_10empty_typeEEENS1_38merge_sort_block_merge_config_selectorImSB_EEEEvv.kd
    .uniform_work_group_size: 1
    .uses_dynamic_stack: false
    .vgpr_count:     0
    .vgpr_spill_count: 0
    .wavefront_size: 32
    .workgroup_processor_mode: 1
  - .args:           []
    .group_segment_fixed_size: 0
    .kernarg_segment_align: 4
    .kernarg_segment_size: 0
    .language:       OpenCL C
    .language_version:
      - 2
      - 0
    .max_flat_workgroup_size: 1024
    .name:           _ZN7rocprim17ROCPRIM_400000_NS6detail44device_merge_sort_compile_time_verifier_archINS1_11comp_targetILNS1_3genE2ELNS1_11target_archE906ELNS1_3gpuE6ELNS1_3repE0EEES8_NS0_14default_configES9_NS1_37merge_sort_block_sort_config_selectorImNS0_10empty_typeEEENS1_38merge_sort_block_merge_config_selectorImSB_EEEEvv
    .private_segment_fixed_size: 0
    .sgpr_count:     0
    .sgpr_spill_count: 0
    .symbol:         _ZN7rocprim17ROCPRIM_400000_NS6detail44device_merge_sort_compile_time_verifier_archINS1_11comp_targetILNS1_3genE2ELNS1_11target_archE906ELNS1_3gpuE6ELNS1_3repE0EEES8_NS0_14default_configES9_NS1_37merge_sort_block_sort_config_selectorImNS0_10empty_typeEEENS1_38merge_sort_block_merge_config_selectorImSB_EEEEvv.kd
    .uniform_work_group_size: 1
    .uses_dynamic_stack: false
    .vgpr_count:     0
    .vgpr_spill_count: 0
    .wavefront_size: 32
    .workgroup_processor_mode: 1
  - .args:           []
    .group_segment_fixed_size: 0
    .kernarg_segment_align: 4
    .kernarg_segment_size: 0
    .language:       OpenCL C
    .language_version:
      - 2
      - 0
    .max_flat_workgroup_size: 1024
    .name:           _ZN7rocprim17ROCPRIM_400000_NS6detail44device_merge_sort_compile_time_verifier_archINS1_11comp_targetILNS1_3genE10ELNS1_11target_archE1201ELNS1_3gpuE5ELNS1_3repE0EEES8_NS0_14default_configES9_NS1_37merge_sort_block_sort_config_selectorImNS0_10empty_typeEEENS1_38merge_sort_block_merge_config_selectorImSB_EEEEvv
    .private_segment_fixed_size: 0
    .sgpr_count:     0
    .sgpr_spill_count: 0
    .symbol:         _ZN7rocprim17ROCPRIM_400000_NS6detail44device_merge_sort_compile_time_verifier_archINS1_11comp_targetILNS1_3genE10ELNS1_11target_archE1201ELNS1_3gpuE5ELNS1_3repE0EEES8_NS0_14default_configES9_NS1_37merge_sort_block_sort_config_selectorImNS0_10empty_typeEEENS1_38merge_sort_block_merge_config_selectorImSB_EEEEvv.kd
    .uniform_work_group_size: 1
    .uses_dynamic_stack: false
    .vgpr_count:     0
    .vgpr_spill_count: 0
    .wavefront_size: 32
    .workgroup_processor_mode: 1
  - .args:           []
    .group_segment_fixed_size: 0
    .kernarg_segment_align: 4
    .kernarg_segment_size: 0
    .language:       OpenCL C
    .language_version:
      - 2
      - 0
    .max_flat_workgroup_size: 1024
    .name:           _ZN7rocprim17ROCPRIM_400000_NS6detail44device_merge_sort_compile_time_verifier_archINS1_11comp_targetILNS1_3genE10ELNS1_11target_archE1200ELNS1_3gpuE4ELNS1_3repE0EEENS3_ILS4_10ELS5_1201ELS6_5ELS7_0EEENS0_14default_configESA_NS1_37merge_sort_block_sort_config_selectorImNS0_10empty_typeEEENS1_38merge_sort_block_merge_config_selectorImSC_EEEEvv
    .private_segment_fixed_size: 0
    .sgpr_count:     0
    .sgpr_spill_count: 0
    .symbol:         _ZN7rocprim17ROCPRIM_400000_NS6detail44device_merge_sort_compile_time_verifier_archINS1_11comp_targetILNS1_3genE10ELNS1_11target_archE1200ELNS1_3gpuE4ELNS1_3repE0EEENS3_ILS4_10ELS5_1201ELS6_5ELS7_0EEENS0_14default_configESA_NS1_37merge_sort_block_sort_config_selectorImNS0_10empty_typeEEENS1_38merge_sort_block_merge_config_selectorImSC_EEEEvv.kd
    .uniform_work_group_size: 1
    .uses_dynamic_stack: false
    .vgpr_count:     0
    .vgpr_spill_count: 0
    .wavefront_size: 32
    .workgroup_processor_mode: 1
  - .args:           []
    .group_segment_fixed_size: 0
    .kernarg_segment_align: 4
    .kernarg_segment_size: 0
    .language:       OpenCL C
    .language_version:
      - 2
      - 0
    .max_flat_workgroup_size: 1024
    .name:           _ZN7rocprim17ROCPRIM_400000_NS6detail44device_merge_sort_compile_time_verifier_archINS1_11comp_targetILNS1_3genE9ELNS1_11target_archE1100ELNS1_3gpuE3ELNS1_3repE0EEES8_NS0_14default_configES9_NS1_37merge_sort_block_sort_config_selectorImNS0_10empty_typeEEENS1_38merge_sort_block_merge_config_selectorImSB_EEEEvv
    .private_segment_fixed_size: 0
    .sgpr_count:     0
    .sgpr_spill_count: 0
    .symbol:         _ZN7rocprim17ROCPRIM_400000_NS6detail44device_merge_sort_compile_time_verifier_archINS1_11comp_targetILNS1_3genE9ELNS1_11target_archE1100ELNS1_3gpuE3ELNS1_3repE0EEES8_NS0_14default_configES9_NS1_37merge_sort_block_sort_config_selectorImNS0_10empty_typeEEENS1_38merge_sort_block_merge_config_selectorImSB_EEEEvv.kd
    .uniform_work_group_size: 1
    .uses_dynamic_stack: false
    .vgpr_count:     0
    .vgpr_spill_count: 0
    .wavefront_size: 32
    .workgroup_processor_mode: 1
  - .args:           []
    .group_segment_fixed_size: 0
    .kernarg_segment_align: 4
    .kernarg_segment_size: 0
    .language:       OpenCL C
    .language_version:
      - 2
      - 0
    .max_flat_workgroup_size: 1024
    .name:           _ZN7rocprim17ROCPRIM_400000_NS6detail44device_merge_sort_compile_time_verifier_archINS1_11comp_targetILNS1_3genE8ELNS1_11target_archE1030ELNS1_3gpuE2ELNS1_3repE0EEES8_NS0_14default_configES9_NS1_37merge_sort_block_sort_config_selectorImNS0_10empty_typeEEENS1_38merge_sort_block_merge_config_selectorImSB_EEEEvv
    .private_segment_fixed_size: 0
    .sgpr_count:     0
    .sgpr_spill_count: 0
    .symbol:         _ZN7rocprim17ROCPRIM_400000_NS6detail44device_merge_sort_compile_time_verifier_archINS1_11comp_targetILNS1_3genE8ELNS1_11target_archE1030ELNS1_3gpuE2ELNS1_3repE0EEES8_NS0_14default_configES9_NS1_37merge_sort_block_sort_config_selectorImNS0_10empty_typeEEENS1_38merge_sort_block_merge_config_selectorImSB_EEEEvv.kd
    .uniform_work_group_size: 1
    .uses_dynamic_stack: false
    .vgpr_count:     0
    .vgpr_spill_count: 0
    .wavefront_size: 32
    .workgroup_processor_mode: 1
  - .args:
      - .offset:         0
        .size:           64
        .value_kind:     by_value
    .group_segment_fixed_size: 0
    .kernarg_segment_align: 8
    .kernarg_segment_size: 64
    .language:       OpenCL C
    .language_version:
      - 2
      - 0
    .max_flat_workgroup_size: 256
    .name:           _ZN7rocprim17ROCPRIM_400000_NS6detail17trampoline_kernelINS0_14default_configENS1_37merge_sort_block_sort_config_selectorImNS0_10empty_typeEEEZNS1_21merge_sort_block_sortIS3_N6thrust23THRUST_200600_302600_NS6detail15normal_iteratorINS9_10device_ptrImEEEESE_PS5_SF_11less_div_10ImEEE10hipError_tT0_T1_T2_T3_mRjT4_P12ihipStream_tbNS1_7vsmem_tEEUlT_E_NS1_11comp_targetILNS1_3genE0ELNS1_11target_archE4294967295ELNS1_3gpuE0ELNS1_3repE0EEENS1_30default_config_static_selectorELNS0_4arch9wavefront6targetE0EEEvSK_
    .private_segment_fixed_size: 0
    .sgpr_count:     0
    .sgpr_spill_count: 0
    .symbol:         _ZN7rocprim17ROCPRIM_400000_NS6detail17trampoline_kernelINS0_14default_configENS1_37merge_sort_block_sort_config_selectorImNS0_10empty_typeEEEZNS1_21merge_sort_block_sortIS3_N6thrust23THRUST_200600_302600_NS6detail15normal_iteratorINS9_10device_ptrImEEEESE_PS5_SF_11less_div_10ImEEE10hipError_tT0_T1_T2_T3_mRjT4_P12ihipStream_tbNS1_7vsmem_tEEUlT_E_NS1_11comp_targetILNS1_3genE0ELNS1_11target_archE4294967295ELNS1_3gpuE0ELNS1_3repE0EEENS1_30default_config_static_selectorELNS0_4arch9wavefront6targetE0EEEvSK_.kd
    .uniform_work_group_size: 1
    .uses_dynamic_stack: false
    .vgpr_count:     0
    .vgpr_spill_count: 0
    .wavefront_size: 32
    .workgroup_processor_mode: 1
  - .args:
      - .offset:         0
        .size:           64
        .value_kind:     by_value
    .group_segment_fixed_size: 0
    .kernarg_segment_align: 8
    .kernarg_segment_size: 64
    .language:       OpenCL C
    .language_version:
      - 2
      - 0
    .max_flat_workgroup_size: 256
    .name:           _ZN7rocprim17ROCPRIM_400000_NS6detail17trampoline_kernelINS0_14default_configENS1_37merge_sort_block_sort_config_selectorImNS0_10empty_typeEEEZNS1_21merge_sort_block_sortIS3_N6thrust23THRUST_200600_302600_NS6detail15normal_iteratorINS9_10device_ptrImEEEESE_PS5_SF_11less_div_10ImEEE10hipError_tT0_T1_T2_T3_mRjT4_P12ihipStream_tbNS1_7vsmem_tEEUlT_E_NS1_11comp_targetILNS1_3genE5ELNS1_11target_archE942ELNS1_3gpuE9ELNS1_3repE0EEENS1_30default_config_static_selectorELNS0_4arch9wavefront6targetE0EEEvSK_
    .private_segment_fixed_size: 0
    .sgpr_count:     0
    .sgpr_spill_count: 0
    .symbol:         _ZN7rocprim17ROCPRIM_400000_NS6detail17trampoline_kernelINS0_14default_configENS1_37merge_sort_block_sort_config_selectorImNS0_10empty_typeEEEZNS1_21merge_sort_block_sortIS3_N6thrust23THRUST_200600_302600_NS6detail15normal_iteratorINS9_10device_ptrImEEEESE_PS5_SF_11less_div_10ImEEE10hipError_tT0_T1_T2_T3_mRjT4_P12ihipStream_tbNS1_7vsmem_tEEUlT_E_NS1_11comp_targetILNS1_3genE5ELNS1_11target_archE942ELNS1_3gpuE9ELNS1_3repE0EEENS1_30default_config_static_selectorELNS0_4arch9wavefront6targetE0EEEvSK_.kd
    .uniform_work_group_size: 1
    .uses_dynamic_stack: false
    .vgpr_count:     0
    .vgpr_spill_count: 0
    .wavefront_size: 32
    .workgroup_processor_mode: 1
  - .args:
      - .offset:         0
        .size:           64
        .value_kind:     by_value
    .group_segment_fixed_size: 0
    .kernarg_segment_align: 8
    .kernarg_segment_size: 64
    .language:       OpenCL C
    .language_version:
      - 2
      - 0
    .max_flat_workgroup_size: 256
    .name:           _ZN7rocprim17ROCPRIM_400000_NS6detail17trampoline_kernelINS0_14default_configENS1_37merge_sort_block_sort_config_selectorImNS0_10empty_typeEEEZNS1_21merge_sort_block_sortIS3_N6thrust23THRUST_200600_302600_NS6detail15normal_iteratorINS9_10device_ptrImEEEESE_PS5_SF_11less_div_10ImEEE10hipError_tT0_T1_T2_T3_mRjT4_P12ihipStream_tbNS1_7vsmem_tEEUlT_E_NS1_11comp_targetILNS1_3genE4ELNS1_11target_archE910ELNS1_3gpuE8ELNS1_3repE0EEENS1_30default_config_static_selectorELNS0_4arch9wavefront6targetE0EEEvSK_
    .private_segment_fixed_size: 0
    .sgpr_count:     0
    .sgpr_spill_count: 0
    .symbol:         _ZN7rocprim17ROCPRIM_400000_NS6detail17trampoline_kernelINS0_14default_configENS1_37merge_sort_block_sort_config_selectorImNS0_10empty_typeEEEZNS1_21merge_sort_block_sortIS3_N6thrust23THRUST_200600_302600_NS6detail15normal_iteratorINS9_10device_ptrImEEEESE_PS5_SF_11less_div_10ImEEE10hipError_tT0_T1_T2_T3_mRjT4_P12ihipStream_tbNS1_7vsmem_tEEUlT_E_NS1_11comp_targetILNS1_3genE4ELNS1_11target_archE910ELNS1_3gpuE8ELNS1_3repE0EEENS1_30default_config_static_selectorELNS0_4arch9wavefront6targetE0EEEvSK_.kd
    .uniform_work_group_size: 1
    .uses_dynamic_stack: false
    .vgpr_count:     0
    .vgpr_spill_count: 0
    .wavefront_size: 32
    .workgroup_processor_mode: 1
  - .args:
      - .offset:         0
        .size:           64
        .value_kind:     by_value
    .group_segment_fixed_size: 0
    .kernarg_segment_align: 8
    .kernarg_segment_size: 64
    .language:       OpenCL C
    .language_version:
      - 2
      - 0
    .max_flat_workgroup_size: 256
    .name:           _ZN7rocprim17ROCPRIM_400000_NS6detail17trampoline_kernelINS0_14default_configENS1_37merge_sort_block_sort_config_selectorImNS0_10empty_typeEEEZNS1_21merge_sort_block_sortIS3_N6thrust23THRUST_200600_302600_NS6detail15normal_iteratorINS9_10device_ptrImEEEESE_PS5_SF_11less_div_10ImEEE10hipError_tT0_T1_T2_T3_mRjT4_P12ihipStream_tbNS1_7vsmem_tEEUlT_E_NS1_11comp_targetILNS1_3genE3ELNS1_11target_archE908ELNS1_3gpuE7ELNS1_3repE0EEENS1_30default_config_static_selectorELNS0_4arch9wavefront6targetE0EEEvSK_
    .private_segment_fixed_size: 0
    .sgpr_count:     0
    .sgpr_spill_count: 0
    .symbol:         _ZN7rocprim17ROCPRIM_400000_NS6detail17trampoline_kernelINS0_14default_configENS1_37merge_sort_block_sort_config_selectorImNS0_10empty_typeEEEZNS1_21merge_sort_block_sortIS3_N6thrust23THRUST_200600_302600_NS6detail15normal_iteratorINS9_10device_ptrImEEEESE_PS5_SF_11less_div_10ImEEE10hipError_tT0_T1_T2_T3_mRjT4_P12ihipStream_tbNS1_7vsmem_tEEUlT_E_NS1_11comp_targetILNS1_3genE3ELNS1_11target_archE908ELNS1_3gpuE7ELNS1_3repE0EEENS1_30default_config_static_selectorELNS0_4arch9wavefront6targetE0EEEvSK_.kd
    .uniform_work_group_size: 1
    .uses_dynamic_stack: false
    .vgpr_count:     0
    .vgpr_spill_count: 0
    .wavefront_size: 32
    .workgroup_processor_mode: 1
  - .args:
      - .offset:         0
        .size:           64
        .value_kind:     by_value
    .group_segment_fixed_size: 0
    .kernarg_segment_align: 8
    .kernarg_segment_size: 64
    .language:       OpenCL C
    .language_version:
      - 2
      - 0
    .max_flat_workgroup_size: 256
    .name:           _ZN7rocprim17ROCPRIM_400000_NS6detail17trampoline_kernelINS0_14default_configENS1_37merge_sort_block_sort_config_selectorImNS0_10empty_typeEEEZNS1_21merge_sort_block_sortIS3_N6thrust23THRUST_200600_302600_NS6detail15normal_iteratorINS9_10device_ptrImEEEESE_PS5_SF_11less_div_10ImEEE10hipError_tT0_T1_T2_T3_mRjT4_P12ihipStream_tbNS1_7vsmem_tEEUlT_E_NS1_11comp_targetILNS1_3genE2ELNS1_11target_archE906ELNS1_3gpuE6ELNS1_3repE0EEENS1_30default_config_static_selectorELNS0_4arch9wavefront6targetE0EEEvSK_
    .private_segment_fixed_size: 0
    .sgpr_count:     0
    .sgpr_spill_count: 0
    .symbol:         _ZN7rocprim17ROCPRIM_400000_NS6detail17trampoline_kernelINS0_14default_configENS1_37merge_sort_block_sort_config_selectorImNS0_10empty_typeEEEZNS1_21merge_sort_block_sortIS3_N6thrust23THRUST_200600_302600_NS6detail15normal_iteratorINS9_10device_ptrImEEEESE_PS5_SF_11less_div_10ImEEE10hipError_tT0_T1_T2_T3_mRjT4_P12ihipStream_tbNS1_7vsmem_tEEUlT_E_NS1_11comp_targetILNS1_3genE2ELNS1_11target_archE906ELNS1_3gpuE6ELNS1_3repE0EEENS1_30default_config_static_selectorELNS0_4arch9wavefront6targetE0EEEvSK_.kd
    .uniform_work_group_size: 1
    .uses_dynamic_stack: false
    .vgpr_count:     0
    .vgpr_spill_count: 0
    .wavefront_size: 32
    .workgroup_processor_mode: 1
  - .args:
      - .offset:         0
        .size:           64
        .value_kind:     by_value
    .group_segment_fixed_size: 0
    .kernarg_segment_align: 8
    .kernarg_segment_size: 64
    .language:       OpenCL C
    .language_version:
      - 2
      - 0
    .max_flat_workgroup_size: 256
    .name:           _ZN7rocprim17ROCPRIM_400000_NS6detail17trampoline_kernelINS0_14default_configENS1_37merge_sort_block_sort_config_selectorImNS0_10empty_typeEEEZNS1_21merge_sort_block_sortIS3_N6thrust23THRUST_200600_302600_NS6detail15normal_iteratorINS9_10device_ptrImEEEESE_PS5_SF_11less_div_10ImEEE10hipError_tT0_T1_T2_T3_mRjT4_P12ihipStream_tbNS1_7vsmem_tEEUlT_E_NS1_11comp_targetILNS1_3genE10ELNS1_11target_archE1201ELNS1_3gpuE5ELNS1_3repE0EEENS1_30default_config_static_selectorELNS0_4arch9wavefront6targetE0EEEvSK_
    .private_segment_fixed_size: 0
    .sgpr_count:     0
    .sgpr_spill_count: 0
    .symbol:         _ZN7rocprim17ROCPRIM_400000_NS6detail17trampoline_kernelINS0_14default_configENS1_37merge_sort_block_sort_config_selectorImNS0_10empty_typeEEEZNS1_21merge_sort_block_sortIS3_N6thrust23THRUST_200600_302600_NS6detail15normal_iteratorINS9_10device_ptrImEEEESE_PS5_SF_11less_div_10ImEEE10hipError_tT0_T1_T2_T3_mRjT4_P12ihipStream_tbNS1_7vsmem_tEEUlT_E_NS1_11comp_targetILNS1_3genE10ELNS1_11target_archE1201ELNS1_3gpuE5ELNS1_3repE0EEENS1_30default_config_static_selectorELNS0_4arch9wavefront6targetE0EEEvSK_.kd
    .uniform_work_group_size: 1
    .uses_dynamic_stack: false
    .vgpr_count:     0
    .vgpr_spill_count: 0
    .wavefront_size: 32
    .workgroup_processor_mode: 1
  - .args:
      - .offset:         0
        .size:           64
        .value_kind:     by_value
    .group_segment_fixed_size: 0
    .kernarg_segment_align: 8
    .kernarg_segment_size: 64
    .language:       OpenCL C
    .language_version:
      - 2
      - 0
    .max_flat_workgroup_size: 512
    .name:           _ZN7rocprim17ROCPRIM_400000_NS6detail17trampoline_kernelINS0_14default_configENS1_37merge_sort_block_sort_config_selectorImNS0_10empty_typeEEEZNS1_21merge_sort_block_sortIS3_N6thrust23THRUST_200600_302600_NS6detail15normal_iteratorINS9_10device_ptrImEEEESE_PS5_SF_11less_div_10ImEEE10hipError_tT0_T1_T2_T3_mRjT4_P12ihipStream_tbNS1_7vsmem_tEEUlT_E_NS1_11comp_targetILNS1_3genE10ELNS1_11target_archE1200ELNS1_3gpuE4ELNS1_3repE0EEENS1_30default_config_static_selectorELNS0_4arch9wavefront6targetE0EEEvSK_
    .private_segment_fixed_size: 0
    .sgpr_count:     0
    .sgpr_spill_count: 0
    .symbol:         _ZN7rocprim17ROCPRIM_400000_NS6detail17trampoline_kernelINS0_14default_configENS1_37merge_sort_block_sort_config_selectorImNS0_10empty_typeEEEZNS1_21merge_sort_block_sortIS3_N6thrust23THRUST_200600_302600_NS6detail15normal_iteratorINS9_10device_ptrImEEEESE_PS5_SF_11less_div_10ImEEE10hipError_tT0_T1_T2_T3_mRjT4_P12ihipStream_tbNS1_7vsmem_tEEUlT_E_NS1_11comp_targetILNS1_3genE10ELNS1_11target_archE1200ELNS1_3gpuE4ELNS1_3repE0EEENS1_30default_config_static_selectorELNS0_4arch9wavefront6targetE0EEEvSK_.kd
    .uniform_work_group_size: 1
    .uses_dynamic_stack: false
    .vgpr_count:     0
    .vgpr_spill_count: 0
    .wavefront_size: 32
    .workgroup_processor_mode: 1
  - .args:
      - .offset:         0
        .size:           64
        .value_kind:     by_value
    .group_segment_fixed_size: 0
    .kernarg_segment_align: 8
    .kernarg_segment_size: 64
    .language:       OpenCL C
    .language_version:
      - 2
      - 0
    .max_flat_workgroup_size: 256
    .name:           _ZN7rocprim17ROCPRIM_400000_NS6detail17trampoline_kernelINS0_14default_configENS1_37merge_sort_block_sort_config_selectorImNS0_10empty_typeEEEZNS1_21merge_sort_block_sortIS3_N6thrust23THRUST_200600_302600_NS6detail15normal_iteratorINS9_10device_ptrImEEEESE_PS5_SF_11less_div_10ImEEE10hipError_tT0_T1_T2_T3_mRjT4_P12ihipStream_tbNS1_7vsmem_tEEUlT_E_NS1_11comp_targetILNS1_3genE9ELNS1_11target_archE1100ELNS1_3gpuE3ELNS1_3repE0EEENS1_30default_config_static_selectorELNS0_4arch9wavefront6targetE0EEEvSK_
    .private_segment_fixed_size: 0
    .sgpr_count:     0
    .sgpr_spill_count: 0
    .symbol:         _ZN7rocprim17ROCPRIM_400000_NS6detail17trampoline_kernelINS0_14default_configENS1_37merge_sort_block_sort_config_selectorImNS0_10empty_typeEEEZNS1_21merge_sort_block_sortIS3_N6thrust23THRUST_200600_302600_NS6detail15normal_iteratorINS9_10device_ptrImEEEESE_PS5_SF_11less_div_10ImEEE10hipError_tT0_T1_T2_T3_mRjT4_P12ihipStream_tbNS1_7vsmem_tEEUlT_E_NS1_11comp_targetILNS1_3genE9ELNS1_11target_archE1100ELNS1_3gpuE3ELNS1_3repE0EEENS1_30default_config_static_selectorELNS0_4arch9wavefront6targetE0EEEvSK_.kd
    .uniform_work_group_size: 1
    .uses_dynamic_stack: false
    .vgpr_count:     0
    .vgpr_spill_count: 0
    .wavefront_size: 32
    .workgroup_processor_mode: 1
  - .args:
      - .offset:         0
        .size:           64
        .value_kind:     by_value
      - .offset:         64
        .size:           4
        .value_kind:     hidden_block_count_x
      - .offset:         68
        .size:           4
        .value_kind:     hidden_block_count_y
      - .offset:         72
        .size:           4
        .value_kind:     hidden_block_count_z
      - .offset:         76
        .size:           2
        .value_kind:     hidden_group_size_x
      - .offset:         78
        .size:           2
        .value_kind:     hidden_group_size_y
      - .offset:         80
        .size:           2
        .value_kind:     hidden_group_size_z
      - .offset:         82
        .size:           2
        .value_kind:     hidden_remainder_x
      - .offset:         84
        .size:           2
        .value_kind:     hidden_remainder_y
      - .offset:         86
        .size:           2
        .value_kind:     hidden_remainder_z
      - .offset:         104
        .size:           8
        .value_kind:     hidden_global_offset_x
      - .offset:         112
        .size:           8
        .value_kind:     hidden_global_offset_y
      - .offset:         120
        .size:           8
        .value_kind:     hidden_global_offset_z
      - .offset:         128
        .size:           2
        .value_kind:     hidden_grid_dims
    .group_segment_fixed_size: 8448
    .kernarg_segment_align: 8
    .kernarg_segment_size: 320
    .language:       OpenCL C
    .language_version:
      - 2
      - 0
    .max_flat_workgroup_size: 256
    .name:           _ZN7rocprim17ROCPRIM_400000_NS6detail17trampoline_kernelINS0_14default_configENS1_37merge_sort_block_sort_config_selectorImNS0_10empty_typeEEEZNS1_21merge_sort_block_sortIS3_N6thrust23THRUST_200600_302600_NS6detail15normal_iteratorINS9_10device_ptrImEEEESE_PS5_SF_11less_div_10ImEEE10hipError_tT0_T1_T2_T3_mRjT4_P12ihipStream_tbNS1_7vsmem_tEEUlT_E_NS1_11comp_targetILNS1_3genE8ELNS1_11target_archE1030ELNS1_3gpuE2ELNS1_3repE0EEENS1_30default_config_static_selectorELNS0_4arch9wavefront6targetE0EEEvSK_
    .private_segment_fixed_size: 0
    .sgpr_count:     22
    .sgpr_spill_count: 0
    .symbol:         _ZN7rocprim17ROCPRIM_400000_NS6detail17trampoline_kernelINS0_14default_configENS1_37merge_sort_block_sort_config_selectorImNS0_10empty_typeEEEZNS1_21merge_sort_block_sortIS3_N6thrust23THRUST_200600_302600_NS6detail15normal_iteratorINS9_10device_ptrImEEEESE_PS5_SF_11less_div_10ImEEE10hipError_tT0_T1_T2_T3_mRjT4_P12ihipStream_tbNS1_7vsmem_tEEUlT_E_NS1_11comp_targetILNS1_3genE8ELNS1_11target_archE1030ELNS1_3gpuE2ELNS1_3repE0EEENS1_30default_config_static_selectorELNS0_4arch9wavefront6targetE0EEEvSK_.kd
    .uniform_work_group_size: 1
    .uses_dynamic_stack: false
    .vgpr_count:     43
    .vgpr_spill_count: 0
    .wavefront_size: 32
    .workgroup_processor_mode: 1
  - .args:
      - .offset:         0
        .size:           48
        .value_kind:     by_value
    .group_segment_fixed_size: 0
    .kernarg_segment_align: 8
    .kernarg_segment_size: 48
    .language:       OpenCL C
    .language_version:
      - 2
      - 0
    .max_flat_workgroup_size: 128
    .name:           _ZN7rocprim17ROCPRIM_400000_NS6detail17trampoline_kernelINS0_14default_configENS1_38merge_sort_block_merge_config_selectorImNS0_10empty_typeEEEZZNS1_27merge_sort_block_merge_implIS3_N6thrust23THRUST_200600_302600_NS6detail15normal_iteratorINS9_10device_ptrImEEEEPS5_m11less_div_10ImEEE10hipError_tT0_T1_T2_jT3_P12ihipStream_tbPNSt15iterator_traitsISJ_E10value_typeEPNSP_ISK_E10value_typeEPSL_NS1_7vsmem_tEENKUlT_SJ_SK_SL_E_clIPmSE_SF_SF_EESI_SY_SJ_SK_SL_EUlSY_E_NS1_11comp_targetILNS1_3genE0ELNS1_11target_archE4294967295ELNS1_3gpuE0ELNS1_3repE0EEENS1_48merge_mergepath_partition_config_static_selectorELNS0_4arch9wavefront6targetE0EEEvSK_
    .private_segment_fixed_size: 0
    .sgpr_count:     0
    .sgpr_spill_count: 0
    .symbol:         _ZN7rocprim17ROCPRIM_400000_NS6detail17trampoline_kernelINS0_14default_configENS1_38merge_sort_block_merge_config_selectorImNS0_10empty_typeEEEZZNS1_27merge_sort_block_merge_implIS3_N6thrust23THRUST_200600_302600_NS6detail15normal_iteratorINS9_10device_ptrImEEEEPS5_m11less_div_10ImEEE10hipError_tT0_T1_T2_jT3_P12ihipStream_tbPNSt15iterator_traitsISJ_E10value_typeEPNSP_ISK_E10value_typeEPSL_NS1_7vsmem_tEENKUlT_SJ_SK_SL_E_clIPmSE_SF_SF_EESI_SY_SJ_SK_SL_EUlSY_E_NS1_11comp_targetILNS1_3genE0ELNS1_11target_archE4294967295ELNS1_3gpuE0ELNS1_3repE0EEENS1_48merge_mergepath_partition_config_static_selectorELNS0_4arch9wavefront6targetE0EEEvSK_.kd
    .uniform_work_group_size: 1
    .uses_dynamic_stack: false
    .vgpr_count:     0
    .vgpr_spill_count: 0
    .wavefront_size: 32
    .workgroup_processor_mode: 1
  - .args:
      - .offset:         0
        .size:           48
        .value_kind:     by_value
    .group_segment_fixed_size: 0
    .kernarg_segment_align: 8
    .kernarg_segment_size: 48
    .language:       OpenCL C
    .language_version:
      - 2
      - 0
    .max_flat_workgroup_size: 128
    .name:           _ZN7rocprim17ROCPRIM_400000_NS6detail17trampoline_kernelINS0_14default_configENS1_38merge_sort_block_merge_config_selectorImNS0_10empty_typeEEEZZNS1_27merge_sort_block_merge_implIS3_N6thrust23THRUST_200600_302600_NS6detail15normal_iteratorINS9_10device_ptrImEEEEPS5_m11less_div_10ImEEE10hipError_tT0_T1_T2_jT3_P12ihipStream_tbPNSt15iterator_traitsISJ_E10value_typeEPNSP_ISK_E10value_typeEPSL_NS1_7vsmem_tEENKUlT_SJ_SK_SL_E_clIPmSE_SF_SF_EESI_SY_SJ_SK_SL_EUlSY_E_NS1_11comp_targetILNS1_3genE10ELNS1_11target_archE1201ELNS1_3gpuE5ELNS1_3repE0EEENS1_48merge_mergepath_partition_config_static_selectorELNS0_4arch9wavefront6targetE0EEEvSK_
    .private_segment_fixed_size: 0
    .sgpr_count:     0
    .sgpr_spill_count: 0
    .symbol:         _ZN7rocprim17ROCPRIM_400000_NS6detail17trampoline_kernelINS0_14default_configENS1_38merge_sort_block_merge_config_selectorImNS0_10empty_typeEEEZZNS1_27merge_sort_block_merge_implIS3_N6thrust23THRUST_200600_302600_NS6detail15normal_iteratorINS9_10device_ptrImEEEEPS5_m11less_div_10ImEEE10hipError_tT0_T1_T2_jT3_P12ihipStream_tbPNSt15iterator_traitsISJ_E10value_typeEPNSP_ISK_E10value_typeEPSL_NS1_7vsmem_tEENKUlT_SJ_SK_SL_E_clIPmSE_SF_SF_EESI_SY_SJ_SK_SL_EUlSY_E_NS1_11comp_targetILNS1_3genE10ELNS1_11target_archE1201ELNS1_3gpuE5ELNS1_3repE0EEENS1_48merge_mergepath_partition_config_static_selectorELNS0_4arch9wavefront6targetE0EEEvSK_.kd
    .uniform_work_group_size: 1
    .uses_dynamic_stack: false
    .vgpr_count:     0
    .vgpr_spill_count: 0
    .wavefront_size: 32
    .workgroup_processor_mode: 1
  - .args:
      - .offset:         0
        .size:           48
        .value_kind:     by_value
    .group_segment_fixed_size: 0
    .kernarg_segment_align: 8
    .kernarg_segment_size: 48
    .language:       OpenCL C
    .language_version:
      - 2
      - 0
    .max_flat_workgroup_size: 128
    .name:           _ZN7rocprim17ROCPRIM_400000_NS6detail17trampoline_kernelINS0_14default_configENS1_38merge_sort_block_merge_config_selectorImNS0_10empty_typeEEEZZNS1_27merge_sort_block_merge_implIS3_N6thrust23THRUST_200600_302600_NS6detail15normal_iteratorINS9_10device_ptrImEEEEPS5_m11less_div_10ImEEE10hipError_tT0_T1_T2_jT3_P12ihipStream_tbPNSt15iterator_traitsISJ_E10value_typeEPNSP_ISK_E10value_typeEPSL_NS1_7vsmem_tEENKUlT_SJ_SK_SL_E_clIPmSE_SF_SF_EESI_SY_SJ_SK_SL_EUlSY_E_NS1_11comp_targetILNS1_3genE5ELNS1_11target_archE942ELNS1_3gpuE9ELNS1_3repE0EEENS1_48merge_mergepath_partition_config_static_selectorELNS0_4arch9wavefront6targetE0EEEvSK_
    .private_segment_fixed_size: 0
    .sgpr_count:     0
    .sgpr_spill_count: 0
    .symbol:         _ZN7rocprim17ROCPRIM_400000_NS6detail17trampoline_kernelINS0_14default_configENS1_38merge_sort_block_merge_config_selectorImNS0_10empty_typeEEEZZNS1_27merge_sort_block_merge_implIS3_N6thrust23THRUST_200600_302600_NS6detail15normal_iteratorINS9_10device_ptrImEEEEPS5_m11less_div_10ImEEE10hipError_tT0_T1_T2_jT3_P12ihipStream_tbPNSt15iterator_traitsISJ_E10value_typeEPNSP_ISK_E10value_typeEPSL_NS1_7vsmem_tEENKUlT_SJ_SK_SL_E_clIPmSE_SF_SF_EESI_SY_SJ_SK_SL_EUlSY_E_NS1_11comp_targetILNS1_3genE5ELNS1_11target_archE942ELNS1_3gpuE9ELNS1_3repE0EEENS1_48merge_mergepath_partition_config_static_selectorELNS0_4arch9wavefront6targetE0EEEvSK_.kd
    .uniform_work_group_size: 1
    .uses_dynamic_stack: false
    .vgpr_count:     0
    .vgpr_spill_count: 0
    .wavefront_size: 32
    .workgroup_processor_mode: 1
  - .args:
      - .offset:         0
        .size:           48
        .value_kind:     by_value
    .group_segment_fixed_size: 0
    .kernarg_segment_align: 8
    .kernarg_segment_size: 48
    .language:       OpenCL C
    .language_version:
      - 2
      - 0
    .max_flat_workgroup_size: 128
    .name:           _ZN7rocprim17ROCPRIM_400000_NS6detail17trampoline_kernelINS0_14default_configENS1_38merge_sort_block_merge_config_selectorImNS0_10empty_typeEEEZZNS1_27merge_sort_block_merge_implIS3_N6thrust23THRUST_200600_302600_NS6detail15normal_iteratorINS9_10device_ptrImEEEEPS5_m11less_div_10ImEEE10hipError_tT0_T1_T2_jT3_P12ihipStream_tbPNSt15iterator_traitsISJ_E10value_typeEPNSP_ISK_E10value_typeEPSL_NS1_7vsmem_tEENKUlT_SJ_SK_SL_E_clIPmSE_SF_SF_EESI_SY_SJ_SK_SL_EUlSY_E_NS1_11comp_targetILNS1_3genE4ELNS1_11target_archE910ELNS1_3gpuE8ELNS1_3repE0EEENS1_48merge_mergepath_partition_config_static_selectorELNS0_4arch9wavefront6targetE0EEEvSK_
    .private_segment_fixed_size: 0
    .sgpr_count:     0
    .sgpr_spill_count: 0
    .symbol:         _ZN7rocprim17ROCPRIM_400000_NS6detail17trampoline_kernelINS0_14default_configENS1_38merge_sort_block_merge_config_selectorImNS0_10empty_typeEEEZZNS1_27merge_sort_block_merge_implIS3_N6thrust23THRUST_200600_302600_NS6detail15normal_iteratorINS9_10device_ptrImEEEEPS5_m11less_div_10ImEEE10hipError_tT0_T1_T2_jT3_P12ihipStream_tbPNSt15iterator_traitsISJ_E10value_typeEPNSP_ISK_E10value_typeEPSL_NS1_7vsmem_tEENKUlT_SJ_SK_SL_E_clIPmSE_SF_SF_EESI_SY_SJ_SK_SL_EUlSY_E_NS1_11comp_targetILNS1_3genE4ELNS1_11target_archE910ELNS1_3gpuE8ELNS1_3repE0EEENS1_48merge_mergepath_partition_config_static_selectorELNS0_4arch9wavefront6targetE0EEEvSK_.kd
    .uniform_work_group_size: 1
    .uses_dynamic_stack: false
    .vgpr_count:     0
    .vgpr_spill_count: 0
    .wavefront_size: 32
    .workgroup_processor_mode: 1
  - .args:
      - .offset:         0
        .size:           48
        .value_kind:     by_value
    .group_segment_fixed_size: 0
    .kernarg_segment_align: 8
    .kernarg_segment_size: 48
    .language:       OpenCL C
    .language_version:
      - 2
      - 0
    .max_flat_workgroup_size: 128
    .name:           _ZN7rocprim17ROCPRIM_400000_NS6detail17trampoline_kernelINS0_14default_configENS1_38merge_sort_block_merge_config_selectorImNS0_10empty_typeEEEZZNS1_27merge_sort_block_merge_implIS3_N6thrust23THRUST_200600_302600_NS6detail15normal_iteratorINS9_10device_ptrImEEEEPS5_m11less_div_10ImEEE10hipError_tT0_T1_T2_jT3_P12ihipStream_tbPNSt15iterator_traitsISJ_E10value_typeEPNSP_ISK_E10value_typeEPSL_NS1_7vsmem_tEENKUlT_SJ_SK_SL_E_clIPmSE_SF_SF_EESI_SY_SJ_SK_SL_EUlSY_E_NS1_11comp_targetILNS1_3genE3ELNS1_11target_archE908ELNS1_3gpuE7ELNS1_3repE0EEENS1_48merge_mergepath_partition_config_static_selectorELNS0_4arch9wavefront6targetE0EEEvSK_
    .private_segment_fixed_size: 0
    .sgpr_count:     0
    .sgpr_spill_count: 0
    .symbol:         _ZN7rocprim17ROCPRIM_400000_NS6detail17trampoline_kernelINS0_14default_configENS1_38merge_sort_block_merge_config_selectorImNS0_10empty_typeEEEZZNS1_27merge_sort_block_merge_implIS3_N6thrust23THRUST_200600_302600_NS6detail15normal_iteratorINS9_10device_ptrImEEEEPS5_m11less_div_10ImEEE10hipError_tT0_T1_T2_jT3_P12ihipStream_tbPNSt15iterator_traitsISJ_E10value_typeEPNSP_ISK_E10value_typeEPSL_NS1_7vsmem_tEENKUlT_SJ_SK_SL_E_clIPmSE_SF_SF_EESI_SY_SJ_SK_SL_EUlSY_E_NS1_11comp_targetILNS1_3genE3ELNS1_11target_archE908ELNS1_3gpuE7ELNS1_3repE0EEENS1_48merge_mergepath_partition_config_static_selectorELNS0_4arch9wavefront6targetE0EEEvSK_.kd
    .uniform_work_group_size: 1
    .uses_dynamic_stack: false
    .vgpr_count:     0
    .vgpr_spill_count: 0
    .wavefront_size: 32
    .workgroup_processor_mode: 1
  - .args:
      - .offset:         0
        .size:           48
        .value_kind:     by_value
    .group_segment_fixed_size: 0
    .kernarg_segment_align: 8
    .kernarg_segment_size: 48
    .language:       OpenCL C
    .language_version:
      - 2
      - 0
    .max_flat_workgroup_size: 128
    .name:           _ZN7rocprim17ROCPRIM_400000_NS6detail17trampoline_kernelINS0_14default_configENS1_38merge_sort_block_merge_config_selectorImNS0_10empty_typeEEEZZNS1_27merge_sort_block_merge_implIS3_N6thrust23THRUST_200600_302600_NS6detail15normal_iteratorINS9_10device_ptrImEEEEPS5_m11less_div_10ImEEE10hipError_tT0_T1_T2_jT3_P12ihipStream_tbPNSt15iterator_traitsISJ_E10value_typeEPNSP_ISK_E10value_typeEPSL_NS1_7vsmem_tEENKUlT_SJ_SK_SL_E_clIPmSE_SF_SF_EESI_SY_SJ_SK_SL_EUlSY_E_NS1_11comp_targetILNS1_3genE2ELNS1_11target_archE906ELNS1_3gpuE6ELNS1_3repE0EEENS1_48merge_mergepath_partition_config_static_selectorELNS0_4arch9wavefront6targetE0EEEvSK_
    .private_segment_fixed_size: 0
    .sgpr_count:     0
    .sgpr_spill_count: 0
    .symbol:         _ZN7rocprim17ROCPRIM_400000_NS6detail17trampoline_kernelINS0_14default_configENS1_38merge_sort_block_merge_config_selectorImNS0_10empty_typeEEEZZNS1_27merge_sort_block_merge_implIS3_N6thrust23THRUST_200600_302600_NS6detail15normal_iteratorINS9_10device_ptrImEEEEPS5_m11less_div_10ImEEE10hipError_tT0_T1_T2_jT3_P12ihipStream_tbPNSt15iterator_traitsISJ_E10value_typeEPNSP_ISK_E10value_typeEPSL_NS1_7vsmem_tEENKUlT_SJ_SK_SL_E_clIPmSE_SF_SF_EESI_SY_SJ_SK_SL_EUlSY_E_NS1_11comp_targetILNS1_3genE2ELNS1_11target_archE906ELNS1_3gpuE6ELNS1_3repE0EEENS1_48merge_mergepath_partition_config_static_selectorELNS0_4arch9wavefront6targetE0EEEvSK_.kd
    .uniform_work_group_size: 1
    .uses_dynamic_stack: false
    .vgpr_count:     0
    .vgpr_spill_count: 0
    .wavefront_size: 32
    .workgroup_processor_mode: 1
  - .args:
      - .offset:         0
        .size:           48
        .value_kind:     by_value
    .group_segment_fixed_size: 0
    .kernarg_segment_align: 8
    .kernarg_segment_size: 48
    .language:       OpenCL C
    .language_version:
      - 2
      - 0
    .max_flat_workgroup_size: 128
    .name:           _ZN7rocprim17ROCPRIM_400000_NS6detail17trampoline_kernelINS0_14default_configENS1_38merge_sort_block_merge_config_selectorImNS0_10empty_typeEEEZZNS1_27merge_sort_block_merge_implIS3_N6thrust23THRUST_200600_302600_NS6detail15normal_iteratorINS9_10device_ptrImEEEEPS5_m11less_div_10ImEEE10hipError_tT0_T1_T2_jT3_P12ihipStream_tbPNSt15iterator_traitsISJ_E10value_typeEPNSP_ISK_E10value_typeEPSL_NS1_7vsmem_tEENKUlT_SJ_SK_SL_E_clIPmSE_SF_SF_EESI_SY_SJ_SK_SL_EUlSY_E_NS1_11comp_targetILNS1_3genE9ELNS1_11target_archE1100ELNS1_3gpuE3ELNS1_3repE0EEENS1_48merge_mergepath_partition_config_static_selectorELNS0_4arch9wavefront6targetE0EEEvSK_
    .private_segment_fixed_size: 0
    .sgpr_count:     0
    .sgpr_spill_count: 0
    .symbol:         _ZN7rocprim17ROCPRIM_400000_NS6detail17trampoline_kernelINS0_14default_configENS1_38merge_sort_block_merge_config_selectorImNS0_10empty_typeEEEZZNS1_27merge_sort_block_merge_implIS3_N6thrust23THRUST_200600_302600_NS6detail15normal_iteratorINS9_10device_ptrImEEEEPS5_m11less_div_10ImEEE10hipError_tT0_T1_T2_jT3_P12ihipStream_tbPNSt15iterator_traitsISJ_E10value_typeEPNSP_ISK_E10value_typeEPSL_NS1_7vsmem_tEENKUlT_SJ_SK_SL_E_clIPmSE_SF_SF_EESI_SY_SJ_SK_SL_EUlSY_E_NS1_11comp_targetILNS1_3genE9ELNS1_11target_archE1100ELNS1_3gpuE3ELNS1_3repE0EEENS1_48merge_mergepath_partition_config_static_selectorELNS0_4arch9wavefront6targetE0EEEvSK_.kd
    .uniform_work_group_size: 1
    .uses_dynamic_stack: false
    .vgpr_count:     0
    .vgpr_spill_count: 0
    .wavefront_size: 32
    .workgroup_processor_mode: 1
  - .args:
      - .offset:         0
        .size:           48
        .value_kind:     by_value
    .group_segment_fixed_size: 0
    .kernarg_segment_align: 8
    .kernarg_segment_size: 48
    .language:       OpenCL C
    .language_version:
      - 2
      - 0
    .max_flat_workgroup_size: 128
    .name:           _ZN7rocprim17ROCPRIM_400000_NS6detail17trampoline_kernelINS0_14default_configENS1_38merge_sort_block_merge_config_selectorImNS0_10empty_typeEEEZZNS1_27merge_sort_block_merge_implIS3_N6thrust23THRUST_200600_302600_NS6detail15normal_iteratorINS9_10device_ptrImEEEEPS5_m11less_div_10ImEEE10hipError_tT0_T1_T2_jT3_P12ihipStream_tbPNSt15iterator_traitsISJ_E10value_typeEPNSP_ISK_E10value_typeEPSL_NS1_7vsmem_tEENKUlT_SJ_SK_SL_E_clIPmSE_SF_SF_EESI_SY_SJ_SK_SL_EUlSY_E_NS1_11comp_targetILNS1_3genE8ELNS1_11target_archE1030ELNS1_3gpuE2ELNS1_3repE0EEENS1_48merge_mergepath_partition_config_static_selectorELNS0_4arch9wavefront6targetE0EEEvSK_
    .private_segment_fixed_size: 0
    .sgpr_count:     10
    .sgpr_spill_count: 0
    .symbol:         _ZN7rocprim17ROCPRIM_400000_NS6detail17trampoline_kernelINS0_14default_configENS1_38merge_sort_block_merge_config_selectorImNS0_10empty_typeEEEZZNS1_27merge_sort_block_merge_implIS3_N6thrust23THRUST_200600_302600_NS6detail15normal_iteratorINS9_10device_ptrImEEEEPS5_m11less_div_10ImEEE10hipError_tT0_T1_T2_jT3_P12ihipStream_tbPNSt15iterator_traitsISJ_E10value_typeEPNSP_ISK_E10value_typeEPSL_NS1_7vsmem_tEENKUlT_SJ_SK_SL_E_clIPmSE_SF_SF_EESI_SY_SJ_SK_SL_EUlSY_E_NS1_11comp_targetILNS1_3genE8ELNS1_11target_archE1030ELNS1_3gpuE2ELNS1_3repE0EEENS1_48merge_mergepath_partition_config_static_selectorELNS0_4arch9wavefront6targetE0EEEvSK_.kd
    .uniform_work_group_size: 1
    .uses_dynamic_stack: false
    .vgpr_count:     18
    .vgpr_spill_count: 0
    .wavefront_size: 32
    .workgroup_processor_mode: 1
  - .args:
      - .offset:         0
        .size:           72
        .value_kind:     by_value
    .group_segment_fixed_size: 0
    .kernarg_segment_align: 8
    .kernarg_segment_size: 72
    .language:       OpenCL C
    .language_version:
      - 2
      - 0
    .max_flat_workgroup_size: 128
    .name:           _ZN7rocprim17ROCPRIM_400000_NS6detail17trampoline_kernelINS0_14default_configENS1_38merge_sort_block_merge_config_selectorImNS0_10empty_typeEEEZZNS1_27merge_sort_block_merge_implIS3_N6thrust23THRUST_200600_302600_NS6detail15normal_iteratorINS9_10device_ptrImEEEEPS5_m11less_div_10ImEEE10hipError_tT0_T1_T2_jT3_P12ihipStream_tbPNSt15iterator_traitsISJ_E10value_typeEPNSP_ISK_E10value_typeEPSL_NS1_7vsmem_tEENKUlT_SJ_SK_SL_E_clIPmSE_SF_SF_EESI_SY_SJ_SK_SL_EUlSY_E0_NS1_11comp_targetILNS1_3genE0ELNS1_11target_archE4294967295ELNS1_3gpuE0ELNS1_3repE0EEENS1_38merge_mergepath_config_static_selectorELNS0_4arch9wavefront6targetE0EEEvSK_
    .private_segment_fixed_size: 0
    .sgpr_count:     0
    .sgpr_spill_count: 0
    .symbol:         _ZN7rocprim17ROCPRIM_400000_NS6detail17trampoline_kernelINS0_14default_configENS1_38merge_sort_block_merge_config_selectorImNS0_10empty_typeEEEZZNS1_27merge_sort_block_merge_implIS3_N6thrust23THRUST_200600_302600_NS6detail15normal_iteratorINS9_10device_ptrImEEEEPS5_m11less_div_10ImEEE10hipError_tT0_T1_T2_jT3_P12ihipStream_tbPNSt15iterator_traitsISJ_E10value_typeEPNSP_ISK_E10value_typeEPSL_NS1_7vsmem_tEENKUlT_SJ_SK_SL_E_clIPmSE_SF_SF_EESI_SY_SJ_SK_SL_EUlSY_E0_NS1_11comp_targetILNS1_3genE0ELNS1_11target_archE4294967295ELNS1_3gpuE0ELNS1_3repE0EEENS1_38merge_mergepath_config_static_selectorELNS0_4arch9wavefront6targetE0EEEvSK_.kd
    .uniform_work_group_size: 1
    .uses_dynamic_stack: false
    .vgpr_count:     0
    .vgpr_spill_count: 0
    .wavefront_size: 32
    .workgroup_processor_mode: 1
  - .args:
      - .offset:         0
        .size:           72
        .value_kind:     by_value
    .group_segment_fixed_size: 0
    .kernarg_segment_align: 8
    .kernarg_segment_size: 72
    .language:       OpenCL C
    .language_version:
      - 2
      - 0
    .max_flat_workgroup_size: 512
    .name:           _ZN7rocprim17ROCPRIM_400000_NS6detail17trampoline_kernelINS0_14default_configENS1_38merge_sort_block_merge_config_selectorImNS0_10empty_typeEEEZZNS1_27merge_sort_block_merge_implIS3_N6thrust23THRUST_200600_302600_NS6detail15normal_iteratorINS9_10device_ptrImEEEEPS5_m11less_div_10ImEEE10hipError_tT0_T1_T2_jT3_P12ihipStream_tbPNSt15iterator_traitsISJ_E10value_typeEPNSP_ISK_E10value_typeEPSL_NS1_7vsmem_tEENKUlT_SJ_SK_SL_E_clIPmSE_SF_SF_EESI_SY_SJ_SK_SL_EUlSY_E0_NS1_11comp_targetILNS1_3genE10ELNS1_11target_archE1201ELNS1_3gpuE5ELNS1_3repE0EEENS1_38merge_mergepath_config_static_selectorELNS0_4arch9wavefront6targetE0EEEvSK_
    .private_segment_fixed_size: 0
    .sgpr_count:     0
    .sgpr_spill_count: 0
    .symbol:         _ZN7rocprim17ROCPRIM_400000_NS6detail17trampoline_kernelINS0_14default_configENS1_38merge_sort_block_merge_config_selectorImNS0_10empty_typeEEEZZNS1_27merge_sort_block_merge_implIS3_N6thrust23THRUST_200600_302600_NS6detail15normal_iteratorINS9_10device_ptrImEEEEPS5_m11less_div_10ImEEE10hipError_tT0_T1_T2_jT3_P12ihipStream_tbPNSt15iterator_traitsISJ_E10value_typeEPNSP_ISK_E10value_typeEPSL_NS1_7vsmem_tEENKUlT_SJ_SK_SL_E_clIPmSE_SF_SF_EESI_SY_SJ_SK_SL_EUlSY_E0_NS1_11comp_targetILNS1_3genE10ELNS1_11target_archE1201ELNS1_3gpuE5ELNS1_3repE0EEENS1_38merge_mergepath_config_static_selectorELNS0_4arch9wavefront6targetE0EEEvSK_.kd
    .uniform_work_group_size: 1
    .uses_dynamic_stack: false
    .vgpr_count:     0
    .vgpr_spill_count: 0
    .wavefront_size: 32
    .workgroup_processor_mode: 1
  - .args:
      - .offset:         0
        .size:           72
        .value_kind:     by_value
    .group_segment_fixed_size: 0
    .kernarg_segment_align: 8
    .kernarg_segment_size: 72
    .language:       OpenCL C
    .language_version:
      - 2
      - 0
    .max_flat_workgroup_size: 128
    .name:           _ZN7rocprim17ROCPRIM_400000_NS6detail17trampoline_kernelINS0_14default_configENS1_38merge_sort_block_merge_config_selectorImNS0_10empty_typeEEEZZNS1_27merge_sort_block_merge_implIS3_N6thrust23THRUST_200600_302600_NS6detail15normal_iteratorINS9_10device_ptrImEEEEPS5_m11less_div_10ImEEE10hipError_tT0_T1_T2_jT3_P12ihipStream_tbPNSt15iterator_traitsISJ_E10value_typeEPNSP_ISK_E10value_typeEPSL_NS1_7vsmem_tEENKUlT_SJ_SK_SL_E_clIPmSE_SF_SF_EESI_SY_SJ_SK_SL_EUlSY_E0_NS1_11comp_targetILNS1_3genE5ELNS1_11target_archE942ELNS1_3gpuE9ELNS1_3repE0EEENS1_38merge_mergepath_config_static_selectorELNS0_4arch9wavefront6targetE0EEEvSK_
    .private_segment_fixed_size: 0
    .sgpr_count:     0
    .sgpr_spill_count: 0
    .symbol:         _ZN7rocprim17ROCPRIM_400000_NS6detail17trampoline_kernelINS0_14default_configENS1_38merge_sort_block_merge_config_selectorImNS0_10empty_typeEEEZZNS1_27merge_sort_block_merge_implIS3_N6thrust23THRUST_200600_302600_NS6detail15normal_iteratorINS9_10device_ptrImEEEEPS5_m11less_div_10ImEEE10hipError_tT0_T1_T2_jT3_P12ihipStream_tbPNSt15iterator_traitsISJ_E10value_typeEPNSP_ISK_E10value_typeEPSL_NS1_7vsmem_tEENKUlT_SJ_SK_SL_E_clIPmSE_SF_SF_EESI_SY_SJ_SK_SL_EUlSY_E0_NS1_11comp_targetILNS1_3genE5ELNS1_11target_archE942ELNS1_3gpuE9ELNS1_3repE0EEENS1_38merge_mergepath_config_static_selectorELNS0_4arch9wavefront6targetE0EEEvSK_.kd
    .uniform_work_group_size: 1
    .uses_dynamic_stack: false
    .vgpr_count:     0
    .vgpr_spill_count: 0
    .wavefront_size: 32
    .workgroup_processor_mode: 1
  - .args:
      - .offset:         0
        .size:           72
        .value_kind:     by_value
    .group_segment_fixed_size: 0
    .kernarg_segment_align: 8
    .kernarg_segment_size: 72
    .language:       OpenCL C
    .language_version:
      - 2
      - 0
    .max_flat_workgroup_size: 256
    .name:           _ZN7rocprim17ROCPRIM_400000_NS6detail17trampoline_kernelINS0_14default_configENS1_38merge_sort_block_merge_config_selectorImNS0_10empty_typeEEEZZNS1_27merge_sort_block_merge_implIS3_N6thrust23THRUST_200600_302600_NS6detail15normal_iteratorINS9_10device_ptrImEEEEPS5_m11less_div_10ImEEE10hipError_tT0_T1_T2_jT3_P12ihipStream_tbPNSt15iterator_traitsISJ_E10value_typeEPNSP_ISK_E10value_typeEPSL_NS1_7vsmem_tEENKUlT_SJ_SK_SL_E_clIPmSE_SF_SF_EESI_SY_SJ_SK_SL_EUlSY_E0_NS1_11comp_targetILNS1_3genE4ELNS1_11target_archE910ELNS1_3gpuE8ELNS1_3repE0EEENS1_38merge_mergepath_config_static_selectorELNS0_4arch9wavefront6targetE0EEEvSK_
    .private_segment_fixed_size: 0
    .sgpr_count:     0
    .sgpr_spill_count: 0
    .symbol:         _ZN7rocprim17ROCPRIM_400000_NS6detail17trampoline_kernelINS0_14default_configENS1_38merge_sort_block_merge_config_selectorImNS0_10empty_typeEEEZZNS1_27merge_sort_block_merge_implIS3_N6thrust23THRUST_200600_302600_NS6detail15normal_iteratorINS9_10device_ptrImEEEEPS5_m11less_div_10ImEEE10hipError_tT0_T1_T2_jT3_P12ihipStream_tbPNSt15iterator_traitsISJ_E10value_typeEPNSP_ISK_E10value_typeEPSL_NS1_7vsmem_tEENKUlT_SJ_SK_SL_E_clIPmSE_SF_SF_EESI_SY_SJ_SK_SL_EUlSY_E0_NS1_11comp_targetILNS1_3genE4ELNS1_11target_archE910ELNS1_3gpuE8ELNS1_3repE0EEENS1_38merge_mergepath_config_static_selectorELNS0_4arch9wavefront6targetE0EEEvSK_.kd
    .uniform_work_group_size: 1
    .uses_dynamic_stack: false
    .vgpr_count:     0
    .vgpr_spill_count: 0
    .wavefront_size: 32
    .workgroup_processor_mode: 1
  - .args:
      - .offset:         0
        .size:           72
        .value_kind:     by_value
    .group_segment_fixed_size: 0
    .kernarg_segment_align: 8
    .kernarg_segment_size: 72
    .language:       OpenCL C
    .language_version:
      - 2
      - 0
    .max_flat_workgroup_size: 128
    .name:           _ZN7rocprim17ROCPRIM_400000_NS6detail17trampoline_kernelINS0_14default_configENS1_38merge_sort_block_merge_config_selectorImNS0_10empty_typeEEEZZNS1_27merge_sort_block_merge_implIS3_N6thrust23THRUST_200600_302600_NS6detail15normal_iteratorINS9_10device_ptrImEEEEPS5_m11less_div_10ImEEE10hipError_tT0_T1_T2_jT3_P12ihipStream_tbPNSt15iterator_traitsISJ_E10value_typeEPNSP_ISK_E10value_typeEPSL_NS1_7vsmem_tEENKUlT_SJ_SK_SL_E_clIPmSE_SF_SF_EESI_SY_SJ_SK_SL_EUlSY_E0_NS1_11comp_targetILNS1_3genE3ELNS1_11target_archE908ELNS1_3gpuE7ELNS1_3repE0EEENS1_38merge_mergepath_config_static_selectorELNS0_4arch9wavefront6targetE0EEEvSK_
    .private_segment_fixed_size: 0
    .sgpr_count:     0
    .sgpr_spill_count: 0
    .symbol:         _ZN7rocprim17ROCPRIM_400000_NS6detail17trampoline_kernelINS0_14default_configENS1_38merge_sort_block_merge_config_selectorImNS0_10empty_typeEEEZZNS1_27merge_sort_block_merge_implIS3_N6thrust23THRUST_200600_302600_NS6detail15normal_iteratorINS9_10device_ptrImEEEEPS5_m11less_div_10ImEEE10hipError_tT0_T1_T2_jT3_P12ihipStream_tbPNSt15iterator_traitsISJ_E10value_typeEPNSP_ISK_E10value_typeEPSL_NS1_7vsmem_tEENKUlT_SJ_SK_SL_E_clIPmSE_SF_SF_EESI_SY_SJ_SK_SL_EUlSY_E0_NS1_11comp_targetILNS1_3genE3ELNS1_11target_archE908ELNS1_3gpuE7ELNS1_3repE0EEENS1_38merge_mergepath_config_static_selectorELNS0_4arch9wavefront6targetE0EEEvSK_.kd
    .uniform_work_group_size: 1
    .uses_dynamic_stack: false
    .vgpr_count:     0
    .vgpr_spill_count: 0
    .wavefront_size: 32
    .workgroup_processor_mode: 1
  - .args:
      - .offset:         0
        .size:           72
        .value_kind:     by_value
    .group_segment_fixed_size: 0
    .kernarg_segment_align: 8
    .kernarg_segment_size: 72
    .language:       OpenCL C
    .language_version:
      - 2
      - 0
    .max_flat_workgroup_size: 256
    .name:           _ZN7rocprim17ROCPRIM_400000_NS6detail17trampoline_kernelINS0_14default_configENS1_38merge_sort_block_merge_config_selectorImNS0_10empty_typeEEEZZNS1_27merge_sort_block_merge_implIS3_N6thrust23THRUST_200600_302600_NS6detail15normal_iteratorINS9_10device_ptrImEEEEPS5_m11less_div_10ImEEE10hipError_tT0_T1_T2_jT3_P12ihipStream_tbPNSt15iterator_traitsISJ_E10value_typeEPNSP_ISK_E10value_typeEPSL_NS1_7vsmem_tEENKUlT_SJ_SK_SL_E_clIPmSE_SF_SF_EESI_SY_SJ_SK_SL_EUlSY_E0_NS1_11comp_targetILNS1_3genE2ELNS1_11target_archE906ELNS1_3gpuE6ELNS1_3repE0EEENS1_38merge_mergepath_config_static_selectorELNS0_4arch9wavefront6targetE0EEEvSK_
    .private_segment_fixed_size: 0
    .sgpr_count:     0
    .sgpr_spill_count: 0
    .symbol:         _ZN7rocprim17ROCPRIM_400000_NS6detail17trampoline_kernelINS0_14default_configENS1_38merge_sort_block_merge_config_selectorImNS0_10empty_typeEEEZZNS1_27merge_sort_block_merge_implIS3_N6thrust23THRUST_200600_302600_NS6detail15normal_iteratorINS9_10device_ptrImEEEEPS5_m11less_div_10ImEEE10hipError_tT0_T1_T2_jT3_P12ihipStream_tbPNSt15iterator_traitsISJ_E10value_typeEPNSP_ISK_E10value_typeEPSL_NS1_7vsmem_tEENKUlT_SJ_SK_SL_E_clIPmSE_SF_SF_EESI_SY_SJ_SK_SL_EUlSY_E0_NS1_11comp_targetILNS1_3genE2ELNS1_11target_archE906ELNS1_3gpuE6ELNS1_3repE0EEENS1_38merge_mergepath_config_static_selectorELNS0_4arch9wavefront6targetE0EEEvSK_.kd
    .uniform_work_group_size: 1
    .uses_dynamic_stack: false
    .vgpr_count:     0
    .vgpr_spill_count: 0
    .wavefront_size: 32
    .workgroup_processor_mode: 1
  - .args:
      - .offset:         0
        .size:           72
        .value_kind:     by_value
    .group_segment_fixed_size: 0
    .kernarg_segment_align: 8
    .kernarg_segment_size: 72
    .language:       OpenCL C
    .language_version:
      - 2
      - 0
    .max_flat_workgroup_size: 512
    .name:           _ZN7rocprim17ROCPRIM_400000_NS6detail17trampoline_kernelINS0_14default_configENS1_38merge_sort_block_merge_config_selectorImNS0_10empty_typeEEEZZNS1_27merge_sort_block_merge_implIS3_N6thrust23THRUST_200600_302600_NS6detail15normal_iteratorINS9_10device_ptrImEEEEPS5_m11less_div_10ImEEE10hipError_tT0_T1_T2_jT3_P12ihipStream_tbPNSt15iterator_traitsISJ_E10value_typeEPNSP_ISK_E10value_typeEPSL_NS1_7vsmem_tEENKUlT_SJ_SK_SL_E_clIPmSE_SF_SF_EESI_SY_SJ_SK_SL_EUlSY_E0_NS1_11comp_targetILNS1_3genE9ELNS1_11target_archE1100ELNS1_3gpuE3ELNS1_3repE0EEENS1_38merge_mergepath_config_static_selectorELNS0_4arch9wavefront6targetE0EEEvSK_
    .private_segment_fixed_size: 0
    .sgpr_count:     0
    .sgpr_spill_count: 0
    .symbol:         _ZN7rocprim17ROCPRIM_400000_NS6detail17trampoline_kernelINS0_14default_configENS1_38merge_sort_block_merge_config_selectorImNS0_10empty_typeEEEZZNS1_27merge_sort_block_merge_implIS3_N6thrust23THRUST_200600_302600_NS6detail15normal_iteratorINS9_10device_ptrImEEEEPS5_m11less_div_10ImEEE10hipError_tT0_T1_T2_jT3_P12ihipStream_tbPNSt15iterator_traitsISJ_E10value_typeEPNSP_ISK_E10value_typeEPSL_NS1_7vsmem_tEENKUlT_SJ_SK_SL_E_clIPmSE_SF_SF_EESI_SY_SJ_SK_SL_EUlSY_E0_NS1_11comp_targetILNS1_3genE9ELNS1_11target_archE1100ELNS1_3gpuE3ELNS1_3repE0EEENS1_38merge_mergepath_config_static_selectorELNS0_4arch9wavefront6targetE0EEEvSK_.kd
    .uniform_work_group_size: 1
    .uses_dynamic_stack: false
    .vgpr_count:     0
    .vgpr_spill_count: 0
    .wavefront_size: 32
    .workgroup_processor_mode: 1
  - .args:
      - .offset:         0
        .size:           72
        .value_kind:     by_value
      - .offset:         72
        .size:           4
        .value_kind:     hidden_block_count_x
      - .offset:         76
        .size:           4
        .value_kind:     hidden_block_count_y
      - .offset:         80
        .size:           4
        .value_kind:     hidden_block_count_z
      - .offset:         84
        .size:           2
        .value_kind:     hidden_group_size_x
      - .offset:         86
        .size:           2
        .value_kind:     hidden_group_size_y
      - .offset:         88
        .size:           2
        .value_kind:     hidden_group_size_z
      - .offset:         90
        .size:           2
        .value_kind:     hidden_remainder_x
      - .offset:         92
        .size:           2
        .value_kind:     hidden_remainder_y
      - .offset:         94
        .size:           2
        .value_kind:     hidden_remainder_z
      - .offset:         112
        .size:           8
        .value_kind:     hidden_global_offset_x
      - .offset:         120
        .size:           8
        .value_kind:     hidden_global_offset_y
      - .offset:         128
        .size:           8
        .value_kind:     hidden_global_offset_z
      - .offset:         136
        .size:           2
        .value_kind:     hidden_grid_dims
    .group_segment_fixed_size: 8208
    .kernarg_segment_align: 8
    .kernarg_segment_size: 328
    .language:       OpenCL C
    .language_version:
      - 2
      - 0
    .max_flat_workgroup_size: 1024
    .name:           _ZN7rocprim17ROCPRIM_400000_NS6detail17trampoline_kernelINS0_14default_configENS1_38merge_sort_block_merge_config_selectorImNS0_10empty_typeEEEZZNS1_27merge_sort_block_merge_implIS3_N6thrust23THRUST_200600_302600_NS6detail15normal_iteratorINS9_10device_ptrImEEEEPS5_m11less_div_10ImEEE10hipError_tT0_T1_T2_jT3_P12ihipStream_tbPNSt15iterator_traitsISJ_E10value_typeEPNSP_ISK_E10value_typeEPSL_NS1_7vsmem_tEENKUlT_SJ_SK_SL_E_clIPmSE_SF_SF_EESI_SY_SJ_SK_SL_EUlSY_E0_NS1_11comp_targetILNS1_3genE8ELNS1_11target_archE1030ELNS1_3gpuE2ELNS1_3repE0EEENS1_38merge_mergepath_config_static_selectorELNS0_4arch9wavefront6targetE0EEEvSK_
    .private_segment_fixed_size: 0
    .sgpr_count:     25
    .sgpr_spill_count: 0
    .symbol:         _ZN7rocprim17ROCPRIM_400000_NS6detail17trampoline_kernelINS0_14default_configENS1_38merge_sort_block_merge_config_selectorImNS0_10empty_typeEEEZZNS1_27merge_sort_block_merge_implIS3_N6thrust23THRUST_200600_302600_NS6detail15normal_iteratorINS9_10device_ptrImEEEEPS5_m11less_div_10ImEEE10hipError_tT0_T1_T2_jT3_P12ihipStream_tbPNSt15iterator_traitsISJ_E10value_typeEPNSP_ISK_E10value_typeEPSL_NS1_7vsmem_tEENKUlT_SJ_SK_SL_E_clIPmSE_SF_SF_EESI_SY_SJ_SK_SL_EUlSY_E0_NS1_11comp_targetILNS1_3genE8ELNS1_11target_archE1030ELNS1_3gpuE2ELNS1_3repE0EEENS1_38merge_mergepath_config_static_selectorELNS0_4arch9wavefront6targetE0EEEvSK_.kd
    .uniform_work_group_size: 1
    .uses_dynamic_stack: false
    .vgpr_count:     13
    .vgpr_spill_count: 0
    .wavefront_size: 32
    .workgroup_processor_mode: 1
  - .args:
      - .offset:         0
        .size:           56
        .value_kind:     by_value
    .group_segment_fixed_size: 0
    .kernarg_segment_align: 8
    .kernarg_segment_size: 56
    .language:       OpenCL C
    .language_version:
      - 2
      - 0
    .max_flat_workgroup_size: 256
    .name:           _ZN7rocprim17ROCPRIM_400000_NS6detail17trampoline_kernelINS0_14default_configENS1_38merge_sort_block_merge_config_selectorImNS0_10empty_typeEEEZZNS1_27merge_sort_block_merge_implIS3_N6thrust23THRUST_200600_302600_NS6detail15normal_iteratorINS9_10device_ptrImEEEEPS5_m11less_div_10ImEEE10hipError_tT0_T1_T2_jT3_P12ihipStream_tbPNSt15iterator_traitsISJ_E10value_typeEPNSP_ISK_E10value_typeEPSL_NS1_7vsmem_tEENKUlT_SJ_SK_SL_E_clIPmSE_SF_SF_EESI_SY_SJ_SK_SL_EUlSY_E1_NS1_11comp_targetILNS1_3genE0ELNS1_11target_archE4294967295ELNS1_3gpuE0ELNS1_3repE0EEENS1_36merge_oddeven_config_static_selectorELNS0_4arch9wavefront6targetE0EEEvSK_
    .private_segment_fixed_size: 0
    .sgpr_count:     0
    .sgpr_spill_count: 0
    .symbol:         _ZN7rocprim17ROCPRIM_400000_NS6detail17trampoline_kernelINS0_14default_configENS1_38merge_sort_block_merge_config_selectorImNS0_10empty_typeEEEZZNS1_27merge_sort_block_merge_implIS3_N6thrust23THRUST_200600_302600_NS6detail15normal_iteratorINS9_10device_ptrImEEEEPS5_m11less_div_10ImEEE10hipError_tT0_T1_T2_jT3_P12ihipStream_tbPNSt15iterator_traitsISJ_E10value_typeEPNSP_ISK_E10value_typeEPSL_NS1_7vsmem_tEENKUlT_SJ_SK_SL_E_clIPmSE_SF_SF_EESI_SY_SJ_SK_SL_EUlSY_E1_NS1_11comp_targetILNS1_3genE0ELNS1_11target_archE4294967295ELNS1_3gpuE0ELNS1_3repE0EEENS1_36merge_oddeven_config_static_selectorELNS0_4arch9wavefront6targetE0EEEvSK_.kd
    .uniform_work_group_size: 1
    .uses_dynamic_stack: false
    .vgpr_count:     0
    .vgpr_spill_count: 0
    .wavefront_size: 32
    .workgroup_processor_mode: 1
  - .args:
      - .offset:         0
        .size:           56
        .value_kind:     by_value
    .group_segment_fixed_size: 0
    .kernarg_segment_align: 8
    .kernarg_segment_size: 56
    .language:       OpenCL C
    .language_version:
      - 2
      - 0
    .max_flat_workgroup_size: 256
    .name:           _ZN7rocprim17ROCPRIM_400000_NS6detail17trampoline_kernelINS0_14default_configENS1_38merge_sort_block_merge_config_selectorImNS0_10empty_typeEEEZZNS1_27merge_sort_block_merge_implIS3_N6thrust23THRUST_200600_302600_NS6detail15normal_iteratorINS9_10device_ptrImEEEEPS5_m11less_div_10ImEEE10hipError_tT0_T1_T2_jT3_P12ihipStream_tbPNSt15iterator_traitsISJ_E10value_typeEPNSP_ISK_E10value_typeEPSL_NS1_7vsmem_tEENKUlT_SJ_SK_SL_E_clIPmSE_SF_SF_EESI_SY_SJ_SK_SL_EUlSY_E1_NS1_11comp_targetILNS1_3genE10ELNS1_11target_archE1201ELNS1_3gpuE5ELNS1_3repE0EEENS1_36merge_oddeven_config_static_selectorELNS0_4arch9wavefront6targetE0EEEvSK_
    .private_segment_fixed_size: 0
    .sgpr_count:     0
    .sgpr_spill_count: 0
    .symbol:         _ZN7rocprim17ROCPRIM_400000_NS6detail17trampoline_kernelINS0_14default_configENS1_38merge_sort_block_merge_config_selectorImNS0_10empty_typeEEEZZNS1_27merge_sort_block_merge_implIS3_N6thrust23THRUST_200600_302600_NS6detail15normal_iteratorINS9_10device_ptrImEEEEPS5_m11less_div_10ImEEE10hipError_tT0_T1_T2_jT3_P12ihipStream_tbPNSt15iterator_traitsISJ_E10value_typeEPNSP_ISK_E10value_typeEPSL_NS1_7vsmem_tEENKUlT_SJ_SK_SL_E_clIPmSE_SF_SF_EESI_SY_SJ_SK_SL_EUlSY_E1_NS1_11comp_targetILNS1_3genE10ELNS1_11target_archE1201ELNS1_3gpuE5ELNS1_3repE0EEENS1_36merge_oddeven_config_static_selectorELNS0_4arch9wavefront6targetE0EEEvSK_.kd
    .uniform_work_group_size: 1
    .uses_dynamic_stack: false
    .vgpr_count:     0
    .vgpr_spill_count: 0
    .wavefront_size: 32
    .workgroup_processor_mode: 1
  - .args:
      - .offset:         0
        .size:           56
        .value_kind:     by_value
    .group_segment_fixed_size: 0
    .kernarg_segment_align: 8
    .kernarg_segment_size: 56
    .language:       OpenCL C
    .language_version:
      - 2
      - 0
    .max_flat_workgroup_size: 256
    .name:           _ZN7rocprim17ROCPRIM_400000_NS6detail17trampoline_kernelINS0_14default_configENS1_38merge_sort_block_merge_config_selectorImNS0_10empty_typeEEEZZNS1_27merge_sort_block_merge_implIS3_N6thrust23THRUST_200600_302600_NS6detail15normal_iteratorINS9_10device_ptrImEEEEPS5_m11less_div_10ImEEE10hipError_tT0_T1_T2_jT3_P12ihipStream_tbPNSt15iterator_traitsISJ_E10value_typeEPNSP_ISK_E10value_typeEPSL_NS1_7vsmem_tEENKUlT_SJ_SK_SL_E_clIPmSE_SF_SF_EESI_SY_SJ_SK_SL_EUlSY_E1_NS1_11comp_targetILNS1_3genE5ELNS1_11target_archE942ELNS1_3gpuE9ELNS1_3repE0EEENS1_36merge_oddeven_config_static_selectorELNS0_4arch9wavefront6targetE0EEEvSK_
    .private_segment_fixed_size: 0
    .sgpr_count:     0
    .sgpr_spill_count: 0
    .symbol:         _ZN7rocprim17ROCPRIM_400000_NS6detail17trampoline_kernelINS0_14default_configENS1_38merge_sort_block_merge_config_selectorImNS0_10empty_typeEEEZZNS1_27merge_sort_block_merge_implIS3_N6thrust23THRUST_200600_302600_NS6detail15normal_iteratorINS9_10device_ptrImEEEEPS5_m11less_div_10ImEEE10hipError_tT0_T1_T2_jT3_P12ihipStream_tbPNSt15iterator_traitsISJ_E10value_typeEPNSP_ISK_E10value_typeEPSL_NS1_7vsmem_tEENKUlT_SJ_SK_SL_E_clIPmSE_SF_SF_EESI_SY_SJ_SK_SL_EUlSY_E1_NS1_11comp_targetILNS1_3genE5ELNS1_11target_archE942ELNS1_3gpuE9ELNS1_3repE0EEENS1_36merge_oddeven_config_static_selectorELNS0_4arch9wavefront6targetE0EEEvSK_.kd
    .uniform_work_group_size: 1
    .uses_dynamic_stack: false
    .vgpr_count:     0
    .vgpr_spill_count: 0
    .wavefront_size: 32
    .workgroup_processor_mode: 1
  - .args:
      - .offset:         0
        .size:           56
        .value_kind:     by_value
    .group_segment_fixed_size: 0
    .kernarg_segment_align: 8
    .kernarg_segment_size: 56
    .language:       OpenCL C
    .language_version:
      - 2
      - 0
    .max_flat_workgroup_size: 256
    .name:           _ZN7rocprim17ROCPRIM_400000_NS6detail17trampoline_kernelINS0_14default_configENS1_38merge_sort_block_merge_config_selectorImNS0_10empty_typeEEEZZNS1_27merge_sort_block_merge_implIS3_N6thrust23THRUST_200600_302600_NS6detail15normal_iteratorINS9_10device_ptrImEEEEPS5_m11less_div_10ImEEE10hipError_tT0_T1_T2_jT3_P12ihipStream_tbPNSt15iterator_traitsISJ_E10value_typeEPNSP_ISK_E10value_typeEPSL_NS1_7vsmem_tEENKUlT_SJ_SK_SL_E_clIPmSE_SF_SF_EESI_SY_SJ_SK_SL_EUlSY_E1_NS1_11comp_targetILNS1_3genE4ELNS1_11target_archE910ELNS1_3gpuE8ELNS1_3repE0EEENS1_36merge_oddeven_config_static_selectorELNS0_4arch9wavefront6targetE0EEEvSK_
    .private_segment_fixed_size: 0
    .sgpr_count:     0
    .sgpr_spill_count: 0
    .symbol:         _ZN7rocprim17ROCPRIM_400000_NS6detail17trampoline_kernelINS0_14default_configENS1_38merge_sort_block_merge_config_selectorImNS0_10empty_typeEEEZZNS1_27merge_sort_block_merge_implIS3_N6thrust23THRUST_200600_302600_NS6detail15normal_iteratorINS9_10device_ptrImEEEEPS5_m11less_div_10ImEEE10hipError_tT0_T1_T2_jT3_P12ihipStream_tbPNSt15iterator_traitsISJ_E10value_typeEPNSP_ISK_E10value_typeEPSL_NS1_7vsmem_tEENKUlT_SJ_SK_SL_E_clIPmSE_SF_SF_EESI_SY_SJ_SK_SL_EUlSY_E1_NS1_11comp_targetILNS1_3genE4ELNS1_11target_archE910ELNS1_3gpuE8ELNS1_3repE0EEENS1_36merge_oddeven_config_static_selectorELNS0_4arch9wavefront6targetE0EEEvSK_.kd
    .uniform_work_group_size: 1
    .uses_dynamic_stack: false
    .vgpr_count:     0
    .vgpr_spill_count: 0
    .wavefront_size: 32
    .workgroup_processor_mode: 1
  - .args:
      - .offset:         0
        .size:           56
        .value_kind:     by_value
    .group_segment_fixed_size: 0
    .kernarg_segment_align: 8
    .kernarg_segment_size: 56
    .language:       OpenCL C
    .language_version:
      - 2
      - 0
    .max_flat_workgroup_size: 256
    .name:           _ZN7rocprim17ROCPRIM_400000_NS6detail17trampoline_kernelINS0_14default_configENS1_38merge_sort_block_merge_config_selectorImNS0_10empty_typeEEEZZNS1_27merge_sort_block_merge_implIS3_N6thrust23THRUST_200600_302600_NS6detail15normal_iteratorINS9_10device_ptrImEEEEPS5_m11less_div_10ImEEE10hipError_tT0_T1_T2_jT3_P12ihipStream_tbPNSt15iterator_traitsISJ_E10value_typeEPNSP_ISK_E10value_typeEPSL_NS1_7vsmem_tEENKUlT_SJ_SK_SL_E_clIPmSE_SF_SF_EESI_SY_SJ_SK_SL_EUlSY_E1_NS1_11comp_targetILNS1_3genE3ELNS1_11target_archE908ELNS1_3gpuE7ELNS1_3repE0EEENS1_36merge_oddeven_config_static_selectorELNS0_4arch9wavefront6targetE0EEEvSK_
    .private_segment_fixed_size: 0
    .sgpr_count:     0
    .sgpr_spill_count: 0
    .symbol:         _ZN7rocprim17ROCPRIM_400000_NS6detail17trampoline_kernelINS0_14default_configENS1_38merge_sort_block_merge_config_selectorImNS0_10empty_typeEEEZZNS1_27merge_sort_block_merge_implIS3_N6thrust23THRUST_200600_302600_NS6detail15normal_iteratorINS9_10device_ptrImEEEEPS5_m11less_div_10ImEEE10hipError_tT0_T1_T2_jT3_P12ihipStream_tbPNSt15iterator_traitsISJ_E10value_typeEPNSP_ISK_E10value_typeEPSL_NS1_7vsmem_tEENKUlT_SJ_SK_SL_E_clIPmSE_SF_SF_EESI_SY_SJ_SK_SL_EUlSY_E1_NS1_11comp_targetILNS1_3genE3ELNS1_11target_archE908ELNS1_3gpuE7ELNS1_3repE0EEENS1_36merge_oddeven_config_static_selectorELNS0_4arch9wavefront6targetE0EEEvSK_.kd
    .uniform_work_group_size: 1
    .uses_dynamic_stack: false
    .vgpr_count:     0
    .vgpr_spill_count: 0
    .wavefront_size: 32
    .workgroup_processor_mode: 1
  - .args:
      - .offset:         0
        .size:           56
        .value_kind:     by_value
    .group_segment_fixed_size: 0
    .kernarg_segment_align: 8
    .kernarg_segment_size: 56
    .language:       OpenCL C
    .language_version:
      - 2
      - 0
    .max_flat_workgroup_size: 256
    .name:           _ZN7rocprim17ROCPRIM_400000_NS6detail17trampoline_kernelINS0_14default_configENS1_38merge_sort_block_merge_config_selectorImNS0_10empty_typeEEEZZNS1_27merge_sort_block_merge_implIS3_N6thrust23THRUST_200600_302600_NS6detail15normal_iteratorINS9_10device_ptrImEEEEPS5_m11less_div_10ImEEE10hipError_tT0_T1_T2_jT3_P12ihipStream_tbPNSt15iterator_traitsISJ_E10value_typeEPNSP_ISK_E10value_typeEPSL_NS1_7vsmem_tEENKUlT_SJ_SK_SL_E_clIPmSE_SF_SF_EESI_SY_SJ_SK_SL_EUlSY_E1_NS1_11comp_targetILNS1_3genE2ELNS1_11target_archE906ELNS1_3gpuE6ELNS1_3repE0EEENS1_36merge_oddeven_config_static_selectorELNS0_4arch9wavefront6targetE0EEEvSK_
    .private_segment_fixed_size: 0
    .sgpr_count:     0
    .sgpr_spill_count: 0
    .symbol:         _ZN7rocprim17ROCPRIM_400000_NS6detail17trampoline_kernelINS0_14default_configENS1_38merge_sort_block_merge_config_selectorImNS0_10empty_typeEEEZZNS1_27merge_sort_block_merge_implIS3_N6thrust23THRUST_200600_302600_NS6detail15normal_iteratorINS9_10device_ptrImEEEEPS5_m11less_div_10ImEEE10hipError_tT0_T1_T2_jT3_P12ihipStream_tbPNSt15iterator_traitsISJ_E10value_typeEPNSP_ISK_E10value_typeEPSL_NS1_7vsmem_tEENKUlT_SJ_SK_SL_E_clIPmSE_SF_SF_EESI_SY_SJ_SK_SL_EUlSY_E1_NS1_11comp_targetILNS1_3genE2ELNS1_11target_archE906ELNS1_3gpuE6ELNS1_3repE0EEENS1_36merge_oddeven_config_static_selectorELNS0_4arch9wavefront6targetE0EEEvSK_.kd
    .uniform_work_group_size: 1
    .uses_dynamic_stack: false
    .vgpr_count:     0
    .vgpr_spill_count: 0
    .wavefront_size: 32
    .workgroup_processor_mode: 1
  - .args:
      - .offset:         0
        .size:           56
        .value_kind:     by_value
    .group_segment_fixed_size: 0
    .kernarg_segment_align: 8
    .kernarg_segment_size: 56
    .language:       OpenCL C
    .language_version:
      - 2
      - 0
    .max_flat_workgroup_size: 256
    .name:           _ZN7rocprim17ROCPRIM_400000_NS6detail17trampoline_kernelINS0_14default_configENS1_38merge_sort_block_merge_config_selectorImNS0_10empty_typeEEEZZNS1_27merge_sort_block_merge_implIS3_N6thrust23THRUST_200600_302600_NS6detail15normal_iteratorINS9_10device_ptrImEEEEPS5_m11less_div_10ImEEE10hipError_tT0_T1_T2_jT3_P12ihipStream_tbPNSt15iterator_traitsISJ_E10value_typeEPNSP_ISK_E10value_typeEPSL_NS1_7vsmem_tEENKUlT_SJ_SK_SL_E_clIPmSE_SF_SF_EESI_SY_SJ_SK_SL_EUlSY_E1_NS1_11comp_targetILNS1_3genE9ELNS1_11target_archE1100ELNS1_3gpuE3ELNS1_3repE0EEENS1_36merge_oddeven_config_static_selectorELNS0_4arch9wavefront6targetE0EEEvSK_
    .private_segment_fixed_size: 0
    .sgpr_count:     0
    .sgpr_spill_count: 0
    .symbol:         _ZN7rocprim17ROCPRIM_400000_NS6detail17trampoline_kernelINS0_14default_configENS1_38merge_sort_block_merge_config_selectorImNS0_10empty_typeEEEZZNS1_27merge_sort_block_merge_implIS3_N6thrust23THRUST_200600_302600_NS6detail15normal_iteratorINS9_10device_ptrImEEEEPS5_m11less_div_10ImEEE10hipError_tT0_T1_T2_jT3_P12ihipStream_tbPNSt15iterator_traitsISJ_E10value_typeEPNSP_ISK_E10value_typeEPSL_NS1_7vsmem_tEENKUlT_SJ_SK_SL_E_clIPmSE_SF_SF_EESI_SY_SJ_SK_SL_EUlSY_E1_NS1_11comp_targetILNS1_3genE9ELNS1_11target_archE1100ELNS1_3gpuE3ELNS1_3repE0EEENS1_36merge_oddeven_config_static_selectorELNS0_4arch9wavefront6targetE0EEEvSK_.kd
    .uniform_work_group_size: 1
    .uses_dynamic_stack: false
    .vgpr_count:     0
    .vgpr_spill_count: 0
    .wavefront_size: 32
    .workgroup_processor_mode: 1
  - .args:
      - .offset:         0
        .size:           56
        .value_kind:     by_value
    .group_segment_fixed_size: 0
    .kernarg_segment_align: 8
    .kernarg_segment_size: 56
    .language:       OpenCL C
    .language_version:
      - 2
      - 0
    .max_flat_workgroup_size: 256
    .name:           _ZN7rocprim17ROCPRIM_400000_NS6detail17trampoline_kernelINS0_14default_configENS1_38merge_sort_block_merge_config_selectorImNS0_10empty_typeEEEZZNS1_27merge_sort_block_merge_implIS3_N6thrust23THRUST_200600_302600_NS6detail15normal_iteratorINS9_10device_ptrImEEEEPS5_m11less_div_10ImEEE10hipError_tT0_T1_T2_jT3_P12ihipStream_tbPNSt15iterator_traitsISJ_E10value_typeEPNSP_ISK_E10value_typeEPSL_NS1_7vsmem_tEENKUlT_SJ_SK_SL_E_clIPmSE_SF_SF_EESI_SY_SJ_SK_SL_EUlSY_E1_NS1_11comp_targetILNS1_3genE8ELNS1_11target_archE1030ELNS1_3gpuE2ELNS1_3repE0EEENS1_36merge_oddeven_config_static_selectorELNS0_4arch9wavefront6targetE0EEEvSK_
    .private_segment_fixed_size: 0
    .sgpr_count:     18
    .sgpr_spill_count: 0
    .symbol:         _ZN7rocprim17ROCPRIM_400000_NS6detail17trampoline_kernelINS0_14default_configENS1_38merge_sort_block_merge_config_selectorImNS0_10empty_typeEEEZZNS1_27merge_sort_block_merge_implIS3_N6thrust23THRUST_200600_302600_NS6detail15normal_iteratorINS9_10device_ptrImEEEEPS5_m11less_div_10ImEEE10hipError_tT0_T1_T2_jT3_P12ihipStream_tbPNSt15iterator_traitsISJ_E10value_typeEPNSP_ISK_E10value_typeEPSL_NS1_7vsmem_tEENKUlT_SJ_SK_SL_E_clIPmSE_SF_SF_EESI_SY_SJ_SK_SL_EUlSY_E1_NS1_11comp_targetILNS1_3genE8ELNS1_11target_archE1030ELNS1_3gpuE2ELNS1_3repE0EEENS1_36merge_oddeven_config_static_selectorELNS0_4arch9wavefront6targetE0EEEvSK_.kd
    .uniform_work_group_size: 1
    .uses_dynamic_stack: false
    .vgpr_count:     10
    .vgpr_spill_count: 0
    .wavefront_size: 32
    .workgroup_processor_mode: 1
  - .args:
      - .offset:         0
        .size:           48
        .value_kind:     by_value
    .group_segment_fixed_size: 0
    .kernarg_segment_align: 8
    .kernarg_segment_size: 48
    .language:       OpenCL C
    .language_version:
      - 2
      - 0
    .max_flat_workgroup_size: 128
    .name:           _ZN7rocprim17ROCPRIM_400000_NS6detail17trampoline_kernelINS0_14default_configENS1_38merge_sort_block_merge_config_selectorImNS0_10empty_typeEEEZZNS1_27merge_sort_block_merge_implIS3_N6thrust23THRUST_200600_302600_NS6detail15normal_iteratorINS9_10device_ptrImEEEEPS5_m11less_div_10ImEEE10hipError_tT0_T1_T2_jT3_P12ihipStream_tbPNSt15iterator_traitsISJ_E10value_typeEPNSP_ISK_E10value_typeEPSL_NS1_7vsmem_tEENKUlT_SJ_SK_SL_E_clISE_PmSF_SF_EESI_SY_SJ_SK_SL_EUlSY_E_NS1_11comp_targetILNS1_3genE0ELNS1_11target_archE4294967295ELNS1_3gpuE0ELNS1_3repE0EEENS1_48merge_mergepath_partition_config_static_selectorELNS0_4arch9wavefront6targetE0EEEvSK_
    .private_segment_fixed_size: 0
    .sgpr_count:     0
    .sgpr_spill_count: 0
    .symbol:         _ZN7rocprim17ROCPRIM_400000_NS6detail17trampoline_kernelINS0_14default_configENS1_38merge_sort_block_merge_config_selectorImNS0_10empty_typeEEEZZNS1_27merge_sort_block_merge_implIS3_N6thrust23THRUST_200600_302600_NS6detail15normal_iteratorINS9_10device_ptrImEEEEPS5_m11less_div_10ImEEE10hipError_tT0_T1_T2_jT3_P12ihipStream_tbPNSt15iterator_traitsISJ_E10value_typeEPNSP_ISK_E10value_typeEPSL_NS1_7vsmem_tEENKUlT_SJ_SK_SL_E_clISE_PmSF_SF_EESI_SY_SJ_SK_SL_EUlSY_E_NS1_11comp_targetILNS1_3genE0ELNS1_11target_archE4294967295ELNS1_3gpuE0ELNS1_3repE0EEENS1_48merge_mergepath_partition_config_static_selectorELNS0_4arch9wavefront6targetE0EEEvSK_.kd
    .uniform_work_group_size: 1
    .uses_dynamic_stack: false
    .vgpr_count:     0
    .vgpr_spill_count: 0
    .wavefront_size: 32
    .workgroup_processor_mode: 1
  - .args:
      - .offset:         0
        .size:           48
        .value_kind:     by_value
    .group_segment_fixed_size: 0
    .kernarg_segment_align: 8
    .kernarg_segment_size: 48
    .language:       OpenCL C
    .language_version:
      - 2
      - 0
    .max_flat_workgroup_size: 128
    .name:           _ZN7rocprim17ROCPRIM_400000_NS6detail17trampoline_kernelINS0_14default_configENS1_38merge_sort_block_merge_config_selectorImNS0_10empty_typeEEEZZNS1_27merge_sort_block_merge_implIS3_N6thrust23THRUST_200600_302600_NS6detail15normal_iteratorINS9_10device_ptrImEEEEPS5_m11less_div_10ImEEE10hipError_tT0_T1_T2_jT3_P12ihipStream_tbPNSt15iterator_traitsISJ_E10value_typeEPNSP_ISK_E10value_typeEPSL_NS1_7vsmem_tEENKUlT_SJ_SK_SL_E_clISE_PmSF_SF_EESI_SY_SJ_SK_SL_EUlSY_E_NS1_11comp_targetILNS1_3genE10ELNS1_11target_archE1201ELNS1_3gpuE5ELNS1_3repE0EEENS1_48merge_mergepath_partition_config_static_selectorELNS0_4arch9wavefront6targetE0EEEvSK_
    .private_segment_fixed_size: 0
    .sgpr_count:     0
    .sgpr_spill_count: 0
    .symbol:         _ZN7rocprim17ROCPRIM_400000_NS6detail17trampoline_kernelINS0_14default_configENS1_38merge_sort_block_merge_config_selectorImNS0_10empty_typeEEEZZNS1_27merge_sort_block_merge_implIS3_N6thrust23THRUST_200600_302600_NS6detail15normal_iteratorINS9_10device_ptrImEEEEPS5_m11less_div_10ImEEE10hipError_tT0_T1_T2_jT3_P12ihipStream_tbPNSt15iterator_traitsISJ_E10value_typeEPNSP_ISK_E10value_typeEPSL_NS1_7vsmem_tEENKUlT_SJ_SK_SL_E_clISE_PmSF_SF_EESI_SY_SJ_SK_SL_EUlSY_E_NS1_11comp_targetILNS1_3genE10ELNS1_11target_archE1201ELNS1_3gpuE5ELNS1_3repE0EEENS1_48merge_mergepath_partition_config_static_selectorELNS0_4arch9wavefront6targetE0EEEvSK_.kd
    .uniform_work_group_size: 1
    .uses_dynamic_stack: false
    .vgpr_count:     0
    .vgpr_spill_count: 0
    .wavefront_size: 32
    .workgroup_processor_mode: 1
  - .args:
      - .offset:         0
        .size:           48
        .value_kind:     by_value
    .group_segment_fixed_size: 0
    .kernarg_segment_align: 8
    .kernarg_segment_size: 48
    .language:       OpenCL C
    .language_version:
      - 2
      - 0
    .max_flat_workgroup_size: 128
    .name:           _ZN7rocprim17ROCPRIM_400000_NS6detail17trampoline_kernelINS0_14default_configENS1_38merge_sort_block_merge_config_selectorImNS0_10empty_typeEEEZZNS1_27merge_sort_block_merge_implIS3_N6thrust23THRUST_200600_302600_NS6detail15normal_iteratorINS9_10device_ptrImEEEEPS5_m11less_div_10ImEEE10hipError_tT0_T1_T2_jT3_P12ihipStream_tbPNSt15iterator_traitsISJ_E10value_typeEPNSP_ISK_E10value_typeEPSL_NS1_7vsmem_tEENKUlT_SJ_SK_SL_E_clISE_PmSF_SF_EESI_SY_SJ_SK_SL_EUlSY_E_NS1_11comp_targetILNS1_3genE5ELNS1_11target_archE942ELNS1_3gpuE9ELNS1_3repE0EEENS1_48merge_mergepath_partition_config_static_selectorELNS0_4arch9wavefront6targetE0EEEvSK_
    .private_segment_fixed_size: 0
    .sgpr_count:     0
    .sgpr_spill_count: 0
    .symbol:         _ZN7rocprim17ROCPRIM_400000_NS6detail17trampoline_kernelINS0_14default_configENS1_38merge_sort_block_merge_config_selectorImNS0_10empty_typeEEEZZNS1_27merge_sort_block_merge_implIS3_N6thrust23THRUST_200600_302600_NS6detail15normal_iteratorINS9_10device_ptrImEEEEPS5_m11less_div_10ImEEE10hipError_tT0_T1_T2_jT3_P12ihipStream_tbPNSt15iterator_traitsISJ_E10value_typeEPNSP_ISK_E10value_typeEPSL_NS1_7vsmem_tEENKUlT_SJ_SK_SL_E_clISE_PmSF_SF_EESI_SY_SJ_SK_SL_EUlSY_E_NS1_11comp_targetILNS1_3genE5ELNS1_11target_archE942ELNS1_3gpuE9ELNS1_3repE0EEENS1_48merge_mergepath_partition_config_static_selectorELNS0_4arch9wavefront6targetE0EEEvSK_.kd
    .uniform_work_group_size: 1
    .uses_dynamic_stack: false
    .vgpr_count:     0
    .vgpr_spill_count: 0
    .wavefront_size: 32
    .workgroup_processor_mode: 1
  - .args:
      - .offset:         0
        .size:           48
        .value_kind:     by_value
    .group_segment_fixed_size: 0
    .kernarg_segment_align: 8
    .kernarg_segment_size: 48
    .language:       OpenCL C
    .language_version:
      - 2
      - 0
    .max_flat_workgroup_size: 128
    .name:           _ZN7rocprim17ROCPRIM_400000_NS6detail17trampoline_kernelINS0_14default_configENS1_38merge_sort_block_merge_config_selectorImNS0_10empty_typeEEEZZNS1_27merge_sort_block_merge_implIS3_N6thrust23THRUST_200600_302600_NS6detail15normal_iteratorINS9_10device_ptrImEEEEPS5_m11less_div_10ImEEE10hipError_tT0_T1_T2_jT3_P12ihipStream_tbPNSt15iterator_traitsISJ_E10value_typeEPNSP_ISK_E10value_typeEPSL_NS1_7vsmem_tEENKUlT_SJ_SK_SL_E_clISE_PmSF_SF_EESI_SY_SJ_SK_SL_EUlSY_E_NS1_11comp_targetILNS1_3genE4ELNS1_11target_archE910ELNS1_3gpuE8ELNS1_3repE0EEENS1_48merge_mergepath_partition_config_static_selectorELNS0_4arch9wavefront6targetE0EEEvSK_
    .private_segment_fixed_size: 0
    .sgpr_count:     0
    .sgpr_spill_count: 0
    .symbol:         _ZN7rocprim17ROCPRIM_400000_NS6detail17trampoline_kernelINS0_14default_configENS1_38merge_sort_block_merge_config_selectorImNS0_10empty_typeEEEZZNS1_27merge_sort_block_merge_implIS3_N6thrust23THRUST_200600_302600_NS6detail15normal_iteratorINS9_10device_ptrImEEEEPS5_m11less_div_10ImEEE10hipError_tT0_T1_T2_jT3_P12ihipStream_tbPNSt15iterator_traitsISJ_E10value_typeEPNSP_ISK_E10value_typeEPSL_NS1_7vsmem_tEENKUlT_SJ_SK_SL_E_clISE_PmSF_SF_EESI_SY_SJ_SK_SL_EUlSY_E_NS1_11comp_targetILNS1_3genE4ELNS1_11target_archE910ELNS1_3gpuE8ELNS1_3repE0EEENS1_48merge_mergepath_partition_config_static_selectorELNS0_4arch9wavefront6targetE0EEEvSK_.kd
    .uniform_work_group_size: 1
    .uses_dynamic_stack: false
    .vgpr_count:     0
    .vgpr_spill_count: 0
    .wavefront_size: 32
    .workgroup_processor_mode: 1
  - .args:
      - .offset:         0
        .size:           48
        .value_kind:     by_value
    .group_segment_fixed_size: 0
    .kernarg_segment_align: 8
    .kernarg_segment_size: 48
    .language:       OpenCL C
    .language_version:
      - 2
      - 0
    .max_flat_workgroup_size: 128
    .name:           _ZN7rocprim17ROCPRIM_400000_NS6detail17trampoline_kernelINS0_14default_configENS1_38merge_sort_block_merge_config_selectorImNS0_10empty_typeEEEZZNS1_27merge_sort_block_merge_implIS3_N6thrust23THRUST_200600_302600_NS6detail15normal_iteratorINS9_10device_ptrImEEEEPS5_m11less_div_10ImEEE10hipError_tT0_T1_T2_jT3_P12ihipStream_tbPNSt15iterator_traitsISJ_E10value_typeEPNSP_ISK_E10value_typeEPSL_NS1_7vsmem_tEENKUlT_SJ_SK_SL_E_clISE_PmSF_SF_EESI_SY_SJ_SK_SL_EUlSY_E_NS1_11comp_targetILNS1_3genE3ELNS1_11target_archE908ELNS1_3gpuE7ELNS1_3repE0EEENS1_48merge_mergepath_partition_config_static_selectorELNS0_4arch9wavefront6targetE0EEEvSK_
    .private_segment_fixed_size: 0
    .sgpr_count:     0
    .sgpr_spill_count: 0
    .symbol:         _ZN7rocprim17ROCPRIM_400000_NS6detail17trampoline_kernelINS0_14default_configENS1_38merge_sort_block_merge_config_selectorImNS0_10empty_typeEEEZZNS1_27merge_sort_block_merge_implIS3_N6thrust23THRUST_200600_302600_NS6detail15normal_iteratorINS9_10device_ptrImEEEEPS5_m11less_div_10ImEEE10hipError_tT0_T1_T2_jT3_P12ihipStream_tbPNSt15iterator_traitsISJ_E10value_typeEPNSP_ISK_E10value_typeEPSL_NS1_7vsmem_tEENKUlT_SJ_SK_SL_E_clISE_PmSF_SF_EESI_SY_SJ_SK_SL_EUlSY_E_NS1_11comp_targetILNS1_3genE3ELNS1_11target_archE908ELNS1_3gpuE7ELNS1_3repE0EEENS1_48merge_mergepath_partition_config_static_selectorELNS0_4arch9wavefront6targetE0EEEvSK_.kd
    .uniform_work_group_size: 1
    .uses_dynamic_stack: false
    .vgpr_count:     0
    .vgpr_spill_count: 0
    .wavefront_size: 32
    .workgroup_processor_mode: 1
  - .args:
      - .offset:         0
        .size:           48
        .value_kind:     by_value
    .group_segment_fixed_size: 0
    .kernarg_segment_align: 8
    .kernarg_segment_size: 48
    .language:       OpenCL C
    .language_version:
      - 2
      - 0
    .max_flat_workgroup_size: 128
    .name:           _ZN7rocprim17ROCPRIM_400000_NS6detail17trampoline_kernelINS0_14default_configENS1_38merge_sort_block_merge_config_selectorImNS0_10empty_typeEEEZZNS1_27merge_sort_block_merge_implIS3_N6thrust23THRUST_200600_302600_NS6detail15normal_iteratorINS9_10device_ptrImEEEEPS5_m11less_div_10ImEEE10hipError_tT0_T1_T2_jT3_P12ihipStream_tbPNSt15iterator_traitsISJ_E10value_typeEPNSP_ISK_E10value_typeEPSL_NS1_7vsmem_tEENKUlT_SJ_SK_SL_E_clISE_PmSF_SF_EESI_SY_SJ_SK_SL_EUlSY_E_NS1_11comp_targetILNS1_3genE2ELNS1_11target_archE906ELNS1_3gpuE6ELNS1_3repE0EEENS1_48merge_mergepath_partition_config_static_selectorELNS0_4arch9wavefront6targetE0EEEvSK_
    .private_segment_fixed_size: 0
    .sgpr_count:     0
    .sgpr_spill_count: 0
    .symbol:         _ZN7rocprim17ROCPRIM_400000_NS6detail17trampoline_kernelINS0_14default_configENS1_38merge_sort_block_merge_config_selectorImNS0_10empty_typeEEEZZNS1_27merge_sort_block_merge_implIS3_N6thrust23THRUST_200600_302600_NS6detail15normal_iteratorINS9_10device_ptrImEEEEPS5_m11less_div_10ImEEE10hipError_tT0_T1_T2_jT3_P12ihipStream_tbPNSt15iterator_traitsISJ_E10value_typeEPNSP_ISK_E10value_typeEPSL_NS1_7vsmem_tEENKUlT_SJ_SK_SL_E_clISE_PmSF_SF_EESI_SY_SJ_SK_SL_EUlSY_E_NS1_11comp_targetILNS1_3genE2ELNS1_11target_archE906ELNS1_3gpuE6ELNS1_3repE0EEENS1_48merge_mergepath_partition_config_static_selectorELNS0_4arch9wavefront6targetE0EEEvSK_.kd
    .uniform_work_group_size: 1
    .uses_dynamic_stack: false
    .vgpr_count:     0
    .vgpr_spill_count: 0
    .wavefront_size: 32
    .workgroup_processor_mode: 1
  - .args:
      - .offset:         0
        .size:           48
        .value_kind:     by_value
    .group_segment_fixed_size: 0
    .kernarg_segment_align: 8
    .kernarg_segment_size: 48
    .language:       OpenCL C
    .language_version:
      - 2
      - 0
    .max_flat_workgroup_size: 128
    .name:           _ZN7rocprim17ROCPRIM_400000_NS6detail17trampoline_kernelINS0_14default_configENS1_38merge_sort_block_merge_config_selectorImNS0_10empty_typeEEEZZNS1_27merge_sort_block_merge_implIS3_N6thrust23THRUST_200600_302600_NS6detail15normal_iteratorINS9_10device_ptrImEEEEPS5_m11less_div_10ImEEE10hipError_tT0_T1_T2_jT3_P12ihipStream_tbPNSt15iterator_traitsISJ_E10value_typeEPNSP_ISK_E10value_typeEPSL_NS1_7vsmem_tEENKUlT_SJ_SK_SL_E_clISE_PmSF_SF_EESI_SY_SJ_SK_SL_EUlSY_E_NS1_11comp_targetILNS1_3genE9ELNS1_11target_archE1100ELNS1_3gpuE3ELNS1_3repE0EEENS1_48merge_mergepath_partition_config_static_selectorELNS0_4arch9wavefront6targetE0EEEvSK_
    .private_segment_fixed_size: 0
    .sgpr_count:     0
    .sgpr_spill_count: 0
    .symbol:         _ZN7rocprim17ROCPRIM_400000_NS6detail17trampoline_kernelINS0_14default_configENS1_38merge_sort_block_merge_config_selectorImNS0_10empty_typeEEEZZNS1_27merge_sort_block_merge_implIS3_N6thrust23THRUST_200600_302600_NS6detail15normal_iteratorINS9_10device_ptrImEEEEPS5_m11less_div_10ImEEE10hipError_tT0_T1_T2_jT3_P12ihipStream_tbPNSt15iterator_traitsISJ_E10value_typeEPNSP_ISK_E10value_typeEPSL_NS1_7vsmem_tEENKUlT_SJ_SK_SL_E_clISE_PmSF_SF_EESI_SY_SJ_SK_SL_EUlSY_E_NS1_11comp_targetILNS1_3genE9ELNS1_11target_archE1100ELNS1_3gpuE3ELNS1_3repE0EEENS1_48merge_mergepath_partition_config_static_selectorELNS0_4arch9wavefront6targetE0EEEvSK_.kd
    .uniform_work_group_size: 1
    .uses_dynamic_stack: false
    .vgpr_count:     0
    .vgpr_spill_count: 0
    .wavefront_size: 32
    .workgroup_processor_mode: 1
  - .args:
      - .offset:         0
        .size:           48
        .value_kind:     by_value
    .group_segment_fixed_size: 0
    .kernarg_segment_align: 8
    .kernarg_segment_size: 48
    .language:       OpenCL C
    .language_version:
      - 2
      - 0
    .max_flat_workgroup_size: 128
    .name:           _ZN7rocprim17ROCPRIM_400000_NS6detail17trampoline_kernelINS0_14default_configENS1_38merge_sort_block_merge_config_selectorImNS0_10empty_typeEEEZZNS1_27merge_sort_block_merge_implIS3_N6thrust23THRUST_200600_302600_NS6detail15normal_iteratorINS9_10device_ptrImEEEEPS5_m11less_div_10ImEEE10hipError_tT0_T1_T2_jT3_P12ihipStream_tbPNSt15iterator_traitsISJ_E10value_typeEPNSP_ISK_E10value_typeEPSL_NS1_7vsmem_tEENKUlT_SJ_SK_SL_E_clISE_PmSF_SF_EESI_SY_SJ_SK_SL_EUlSY_E_NS1_11comp_targetILNS1_3genE8ELNS1_11target_archE1030ELNS1_3gpuE2ELNS1_3repE0EEENS1_48merge_mergepath_partition_config_static_selectorELNS0_4arch9wavefront6targetE0EEEvSK_
    .private_segment_fixed_size: 0
    .sgpr_count:     10
    .sgpr_spill_count: 0
    .symbol:         _ZN7rocprim17ROCPRIM_400000_NS6detail17trampoline_kernelINS0_14default_configENS1_38merge_sort_block_merge_config_selectorImNS0_10empty_typeEEEZZNS1_27merge_sort_block_merge_implIS3_N6thrust23THRUST_200600_302600_NS6detail15normal_iteratorINS9_10device_ptrImEEEEPS5_m11less_div_10ImEEE10hipError_tT0_T1_T2_jT3_P12ihipStream_tbPNSt15iterator_traitsISJ_E10value_typeEPNSP_ISK_E10value_typeEPSL_NS1_7vsmem_tEENKUlT_SJ_SK_SL_E_clISE_PmSF_SF_EESI_SY_SJ_SK_SL_EUlSY_E_NS1_11comp_targetILNS1_3genE8ELNS1_11target_archE1030ELNS1_3gpuE2ELNS1_3repE0EEENS1_48merge_mergepath_partition_config_static_selectorELNS0_4arch9wavefront6targetE0EEEvSK_.kd
    .uniform_work_group_size: 1
    .uses_dynamic_stack: false
    .vgpr_count:     18
    .vgpr_spill_count: 0
    .wavefront_size: 32
    .workgroup_processor_mode: 1
  - .args:
      - .offset:         0
        .size:           72
        .value_kind:     by_value
    .group_segment_fixed_size: 0
    .kernarg_segment_align: 8
    .kernarg_segment_size: 72
    .language:       OpenCL C
    .language_version:
      - 2
      - 0
    .max_flat_workgroup_size: 128
    .name:           _ZN7rocprim17ROCPRIM_400000_NS6detail17trampoline_kernelINS0_14default_configENS1_38merge_sort_block_merge_config_selectorImNS0_10empty_typeEEEZZNS1_27merge_sort_block_merge_implIS3_N6thrust23THRUST_200600_302600_NS6detail15normal_iteratorINS9_10device_ptrImEEEEPS5_m11less_div_10ImEEE10hipError_tT0_T1_T2_jT3_P12ihipStream_tbPNSt15iterator_traitsISJ_E10value_typeEPNSP_ISK_E10value_typeEPSL_NS1_7vsmem_tEENKUlT_SJ_SK_SL_E_clISE_PmSF_SF_EESI_SY_SJ_SK_SL_EUlSY_E0_NS1_11comp_targetILNS1_3genE0ELNS1_11target_archE4294967295ELNS1_3gpuE0ELNS1_3repE0EEENS1_38merge_mergepath_config_static_selectorELNS0_4arch9wavefront6targetE0EEEvSK_
    .private_segment_fixed_size: 0
    .sgpr_count:     0
    .sgpr_spill_count: 0
    .symbol:         _ZN7rocprim17ROCPRIM_400000_NS6detail17trampoline_kernelINS0_14default_configENS1_38merge_sort_block_merge_config_selectorImNS0_10empty_typeEEEZZNS1_27merge_sort_block_merge_implIS3_N6thrust23THRUST_200600_302600_NS6detail15normal_iteratorINS9_10device_ptrImEEEEPS5_m11less_div_10ImEEE10hipError_tT0_T1_T2_jT3_P12ihipStream_tbPNSt15iterator_traitsISJ_E10value_typeEPNSP_ISK_E10value_typeEPSL_NS1_7vsmem_tEENKUlT_SJ_SK_SL_E_clISE_PmSF_SF_EESI_SY_SJ_SK_SL_EUlSY_E0_NS1_11comp_targetILNS1_3genE0ELNS1_11target_archE4294967295ELNS1_3gpuE0ELNS1_3repE0EEENS1_38merge_mergepath_config_static_selectorELNS0_4arch9wavefront6targetE0EEEvSK_.kd
    .uniform_work_group_size: 1
    .uses_dynamic_stack: false
    .vgpr_count:     0
    .vgpr_spill_count: 0
    .wavefront_size: 32
    .workgroup_processor_mode: 1
  - .args:
      - .offset:         0
        .size:           72
        .value_kind:     by_value
    .group_segment_fixed_size: 0
    .kernarg_segment_align: 8
    .kernarg_segment_size: 72
    .language:       OpenCL C
    .language_version:
      - 2
      - 0
    .max_flat_workgroup_size: 512
    .name:           _ZN7rocprim17ROCPRIM_400000_NS6detail17trampoline_kernelINS0_14default_configENS1_38merge_sort_block_merge_config_selectorImNS0_10empty_typeEEEZZNS1_27merge_sort_block_merge_implIS3_N6thrust23THRUST_200600_302600_NS6detail15normal_iteratorINS9_10device_ptrImEEEEPS5_m11less_div_10ImEEE10hipError_tT0_T1_T2_jT3_P12ihipStream_tbPNSt15iterator_traitsISJ_E10value_typeEPNSP_ISK_E10value_typeEPSL_NS1_7vsmem_tEENKUlT_SJ_SK_SL_E_clISE_PmSF_SF_EESI_SY_SJ_SK_SL_EUlSY_E0_NS1_11comp_targetILNS1_3genE10ELNS1_11target_archE1201ELNS1_3gpuE5ELNS1_3repE0EEENS1_38merge_mergepath_config_static_selectorELNS0_4arch9wavefront6targetE0EEEvSK_
    .private_segment_fixed_size: 0
    .sgpr_count:     0
    .sgpr_spill_count: 0
    .symbol:         _ZN7rocprim17ROCPRIM_400000_NS6detail17trampoline_kernelINS0_14default_configENS1_38merge_sort_block_merge_config_selectorImNS0_10empty_typeEEEZZNS1_27merge_sort_block_merge_implIS3_N6thrust23THRUST_200600_302600_NS6detail15normal_iteratorINS9_10device_ptrImEEEEPS5_m11less_div_10ImEEE10hipError_tT0_T1_T2_jT3_P12ihipStream_tbPNSt15iterator_traitsISJ_E10value_typeEPNSP_ISK_E10value_typeEPSL_NS1_7vsmem_tEENKUlT_SJ_SK_SL_E_clISE_PmSF_SF_EESI_SY_SJ_SK_SL_EUlSY_E0_NS1_11comp_targetILNS1_3genE10ELNS1_11target_archE1201ELNS1_3gpuE5ELNS1_3repE0EEENS1_38merge_mergepath_config_static_selectorELNS0_4arch9wavefront6targetE0EEEvSK_.kd
    .uniform_work_group_size: 1
    .uses_dynamic_stack: false
    .vgpr_count:     0
    .vgpr_spill_count: 0
    .wavefront_size: 32
    .workgroup_processor_mode: 1
  - .args:
      - .offset:         0
        .size:           72
        .value_kind:     by_value
    .group_segment_fixed_size: 0
    .kernarg_segment_align: 8
    .kernarg_segment_size: 72
    .language:       OpenCL C
    .language_version:
      - 2
      - 0
    .max_flat_workgroup_size: 128
    .name:           _ZN7rocprim17ROCPRIM_400000_NS6detail17trampoline_kernelINS0_14default_configENS1_38merge_sort_block_merge_config_selectorImNS0_10empty_typeEEEZZNS1_27merge_sort_block_merge_implIS3_N6thrust23THRUST_200600_302600_NS6detail15normal_iteratorINS9_10device_ptrImEEEEPS5_m11less_div_10ImEEE10hipError_tT0_T1_T2_jT3_P12ihipStream_tbPNSt15iterator_traitsISJ_E10value_typeEPNSP_ISK_E10value_typeEPSL_NS1_7vsmem_tEENKUlT_SJ_SK_SL_E_clISE_PmSF_SF_EESI_SY_SJ_SK_SL_EUlSY_E0_NS1_11comp_targetILNS1_3genE5ELNS1_11target_archE942ELNS1_3gpuE9ELNS1_3repE0EEENS1_38merge_mergepath_config_static_selectorELNS0_4arch9wavefront6targetE0EEEvSK_
    .private_segment_fixed_size: 0
    .sgpr_count:     0
    .sgpr_spill_count: 0
    .symbol:         _ZN7rocprim17ROCPRIM_400000_NS6detail17trampoline_kernelINS0_14default_configENS1_38merge_sort_block_merge_config_selectorImNS0_10empty_typeEEEZZNS1_27merge_sort_block_merge_implIS3_N6thrust23THRUST_200600_302600_NS6detail15normal_iteratorINS9_10device_ptrImEEEEPS5_m11less_div_10ImEEE10hipError_tT0_T1_T2_jT3_P12ihipStream_tbPNSt15iterator_traitsISJ_E10value_typeEPNSP_ISK_E10value_typeEPSL_NS1_7vsmem_tEENKUlT_SJ_SK_SL_E_clISE_PmSF_SF_EESI_SY_SJ_SK_SL_EUlSY_E0_NS1_11comp_targetILNS1_3genE5ELNS1_11target_archE942ELNS1_3gpuE9ELNS1_3repE0EEENS1_38merge_mergepath_config_static_selectorELNS0_4arch9wavefront6targetE0EEEvSK_.kd
    .uniform_work_group_size: 1
    .uses_dynamic_stack: false
    .vgpr_count:     0
    .vgpr_spill_count: 0
    .wavefront_size: 32
    .workgroup_processor_mode: 1
  - .args:
      - .offset:         0
        .size:           72
        .value_kind:     by_value
    .group_segment_fixed_size: 0
    .kernarg_segment_align: 8
    .kernarg_segment_size: 72
    .language:       OpenCL C
    .language_version:
      - 2
      - 0
    .max_flat_workgroup_size: 256
    .name:           _ZN7rocprim17ROCPRIM_400000_NS6detail17trampoline_kernelINS0_14default_configENS1_38merge_sort_block_merge_config_selectorImNS0_10empty_typeEEEZZNS1_27merge_sort_block_merge_implIS3_N6thrust23THRUST_200600_302600_NS6detail15normal_iteratorINS9_10device_ptrImEEEEPS5_m11less_div_10ImEEE10hipError_tT0_T1_T2_jT3_P12ihipStream_tbPNSt15iterator_traitsISJ_E10value_typeEPNSP_ISK_E10value_typeEPSL_NS1_7vsmem_tEENKUlT_SJ_SK_SL_E_clISE_PmSF_SF_EESI_SY_SJ_SK_SL_EUlSY_E0_NS1_11comp_targetILNS1_3genE4ELNS1_11target_archE910ELNS1_3gpuE8ELNS1_3repE0EEENS1_38merge_mergepath_config_static_selectorELNS0_4arch9wavefront6targetE0EEEvSK_
    .private_segment_fixed_size: 0
    .sgpr_count:     0
    .sgpr_spill_count: 0
    .symbol:         _ZN7rocprim17ROCPRIM_400000_NS6detail17trampoline_kernelINS0_14default_configENS1_38merge_sort_block_merge_config_selectorImNS0_10empty_typeEEEZZNS1_27merge_sort_block_merge_implIS3_N6thrust23THRUST_200600_302600_NS6detail15normal_iteratorINS9_10device_ptrImEEEEPS5_m11less_div_10ImEEE10hipError_tT0_T1_T2_jT3_P12ihipStream_tbPNSt15iterator_traitsISJ_E10value_typeEPNSP_ISK_E10value_typeEPSL_NS1_7vsmem_tEENKUlT_SJ_SK_SL_E_clISE_PmSF_SF_EESI_SY_SJ_SK_SL_EUlSY_E0_NS1_11comp_targetILNS1_3genE4ELNS1_11target_archE910ELNS1_3gpuE8ELNS1_3repE0EEENS1_38merge_mergepath_config_static_selectorELNS0_4arch9wavefront6targetE0EEEvSK_.kd
    .uniform_work_group_size: 1
    .uses_dynamic_stack: false
    .vgpr_count:     0
    .vgpr_spill_count: 0
    .wavefront_size: 32
    .workgroup_processor_mode: 1
  - .args:
      - .offset:         0
        .size:           72
        .value_kind:     by_value
    .group_segment_fixed_size: 0
    .kernarg_segment_align: 8
    .kernarg_segment_size: 72
    .language:       OpenCL C
    .language_version:
      - 2
      - 0
    .max_flat_workgroup_size: 128
    .name:           _ZN7rocprim17ROCPRIM_400000_NS6detail17trampoline_kernelINS0_14default_configENS1_38merge_sort_block_merge_config_selectorImNS0_10empty_typeEEEZZNS1_27merge_sort_block_merge_implIS3_N6thrust23THRUST_200600_302600_NS6detail15normal_iteratorINS9_10device_ptrImEEEEPS5_m11less_div_10ImEEE10hipError_tT0_T1_T2_jT3_P12ihipStream_tbPNSt15iterator_traitsISJ_E10value_typeEPNSP_ISK_E10value_typeEPSL_NS1_7vsmem_tEENKUlT_SJ_SK_SL_E_clISE_PmSF_SF_EESI_SY_SJ_SK_SL_EUlSY_E0_NS1_11comp_targetILNS1_3genE3ELNS1_11target_archE908ELNS1_3gpuE7ELNS1_3repE0EEENS1_38merge_mergepath_config_static_selectorELNS0_4arch9wavefront6targetE0EEEvSK_
    .private_segment_fixed_size: 0
    .sgpr_count:     0
    .sgpr_spill_count: 0
    .symbol:         _ZN7rocprim17ROCPRIM_400000_NS6detail17trampoline_kernelINS0_14default_configENS1_38merge_sort_block_merge_config_selectorImNS0_10empty_typeEEEZZNS1_27merge_sort_block_merge_implIS3_N6thrust23THRUST_200600_302600_NS6detail15normal_iteratorINS9_10device_ptrImEEEEPS5_m11less_div_10ImEEE10hipError_tT0_T1_T2_jT3_P12ihipStream_tbPNSt15iterator_traitsISJ_E10value_typeEPNSP_ISK_E10value_typeEPSL_NS1_7vsmem_tEENKUlT_SJ_SK_SL_E_clISE_PmSF_SF_EESI_SY_SJ_SK_SL_EUlSY_E0_NS1_11comp_targetILNS1_3genE3ELNS1_11target_archE908ELNS1_3gpuE7ELNS1_3repE0EEENS1_38merge_mergepath_config_static_selectorELNS0_4arch9wavefront6targetE0EEEvSK_.kd
    .uniform_work_group_size: 1
    .uses_dynamic_stack: false
    .vgpr_count:     0
    .vgpr_spill_count: 0
    .wavefront_size: 32
    .workgroup_processor_mode: 1
  - .args:
      - .offset:         0
        .size:           72
        .value_kind:     by_value
    .group_segment_fixed_size: 0
    .kernarg_segment_align: 8
    .kernarg_segment_size: 72
    .language:       OpenCL C
    .language_version:
      - 2
      - 0
    .max_flat_workgroup_size: 256
    .name:           _ZN7rocprim17ROCPRIM_400000_NS6detail17trampoline_kernelINS0_14default_configENS1_38merge_sort_block_merge_config_selectorImNS0_10empty_typeEEEZZNS1_27merge_sort_block_merge_implIS3_N6thrust23THRUST_200600_302600_NS6detail15normal_iteratorINS9_10device_ptrImEEEEPS5_m11less_div_10ImEEE10hipError_tT0_T1_T2_jT3_P12ihipStream_tbPNSt15iterator_traitsISJ_E10value_typeEPNSP_ISK_E10value_typeEPSL_NS1_7vsmem_tEENKUlT_SJ_SK_SL_E_clISE_PmSF_SF_EESI_SY_SJ_SK_SL_EUlSY_E0_NS1_11comp_targetILNS1_3genE2ELNS1_11target_archE906ELNS1_3gpuE6ELNS1_3repE0EEENS1_38merge_mergepath_config_static_selectorELNS0_4arch9wavefront6targetE0EEEvSK_
    .private_segment_fixed_size: 0
    .sgpr_count:     0
    .sgpr_spill_count: 0
    .symbol:         _ZN7rocprim17ROCPRIM_400000_NS6detail17trampoline_kernelINS0_14default_configENS1_38merge_sort_block_merge_config_selectorImNS0_10empty_typeEEEZZNS1_27merge_sort_block_merge_implIS3_N6thrust23THRUST_200600_302600_NS6detail15normal_iteratorINS9_10device_ptrImEEEEPS5_m11less_div_10ImEEE10hipError_tT0_T1_T2_jT3_P12ihipStream_tbPNSt15iterator_traitsISJ_E10value_typeEPNSP_ISK_E10value_typeEPSL_NS1_7vsmem_tEENKUlT_SJ_SK_SL_E_clISE_PmSF_SF_EESI_SY_SJ_SK_SL_EUlSY_E0_NS1_11comp_targetILNS1_3genE2ELNS1_11target_archE906ELNS1_3gpuE6ELNS1_3repE0EEENS1_38merge_mergepath_config_static_selectorELNS0_4arch9wavefront6targetE0EEEvSK_.kd
    .uniform_work_group_size: 1
    .uses_dynamic_stack: false
    .vgpr_count:     0
    .vgpr_spill_count: 0
    .wavefront_size: 32
    .workgroup_processor_mode: 1
  - .args:
      - .offset:         0
        .size:           72
        .value_kind:     by_value
    .group_segment_fixed_size: 0
    .kernarg_segment_align: 8
    .kernarg_segment_size: 72
    .language:       OpenCL C
    .language_version:
      - 2
      - 0
    .max_flat_workgroup_size: 512
    .name:           _ZN7rocprim17ROCPRIM_400000_NS6detail17trampoline_kernelINS0_14default_configENS1_38merge_sort_block_merge_config_selectorImNS0_10empty_typeEEEZZNS1_27merge_sort_block_merge_implIS3_N6thrust23THRUST_200600_302600_NS6detail15normal_iteratorINS9_10device_ptrImEEEEPS5_m11less_div_10ImEEE10hipError_tT0_T1_T2_jT3_P12ihipStream_tbPNSt15iterator_traitsISJ_E10value_typeEPNSP_ISK_E10value_typeEPSL_NS1_7vsmem_tEENKUlT_SJ_SK_SL_E_clISE_PmSF_SF_EESI_SY_SJ_SK_SL_EUlSY_E0_NS1_11comp_targetILNS1_3genE9ELNS1_11target_archE1100ELNS1_3gpuE3ELNS1_3repE0EEENS1_38merge_mergepath_config_static_selectorELNS0_4arch9wavefront6targetE0EEEvSK_
    .private_segment_fixed_size: 0
    .sgpr_count:     0
    .sgpr_spill_count: 0
    .symbol:         _ZN7rocprim17ROCPRIM_400000_NS6detail17trampoline_kernelINS0_14default_configENS1_38merge_sort_block_merge_config_selectorImNS0_10empty_typeEEEZZNS1_27merge_sort_block_merge_implIS3_N6thrust23THRUST_200600_302600_NS6detail15normal_iteratorINS9_10device_ptrImEEEEPS5_m11less_div_10ImEEE10hipError_tT0_T1_T2_jT3_P12ihipStream_tbPNSt15iterator_traitsISJ_E10value_typeEPNSP_ISK_E10value_typeEPSL_NS1_7vsmem_tEENKUlT_SJ_SK_SL_E_clISE_PmSF_SF_EESI_SY_SJ_SK_SL_EUlSY_E0_NS1_11comp_targetILNS1_3genE9ELNS1_11target_archE1100ELNS1_3gpuE3ELNS1_3repE0EEENS1_38merge_mergepath_config_static_selectorELNS0_4arch9wavefront6targetE0EEEvSK_.kd
    .uniform_work_group_size: 1
    .uses_dynamic_stack: false
    .vgpr_count:     0
    .vgpr_spill_count: 0
    .wavefront_size: 32
    .workgroup_processor_mode: 1
  - .args:
      - .offset:         0
        .size:           72
        .value_kind:     by_value
      - .offset:         72
        .size:           4
        .value_kind:     hidden_block_count_x
      - .offset:         76
        .size:           4
        .value_kind:     hidden_block_count_y
      - .offset:         80
        .size:           4
        .value_kind:     hidden_block_count_z
      - .offset:         84
        .size:           2
        .value_kind:     hidden_group_size_x
      - .offset:         86
        .size:           2
        .value_kind:     hidden_group_size_y
      - .offset:         88
        .size:           2
        .value_kind:     hidden_group_size_z
      - .offset:         90
        .size:           2
        .value_kind:     hidden_remainder_x
      - .offset:         92
        .size:           2
        .value_kind:     hidden_remainder_y
      - .offset:         94
        .size:           2
        .value_kind:     hidden_remainder_z
      - .offset:         112
        .size:           8
        .value_kind:     hidden_global_offset_x
      - .offset:         120
        .size:           8
        .value_kind:     hidden_global_offset_y
      - .offset:         128
        .size:           8
        .value_kind:     hidden_global_offset_z
      - .offset:         136
        .size:           2
        .value_kind:     hidden_grid_dims
    .group_segment_fixed_size: 8208
    .kernarg_segment_align: 8
    .kernarg_segment_size: 328
    .language:       OpenCL C
    .language_version:
      - 2
      - 0
    .max_flat_workgroup_size: 1024
    .name:           _ZN7rocprim17ROCPRIM_400000_NS6detail17trampoline_kernelINS0_14default_configENS1_38merge_sort_block_merge_config_selectorImNS0_10empty_typeEEEZZNS1_27merge_sort_block_merge_implIS3_N6thrust23THRUST_200600_302600_NS6detail15normal_iteratorINS9_10device_ptrImEEEEPS5_m11less_div_10ImEEE10hipError_tT0_T1_T2_jT3_P12ihipStream_tbPNSt15iterator_traitsISJ_E10value_typeEPNSP_ISK_E10value_typeEPSL_NS1_7vsmem_tEENKUlT_SJ_SK_SL_E_clISE_PmSF_SF_EESI_SY_SJ_SK_SL_EUlSY_E0_NS1_11comp_targetILNS1_3genE8ELNS1_11target_archE1030ELNS1_3gpuE2ELNS1_3repE0EEENS1_38merge_mergepath_config_static_selectorELNS0_4arch9wavefront6targetE0EEEvSK_
    .private_segment_fixed_size: 0
    .sgpr_count:     28
    .sgpr_spill_count: 0
    .symbol:         _ZN7rocprim17ROCPRIM_400000_NS6detail17trampoline_kernelINS0_14default_configENS1_38merge_sort_block_merge_config_selectorImNS0_10empty_typeEEEZZNS1_27merge_sort_block_merge_implIS3_N6thrust23THRUST_200600_302600_NS6detail15normal_iteratorINS9_10device_ptrImEEEEPS5_m11less_div_10ImEEE10hipError_tT0_T1_T2_jT3_P12ihipStream_tbPNSt15iterator_traitsISJ_E10value_typeEPNSP_ISK_E10value_typeEPSL_NS1_7vsmem_tEENKUlT_SJ_SK_SL_E_clISE_PmSF_SF_EESI_SY_SJ_SK_SL_EUlSY_E0_NS1_11comp_targetILNS1_3genE8ELNS1_11target_archE1030ELNS1_3gpuE2ELNS1_3repE0EEENS1_38merge_mergepath_config_static_selectorELNS0_4arch9wavefront6targetE0EEEvSK_.kd
    .uniform_work_group_size: 1
    .uses_dynamic_stack: false
    .vgpr_count:     14
    .vgpr_spill_count: 0
    .wavefront_size: 32
    .workgroup_processor_mode: 1
  - .args:
      - .offset:         0
        .size:           56
        .value_kind:     by_value
    .group_segment_fixed_size: 0
    .kernarg_segment_align: 8
    .kernarg_segment_size: 56
    .language:       OpenCL C
    .language_version:
      - 2
      - 0
    .max_flat_workgroup_size: 256
    .name:           _ZN7rocprim17ROCPRIM_400000_NS6detail17trampoline_kernelINS0_14default_configENS1_38merge_sort_block_merge_config_selectorImNS0_10empty_typeEEEZZNS1_27merge_sort_block_merge_implIS3_N6thrust23THRUST_200600_302600_NS6detail15normal_iteratorINS9_10device_ptrImEEEEPS5_m11less_div_10ImEEE10hipError_tT0_T1_T2_jT3_P12ihipStream_tbPNSt15iterator_traitsISJ_E10value_typeEPNSP_ISK_E10value_typeEPSL_NS1_7vsmem_tEENKUlT_SJ_SK_SL_E_clISE_PmSF_SF_EESI_SY_SJ_SK_SL_EUlSY_E1_NS1_11comp_targetILNS1_3genE0ELNS1_11target_archE4294967295ELNS1_3gpuE0ELNS1_3repE0EEENS1_36merge_oddeven_config_static_selectorELNS0_4arch9wavefront6targetE0EEEvSK_
    .private_segment_fixed_size: 0
    .sgpr_count:     0
    .sgpr_spill_count: 0
    .symbol:         _ZN7rocprim17ROCPRIM_400000_NS6detail17trampoline_kernelINS0_14default_configENS1_38merge_sort_block_merge_config_selectorImNS0_10empty_typeEEEZZNS1_27merge_sort_block_merge_implIS3_N6thrust23THRUST_200600_302600_NS6detail15normal_iteratorINS9_10device_ptrImEEEEPS5_m11less_div_10ImEEE10hipError_tT0_T1_T2_jT3_P12ihipStream_tbPNSt15iterator_traitsISJ_E10value_typeEPNSP_ISK_E10value_typeEPSL_NS1_7vsmem_tEENKUlT_SJ_SK_SL_E_clISE_PmSF_SF_EESI_SY_SJ_SK_SL_EUlSY_E1_NS1_11comp_targetILNS1_3genE0ELNS1_11target_archE4294967295ELNS1_3gpuE0ELNS1_3repE0EEENS1_36merge_oddeven_config_static_selectorELNS0_4arch9wavefront6targetE0EEEvSK_.kd
    .uniform_work_group_size: 1
    .uses_dynamic_stack: false
    .vgpr_count:     0
    .vgpr_spill_count: 0
    .wavefront_size: 32
    .workgroup_processor_mode: 1
  - .args:
      - .offset:         0
        .size:           56
        .value_kind:     by_value
    .group_segment_fixed_size: 0
    .kernarg_segment_align: 8
    .kernarg_segment_size: 56
    .language:       OpenCL C
    .language_version:
      - 2
      - 0
    .max_flat_workgroup_size: 256
    .name:           _ZN7rocprim17ROCPRIM_400000_NS6detail17trampoline_kernelINS0_14default_configENS1_38merge_sort_block_merge_config_selectorImNS0_10empty_typeEEEZZNS1_27merge_sort_block_merge_implIS3_N6thrust23THRUST_200600_302600_NS6detail15normal_iteratorINS9_10device_ptrImEEEEPS5_m11less_div_10ImEEE10hipError_tT0_T1_T2_jT3_P12ihipStream_tbPNSt15iterator_traitsISJ_E10value_typeEPNSP_ISK_E10value_typeEPSL_NS1_7vsmem_tEENKUlT_SJ_SK_SL_E_clISE_PmSF_SF_EESI_SY_SJ_SK_SL_EUlSY_E1_NS1_11comp_targetILNS1_3genE10ELNS1_11target_archE1201ELNS1_3gpuE5ELNS1_3repE0EEENS1_36merge_oddeven_config_static_selectorELNS0_4arch9wavefront6targetE0EEEvSK_
    .private_segment_fixed_size: 0
    .sgpr_count:     0
    .sgpr_spill_count: 0
    .symbol:         _ZN7rocprim17ROCPRIM_400000_NS6detail17trampoline_kernelINS0_14default_configENS1_38merge_sort_block_merge_config_selectorImNS0_10empty_typeEEEZZNS1_27merge_sort_block_merge_implIS3_N6thrust23THRUST_200600_302600_NS6detail15normal_iteratorINS9_10device_ptrImEEEEPS5_m11less_div_10ImEEE10hipError_tT0_T1_T2_jT3_P12ihipStream_tbPNSt15iterator_traitsISJ_E10value_typeEPNSP_ISK_E10value_typeEPSL_NS1_7vsmem_tEENKUlT_SJ_SK_SL_E_clISE_PmSF_SF_EESI_SY_SJ_SK_SL_EUlSY_E1_NS1_11comp_targetILNS1_3genE10ELNS1_11target_archE1201ELNS1_3gpuE5ELNS1_3repE0EEENS1_36merge_oddeven_config_static_selectorELNS0_4arch9wavefront6targetE0EEEvSK_.kd
    .uniform_work_group_size: 1
    .uses_dynamic_stack: false
    .vgpr_count:     0
    .vgpr_spill_count: 0
    .wavefront_size: 32
    .workgroup_processor_mode: 1
  - .args:
      - .offset:         0
        .size:           56
        .value_kind:     by_value
    .group_segment_fixed_size: 0
    .kernarg_segment_align: 8
    .kernarg_segment_size: 56
    .language:       OpenCL C
    .language_version:
      - 2
      - 0
    .max_flat_workgroup_size: 256
    .name:           _ZN7rocprim17ROCPRIM_400000_NS6detail17trampoline_kernelINS0_14default_configENS1_38merge_sort_block_merge_config_selectorImNS0_10empty_typeEEEZZNS1_27merge_sort_block_merge_implIS3_N6thrust23THRUST_200600_302600_NS6detail15normal_iteratorINS9_10device_ptrImEEEEPS5_m11less_div_10ImEEE10hipError_tT0_T1_T2_jT3_P12ihipStream_tbPNSt15iterator_traitsISJ_E10value_typeEPNSP_ISK_E10value_typeEPSL_NS1_7vsmem_tEENKUlT_SJ_SK_SL_E_clISE_PmSF_SF_EESI_SY_SJ_SK_SL_EUlSY_E1_NS1_11comp_targetILNS1_3genE5ELNS1_11target_archE942ELNS1_3gpuE9ELNS1_3repE0EEENS1_36merge_oddeven_config_static_selectorELNS0_4arch9wavefront6targetE0EEEvSK_
    .private_segment_fixed_size: 0
    .sgpr_count:     0
    .sgpr_spill_count: 0
    .symbol:         _ZN7rocprim17ROCPRIM_400000_NS6detail17trampoline_kernelINS0_14default_configENS1_38merge_sort_block_merge_config_selectorImNS0_10empty_typeEEEZZNS1_27merge_sort_block_merge_implIS3_N6thrust23THRUST_200600_302600_NS6detail15normal_iteratorINS9_10device_ptrImEEEEPS5_m11less_div_10ImEEE10hipError_tT0_T1_T2_jT3_P12ihipStream_tbPNSt15iterator_traitsISJ_E10value_typeEPNSP_ISK_E10value_typeEPSL_NS1_7vsmem_tEENKUlT_SJ_SK_SL_E_clISE_PmSF_SF_EESI_SY_SJ_SK_SL_EUlSY_E1_NS1_11comp_targetILNS1_3genE5ELNS1_11target_archE942ELNS1_3gpuE9ELNS1_3repE0EEENS1_36merge_oddeven_config_static_selectorELNS0_4arch9wavefront6targetE0EEEvSK_.kd
    .uniform_work_group_size: 1
    .uses_dynamic_stack: false
    .vgpr_count:     0
    .vgpr_spill_count: 0
    .wavefront_size: 32
    .workgroup_processor_mode: 1
  - .args:
      - .offset:         0
        .size:           56
        .value_kind:     by_value
    .group_segment_fixed_size: 0
    .kernarg_segment_align: 8
    .kernarg_segment_size: 56
    .language:       OpenCL C
    .language_version:
      - 2
      - 0
    .max_flat_workgroup_size: 256
    .name:           _ZN7rocprim17ROCPRIM_400000_NS6detail17trampoline_kernelINS0_14default_configENS1_38merge_sort_block_merge_config_selectorImNS0_10empty_typeEEEZZNS1_27merge_sort_block_merge_implIS3_N6thrust23THRUST_200600_302600_NS6detail15normal_iteratorINS9_10device_ptrImEEEEPS5_m11less_div_10ImEEE10hipError_tT0_T1_T2_jT3_P12ihipStream_tbPNSt15iterator_traitsISJ_E10value_typeEPNSP_ISK_E10value_typeEPSL_NS1_7vsmem_tEENKUlT_SJ_SK_SL_E_clISE_PmSF_SF_EESI_SY_SJ_SK_SL_EUlSY_E1_NS1_11comp_targetILNS1_3genE4ELNS1_11target_archE910ELNS1_3gpuE8ELNS1_3repE0EEENS1_36merge_oddeven_config_static_selectorELNS0_4arch9wavefront6targetE0EEEvSK_
    .private_segment_fixed_size: 0
    .sgpr_count:     0
    .sgpr_spill_count: 0
    .symbol:         _ZN7rocprim17ROCPRIM_400000_NS6detail17trampoline_kernelINS0_14default_configENS1_38merge_sort_block_merge_config_selectorImNS0_10empty_typeEEEZZNS1_27merge_sort_block_merge_implIS3_N6thrust23THRUST_200600_302600_NS6detail15normal_iteratorINS9_10device_ptrImEEEEPS5_m11less_div_10ImEEE10hipError_tT0_T1_T2_jT3_P12ihipStream_tbPNSt15iterator_traitsISJ_E10value_typeEPNSP_ISK_E10value_typeEPSL_NS1_7vsmem_tEENKUlT_SJ_SK_SL_E_clISE_PmSF_SF_EESI_SY_SJ_SK_SL_EUlSY_E1_NS1_11comp_targetILNS1_3genE4ELNS1_11target_archE910ELNS1_3gpuE8ELNS1_3repE0EEENS1_36merge_oddeven_config_static_selectorELNS0_4arch9wavefront6targetE0EEEvSK_.kd
    .uniform_work_group_size: 1
    .uses_dynamic_stack: false
    .vgpr_count:     0
    .vgpr_spill_count: 0
    .wavefront_size: 32
    .workgroup_processor_mode: 1
  - .args:
      - .offset:         0
        .size:           56
        .value_kind:     by_value
    .group_segment_fixed_size: 0
    .kernarg_segment_align: 8
    .kernarg_segment_size: 56
    .language:       OpenCL C
    .language_version:
      - 2
      - 0
    .max_flat_workgroup_size: 256
    .name:           _ZN7rocprim17ROCPRIM_400000_NS6detail17trampoline_kernelINS0_14default_configENS1_38merge_sort_block_merge_config_selectorImNS0_10empty_typeEEEZZNS1_27merge_sort_block_merge_implIS3_N6thrust23THRUST_200600_302600_NS6detail15normal_iteratorINS9_10device_ptrImEEEEPS5_m11less_div_10ImEEE10hipError_tT0_T1_T2_jT3_P12ihipStream_tbPNSt15iterator_traitsISJ_E10value_typeEPNSP_ISK_E10value_typeEPSL_NS1_7vsmem_tEENKUlT_SJ_SK_SL_E_clISE_PmSF_SF_EESI_SY_SJ_SK_SL_EUlSY_E1_NS1_11comp_targetILNS1_3genE3ELNS1_11target_archE908ELNS1_3gpuE7ELNS1_3repE0EEENS1_36merge_oddeven_config_static_selectorELNS0_4arch9wavefront6targetE0EEEvSK_
    .private_segment_fixed_size: 0
    .sgpr_count:     0
    .sgpr_spill_count: 0
    .symbol:         _ZN7rocprim17ROCPRIM_400000_NS6detail17trampoline_kernelINS0_14default_configENS1_38merge_sort_block_merge_config_selectorImNS0_10empty_typeEEEZZNS1_27merge_sort_block_merge_implIS3_N6thrust23THRUST_200600_302600_NS6detail15normal_iteratorINS9_10device_ptrImEEEEPS5_m11less_div_10ImEEE10hipError_tT0_T1_T2_jT3_P12ihipStream_tbPNSt15iterator_traitsISJ_E10value_typeEPNSP_ISK_E10value_typeEPSL_NS1_7vsmem_tEENKUlT_SJ_SK_SL_E_clISE_PmSF_SF_EESI_SY_SJ_SK_SL_EUlSY_E1_NS1_11comp_targetILNS1_3genE3ELNS1_11target_archE908ELNS1_3gpuE7ELNS1_3repE0EEENS1_36merge_oddeven_config_static_selectorELNS0_4arch9wavefront6targetE0EEEvSK_.kd
    .uniform_work_group_size: 1
    .uses_dynamic_stack: false
    .vgpr_count:     0
    .vgpr_spill_count: 0
    .wavefront_size: 32
    .workgroup_processor_mode: 1
  - .args:
      - .offset:         0
        .size:           56
        .value_kind:     by_value
    .group_segment_fixed_size: 0
    .kernarg_segment_align: 8
    .kernarg_segment_size: 56
    .language:       OpenCL C
    .language_version:
      - 2
      - 0
    .max_flat_workgroup_size: 256
    .name:           _ZN7rocprim17ROCPRIM_400000_NS6detail17trampoline_kernelINS0_14default_configENS1_38merge_sort_block_merge_config_selectorImNS0_10empty_typeEEEZZNS1_27merge_sort_block_merge_implIS3_N6thrust23THRUST_200600_302600_NS6detail15normal_iteratorINS9_10device_ptrImEEEEPS5_m11less_div_10ImEEE10hipError_tT0_T1_T2_jT3_P12ihipStream_tbPNSt15iterator_traitsISJ_E10value_typeEPNSP_ISK_E10value_typeEPSL_NS1_7vsmem_tEENKUlT_SJ_SK_SL_E_clISE_PmSF_SF_EESI_SY_SJ_SK_SL_EUlSY_E1_NS1_11comp_targetILNS1_3genE2ELNS1_11target_archE906ELNS1_3gpuE6ELNS1_3repE0EEENS1_36merge_oddeven_config_static_selectorELNS0_4arch9wavefront6targetE0EEEvSK_
    .private_segment_fixed_size: 0
    .sgpr_count:     0
    .sgpr_spill_count: 0
    .symbol:         _ZN7rocprim17ROCPRIM_400000_NS6detail17trampoline_kernelINS0_14default_configENS1_38merge_sort_block_merge_config_selectorImNS0_10empty_typeEEEZZNS1_27merge_sort_block_merge_implIS3_N6thrust23THRUST_200600_302600_NS6detail15normal_iteratorINS9_10device_ptrImEEEEPS5_m11less_div_10ImEEE10hipError_tT0_T1_T2_jT3_P12ihipStream_tbPNSt15iterator_traitsISJ_E10value_typeEPNSP_ISK_E10value_typeEPSL_NS1_7vsmem_tEENKUlT_SJ_SK_SL_E_clISE_PmSF_SF_EESI_SY_SJ_SK_SL_EUlSY_E1_NS1_11comp_targetILNS1_3genE2ELNS1_11target_archE906ELNS1_3gpuE6ELNS1_3repE0EEENS1_36merge_oddeven_config_static_selectorELNS0_4arch9wavefront6targetE0EEEvSK_.kd
    .uniform_work_group_size: 1
    .uses_dynamic_stack: false
    .vgpr_count:     0
    .vgpr_spill_count: 0
    .wavefront_size: 32
    .workgroup_processor_mode: 1
  - .args:
      - .offset:         0
        .size:           56
        .value_kind:     by_value
    .group_segment_fixed_size: 0
    .kernarg_segment_align: 8
    .kernarg_segment_size: 56
    .language:       OpenCL C
    .language_version:
      - 2
      - 0
    .max_flat_workgroup_size: 256
    .name:           _ZN7rocprim17ROCPRIM_400000_NS6detail17trampoline_kernelINS0_14default_configENS1_38merge_sort_block_merge_config_selectorImNS0_10empty_typeEEEZZNS1_27merge_sort_block_merge_implIS3_N6thrust23THRUST_200600_302600_NS6detail15normal_iteratorINS9_10device_ptrImEEEEPS5_m11less_div_10ImEEE10hipError_tT0_T1_T2_jT3_P12ihipStream_tbPNSt15iterator_traitsISJ_E10value_typeEPNSP_ISK_E10value_typeEPSL_NS1_7vsmem_tEENKUlT_SJ_SK_SL_E_clISE_PmSF_SF_EESI_SY_SJ_SK_SL_EUlSY_E1_NS1_11comp_targetILNS1_3genE9ELNS1_11target_archE1100ELNS1_3gpuE3ELNS1_3repE0EEENS1_36merge_oddeven_config_static_selectorELNS0_4arch9wavefront6targetE0EEEvSK_
    .private_segment_fixed_size: 0
    .sgpr_count:     0
    .sgpr_spill_count: 0
    .symbol:         _ZN7rocprim17ROCPRIM_400000_NS6detail17trampoline_kernelINS0_14default_configENS1_38merge_sort_block_merge_config_selectorImNS0_10empty_typeEEEZZNS1_27merge_sort_block_merge_implIS3_N6thrust23THRUST_200600_302600_NS6detail15normal_iteratorINS9_10device_ptrImEEEEPS5_m11less_div_10ImEEE10hipError_tT0_T1_T2_jT3_P12ihipStream_tbPNSt15iterator_traitsISJ_E10value_typeEPNSP_ISK_E10value_typeEPSL_NS1_7vsmem_tEENKUlT_SJ_SK_SL_E_clISE_PmSF_SF_EESI_SY_SJ_SK_SL_EUlSY_E1_NS1_11comp_targetILNS1_3genE9ELNS1_11target_archE1100ELNS1_3gpuE3ELNS1_3repE0EEENS1_36merge_oddeven_config_static_selectorELNS0_4arch9wavefront6targetE0EEEvSK_.kd
    .uniform_work_group_size: 1
    .uses_dynamic_stack: false
    .vgpr_count:     0
    .vgpr_spill_count: 0
    .wavefront_size: 32
    .workgroup_processor_mode: 1
  - .args:
      - .offset:         0
        .size:           56
        .value_kind:     by_value
    .group_segment_fixed_size: 0
    .kernarg_segment_align: 8
    .kernarg_segment_size: 56
    .language:       OpenCL C
    .language_version:
      - 2
      - 0
    .max_flat_workgroup_size: 256
    .name:           _ZN7rocprim17ROCPRIM_400000_NS6detail17trampoline_kernelINS0_14default_configENS1_38merge_sort_block_merge_config_selectorImNS0_10empty_typeEEEZZNS1_27merge_sort_block_merge_implIS3_N6thrust23THRUST_200600_302600_NS6detail15normal_iteratorINS9_10device_ptrImEEEEPS5_m11less_div_10ImEEE10hipError_tT0_T1_T2_jT3_P12ihipStream_tbPNSt15iterator_traitsISJ_E10value_typeEPNSP_ISK_E10value_typeEPSL_NS1_7vsmem_tEENKUlT_SJ_SK_SL_E_clISE_PmSF_SF_EESI_SY_SJ_SK_SL_EUlSY_E1_NS1_11comp_targetILNS1_3genE8ELNS1_11target_archE1030ELNS1_3gpuE2ELNS1_3repE0EEENS1_36merge_oddeven_config_static_selectorELNS0_4arch9wavefront6targetE0EEEvSK_
    .private_segment_fixed_size: 0
    .sgpr_count:     18
    .sgpr_spill_count: 0
    .symbol:         _ZN7rocprim17ROCPRIM_400000_NS6detail17trampoline_kernelINS0_14default_configENS1_38merge_sort_block_merge_config_selectorImNS0_10empty_typeEEEZZNS1_27merge_sort_block_merge_implIS3_N6thrust23THRUST_200600_302600_NS6detail15normal_iteratorINS9_10device_ptrImEEEEPS5_m11less_div_10ImEEE10hipError_tT0_T1_T2_jT3_P12ihipStream_tbPNSt15iterator_traitsISJ_E10value_typeEPNSP_ISK_E10value_typeEPSL_NS1_7vsmem_tEENKUlT_SJ_SK_SL_E_clISE_PmSF_SF_EESI_SY_SJ_SK_SL_EUlSY_E1_NS1_11comp_targetILNS1_3genE8ELNS1_11target_archE1030ELNS1_3gpuE2ELNS1_3repE0EEENS1_36merge_oddeven_config_static_selectorELNS0_4arch9wavefront6targetE0EEEvSK_.kd
    .uniform_work_group_size: 1
    .uses_dynamic_stack: false
    .vgpr_count:     10
    .vgpr_spill_count: 0
    .wavefront_size: 32
    .workgroup_processor_mode: 1
  - .args:
      - .offset:         0
        .size:           40
        .value_kind:     by_value
    .group_segment_fixed_size: 0
    .kernarg_segment_align: 8
    .kernarg_segment_size: 40
    .language:       OpenCL C
    .language_version:
      - 2
      - 0
    .max_flat_workgroup_size: 128
    .name:           _ZN7rocprim17ROCPRIM_400000_NS6detail17trampoline_kernelINS0_14default_configENS1_25transform_config_selectorImLb0EEEZNS1_14transform_implILb0ES3_S5_PmN6thrust23THRUST_200600_302600_NS6detail15normal_iteratorINS9_10device_ptrImEEEENS0_8identityImEEEE10hipError_tT2_T3_mT4_P12ihipStream_tbEUlT_E_NS1_11comp_targetILNS1_3genE0ELNS1_11target_archE4294967295ELNS1_3gpuE0ELNS1_3repE0EEENS1_30default_config_static_selectorELNS0_4arch9wavefront6targetE0EEEvT1_
    .private_segment_fixed_size: 0
    .sgpr_count:     0
    .sgpr_spill_count: 0
    .symbol:         _ZN7rocprim17ROCPRIM_400000_NS6detail17trampoline_kernelINS0_14default_configENS1_25transform_config_selectorImLb0EEEZNS1_14transform_implILb0ES3_S5_PmN6thrust23THRUST_200600_302600_NS6detail15normal_iteratorINS9_10device_ptrImEEEENS0_8identityImEEEE10hipError_tT2_T3_mT4_P12ihipStream_tbEUlT_E_NS1_11comp_targetILNS1_3genE0ELNS1_11target_archE4294967295ELNS1_3gpuE0ELNS1_3repE0EEENS1_30default_config_static_selectorELNS0_4arch9wavefront6targetE0EEEvT1_.kd
    .uniform_work_group_size: 1
    .uses_dynamic_stack: false
    .vgpr_count:     0
    .vgpr_spill_count: 0
    .wavefront_size: 32
    .workgroup_processor_mode: 1
  - .args:
      - .offset:         0
        .size:           40
        .value_kind:     by_value
    .group_segment_fixed_size: 0
    .kernarg_segment_align: 8
    .kernarg_segment_size: 40
    .language:       OpenCL C
    .language_version:
      - 2
      - 0
    .max_flat_workgroup_size: 512
    .name:           _ZN7rocprim17ROCPRIM_400000_NS6detail17trampoline_kernelINS0_14default_configENS1_25transform_config_selectorImLb0EEEZNS1_14transform_implILb0ES3_S5_PmN6thrust23THRUST_200600_302600_NS6detail15normal_iteratorINS9_10device_ptrImEEEENS0_8identityImEEEE10hipError_tT2_T3_mT4_P12ihipStream_tbEUlT_E_NS1_11comp_targetILNS1_3genE5ELNS1_11target_archE942ELNS1_3gpuE9ELNS1_3repE0EEENS1_30default_config_static_selectorELNS0_4arch9wavefront6targetE0EEEvT1_
    .private_segment_fixed_size: 0
    .sgpr_count:     0
    .sgpr_spill_count: 0
    .symbol:         _ZN7rocprim17ROCPRIM_400000_NS6detail17trampoline_kernelINS0_14default_configENS1_25transform_config_selectorImLb0EEEZNS1_14transform_implILb0ES3_S5_PmN6thrust23THRUST_200600_302600_NS6detail15normal_iteratorINS9_10device_ptrImEEEENS0_8identityImEEEE10hipError_tT2_T3_mT4_P12ihipStream_tbEUlT_E_NS1_11comp_targetILNS1_3genE5ELNS1_11target_archE942ELNS1_3gpuE9ELNS1_3repE0EEENS1_30default_config_static_selectorELNS0_4arch9wavefront6targetE0EEEvT1_.kd
    .uniform_work_group_size: 1
    .uses_dynamic_stack: false
    .vgpr_count:     0
    .vgpr_spill_count: 0
    .wavefront_size: 32
    .workgroup_processor_mode: 1
  - .args:
      - .offset:         0
        .size:           40
        .value_kind:     by_value
    .group_segment_fixed_size: 0
    .kernarg_segment_align: 8
    .kernarg_segment_size: 40
    .language:       OpenCL C
    .language_version:
      - 2
      - 0
    .max_flat_workgroup_size: 256
    .name:           _ZN7rocprim17ROCPRIM_400000_NS6detail17trampoline_kernelINS0_14default_configENS1_25transform_config_selectorImLb0EEEZNS1_14transform_implILb0ES3_S5_PmN6thrust23THRUST_200600_302600_NS6detail15normal_iteratorINS9_10device_ptrImEEEENS0_8identityImEEEE10hipError_tT2_T3_mT4_P12ihipStream_tbEUlT_E_NS1_11comp_targetILNS1_3genE4ELNS1_11target_archE910ELNS1_3gpuE8ELNS1_3repE0EEENS1_30default_config_static_selectorELNS0_4arch9wavefront6targetE0EEEvT1_
    .private_segment_fixed_size: 0
    .sgpr_count:     0
    .sgpr_spill_count: 0
    .symbol:         _ZN7rocprim17ROCPRIM_400000_NS6detail17trampoline_kernelINS0_14default_configENS1_25transform_config_selectorImLb0EEEZNS1_14transform_implILb0ES3_S5_PmN6thrust23THRUST_200600_302600_NS6detail15normal_iteratorINS9_10device_ptrImEEEENS0_8identityImEEEE10hipError_tT2_T3_mT4_P12ihipStream_tbEUlT_E_NS1_11comp_targetILNS1_3genE4ELNS1_11target_archE910ELNS1_3gpuE8ELNS1_3repE0EEENS1_30default_config_static_selectorELNS0_4arch9wavefront6targetE0EEEvT1_.kd
    .uniform_work_group_size: 1
    .uses_dynamic_stack: false
    .vgpr_count:     0
    .vgpr_spill_count: 0
    .wavefront_size: 32
    .workgroup_processor_mode: 1
  - .args:
      - .offset:         0
        .size:           40
        .value_kind:     by_value
    .group_segment_fixed_size: 0
    .kernarg_segment_align: 8
    .kernarg_segment_size: 40
    .language:       OpenCL C
    .language_version:
      - 2
      - 0
    .max_flat_workgroup_size: 128
    .name:           _ZN7rocprim17ROCPRIM_400000_NS6detail17trampoline_kernelINS0_14default_configENS1_25transform_config_selectorImLb0EEEZNS1_14transform_implILb0ES3_S5_PmN6thrust23THRUST_200600_302600_NS6detail15normal_iteratorINS9_10device_ptrImEEEENS0_8identityImEEEE10hipError_tT2_T3_mT4_P12ihipStream_tbEUlT_E_NS1_11comp_targetILNS1_3genE3ELNS1_11target_archE908ELNS1_3gpuE7ELNS1_3repE0EEENS1_30default_config_static_selectorELNS0_4arch9wavefront6targetE0EEEvT1_
    .private_segment_fixed_size: 0
    .sgpr_count:     0
    .sgpr_spill_count: 0
    .symbol:         _ZN7rocprim17ROCPRIM_400000_NS6detail17trampoline_kernelINS0_14default_configENS1_25transform_config_selectorImLb0EEEZNS1_14transform_implILb0ES3_S5_PmN6thrust23THRUST_200600_302600_NS6detail15normal_iteratorINS9_10device_ptrImEEEENS0_8identityImEEEE10hipError_tT2_T3_mT4_P12ihipStream_tbEUlT_E_NS1_11comp_targetILNS1_3genE3ELNS1_11target_archE908ELNS1_3gpuE7ELNS1_3repE0EEENS1_30default_config_static_selectorELNS0_4arch9wavefront6targetE0EEEvT1_.kd
    .uniform_work_group_size: 1
    .uses_dynamic_stack: false
    .vgpr_count:     0
    .vgpr_spill_count: 0
    .wavefront_size: 32
    .workgroup_processor_mode: 1
  - .args:
      - .offset:         0
        .size:           40
        .value_kind:     by_value
    .group_segment_fixed_size: 0
    .kernarg_segment_align: 8
    .kernarg_segment_size: 40
    .language:       OpenCL C
    .language_version:
      - 2
      - 0
    .max_flat_workgroup_size: 512
    .name:           _ZN7rocprim17ROCPRIM_400000_NS6detail17trampoline_kernelINS0_14default_configENS1_25transform_config_selectorImLb0EEEZNS1_14transform_implILb0ES3_S5_PmN6thrust23THRUST_200600_302600_NS6detail15normal_iteratorINS9_10device_ptrImEEEENS0_8identityImEEEE10hipError_tT2_T3_mT4_P12ihipStream_tbEUlT_E_NS1_11comp_targetILNS1_3genE2ELNS1_11target_archE906ELNS1_3gpuE6ELNS1_3repE0EEENS1_30default_config_static_selectorELNS0_4arch9wavefront6targetE0EEEvT1_
    .private_segment_fixed_size: 0
    .sgpr_count:     0
    .sgpr_spill_count: 0
    .symbol:         _ZN7rocprim17ROCPRIM_400000_NS6detail17trampoline_kernelINS0_14default_configENS1_25transform_config_selectorImLb0EEEZNS1_14transform_implILb0ES3_S5_PmN6thrust23THRUST_200600_302600_NS6detail15normal_iteratorINS9_10device_ptrImEEEENS0_8identityImEEEE10hipError_tT2_T3_mT4_P12ihipStream_tbEUlT_E_NS1_11comp_targetILNS1_3genE2ELNS1_11target_archE906ELNS1_3gpuE6ELNS1_3repE0EEENS1_30default_config_static_selectorELNS0_4arch9wavefront6targetE0EEEvT1_.kd
    .uniform_work_group_size: 1
    .uses_dynamic_stack: false
    .vgpr_count:     0
    .vgpr_spill_count: 0
    .wavefront_size: 32
    .workgroup_processor_mode: 1
  - .args:
      - .offset:         0
        .size:           40
        .value_kind:     by_value
    .group_segment_fixed_size: 0
    .kernarg_segment_align: 8
    .kernarg_segment_size: 40
    .language:       OpenCL C
    .language_version:
      - 2
      - 0
    .max_flat_workgroup_size: 1024
    .name:           _ZN7rocprim17ROCPRIM_400000_NS6detail17trampoline_kernelINS0_14default_configENS1_25transform_config_selectorImLb0EEEZNS1_14transform_implILb0ES3_S5_PmN6thrust23THRUST_200600_302600_NS6detail15normal_iteratorINS9_10device_ptrImEEEENS0_8identityImEEEE10hipError_tT2_T3_mT4_P12ihipStream_tbEUlT_E_NS1_11comp_targetILNS1_3genE10ELNS1_11target_archE1201ELNS1_3gpuE5ELNS1_3repE0EEENS1_30default_config_static_selectorELNS0_4arch9wavefront6targetE0EEEvT1_
    .private_segment_fixed_size: 0
    .sgpr_count:     0
    .sgpr_spill_count: 0
    .symbol:         _ZN7rocprim17ROCPRIM_400000_NS6detail17trampoline_kernelINS0_14default_configENS1_25transform_config_selectorImLb0EEEZNS1_14transform_implILb0ES3_S5_PmN6thrust23THRUST_200600_302600_NS6detail15normal_iteratorINS9_10device_ptrImEEEENS0_8identityImEEEE10hipError_tT2_T3_mT4_P12ihipStream_tbEUlT_E_NS1_11comp_targetILNS1_3genE10ELNS1_11target_archE1201ELNS1_3gpuE5ELNS1_3repE0EEENS1_30default_config_static_selectorELNS0_4arch9wavefront6targetE0EEEvT1_.kd
    .uniform_work_group_size: 1
    .uses_dynamic_stack: false
    .vgpr_count:     0
    .vgpr_spill_count: 0
    .wavefront_size: 32
    .workgroup_processor_mode: 1
  - .args:
      - .offset:         0
        .size:           40
        .value_kind:     by_value
    .group_segment_fixed_size: 0
    .kernarg_segment_align: 8
    .kernarg_segment_size: 40
    .language:       OpenCL C
    .language_version:
      - 2
      - 0
    .max_flat_workgroup_size: 512
    .name:           _ZN7rocprim17ROCPRIM_400000_NS6detail17trampoline_kernelINS0_14default_configENS1_25transform_config_selectorImLb0EEEZNS1_14transform_implILb0ES3_S5_PmN6thrust23THRUST_200600_302600_NS6detail15normal_iteratorINS9_10device_ptrImEEEENS0_8identityImEEEE10hipError_tT2_T3_mT4_P12ihipStream_tbEUlT_E_NS1_11comp_targetILNS1_3genE10ELNS1_11target_archE1200ELNS1_3gpuE4ELNS1_3repE0EEENS1_30default_config_static_selectorELNS0_4arch9wavefront6targetE0EEEvT1_
    .private_segment_fixed_size: 0
    .sgpr_count:     0
    .sgpr_spill_count: 0
    .symbol:         _ZN7rocprim17ROCPRIM_400000_NS6detail17trampoline_kernelINS0_14default_configENS1_25transform_config_selectorImLb0EEEZNS1_14transform_implILb0ES3_S5_PmN6thrust23THRUST_200600_302600_NS6detail15normal_iteratorINS9_10device_ptrImEEEENS0_8identityImEEEE10hipError_tT2_T3_mT4_P12ihipStream_tbEUlT_E_NS1_11comp_targetILNS1_3genE10ELNS1_11target_archE1200ELNS1_3gpuE4ELNS1_3repE0EEENS1_30default_config_static_selectorELNS0_4arch9wavefront6targetE0EEEvT1_.kd
    .uniform_work_group_size: 1
    .uses_dynamic_stack: false
    .vgpr_count:     0
    .vgpr_spill_count: 0
    .wavefront_size: 32
    .workgroup_processor_mode: 1
  - .args:
      - .offset:         0
        .size:           40
        .value_kind:     by_value
    .group_segment_fixed_size: 0
    .kernarg_segment_align: 8
    .kernarg_segment_size: 40
    .language:       OpenCL C
    .language_version:
      - 2
      - 0
    .max_flat_workgroup_size: 512
    .name:           _ZN7rocprim17ROCPRIM_400000_NS6detail17trampoline_kernelINS0_14default_configENS1_25transform_config_selectorImLb0EEEZNS1_14transform_implILb0ES3_S5_PmN6thrust23THRUST_200600_302600_NS6detail15normal_iteratorINS9_10device_ptrImEEEENS0_8identityImEEEE10hipError_tT2_T3_mT4_P12ihipStream_tbEUlT_E_NS1_11comp_targetILNS1_3genE9ELNS1_11target_archE1100ELNS1_3gpuE3ELNS1_3repE0EEENS1_30default_config_static_selectorELNS0_4arch9wavefront6targetE0EEEvT1_
    .private_segment_fixed_size: 0
    .sgpr_count:     0
    .sgpr_spill_count: 0
    .symbol:         _ZN7rocprim17ROCPRIM_400000_NS6detail17trampoline_kernelINS0_14default_configENS1_25transform_config_selectorImLb0EEEZNS1_14transform_implILb0ES3_S5_PmN6thrust23THRUST_200600_302600_NS6detail15normal_iteratorINS9_10device_ptrImEEEENS0_8identityImEEEE10hipError_tT2_T3_mT4_P12ihipStream_tbEUlT_E_NS1_11comp_targetILNS1_3genE9ELNS1_11target_archE1100ELNS1_3gpuE3ELNS1_3repE0EEENS1_30default_config_static_selectorELNS0_4arch9wavefront6targetE0EEEvT1_.kd
    .uniform_work_group_size: 1
    .uses_dynamic_stack: false
    .vgpr_count:     0
    .vgpr_spill_count: 0
    .wavefront_size: 32
    .workgroup_processor_mode: 1
  - .args:
      - .offset:         0
        .size:           40
        .value_kind:     by_value
      - .offset:         40
        .size:           4
        .value_kind:     hidden_block_count_x
      - .offset:         44
        .size:           4
        .value_kind:     hidden_block_count_y
      - .offset:         48
        .size:           4
        .value_kind:     hidden_block_count_z
      - .offset:         52
        .size:           2
        .value_kind:     hidden_group_size_x
      - .offset:         54
        .size:           2
        .value_kind:     hidden_group_size_y
      - .offset:         56
        .size:           2
        .value_kind:     hidden_group_size_z
      - .offset:         58
        .size:           2
        .value_kind:     hidden_remainder_x
      - .offset:         60
        .size:           2
        .value_kind:     hidden_remainder_y
      - .offset:         62
        .size:           2
        .value_kind:     hidden_remainder_z
      - .offset:         80
        .size:           8
        .value_kind:     hidden_global_offset_x
      - .offset:         88
        .size:           8
        .value_kind:     hidden_global_offset_y
      - .offset:         96
        .size:           8
        .value_kind:     hidden_global_offset_z
      - .offset:         104
        .size:           2
        .value_kind:     hidden_grid_dims
    .group_segment_fixed_size: 0
    .kernarg_segment_align: 8
    .kernarg_segment_size: 296
    .language:       OpenCL C
    .language_version:
      - 2
      - 0
    .max_flat_workgroup_size: 512
    .name:           _ZN7rocprim17ROCPRIM_400000_NS6detail17trampoline_kernelINS0_14default_configENS1_25transform_config_selectorImLb0EEEZNS1_14transform_implILb0ES3_S5_PmN6thrust23THRUST_200600_302600_NS6detail15normal_iteratorINS9_10device_ptrImEEEENS0_8identityImEEEE10hipError_tT2_T3_mT4_P12ihipStream_tbEUlT_E_NS1_11comp_targetILNS1_3genE8ELNS1_11target_archE1030ELNS1_3gpuE2ELNS1_3repE0EEENS1_30default_config_static_selectorELNS0_4arch9wavefront6targetE0EEEvT1_
    .private_segment_fixed_size: 0
    .sgpr_count:     18
    .sgpr_spill_count: 0
    .symbol:         _ZN7rocprim17ROCPRIM_400000_NS6detail17trampoline_kernelINS0_14default_configENS1_25transform_config_selectorImLb0EEEZNS1_14transform_implILb0ES3_S5_PmN6thrust23THRUST_200600_302600_NS6detail15normal_iteratorINS9_10device_ptrImEEEENS0_8identityImEEEE10hipError_tT2_T3_mT4_P12ihipStream_tbEUlT_E_NS1_11comp_targetILNS1_3genE8ELNS1_11target_archE1030ELNS1_3gpuE2ELNS1_3repE0EEENS1_30default_config_static_selectorELNS0_4arch9wavefront6targetE0EEEvT1_.kd
    .uniform_work_group_size: 1
    .uses_dynamic_stack: false
    .vgpr_count:     8
    .vgpr_spill_count: 0
    .wavefront_size: 32
    .workgroup_processor_mode: 1
  - .args:           []
    .group_segment_fixed_size: 0
    .kernarg_segment_align: 4
    .kernarg_segment_size: 0
    .language:       OpenCL C
    .language_version:
      - 2
      - 0
    .max_flat_workgroup_size: 1024
    .name:           _ZN7rocprim17ROCPRIM_400000_NS6detail44device_merge_sort_compile_time_verifier_archINS1_11comp_targetILNS1_3genE0ELNS1_11target_archE4294967295ELNS1_3gpuE0ELNS1_3repE0EEES8_NS0_14default_configES9_NS1_37merge_sort_block_sort_config_selectorIhNS0_10empty_typeEEENS1_38merge_sort_block_merge_config_selectorIhSB_EEEEvv
    .private_segment_fixed_size: 0
    .sgpr_count:     0
    .sgpr_spill_count: 0
    .symbol:         _ZN7rocprim17ROCPRIM_400000_NS6detail44device_merge_sort_compile_time_verifier_archINS1_11comp_targetILNS1_3genE0ELNS1_11target_archE4294967295ELNS1_3gpuE0ELNS1_3repE0EEES8_NS0_14default_configES9_NS1_37merge_sort_block_sort_config_selectorIhNS0_10empty_typeEEENS1_38merge_sort_block_merge_config_selectorIhSB_EEEEvv.kd
    .uniform_work_group_size: 1
    .uses_dynamic_stack: false
    .vgpr_count:     0
    .vgpr_spill_count: 0
    .wavefront_size: 32
    .workgroup_processor_mode: 1
  - .args:           []
    .group_segment_fixed_size: 0
    .kernarg_segment_align: 4
    .kernarg_segment_size: 0
    .language:       OpenCL C
    .language_version:
      - 2
      - 0
    .max_flat_workgroup_size: 1024
    .name:           _ZN7rocprim17ROCPRIM_400000_NS6detail44device_merge_sort_compile_time_verifier_archINS1_11comp_targetILNS1_3genE5ELNS1_11target_archE942ELNS1_3gpuE9ELNS1_3repE0EEES8_NS0_14default_configES9_NS1_37merge_sort_block_sort_config_selectorIhNS0_10empty_typeEEENS1_38merge_sort_block_merge_config_selectorIhSB_EEEEvv
    .private_segment_fixed_size: 0
    .sgpr_count:     0
    .sgpr_spill_count: 0
    .symbol:         _ZN7rocprim17ROCPRIM_400000_NS6detail44device_merge_sort_compile_time_verifier_archINS1_11comp_targetILNS1_3genE5ELNS1_11target_archE942ELNS1_3gpuE9ELNS1_3repE0EEES8_NS0_14default_configES9_NS1_37merge_sort_block_sort_config_selectorIhNS0_10empty_typeEEENS1_38merge_sort_block_merge_config_selectorIhSB_EEEEvv.kd
    .uniform_work_group_size: 1
    .uses_dynamic_stack: false
    .vgpr_count:     0
    .vgpr_spill_count: 0
    .wavefront_size: 32
    .workgroup_processor_mode: 1
  - .args:           []
    .group_segment_fixed_size: 0
    .kernarg_segment_align: 4
    .kernarg_segment_size: 0
    .language:       OpenCL C
    .language_version:
      - 2
      - 0
    .max_flat_workgroup_size: 1024
    .name:           _ZN7rocprim17ROCPRIM_400000_NS6detail44device_merge_sort_compile_time_verifier_archINS1_11comp_targetILNS1_3genE4ELNS1_11target_archE910ELNS1_3gpuE8ELNS1_3repE0EEES8_NS0_14default_configES9_NS1_37merge_sort_block_sort_config_selectorIhNS0_10empty_typeEEENS1_38merge_sort_block_merge_config_selectorIhSB_EEEEvv
    .private_segment_fixed_size: 0
    .sgpr_count:     0
    .sgpr_spill_count: 0
    .symbol:         _ZN7rocprim17ROCPRIM_400000_NS6detail44device_merge_sort_compile_time_verifier_archINS1_11comp_targetILNS1_3genE4ELNS1_11target_archE910ELNS1_3gpuE8ELNS1_3repE0EEES8_NS0_14default_configES9_NS1_37merge_sort_block_sort_config_selectorIhNS0_10empty_typeEEENS1_38merge_sort_block_merge_config_selectorIhSB_EEEEvv.kd
    .uniform_work_group_size: 1
    .uses_dynamic_stack: false
    .vgpr_count:     0
    .vgpr_spill_count: 0
    .wavefront_size: 32
    .workgroup_processor_mode: 1
  - .args:           []
    .group_segment_fixed_size: 0
    .kernarg_segment_align: 4
    .kernarg_segment_size: 0
    .language:       OpenCL C
    .language_version:
      - 2
      - 0
    .max_flat_workgroup_size: 1024
    .name:           _ZN7rocprim17ROCPRIM_400000_NS6detail44device_merge_sort_compile_time_verifier_archINS1_11comp_targetILNS1_3genE3ELNS1_11target_archE908ELNS1_3gpuE7ELNS1_3repE0EEES8_NS0_14default_configES9_NS1_37merge_sort_block_sort_config_selectorIhNS0_10empty_typeEEENS1_38merge_sort_block_merge_config_selectorIhSB_EEEEvv
    .private_segment_fixed_size: 0
    .sgpr_count:     0
    .sgpr_spill_count: 0
    .symbol:         _ZN7rocprim17ROCPRIM_400000_NS6detail44device_merge_sort_compile_time_verifier_archINS1_11comp_targetILNS1_3genE3ELNS1_11target_archE908ELNS1_3gpuE7ELNS1_3repE0EEES8_NS0_14default_configES9_NS1_37merge_sort_block_sort_config_selectorIhNS0_10empty_typeEEENS1_38merge_sort_block_merge_config_selectorIhSB_EEEEvv.kd
    .uniform_work_group_size: 1
    .uses_dynamic_stack: false
    .vgpr_count:     0
    .vgpr_spill_count: 0
    .wavefront_size: 32
    .workgroup_processor_mode: 1
  - .args:           []
    .group_segment_fixed_size: 0
    .kernarg_segment_align: 4
    .kernarg_segment_size: 0
    .language:       OpenCL C
    .language_version:
      - 2
      - 0
    .max_flat_workgroup_size: 1024
    .name:           _ZN7rocprim17ROCPRIM_400000_NS6detail44device_merge_sort_compile_time_verifier_archINS1_11comp_targetILNS1_3genE2ELNS1_11target_archE906ELNS1_3gpuE6ELNS1_3repE0EEES8_NS0_14default_configES9_NS1_37merge_sort_block_sort_config_selectorIhNS0_10empty_typeEEENS1_38merge_sort_block_merge_config_selectorIhSB_EEEEvv
    .private_segment_fixed_size: 0
    .sgpr_count:     0
    .sgpr_spill_count: 0
    .symbol:         _ZN7rocprim17ROCPRIM_400000_NS6detail44device_merge_sort_compile_time_verifier_archINS1_11comp_targetILNS1_3genE2ELNS1_11target_archE906ELNS1_3gpuE6ELNS1_3repE0EEES8_NS0_14default_configES9_NS1_37merge_sort_block_sort_config_selectorIhNS0_10empty_typeEEENS1_38merge_sort_block_merge_config_selectorIhSB_EEEEvv.kd
    .uniform_work_group_size: 1
    .uses_dynamic_stack: false
    .vgpr_count:     0
    .vgpr_spill_count: 0
    .wavefront_size: 32
    .workgroup_processor_mode: 1
  - .args:           []
    .group_segment_fixed_size: 0
    .kernarg_segment_align: 4
    .kernarg_segment_size: 0
    .language:       OpenCL C
    .language_version:
      - 2
      - 0
    .max_flat_workgroup_size: 1024
    .name:           _ZN7rocprim17ROCPRIM_400000_NS6detail44device_merge_sort_compile_time_verifier_archINS1_11comp_targetILNS1_3genE10ELNS1_11target_archE1201ELNS1_3gpuE5ELNS1_3repE0EEES8_NS0_14default_configES9_NS1_37merge_sort_block_sort_config_selectorIhNS0_10empty_typeEEENS1_38merge_sort_block_merge_config_selectorIhSB_EEEEvv
    .private_segment_fixed_size: 0
    .sgpr_count:     0
    .sgpr_spill_count: 0
    .symbol:         _ZN7rocprim17ROCPRIM_400000_NS6detail44device_merge_sort_compile_time_verifier_archINS1_11comp_targetILNS1_3genE10ELNS1_11target_archE1201ELNS1_3gpuE5ELNS1_3repE0EEES8_NS0_14default_configES9_NS1_37merge_sort_block_sort_config_selectorIhNS0_10empty_typeEEENS1_38merge_sort_block_merge_config_selectorIhSB_EEEEvv.kd
    .uniform_work_group_size: 1
    .uses_dynamic_stack: false
    .vgpr_count:     0
    .vgpr_spill_count: 0
    .wavefront_size: 32
    .workgroup_processor_mode: 1
  - .args:           []
    .group_segment_fixed_size: 0
    .kernarg_segment_align: 4
    .kernarg_segment_size: 0
    .language:       OpenCL C
    .language_version:
      - 2
      - 0
    .max_flat_workgroup_size: 1024
    .name:           _ZN7rocprim17ROCPRIM_400000_NS6detail44device_merge_sort_compile_time_verifier_archINS1_11comp_targetILNS1_3genE10ELNS1_11target_archE1200ELNS1_3gpuE4ELNS1_3repE0EEENS3_ILS4_10ELS5_1201ELS6_5ELS7_0EEENS0_14default_configESA_NS1_37merge_sort_block_sort_config_selectorIhNS0_10empty_typeEEENS1_38merge_sort_block_merge_config_selectorIhSC_EEEEvv
    .private_segment_fixed_size: 0
    .sgpr_count:     0
    .sgpr_spill_count: 0
    .symbol:         _ZN7rocprim17ROCPRIM_400000_NS6detail44device_merge_sort_compile_time_verifier_archINS1_11comp_targetILNS1_3genE10ELNS1_11target_archE1200ELNS1_3gpuE4ELNS1_3repE0EEENS3_ILS4_10ELS5_1201ELS6_5ELS7_0EEENS0_14default_configESA_NS1_37merge_sort_block_sort_config_selectorIhNS0_10empty_typeEEENS1_38merge_sort_block_merge_config_selectorIhSC_EEEEvv.kd
    .uniform_work_group_size: 1
    .uses_dynamic_stack: false
    .vgpr_count:     0
    .vgpr_spill_count: 0
    .wavefront_size: 32
    .workgroup_processor_mode: 1
  - .args:           []
    .group_segment_fixed_size: 0
    .kernarg_segment_align: 4
    .kernarg_segment_size: 0
    .language:       OpenCL C
    .language_version:
      - 2
      - 0
    .max_flat_workgroup_size: 1024
    .name:           _ZN7rocprim17ROCPRIM_400000_NS6detail44device_merge_sort_compile_time_verifier_archINS1_11comp_targetILNS1_3genE9ELNS1_11target_archE1100ELNS1_3gpuE3ELNS1_3repE0EEES8_NS0_14default_configES9_NS1_37merge_sort_block_sort_config_selectorIhNS0_10empty_typeEEENS1_38merge_sort_block_merge_config_selectorIhSB_EEEEvv
    .private_segment_fixed_size: 0
    .sgpr_count:     0
    .sgpr_spill_count: 0
    .symbol:         _ZN7rocprim17ROCPRIM_400000_NS6detail44device_merge_sort_compile_time_verifier_archINS1_11comp_targetILNS1_3genE9ELNS1_11target_archE1100ELNS1_3gpuE3ELNS1_3repE0EEES8_NS0_14default_configES9_NS1_37merge_sort_block_sort_config_selectorIhNS0_10empty_typeEEENS1_38merge_sort_block_merge_config_selectorIhSB_EEEEvv.kd
    .uniform_work_group_size: 1
    .uses_dynamic_stack: false
    .vgpr_count:     0
    .vgpr_spill_count: 0
    .wavefront_size: 32
    .workgroup_processor_mode: 1
  - .args:           []
    .group_segment_fixed_size: 0
    .kernarg_segment_align: 4
    .kernarg_segment_size: 0
    .language:       OpenCL C
    .language_version:
      - 2
      - 0
    .max_flat_workgroup_size: 1024
    .name:           _ZN7rocprim17ROCPRIM_400000_NS6detail44device_merge_sort_compile_time_verifier_archINS1_11comp_targetILNS1_3genE8ELNS1_11target_archE1030ELNS1_3gpuE2ELNS1_3repE0EEES8_NS0_14default_configES9_NS1_37merge_sort_block_sort_config_selectorIhNS0_10empty_typeEEENS1_38merge_sort_block_merge_config_selectorIhSB_EEEEvv
    .private_segment_fixed_size: 0
    .sgpr_count:     0
    .sgpr_spill_count: 0
    .symbol:         _ZN7rocprim17ROCPRIM_400000_NS6detail44device_merge_sort_compile_time_verifier_archINS1_11comp_targetILNS1_3genE8ELNS1_11target_archE1030ELNS1_3gpuE2ELNS1_3repE0EEES8_NS0_14default_configES9_NS1_37merge_sort_block_sort_config_selectorIhNS0_10empty_typeEEENS1_38merge_sort_block_merge_config_selectorIhSB_EEEEvv.kd
    .uniform_work_group_size: 1
    .uses_dynamic_stack: false
    .vgpr_count:     0
    .vgpr_spill_count: 0
    .wavefront_size: 32
    .workgroup_processor_mode: 1
  - .args:
      - .offset:         0
        .size:           64
        .value_kind:     by_value
    .group_segment_fixed_size: 0
    .kernarg_segment_align: 8
    .kernarg_segment_size: 64
    .language:       OpenCL C
    .language_version:
      - 2
      - 0
    .max_flat_workgroup_size: 256
    .name:           _ZN7rocprim17ROCPRIM_400000_NS6detail17trampoline_kernelINS0_14default_configENS1_37merge_sort_block_sort_config_selectorIhNS0_10empty_typeEEEZNS1_21merge_sort_block_sortIS3_N6thrust23THRUST_200600_302600_NS6detail15normal_iteratorINS9_10device_ptrIhEEEESE_PS5_SF_11less_div_10IhEEE10hipError_tT0_T1_T2_T3_mRjT4_P12ihipStream_tbNS1_7vsmem_tEEUlT_E_NS1_11comp_targetILNS1_3genE0ELNS1_11target_archE4294967295ELNS1_3gpuE0ELNS1_3repE0EEENS1_30default_config_static_selectorELNS0_4arch9wavefront6targetE0EEEvSK_
    .private_segment_fixed_size: 0
    .sgpr_count:     0
    .sgpr_spill_count: 0
    .symbol:         _ZN7rocprim17ROCPRIM_400000_NS6detail17trampoline_kernelINS0_14default_configENS1_37merge_sort_block_sort_config_selectorIhNS0_10empty_typeEEEZNS1_21merge_sort_block_sortIS3_N6thrust23THRUST_200600_302600_NS6detail15normal_iteratorINS9_10device_ptrIhEEEESE_PS5_SF_11less_div_10IhEEE10hipError_tT0_T1_T2_T3_mRjT4_P12ihipStream_tbNS1_7vsmem_tEEUlT_E_NS1_11comp_targetILNS1_3genE0ELNS1_11target_archE4294967295ELNS1_3gpuE0ELNS1_3repE0EEENS1_30default_config_static_selectorELNS0_4arch9wavefront6targetE0EEEvSK_.kd
    .uniform_work_group_size: 1
    .uses_dynamic_stack: false
    .vgpr_count:     0
    .vgpr_spill_count: 0
    .wavefront_size: 32
    .workgroup_processor_mode: 1
  - .args:
      - .offset:         0
        .size:           64
        .value_kind:     by_value
    .group_segment_fixed_size: 0
    .kernarg_segment_align: 8
    .kernarg_segment_size: 64
    .language:       OpenCL C
    .language_version:
      - 2
      - 0
    .max_flat_workgroup_size: 256
    .name:           _ZN7rocprim17ROCPRIM_400000_NS6detail17trampoline_kernelINS0_14default_configENS1_37merge_sort_block_sort_config_selectorIhNS0_10empty_typeEEEZNS1_21merge_sort_block_sortIS3_N6thrust23THRUST_200600_302600_NS6detail15normal_iteratorINS9_10device_ptrIhEEEESE_PS5_SF_11less_div_10IhEEE10hipError_tT0_T1_T2_T3_mRjT4_P12ihipStream_tbNS1_7vsmem_tEEUlT_E_NS1_11comp_targetILNS1_3genE5ELNS1_11target_archE942ELNS1_3gpuE9ELNS1_3repE0EEENS1_30default_config_static_selectorELNS0_4arch9wavefront6targetE0EEEvSK_
    .private_segment_fixed_size: 0
    .sgpr_count:     0
    .sgpr_spill_count: 0
    .symbol:         _ZN7rocprim17ROCPRIM_400000_NS6detail17trampoline_kernelINS0_14default_configENS1_37merge_sort_block_sort_config_selectorIhNS0_10empty_typeEEEZNS1_21merge_sort_block_sortIS3_N6thrust23THRUST_200600_302600_NS6detail15normal_iteratorINS9_10device_ptrIhEEEESE_PS5_SF_11less_div_10IhEEE10hipError_tT0_T1_T2_T3_mRjT4_P12ihipStream_tbNS1_7vsmem_tEEUlT_E_NS1_11comp_targetILNS1_3genE5ELNS1_11target_archE942ELNS1_3gpuE9ELNS1_3repE0EEENS1_30default_config_static_selectorELNS0_4arch9wavefront6targetE0EEEvSK_.kd
    .uniform_work_group_size: 1
    .uses_dynamic_stack: false
    .vgpr_count:     0
    .vgpr_spill_count: 0
    .wavefront_size: 32
    .workgroup_processor_mode: 1
  - .args:
      - .offset:         0
        .size:           64
        .value_kind:     by_value
    .group_segment_fixed_size: 0
    .kernarg_segment_align: 8
    .kernarg_segment_size: 64
    .language:       OpenCL C
    .language_version:
      - 2
      - 0
    .max_flat_workgroup_size: 256
    .name:           _ZN7rocprim17ROCPRIM_400000_NS6detail17trampoline_kernelINS0_14default_configENS1_37merge_sort_block_sort_config_selectorIhNS0_10empty_typeEEEZNS1_21merge_sort_block_sortIS3_N6thrust23THRUST_200600_302600_NS6detail15normal_iteratorINS9_10device_ptrIhEEEESE_PS5_SF_11less_div_10IhEEE10hipError_tT0_T1_T2_T3_mRjT4_P12ihipStream_tbNS1_7vsmem_tEEUlT_E_NS1_11comp_targetILNS1_3genE4ELNS1_11target_archE910ELNS1_3gpuE8ELNS1_3repE0EEENS1_30default_config_static_selectorELNS0_4arch9wavefront6targetE0EEEvSK_
    .private_segment_fixed_size: 0
    .sgpr_count:     0
    .sgpr_spill_count: 0
    .symbol:         _ZN7rocprim17ROCPRIM_400000_NS6detail17trampoline_kernelINS0_14default_configENS1_37merge_sort_block_sort_config_selectorIhNS0_10empty_typeEEEZNS1_21merge_sort_block_sortIS3_N6thrust23THRUST_200600_302600_NS6detail15normal_iteratorINS9_10device_ptrIhEEEESE_PS5_SF_11less_div_10IhEEE10hipError_tT0_T1_T2_T3_mRjT4_P12ihipStream_tbNS1_7vsmem_tEEUlT_E_NS1_11comp_targetILNS1_3genE4ELNS1_11target_archE910ELNS1_3gpuE8ELNS1_3repE0EEENS1_30default_config_static_selectorELNS0_4arch9wavefront6targetE0EEEvSK_.kd
    .uniform_work_group_size: 1
    .uses_dynamic_stack: false
    .vgpr_count:     0
    .vgpr_spill_count: 0
    .wavefront_size: 32
    .workgroup_processor_mode: 1
  - .args:
      - .offset:         0
        .size:           64
        .value_kind:     by_value
    .group_segment_fixed_size: 0
    .kernarg_segment_align: 8
    .kernarg_segment_size: 64
    .language:       OpenCL C
    .language_version:
      - 2
      - 0
    .max_flat_workgroup_size: 256
    .name:           _ZN7rocprim17ROCPRIM_400000_NS6detail17trampoline_kernelINS0_14default_configENS1_37merge_sort_block_sort_config_selectorIhNS0_10empty_typeEEEZNS1_21merge_sort_block_sortIS3_N6thrust23THRUST_200600_302600_NS6detail15normal_iteratorINS9_10device_ptrIhEEEESE_PS5_SF_11less_div_10IhEEE10hipError_tT0_T1_T2_T3_mRjT4_P12ihipStream_tbNS1_7vsmem_tEEUlT_E_NS1_11comp_targetILNS1_3genE3ELNS1_11target_archE908ELNS1_3gpuE7ELNS1_3repE0EEENS1_30default_config_static_selectorELNS0_4arch9wavefront6targetE0EEEvSK_
    .private_segment_fixed_size: 0
    .sgpr_count:     0
    .sgpr_spill_count: 0
    .symbol:         _ZN7rocprim17ROCPRIM_400000_NS6detail17trampoline_kernelINS0_14default_configENS1_37merge_sort_block_sort_config_selectorIhNS0_10empty_typeEEEZNS1_21merge_sort_block_sortIS3_N6thrust23THRUST_200600_302600_NS6detail15normal_iteratorINS9_10device_ptrIhEEEESE_PS5_SF_11less_div_10IhEEE10hipError_tT0_T1_T2_T3_mRjT4_P12ihipStream_tbNS1_7vsmem_tEEUlT_E_NS1_11comp_targetILNS1_3genE3ELNS1_11target_archE908ELNS1_3gpuE7ELNS1_3repE0EEENS1_30default_config_static_selectorELNS0_4arch9wavefront6targetE0EEEvSK_.kd
    .uniform_work_group_size: 1
    .uses_dynamic_stack: false
    .vgpr_count:     0
    .vgpr_spill_count: 0
    .wavefront_size: 32
    .workgroup_processor_mode: 1
  - .args:
      - .offset:         0
        .size:           64
        .value_kind:     by_value
    .group_segment_fixed_size: 0
    .kernarg_segment_align: 8
    .kernarg_segment_size: 64
    .language:       OpenCL C
    .language_version:
      - 2
      - 0
    .max_flat_workgroup_size: 256
    .name:           _ZN7rocprim17ROCPRIM_400000_NS6detail17trampoline_kernelINS0_14default_configENS1_37merge_sort_block_sort_config_selectorIhNS0_10empty_typeEEEZNS1_21merge_sort_block_sortIS3_N6thrust23THRUST_200600_302600_NS6detail15normal_iteratorINS9_10device_ptrIhEEEESE_PS5_SF_11less_div_10IhEEE10hipError_tT0_T1_T2_T3_mRjT4_P12ihipStream_tbNS1_7vsmem_tEEUlT_E_NS1_11comp_targetILNS1_3genE2ELNS1_11target_archE906ELNS1_3gpuE6ELNS1_3repE0EEENS1_30default_config_static_selectorELNS0_4arch9wavefront6targetE0EEEvSK_
    .private_segment_fixed_size: 0
    .sgpr_count:     0
    .sgpr_spill_count: 0
    .symbol:         _ZN7rocprim17ROCPRIM_400000_NS6detail17trampoline_kernelINS0_14default_configENS1_37merge_sort_block_sort_config_selectorIhNS0_10empty_typeEEEZNS1_21merge_sort_block_sortIS3_N6thrust23THRUST_200600_302600_NS6detail15normal_iteratorINS9_10device_ptrIhEEEESE_PS5_SF_11less_div_10IhEEE10hipError_tT0_T1_T2_T3_mRjT4_P12ihipStream_tbNS1_7vsmem_tEEUlT_E_NS1_11comp_targetILNS1_3genE2ELNS1_11target_archE906ELNS1_3gpuE6ELNS1_3repE0EEENS1_30default_config_static_selectorELNS0_4arch9wavefront6targetE0EEEvSK_.kd
    .uniform_work_group_size: 1
    .uses_dynamic_stack: false
    .vgpr_count:     0
    .vgpr_spill_count: 0
    .wavefront_size: 32
    .workgroup_processor_mode: 1
  - .args:
      - .offset:         0
        .size:           64
        .value_kind:     by_value
    .group_segment_fixed_size: 0
    .kernarg_segment_align: 8
    .kernarg_segment_size: 64
    .language:       OpenCL C
    .language_version:
      - 2
      - 0
    .max_flat_workgroup_size: 256
    .name:           _ZN7rocprim17ROCPRIM_400000_NS6detail17trampoline_kernelINS0_14default_configENS1_37merge_sort_block_sort_config_selectorIhNS0_10empty_typeEEEZNS1_21merge_sort_block_sortIS3_N6thrust23THRUST_200600_302600_NS6detail15normal_iteratorINS9_10device_ptrIhEEEESE_PS5_SF_11less_div_10IhEEE10hipError_tT0_T1_T2_T3_mRjT4_P12ihipStream_tbNS1_7vsmem_tEEUlT_E_NS1_11comp_targetILNS1_3genE10ELNS1_11target_archE1201ELNS1_3gpuE5ELNS1_3repE0EEENS1_30default_config_static_selectorELNS0_4arch9wavefront6targetE0EEEvSK_
    .private_segment_fixed_size: 0
    .sgpr_count:     0
    .sgpr_spill_count: 0
    .symbol:         _ZN7rocprim17ROCPRIM_400000_NS6detail17trampoline_kernelINS0_14default_configENS1_37merge_sort_block_sort_config_selectorIhNS0_10empty_typeEEEZNS1_21merge_sort_block_sortIS3_N6thrust23THRUST_200600_302600_NS6detail15normal_iteratorINS9_10device_ptrIhEEEESE_PS5_SF_11less_div_10IhEEE10hipError_tT0_T1_T2_T3_mRjT4_P12ihipStream_tbNS1_7vsmem_tEEUlT_E_NS1_11comp_targetILNS1_3genE10ELNS1_11target_archE1201ELNS1_3gpuE5ELNS1_3repE0EEENS1_30default_config_static_selectorELNS0_4arch9wavefront6targetE0EEEvSK_.kd
    .uniform_work_group_size: 1
    .uses_dynamic_stack: false
    .vgpr_count:     0
    .vgpr_spill_count: 0
    .wavefront_size: 32
    .workgroup_processor_mode: 1
  - .args:
      - .offset:         0
        .size:           64
        .value_kind:     by_value
    .group_segment_fixed_size: 0
    .kernarg_segment_align: 8
    .kernarg_segment_size: 64
    .language:       OpenCL C
    .language_version:
      - 2
      - 0
    .max_flat_workgroup_size: 256
    .name:           _ZN7rocprim17ROCPRIM_400000_NS6detail17trampoline_kernelINS0_14default_configENS1_37merge_sort_block_sort_config_selectorIhNS0_10empty_typeEEEZNS1_21merge_sort_block_sortIS3_N6thrust23THRUST_200600_302600_NS6detail15normal_iteratorINS9_10device_ptrIhEEEESE_PS5_SF_11less_div_10IhEEE10hipError_tT0_T1_T2_T3_mRjT4_P12ihipStream_tbNS1_7vsmem_tEEUlT_E_NS1_11comp_targetILNS1_3genE10ELNS1_11target_archE1200ELNS1_3gpuE4ELNS1_3repE0EEENS1_30default_config_static_selectorELNS0_4arch9wavefront6targetE0EEEvSK_
    .private_segment_fixed_size: 0
    .sgpr_count:     0
    .sgpr_spill_count: 0
    .symbol:         _ZN7rocprim17ROCPRIM_400000_NS6detail17trampoline_kernelINS0_14default_configENS1_37merge_sort_block_sort_config_selectorIhNS0_10empty_typeEEEZNS1_21merge_sort_block_sortIS3_N6thrust23THRUST_200600_302600_NS6detail15normal_iteratorINS9_10device_ptrIhEEEESE_PS5_SF_11less_div_10IhEEE10hipError_tT0_T1_T2_T3_mRjT4_P12ihipStream_tbNS1_7vsmem_tEEUlT_E_NS1_11comp_targetILNS1_3genE10ELNS1_11target_archE1200ELNS1_3gpuE4ELNS1_3repE0EEENS1_30default_config_static_selectorELNS0_4arch9wavefront6targetE0EEEvSK_.kd
    .uniform_work_group_size: 1
    .uses_dynamic_stack: false
    .vgpr_count:     0
    .vgpr_spill_count: 0
    .wavefront_size: 32
    .workgroup_processor_mode: 1
  - .args:
      - .offset:         0
        .size:           64
        .value_kind:     by_value
    .group_segment_fixed_size: 0
    .kernarg_segment_align: 8
    .kernarg_segment_size: 64
    .language:       OpenCL C
    .language_version:
      - 2
      - 0
    .max_flat_workgroup_size: 256
    .name:           _ZN7rocprim17ROCPRIM_400000_NS6detail17trampoline_kernelINS0_14default_configENS1_37merge_sort_block_sort_config_selectorIhNS0_10empty_typeEEEZNS1_21merge_sort_block_sortIS3_N6thrust23THRUST_200600_302600_NS6detail15normal_iteratorINS9_10device_ptrIhEEEESE_PS5_SF_11less_div_10IhEEE10hipError_tT0_T1_T2_T3_mRjT4_P12ihipStream_tbNS1_7vsmem_tEEUlT_E_NS1_11comp_targetILNS1_3genE9ELNS1_11target_archE1100ELNS1_3gpuE3ELNS1_3repE0EEENS1_30default_config_static_selectorELNS0_4arch9wavefront6targetE0EEEvSK_
    .private_segment_fixed_size: 0
    .sgpr_count:     0
    .sgpr_spill_count: 0
    .symbol:         _ZN7rocprim17ROCPRIM_400000_NS6detail17trampoline_kernelINS0_14default_configENS1_37merge_sort_block_sort_config_selectorIhNS0_10empty_typeEEEZNS1_21merge_sort_block_sortIS3_N6thrust23THRUST_200600_302600_NS6detail15normal_iteratorINS9_10device_ptrIhEEEESE_PS5_SF_11less_div_10IhEEE10hipError_tT0_T1_T2_T3_mRjT4_P12ihipStream_tbNS1_7vsmem_tEEUlT_E_NS1_11comp_targetILNS1_3genE9ELNS1_11target_archE1100ELNS1_3gpuE3ELNS1_3repE0EEENS1_30default_config_static_selectorELNS0_4arch9wavefront6targetE0EEEvSK_.kd
    .uniform_work_group_size: 1
    .uses_dynamic_stack: false
    .vgpr_count:     0
    .vgpr_spill_count: 0
    .wavefront_size: 32
    .workgroup_processor_mode: 1
  - .args:
      - .offset:         0
        .size:           64
        .value_kind:     by_value
      - .offset:         64
        .size:           4
        .value_kind:     hidden_block_count_x
      - .offset:         68
        .size:           4
        .value_kind:     hidden_block_count_y
      - .offset:         72
        .size:           4
        .value_kind:     hidden_block_count_z
      - .offset:         76
        .size:           2
        .value_kind:     hidden_group_size_x
      - .offset:         78
        .size:           2
        .value_kind:     hidden_group_size_y
      - .offset:         80
        .size:           2
        .value_kind:     hidden_group_size_z
      - .offset:         82
        .size:           2
        .value_kind:     hidden_remainder_x
      - .offset:         84
        .size:           2
        .value_kind:     hidden_remainder_y
      - .offset:         86
        .size:           2
        .value_kind:     hidden_remainder_z
      - .offset:         104
        .size:           8
        .value_kind:     hidden_global_offset_x
      - .offset:         112
        .size:           8
        .value_kind:     hidden_global_offset_y
      - .offset:         120
        .size:           8
        .value_kind:     hidden_global_offset_z
      - .offset:         128
        .size:           2
        .value_kind:     hidden_grid_dims
    .group_segment_fixed_size: 8448
    .kernarg_segment_align: 8
    .kernarg_segment_size: 320
    .language:       OpenCL C
    .language_version:
      - 2
      - 0
    .max_flat_workgroup_size: 256
    .name:           _ZN7rocprim17ROCPRIM_400000_NS6detail17trampoline_kernelINS0_14default_configENS1_37merge_sort_block_sort_config_selectorIhNS0_10empty_typeEEEZNS1_21merge_sort_block_sortIS3_N6thrust23THRUST_200600_302600_NS6detail15normal_iteratorINS9_10device_ptrIhEEEESE_PS5_SF_11less_div_10IhEEE10hipError_tT0_T1_T2_T3_mRjT4_P12ihipStream_tbNS1_7vsmem_tEEUlT_E_NS1_11comp_targetILNS1_3genE8ELNS1_11target_archE1030ELNS1_3gpuE2ELNS1_3repE0EEENS1_30default_config_static_selectorELNS0_4arch9wavefront6targetE0EEEvSK_
    .private_segment_fixed_size: 8
    .sgpr_count:     98
    .sgpr_spill_count: 0
    .symbol:         _ZN7rocprim17ROCPRIM_400000_NS6detail17trampoline_kernelINS0_14default_configENS1_37merge_sort_block_sort_config_selectorIhNS0_10empty_typeEEEZNS1_21merge_sort_block_sortIS3_N6thrust23THRUST_200600_302600_NS6detail15normal_iteratorINS9_10device_ptrIhEEEESE_PS5_SF_11less_div_10IhEEE10hipError_tT0_T1_T2_T3_mRjT4_P12ihipStream_tbNS1_7vsmem_tEEUlT_E_NS1_11comp_targetILNS1_3genE8ELNS1_11target_archE1030ELNS1_3gpuE2ELNS1_3repE0EEENS1_30default_config_static_selectorELNS0_4arch9wavefront6targetE0EEEvSK_.kd
    .uniform_work_group_size: 1
    .uses_dynamic_stack: false
    .vgpr_count:     195
    .vgpr_spill_count: 0
    .wavefront_size: 32
    .workgroup_processor_mode: 1
  - .args:
      - .offset:         0
        .size:           48
        .value_kind:     by_value
    .group_segment_fixed_size: 0
    .kernarg_segment_align: 8
    .kernarg_segment_size: 48
    .language:       OpenCL C
    .language_version:
      - 2
      - 0
    .max_flat_workgroup_size: 128
    .name:           _ZN7rocprim17ROCPRIM_400000_NS6detail17trampoline_kernelINS0_14default_configENS1_38merge_sort_block_merge_config_selectorIhNS0_10empty_typeEEEZZNS1_27merge_sort_block_merge_implIS3_N6thrust23THRUST_200600_302600_NS6detail15normal_iteratorINS9_10device_ptrIhEEEEPS5_m11less_div_10IhEEE10hipError_tT0_T1_T2_jT3_P12ihipStream_tbPNSt15iterator_traitsISJ_E10value_typeEPNSP_ISK_E10value_typeEPSL_NS1_7vsmem_tEENKUlT_SJ_SK_SL_E_clIPhSE_SF_SF_EESI_SY_SJ_SK_SL_EUlSY_E_NS1_11comp_targetILNS1_3genE0ELNS1_11target_archE4294967295ELNS1_3gpuE0ELNS1_3repE0EEENS1_48merge_mergepath_partition_config_static_selectorELNS0_4arch9wavefront6targetE0EEEvSK_
    .private_segment_fixed_size: 0
    .sgpr_count:     0
    .sgpr_spill_count: 0
    .symbol:         _ZN7rocprim17ROCPRIM_400000_NS6detail17trampoline_kernelINS0_14default_configENS1_38merge_sort_block_merge_config_selectorIhNS0_10empty_typeEEEZZNS1_27merge_sort_block_merge_implIS3_N6thrust23THRUST_200600_302600_NS6detail15normal_iteratorINS9_10device_ptrIhEEEEPS5_m11less_div_10IhEEE10hipError_tT0_T1_T2_jT3_P12ihipStream_tbPNSt15iterator_traitsISJ_E10value_typeEPNSP_ISK_E10value_typeEPSL_NS1_7vsmem_tEENKUlT_SJ_SK_SL_E_clIPhSE_SF_SF_EESI_SY_SJ_SK_SL_EUlSY_E_NS1_11comp_targetILNS1_3genE0ELNS1_11target_archE4294967295ELNS1_3gpuE0ELNS1_3repE0EEENS1_48merge_mergepath_partition_config_static_selectorELNS0_4arch9wavefront6targetE0EEEvSK_.kd
    .uniform_work_group_size: 1
    .uses_dynamic_stack: false
    .vgpr_count:     0
    .vgpr_spill_count: 0
    .wavefront_size: 32
    .workgroup_processor_mode: 1
  - .args:
      - .offset:         0
        .size:           48
        .value_kind:     by_value
    .group_segment_fixed_size: 0
    .kernarg_segment_align: 8
    .kernarg_segment_size: 48
    .language:       OpenCL C
    .language_version:
      - 2
      - 0
    .max_flat_workgroup_size: 128
    .name:           _ZN7rocprim17ROCPRIM_400000_NS6detail17trampoline_kernelINS0_14default_configENS1_38merge_sort_block_merge_config_selectorIhNS0_10empty_typeEEEZZNS1_27merge_sort_block_merge_implIS3_N6thrust23THRUST_200600_302600_NS6detail15normal_iteratorINS9_10device_ptrIhEEEEPS5_m11less_div_10IhEEE10hipError_tT0_T1_T2_jT3_P12ihipStream_tbPNSt15iterator_traitsISJ_E10value_typeEPNSP_ISK_E10value_typeEPSL_NS1_7vsmem_tEENKUlT_SJ_SK_SL_E_clIPhSE_SF_SF_EESI_SY_SJ_SK_SL_EUlSY_E_NS1_11comp_targetILNS1_3genE10ELNS1_11target_archE1201ELNS1_3gpuE5ELNS1_3repE0EEENS1_48merge_mergepath_partition_config_static_selectorELNS0_4arch9wavefront6targetE0EEEvSK_
    .private_segment_fixed_size: 0
    .sgpr_count:     0
    .sgpr_spill_count: 0
    .symbol:         _ZN7rocprim17ROCPRIM_400000_NS6detail17trampoline_kernelINS0_14default_configENS1_38merge_sort_block_merge_config_selectorIhNS0_10empty_typeEEEZZNS1_27merge_sort_block_merge_implIS3_N6thrust23THRUST_200600_302600_NS6detail15normal_iteratorINS9_10device_ptrIhEEEEPS5_m11less_div_10IhEEE10hipError_tT0_T1_T2_jT3_P12ihipStream_tbPNSt15iterator_traitsISJ_E10value_typeEPNSP_ISK_E10value_typeEPSL_NS1_7vsmem_tEENKUlT_SJ_SK_SL_E_clIPhSE_SF_SF_EESI_SY_SJ_SK_SL_EUlSY_E_NS1_11comp_targetILNS1_3genE10ELNS1_11target_archE1201ELNS1_3gpuE5ELNS1_3repE0EEENS1_48merge_mergepath_partition_config_static_selectorELNS0_4arch9wavefront6targetE0EEEvSK_.kd
    .uniform_work_group_size: 1
    .uses_dynamic_stack: false
    .vgpr_count:     0
    .vgpr_spill_count: 0
    .wavefront_size: 32
    .workgroup_processor_mode: 1
  - .args:
      - .offset:         0
        .size:           48
        .value_kind:     by_value
    .group_segment_fixed_size: 0
    .kernarg_segment_align: 8
    .kernarg_segment_size: 48
    .language:       OpenCL C
    .language_version:
      - 2
      - 0
    .max_flat_workgroup_size: 128
    .name:           _ZN7rocprim17ROCPRIM_400000_NS6detail17trampoline_kernelINS0_14default_configENS1_38merge_sort_block_merge_config_selectorIhNS0_10empty_typeEEEZZNS1_27merge_sort_block_merge_implIS3_N6thrust23THRUST_200600_302600_NS6detail15normal_iteratorINS9_10device_ptrIhEEEEPS5_m11less_div_10IhEEE10hipError_tT0_T1_T2_jT3_P12ihipStream_tbPNSt15iterator_traitsISJ_E10value_typeEPNSP_ISK_E10value_typeEPSL_NS1_7vsmem_tEENKUlT_SJ_SK_SL_E_clIPhSE_SF_SF_EESI_SY_SJ_SK_SL_EUlSY_E_NS1_11comp_targetILNS1_3genE5ELNS1_11target_archE942ELNS1_3gpuE9ELNS1_3repE0EEENS1_48merge_mergepath_partition_config_static_selectorELNS0_4arch9wavefront6targetE0EEEvSK_
    .private_segment_fixed_size: 0
    .sgpr_count:     0
    .sgpr_spill_count: 0
    .symbol:         _ZN7rocprim17ROCPRIM_400000_NS6detail17trampoline_kernelINS0_14default_configENS1_38merge_sort_block_merge_config_selectorIhNS0_10empty_typeEEEZZNS1_27merge_sort_block_merge_implIS3_N6thrust23THRUST_200600_302600_NS6detail15normal_iteratorINS9_10device_ptrIhEEEEPS5_m11less_div_10IhEEE10hipError_tT0_T1_T2_jT3_P12ihipStream_tbPNSt15iterator_traitsISJ_E10value_typeEPNSP_ISK_E10value_typeEPSL_NS1_7vsmem_tEENKUlT_SJ_SK_SL_E_clIPhSE_SF_SF_EESI_SY_SJ_SK_SL_EUlSY_E_NS1_11comp_targetILNS1_3genE5ELNS1_11target_archE942ELNS1_3gpuE9ELNS1_3repE0EEENS1_48merge_mergepath_partition_config_static_selectorELNS0_4arch9wavefront6targetE0EEEvSK_.kd
    .uniform_work_group_size: 1
    .uses_dynamic_stack: false
    .vgpr_count:     0
    .vgpr_spill_count: 0
    .wavefront_size: 32
    .workgroup_processor_mode: 1
  - .args:
      - .offset:         0
        .size:           48
        .value_kind:     by_value
    .group_segment_fixed_size: 0
    .kernarg_segment_align: 8
    .kernarg_segment_size: 48
    .language:       OpenCL C
    .language_version:
      - 2
      - 0
    .max_flat_workgroup_size: 128
    .name:           _ZN7rocprim17ROCPRIM_400000_NS6detail17trampoline_kernelINS0_14default_configENS1_38merge_sort_block_merge_config_selectorIhNS0_10empty_typeEEEZZNS1_27merge_sort_block_merge_implIS3_N6thrust23THRUST_200600_302600_NS6detail15normal_iteratorINS9_10device_ptrIhEEEEPS5_m11less_div_10IhEEE10hipError_tT0_T1_T2_jT3_P12ihipStream_tbPNSt15iterator_traitsISJ_E10value_typeEPNSP_ISK_E10value_typeEPSL_NS1_7vsmem_tEENKUlT_SJ_SK_SL_E_clIPhSE_SF_SF_EESI_SY_SJ_SK_SL_EUlSY_E_NS1_11comp_targetILNS1_3genE4ELNS1_11target_archE910ELNS1_3gpuE8ELNS1_3repE0EEENS1_48merge_mergepath_partition_config_static_selectorELNS0_4arch9wavefront6targetE0EEEvSK_
    .private_segment_fixed_size: 0
    .sgpr_count:     0
    .sgpr_spill_count: 0
    .symbol:         _ZN7rocprim17ROCPRIM_400000_NS6detail17trampoline_kernelINS0_14default_configENS1_38merge_sort_block_merge_config_selectorIhNS0_10empty_typeEEEZZNS1_27merge_sort_block_merge_implIS3_N6thrust23THRUST_200600_302600_NS6detail15normal_iteratorINS9_10device_ptrIhEEEEPS5_m11less_div_10IhEEE10hipError_tT0_T1_T2_jT3_P12ihipStream_tbPNSt15iterator_traitsISJ_E10value_typeEPNSP_ISK_E10value_typeEPSL_NS1_7vsmem_tEENKUlT_SJ_SK_SL_E_clIPhSE_SF_SF_EESI_SY_SJ_SK_SL_EUlSY_E_NS1_11comp_targetILNS1_3genE4ELNS1_11target_archE910ELNS1_3gpuE8ELNS1_3repE0EEENS1_48merge_mergepath_partition_config_static_selectorELNS0_4arch9wavefront6targetE0EEEvSK_.kd
    .uniform_work_group_size: 1
    .uses_dynamic_stack: false
    .vgpr_count:     0
    .vgpr_spill_count: 0
    .wavefront_size: 32
    .workgroup_processor_mode: 1
  - .args:
      - .offset:         0
        .size:           48
        .value_kind:     by_value
    .group_segment_fixed_size: 0
    .kernarg_segment_align: 8
    .kernarg_segment_size: 48
    .language:       OpenCL C
    .language_version:
      - 2
      - 0
    .max_flat_workgroup_size: 128
    .name:           _ZN7rocprim17ROCPRIM_400000_NS6detail17trampoline_kernelINS0_14default_configENS1_38merge_sort_block_merge_config_selectorIhNS0_10empty_typeEEEZZNS1_27merge_sort_block_merge_implIS3_N6thrust23THRUST_200600_302600_NS6detail15normal_iteratorINS9_10device_ptrIhEEEEPS5_m11less_div_10IhEEE10hipError_tT0_T1_T2_jT3_P12ihipStream_tbPNSt15iterator_traitsISJ_E10value_typeEPNSP_ISK_E10value_typeEPSL_NS1_7vsmem_tEENKUlT_SJ_SK_SL_E_clIPhSE_SF_SF_EESI_SY_SJ_SK_SL_EUlSY_E_NS1_11comp_targetILNS1_3genE3ELNS1_11target_archE908ELNS1_3gpuE7ELNS1_3repE0EEENS1_48merge_mergepath_partition_config_static_selectorELNS0_4arch9wavefront6targetE0EEEvSK_
    .private_segment_fixed_size: 0
    .sgpr_count:     0
    .sgpr_spill_count: 0
    .symbol:         _ZN7rocprim17ROCPRIM_400000_NS6detail17trampoline_kernelINS0_14default_configENS1_38merge_sort_block_merge_config_selectorIhNS0_10empty_typeEEEZZNS1_27merge_sort_block_merge_implIS3_N6thrust23THRUST_200600_302600_NS6detail15normal_iteratorINS9_10device_ptrIhEEEEPS5_m11less_div_10IhEEE10hipError_tT0_T1_T2_jT3_P12ihipStream_tbPNSt15iterator_traitsISJ_E10value_typeEPNSP_ISK_E10value_typeEPSL_NS1_7vsmem_tEENKUlT_SJ_SK_SL_E_clIPhSE_SF_SF_EESI_SY_SJ_SK_SL_EUlSY_E_NS1_11comp_targetILNS1_3genE3ELNS1_11target_archE908ELNS1_3gpuE7ELNS1_3repE0EEENS1_48merge_mergepath_partition_config_static_selectorELNS0_4arch9wavefront6targetE0EEEvSK_.kd
    .uniform_work_group_size: 1
    .uses_dynamic_stack: false
    .vgpr_count:     0
    .vgpr_spill_count: 0
    .wavefront_size: 32
    .workgroup_processor_mode: 1
  - .args:
      - .offset:         0
        .size:           48
        .value_kind:     by_value
    .group_segment_fixed_size: 0
    .kernarg_segment_align: 8
    .kernarg_segment_size: 48
    .language:       OpenCL C
    .language_version:
      - 2
      - 0
    .max_flat_workgroup_size: 128
    .name:           _ZN7rocprim17ROCPRIM_400000_NS6detail17trampoline_kernelINS0_14default_configENS1_38merge_sort_block_merge_config_selectorIhNS0_10empty_typeEEEZZNS1_27merge_sort_block_merge_implIS3_N6thrust23THRUST_200600_302600_NS6detail15normal_iteratorINS9_10device_ptrIhEEEEPS5_m11less_div_10IhEEE10hipError_tT0_T1_T2_jT3_P12ihipStream_tbPNSt15iterator_traitsISJ_E10value_typeEPNSP_ISK_E10value_typeEPSL_NS1_7vsmem_tEENKUlT_SJ_SK_SL_E_clIPhSE_SF_SF_EESI_SY_SJ_SK_SL_EUlSY_E_NS1_11comp_targetILNS1_3genE2ELNS1_11target_archE906ELNS1_3gpuE6ELNS1_3repE0EEENS1_48merge_mergepath_partition_config_static_selectorELNS0_4arch9wavefront6targetE0EEEvSK_
    .private_segment_fixed_size: 0
    .sgpr_count:     0
    .sgpr_spill_count: 0
    .symbol:         _ZN7rocprim17ROCPRIM_400000_NS6detail17trampoline_kernelINS0_14default_configENS1_38merge_sort_block_merge_config_selectorIhNS0_10empty_typeEEEZZNS1_27merge_sort_block_merge_implIS3_N6thrust23THRUST_200600_302600_NS6detail15normal_iteratorINS9_10device_ptrIhEEEEPS5_m11less_div_10IhEEE10hipError_tT0_T1_T2_jT3_P12ihipStream_tbPNSt15iterator_traitsISJ_E10value_typeEPNSP_ISK_E10value_typeEPSL_NS1_7vsmem_tEENKUlT_SJ_SK_SL_E_clIPhSE_SF_SF_EESI_SY_SJ_SK_SL_EUlSY_E_NS1_11comp_targetILNS1_3genE2ELNS1_11target_archE906ELNS1_3gpuE6ELNS1_3repE0EEENS1_48merge_mergepath_partition_config_static_selectorELNS0_4arch9wavefront6targetE0EEEvSK_.kd
    .uniform_work_group_size: 1
    .uses_dynamic_stack: false
    .vgpr_count:     0
    .vgpr_spill_count: 0
    .wavefront_size: 32
    .workgroup_processor_mode: 1
  - .args:
      - .offset:         0
        .size:           48
        .value_kind:     by_value
    .group_segment_fixed_size: 0
    .kernarg_segment_align: 8
    .kernarg_segment_size: 48
    .language:       OpenCL C
    .language_version:
      - 2
      - 0
    .max_flat_workgroup_size: 128
    .name:           _ZN7rocprim17ROCPRIM_400000_NS6detail17trampoline_kernelINS0_14default_configENS1_38merge_sort_block_merge_config_selectorIhNS0_10empty_typeEEEZZNS1_27merge_sort_block_merge_implIS3_N6thrust23THRUST_200600_302600_NS6detail15normal_iteratorINS9_10device_ptrIhEEEEPS5_m11less_div_10IhEEE10hipError_tT0_T1_T2_jT3_P12ihipStream_tbPNSt15iterator_traitsISJ_E10value_typeEPNSP_ISK_E10value_typeEPSL_NS1_7vsmem_tEENKUlT_SJ_SK_SL_E_clIPhSE_SF_SF_EESI_SY_SJ_SK_SL_EUlSY_E_NS1_11comp_targetILNS1_3genE9ELNS1_11target_archE1100ELNS1_3gpuE3ELNS1_3repE0EEENS1_48merge_mergepath_partition_config_static_selectorELNS0_4arch9wavefront6targetE0EEEvSK_
    .private_segment_fixed_size: 0
    .sgpr_count:     0
    .sgpr_spill_count: 0
    .symbol:         _ZN7rocprim17ROCPRIM_400000_NS6detail17trampoline_kernelINS0_14default_configENS1_38merge_sort_block_merge_config_selectorIhNS0_10empty_typeEEEZZNS1_27merge_sort_block_merge_implIS3_N6thrust23THRUST_200600_302600_NS6detail15normal_iteratorINS9_10device_ptrIhEEEEPS5_m11less_div_10IhEEE10hipError_tT0_T1_T2_jT3_P12ihipStream_tbPNSt15iterator_traitsISJ_E10value_typeEPNSP_ISK_E10value_typeEPSL_NS1_7vsmem_tEENKUlT_SJ_SK_SL_E_clIPhSE_SF_SF_EESI_SY_SJ_SK_SL_EUlSY_E_NS1_11comp_targetILNS1_3genE9ELNS1_11target_archE1100ELNS1_3gpuE3ELNS1_3repE0EEENS1_48merge_mergepath_partition_config_static_selectorELNS0_4arch9wavefront6targetE0EEEvSK_.kd
    .uniform_work_group_size: 1
    .uses_dynamic_stack: false
    .vgpr_count:     0
    .vgpr_spill_count: 0
    .wavefront_size: 32
    .workgroup_processor_mode: 1
  - .args:
      - .offset:         0
        .size:           48
        .value_kind:     by_value
    .group_segment_fixed_size: 0
    .kernarg_segment_align: 8
    .kernarg_segment_size: 48
    .language:       OpenCL C
    .language_version:
      - 2
      - 0
    .max_flat_workgroup_size: 128
    .name:           _ZN7rocprim17ROCPRIM_400000_NS6detail17trampoline_kernelINS0_14default_configENS1_38merge_sort_block_merge_config_selectorIhNS0_10empty_typeEEEZZNS1_27merge_sort_block_merge_implIS3_N6thrust23THRUST_200600_302600_NS6detail15normal_iteratorINS9_10device_ptrIhEEEEPS5_m11less_div_10IhEEE10hipError_tT0_T1_T2_jT3_P12ihipStream_tbPNSt15iterator_traitsISJ_E10value_typeEPNSP_ISK_E10value_typeEPSL_NS1_7vsmem_tEENKUlT_SJ_SK_SL_E_clIPhSE_SF_SF_EESI_SY_SJ_SK_SL_EUlSY_E_NS1_11comp_targetILNS1_3genE8ELNS1_11target_archE1030ELNS1_3gpuE2ELNS1_3repE0EEENS1_48merge_mergepath_partition_config_static_selectorELNS0_4arch9wavefront6targetE0EEEvSK_
    .private_segment_fixed_size: 0
    .sgpr_count:     10
    .sgpr_spill_count: 0
    .symbol:         _ZN7rocprim17ROCPRIM_400000_NS6detail17trampoline_kernelINS0_14default_configENS1_38merge_sort_block_merge_config_selectorIhNS0_10empty_typeEEEZZNS1_27merge_sort_block_merge_implIS3_N6thrust23THRUST_200600_302600_NS6detail15normal_iteratorINS9_10device_ptrIhEEEEPS5_m11less_div_10IhEEE10hipError_tT0_T1_T2_jT3_P12ihipStream_tbPNSt15iterator_traitsISJ_E10value_typeEPNSP_ISK_E10value_typeEPSL_NS1_7vsmem_tEENKUlT_SJ_SK_SL_E_clIPhSE_SF_SF_EESI_SY_SJ_SK_SL_EUlSY_E_NS1_11comp_targetILNS1_3genE8ELNS1_11target_archE1030ELNS1_3gpuE2ELNS1_3repE0EEENS1_48merge_mergepath_partition_config_static_selectorELNS0_4arch9wavefront6targetE0EEEvSK_.kd
    .uniform_work_group_size: 1
    .uses_dynamic_stack: false
    .vgpr_count:     17
    .vgpr_spill_count: 0
    .wavefront_size: 32
    .workgroup_processor_mode: 1
  - .args:
      - .offset:         0
        .size:           72
        .value_kind:     by_value
    .group_segment_fixed_size: 0
    .kernarg_segment_align: 8
    .kernarg_segment_size: 72
    .language:       OpenCL C
    .language_version:
      - 2
      - 0
    .max_flat_workgroup_size: 128
    .name:           _ZN7rocprim17ROCPRIM_400000_NS6detail17trampoline_kernelINS0_14default_configENS1_38merge_sort_block_merge_config_selectorIhNS0_10empty_typeEEEZZNS1_27merge_sort_block_merge_implIS3_N6thrust23THRUST_200600_302600_NS6detail15normal_iteratorINS9_10device_ptrIhEEEEPS5_m11less_div_10IhEEE10hipError_tT0_T1_T2_jT3_P12ihipStream_tbPNSt15iterator_traitsISJ_E10value_typeEPNSP_ISK_E10value_typeEPSL_NS1_7vsmem_tEENKUlT_SJ_SK_SL_E_clIPhSE_SF_SF_EESI_SY_SJ_SK_SL_EUlSY_E0_NS1_11comp_targetILNS1_3genE0ELNS1_11target_archE4294967295ELNS1_3gpuE0ELNS1_3repE0EEENS1_38merge_mergepath_config_static_selectorELNS0_4arch9wavefront6targetE0EEEvSK_
    .private_segment_fixed_size: 0
    .sgpr_count:     0
    .sgpr_spill_count: 0
    .symbol:         _ZN7rocprim17ROCPRIM_400000_NS6detail17trampoline_kernelINS0_14default_configENS1_38merge_sort_block_merge_config_selectorIhNS0_10empty_typeEEEZZNS1_27merge_sort_block_merge_implIS3_N6thrust23THRUST_200600_302600_NS6detail15normal_iteratorINS9_10device_ptrIhEEEEPS5_m11less_div_10IhEEE10hipError_tT0_T1_T2_jT3_P12ihipStream_tbPNSt15iterator_traitsISJ_E10value_typeEPNSP_ISK_E10value_typeEPSL_NS1_7vsmem_tEENKUlT_SJ_SK_SL_E_clIPhSE_SF_SF_EESI_SY_SJ_SK_SL_EUlSY_E0_NS1_11comp_targetILNS1_3genE0ELNS1_11target_archE4294967295ELNS1_3gpuE0ELNS1_3repE0EEENS1_38merge_mergepath_config_static_selectorELNS0_4arch9wavefront6targetE0EEEvSK_.kd
    .uniform_work_group_size: 1
    .uses_dynamic_stack: false
    .vgpr_count:     0
    .vgpr_spill_count: 0
    .wavefront_size: 32
    .workgroup_processor_mode: 1
  - .args:
      - .offset:         0
        .size:           72
        .value_kind:     by_value
    .group_segment_fixed_size: 0
    .kernarg_segment_align: 8
    .kernarg_segment_size: 72
    .language:       OpenCL C
    .language_version:
      - 2
      - 0
    .max_flat_workgroup_size: 128
    .name:           _ZN7rocprim17ROCPRIM_400000_NS6detail17trampoline_kernelINS0_14default_configENS1_38merge_sort_block_merge_config_selectorIhNS0_10empty_typeEEEZZNS1_27merge_sort_block_merge_implIS3_N6thrust23THRUST_200600_302600_NS6detail15normal_iteratorINS9_10device_ptrIhEEEEPS5_m11less_div_10IhEEE10hipError_tT0_T1_T2_jT3_P12ihipStream_tbPNSt15iterator_traitsISJ_E10value_typeEPNSP_ISK_E10value_typeEPSL_NS1_7vsmem_tEENKUlT_SJ_SK_SL_E_clIPhSE_SF_SF_EESI_SY_SJ_SK_SL_EUlSY_E0_NS1_11comp_targetILNS1_3genE10ELNS1_11target_archE1201ELNS1_3gpuE5ELNS1_3repE0EEENS1_38merge_mergepath_config_static_selectorELNS0_4arch9wavefront6targetE0EEEvSK_
    .private_segment_fixed_size: 0
    .sgpr_count:     0
    .sgpr_spill_count: 0
    .symbol:         _ZN7rocprim17ROCPRIM_400000_NS6detail17trampoline_kernelINS0_14default_configENS1_38merge_sort_block_merge_config_selectorIhNS0_10empty_typeEEEZZNS1_27merge_sort_block_merge_implIS3_N6thrust23THRUST_200600_302600_NS6detail15normal_iteratorINS9_10device_ptrIhEEEEPS5_m11less_div_10IhEEE10hipError_tT0_T1_T2_jT3_P12ihipStream_tbPNSt15iterator_traitsISJ_E10value_typeEPNSP_ISK_E10value_typeEPSL_NS1_7vsmem_tEENKUlT_SJ_SK_SL_E_clIPhSE_SF_SF_EESI_SY_SJ_SK_SL_EUlSY_E0_NS1_11comp_targetILNS1_3genE10ELNS1_11target_archE1201ELNS1_3gpuE5ELNS1_3repE0EEENS1_38merge_mergepath_config_static_selectorELNS0_4arch9wavefront6targetE0EEEvSK_.kd
    .uniform_work_group_size: 1
    .uses_dynamic_stack: false
    .vgpr_count:     0
    .vgpr_spill_count: 0
    .wavefront_size: 32
    .workgroup_processor_mode: 1
  - .args:
      - .offset:         0
        .size:           72
        .value_kind:     by_value
    .group_segment_fixed_size: 0
    .kernarg_segment_align: 8
    .kernarg_segment_size: 72
    .language:       OpenCL C
    .language_version:
      - 2
      - 0
    .max_flat_workgroup_size: 128
    .name:           _ZN7rocprim17ROCPRIM_400000_NS6detail17trampoline_kernelINS0_14default_configENS1_38merge_sort_block_merge_config_selectorIhNS0_10empty_typeEEEZZNS1_27merge_sort_block_merge_implIS3_N6thrust23THRUST_200600_302600_NS6detail15normal_iteratorINS9_10device_ptrIhEEEEPS5_m11less_div_10IhEEE10hipError_tT0_T1_T2_jT3_P12ihipStream_tbPNSt15iterator_traitsISJ_E10value_typeEPNSP_ISK_E10value_typeEPSL_NS1_7vsmem_tEENKUlT_SJ_SK_SL_E_clIPhSE_SF_SF_EESI_SY_SJ_SK_SL_EUlSY_E0_NS1_11comp_targetILNS1_3genE5ELNS1_11target_archE942ELNS1_3gpuE9ELNS1_3repE0EEENS1_38merge_mergepath_config_static_selectorELNS0_4arch9wavefront6targetE0EEEvSK_
    .private_segment_fixed_size: 0
    .sgpr_count:     0
    .sgpr_spill_count: 0
    .symbol:         _ZN7rocprim17ROCPRIM_400000_NS6detail17trampoline_kernelINS0_14default_configENS1_38merge_sort_block_merge_config_selectorIhNS0_10empty_typeEEEZZNS1_27merge_sort_block_merge_implIS3_N6thrust23THRUST_200600_302600_NS6detail15normal_iteratorINS9_10device_ptrIhEEEEPS5_m11less_div_10IhEEE10hipError_tT0_T1_T2_jT3_P12ihipStream_tbPNSt15iterator_traitsISJ_E10value_typeEPNSP_ISK_E10value_typeEPSL_NS1_7vsmem_tEENKUlT_SJ_SK_SL_E_clIPhSE_SF_SF_EESI_SY_SJ_SK_SL_EUlSY_E0_NS1_11comp_targetILNS1_3genE5ELNS1_11target_archE942ELNS1_3gpuE9ELNS1_3repE0EEENS1_38merge_mergepath_config_static_selectorELNS0_4arch9wavefront6targetE0EEEvSK_.kd
    .uniform_work_group_size: 1
    .uses_dynamic_stack: false
    .vgpr_count:     0
    .vgpr_spill_count: 0
    .wavefront_size: 32
    .workgroup_processor_mode: 1
  - .args:
      - .offset:         0
        .size:           72
        .value_kind:     by_value
    .group_segment_fixed_size: 0
    .kernarg_segment_align: 8
    .kernarg_segment_size: 72
    .language:       OpenCL C
    .language_version:
      - 2
      - 0
    .max_flat_workgroup_size: 128
    .name:           _ZN7rocprim17ROCPRIM_400000_NS6detail17trampoline_kernelINS0_14default_configENS1_38merge_sort_block_merge_config_selectorIhNS0_10empty_typeEEEZZNS1_27merge_sort_block_merge_implIS3_N6thrust23THRUST_200600_302600_NS6detail15normal_iteratorINS9_10device_ptrIhEEEEPS5_m11less_div_10IhEEE10hipError_tT0_T1_T2_jT3_P12ihipStream_tbPNSt15iterator_traitsISJ_E10value_typeEPNSP_ISK_E10value_typeEPSL_NS1_7vsmem_tEENKUlT_SJ_SK_SL_E_clIPhSE_SF_SF_EESI_SY_SJ_SK_SL_EUlSY_E0_NS1_11comp_targetILNS1_3genE4ELNS1_11target_archE910ELNS1_3gpuE8ELNS1_3repE0EEENS1_38merge_mergepath_config_static_selectorELNS0_4arch9wavefront6targetE0EEEvSK_
    .private_segment_fixed_size: 0
    .sgpr_count:     0
    .sgpr_spill_count: 0
    .symbol:         _ZN7rocprim17ROCPRIM_400000_NS6detail17trampoline_kernelINS0_14default_configENS1_38merge_sort_block_merge_config_selectorIhNS0_10empty_typeEEEZZNS1_27merge_sort_block_merge_implIS3_N6thrust23THRUST_200600_302600_NS6detail15normal_iteratorINS9_10device_ptrIhEEEEPS5_m11less_div_10IhEEE10hipError_tT0_T1_T2_jT3_P12ihipStream_tbPNSt15iterator_traitsISJ_E10value_typeEPNSP_ISK_E10value_typeEPSL_NS1_7vsmem_tEENKUlT_SJ_SK_SL_E_clIPhSE_SF_SF_EESI_SY_SJ_SK_SL_EUlSY_E0_NS1_11comp_targetILNS1_3genE4ELNS1_11target_archE910ELNS1_3gpuE8ELNS1_3repE0EEENS1_38merge_mergepath_config_static_selectorELNS0_4arch9wavefront6targetE0EEEvSK_.kd
    .uniform_work_group_size: 1
    .uses_dynamic_stack: false
    .vgpr_count:     0
    .vgpr_spill_count: 0
    .wavefront_size: 32
    .workgroup_processor_mode: 1
  - .args:
      - .offset:         0
        .size:           72
        .value_kind:     by_value
    .group_segment_fixed_size: 0
    .kernarg_segment_align: 8
    .kernarg_segment_size: 72
    .language:       OpenCL C
    .language_version:
      - 2
      - 0
    .max_flat_workgroup_size: 128
    .name:           _ZN7rocprim17ROCPRIM_400000_NS6detail17trampoline_kernelINS0_14default_configENS1_38merge_sort_block_merge_config_selectorIhNS0_10empty_typeEEEZZNS1_27merge_sort_block_merge_implIS3_N6thrust23THRUST_200600_302600_NS6detail15normal_iteratorINS9_10device_ptrIhEEEEPS5_m11less_div_10IhEEE10hipError_tT0_T1_T2_jT3_P12ihipStream_tbPNSt15iterator_traitsISJ_E10value_typeEPNSP_ISK_E10value_typeEPSL_NS1_7vsmem_tEENKUlT_SJ_SK_SL_E_clIPhSE_SF_SF_EESI_SY_SJ_SK_SL_EUlSY_E0_NS1_11comp_targetILNS1_3genE3ELNS1_11target_archE908ELNS1_3gpuE7ELNS1_3repE0EEENS1_38merge_mergepath_config_static_selectorELNS0_4arch9wavefront6targetE0EEEvSK_
    .private_segment_fixed_size: 0
    .sgpr_count:     0
    .sgpr_spill_count: 0
    .symbol:         _ZN7rocprim17ROCPRIM_400000_NS6detail17trampoline_kernelINS0_14default_configENS1_38merge_sort_block_merge_config_selectorIhNS0_10empty_typeEEEZZNS1_27merge_sort_block_merge_implIS3_N6thrust23THRUST_200600_302600_NS6detail15normal_iteratorINS9_10device_ptrIhEEEEPS5_m11less_div_10IhEEE10hipError_tT0_T1_T2_jT3_P12ihipStream_tbPNSt15iterator_traitsISJ_E10value_typeEPNSP_ISK_E10value_typeEPSL_NS1_7vsmem_tEENKUlT_SJ_SK_SL_E_clIPhSE_SF_SF_EESI_SY_SJ_SK_SL_EUlSY_E0_NS1_11comp_targetILNS1_3genE3ELNS1_11target_archE908ELNS1_3gpuE7ELNS1_3repE0EEENS1_38merge_mergepath_config_static_selectorELNS0_4arch9wavefront6targetE0EEEvSK_.kd
    .uniform_work_group_size: 1
    .uses_dynamic_stack: false
    .vgpr_count:     0
    .vgpr_spill_count: 0
    .wavefront_size: 32
    .workgroup_processor_mode: 1
  - .args:
      - .offset:         0
        .size:           72
        .value_kind:     by_value
    .group_segment_fixed_size: 0
    .kernarg_segment_align: 8
    .kernarg_segment_size: 72
    .language:       OpenCL C
    .language_version:
      - 2
      - 0
    .max_flat_workgroup_size: 128
    .name:           _ZN7rocprim17ROCPRIM_400000_NS6detail17trampoline_kernelINS0_14default_configENS1_38merge_sort_block_merge_config_selectorIhNS0_10empty_typeEEEZZNS1_27merge_sort_block_merge_implIS3_N6thrust23THRUST_200600_302600_NS6detail15normal_iteratorINS9_10device_ptrIhEEEEPS5_m11less_div_10IhEEE10hipError_tT0_T1_T2_jT3_P12ihipStream_tbPNSt15iterator_traitsISJ_E10value_typeEPNSP_ISK_E10value_typeEPSL_NS1_7vsmem_tEENKUlT_SJ_SK_SL_E_clIPhSE_SF_SF_EESI_SY_SJ_SK_SL_EUlSY_E0_NS1_11comp_targetILNS1_3genE2ELNS1_11target_archE906ELNS1_3gpuE6ELNS1_3repE0EEENS1_38merge_mergepath_config_static_selectorELNS0_4arch9wavefront6targetE0EEEvSK_
    .private_segment_fixed_size: 0
    .sgpr_count:     0
    .sgpr_spill_count: 0
    .symbol:         _ZN7rocprim17ROCPRIM_400000_NS6detail17trampoline_kernelINS0_14default_configENS1_38merge_sort_block_merge_config_selectorIhNS0_10empty_typeEEEZZNS1_27merge_sort_block_merge_implIS3_N6thrust23THRUST_200600_302600_NS6detail15normal_iteratorINS9_10device_ptrIhEEEEPS5_m11less_div_10IhEEE10hipError_tT0_T1_T2_jT3_P12ihipStream_tbPNSt15iterator_traitsISJ_E10value_typeEPNSP_ISK_E10value_typeEPSL_NS1_7vsmem_tEENKUlT_SJ_SK_SL_E_clIPhSE_SF_SF_EESI_SY_SJ_SK_SL_EUlSY_E0_NS1_11comp_targetILNS1_3genE2ELNS1_11target_archE906ELNS1_3gpuE6ELNS1_3repE0EEENS1_38merge_mergepath_config_static_selectorELNS0_4arch9wavefront6targetE0EEEvSK_.kd
    .uniform_work_group_size: 1
    .uses_dynamic_stack: false
    .vgpr_count:     0
    .vgpr_spill_count: 0
    .wavefront_size: 32
    .workgroup_processor_mode: 1
  - .args:
      - .offset:         0
        .size:           72
        .value_kind:     by_value
    .group_segment_fixed_size: 0
    .kernarg_segment_align: 8
    .kernarg_segment_size: 72
    .language:       OpenCL C
    .language_version:
      - 2
      - 0
    .max_flat_workgroup_size: 128
    .name:           _ZN7rocprim17ROCPRIM_400000_NS6detail17trampoline_kernelINS0_14default_configENS1_38merge_sort_block_merge_config_selectorIhNS0_10empty_typeEEEZZNS1_27merge_sort_block_merge_implIS3_N6thrust23THRUST_200600_302600_NS6detail15normal_iteratorINS9_10device_ptrIhEEEEPS5_m11less_div_10IhEEE10hipError_tT0_T1_T2_jT3_P12ihipStream_tbPNSt15iterator_traitsISJ_E10value_typeEPNSP_ISK_E10value_typeEPSL_NS1_7vsmem_tEENKUlT_SJ_SK_SL_E_clIPhSE_SF_SF_EESI_SY_SJ_SK_SL_EUlSY_E0_NS1_11comp_targetILNS1_3genE9ELNS1_11target_archE1100ELNS1_3gpuE3ELNS1_3repE0EEENS1_38merge_mergepath_config_static_selectorELNS0_4arch9wavefront6targetE0EEEvSK_
    .private_segment_fixed_size: 0
    .sgpr_count:     0
    .sgpr_spill_count: 0
    .symbol:         _ZN7rocprim17ROCPRIM_400000_NS6detail17trampoline_kernelINS0_14default_configENS1_38merge_sort_block_merge_config_selectorIhNS0_10empty_typeEEEZZNS1_27merge_sort_block_merge_implIS3_N6thrust23THRUST_200600_302600_NS6detail15normal_iteratorINS9_10device_ptrIhEEEEPS5_m11less_div_10IhEEE10hipError_tT0_T1_T2_jT3_P12ihipStream_tbPNSt15iterator_traitsISJ_E10value_typeEPNSP_ISK_E10value_typeEPSL_NS1_7vsmem_tEENKUlT_SJ_SK_SL_E_clIPhSE_SF_SF_EESI_SY_SJ_SK_SL_EUlSY_E0_NS1_11comp_targetILNS1_3genE9ELNS1_11target_archE1100ELNS1_3gpuE3ELNS1_3repE0EEENS1_38merge_mergepath_config_static_selectorELNS0_4arch9wavefront6targetE0EEEvSK_.kd
    .uniform_work_group_size: 1
    .uses_dynamic_stack: false
    .vgpr_count:     0
    .vgpr_spill_count: 0
    .wavefront_size: 32
    .workgroup_processor_mode: 1
  - .args:
      - .offset:         0
        .size:           72
        .value_kind:     by_value
      - .offset:         72
        .size:           4
        .value_kind:     hidden_block_count_x
      - .offset:         76
        .size:           4
        .value_kind:     hidden_block_count_y
      - .offset:         80
        .size:           4
        .value_kind:     hidden_block_count_z
      - .offset:         84
        .size:           2
        .value_kind:     hidden_group_size_x
      - .offset:         86
        .size:           2
        .value_kind:     hidden_group_size_y
      - .offset:         88
        .size:           2
        .value_kind:     hidden_group_size_z
      - .offset:         90
        .size:           2
        .value_kind:     hidden_remainder_x
      - .offset:         92
        .size:           2
        .value_kind:     hidden_remainder_y
      - .offset:         94
        .size:           2
        .value_kind:     hidden_remainder_z
      - .offset:         112
        .size:           8
        .value_kind:     hidden_global_offset_x
      - .offset:         120
        .size:           8
        .value_kind:     hidden_global_offset_y
      - .offset:         128
        .size:           8
        .value_kind:     hidden_global_offset_z
      - .offset:         136
        .size:           2
        .value_kind:     hidden_grid_dims
    .group_segment_fixed_size: 1056
    .kernarg_segment_align: 8
    .kernarg_segment_size: 328
    .language:       OpenCL C
    .language_version:
      - 2
      - 0
    .max_flat_workgroup_size: 128
    .name:           _ZN7rocprim17ROCPRIM_400000_NS6detail17trampoline_kernelINS0_14default_configENS1_38merge_sort_block_merge_config_selectorIhNS0_10empty_typeEEEZZNS1_27merge_sort_block_merge_implIS3_N6thrust23THRUST_200600_302600_NS6detail15normal_iteratorINS9_10device_ptrIhEEEEPS5_m11less_div_10IhEEE10hipError_tT0_T1_T2_jT3_P12ihipStream_tbPNSt15iterator_traitsISJ_E10value_typeEPNSP_ISK_E10value_typeEPSL_NS1_7vsmem_tEENKUlT_SJ_SK_SL_E_clIPhSE_SF_SF_EESI_SY_SJ_SK_SL_EUlSY_E0_NS1_11comp_targetILNS1_3genE8ELNS1_11target_archE1030ELNS1_3gpuE2ELNS1_3repE0EEENS1_38merge_mergepath_config_static_selectorELNS0_4arch9wavefront6targetE0EEEvSK_
    .private_segment_fixed_size: 0
    .sgpr_count:     33
    .sgpr_spill_count: 0
    .symbol:         _ZN7rocprim17ROCPRIM_400000_NS6detail17trampoline_kernelINS0_14default_configENS1_38merge_sort_block_merge_config_selectorIhNS0_10empty_typeEEEZZNS1_27merge_sort_block_merge_implIS3_N6thrust23THRUST_200600_302600_NS6detail15normal_iteratorINS9_10device_ptrIhEEEEPS5_m11less_div_10IhEEE10hipError_tT0_T1_T2_jT3_P12ihipStream_tbPNSt15iterator_traitsISJ_E10value_typeEPNSP_ISK_E10value_typeEPSL_NS1_7vsmem_tEENKUlT_SJ_SK_SL_E_clIPhSE_SF_SF_EESI_SY_SJ_SK_SL_EUlSY_E0_NS1_11comp_targetILNS1_3genE8ELNS1_11target_archE1030ELNS1_3gpuE2ELNS1_3repE0EEENS1_38merge_mergepath_config_static_selectorELNS0_4arch9wavefront6targetE0EEEvSK_.kd
    .uniform_work_group_size: 1
    .uses_dynamic_stack: false
    .vgpr_count:     27
    .vgpr_spill_count: 0
    .wavefront_size: 32
    .workgroup_processor_mode: 1
  - .args:
      - .offset:         0
        .size:           56
        .value_kind:     by_value
    .group_segment_fixed_size: 0
    .kernarg_segment_align: 8
    .kernarg_segment_size: 56
    .language:       OpenCL C
    .language_version:
      - 2
      - 0
    .max_flat_workgroup_size: 256
    .name:           _ZN7rocprim17ROCPRIM_400000_NS6detail17trampoline_kernelINS0_14default_configENS1_38merge_sort_block_merge_config_selectorIhNS0_10empty_typeEEEZZNS1_27merge_sort_block_merge_implIS3_N6thrust23THRUST_200600_302600_NS6detail15normal_iteratorINS9_10device_ptrIhEEEEPS5_m11less_div_10IhEEE10hipError_tT0_T1_T2_jT3_P12ihipStream_tbPNSt15iterator_traitsISJ_E10value_typeEPNSP_ISK_E10value_typeEPSL_NS1_7vsmem_tEENKUlT_SJ_SK_SL_E_clIPhSE_SF_SF_EESI_SY_SJ_SK_SL_EUlSY_E1_NS1_11comp_targetILNS1_3genE0ELNS1_11target_archE4294967295ELNS1_3gpuE0ELNS1_3repE0EEENS1_36merge_oddeven_config_static_selectorELNS0_4arch9wavefront6targetE0EEEvSK_
    .private_segment_fixed_size: 0
    .sgpr_count:     0
    .sgpr_spill_count: 0
    .symbol:         _ZN7rocprim17ROCPRIM_400000_NS6detail17trampoline_kernelINS0_14default_configENS1_38merge_sort_block_merge_config_selectorIhNS0_10empty_typeEEEZZNS1_27merge_sort_block_merge_implIS3_N6thrust23THRUST_200600_302600_NS6detail15normal_iteratorINS9_10device_ptrIhEEEEPS5_m11less_div_10IhEEE10hipError_tT0_T1_T2_jT3_P12ihipStream_tbPNSt15iterator_traitsISJ_E10value_typeEPNSP_ISK_E10value_typeEPSL_NS1_7vsmem_tEENKUlT_SJ_SK_SL_E_clIPhSE_SF_SF_EESI_SY_SJ_SK_SL_EUlSY_E1_NS1_11comp_targetILNS1_3genE0ELNS1_11target_archE4294967295ELNS1_3gpuE0ELNS1_3repE0EEENS1_36merge_oddeven_config_static_selectorELNS0_4arch9wavefront6targetE0EEEvSK_.kd
    .uniform_work_group_size: 1
    .uses_dynamic_stack: false
    .vgpr_count:     0
    .vgpr_spill_count: 0
    .wavefront_size: 32
    .workgroup_processor_mode: 1
  - .args:
      - .offset:         0
        .size:           56
        .value_kind:     by_value
    .group_segment_fixed_size: 0
    .kernarg_segment_align: 8
    .kernarg_segment_size: 56
    .language:       OpenCL C
    .language_version:
      - 2
      - 0
    .max_flat_workgroup_size: 256
    .name:           _ZN7rocprim17ROCPRIM_400000_NS6detail17trampoline_kernelINS0_14default_configENS1_38merge_sort_block_merge_config_selectorIhNS0_10empty_typeEEEZZNS1_27merge_sort_block_merge_implIS3_N6thrust23THRUST_200600_302600_NS6detail15normal_iteratorINS9_10device_ptrIhEEEEPS5_m11less_div_10IhEEE10hipError_tT0_T1_T2_jT3_P12ihipStream_tbPNSt15iterator_traitsISJ_E10value_typeEPNSP_ISK_E10value_typeEPSL_NS1_7vsmem_tEENKUlT_SJ_SK_SL_E_clIPhSE_SF_SF_EESI_SY_SJ_SK_SL_EUlSY_E1_NS1_11comp_targetILNS1_3genE10ELNS1_11target_archE1201ELNS1_3gpuE5ELNS1_3repE0EEENS1_36merge_oddeven_config_static_selectorELNS0_4arch9wavefront6targetE0EEEvSK_
    .private_segment_fixed_size: 0
    .sgpr_count:     0
    .sgpr_spill_count: 0
    .symbol:         _ZN7rocprim17ROCPRIM_400000_NS6detail17trampoline_kernelINS0_14default_configENS1_38merge_sort_block_merge_config_selectorIhNS0_10empty_typeEEEZZNS1_27merge_sort_block_merge_implIS3_N6thrust23THRUST_200600_302600_NS6detail15normal_iteratorINS9_10device_ptrIhEEEEPS5_m11less_div_10IhEEE10hipError_tT0_T1_T2_jT3_P12ihipStream_tbPNSt15iterator_traitsISJ_E10value_typeEPNSP_ISK_E10value_typeEPSL_NS1_7vsmem_tEENKUlT_SJ_SK_SL_E_clIPhSE_SF_SF_EESI_SY_SJ_SK_SL_EUlSY_E1_NS1_11comp_targetILNS1_3genE10ELNS1_11target_archE1201ELNS1_3gpuE5ELNS1_3repE0EEENS1_36merge_oddeven_config_static_selectorELNS0_4arch9wavefront6targetE0EEEvSK_.kd
    .uniform_work_group_size: 1
    .uses_dynamic_stack: false
    .vgpr_count:     0
    .vgpr_spill_count: 0
    .wavefront_size: 32
    .workgroup_processor_mode: 1
  - .args:
      - .offset:         0
        .size:           56
        .value_kind:     by_value
    .group_segment_fixed_size: 0
    .kernarg_segment_align: 8
    .kernarg_segment_size: 56
    .language:       OpenCL C
    .language_version:
      - 2
      - 0
    .max_flat_workgroup_size: 256
    .name:           _ZN7rocprim17ROCPRIM_400000_NS6detail17trampoline_kernelINS0_14default_configENS1_38merge_sort_block_merge_config_selectorIhNS0_10empty_typeEEEZZNS1_27merge_sort_block_merge_implIS3_N6thrust23THRUST_200600_302600_NS6detail15normal_iteratorINS9_10device_ptrIhEEEEPS5_m11less_div_10IhEEE10hipError_tT0_T1_T2_jT3_P12ihipStream_tbPNSt15iterator_traitsISJ_E10value_typeEPNSP_ISK_E10value_typeEPSL_NS1_7vsmem_tEENKUlT_SJ_SK_SL_E_clIPhSE_SF_SF_EESI_SY_SJ_SK_SL_EUlSY_E1_NS1_11comp_targetILNS1_3genE5ELNS1_11target_archE942ELNS1_3gpuE9ELNS1_3repE0EEENS1_36merge_oddeven_config_static_selectorELNS0_4arch9wavefront6targetE0EEEvSK_
    .private_segment_fixed_size: 0
    .sgpr_count:     0
    .sgpr_spill_count: 0
    .symbol:         _ZN7rocprim17ROCPRIM_400000_NS6detail17trampoline_kernelINS0_14default_configENS1_38merge_sort_block_merge_config_selectorIhNS0_10empty_typeEEEZZNS1_27merge_sort_block_merge_implIS3_N6thrust23THRUST_200600_302600_NS6detail15normal_iteratorINS9_10device_ptrIhEEEEPS5_m11less_div_10IhEEE10hipError_tT0_T1_T2_jT3_P12ihipStream_tbPNSt15iterator_traitsISJ_E10value_typeEPNSP_ISK_E10value_typeEPSL_NS1_7vsmem_tEENKUlT_SJ_SK_SL_E_clIPhSE_SF_SF_EESI_SY_SJ_SK_SL_EUlSY_E1_NS1_11comp_targetILNS1_3genE5ELNS1_11target_archE942ELNS1_3gpuE9ELNS1_3repE0EEENS1_36merge_oddeven_config_static_selectorELNS0_4arch9wavefront6targetE0EEEvSK_.kd
    .uniform_work_group_size: 1
    .uses_dynamic_stack: false
    .vgpr_count:     0
    .vgpr_spill_count: 0
    .wavefront_size: 32
    .workgroup_processor_mode: 1
  - .args:
      - .offset:         0
        .size:           56
        .value_kind:     by_value
    .group_segment_fixed_size: 0
    .kernarg_segment_align: 8
    .kernarg_segment_size: 56
    .language:       OpenCL C
    .language_version:
      - 2
      - 0
    .max_flat_workgroup_size: 256
    .name:           _ZN7rocprim17ROCPRIM_400000_NS6detail17trampoline_kernelINS0_14default_configENS1_38merge_sort_block_merge_config_selectorIhNS0_10empty_typeEEEZZNS1_27merge_sort_block_merge_implIS3_N6thrust23THRUST_200600_302600_NS6detail15normal_iteratorINS9_10device_ptrIhEEEEPS5_m11less_div_10IhEEE10hipError_tT0_T1_T2_jT3_P12ihipStream_tbPNSt15iterator_traitsISJ_E10value_typeEPNSP_ISK_E10value_typeEPSL_NS1_7vsmem_tEENKUlT_SJ_SK_SL_E_clIPhSE_SF_SF_EESI_SY_SJ_SK_SL_EUlSY_E1_NS1_11comp_targetILNS1_3genE4ELNS1_11target_archE910ELNS1_3gpuE8ELNS1_3repE0EEENS1_36merge_oddeven_config_static_selectorELNS0_4arch9wavefront6targetE0EEEvSK_
    .private_segment_fixed_size: 0
    .sgpr_count:     0
    .sgpr_spill_count: 0
    .symbol:         _ZN7rocprim17ROCPRIM_400000_NS6detail17trampoline_kernelINS0_14default_configENS1_38merge_sort_block_merge_config_selectorIhNS0_10empty_typeEEEZZNS1_27merge_sort_block_merge_implIS3_N6thrust23THRUST_200600_302600_NS6detail15normal_iteratorINS9_10device_ptrIhEEEEPS5_m11less_div_10IhEEE10hipError_tT0_T1_T2_jT3_P12ihipStream_tbPNSt15iterator_traitsISJ_E10value_typeEPNSP_ISK_E10value_typeEPSL_NS1_7vsmem_tEENKUlT_SJ_SK_SL_E_clIPhSE_SF_SF_EESI_SY_SJ_SK_SL_EUlSY_E1_NS1_11comp_targetILNS1_3genE4ELNS1_11target_archE910ELNS1_3gpuE8ELNS1_3repE0EEENS1_36merge_oddeven_config_static_selectorELNS0_4arch9wavefront6targetE0EEEvSK_.kd
    .uniform_work_group_size: 1
    .uses_dynamic_stack: false
    .vgpr_count:     0
    .vgpr_spill_count: 0
    .wavefront_size: 32
    .workgroup_processor_mode: 1
  - .args:
      - .offset:         0
        .size:           56
        .value_kind:     by_value
    .group_segment_fixed_size: 0
    .kernarg_segment_align: 8
    .kernarg_segment_size: 56
    .language:       OpenCL C
    .language_version:
      - 2
      - 0
    .max_flat_workgroup_size: 256
    .name:           _ZN7rocprim17ROCPRIM_400000_NS6detail17trampoline_kernelINS0_14default_configENS1_38merge_sort_block_merge_config_selectorIhNS0_10empty_typeEEEZZNS1_27merge_sort_block_merge_implIS3_N6thrust23THRUST_200600_302600_NS6detail15normal_iteratorINS9_10device_ptrIhEEEEPS5_m11less_div_10IhEEE10hipError_tT0_T1_T2_jT3_P12ihipStream_tbPNSt15iterator_traitsISJ_E10value_typeEPNSP_ISK_E10value_typeEPSL_NS1_7vsmem_tEENKUlT_SJ_SK_SL_E_clIPhSE_SF_SF_EESI_SY_SJ_SK_SL_EUlSY_E1_NS1_11comp_targetILNS1_3genE3ELNS1_11target_archE908ELNS1_3gpuE7ELNS1_3repE0EEENS1_36merge_oddeven_config_static_selectorELNS0_4arch9wavefront6targetE0EEEvSK_
    .private_segment_fixed_size: 0
    .sgpr_count:     0
    .sgpr_spill_count: 0
    .symbol:         _ZN7rocprim17ROCPRIM_400000_NS6detail17trampoline_kernelINS0_14default_configENS1_38merge_sort_block_merge_config_selectorIhNS0_10empty_typeEEEZZNS1_27merge_sort_block_merge_implIS3_N6thrust23THRUST_200600_302600_NS6detail15normal_iteratorINS9_10device_ptrIhEEEEPS5_m11less_div_10IhEEE10hipError_tT0_T1_T2_jT3_P12ihipStream_tbPNSt15iterator_traitsISJ_E10value_typeEPNSP_ISK_E10value_typeEPSL_NS1_7vsmem_tEENKUlT_SJ_SK_SL_E_clIPhSE_SF_SF_EESI_SY_SJ_SK_SL_EUlSY_E1_NS1_11comp_targetILNS1_3genE3ELNS1_11target_archE908ELNS1_3gpuE7ELNS1_3repE0EEENS1_36merge_oddeven_config_static_selectorELNS0_4arch9wavefront6targetE0EEEvSK_.kd
    .uniform_work_group_size: 1
    .uses_dynamic_stack: false
    .vgpr_count:     0
    .vgpr_spill_count: 0
    .wavefront_size: 32
    .workgroup_processor_mode: 1
  - .args:
      - .offset:         0
        .size:           56
        .value_kind:     by_value
    .group_segment_fixed_size: 0
    .kernarg_segment_align: 8
    .kernarg_segment_size: 56
    .language:       OpenCL C
    .language_version:
      - 2
      - 0
    .max_flat_workgroup_size: 256
    .name:           _ZN7rocprim17ROCPRIM_400000_NS6detail17trampoline_kernelINS0_14default_configENS1_38merge_sort_block_merge_config_selectorIhNS0_10empty_typeEEEZZNS1_27merge_sort_block_merge_implIS3_N6thrust23THRUST_200600_302600_NS6detail15normal_iteratorINS9_10device_ptrIhEEEEPS5_m11less_div_10IhEEE10hipError_tT0_T1_T2_jT3_P12ihipStream_tbPNSt15iterator_traitsISJ_E10value_typeEPNSP_ISK_E10value_typeEPSL_NS1_7vsmem_tEENKUlT_SJ_SK_SL_E_clIPhSE_SF_SF_EESI_SY_SJ_SK_SL_EUlSY_E1_NS1_11comp_targetILNS1_3genE2ELNS1_11target_archE906ELNS1_3gpuE6ELNS1_3repE0EEENS1_36merge_oddeven_config_static_selectorELNS0_4arch9wavefront6targetE0EEEvSK_
    .private_segment_fixed_size: 0
    .sgpr_count:     0
    .sgpr_spill_count: 0
    .symbol:         _ZN7rocprim17ROCPRIM_400000_NS6detail17trampoline_kernelINS0_14default_configENS1_38merge_sort_block_merge_config_selectorIhNS0_10empty_typeEEEZZNS1_27merge_sort_block_merge_implIS3_N6thrust23THRUST_200600_302600_NS6detail15normal_iteratorINS9_10device_ptrIhEEEEPS5_m11less_div_10IhEEE10hipError_tT0_T1_T2_jT3_P12ihipStream_tbPNSt15iterator_traitsISJ_E10value_typeEPNSP_ISK_E10value_typeEPSL_NS1_7vsmem_tEENKUlT_SJ_SK_SL_E_clIPhSE_SF_SF_EESI_SY_SJ_SK_SL_EUlSY_E1_NS1_11comp_targetILNS1_3genE2ELNS1_11target_archE906ELNS1_3gpuE6ELNS1_3repE0EEENS1_36merge_oddeven_config_static_selectorELNS0_4arch9wavefront6targetE0EEEvSK_.kd
    .uniform_work_group_size: 1
    .uses_dynamic_stack: false
    .vgpr_count:     0
    .vgpr_spill_count: 0
    .wavefront_size: 32
    .workgroup_processor_mode: 1
  - .args:
      - .offset:         0
        .size:           56
        .value_kind:     by_value
    .group_segment_fixed_size: 0
    .kernarg_segment_align: 8
    .kernarg_segment_size: 56
    .language:       OpenCL C
    .language_version:
      - 2
      - 0
    .max_flat_workgroup_size: 256
    .name:           _ZN7rocprim17ROCPRIM_400000_NS6detail17trampoline_kernelINS0_14default_configENS1_38merge_sort_block_merge_config_selectorIhNS0_10empty_typeEEEZZNS1_27merge_sort_block_merge_implIS3_N6thrust23THRUST_200600_302600_NS6detail15normal_iteratorINS9_10device_ptrIhEEEEPS5_m11less_div_10IhEEE10hipError_tT0_T1_T2_jT3_P12ihipStream_tbPNSt15iterator_traitsISJ_E10value_typeEPNSP_ISK_E10value_typeEPSL_NS1_7vsmem_tEENKUlT_SJ_SK_SL_E_clIPhSE_SF_SF_EESI_SY_SJ_SK_SL_EUlSY_E1_NS1_11comp_targetILNS1_3genE9ELNS1_11target_archE1100ELNS1_3gpuE3ELNS1_3repE0EEENS1_36merge_oddeven_config_static_selectorELNS0_4arch9wavefront6targetE0EEEvSK_
    .private_segment_fixed_size: 0
    .sgpr_count:     0
    .sgpr_spill_count: 0
    .symbol:         _ZN7rocprim17ROCPRIM_400000_NS6detail17trampoline_kernelINS0_14default_configENS1_38merge_sort_block_merge_config_selectorIhNS0_10empty_typeEEEZZNS1_27merge_sort_block_merge_implIS3_N6thrust23THRUST_200600_302600_NS6detail15normal_iteratorINS9_10device_ptrIhEEEEPS5_m11less_div_10IhEEE10hipError_tT0_T1_T2_jT3_P12ihipStream_tbPNSt15iterator_traitsISJ_E10value_typeEPNSP_ISK_E10value_typeEPSL_NS1_7vsmem_tEENKUlT_SJ_SK_SL_E_clIPhSE_SF_SF_EESI_SY_SJ_SK_SL_EUlSY_E1_NS1_11comp_targetILNS1_3genE9ELNS1_11target_archE1100ELNS1_3gpuE3ELNS1_3repE0EEENS1_36merge_oddeven_config_static_selectorELNS0_4arch9wavefront6targetE0EEEvSK_.kd
    .uniform_work_group_size: 1
    .uses_dynamic_stack: false
    .vgpr_count:     0
    .vgpr_spill_count: 0
    .wavefront_size: 32
    .workgroup_processor_mode: 1
  - .args:
      - .offset:         0
        .size:           56
        .value_kind:     by_value
    .group_segment_fixed_size: 0
    .kernarg_segment_align: 8
    .kernarg_segment_size: 56
    .language:       OpenCL C
    .language_version:
      - 2
      - 0
    .max_flat_workgroup_size: 256
    .name:           _ZN7rocprim17ROCPRIM_400000_NS6detail17trampoline_kernelINS0_14default_configENS1_38merge_sort_block_merge_config_selectorIhNS0_10empty_typeEEEZZNS1_27merge_sort_block_merge_implIS3_N6thrust23THRUST_200600_302600_NS6detail15normal_iteratorINS9_10device_ptrIhEEEEPS5_m11less_div_10IhEEE10hipError_tT0_T1_T2_jT3_P12ihipStream_tbPNSt15iterator_traitsISJ_E10value_typeEPNSP_ISK_E10value_typeEPSL_NS1_7vsmem_tEENKUlT_SJ_SK_SL_E_clIPhSE_SF_SF_EESI_SY_SJ_SK_SL_EUlSY_E1_NS1_11comp_targetILNS1_3genE8ELNS1_11target_archE1030ELNS1_3gpuE2ELNS1_3repE0EEENS1_36merge_oddeven_config_static_selectorELNS0_4arch9wavefront6targetE0EEEvSK_
    .private_segment_fixed_size: 0
    .sgpr_count:     18
    .sgpr_spill_count: 0
    .symbol:         _ZN7rocprim17ROCPRIM_400000_NS6detail17trampoline_kernelINS0_14default_configENS1_38merge_sort_block_merge_config_selectorIhNS0_10empty_typeEEEZZNS1_27merge_sort_block_merge_implIS3_N6thrust23THRUST_200600_302600_NS6detail15normal_iteratorINS9_10device_ptrIhEEEEPS5_m11less_div_10IhEEE10hipError_tT0_T1_T2_jT3_P12ihipStream_tbPNSt15iterator_traitsISJ_E10value_typeEPNSP_ISK_E10value_typeEPSL_NS1_7vsmem_tEENKUlT_SJ_SK_SL_E_clIPhSE_SF_SF_EESI_SY_SJ_SK_SL_EUlSY_E1_NS1_11comp_targetILNS1_3genE8ELNS1_11target_archE1030ELNS1_3gpuE2ELNS1_3repE0EEENS1_36merge_oddeven_config_static_selectorELNS0_4arch9wavefront6targetE0EEEvSK_.kd
    .uniform_work_group_size: 1
    .uses_dynamic_stack: false
    .vgpr_count:     8
    .vgpr_spill_count: 0
    .wavefront_size: 32
    .workgroup_processor_mode: 1
  - .args:
      - .offset:         0
        .size:           48
        .value_kind:     by_value
    .group_segment_fixed_size: 0
    .kernarg_segment_align: 8
    .kernarg_segment_size: 48
    .language:       OpenCL C
    .language_version:
      - 2
      - 0
    .max_flat_workgroup_size: 128
    .name:           _ZN7rocprim17ROCPRIM_400000_NS6detail17trampoline_kernelINS0_14default_configENS1_38merge_sort_block_merge_config_selectorIhNS0_10empty_typeEEEZZNS1_27merge_sort_block_merge_implIS3_N6thrust23THRUST_200600_302600_NS6detail15normal_iteratorINS9_10device_ptrIhEEEEPS5_m11less_div_10IhEEE10hipError_tT0_T1_T2_jT3_P12ihipStream_tbPNSt15iterator_traitsISJ_E10value_typeEPNSP_ISK_E10value_typeEPSL_NS1_7vsmem_tEENKUlT_SJ_SK_SL_E_clISE_PhSF_SF_EESI_SY_SJ_SK_SL_EUlSY_E_NS1_11comp_targetILNS1_3genE0ELNS1_11target_archE4294967295ELNS1_3gpuE0ELNS1_3repE0EEENS1_48merge_mergepath_partition_config_static_selectorELNS0_4arch9wavefront6targetE0EEEvSK_
    .private_segment_fixed_size: 0
    .sgpr_count:     0
    .sgpr_spill_count: 0
    .symbol:         _ZN7rocprim17ROCPRIM_400000_NS6detail17trampoline_kernelINS0_14default_configENS1_38merge_sort_block_merge_config_selectorIhNS0_10empty_typeEEEZZNS1_27merge_sort_block_merge_implIS3_N6thrust23THRUST_200600_302600_NS6detail15normal_iteratorINS9_10device_ptrIhEEEEPS5_m11less_div_10IhEEE10hipError_tT0_T1_T2_jT3_P12ihipStream_tbPNSt15iterator_traitsISJ_E10value_typeEPNSP_ISK_E10value_typeEPSL_NS1_7vsmem_tEENKUlT_SJ_SK_SL_E_clISE_PhSF_SF_EESI_SY_SJ_SK_SL_EUlSY_E_NS1_11comp_targetILNS1_3genE0ELNS1_11target_archE4294967295ELNS1_3gpuE0ELNS1_3repE0EEENS1_48merge_mergepath_partition_config_static_selectorELNS0_4arch9wavefront6targetE0EEEvSK_.kd
    .uniform_work_group_size: 1
    .uses_dynamic_stack: false
    .vgpr_count:     0
    .vgpr_spill_count: 0
    .wavefront_size: 32
    .workgroup_processor_mode: 1
  - .args:
      - .offset:         0
        .size:           48
        .value_kind:     by_value
    .group_segment_fixed_size: 0
    .kernarg_segment_align: 8
    .kernarg_segment_size: 48
    .language:       OpenCL C
    .language_version:
      - 2
      - 0
    .max_flat_workgroup_size: 128
    .name:           _ZN7rocprim17ROCPRIM_400000_NS6detail17trampoline_kernelINS0_14default_configENS1_38merge_sort_block_merge_config_selectorIhNS0_10empty_typeEEEZZNS1_27merge_sort_block_merge_implIS3_N6thrust23THRUST_200600_302600_NS6detail15normal_iteratorINS9_10device_ptrIhEEEEPS5_m11less_div_10IhEEE10hipError_tT0_T1_T2_jT3_P12ihipStream_tbPNSt15iterator_traitsISJ_E10value_typeEPNSP_ISK_E10value_typeEPSL_NS1_7vsmem_tEENKUlT_SJ_SK_SL_E_clISE_PhSF_SF_EESI_SY_SJ_SK_SL_EUlSY_E_NS1_11comp_targetILNS1_3genE10ELNS1_11target_archE1201ELNS1_3gpuE5ELNS1_3repE0EEENS1_48merge_mergepath_partition_config_static_selectorELNS0_4arch9wavefront6targetE0EEEvSK_
    .private_segment_fixed_size: 0
    .sgpr_count:     0
    .sgpr_spill_count: 0
    .symbol:         _ZN7rocprim17ROCPRIM_400000_NS6detail17trampoline_kernelINS0_14default_configENS1_38merge_sort_block_merge_config_selectorIhNS0_10empty_typeEEEZZNS1_27merge_sort_block_merge_implIS3_N6thrust23THRUST_200600_302600_NS6detail15normal_iteratorINS9_10device_ptrIhEEEEPS5_m11less_div_10IhEEE10hipError_tT0_T1_T2_jT3_P12ihipStream_tbPNSt15iterator_traitsISJ_E10value_typeEPNSP_ISK_E10value_typeEPSL_NS1_7vsmem_tEENKUlT_SJ_SK_SL_E_clISE_PhSF_SF_EESI_SY_SJ_SK_SL_EUlSY_E_NS1_11comp_targetILNS1_3genE10ELNS1_11target_archE1201ELNS1_3gpuE5ELNS1_3repE0EEENS1_48merge_mergepath_partition_config_static_selectorELNS0_4arch9wavefront6targetE0EEEvSK_.kd
    .uniform_work_group_size: 1
    .uses_dynamic_stack: false
    .vgpr_count:     0
    .vgpr_spill_count: 0
    .wavefront_size: 32
    .workgroup_processor_mode: 1
  - .args:
      - .offset:         0
        .size:           48
        .value_kind:     by_value
    .group_segment_fixed_size: 0
    .kernarg_segment_align: 8
    .kernarg_segment_size: 48
    .language:       OpenCL C
    .language_version:
      - 2
      - 0
    .max_flat_workgroup_size: 128
    .name:           _ZN7rocprim17ROCPRIM_400000_NS6detail17trampoline_kernelINS0_14default_configENS1_38merge_sort_block_merge_config_selectorIhNS0_10empty_typeEEEZZNS1_27merge_sort_block_merge_implIS3_N6thrust23THRUST_200600_302600_NS6detail15normal_iteratorINS9_10device_ptrIhEEEEPS5_m11less_div_10IhEEE10hipError_tT0_T1_T2_jT3_P12ihipStream_tbPNSt15iterator_traitsISJ_E10value_typeEPNSP_ISK_E10value_typeEPSL_NS1_7vsmem_tEENKUlT_SJ_SK_SL_E_clISE_PhSF_SF_EESI_SY_SJ_SK_SL_EUlSY_E_NS1_11comp_targetILNS1_3genE5ELNS1_11target_archE942ELNS1_3gpuE9ELNS1_3repE0EEENS1_48merge_mergepath_partition_config_static_selectorELNS0_4arch9wavefront6targetE0EEEvSK_
    .private_segment_fixed_size: 0
    .sgpr_count:     0
    .sgpr_spill_count: 0
    .symbol:         _ZN7rocprim17ROCPRIM_400000_NS6detail17trampoline_kernelINS0_14default_configENS1_38merge_sort_block_merge_config_selectorIhNS0_10empty_typeEEEZZNS1_27merge_sort_block_merge_implIS3_N6thrust23THRUST_200600_302600_NS6detail15normal_iteratorINS9_10device_ptrIhEEEEPS5_m11less_div_10IhEEE10hipError_tT0_T1_T2_jT3_P12ihipStream_tbPNSt15iterator_traitsISJ_E10value_typeEPNSP_ISK_E10value_typeEPSL_NS1_7vsmem_tEENKUlT_SJ_SK_SL_E_clISE_PhSF_SF_EESI_SY_SJ_SK_SL_EUlSY_E_NS1_11comp_targetILNS1_3genE5ELNS1_11target_archE942ELNS1_3gpuE9ELNS1_3repE0EEENS1_48merge_mergepath_partition_config_static_selectorELNS0_4arch9wavefront6targetE0EEEvSK_.kd
    .uniform_work_group_size: 1
    .uses_dynamic_stack: false
    .vgpr_count:     0
    .vgpr_spill_count: 0
    .wavefront_size: 32
    .workgroup_processor_mode: 1
  - .args:
      - .offset:         0
        .size:           48
        .value_kind:     by_value
    .group_segment_fixed_size: 0
    .kernarg_segment_align: 8
    .kernarg_segment_size: 48
    .language:       OpenCL C
    .language_version:
      - 2
      - 0
    .max_flat_workgroup_size: 128
    .name:           _ZN7rocprim17ROCPRIM_400000_NS6detail17trampoline_kernelINS0_14default_configENS1_38merge_sort_block_merge_config_selectorIhNS0_10empty_typeEEEZZNS1_27merge_sort_block_merge_implIS3_N6thrust23THRUST_200600_302600_NS6detail15normal_iteratorINS9_10device_ptrIhEEEEPS5_m11less_div_10IhEEE10hipError_tT0_T1_T2_jT3_P12ihipStream_tbPNSt15iterator_traitsISJ_E10value_typeEPNSP_ISK_E10value_typeEPSL_NS1_7vsmem_tEENKUlT_SJ_SK_SL_E_clISE_PhSF_SF_EESI_SY_SJ_SK_SL_EUlSY_E_NS1_11comp_targetILNS1_3genE4ELNS1_11target_archE910ELNS1_3gpuE8ELNS1_3repE0EEENS1_48merge_mergepath_partition_config_static_selectorELNS0_4arch9wavefront6targetE0EEEvSK_
    .private_segment_fixed_size: 0
    .sgpr_count:     0
    .sgpr_spill_count: 0
    .symbol:         _ZN7rocprim17ROCPRIM_400000_NS6detail17trampoline_kernelINS0_14default_configENS1_38merge_sort_block_merge_config_selectorIhNS0_10empty_typeEEEZZNS1_27merge_sort_block_merge_implIS3_N6thrust23THRUST_200600_302600_NS6detail15normal_iteratorINS9_10device_ptrIhEEEEPS5_m11less_div_10IhEEE10hipError_tT0_T1_T2_jT3_P12ihipStream_tbPNSt15iterator_traitsISJ_E10value_typeEPNSP_ISK_E10value_typeEPSL_NS1_7vsmem_tEENKUlT_SJ_SK_SL_E_clISE_PhSF_SF_EESI_SY_SJ_SK_SL_EUlSY_E_NS1_11comp_targetILNS1_3genE4ELNS1_11target_archE910ELNS1_3gpuE8ELNS1_3repE0EEENS1_48merge_mergepath_partition_config_static_selectorELNS0_4arch9wavefront6targetE0EEEvSK_.kd
    .uniform_work_group_size: 1
    .uses_dynamic_stack: false
    .vgpr_count:     0
    .vgpr_spill_count: 0
    .wavefront_size: 32
    .workgroup_processor_mode: 1
  - .args:
      - .offset:         0
        .size:           48
        .value_kind:     by_value
    .group_segment_fixed_size: 0
    .kernarg_segment_align: 8
    .kernarg_segment_size: 48
    .language:       OpenCL C
    .language_version:
      - 2
      - 0
    .max_flat_workgroup_size: 128
    .name:           _ZN7rocprim17ROCPRIM_400000_NS6detail17trampoline_kernelINS0_14default_configENS1_38merge_sort_block_merge_config_selectorIhNS0_10empty_typeEEEZZNS1_27merge_sort_block_merge_implIS3_N6thrust23THRUST_200600_302600_NS6detail15normal_iteratorINS9_10device_ptrIhEEEEPS5_m11less_div_10IhEEE10hipError_tT0_T1_T2_jT3_P12ihipStream_tbPNSt15iterator_traitsISJ_E10value_typeEPNSP_ISK_E10value_typeEPSL_NS1_7vsmem_tEENKUlT_SJ_SK_SL_E_clISE_PhSF_SF_EESI_SY_SJ_SK_SL_EUlSY_E_NS1_11comp_targetILNS1_3genE3ELNS1_11target_archE908ELNS1_3gpuE7ELNS1_3repE0EEENS1_48merge_mergepath_partition_config_static_selectorELNS0_4arch9wavefront6targetE0EEEvSK_
    .private_segment_fixed_size: 0
    .sgpr_count:     0
    .sgpr_spill_count: 0
    .symbol:         _ZN7rocprim17ROCPRIM_400000_NS6detail17trampoline_kernelINS0_14default_configENS1_38merge_sort_block_merge_config_selectorIhNS0_10empty_typeEEEZZNS1_27merge_sort_block_merge_implIS3_N6thrust23THRUST_200600_302600_NS6detail15normal_iteratorINS9_10device_ptrIhEEEEPS5_m11less_div_10IhEEE10hipError_tT0_T1_T2_jT3_P12ihipStream_tbPNSt15iterator_traitsISJ_E10value_typeEPNSP_ISK_E10value_typeEPSL_NS1_7vsmem_tEENKUlT_SJ_SK_SL_E_clISE_PhSF_SF_EESI_SY_SJ_SK_SL_EUlSY_E_NS1_11comp_targetILNS1_3genE3ELNS1_11target_archE908ELNS1_3gpuE7ELNS1_3repE0EEENS1_48merge_mergepath_partition_config_static_selectorELNS0_4arch9wavefront6targetE0EEEvSK_.kd
    .uniform_work_group_size: 1
    .uses_dynamic_stack: false
    .vgpr_count:     0
    .vgpr_spill_count: 0
    .wavefront_size: 32
    .workgroup_processor_mode: 1
  - .args:
      - .offset:         0
        .size:           48
        .value_kind:     by_value
    .group_segment_fixed_size: 0
    .kernarg_segment_align: 8
    .kernarg_segment_size: 48
    .language:       OpenCL C
    .language_version:
      - 2
      - 0
    .max_flat_workgroup_size: 128
    .name:           _ZN7rocprim17ROCPRIM_400000_NS6detail17trampoline_kernelINS0_14default_configENS1_38merge_sort_block_merge_config_selectorIhNS0_10empty_typeEEEZZNS1_27merge_sort_block_merge_implIS3_N6thrust23THRUST_200600_302600_NS6detail15normal_iteratorINS9_10device_ptrIhEEEEPS5_m11less_div_10IhEEE10hipError_tT0_T1_T2_jT3_P12ihipStream_tbPNSt15iterator_traitsISJ_E10value_typeEPNSP_ISK_E10value_typeEPSL_NS1_7vsmem_tEENKUlT_SJ_SK_SL_E_clISE_PhSF_SF_EESI_SY_SJ_SK_SL_EUlSY_E_NS1_11comp_targetILNS1_3genE2ELNS1_11target_archE906ELNS1_3gpuE6ELNS1_3repE0EEENS1_48merge_mergepath_partition_config_static_selectorELNS0_4arch9wavefront6targetE0EEEvSK_
    .private_segment_fixed_size: 0
    .sgpr_count:     0
    .sgpr_spill_count: 0
    .symbol:         _ZN7rocprim17ROCPRIM_400000_NS6detail17trampoline_kernelINS0_14default_configENS1_38merge_sort_block_merge_config_selectorIhNS0_10empty_typeEEEZZNS1_27merge_sort_block_merge_implIS3_N6thrust23THRUST_200600_302600_NS6detail15normal_iteratorINS9_10device_ptrIhEEEEPS5_m11less_div_10IhEEE10hipError_tT0_T1_T2_jT3_P12ihipStream_tbPNSt15iterator_traitsISJ_E10value_typeEPNSP_ISK_E10value_typeEPSL_NS1_7vsmem_tEENKUlT_SJ_SK_SL_E_clISE_PhSF_SF_EESI_SY_SJ_SK_SL_EUlSY_E_NS1_11comp_targetILNS1_3genE2ELNS1_11target_archE906ELNS1_3gpuE6ELNS1_3repE0EEENS1_48merge_mergepath_partition_config_static_selectorELNS0_4arch9wavefront6targetE0EEEvSK_.kd
    .uniform_work_group_size: 1
    .uses_dynamic_stack: false
    .vgpr_count:     0
    .vgpr_spill_count: 0
    .wavefront_size: 32
    .workgroup_processor_mode: 1
  - .args:
      - .offset:         0
        .size:           48
        .value_kind:     by_value
    .group_segment_fixed_size: 0
    .kernarg_segment_align: 8
    .kernarg_segment_size: 48
    .language:       OpenCL C
    .language_version:
      - 2
      - 0
    .max_flat_workgroup_size: 128
    .name:           _ZN7rocprim17ROCPRIM_400000_NS6detail17trampoline_kernelINS0_14default_configENS1_38merge_sort_block_merge_config_selectorIhNS0_10empty_typeEEEZZNS1_27merge_sort_block_merge_implIS3_N6thrust23THRUST_200600_302600_NS6detail15normal_iteratorINS9_10device_ptrIhEEEEPS5_m11less_div_10IhEEE10hipError_tT0_T1_T2_jT3_P12ihipStream_tbPNSt15iterator_traitsISJ_E10value_typeEPNSP_ISK_E10value_typeEPSL_NS1_7vsmem_tEENKUlT_SJ_SK_SL_E_clISE_PhSF_SF_EESI_SY_SJ_SK_SL_EUlSY_E_NS1_11comp_targetILNS1_3genE9ELNS1_11target_archE1100ELNS1_3gpuE3ELNS1_3repE0EEENS1_48merge_mergepath_partition_config_static_selectorELNS0_4arch9wavefront6targetE0EEEvSK_
    .private_segment_fixed_size: 0
    .sgpr_count:     0
    .sgpr_spill_count: 0
    .symbol:         _ZN7rocprim17ROCPRIM_400000_NS6detail17trampoline_kernelINS0_14default_configENS1_38merge_sort_block_merge_config_selectorIhNS0_10empty_typeEEEZZNS1_27merge_sort_block_merge_implIS3_N6thrust23THRUST_200600_302600_NS6detail15normal_iteratorINS9_10device_ptrIhEEEEPS5_m11less_div_10IhEEE10hipError_tT0_T1_T2_jT3_P12ihipStream_tbPNSt15iterator_traitsISJ_E10value_typeEPNSP_ISK_E10value_typeEPSL_NS1_7vsmem_tEENKUlT_SJ_SK_SL_E_clISE_PhSF_SF_EESI_SY_SJ_SK_SL_EUlSY_E_NS1_11comp_targetILNS1_3genE9ELNS1_11target_archE1100ELNS1_3gpuE3ELNS1_3repE0EEENS1_48merge_mergepath_partition_config_static_selectorELNS0_4arch9wavefront6targetE0EEEvSK_.kd
    .uniform_work_group_size: 1
    .uses_dynamic_stack: false
    .vgpr_count:     0
    .vgpr_spill_count: 0
    .wavefront_size: 32
    .workgroup_processor_mode: 1
  - .args:
      - .offset:         0
        .size:           48
        .value_kind:     by_value
    .group_segment_fixed_size: 0
    .kernarg_segment_align: 8
    .kernarg_segment_size: 48
    .language:       OpenCL C
    .language_version:
      - 2
      - 0
    .max_flat_workgroup_size: 128
    .name:           _ZN7rocprim17ROCPRIM_400000_NS6detail17trampoline_kernelINS0_14default_configENS1_38merge_sort_block_merge_config_selectorIhNS0_10empty_typeEEEZZNS1_27merge_sort_block_merge_implIS3_N6thrust23THRUST_200600_302600_NS6detail15normal_iteratorINS9_10device_ptrIhEEEEPS5_m11less_div_10IhEEE10hipError_tT0_T1_T2_jT3_P12ihipStream_tbPNSt15iterator_traitsISJ_E10value_typeEPNSP_ISK_E10value_typeEPSL_NS1_7vsmem_tEENKUlT_SJ_SK_SL_E_clISE_PhSF_SF_EESI_SY_SJ_SK_SL_EUlSY_E_NS1_11comp_targetILNS1_3genE8ELNS1_11target_archE1030ELNS1_3gpuE2ELNS1_3repE0EEENS1_48merge_mergepath_partition_config_static_selectorELNS0_4arch9wavefront6targetE0EEEvSK_
    .private_segment_fixed_size: 0
    .sgpr_count:     10
    .sgpr_spill_count: 0
    .symbol:         _ZN7rocprim17ROCPRIM_400000_NS6detail17trampoline_kernelINS0_14default_configENS1_38merge_sort_block_merge_config_selectorIhNS0_10empty_typeEEEZZNS1_27merge_sort_block_merge_implIS3_N6thrust23THRUST_200600_302600_NS6detail15normal_iteratorINS9_10device_ptrIhEEEEPS5_m11less_div_10IhEEE10hipError_tT0_T1_T2_jT3_P12ihipStream_tbPNSt15iterator_traitsISJ_E10value_typeEPNSP_ISK_E10value_typeEPSL_NS1_7vsmem_tEENKUlT_SJ_SK_SL_E_clISE_PhSF_SF_EESI_SY_SJ_SK_SL_EUlSY_E_NS1_11comp_targetILNS1_3genE8ELNS1_11target_archE1030ELNS1_3gpuE2ELNS1_3repE0EEENS1_48merge_mergepath_partition_config_static_selectorELNS0_4arch9wavefront6targetE0EEEvSK_.kd
    .uniform_work_group_size: 1
    .uses_dynamic_stack: false
    .vgpr_count:     17
    .vgpr_spill_count: 0
    .wavefront_size: 32
    .workgroup_processor_mode: 1
  - .args:
      - .offset:         0
        .size:           72
        .value_kind:     by_value
    .group_segment_fixed_size: 0
    .kernarg_segment_align: 8
    .kernarg_segment_size: 72
    .language:       OpenCL C
    .language_version:
      - 2
      - 0
    .max_flat_workgroup_size: 128
    .name:           _ZN7rocprim17ROCPRIM_400000_NS6detail17trampoline_kernelINS0_14default_configENS1_38merge_sort_block_merge_config_selectorIhNS0_10empty_typeEEEZZNS1_27merge_sort_block_merge_implIS3_N6thrust23THRUST_200600_302600_NS6detail15normal_iteratorINS9_10device_ptrIhEEEEPS5_m11less_div_10IhEEE10hipError_tT0_T1_T2_jT3_P12ihipStream_tbPNSt15iterator_traitsISJ_E10value_typeEPNSP_ISK_E10value_typeEPSL_NS1_7vsmem_tEENKUlT_SJ_SK_SL_E_clISE_PhSF_SF_EESI_SY_SJ_SK_SL_EUlSY_E0_NS1_11comp_targetILNS1_3genE0ELNS1_11target_archE4294967295ELNS1_3gpuE0ELNS1_3repE0EEENS1_38merge_mergepath_config_static_selectorELNS0_4arch9wavefront6targetE0EEEvSK_
    .private_segment_fixed_size: 0
    .sgpr_count:     0
    .sgpr_spill_count: 0
    .symbol:         _ZN7rocprim17ROCPRIM_400000_NS6detail17trampoline_kernelINS0_14default_configENS1_38merge_sort_block_merge_config_selectorIhNS0_10empty_typeEEEZZNS1_27merge_sort_block_merge_implIS3_N6thrust23THRUST_200600_302600_NS6detail15normal_iteratorINS9_10device_ptrIhEEEEPS5_m11less_div_10IhEEE10hipError_tT0_T1_T2_jT3_P12ihipStream_tbPNSt15iterator_traitsISJ_E10value_typeEPNSP_ISK_E10value_typeEPSL_NS1_7vsmem_tEENKUlT_SJ_SK_SL_E_clISE_PhSF_SF_EESI_SY_SJ_SK_SL_EUlSY_E0_NS1_11comp_targetILNS1_3genE0ELNS1_11target_archE4294967295ELNS1_3gpuE0ELNS1_3repE0EEENS1_38merge_mergepath_config_static_selectorELNS0_4arch9wavefront6targetE0EEEvSK_.kd
    .uniform_work_group_size: 1
    .uses_dynamic_stack: false
    .vgpr_count:     0
    .vgpr_spill_count: 0
    .wavefront_size: 32
    .workgroup_processor_mode: 1
  - .args:
      - .offset:         0
        .size:           72
        .value_kind:     by_value
    .group_segment_fixed_size: 0
    .kernarg_segment_align: 8
    .kernarg_segment_size: 72
    .language:       OpenCL C
    .language_version:
      - 2
      - 0
    .max_flat_workgroup_size: 128
    .name:           _ZN7rocprim17ROCPRIM_400000_NS6detail17trampoline_kernelINS0_14default_configENS1_38merge_sort_block_merge_config_selectorIhNS0_10empty_typeEEEZZNS1_27merge_sort_block_merge_implIS3_N6thrust23THRUST_200600_302600_NS6detail15normal_iteratorINS9_10device_ptrIhEEEEPS5_m11less_div_10IhEEE10hipError_tT0_T1_T2_jT3_P12ihipStream_tbPNSt15iterator_traitsISJ_E10value_typeEPNSP_ISK_E10value_typeEPSL_NS1_7vsmem_tEENKUlT_SJ_SK_SL_E_clISE_PhSF_SF_EESI_SY_SJ_SK_SL_EUlSY_E0_NS1_11comp_targetILNS1_3genE10ELNS1_11target_archE1201ELNS1_3gpuE5ELNS1_3repE0EEENS1_38merge_mergepath_config_static_selectorELNS0_4arch9wavefront6targetE0EEEvSK_
    .private_segment_fixed_size: 0
    .sgpr_count:     0
    .sgpr_spill_count: 0
    .symbol:         _ZN7rocprim17ROCPRIM_400000_NS6detail17trampoline_kernelINS0_14default_configENS1_38merge_sort_block_merge_config_selectorIhNS0_10empty_typeEEEZZNS1_27merge_sort_block_merge_implIS3_N6thrust23THRUST_200600_302600_NS6detail15normal_iteratorINS9_10device_ptrIhEEEEPS5_m11less_div_10IhEEE10hipError_tT0_T1_T2_jT3_P12ihipStream_tbPNSt15iterator_traitsISJ_E10value_typeEPNSP_ISK_E10value_typeEPSL_NS1_7vsmem_tEENKUlT_SJ_SK_SL_E_clISE_PhSF_SF_EESI_SY_SJ_SK_SL_EUlSY_E0_NS1_11comp_targetILNS1_3genE10ELNS1_11target_archE1201ELNS1_3gpuE5ELNS1_3repE0EEENS1_38merge_mergepath_config_static_selectorELNS0_4arch9wavefront6targetE0EEEvSK_.kd
    .uniform_work_group_size: 1
    .uses_dynamic_stack: false
    .vgpr_count:     0
    .vgpr_spill_count: 0
    .wavefront_size: 32
    .workgroup_processor_mode: 1
  - .args:
      - .offset:         0
        .size:           72
        .value_kind:     by_value
    .group_segment_fixed_size: 0
    .kernarg_segment_align: 8
    .kernarg_segment_size: 72
    .language:       OpenCL C
    .language_version:
      - 2
      - 0
    .max_flat_workgroup_size: 128
    .name:           _ZN7rocprim17ROCPRIM_400000_NS6detail17trampoline_kernelINS0_14default_configENS1_38merge_sort_block_merge_config_selectorIhNS0_10empty_typeEEEZZNS1_27merge_sort_block_merge_implIS3_N6thrust23THRUST_200600_302600_NS6detail15normal_iteratorINS9_10device_ptrIhEEEEPS5_m11less_div_10IhEEE10hipError_tT0_T1_T2_jT3_P12ihipStream_tbPNSt15iterator_traitsISJ_E10value_typeEPNSP_ISK_E10value_typeEPSL_NS1_7vsmem_tEENKUlT_SJ_SK_SL_E_clISE_PhSF_SF_EESI_SY_SJ_SK_SL_EUlSY_E0_NS1_11comp_targetILNS1_3genE5ELNS1_11target_archE942ELNS1_3gpuE9ELNS1_3repE0EEENS1_38merge_mergepath_config_static_selectorELNS0_4arch9wavefront6targetE0EEEvSK_
    .private_segment_fixed_size: 0
    .sgpr_count:     0
    .sgpr_spill_count: 0
    .symbol:         _ZN7rocprim17ROCPRIM_400000_NS6detail17trampoline_kernelINS0_14default_configENS1_38merge_sort_block_merge_config_selectorIhNS0_10empty_typeEEEZZNS1_27merge_sort_block_merge_implIS3_N6thrust23THRUST_200600_302600_NS6detail15normal_iteratorINS9_10device_ptrIhEEEEPS5_m11less_div_10IhEEE10hipError_tT0_T1_T2_jT3_P12ihipStream_tbPNSt15iterator_traitsISJ_E10value_typeEPNSP_ISK_E10value_typeEPSL_NS1_7vsmem_tEENKUlT_SJ_SK_SL_E_clISE_PhSF_SF_EESI_SY_SJ_SK_SL_EUlSY_E0_NS1_11comp_targetILNS1_3genE5ELNS1_11target_archE942ELNS1_3gpuE9ELNS1_3repE0EEENS1_38merge_mergepath_config_static_selectorELNS0_4arch9wavefront6targetE0EEEvSK_.kd
    .uniform_work_group_size: 1
    .uses_dynamic_stack: false
    .vgpr_count:     0
    .vgpr_spill_count: 0
    .wavefront_size: 32
    .workgroup_processor_mode: 1
  - .args:
      - .offset:         0
        .size:           72
        .value_kind:     by_value
    .group_segment_fixed_size: 0
    .kernarg_segment_align: 8
    .kernarg_segment_size: 72
    .language:       OpenCL C
    .language_version:
      - 2
      - 0
    .max_flat_workgroup_size: 128
    .name:           _ZN7rocprim17ROCPRIM_400000_NS6detail17trampoline_kernelINS0_14default_configENS1_38merge_sort_block_merge_config_selectorIhNS0_10empty_typeEEEZZNS1_27merge_sort_block_merge_implIS3_N6thrust23THRUST_200600_302600_NS6detail15normal_iteratorINS9_10device_ptrIhEEEEPS5_m11less_div_10IhEEE10hipError_tT0_T1_T2_jT3_P12ihipStream_tbPNSt15iterator_traitsISJ_E10value_typeEPNSP_ISK_E10value_typeEPSL_NS1_7vsmem_tEENKUlT_SJ_SK_SL_E_clISE_PhSF_SF_EESI_SY_SJ_SK_SL_EUlSY_E0_NS1_11comp_targetILNS1_3genE4ELNS1_11target_archE910ELNS1_3gpuE8ELNS1_3repE0EEENS1_38merge_mergepath_config_static_selectorELNS0_4arch9wavefront6targetE0EEEvSK_
    .private_segment_fixed_size: 0
    .sgpr_count:     0
    .sgpr_spill_count: 0
    .symbol:         _ZN7rocprim17ROCPRIM_400000_NS6detail17trampoline_kernelINS0_14default_configENS1_38merge_sort_block_merge_config_selectorIhNS0_10empty_typeEEEZZNS1_27merge_sort_block_merge_implIS3_N6thrust23THRUST_200600_302600_NS6detail15normal_iteratorINS9_10device_ptrIhEEEEPS5_m11less_div_10IhEEE10hipError_tT0_T1_T2_jT3_P12ihipStream_tbPNSt15iterator_traitsISJ_E10value_typeEPNSP_ISK_E10value_typeEPSL_NS1_7vsmem_tEENKUlT_SJ_SK_SL_E_clISE_PhSF_SF_EESI_SY_SJ_SK_SL_EUlSY_E0_NS1_11comp_targetILNS1_3genE4ELNS1_11target_archE910ELNS1_3gpuE8ELNS1_3repE0EEENS1_38merge_mergepath_config_static_selectorELNS0_4arch9wavefront6targetE0EEEvSK_.kd
    .uniform_work_group_size: 1
    .uses_dynamic_stack: false
    .vgpr_count:     0
    .vgpr_spill_count: 0
    .wavefront_size: 32
    .workgroup_processor_mode: 1
  - .args:
      - .offset:         0
        .size:           72
        .value_kind:     by_value
    .group_segment_fixed_size: 0
    .kernarg_segment_align: 8
    .kernarg_segment_size: 72
    .language:       OpenCL C
    .language_version:
      - 2
      - 0
    .max_flat_workgroup_size: 128
    .name:           _ZN7rocprim17ROCPRIM_400000_NS6detail17trampoline_kernelINS0_14default_configENS1_38merge_sort_block_merge_config_selectorIhNS0_10empty_typeEEEZZNS1_27merge_sort_block_merge_implIS3_N6thrust23THRUST_200600_302600_NS6detail15normal_iteratorINS9_10device_ptrIhEEEEPS5_m11less_div_10IhEEE10hipError_tT0_T1_T2_jT3_P12ihipStream_tbPNSt15iterator_traitsISJ_E10value_typeEPNSP_ISK_E10value_typeEPSL_NS1_7vsmem_tEENKUlT_SJ_SK_SL_E_clISE_PhSF_SF_EESI_SY_SJ_SK_SL_EUlSY_E0_NS1_11comp_targetILNS1_3genE3ELNS1_11target_archE908ELNS1_3gpuE7ELNS1_3repE0EEENS1_38merge_mergepath_config_static_selectorELNS0_4arch9wavefront6targetE0EEEvSK_
    .private_segment_fixed_size: 0
    .sgpr_count:     0
    .sgpr_spill_count: 0
    .symbol:         _ZN7rocprim17ROCPRIM_400000_NS6detail17trampoline_kernelINS0_14default_configENS1_38merge_sort_block_merge_config_selectorIhNS0_10empty_typeEEEZZNS1_27merge_sort_block_merge_implIS3_N6thrust23THRUST_200600_302600_NS6detail15normal_iteratorINS9_10device_ptrIhEEEEPS5_m11less_div_10IhEEE10hipError_tT0_T1_T2_jT3_P12ihipStream_tbPNSt15iterator_traitsISJ_E10value_typeEPNSP_ISK_E10value_typeEPSL_NS1_7vsmem_tEENKUlT_SJ_SK_SL_E_clISE_PhSF_SF_EESI_SY_SJ_SK_SL_EUlSY_E0_NS1_11comp_targetILNS1_3genE3ELNS1_11target_archE908ELNS1_3gpuE7ELNS1_3repE0EEENS1_38merge_mergepath_config_static_selectorELNS0_4arch9wavefront6targetE0EEEvSK_.kd
    .uniform_work_group_size: 1
    .uses_dynamic_stack: false
    .vgpr_count:     0
    .vgpr_spill_count: 0
    .wavefront_size: 32
    .workgroup_processor_mode: 1
  - .args:
      - .offset:         0
        .size:           72
        .value_kind:     by_value
    .group_segment_fixed_size: 0
    .kernarg_segment_align: 8
    .kernarg_segment_size: 72
    .language:       OpenCL C
    .language_version:
      - 2
      - 0
    .max_flat_workgroup_size: 128
    .name:           _ZN7rocprim17ROCPRIM_400000_NS6detail17trampoline_kernelINS0_14default_configENS1_38merge_sort_block_merge_config_selectorIhNS0_10empty_typeEEEZZNS1_27merge_sort_block_merge_implIS3_N6thrust23THRUST_200600_302600_NS6detail15normal_iteratorINS9_10device_ptrIhEEEEPS5_m11less_div_10IhEEE10hipError_tT0_T1_T2_jT3_P12ihipStream_tbPNSt15iterator_traitsISJ_E10value_typeEPNSP_ISK_E10value_typeEPSL_NS1_7vsmem_tEENKUlT_SJ_SK_SL_E_clISE_PhSF_SF_EESI_SY_SJ_SK_SL_EUlSY_E0_NS1_11comp_targetILNS1_3genE2ELNS1_11target_archE906ELNS1_3gpuE6ELNS1_3repE0EEENS1_38merge_mergepath_config_static_selectorELNS0_4arch9wavefront6targetE0EEEvSK_
    .private_segment_fixed_size: 0
    .sgpr_count:     0
    .sgpr_spill_count: 0
    .symbol:         _ZN7rocprim17ROCPRIM_400000_NS6detail17trampoline_kernelINS0_14default_configENS1_38merge_sort_block_merge_config_selectorIhNS0_10empty_typeEEEZZNS1_27merge_sort_block_merge_implIS3_N6thrust23THRUST_200600_302600_NS6detail15normal_iteratorINS9_10device_ptrIhEEEEPS5_m11less_div_10IhEEE10hipError_tT0_T1_T2_jT3_P12ihipStream_tbPNSt15iterator_traitsISJ_E10value_typeEPNSP_ISK_E10value_typeEPSL_NS1_7vsmem_tEENKUlT_SJ_SK_SL_E_clISE_PhSF_SF_EESI_SY_SJ_SK_SL_EUlSY_E0_NS1_11comp_targetILNS1_3genE2ELNS1_11target_archE906ELNS1_3gpuE6ELNS1_3repE0EEENS1_38merge_mergepath_config_static_selectorELNS0_4arch9wavefront6targetE0EEEvSK_.kd
    .uniform_work_group_size: 1
    .uses_dynamic_stack: false
    .vgpr_count:     0
    .vgpr_spill_count: 0
    .wavefront_size: 32
    .workgroup_processor_mode: 1
  - .args:
      - .offset:         0
        .size:           72
        .value_kind:     by_value
    .group_segment_fixed_size: 0
    .kernarg_segment_align: 8
    .kernarg_segment_size: 72
    .language:       OpenCL C
    .language_version:
      - 2
      - 0
    .max_flat_workgroup_size: 128
    .name:           _ZN7rocprim17ROCPRIM_400000_NS6detail17trampoline_kernelINS0_14default_configENS1_38merge_sort_block_merge_config_selectorIhNS0_10empty_typeEEEZZNS1_27merge_sort_block_merge_implIS3_N6thrust23THRUST_200600_302600_NS6detail15normal_iteratorINS9_10device_ptrIhEEEEPS5_m11less_div_10IhEEE10hipError_tT0_T1_T2_jT3_P12ihipStream_tbPNSt15iterator_traitsISJ_E10value_typeEPNSP_ISK_E10value_typeEPSL_NS1_7vsmem_tEENKUlT_SJ_SK_SL_E_clISE_PhSF_SF_EESI_SY_SJ_SK_SL_EUlSY_E0_NS1_11comp_targetILNS1_3genE9ELNS1_11target_archE1100ELNS1_3gpuE3ELNS1_3repE0EEENS1_38merge_mergepath_config_static_selectorELNS0_4arch9wavefront6targetE0EEEvSK_
    .private_segment_fixed_size: 0
    .sgpr_count:     0
    .sgpr_spill_count: 0
    .symbol:         _ZN7rocprim17ROCPRIM_400000_NS6detail17trampoline_kernelINS0_14default_configENS1_38merge_sort_block_merge_config_selectorIhNS0_10empty_typeEEEZZNS1_27merge_sort_block_merge_implIS3_N6thrust23THRUST_200600_302600_NS6detail15normal_iteratorINS9_10device_ptrIhEEEEPS5_m11less_div_10IhEEE10hipError_tT0_T1_T2_jT3_P12ihipStream_tbPNSt15iterator_traitsISJ_E10value_typeEPNSP_ISK_E10value_typeEPSL_NS1_7vsmem_tEENKUlT_SJ_SK_SL_E_clISE_PhSF_SF_EESI_SY_SJ_SK_SL_EUlSY_E0_NS1_11comp_targetILNS1_3genE9ELNS1_11target_archE1100ELNS1_3gpuE3ELNS1_3repE0EEENS1_38merge_mergepath_config_static_selectorELNS0_4arch9wavefront6targetE0EEEvSK_.kd
    .uniform_work_group_size: 1
    .uses_dynamic_stack: false
    .vgpr_count:     0
    .vgpr_spill_count: 0
    .wavefront_size: 32
    .workgroup_processor_mode: 1
  - .args:
      - .offset:         0
        .size:           72
        .value_kind:     by_value
      - .offset:         72
        .size:           4
        .value_kind:     hidden_block_count_x
      - .offset:         76
        .size:           4
        .value_kind:     hidden_block_count_y
      - .offset:         80
        .size:           4
        .value_kind:     hidden_block_count_z
      - .offset:         84
        .size:           2
        .value_kind:     hidden_group_size_x
      - .offset:         86
        .size:           2
        .value_kind:     hidden_group_size_y
      - .offset:         88
        .size:           2
        .value_kind:     hidden_group_size_z
      - .offset:         90
        .size:           2
        .value_kind:     hidden_remainder_x
      - .offset:         92
        .size:           2
        .value_kind:     hidden_remainder_y
      - .offset:         94
        .size:           2
        .value_kind:     hidden_remainder_z
      - .offset:         112
        .size:           8
        .value_kind:     hidden_global_offset_x
      - .offset:         120
        .size:           8
        .value_kind:     hidden_global_offset_y
      - .offset:         128
        .size:           8
        .value_kind:     hidden_global_offset_z
      - .offset:         136
        .size:           2
        .value_kind:     hidden_grid_dims
    .group_segment_fixed_size: 1056
    .kernarg_segment_align: 8
    .kernarg_segment_size: 328
    .language:       OpenCL C
    .language_version:
      - 2
      - 0
    .max_flat_workgroup_size: 128
    .name:           _ZN7rocprim17ROCPRIM_400000_NS6detail17trampoline_kernelINS0_14default_configENS1_38merge_sort_block_merge_config_selectorIhNS0_10empty_typeEEEZZNS1_27merge_sort_block_merge_implIS3_N6thrust23THRUST_200600_302600_NS6detail15normal_iteratorINS9_10device_ptrIhEEEEPS5_m11less_div_10IhEEE10hipError_tT0_T1_T2_jT3_P12ihipStream_tbPNSt15iterator_traitsISJ_E10value_typeEPNSP_ISK_E10value_typeEPSL_NS1_7vsmem_tEENKUlT_SJ_SK_SL_E_clISE_PhSF_SF_EESI_SY_SJ_SK_SL_EUlSY_E0_NS1_11comp_targetILNS1_3genE8ELNS1_11target_archE1030ELNS1_3gpuE2ELNS1_3repE0EEENS1_38merge_mergepath_config_static_selectorELNS0_4arch9wavefront6targetE0EEEvSK_
    .private_segment_fixed_size: 0
    .sgpr_count:     33
    .sgpr_spill_count: 0
    .symbol:         _ZN7rocprim17ROCPRIM_400000_NS6detail17trampoline_kernelINS0_14default_configENS1_38merge_sort_block_merge_config_selectorIhNS0_10empty_typeEEEZZNS1_27merge_sort_block_merge_implIS3_N6thrust23THRUST_200600_302600_NS6detail15normal_iteratorINS9_10device_ptrIhEEEEPS5_m11less_div_10IhEEE10hipError_tT0_T1_T2_jT3_P12ihipStream_tbPNSt15iterator_traitsISJ_E10value_typeEPNSP_ISK_E10value_typeEPSL_NS1_7vsmem_tEENKUlT_SJ_SK_SL_E_clISE_PhSF_SF_EESI_SY_SJ_SK_SL_EUlSY_E0_NS1_11comp_targetILNS1_3genE8ELNS1_11target_archE1030ELNS1_3gpuE2ELNS1_3repE0EEENS1_38merge_mergepath_config_static_selectorELNS0_4arch9wavefront6targetE0EEEvSK_.kd
    .uniform_work_group_size: 1
    .uses_dynamic_stack: false
    .vgpr_count:     25
    .vgpr_spill_count: 0
    .wavefront_size: 32
    .workgroup_processor_mode: 1
  - .args:
      - .offset:         0
        .size:           56
        .value_kind:     by_value
    .group_segment_fixed_size: 0
    .kernarg_segment_align: 8
    .kernarg_segment_size: 56
    .language:       OpenCL C
    .language_version:
      - 2
      - 0
    .max_flat_workgroup_size: 256
    .name:           _ZN7rocprim17ROCPRIM_400000_NS6detail17trampoline_kernelINS0_14default_configENS1_38merge_sort_block_merge_config_selectorIhNS0_10empty_typeEEEZZNS1_27merge_sort_block_merge_implIS3_N6thrust23THRUST_200600_302600_NS6detail15normal_iteratorINS9_10device_ptrIhEEEEPS5_m11less_div_10IhEEE10hipError_tT0_T1_T2_jT3_P12ihipStream_tbPNSt15iterator_traitsISJ_E10value_typeEPNSP_ISK_E10value_typeEPSL_NS1_7vsmem_tEENKUlT_SJ_SK_SL_E_clISE_PhSF_SF_EESI_SY_SJ_SK_SL_EUlSY_E1_NS1_11comp_targetILNS1_3genE0ELNS1_11target_archE4294967295ELNS1_3gpuE0ELNS1_3repE0EEENS1_36merge_oddeven_config_static_selectorELNS0_4arch9wavefront6targetE0EEEvSK_
    .private_segment_fixed_size: 0
    .sgpr_count:     0
    .sgpr_spill_count: 0
    .symbol:         _ZN7rocprim17ROCPRIM_400000_NS6detail17trampoline_kernelINS0_14default_configENS1_38merge_sort_block_merge_config_selectorIhNS0_10empty_typeEEEZZNS1_27merge_sort_block_merge_implIS3_N6thrust23THRUST_200600_302600_NS6detail15normal_iteratorINS9_10device_ptrIhEEEEPS5_m11less_div_10IhEEE10hipError_tT0_T1_T2_jT3_P12ihipStream_tbPNSt15iterator_traitsISJ_E10value_typeEPNSP_ISK_E10value_typeEPSL_NS1_7vsmem_tEENKUlT_SJ_SK_SL_E_clISE_PhSF_SF_EESI_SY_SJ_SK_SL_EUlSY_E1_NS1_11comp_targetILNS1_3genE0ELNS1_11target_archE4294967295ELNS1_3gpuE0ELNS1_3repE0EEENS1_36merge_oddeven_config_static_selectorELNS0_4arch9wavefront6targetE0EEEvSK_.kd
    .uniform_work_group_size: 1
    .uses_dynamic_stack: false
    .vgpr_count:     0
    .vgpr_spill_count: 0
    .wavefront_size: 32
    .workgroup_processor_mode: 1
  - .args:
      - .offset:         0
        .size:           56
        .value_kind:     by_value
    .group_segment_fixed_size: 0
    .kernarg_segment_align: 8
    .kernarg_segment_size: 56
    .language:       OpenCL C
    .language_version:
      - 2
      - 0
    .max_flat_workgroup_size: 256
    .name:           _ZN7rocprim17ROCPRIM_400000_NS6detail17trampoline_kernelINS0_14default_configENS1_38merge_sort_block_merge_config_selectorIhNS0_10empty_typeEEEZZNS1_27merge_sort_block_merge_implIS3_N6thrust23THRUST_200600_302600_NS6detail15normal_iteratorINS9_10device_ptrIhEEEEPS5_m11less_div_10IhEEE10hipError_tT0_T1_T2_jT3_P12ihipStream_tbPNSt15iterator_traitsISJ_E10value_typeEPNSP_ISK_E10value_typeEPSL_NS1_7vsmem_tEENKUlT_SJ_SK_SL_E_clISE_PhSF_SF_EESI_SY_SJ_SK_SL_EUlSY_E1_NS1_11comp_targetILNS1_3genE10ELNS1_11target_archE1201ELNS1_3gpuE5ELNS1_3repE0EEENS1_36merge_oddeven_config_static_selectorELNS0_4arch9wavefront6targetE0EEEvSK_
    .private_segment_fixed_size: 0
    .sgpr_count:     0
    .sgpr_spill_count: 0
    .symbol:         _ZN7rocprim17ROCPRIM_400000_NS6detail17trampoline_kernelINS0_14default_configENS1_38merge_sort_block_merge_config_selectorIhNS0_10empty_typeEEEZZNS1_27merge_sort_block_merge_implIS3_N6thrust23THRUST_200600_302600_NS6detail15normal_iteratorINS9_10device_ptrIhEEEEPS5_m11less_div_10IhEEE10hipError_tT0_T1_T2_jT3_P12ihipStream_tbPNSt15iterator_traitsISJ_E10value_typeEPNSP_ISK_E10value_typeEPSL_NS1_7vsmem_tEENKUlT_SJ_SK_SL_E_clISE_PhSF_SF_EESI_SY_SJ_SK_SL_EUlSY_E1_NS1_11comp_targetILNS1_3genE10ELNS1_11target_archE1201ELNS1_3gpuE5ELNS1_3repE0EEENS1_36merge_oddeven_config_static_selectorELNS0_4arch9wavefront6targetE0EEEvSK_.kd
    .uniform_work_group_size: 1
    .uses_dynamic_stack: false
    .vgpr_count:     0
    .vgpr_spill_count: 0
    .wavefront_size: 32
    .workgroup_processor_mode: 1
  - .args:
      - .offset:         0
        .size:           56
        .value_kind:     by_value
    .group_segment_fixed_size: 0
    .kernarg_segment_align: 8
    .kernarg_segment_size: 56
    .language:       OpenCL C
    .language_version:
      - 2
      - 0
    .max_flat_workgroup_size: 256
    .name:           _ZN7rocprim17ROCPRIM_400000_NS6detail17trampoline_kernelINS0_14default_configENS1_38merge_sort_block_merge_config_selectorIhNS0_10empty_typeEEEZZNS1_27merge_sort_block_merge_implIS3_N6thrust23THRUST_200600_302600_NS6detail15normal_iteratorINS9_10device_ptrIhEEEEPS5_m11less_div_10IhEEE10hipError_tT0_T1_T2_jT3_P12ihipStream_tbPNSt15iterator_traitsISJ_E10value_typeEPNSP_ISK_E10value_typeEPSL_NS1_7vsmem_tEENKUlT_SJ_SK_SL_E_clISE_PhSF_SF_EESI_SY_SJ_SK_SL_EUlSY_E1_NS1_11comp_targetILNS1_3genE5ELNS1_11target_archE942ELNS1_3gpuE9ELNS1_3repE0EEENS1_36merge_oddeven_config_static_selectorELNS0_4arch9wavefront6targetE0EEEvSK_
    .private_segment_fixed_size: 0
    .sgpr_count:     0
    .sgpr_spill_count: 0
    .symbol:         _ZN7rocprim17ROCPRIM_400000_NS6detail17trampoline_kernelINS0_14default_configENS1_38merge_sort_block_merge_config_selectorIhNS0_10empty_typeEEEZZNS1_27merge_sort_block_merge_implIS3_N6thrust23THRUST_200600_302600_NS6detail15normal_iteratorINS9_10device_ptrIhEEEEPS5_m11less_div_10IhEEE10hipError_tT0_T1_T2_jT3_P12ihipStream_tbPNSt15iterator_traitsISJ_E10value_typeEPNSP_ISK_E10value_typeEPSL_NS1_7vsmem_tEENKUlT_SJ_SK_SL_E_clISE_PhSF_SF_EESI_SY_SJ_SK_SL_EUlSY_E1_NS1_11comp_targetILNS1_3genE5ELNS1_11target_archE942ELNS1_3gpuE9ELNS1_3repE0EEENS1_36merge_oddeven_config_static_selectorELNS0_4arch9wavefront6targetE0EEEvSK_.kd
    .uniform_work_group_size: 1
    .uses_dynamic_stack: false
    .vgpr_count:     0
    .vgpr_spill_count: 0
    .wavefront_size: 32
    .workgroup_processor_mode: 1
  - .args:
      - .offset:         0
        .size:           56
        .value_kind:     by_value
    .group_segment_fixed_size: 0
    .kernarg_segment_align: 8
    .kernarg_segment_size: 56
    .language:       OpenCL C
    .language_version:
      - 2
      - 0
    .max_flat_workgroup_size: 256
    .name:           _ZN7rocprim17ROCPRIM_400000_NS6detail17trampoline_kernelINS0_14default_configENS1_38merge_sort_block_merge_config_selectorIhNS0_10empty_typeEEEZZNS1_27merge_sort_block_merge_implIS3_N6thrust23THRUST_200600_302600_NS6detail15normal_iteratorINS9_10device_ptrIhEEEEPS5_m11less_div_10IhEEE10hipError_tT0_T1_T2_jT3_P12ihipStream_tbPNSt15iterator_traitsISJ_E10value_typeEPNSP_ISK_E10value_typeEPSL_NS1_7vsmem_tEENKUlT_SJ_SK_SL_E_clISE_PhSF_SF_EESI_SY_SJ_SK_SL_EUlSY_E1_NS1_11comp_targetILNS1_3genE4ELNS1_11target_archE910ELNS1_3gpuE8ELNS1_3repE0EEENS1_36merge_oddeven_config_static_selectorELNS0_4arch9wavefront6targetE0EEEvSK_
    .private_segment_fixed_size: 0
    .sgpr_count:     0
    .sgpr_spill_count: 0
    .symbol:         _ZN7rocprim17ROCPRIM_400000_NS6detail17trampoline_kernelINS0_14default_configENS1_38merge_sort_block_merge_config_selectorIhNS0_10empty_typeEEEZZNS1_27merge_sort_block_merge_implIS3_N6thrust23THRUST_200600_302600_NS6detail15normal_iteratorINS9_10device_ptrIhEEEEPS5_m11less_div_10IhEEE10hipError_tT0_T1_T2_jT3_P12ihipStream_tbPNSt15iterator_traitsISJ_E10value_typeEPNSP_ISK_E10value_typeEPSL_NS1_7vsmem_tEENKUlT_SJ_SK_SL_E_clISE_PhSF_SF_EESI_SY_SJ_SK_SL_EUlSY_E1_NS1_11comp_targetILNS1_3genE4ELNS1_11target_archE910ELNS1_3gpuE8ELNS1_3repE0EEENS1_36merge_oddeven_config_static_selectorELNS0_4arch9wavefront6targetE0EEEvSK_.kd
    .uniform_work_group_size: 1
    .uses_dynamic_stack: false
    .vgpr_count:     0
    .vgpr_spill_count: 0
    .wavefront_size: 32
    .workgroup_processor_mode: 1
  - .args:
      - .offset:         0
        .size:           56
        .value_kind:     by_value
    .group_segment_fixed_size: 0
    .kernarg_segment_align: 8
    .kernarg_segment_size: 56
    .language:       OpenCL C
    .language_version:
      - 2
      - 0
    .max_flat_workgroup_size: 256
    .name:           _ZN7rocprim17ROCPRIM_400000_NS6detail17trampoline_kernelINS0_14default_configENS1_38merge_sort_block_merge_config_selectorIhNS0_10empty_typeEEEZZNS1_27merge_sort_block_merge_implIS3_N6thrust23THRUST_200600_302600_NS6detail15normal_iteratorINS9_10device_ptrIhEEEEPS5_m11less_div_10IhEEE10hipError_tT0_T1_T2_jT3_P12ihipStream_tbPNSt15iterator_traitsISJ_E10value_typeEPNSP_ISK_E10value_typeEPSL_NS1_7vsmem_tEENKUlT_SJ_SK_SL_E_clISE_PhSF_SF_EESI_SY_SJ_SK_SL_EUlSY_E1_NS1_11comp_targetILNS1_3genE3ELNS1_11target_archE908ELNS1_3gpuE7ELNS1_3repE0EEENS1_36merge_oddeven_config_static_selectorELNS0_4arch9wavefront6targetE0EEEvSK_
    .private_segment_fixed_size: 0
    .sgpr_count:     0
    .sgpr_spill_count: 0
    .symbol:         _ZN7rocprim17ROCPRIM_400000_NS6detail17trampoline_kernelINS0_14default_configENS1_38merge_sort_block_merge_config_selectorIhNS0_10empty_typeEEEZZNS1_27merge_sort_block_merge_implIS3_N6thrust23THRUST_200600_302600_NS6detail15normal_iteratorINS9_10device_ptrIhEEEEPS5_m11less_div_10IhEEE10hipError_tT0_T1_T2_jT3_P12ihipStream_tbPNSt15iterator_traitsISJ_E10value_typeEPNSP_ISK_E10value_typeEPSL_NS1_7vsmem_tEENKUlT_SJ_SK_SL_E_clISE_PhSF_SF_EESI_SY_SJ_SK_SL_EUlSY_E1_NS1_11comp_targetILNS1_3genE3ELNS1_11target_archE908ELNS1_3gpuE7ELNS1_3repE0EEENS1_36merge_oddeven_config_static_selectorELNS0_4arch9wavefront6targetE0EEEvSK_.kd
    .uniform_work_group_size: 1
    .uses_dynamic_stack: false
    .vgpr_count:     0
    .vgpr_spill_count: 0
    .wavefront_size: 32
    .workgroup_processor_mode: 1
  - .args:
      - .offset:         0
        .size:           56
        .value_kind:     by_value
    .group_segment_fixed_size: 0
    .kernarg_segment_align: 8
    .kernarg_segment_size: 56
    .language:       OpenCL C
    .language_version:
      - 2
      - 0
    .max_flat_workgroup_size: 256
    .name:           _ZN7rocprim17ROCPRIM_400000_NS6detail17trampoline_kernelINS0_14default_configENS1_38merge_sort_block_merge_config_selectorIhNS0_10empty_typeEEEZZNS1_27merge_sort_block_merge_implIS3_N6thrust23THRUST_200600_302600_NS6detail15normal_iteratorINS9_10device_ptrIhEEEEPS5_m11less_div_10IhEEE10hipError_tT0_T1_T2_jT3_P12ihipStream_tbPNSt15iterator_traitsISJ_E10value_typeEPNSP_ISK_E10value_typeEPSL_NS1_7vsmem_tEENKUlT_SJ_SK_SL_E_clISE_PhSF_SF_EESI_SY_SJ_SK_SL_EUlSY_E1_NS1_11comp_targetILNS1_3genE2ELNS1_11target_archE906ELNS1_3gpuE6ELNS1_3repE0EEENS1_36merge_oddeven_config_static_selectorELNS0_4arch9wavefront6targetE0EEEvSK_
    .private_segment_fixed_size: 0
    .sgpr_count:     0
    .sgpr_spill_count: 0
    .symbol:         _ZN7rocprim17ROCPRIM_400000_NS6detail17trampoline_kernelINS0_14default_configENS1_38merge_sort_block_merge_config_selectorIhNS0_10empty_typeEEEZZNS1_27merge_sort_block_merge_implIS3_N6thrust23THRUST_200600_302600_NS6detail15normal_iteratorINS9_10device_ptrIhEEEEPS5_m11less_div_10IhEEE10hipError_tT0_T1_T2_jT3_P12ihipStream_tbPNSt15iterator_traitsISJ_E10value_typeEPNSP_ISK_E10value_typeEPSL_NS1_7vsmem_tEENKUlT_SJ_SK_SL_E_clISE_PhSF_SF_EESI_SY_SJ_SK_SL_EUlSY_E1_NS1_11comp_targetILNS1_3genE2ELNS1_11target_archE906ELNS1_3gpuE6ELNS1_3repE0EEENS1_36merge_oddeven_config_static_selectorELNS0_4arch9wavefront6targetE0EEEvSK_.kd
    .uniform_work_group_size: 1
    .uses_dynamic_stack: false
    .vgpr_count:     0
    .vgpr_spill_count: 0
    .wavefront_size: 32
    .workgroup_processor_mode: 1
  - .args:
      - .offset:         0
        .size:           56
        .value_kind:     by_value
    .group_segment_fixed_size: 0
    .kernarg_segment_align: 8
    .kernarg_segment_size: 56
    .language:       OpenCL C
    .language_version:
      - 2
      - 0
    .max_flat_workgroup_size: 256
    .name:           _ZN7rocprim17ROCPRIM_400000_NS6detail17trampoline_kernelINS0_14default_configENS1_38merge_sort_block_merge_config_selectorIhNS0_10empty_typeEEEZZNS1_27merge_sort_block_merge_implIS3_N6thrust23THRUST_200600_302600_NS6detail15normal_iteratorINS9_10device_ptrIhEEEEPS5_m11less_div_10IhEEE10hipError_tT0_T1_T2_jT3_P12ihipStream_tbPNSt15iterator_traitsISJ_E10value_typeEPNSP_ISK_E10value_typeEPSL_NS1_7vsmem_tEENKUlT_SJ_SK_SL_E_clISE_PhSF_SF_EESI_SY_SJ_SK_SL_EUlSY_E1_NS1_11comp_targetILNS1_3genE9ELNS1_11target_archE1100ELNS1_3gpuE3ELNS1_3repE0EEENS1_36merge_oddeven_config_static_selectorELNS0_4arch9wavefront6targetE0EEEvSK_
    .private_segment_fixed_size: 0
    .sgpr_count:     0
    .sgpr_spill_count: 0
    .symbol:         _ZN7rocprim17ROCPRIM_400000_NS6detail17trampoline_kernelINS0_14default_configENS1_38merge_sort_block_merge_config_selectorIhNS0_10empty_typeEEEZZNS1_27merge_sort_block_merge_implIS3_N6thrust23THRUST_200600_302600_NS6detail15normal_iteratorINS9_10device_ptrIhEEEEPS5_m11less_div_10IhEEE10hipError_tT0_T1_T2_jT3_P12ihipStream_tbPNSt15iterator_traitsISJ_E10value_typeEPNSP_ISK_E10value_typeEPSL_NS1_7vsmem_tEENKUlT_SJ_SK_SL_E_clISE_PhSF_SF_EESI_SY_SJ_SK_SL_EUlSY_E1_NS1_11comp_targetILNS1_3genE9ELNS1_11target_archE1100ELNS1_3gpuE3ELNS1_3repE0EEENS1_36merge_oddeven_config_static_selectorELNS0_4arch9wavefront6targetE0EEEvSK_.kd
    .uniform_work_group_size: 1
    .uses_dynamic_stack: false
    .vgpr_count:     0
    .vgpr_spill_count: 0
    .wavefront_size: 32
    .workgroup_processor_mode: 1
  - .args:
      - .offset:         0
        .size:           56
        .value_kind:     by_value
    .group_segment_fixed_size: 0
    .kernarg_segment_align: 8
    .kernarg_segment_size: 56
    .language:       OpenCL C
    .language_version:
      - 2
      - 0
    .max_flat_workgroup_size: 256
    .name:           _ZN7rocprim17ROCPRIM_400000_NS6detail17trampoline_kernelINS0_14default_configENS1_38merge_sort_block_merge_config_selectorIhNS0_10empty_typeEEEZZNS1_27merge_sort_block_merge_implIS3_N6thrust23THRUST_200600_302600_NS6detail15normal_iteratorINS9_10device_ptrIhEEEEPS5_m11less_div_10IhEEE10hipError_tT0_T1_T2_jT3_P12ihipStream_tbPNSt15iterator_traitsISJ_E10value_typeEPNSP_ISK_E10value_typeEPSL_NS1_7vsmem_tEENKUlT_SJ_SK_SL_E_clISE_PhSF_SF_EESI_SY_SJ_SK_SL_EUlSY_E1_NS1_11comp_targetILNS1_3genE8ELNS1_11target_archE1030ELNS1_3gpuE2ELNS1_3repE0EEENS1_36merge_oddeven_config_static_selectorELNS0_4arch9wavefront6targetE0EEEvSK_
    .private_segment_fixed_size: 0
    .sgpr_count:     18
    .sgpr_spill_count: 0
    .symbol:         _ZN7rocprim17ROCPRIM_400000_NS6detail17trampoline_kernelINS0_14default_configENS1_38merge_sort_block_merge_config_selectorIhNS0_10empty_typeEEEZZNS1_27merge_sort_block_merge_implIS3_N6thrust23THRUST_200600_302600_NS6detail15normal_iteratorINS9_10device_ptrIhEEEEPS5_m11less_div_10IhEEE10hipError_tT0_T1_T2_jT3_P12ihipStream_tbPNSt15iterator_traitsISJ_E10value_typeEPNSP_ISK_E10value_typeEPSL_NS1_7vsmem_tEENKUlT_SJ_SK_SL_E_clISE_PhSF_SF_EESI_SY_SJ_SK_SL_EUlSY_E1_NS1_11comp_targetILNS1_3genE8ELNS1_11target_archE1030ELNS1_3gpuE2ELNS1_3repE0EEENS1_36merge_oddeven_config_static_selectorELNS0_4arch9wavefront6targetE0EEEvSK_.kd
    .uniform_work_group_size: 1
    .uses_dynamic_stack: false
    .vgpr_count:     8
    .vgpr_spill_count: 0
    .wavefront_size: 32
    .workgroup_processor_mode: 1
  - .args:
      - .offset:         0
        .size:           40
        .value_kind:     by_value
    .group_segment_fixed_size: 0
    .kernarg_segment_align: 8
    .kernarg_segment_size: 40
    .language:       OpenCL C
    .language_version:
      - 2
      - 0
    .max_flat_workgroup_size: 128
    .name:           _ZN7rocprim17ROCPRIM_400000_NS6detail17trampoline_kernelINS0_14default_configENS1_25transform_config_selectorIhLb0EEEZNS1_14transform_implILb0ES3_S5_PhN6thrust23THRUST_200600_302600_NS6detail15normal_iteratorINS9_10device_ptrIhEEEENS0_8identityIhEEEE10hipError_tT2_T3_mT4_P12ihipStream_tbEUlT_E_NS1_11comp_targetILNS1_3genE0ELNS1_11target_archE4294967295ELNS1_3gpuE0ELNS1_3repE0EEENS1_30default_config_static_selectorELNS0_4arch9wavefront6targetE0EEEvT1_
    .private_segment_fixed_size: 0
    .sgpr_count:     0
    .sgpr_spill_count: 0
    .symbol:         _ZN7rocprim17ROCPRIM_400000_NS6detail17trampoline_kernelINS0_14default_configENS1_25transform_config_selectorIhLb0EEEZNS1_14transform_implILb0ES3_S5_PhN6thrust23THRUST_200600_302600_NS6detail15normal_iteratorINS9_10device_ptrIhEEEENS0_8identityIhEEEE10hipError_tT2_T3_mT4_P12ihipStream_tbEUlT_E_NS1_11comp_targetILNS1_3genE0ELNS1_11target_archE4294967295ELNS1_3gpuE0ELNS1_3repE0EEENS1_30default_config_static_selectorELNS0_4arch9wavefront6targetE0EEEvT1_.kd
    .uniform_work_group_size: 1
    .uses_dynamic_stack: false
    .vgpr_count:     0
    .vgpr_spill_count: 0
    .wavefront_size: 32
    .workgroup_processor_mode: 1
  - .args:
      - .offset:         0
        .size:           40
        .value_kind:     by_value
    .group_segment_fixed_size: 0
    .kernarg_segment_align: 8
    .kernarg_segment_size: 40
    .language:       OpenCL C
    .language_version:
      - 2
      - 0
    .max_flat_workgroup_size: 1024
    .name:           _ZN7rocprim17ROCPRIM_400000_NS6detail17trampoline_kernelINS0_14default_configENS1_25transform_config_selectorIhLb0EEEZNS1_14transform_implILb0ES3_S5_PhN6thrust23THRUST_200600_302600_NS6detail15normal_iteratorINS9_10device_ptrIhEEEENS0_8identityIhEEEE10hipError_tT2_T3_mT4_P12ihipStream_tbEUlT_E_NS1_11comp_targetILNS1_3genE5ELNS1_11target_archE942ELNS1_3gpuE9ELNS1_3repE0EEENS1_30default_config_static_selectorELNS0_4arch9wavefront6targetE0EEEvT1_
    .private_segment_fixed_size: 0
    .sgpr_count:     0
    .sgpr_spill_count: 0
    .symbol:         _ZN7rocprim17ROCPRIM_400000_NS6detail17trampoline_kernelINS0_14default_configENS1_25transform_config_selectorIhLb0EEEZNS1_14transform_implILb0ES3_S5_PhN6thrust23THRUST_200600_302600_NS6detail15normal_iteratorINS9_10device_ptrIhEEEENS0_8identityIhEEEE10hipError_tT2_T3_mT4_P12ihipStream_tbEUlT_E_NS1_11comp_targetILNS1_3genE5ELNS1_11target_archE942ELNS1_3gpuE9ELNS1_3repE0EEENS1_30default_config_static_selectorELNS0_4arch9wavefront6targetE0EEEvT1_.kd
    .uniform_work_group_size: 1
    .uses_dynamic_stack: false
    .vgpr_count:     0
    .vgpr_spill_count: 0
    .wavefront_size: 32
    .workgroup_processor_mode: 1
  - .args:
      - .offset:         0
        .size:           40
        .value_kind:     by_value
    .group_segment_fixed_size: 0
    .kernarg_segment_align: 8
    .kernarg_segment_size: 40
    .language:       OpenCL C
    .language_version:
      - 2
      - 0
    .max_flat_workgroup_size: 64
    .name:           _ZN7rocprim17ROCPRIM_400000_NS6detail17trampoline_kernelINS0_14default_configENS1_25transform_config_selectorIhLb0EEEZNS1_14transform_implILb0ES3_S5_PhN6thrust23THRUST_200600_302600_NS6detail15normal_iteratorINS9_10device_ptrIhEEEENS0_8identityIhEEEE10hipError_tT2_T3_mT4_P12ihipStream_tbEUlT_E_NS1_11comp_targetILNS1_3genE4ELNS1_11target_archE910ELNS1_3gpuE8ELNS1_3repE0EEENS1_30default_config_static_selectorELNS0_4arch9wavefront6targetE0EEEvT1_
    .private_segment_fixed_size: 0
    .sgpr_count:     0
    .sgpr_spill_count: 0
    .symbol:         _ZN7rocprim17ROCPRIM_400000_NS6detail17trampoline_kernelINS0_14default_configENS1_25transform_config_selectorIhLb0EEEZNS1_14transform_implILb0ES3_S5_PhN6thrust23THRUST_200600_302600_NS6detail15normal_iteratorINS9_10device_ptrIhEEEENS0_8identityIhEEEE10hipError_tT2_T3_mT4_P12ihipStream_tbEUlT_E_NS1_11comp_targetILNS1_3genE4ELNS1_11target_archE910ELNS1_3gpuE8ELNS1_3repE0EEENS1_30default_config_static_selectorELNS0_4arch9wavefront6targetE0EEEvT1_.kd
    .uniform_work_group_size: 1
    .uses_dynamic_stack: false
    .vgpr_count:     0
    .vgpr_spill_count: 0
    .wavefront_size: 32
    .workgroup_processor_mode: 1
  - .args:
      - .offset:         0
        .size:           40
        .value_kind:     by_value
    .group_segment_fixed_size: 0
    .kernarg_segment_align: 8
    .kernarg_segment_size: 40
    .language:       OpenCL C
    .language_version:
      - 2
      - 0
    .max_flat_workgroup_size: 128
    .name:           _ZN7rocprim17ROCPRIM_400000_NS6detail17trampoline_kernelINS0_14default_configENS1_25transform_config_selectorIhLb0EEEZNS1_14transform_implILb0ES3_S5_PhN6thrust23THRUST_200600_302600_NS6detail15normal_iteratorINS9_10device_ptrIhEEEENS0_8identityIhEEEE10hipError_tT2_T3_mT4_P12ihipStream_tbEUlT_E_NS1_11comp_targetILNS1_3genE3ELNS1_11target_archE908ELNS1_3gpuE7ELNS1_3repE0EEENS1_30default_config_static_selectorELNS0_4arch9wavefront6targetE0EEEvT1_
    .private_segment_fixed_size: 0
    .sgpr_count:     0
    .sgpr_spill_count: 0
    .symbol:         _ZN7rocprim17ROCPRIM_400000_NS6detail17trampoline_kernelINS0_14default_configENS1_25transform_config_selectorIhLb0EEEZNS1_14transform_implILb0ES3_S5_PhN6thrust23THRUST_200600_302600_NS6detail15normal_iteratorINS9_10device_ptrIhEEEENS0_8identityIhEEEE10hipError_tT2_T3_mT4_P12ihipStream_tbEUlT_E_NS1_11comp_targetILNS1_3genE3ELNS1_11target_archE908ELNS1_3gpuE7ELNS1_3repE0EEENS1_30default_config_static_selectorELNS0_4arch9wavefront6targetE0EEEvT1_.kd
    .uniform_work_group_size: 1
    .uses_dynamic_stack: false
    .vgpr_count:     0
    .vgpr_spill_count: 0
    .wavefront_size: 32
    .workgroup_processor_mode: 1
  - .args:
      - .offset:         0
        .size:           40
        .value_kind:     by_value
    .group_segment_fixed_size: 0
    .kernarg_segment_align: 8
    .kernarg_segment_size: 40
    .language:       OpenCL C
    .language_version:
      - 2
      - 0
    .max_flat_workgroup_size: 64
    .name:           _ZN7rocprim17ROCPRIM_400000_NS6detail17trampoline_kernelINS0_14default_configENS1_25transform_config_selectorIhLb0EEEZNS1_14transform_implILb0ES3_S5_PhN6thrust23THRUST_200600_302600_NS6detail15normal_iteratorINS9_10device_ptrIhEEEENS0_8identityIhEEEE10hipError_tT2_T3_mT4_P12ihipStream_tbEUlT_E_NS1_11comp_targetILNS1_3genE2ELNS1_11target_archE906ELNS1_3gpuE6ELNS1_3repE0EEENS1_30default_config_static_selectorELNS0_4arch9wavefront6targetE0EEEvT1_
    .private_segment_fixed_size: 0
    .sgpr_count:     0
    .sgpr_spill_count: 0
    .symbol:         _ZN7rocprim17ROCPRIM_400000_NS6detail17trampoline_kernelINS0_14default_configENS1_25transform_config_selectorIhLb0EEEZNS1_14transform_implILb0ES3_S5_PhN6thrust23THRUST_200600_302600_NS6detail15normal_iteratorINS9_10device_ptrIhEEEENS0_8identityIhEEEE10hipError_tT2_T3_mT4_P12ihipStream_tbEUlT_E_NS1_11comp_targetILNS1_3genE2ELNS1_11target_archE906ELNS1_3gpuE6ELNS1_3repE0EEENS1_30default_config_static_selectorELNS0_4arch9wavefront6targetE0EEEvT1_.kd
    .uniform_work_group_size: 1
    .uses_dynamic_stack: false
    .vgpr_count:     0
    .vgpr_spill_count: 0
    .wavefront_size: 32
    .workgroup_processor_mode: 1
  - .args:
      - .offset:         0
        .size:           40
        .value_kind:     by_value
    .group_segment_fixed_size: 0
    .kernarg_segment_align: 8
    .kernarg_segment_size: 40
    .language:       OpenCL C
    .language_version:
      - 2
      - 0
    .max_flat_workgroup_size: 256
    .name:           _ZN7rocprim17ROCPRIM_400000_NS6detail17trampoline_kernelINS0_14default_configENS1_25transform_config_selectorIhLb0EEEZNS1_14transform_implILb0ES3_S5_PhN6thrust23THRUST_200600_302600_NS6detail15normal_iteratorINS9_10device_ptrIhEEEENS0_8identityIhEEEE10hipError_tT2_T3_mT4_P12ihipStream_tbEUlT_E_NS1_11comp_targetILNS1_3genE10ELNS1_11target_archE1201ELNS1_3gpuE5ELNS1_3repE0EEENS1_30default_config_static_selectorELNS0_4arch9wavefront6targetE0EEEvT1_
    .private_segment_fixed_size: 0
    .sgpr_count:     0
    .sgpr_spill_count: 0
    .symbol:         _ZN7rocprim17ROCPRIM_400000_NS6detail17trampoline_kernelINS0_14default_configENS1_25transform_config_selectorIhLb0EEEZNS1_14transform_implILb0ES3_S5_PhN6thrust23THRUST_200600_302600_NS6detail15normal_iteratorINS9_10device_ptrIhEEEENS0_8identityIhEEEE10hipError_tT2_T3_mT4_P12ihipStream_tbEUlT_E_NS1_11comp_targetILNS1_3genE10ELNS1_11target_archE1201ELNS1_3gpuE5ELNS1_3repE0EEENS1_30default_config_static_selectorELNS0_4arch9wavefront6targetE0EEEvT1_.kd
    .uniform_work_group_size: 1
    .uses_dynamic_stack: false
    .vgpr_count:     0
    .vgpr_spill_count: 0
    .wavefront_size: 32
    .workgroup_processor_mode: 1
  - .args:
      - .offset:         0
        .size:           40
        .value_kind:     by_value
    .group_segment_fixed_size: 0
    .kernarg_segment_align: 8
    .kernarg_segment_size: 40
    .language:       OpenCL C
    .language_version:
      - 2
      - 0
    .max_flat_workgroup_size: 256
    .name:           _ZN7rocprim17ROCPRIM_400000_NS6detail17trampoline_kernelINS0_14default_configENS1_25transform_config_selectorIhLb0EEEZNS1_14transform_implILb0ES3_S5_PhN6thrust23THRUST_200600_302600_NS6detail15normal_iteratorINS9_10device_ptrIhEEEENS0_8identityIhEEEE10hipError_tT2_T3_mT4_P12ihipStream_tbEUlT_E_NS1_11comp_targetILNS1_3genE10ELNS1_11target_archE1200ELNS1_3gpuE4ELNS1_3repE0EEENS1_30default_config_static_selectorELNS0_4arch9wavefront6targetE0EEEvT1_
    .private_segment_fixed_size: 0
    .sgpr_count:     0
    .sgpr_spill_count: 0
    .symbol:         _ZN7rocprim17ROCPRIM_400000_NS6detail17trampoline_kernelINS0_14default_configENS1_25transform_config_selectorIhLb0EEEZNS1_14transform_implILb0ES3_S5_PhN6thrust23THRUST_200600_302600_NS6detail15normal_iteratorINS9_10device_ptrIhEEEENS0_8identityIhEEEE10hipError_tT2_T3_mT4_P12ihipStream_tbEUlT_E_NS1_11comp_targetILNS1_3genE10ELNS1_11target_archE1200ELNS1_3gpuE4ELNS1_3repE0EEENS1_30default_config_static_selectorELNS0_4arch9wavefront6targetE0EEEvT1_.kd
    .uniform_work_group_size: 1
    .uses_dynamic_stack: false
    .vgpr_count:     0
    .vgpr_spill_count: 0
    .wavefront_size: 32
    .workgroup_processor_mode: 1
  - .args:
      - .offset:         0
        .size:           40
        .value_kind:     by_value
    .group_segment_fixed_size: 0
    .kernarg_segment_align: 8
    .kernarg_segment_size: 40
    .language:       OpenCL C
    .language_version:
      - 2
      - 0
    .max_flat_workgroup_size: 1024
    .name:           _ZN7rocprim17ROCPRIM_400000_NS6detail17trampoline_kernelINS0_14default_configENS1_25transform_config_selectorIhLb0EEEZNS1_14transform_implILb0ES3_S5_PhN6thrust23THRUST_200600_302600_NS6detail15normal_iteratorINS9_10device_ptrIhEEEENS0_8identityIhEEEE10hipError_tT2_T3_mT4_P12ihipStream_tbEUlT_E_NS1_11comp_targetILNS1_3genE9ELNS1_11target_archE1100ELNS1_3gpuE3ELNS1_3repE0EEENS1_30default_config_static_selectorELNS0_4arch9wavefront6targetE0EEEvT1_
    .private_segment_fixed_size: 0
    .sgpr_count:     0
    .sgpr_spill_count: 0
    .symbol:         _ZN7rocprim17ROCPRIM_400000_NS6detail17trampoline_kernelINS0_14default_configENS1_25transform_config_selectorIhLb0EEEZNS1_14transform_implILb0ES3_S5_PhN6thrust23THRUST_200600_302600_NS6detail15normal_iteratorINS9_10device_ptrIhEEEENS0_8identityIhEEEE10hipError_tT2_T3_mT4_P12ihipStream_tbEUlT_E_NS1_11comp_targetILNS1_3genE9ELNS1_11target_archE1100ELNS1_3gpuE3ELNS1_3repE0EEENS1_30default_config_static_selectorELNS0_4arch9wavefront6targetE0EEEvT1_.kd
    .uniform_work_group_size: 1
    .uses_dynamic_stack: false
    .vgpr_count:     0
    .vgpr_spill_count: 0
    .wavefront_size: 32
    .workgroup_processor_mode: 1
  - .args:
      - .offset:         0
        .size:           40
        .value_kind:     by_value
      - .offset:         40
        .size:           4
        .value_kind:     hidden_block_count_x
      - .offset:         44
        .size:           4
        .value_kind:     hidden_block_count_y
      - .offset:         48
        .size:           4
        .value_kind:     hidden_block_count_z
      - .offset:         52
        .size:           2
        .value_kind:     hidden_group_size_x
      - .offset:         54
        .size:           2
        .value_kind:     hidden_group_size_y
      - .offset:         56
        .size:           2
        .value_kind:     hidden_group_size_z
      - .offset:         58
        .size:           2
        .value_kind:     hidden_remainder_x
      - .offset:         60
        .size:           2
        .value_kind:     hidden_remainder_y
      - .offset:         62
        .size:           2
        .value_kind:     hidden_remainder_z
      - .offset:         80
        .size:           8
        .value_kind:     hidden_global_offset_x
      - .offset:         88
        .size:           8
        .value_kind:     hidden_global_offset_y
      - .offset:         96
        .size:           8
        .value_kind:     hidden_global_offset_z
      - .offset:         104
        .size:           2
        .value_kind:     hidden_grid_dims
    .group_segment_fixed_size: 0
    .kernarg_segment_align: 8
    .kernarg_segment_size: 296
    .language:       OpenCL C
    .language_version:
      - 2
      - 0
    .max_flat_workgroup_size: 128
    .name:           _ZN7rocprim17ROCPRIM_400000_NS6detail17trampoline_kernelINS0_14default_configENS1_25transform_config_selectorIhLb0EEEZNS1_14transform_implILb0ES3_S5_PhN6thrust23THRUST_200600_302600_NS6detail15normal_iteratorINS9_10device_ptrIhEEEENS0_8identityIhEEEE10hipError_tT2_T3_mT4_P12ihipStream_tbEUlT_E_NS1_11comp_targetILNS1_3genE8ELNS1_11target_archE1030ELNS1_3gpuE2ELNS1_3repE0EEENS1_30default_config_static_selectorELNS0_4arch9wavefront6targetE0EEEvT1_
    .private_segment_fixed_size: 0
    .sgpr_count:     18
    .sgpr_spill_count: 0
    .symbol:         _ZN7rocprim17ROCPRIM_400000_NS6detail17trampoline_kernelINS0_14default_configENS1_25transform_config_selectorIhLb0EEEZNS1_14transform_implILb0ES3_S5_PhN6thrust23THRUST_200600_302600_NS6detail15normal_iteratorINS9_10device_ptrIhEEEENS0_8identityIhEEEE10hipError_tT2_T3_mT4_P12ihipStream_tbEUlT_E_NS1_11comp_targetILNS1_3genE8ELNS1_11target_archE1030ELNS1_3gpuE2ELNS1_3repE0EEENS1_30default_config_static_selectorELNS0_4arch9wavefront6targetE0EEEvT1_.kd
    .uniform_work_group_size: 1
    .uses_dynamic_stack: false
    .vgpr_count:     5
    .vgpr_spill_count: 0
    .wavefront_size: 32
    .workgroup_processor_mode: 1
  - .args:
      - .offset:         0
        .size:           64
        .value_kind:     by_value
    .group_segment_fixed_size: 0
    .kernarg_segment_align: 8
    .kernarg_segment_size: 64
    .language:       OpenCL C
    .language_version:
      - 2
      - 0
    .max_flat_workgroup_size: 256
    .name:           _ZN7rocprim17ROCPRIM_400000_NS6detail17trampoline_kernelINS0_14default_configENS1_37merge_sort_block_sort_config_selectorIyNS0_10empty_typeEEEZNS1_21merge_sort_block_sortIS3_N6thrust23THRUST_200600_302600_NS6detail15normal_iteratorINS9_10device_ptrIyEEEESE_PS5_SF_9comp_mod3IyEEE10hipError_tT0_T1_T2_T3_mRjT4_P12ihipStream_tbNS1_7vsmem_tEEUlT_E_NS1_11comp_targetILNS1_3genE0ELNS1_11target_archE4294967295ELNS1_3gpuE0ELNS1_3repE0EEENS1_30default_config_static_selectorELNS0_4arch9wavefront6targetE0EEEvSK_
    .private_segment_fixed_size: 0
    .sgpr_count:     0
    .sgpr_spill_count: 0
    .symbol:         _ZN7rocprim17ROCPRIM_400000_NS6detail17trampoline_kernelINS0_14default_configENS1_37merge_sort_block_sort_config_selectorIyNS0_10empty_typeEEEZNS1_21merge_sort_block_sortIS3_N6thrust23THRUST_200600_302600_NS6detail15normal_iteratorINS9_10device_ptrIyEEEESE_PS5_SF_9comp_mod3IyEEE10hipError_tT0_T1_T2_T3_mRjT4_P12ihipStream_tbNS1_7vsmem_tEEUlT_E_NS1_11comp_targetILNS1_3genE0ELNS1_11target_archE4294967295ELNS1_3gpuE0ELNS1_3repE0EEENS1_30default_config_static_selectorELNS0_4arch9wavefront6targetE0EEEvSK_.kd
    .uniform_work_group_size: 1
    .uses_dynamic_stack: false
    .vgpr_count:     0
    .vgpr_spill_count: 0
    .wavefront_size: 32
    .workgroup_processor_mode: 1
  - .args:
      - .offset:         0
        .size:           64
        .value_kind:     by_value
    .group_segment_fixed_size: 0
    .kernarg_segment_align: 8
    .kernarg_segment_size: 64
    .language:       OpenCL C
    .language_version:
      - 2
      - 0
    .max_flat_workgroup_size: 256
    .name:           _ZN7rocprim17ROCPRIM_400000_NS6detail17trampoline_kernelINS0_14default_configENS1_37merge_sort_block_sort_config_selectorIyNS0_10empty_typeEEEZNS1_21merge_sort_block_sortIS3_N6thrust23THRUST_200600_302600_NS6detail15normal_iteratorINS9_10device_ptrIyEEEESE_PS5_SF_9comp_mod3IyEEE10hipError_tT0_T1_T2_T3_mRjT4_P12ihipStream_tbNS1_7vsmem_tEEUlT_E_NS1_11comp_targetILNS1_3genE5ELNS1_11target_archE942ELNS1_3gpuE9ELNS1_3repE0EEENS1_30default_config_static_selectorELNS0_4arch9wavefront6targetE0EEEvSK_
    .private_segment_fixed_size: 0
    .sgpr_count:     0
    .sgpr_spill_count: 0
    .symbol:         _ZN7rocprim17ROCPRIM_400000_NS6detail17trampoline_kernelINS0_14default_configENS1_37merge_sort_block_sort_config_selectorIyNS0_10empty_typeEEEZNS1_21merge_sort_block_sortIS3_N6thrust23THRUST_200600_302600_NS6detail15normal_iteratorINS9_10device_ptrIyEEEESE_PS5_SF_9comp_mod3IyEEE10hipError_tT0_T1_T2_T3_mRjT4_P12ihipStream_tbNS1_7vsmem_tEEUlT_E_NS1_11comp_targetILNS1_3genE5ELNS1_11target_archE942ELNS1_3gpuE9ELNS1_3repE0EEENS1_30default_config_static_selectorELNS0_4arch9wavefront6targetE0EEEvSK_.kd
    .uniform_work_group_size: 1
    .uses_dynamic_stack: false
    .vgpr_count:     0
    .vgpr_spill_count: 0
    .wavefront_size: 32
    .workgroup_processor_mode: 1
  - .args:
      - .offset:         0
        .size:           64
        .value_kind:     by_value
    .group_segment_fixed_size: 0
    .kernarg_segment_align: 8
    .kernarg_segment_size: 64
    .language:       OpenCL C
    .language_version:
      - 2
      - 0
    .max_flat_workgroup_size: 256
    .name:           _ZN7rocprim17ROCPRIM_400000_NS6detail17trampoline_kernelINS0_14default_configENS1_37merge_sort_block_sort_config_selectorIyNS0_10empty_typeEEEZNS1_21merge_sort_block_sortIS3_N6thrust23THRUST_200600_302600_NS6detail15normal_iteratorINS9_10device_ptrIyEEEESE_PS5_SF_9comp_mod3IyEEE10hipError_tT0_T1_T2_T3_mRjT4_P12ihipStream_tbNS1_7vsmem_tEEUlT_E_NS1_11comp_targetILNS1_3genE4ELNS1_11target_archE910ELNS1_3gpuE8ELNS1_3repE0EEENS1_30default_config_static_selectorELNS0_4arch9wavefront6targetE0EEEvSK_
    .private_segment_fixed_size: 0
    .sgpr_count:     0
    .sgpr_spill_count: 0
    .symbol:         _ZN7rocprim17ROCPRIM_400000_NS6detail17trampoline_kernelINS0_14default_configENS1_37merge_sort_block_sort_config_selectorIyNS0_10empty_typeEEEZNS1_21merge_sort_block_sortIS3_N6thrust23THRUST_200600_302600_NS6detail15normal_iteratorINS9_10device_ptrIyEEEESE_PS5_SF_9comp_mod3IyEEE10hipError_tT0_T1_T2_T3_mRjT4_P12ihipStream_tbNS1_7vsmem_tEEUlT_E_NS1_11comp_targetILNS1_3genE4ELNS1_11target_archE910ELNS1_3gpuE8ELNS1_3repE0EEENS1_30default_config_static_selectorELNS0_4arch9wavefront6targetE0EEEvSK_.kd
    .uniform_work_group_size: 1
    .uses_dynamic_stack: false
    .vgpr_count:     0
    .vgpr_spill_count: 0
    .wavefront_size: 32
    .workgroup_processor_mode: 1
  - .args:
      - .offset:         0
        .size:           64
        .value_kind:     by_value
    .group_segment_fixed_size: 0
    .kernarg_segment_align: 8
    .kernarg_segment_size: 64
    .language:       OpenCL C
    .language_version:
      - 2
      - 0
    .max_flat_workgroup_size: 256
    .name:           _ZN7rocprim17ROCPRIM_400000_NS6detail17trampoline_kernelINS0_14default_configENS1_37merge_sort_block_sort_config_selectorIyNS0_10empty_typeEEEZNS1_21merge_sort_block_sortIS3_N6thrust23THRUST_200600_302600_NS6detail15normal_iteratorINS9_10device_ptrIyEEEESE_PS5_SF_9comp_mod3IyEEE10hipError_tT0_T1_T2_T3_mRjT4_P12ihipStream_tbNS1_7vsmem_tEEUlT_E_NS1_11comp_targetILNS1_3genE3ELNS1_11target_archE908ELNS1_3gpuE7ELNS1_3repE0EEENS1_30default_config_static_selectorELNS0_4arch9wavefront6targetE0EEEvSK_
    .private_segment_fixed_size: 0
    .sgpr_count:     0
    .sgpr_spill_count: 0
    .symbol:         _ZN7rocprim17ROCPRIM_400000_NS6detail17trampoline_kernelINS0_14default_configENS1_37merge_sort_block_sort_config_selectorIyNS0_10empty_typeEEEZNS1_21merge_sort_block_sortIS3_N6thrust23THRUST_200600_302600_NS6detail15normal_iteratorINS9_10device_ptrIyEEEESE_PS5_SF_9comp_mod3IyEEE10hipError_tT0_T1_T2_T3_mRjT4_P12ihipStream_tbNS1_7vsmem_tEEUlT_E_NS1_11comp_targetILNS1_3genE3ELNS1_11target_archE908ELNS1_3gpuE7ELNS1_3repE0EEENS1_30default_config_static_selectorELNS0_4arch9wavefront6targetE0EEEvSK_.kd
    .uniform_work_group_size: 1
    .uses_dynamic_stack: false
    .vgpr_count:     0
    .vgpr_spill_count: 0
    .wavefront_size: 32
    .workgroup_processor_mode: 1
  - .args:
      - .offset:         0
        .size:           64
        .value_kind:     by_value
    .group_segment_fixed_size: 0
    .kernarg_segment_align: 8
    .kernarg_segment_size: 64
    .language:       OpenCL C
    .language_version:
      - 2
      - 0
    .max_flat_workgroup_size: 256
    .name:           _ZN7rocprim17ROCPRIM_400000_NS6detail17trampoline_kernelINS0_14default_configENS1_37merge_sort_block_sort_config_selectorIyNS0_10empty_typeEEEZNS1_21merge_sort_block_sortIS3_N6thrust23THRUST_200600_302600_NS6detail15normal_iteratorINS9_10device_ptrIyEEEESE_PS5_SF_9comp_mod3IyEEE10hipError_tT0_T1_T2_T3_mRjT4_P12ihipStream_tbNS1_7vsmem_tEEUlT_E_NS1_11comp_targetILNS1_3genE2ELNS1_11target_archE906ELNS1_3gpuE6ELNS1_3repE0EEENS1_30default_config_static_selectorELNS0_4arch9wavefront6targetE0EEEvSK_
    .private_segment_fixed_size: 0
    .sgpr_count:     0
    .sgpr_spill_count: 0
    .symbol:         _ZN7rocprim17ROCPRIM_400000_NS6detail17trampoline_kernelINS0_14default_configENS1_37merge_sort_block_sort_config_selectorIyNS0_10empty_typeEEEZNS1_21merge_sort_block_sortIS3_N6thrust23THRUST_200600_302600_NS6detail15normal_iteratorINS9_10device_ptrIyEEEESE_PS5_SF_9comp_mod3IyEEE10hipError_tT0_T1_T2_T3_mRjT4_P12ihipStream_tbNS1_7vsmem_tEEUlT_E_NS1_11comp_targetILNS1_3genE2ELNS1_11target_archE906ELNS1_3gpuE6ELNS1_3repE0EEENS1_30default_config_static_selectorELNS0_4arch9wavefront6targetE0EEEvSK_.kd
    .uniform_work_group_size: 1
    .uses_dynamic_stack: false
    .vgpr_count:     0
    .vgpr_spill_count: 0
    .wavefront_size: 32
    .workgroup_processor_mode: 1
  - .args:
      - .offset:         0
        .size:           64
        .value_kind:     by_value
    .group_segment_fixed_size: 0
    .kernarg_segment_align: 8
    .kernarg_segment_size: 64
    .language:       OpenCL C
    .language_version:
      - 2
      - 0
    .max_flat_workgroup_size: 256
    .name:           _ZN7rocprim17ROCPRIM_400000_NS6detail17trampoline_kernelINS0_14default_configENS1_37merge_sort_block_sort_config_selectorIyNS0_10empty_typeEEEZNS1_21merge_sort_block_sortIS3_N6thrust23THRUST_200600_302600_NS6detail15normal_iteratorINS9_10device_ptrIyEEEESE_PS5_SF_9comp_mod3IyEEE10hipError_tT0_T1_T2_T3_mRjT4_P12ihipStream_tbNS1_7vsmem_tEEUlT_E_NS1_11comp_targetILNS1_3genE10ELNS1_11target_archE1201ELNS1_3gpuE5ELNS1_3repE0EEENS1_30default_config_static_selectorELNS0_4arch9wavefront6targetE0EEEvSK_
    .private_segment_fixed_size: 0
    .sgpr_count:     0
    .sgpr_spill_count: 0
    .symbol:         _ZN7rocprim17ROCPRIM_400000_NS6detail17trampoline_kernelINS0_14default_configENS1_37merge_sort_block_sort_config_selectorIyNS0_10empty_typeEEEZNS1_21merge_sort_block_sortIS3_N6thrust23THRUST_200600_302600_NS6detail15normal_iteratorINS9_10device_ptrIyEEEESE_PS5_SF_9comp_mod3IyEEE10hipError_tT0_T1_T2_T3_mRjT4_P12ihipStream_tbNS1_7vsmem_tEEUlT_E_NS1_11comp_targetILNS1_3genE10ELNS1_11target_archE1201ELNS1_3gpuE5ELNS1_3repE0EEENS1_30default_config_static_selectorELNS0_4arch9wavefront6targetE0EEEvSK_.kd
    .uniform_work_group_size: 1
    .uses_dynamic_stack: false
    .vgpr_count:     0
    .vgpr_spill_count: 0
    .wavefront_size: 32
    .workgroup_processor_mode: 1
  - .args:
      - .offset:         0
        .size:           64
        .value_kind:     by_value
    .group_segment_fixed_size: 0
    .kernarg_segment_align: 8
    .kernarg_segment_size: 64
    .language:       OpenCL C
    .language_version:
      - 2
      - 0
    .max_flat_workgroup_size: 512
    .name:           _ZN7rocprim17ROCPRIM_400000_NS6detail17trampoline_kernelINS0_14default_configENS1_37merge_sort_block_sort_config_selectorIyNS0_10empty_typeEEEZNS1_21merge_sort_block_sortIS3_N6thrust23THRUST_200600_302600_NS6detail15normal_iteratorINS9_10device_ptrIyEEEESE_PS5_SF_9comp_mod3IyEEE10hipError_tT0_T1_T2_T3_mRjT4_P12ihipStream_tbNS1_7vsmem_tEEUlT_E_NS1_11comp_targetILNS1_3genE10ELNS1_11target_archE1200ELNS1_3gpuE4ELNS1_3repE0EEENS1_30default_config_static_selectorELNS0_4arch9wavefront6targetE0EEEvSK_
    .private_segment_fixed_size: 0
    .sgpr_count:     0
    .sgpr_spill_count: 0
    .symbol:         _ZN7rocprim17ROCPRIM_400000_NS6detail17trampoline_kernelINS0_14default_configENS1_37merge_sort_block_sort_config_selectorIyNS0_10empty_typeEEEZNS1_21merge_sort_block_sortIS3_N6thrust23THRUST_200600_302600_NS6detail15normal_iteratorINS9_10device_ptrIyEEEESE_PS5_SF_9comp_mod3IyEEE10hipError_tT0_T1_T2_T3_mRjT4_P12ihipStream_tbNS1_7vsmem_tEEUlT_E_NS1_11comp_targetILNS1_3genE10ELNS1_11target_archE1200ELNS1_3gpuE4ELNS1_3repE0EEENS1_30default_config_static_selectorELNS0_4arch9wavefront6targetE0EEEvSK_.kd
    .uniform_work_group_size: 1
    .uses_dynamic_stack: false
    .vgpr_count:     0
    .vgpr_spill_count: 0
    .wavefront_size: 32
    .workgroup_processor_mode: 1
  - .args:
      - .offset:         0
        .size:           64
        .value_kind:     by_value
    .group_segment_fixed_size: 0
    .kernarg_segment_align: 8
    .kernarg_segment_size: 64
    .language:       OpenCL C
    .language_version:
      - 2
      - 0
    .max_flat_workgroup_size: 256
    .name:           _ZN7rocprim17ROCPRIM_400000_NS6detail17trampoline_kernelINS0_14default_configENS1_37merge_sort_block_sort_config_selectorIyNS0_10empty_typeEEEZNS1_21merge_sort_block_sortIS3_N6thrust23THRUST_200600_302600_NS6detail15normal_iteratorINS9_10device_ptrIyEEEESE_PS5_SF_9comp_mod3IyEEE10hipError_tT0_T1_T2_T3_mRjT4_P12ihipStream_tbNS1_7vsmem_tEEUlT_E_NS1_11comp_targetILNS1_3genE9ELNS1_11target_archE1100ELNS1_3gpuE3ELNS1_3repE0EEENS1_30default_config_static_selectorELNS0_4arch9wavefront6targetE0EEEvSK_
    .private_segment_fixed_size: 0
    .sgpr_count:     0
    .sgpr_spill_count: 0
    .symbol:         _ZN7rocprim17ROCPRIM_400000_NS6detail17trampoline_kernelINS0_14default_configENS1_37merge_sort_block_sort_config_selectorIyNS0_10empty_typeEEEZNS1_21merge_sort_block_sortIS3_N6thrust23THRUST_200600_302600_NS6detail15normal_iteratorINS9_10device_ptrIyEEEESE_PS5_SF_9comp_mod3IyEEE10hipError_tT0_T1_T2_T3_mRjT4_P12ihipStream_tbNS1_7vsmem_tEEUlT_E_NS1_11comp_targetILNS1_3genE9ELNS1_11target_archE1100ELNS1_3gpuE3ELNS1_3repE0EEENS1_30default_config_static_selectorELNS0_4arch9wavefront6targetE0EEEvSK_.kd
    .uniform_work_group_size: 1
    .uses_dynamic_stack: false
    .vgpr_count:     0
    .vgpr_spill_count: 0
    .wavefront_size: 32
    .workgroup_processor_mode: 1
  - .args:
      - .offset:         0
        .size:           64
        .value_kind:     by_value
      - .offset:         64
        .size:           4
        .value_kind:     hidden_block_count_x
      - .offset:         68
        .size:           4
        .value_kind:     hidden_block_count_y
      - .offset:         72
        .size:           4
        .value_kind:     hidden_block_count_z
      - .offset:         76
        .size:           2
        .value_kind:     hidden_group_size_x
      - .offset:         78
        .size:           2
        .value_kind:     hidden_group_size_y
      - .offset:         80
        .size:           2
        .value_kind:     hidden_group_size_z
      - .offset:         82
        .size:           2
        .value_kind:     hidden_remainder_x
      - .offset:         84
        .size:           2
        .value_kind:     hidden_remainder_y
      - .offset:         86
        .size:           2
        .value_kind:     hidden_remainder_z
      - .offset:         104
        .size:           8
        .value_kind:     hidden_global_offset_x
      - .offset:         112
        .size:           8
        .value_kind:     hidden_global_offset_y
      - .offset:         120
        .size:           8
        .value_kind:     hidden_global_offset_z
      - .offset:         128
        .size:           2
        .value_kind:     hidden_grid_dims
    .group_segment_fixed_size: 8448
    .kernarg_segment_align: 8
    .kernarg_segment_size: 320
    .language:       OpenCL C
    .language_version:
      - 2
      - 0
    .max_flat_workgroup_size: 256
    .name:           _ZN7rocprim17ROCPRIM_400000_NS6detail17trampoline_kernelINS0_14default_configENS1_37merge_sort_block_sort_config_selectorIyNS0_10empty_typeEEEZNS1_21merge_sort_block_sortIS3_N6thrust23THRUST_200600_302600_NS6detail15normal_iteratorINS9_10device_ptrIyEEEESE_PS5_SF_9comp_mod3IyEEE10hipError_tT0_T1_T2_T3_mRjT4_P12ihipStream_tbNS1_7vsmem_tEEUlT_E_NS1_11comp_targetILNS1_3genE8ELNS1_11target_archE1030ELNS1_3gpuE2ELNS1_3repE0EEENS1_30default_config_static_selectorELNS0_4arch9wavefront6targetE0EEEvSK_
    .private_segment_fixed_size: 0
    .sgpr_count:     24
    .sgpr_spill_count: 0
    .symbol:         _ZN7rocprim17ROCPRIM_400000_NS6detail17trampoline_kernelINS0_14default_configENS1_37merge_sort_block_sort_config_selectorIyNS0_10empty_typeEEEZNS1_21merge_sort_block_sortIS3_N6thrust23THRUST_200600_302600_NS6detail15normal_iteratorINS9_10device_ptrIyEEEESE_PS5_SF_9comp_mod3IyEEE10hipError_tT0_T1_T2_T3_mRjT4_P12ihipStream_tbNS1_7vsmem_tEEUlT_E_NS1_11comp_targetILNS1_3genE8ELNS1_11target_archE1030ELNS1_3gpuE2ELNS1_3repE0EEENS1_30default_config_static_selectorELNS0_4arch9wavefront6targetE0EEEvSK_.kd
    .uniform_work_group_size: 1
    .uses_dynamic_stack: false
    .vgpr_count:     49
    .vgpr_spill_count: 0
    .wavefront_size: 32
    .workgroup_processor_mode: 1
  - .args:
      - .offset:         0
        .size:           48
        .value_kind:     by_value
    .group_segment_fixed_size: 0
    .kernarg_segment_align: 8
    .kernarg_segment_size: 48
    .language:       OpenCL C
    .language_version:
      - 2
      - 0
    .max_flat_workgroup_size: 128
    .name:           _ZN7rocprim17ROCPRIM_400000_NS6detail17trampoline_kernelINS0_14default_configENS1_38merge_sort_block_merge_config_selectorIyNS0_10empty_typeEEEZZNS1_27merge_sort_block_merge_implIS3_N6thrust23THRUST_200600_302600_NS6detail15normal_iteratorINS9_10device_ptrIyEEEEPS5_m9comp_mod3IyEEE10hipError_tT0_T1_T2_jT3_P12ihipStream_tbPNSt15iterator_traitsISJ_E10value_typeEPNSP_ISK_E10value_typeEPSL_NS1_7vsmem_tEENKUlT_SJ_SK_SL_E_clIPySE_SF_SF_EESI_SY_SJ_SK_SL_EUlSY_E_NS1_11comp_targetILNS1_3genE0ELNS1_11target_archE4294967295ELNS1_3gpuE0ELNS1_3repE0EEENS1_48merge_mergepath_partition_config_static_selectorELNS0_4arch9wavefront6targetE0EEEvSK_
    .private_segment_fixed_size: 0
    .sgpr_count:     0
    .sgpr_spill_count: 0
    .symbol:         _ZN7rocprim17ROCPRIM_400000_NS6detail17trampoline_kernelINS0_14default_configENS1_38merge_sort_block_merge_config_selectorIyNS0_10empty_typeEEEZZNS1_27merge_sort_block_merge_implIS3_N6thrust23THRUST_200600_302600_NS6detail15normal_iteratorINS9_10device_ptrIyEEEEPS5_m9comp_mod3IyEEE10hipError_tT0_T1_T2_jT3_P12ihipStream_tbPNSt15iterator_traitsISJ_E10value_typeEPNSP_ISK_E10value_typeEPSL_NS1_7vsmem_tEENKUlT_SJ_SK_SL_E_clIPySE_SF_SF_EESI_SY_SJ_SK_SL_EUlSY_E_NS1_11comp_targetILNS1_3genE0ELNS1_11target_archE4294967295ELNS1_3gpuE0ELNS1_3repE0EEENS1_48merge_mergepath_partition_config_static_selectorELNS0_4arch9wavefront6targetE0EEEvSK_.kd
    .uniform_work_group_size: 1
    .uses_dynamic_stack: false
    .vgpr_count:     0
    .vgpr_spill_count: 0
    .wavefront_size: 32
    .workgroup_processor_mode: 1
  - .args:
      - .offset:         0
        .size:           48
        .value_kind:     by_value
    .group_segment_fixed_size: 0
    .kernarg_segment_align: 8
    .kernarg_segment_size: 48
    .language:       OpenCL C
    .language_version:
      - 2
      - 0
    .max_flat_workgroup_size: 128
    .name:           _ZN7rocprim17ROCPRIM_400000_NS6detail17trampoline_kernelINS0_14default_configENS1_38merge_sort_block_merge_config_selectorIyNS0_10empty_typeEEEZZNS1_27merge_sort_block_merge_implIS3_N6thrust23THRUST_200600_302600_NS6detail15normal_iteratorINS9_10device_ptrIyEEEEPS5_m9comp_mod3IyEEE10hipError_tT0_T1_T2_jT3_P12ihipStream_tbPNSt15iterator_traitsISJ_E10value_typeEPNSP_ISK_E10value_typeEPSL_NS1_7vsmem_tEENKUlT_SJ_SK_SL_E_clIPySE_SF_SF_EESI_SY_SJ_SK_SL_EUlSY_E_NS1_11comp_targetILNS1_3genE10ELNS1_11target_archE1201ELNS1_3gpuE5ELNS1_3repE0EEENS1_48merge_mergepath_partition_config_static_selectorELNS0_4arch9wavefront6targetE0EEEvSK_
    .private_segment_fixed_size: 0
    .sgpr_count:     0
    .sgpr_spill_count: 0
    .symbol:         _ZN7rocprim17ROCPRIM_400000_NS6detail17trampoline_kernelINS0_14default_configENS1_38merge_sort_block_merge_config_selectorIyNS0_10empty_typeEEEZZNS1_27merge_sort_block_merge_implIS3_N6thrust23THRUST_200600_302600_NS6detail15normal_iteratorINS9_10device_ptrIyEEEEPS5_m9comp_mod3IyEEE10hipError_tT0_T1_T2_jT3_P12ihipStream_tbPNSt15iterator_traitsISJ_E10value_typeEPNSP_ISK_E10value_typeEPSL_NS1_7vsmem_tEENKUlT_SJ_SK_SL_E_clIPySE_SF_SF_EESI_SY_SJ_SK_SL_EUlSY_E_NS1_11comp_targetILNS1_3genE10ELNS1_11target_archE1201ELNS1_3gpuE5ELNS1_3repE0EEENS1_48merge_mergepath_partition_config_static_selectorELNS0_4arch9wavefront6targetE0EEEvSK_.kd
    .uniform_work_group_size: 1
    .uses_dynamic_stack: false
    .vgpr_count:     0
    .vgpr_spill_count: 0
    .wavefront_size: 32
    .workgroup_processor_mode: 1
  - .args:
      - .offset:         0
        .size:           48
        .value_kind:     by_value
    .group_segment_fixed_size: 0
    .kernarg_segment_align: 8
    .kernarg_segment_size: 48
    .language:       OpenCL C
    .language_version:
      - 2
      - 0
    .max_flat_workgroup_size: 128
    .name:           _ZN7rocprim17ROCPRIM_400000_NS6detail17trampoline_kernelINS0_14default_configENS1_38merge_sort_block_merge_config_selectorIyNS0_10empty_typeEEEZZNS1_27merge_sort_block_merge_implIS3_N6thrust23THRUST_200600_302600_NS6detail15normal_iteratorINS9_10device_ptrIyEEEEPS5_m9comp_mod3IyEEE10hipError_tT0_T1_T2_jT3_P12ihipStream_tbPNSt15iterator_traitsISJ_E10value_typeEPNSP_ISK_E10value_typeEPSL_NS1_7vsmem_tEENKUlT_SJ_SK_SL_E_clIPySE_SF_SF_EESI_SY_SJ_SK_SL_EUlSY_E_NS1_11comp_targetILNS1_3genE5ELNS1_11target_archE942ELNS1_3gpuE9ELNS1_3repE0EEENS1_48merge_mergepath_partition_config_static_selectorELNS0_4arch9wavefront6targetE0EEEvSK_
    .private_segment_fixed_size: 0
    .sgpr_count:     0
    .sgpr_spill_count: 0
    .symbol:         _ZN7rocprim17ROCPRIM_400000_NS6detail17trampoline_kernelINS0_14default_configENS1_38merge_sort_block_merge_config_selectorIyNS0_10empty_typeEEEZZNS1_27merge_sort_block_merge_implIS3_N6thrust23THRUST_200600_302600_NS6detail15normal_iteratorINS9_10device_ptrIyEEEEPS5_m9comp_mod3IyEEE10hipError_tT0_T1_T2_jT3_P12ihipStream_tbPNSt15iterator_traitsISJ_E10value_typeEPNSP_ISK_E10value_typeEPSL_NS1_7vsmem_tEENKUlT_SJ_SK_SL_E_clIPySE_SF_SF_EESI_SY_SJ_SK_SL_EUlSY_E_NS1_11comp_targetILNS1_3genE5ELNS1_11target_archE942ELNS1_3gpuE9ELNS1_3repE0EEENS1_48merge_mergepath_partition_config_static_selectorELNS0_4arch9wavefront6targetE0EEEvSK_.kd
    .uniform_work_group_size: 1
    .uses_dynamic_stack: false
    .vgpr_count:     0
    .vgpr_spill_count: 0
    .wavefront_size: 32
    .workgroup_processor_mode: 1
  - .args:
      - .offset:         0
        .size:           48
        .value_kind:     by_value
    .group_segment_fixed_size: 0
    .kernarg_segment_align: 8
    .kernarg_segment_size: 48
    .language:       OpenCL C
    .language_version:
      - 2
      - 0
    .max_flat_workgroup_size: 128
    .name:           _ZN7rocprim17ROCPRIM_400000_NS6detail17trampoline_kernelINS0_14default_configENS1_38merge_sort_block_merge_config_selectorIyNS0_10empty_typeEEEZZNS1_27merge_sort_block_merge_implIS3_N6thrust23THRUST_200600_302600_NS6detail15normal_iteratorINS9_10device_ptrIyEEEEPS5_m9comp_mod3IyEEE10hipError_tT0_T1_T2_jT3_P12ihipStream_tbPNSt15iterator_traitsISJ_E10value_typeEPNSP_ISK_E10value_typeEPSL_NS1_7vsmem_tEENKUlT_SJ_SK_SL_E_clIPySE_SF_SF_EESI_SY_SJ_SK_SL_EUlSY_E_NS1_11comp_targetILNS1_3genE4ELNS1_11target_archE910ELNS1_3gpuE8ELNS1_3repE0EEENS1_48merge_mergepath_partition_config_static_selectorELNS0_4arch9wavefront6targetE0EEEvSK_
    .private_segment_fixed_size: 0
    .sgpr_count:     0
    .sgpr_spill_count: 0
    .symbol:         _ZN7rocprim17ROCPRIM_400000_NS6detail17trampoline_kernelINS0_14default_configENS1_38merge_sort_block_merge_config_selectorIyNS0_10empty_typeEEEZZNS1_27merge_sort_block_merge_implIS3_N6thrust23THRUST_200600_302600_NS6detail15normal_iteratorINS9_10device_ptrIyEEEEPS5_m9comp_mod3IyEEE10hipError_tT0_T1_T2_jT3_P12ihipStream_tbPNSt15iterator_traitsISJ_E10value_typeEPNSP_ISK_E10value_typeEPSL_NS1_7vsmem_tEENKUlT_SJ_SK_SL_E_clIPySE_SF_SF_EESI_SY_SJ_SK_SL_EUlSY_E_NS1_11comp_targetILNS1_3genE4ELNS1_11target_archE910ELNS1_3gpuE8ELNS1_3repE0EEENS1_48merge_mergepath_partition_config_static_selectorELNS0_4arch9wavefront6targetE0EEEvSK_.kd
    .uniform_work_group_size: 1
    .uses_dynamic_stack: false
    .vgpr_count:     0
    .vgpr_spill_count: 0
    .wavefront_size: 32
    .workgroup_processor_mode: 1
  - .args:
      - .offset:         0
        .size:           48
        .value_kind:     by_value
    .group_segment_fixed_size: 0
    .kernarg_segment_align: 8
    .kernarg_segment_size: 48
    .language:       OpenCL C
    .language_version:
      - 2
      - 0
    .max_flat_workgroup_size: 128
    .name:           _ZN7rocprim17ROCPRIM_400000_NS6detail17trampoline_kernelINS0_14default_configENS1_38merge_sort_block_merge_config_selectorIyNS0_10empty_typeEEEZZNS1_27merge_sort_block_merge_implIS3_N6thrust23THRUST_200600_302600_NS6detail15normal_iteratorINS9_10device_ptrIyEEEEPS5_m9comp_mod3IyEEE10hipError_tT0_T1_T2_jT3_P12ihipStream_tbPNSt15iterator_traitsISJ_E10value_typeEPNSP_ISK_E10value_typeEPSL_NS1_7vsmem_tEENKUlT_SJ_SK_SL_E_clIPySE_SF_SF_EESI_SY_SJ_SK_SL_EUlSY_E_NS1_11comp_targetILNS1_3genE3ELNS1_11target_archE908ELNS1_3gpuE7ELNS1_3repE0EEENS1_48merge_mergepath_partition_config_static_selectorELNS0_4arch9wavefront6targetE0EEEvSK_
    .private_segment_fixed_size: 0
    .sgpr_count:     0
    .sgpr_spill_count: 0
    .symbol:         _ZN7rocprim17ROCPRIM_400000_NS6detail17trampoline_kernelINS0_14default_configENS1_38merge_sort_block_merge_config_selectorIyNS0_10empty_typeEEEZZNS1_27merge_sort_block_merge_implIS3_N6thrust23THRUST_200600_302600_NS6detail15normal_iteratorINS9_10device_ptrIyEEEEPS5_m9comp_mod3IyEEE10hipError_tT0_T1_T2_jT3_P12ihipStream_tbPNSt15iterator_traitsISJ_E10value_typeEPNSP_ISK_E10value_typeEPSL_NS1_7vsmem_tEENKUlT_SJ_SK_SL_E_clIPySE_SF_SF_EESI_SY_SJ_SK_SL_EUlSY_E_NS1_11comp_targetILNS1_3genE3ELNS1_11target_archE908ELNS1_3gpuE7ELNS1_3repE0EEENS1_48merge_mergepath_partition_config_static_selectorELNS0_4arch9wavefront6targetE0EEEvSK_.kd
    .uniform_work_group_size: 1
    .uses_dynamic_stack: false
    .vgpr_count:     0
    .vgpr_spill_count: 0
    .wavefront_size: 32
    .workgroup_processor_mode: 1
  - .args:
      - .offset:         0
        .size:           48
        .value_kind:     by_value
    .group_segment_fixed_size: 0
    .kernarg_segment_align: 8
    .kernarg_segment_size: 48
    .language:       OpenCL C
    .language_version:
      - 2
      - 0
    .max_flat_workgroup_size: 128
    .name:           _ZN7rocprim17ROCPRIM_400000_NS6detail17trampoline_kernelINS0_14default_configENS1_38merge_sort_block_merge_config_selectorIyNS0_10empty_typeEEEZZNS1_27merge_sort_block_merge_implIS3_N6thrust23THRUST_200600_302600_NS6detail15normal_iteratorINS9_10device_ptrIyEEEEPS5_m9comp_mod3IyEEE10hipError_tT0_T1_T2_jT3_P12ihipStream_tbPNSt15iterator_traitsISJ_E10value_typeEPNSP_ISK_E10value_typeEPSL_NS1_7vsmem_tEENKUlT_SJ_SK_SL_E_clIPySE_SF_SF_EESI_SY_SJ_SK_SL_EUlSY_E_NS1_11comp_targetILNS1_3genE2ELNS1_11target_archE906ELNS1_3gpuE6ELNS1_3repE0EEENS1_48merge_mergepath_partition_config_static_selectorELNS0_4arch9wavefront6targetE0EEEvSK_
    .private_segment_fixed_size: 0
    .sgpr_count:     0
    .sgpr_spill_count: 0
    .symbol:         _ZN7rocprim17ROCPRIM_400000_NS6detail17trampoline_kernelINS0_14default_configENS1_38merge_sort_block_merge_config_selectorIyNS0_10empty_typeEEEZZNS1_27merge_sort_block_merge_implIS3_N6thrust23THRUST_200600_302600_NS6detail15normal_iteratorINS9_10device_ptrIyEEEEPS5_m9comp_mod3IyEEE10hipError_tT0_T1_T2_jT3_P12ihipStream_tbPNSt15iterator_traitsISJ_E10value_typeEPNSP_ISK_E10value_typeEPSL_NS1_7vsmem_tEENKUlT_SJ_SK_SL_E_clIPySE_SF_SF_EESI_SY_SJ_SK_SL_EUlSY_E_NS1_11comp_targetILNS1_3genE2ELNS1_11target_archE906ELNS1_3gpuE6ELNS1_3repE0EEENS1_48merge_mergepath_partition_config_static_selectorELNS0_4arch9wavefront6targetE0EEEvSK_.kd
    .uniform_work_group_size: 1
    .uses_dynamic_stack: false
    .vgpr_count:     0
    .vgpr_spill_count: 0
    .wavefront_size: 32
    .workgroup_processor_mode: 1
  - .args:
      - .offset:         0
        .size:           48
        .value_kind:     by_value
    .group_segment_fixed_size: 0
    .kernarg_segment_align: 8
    .kernarg_segment_size: 48
    .language:       OpenCL C
    .language_version:
      - 2
      - 0
    .max_flat_workgroup_size: 128
    .name:           _ZN7rocprim17ROCPRIM_400000_NS6detail17trampoline_kernelINS0_14default_configENS1_38merge_sort_block_merge_config_selectorIyNS0_10empty_typeEEEZZNS1_27merge_sort_block_merge_implIS3_N6thrust23THRUST_200600_302600_NS6detail15normal_iteratorINS9_10device_ptrIyEEEEPS5_m9comp_mod3IyEEE10hipError_tT0_T1_T2_jT3_P12ihipStream_tbPNSt15iterator_traitsISJ_E10value_typeEPNSP_ISK_E10value_typeEPSL_NS1_7vsmem_tEENKUlT_SJ_SK_SL_E_clIPySE_SF_SF_EESI_SY_SJ_SK_SL_EUlSY_E_NS1_11comp_targetILNS1_3genE9ELNS1_11target_archE1100ELNS1_3gpuE3ELNS1_3repE0EEENS1_48merge_mergepath_partition_config_static_selectorELNS0_4arch9wavefront6targetE0EEEvSK_
    .private_segment_fixed_size: 0
    .sgpr_count:     0
    .sgpr_spill_count: 0
    .symbol:         _ZN7rocprim17ROCPRIM_400000_NS6detail17trampoline_kernelINS0_14default_configENS1_38merge_sort_block_merge_config_selectorIyNS0_10empty_typeEEEZZNS1_27merge_sort_block_merge_implIS3_N6thrust23THRUST_200600_302600_NS6detail15normal_iteratorINS9_10device_ptrIyEEEEPS5_m9comp_mod3IyEEE10hipError_tT0_T1_T2_jT3_P12ihipStream_tbPNSt15iterator_traitsISJ_E10value_typeEPNSP_ISK_E10value_typeEPSL_NS1_7vsmem_tEENKUlT_SJ_SK_SL_E_clIPySE_SF_SF_EESI_SY_SJ_SK_SL_EUlSY_E_NS1_11comp_targetILNS1_3genE9ELNS1_11target_archE1100ELNS1_3gpuE3ELNS1_3repE0EEENS1_48merge_mergepath_partition_config_static_selectorELNS0_4arch9wavefront6targetE0EEEvSK_.kd
    .uniform_work_group_size: 1
    .uses_dynamic_stack: false
    .vgpr_count:     0
    .vgpr_spill_count: 0
    .wavefront_size: 32
    .workgroup_processor_mode: 1
  - .args:
      - .offset:         0
        .size:           48
        .value_kind:     by_value
    .group_segment_fixed_size: 0
    .kernarg_segment_align: 8
    .kernarg_segment_size: 48
    .language:       OpenCL C
    .language_version:
      - 2
      - 0
    .max_flat_workgroup_size: 128
    .name:           _ZN7rocprim17ROCPRIM_400000_NS6detail17trampoline_kernelINS0_14default_configENS1_38merge_sort_block_merge_config_selectorIyNS0_10empty_typeEEEZZNS1_27merge_sort_block_merge_implIS3_N6thrust23THRUST_200600_302600_NS6detail15normal_iteratorINS9_10device_ptrIyEEEEPS5_m9comp_mod3IyEEE10hipError_tT0_T1_T2_jT3_P12ihipStream_tbPNSt15iterator_traitsISJ_E10value_typeEPNSP_ISK_E10value_typeEPSL_NS1_7vsmem_tEENKUlT_SJ_SK_SL_E_clIPySE_SF_SF_EESI_SY_SJ_SK_SL_EUlSY_E_NS1_11comp_targetILNS1_3genE8ELNS1_11target_archE1030ELNS1_3gpuE2ELNS1_3repE0EEENS1_48merge_mergepath_partition_config_static_selectorELNS0_4arch9wavefront6targetE0EEEvSK_
    .private_segment_fixed_size: 0
    .sgpr_count:     18
    .sgpr_spill_count: 0
    .symbol:         _ZN7rocprim17ROCPRIM_400000_NS6detail17trampoline_kernelINS0_14default_configENS1_38merge_sort_block_merge_config_selectorIyNS0_10empty_typeEEEZZNS1_27merge_sort_block_merge_implIS3_N6thrust23THRUST_200600_302600_NS6detail15normal_iteratorINS9_10device_ptrIyEEEEPS5_m9comp_mod3IyEEE10hipError_tT0_T1_T2_jT3_P12ihipStream_tbPNSt15iterator_traitsISJ_E10value_typeEPNSP_ISK_E10value_typeEPSL_NS1_7vsmem_tEENKUlT_SJ_SK_SL_E_clIPySE_SF_SF_EESI_SY_SJ_SK_SL_EUlSY_E_NS1_11comp_targetILNS1_3genE8ELNS1_11target_archE1030ELNS1_3gpuE2ELNS1_3repE0EEENS1_48merge_mergepath_partition_config_static_selectorELNS0_4arch9wavefront6targetE0EEEvSK_.kd
    .uniform_work_group_size: 1
    .uses_dynamic_stack: false
    .vgpr_count:     19
    .vgpr_spill_count: 0
    .wavefront_size: 32
    .workgroup_processor_mode: 1
  - .args:
      - .offset:         0
        .size:           80
        .value_kind:     by_value
    .group_segment_fixed_size: 0
    .kernarg_segment_align: 8
    .kernarg_segment_size: 80
    .language:       OpenCL C
    .language_version:
      - 2
      - 0
    .max_flat_workgroup_size: 128
    .name:           _ZN7rocprim17ROCPRIM_400000_NS6detail17trampoline_kernelINS0_14default_configENS1_38merge_sort_block_merge_config_selectorIyNS0_10empty_typeEEEZZNS1_27merge_sort_block_merge_implIS3_N6thrust23THRUST_200600_302600_NS6detail15normal_iteratorINS9_10device_ptrIyEEEEPS5_m9comp_mod3IyEEE10hipError_tT0_T1_T2_jT3_P12ihipStream_tbPNSt15iterator_traitsISJ_E10value_typeEPNSP_ISK_E10value_typeEPSL_NS1_7vsmem_tEENKUlT_SJ_SK_SL_E_clIPySE_SF_SF_EESI_SY_SJ_SK_SL_EUlSY_E0_NS1_11comp_targetILNS1_3genE0ELNS1_11target_archE4294967295ELNS1_3gpuE0ELNS1_3repE0EEENS1_38merge_mergepath_config_static_selectorELNS0_4arch9wavefront6targetE0EEEvSK_
    .private_segment_fixed_size: 0
    .sgpr_count:     0
    .sgpr_spill_count: 0
    .symbol:         _ZN7rocprim17ROCPRIM_400000_NS6detail17trampoline_kernelINS0_14default_configENS1_38merge_sort_block_merge_config_selectorIyNS0_10empty_typeEEEZZNS1_27merge_sort_block_merge_implIS3_N6thrust23THRUST_200600_302600_NS6detail15normal_iteratorINS9_10device_ptrIyEEEEPS5_m9comp_mod3IyEEE10hipError_tT0_T1_T2_jT3_P12ihipStream_tbPNSt15iterator_traitsISJ_E10value_typeEPNSP_ISK_E10value_typeEPSL_NS1_7vsmem_tEENKUlT_SJ_SK_SL_E_clIPySE_SF_SF_EESI_SY_SJ_SK_SL_EUlSY_E0_NS1_11comp_targetILNS1_3genE0ELNS1_11target_archE4294967295ELNS1_3gpuE0ELNS1_3repE0EEENS1_38merge_mergepath_config_static_selectorELNS0_4arch9wavefront6targetE0EEEvSK_.kd
    .uniform_work_group_size: 1
    .uses_dynamic_stack: false
    .vgpr_count:     0
    .vgpr_spill_count: 0
    .wavefront_size: 32
    .workgroup_processor_mode: 1
  - .args:
      - .offset:         0
        .size:           80
        .value_kind:     by_value
    .group_segment_fixed_size: 0
    .kernarg_segment_align: 8
    .kernarg_segment_size: 80
    .language:       OpenCL C
    .language_version:
      - 2
      - 0
    .max_flat_workgroup_size: 512
    .name:           _ZN7rocprim17ROCPRIM_400000_NS6detail17trampoline_kernelINS0_14default_configENS1_38merge_sort_block_merge_config_selectorIyNS0_10empty_typeEEEZZNS1_27merge_sort_block_merge_implIS3_N6thrust23THRUST_200600_302600_NS6detail15normal_iteratorINS9_10device_ptrIyEEEEPS5_m9comp_mod3IyEEE10hipError_tT0_T1_T2_jT3_P12ihipStream_tbPNSt15iterator_traitsISJ_E10value_typeEPNSP_ISK_E10value_typeEPSL_NS1_7vsmem_tEENKUlT_SJ_SK_SL_E_clIPySE_SF_SF_EESI_SY_SJ_SK_SL_EUlSY_E0_NS1_11comp_targetILNS1_3genE10ELNS1_11target_archE1201ELNS1_3gpuE5ELNS1_3repE0EEENS1_38merge_mergepath_config_static_selectorELNS0_4arch9wavefront6targetE0EEEvSK_
    .private_segment_fixed_size: 0
    .sgpr_count:     0
    .sgpr_spill_count: 0
    .symbol:         _ZN7rocprim17ROCPRIM_400000_NS6detail17trampoline_kernelINS0_14default_configENS1_38merge_sort_block_merge_config_selectorIyNS0_10empty_typeEEEZZNS1_27merge_sort_block_merge_implIS3_N6thrust23THRUST_200600_302600_NS6detail15normal_iteratorINS9_10device_ptrIyEEEEPS5_m9comp_mod3IyEEE10hipError_tT0_T1_T2_jT3_P12ihipStream_tbPNSt15iterator_traitsISJ_E10value_typeEPNSP_ISK_E10value_typeEPSL_NS1_7vsmem_tEENKUlT_SJ_SK_SL_E_clIPySE_SF_SF_EESI_SY_SJ_SK_SL_EUlSY_E0_NS1_11comp_targetILNS1_3genE10ELNS1_11target_archE1201ELNS1_3gpuE5ELNS1_3repE0EEENS1_38merge_mergepath_config_static_selectorELNS0_4arch9wavefront6targetE0EEEvSK_.kd
    .uniform_work_group_size: 1
    .uses_dynamic_stack: false
    .vgpr_count:     0
    .vgpr_spill_count: 0
    .wavefront_size: 32
    .workgroup_processor_mode: 1
  - .args:
      - .offset:         0
        .size:           80
        .value_kind:     by_value
    .group_segment_fixed_size: 0
    .kernarg_segment_align: 8
    .kernarg_segment_size: 80
    .language:       OpenCL C
    .language_version:
      - 2
      - 0
    .max_flat_workgroup_size: 128
    .name:           _ZN7rocprim17ROCPRIM_400000_NS6detail17trampoline_kernelINS0_14default_configENS1_38merge_sort_block_merge_config_selectorIyNS0_10empty_typeEEEZZNS1_27merge_sort_block_merge_implIS3_N6thrust23THRUST_200600_302600_NS6detail15normal_iteratorINS9_10device_ptrIyEEEEPS5_m9comp_mod3IyEEE10hipError_tT0_T1_T2_jT3_P12ihipStream_tbPNSt15iterator_traitsISJ_E10value_typeEPNSP_ISK_E10value_typeEPSL_NS1_7vsmem_tEENKUlT_SJ_SK_SL_E_clIPySE_SF_SF_EESI_SY_SJ_SK_SL_EUlSY_E0_NS1_11comp_targetILNS1_3genE5ELNS1_11target_archE942ELNS1_3gpuE9ELNS1_3repE0EEENS1_38merge_mergepath_config_static_selectorELNS0_4arch9wavefront6targetE0EEEvSK_
    .private_segment_fixed_size: 0
    .sgpr_count:     0
    .sgpr_spill_count: 0
    .symbol:         _ZN7rocprim17ROCPRIM_400000_NS6detail17trampoline_kernelINS0_14default_configENS1_38merge_sort_block_merge_config_selectorIyNS0_10empty_typeEEEZZNS1_27merge_sort_block_merge_implIS3_N6thrust23THRUST_200600_302600_NS6detail15normal_iteratorINS9_10device_ptrIyEEEEPS5_m9comp_mod3IyEEE10hipError_tT0_T1_T2_jT3_P12ihipStream_tbPNSt15iterator_traitsISJ_E10value_typeEPNSP_ISK_E10value_typeEPSL_NS1_7vsmem_tEENKUlT_SJ_SK_SL_E_clIPySE_SF_SF_EESI_SY_SJ_SK_SL_EUlSY_E0_NS1_11comp_targetILNS1_3genE5ELNS1_11target_archE942ELNS1_3gpuE9ELNS1_3repE0EEENS1_38merge_mergepath_config_static_selectorELNS0_4arch9wavefront6targetE0EEEvSK_.kd
    .uniform_work_group_size: 1
    .uses_dynamic_stack: false
    .vgpr_count:     0
    .vgpr_spill_count: 0
    .wavefront_size: 32
    .workgroup_processor_mode: 1
  - .args:
      - .offset:         0
        .size:           80
        .value_kind:     by_value
    .group_segment_fixed_size: 0
    .kernarg_segment_align: 8
    .kernarg_segment_size: 80
    .language:       OpenCL C
    .language_version:
      - 2
      - 0
    .max_flat_workgroup_size: 256
    .name:           _ZN7rocprim17ROCPRIM_400000_NS6detail17trampoline_kernelINS0_14default_configENS1_38merge_sort_block_merge_config_selectorIyNS0_10empty_typeEEEZZNS1_27merge_sort_block_merge_implIS3_N6thrust23THRUST_200600_302600_NS6detail15normal_iteratorINS9_10device_ptrIyEEEEPS5_m9comp_mod3IyEEE10hipError_tT0_T1_T2_jT3_P12ihipStream_tbPNSt15iterator_traitsISJ_E10value_typeEPNSP_ISK_E10value_typeEPSL_NS1_7vsmem_tEENKUlT_SJ_SK_SL_E_clIPySE_SF_SF_EESI_SY_SJ_SK_SL_EUlSY_E0_NS1_11comp_targetILNS1_3genE4ELNS1_11target_archE910ELNS1_3gpuE8ELNS1_3repE0EEENS1_38merge_mergepath_config_static_selectorELNS0_4arch9wavefront6targetE0EEEvSK_
    .private_segment_fixed_size: 0
    .sgpr_count:     0
    .sgpr_spill_count: 0
    .symbol:         _ZN7rocprim17ROCPRIM_400000_NS6detail17trampoline_kernelINS0_14default_configENS1_38merge_sort_block_merge_config_selectorIyNS0_10empty_typeEEEZZNS1_27merge_sort_block_merge_implIS3_N6thrust23THRUST_200600_302600_NS6detail15normal_iteratorINS9_10device_ptrIyEEEEPS5_m9comp_mod3IyEEE10hipError_tT0_T1_T2_jT3_P12ihipStream_tbPNSt15iterator_traitsISJ_E10value_typeEPNSP_ISK_E10value_typeEPSL_NS1_7vsmem_tEENKUlT_SJ_SK_SL_E_clIPySE_SF_SF_EESI_SY_SJ_SK_SL_EUlSY_E0_NS1_11comp_targetILNS1_3genE4ELNS1_11target_archE910ELNS1_3gpuE8ELNS1_3repE0EEENS1_38merge_mergepath_config_static_selectorELNS0_4arch9wavefront6targetE0EEEvSK_.kd
    .uniform_work_group_size: 1
    .uses_dynamic_stack: false
    .vgpr_count:     0
    .vgpr_spill_count: 0
    .wavefront_size: 32
    .workgroup_processor_mode: 1
  - .args:
      - .offset:         0
        .size:           80
        .value_kind:     by_value
    .group_segment_fixed_size: 0
    .kernarg_segment_align: 8
    .kernarg_segment_size: 80
    .language:       OpenCL C
    .language_version:
      - 2
      - 0
    .max_flat_workgroup_size: 128
    .name:           _ZN7rocprim17ROCPRIM_400000_NS6detail17trampoline_kernelINS0_14default_configENS1_38merge_sort_block_merge_config_selectorIyNS0_10empty_typeEEEZZNS1_27merge_sort_block_merge_implIS3_N6thrust23THRUST_200600_302600_NS6detail15normal_iteratorINS9_10device_ptrIyEEEEPS5_m9comp_mod3IyEEE10hipError_tT0_T1_T2_jT3_P12ihipStream_tbPNSt15iterator_traitsISJ_E10value_typeEPNSP_ISK_E10value_typeEPSL_NS1_7vsmem_tEENKUlT_SJ_SK_SL_E_clIPySE_SF_SF_EESI_SY_SJ_SK_SL_EUlSY_E0_NS1_11comp_targetILNS1_3genE3ELNS1_11target_archE908ELNS1_3gpuE7ELNS1_3repE0EEENS1_38merge_mergepath_config_static_selectorELNS0_4arch9wavefront6targetE0EEEvSK_
    .private_segment_fixed_size: 0
    .sgpr_count:     0
    .sgpr_spill_count: 0
    .symbol:         _ZN7rocprim17ROCPRIM_400000_NS6detail17trampoline_kernelINS0_14default_configENS1_38merge_sort_block_merge_config_selectorIyNS0_10empty_typeEEEZZNS1_27merge_sort_block_merge_implIS3_N6thrust23THRUST_200600_302600_NS6detail15normal_iteratorINS9_10device_ptrIyEEEEPS5_m9comp_mod3IyEEE10hipError_tT0_T1_T2_jT3_P12ihipStream_tbPNSt15iterator_traitsISJ_E10value_typeEPNSP_ISK_E10value_typeEPSL_NS1_7vsmem_tEENKUlT_SJ_SK_SL_E_clIPySE_SF_SF_EESI_SY_SJ_SK_SL_EUlSY_E0_NS1_11comp_targetILNS1_3genE3ELNS1_11target_archE908ELNS1_3gpuE7ELNS1_3repE0EEENS1_38merge_mergepath_config_static_selectorELNS0_4arch9wavefront6targetE0EEEvSK_.kd
    .uniform_work_group_size: 1
    .uses_dynamic_stack: false
    .vgpr_count:     0
    .vgpr_spill_count: 0
    .wavefront_size: 32
    .workgroup_processor_mode: 1
  - .args:
      - .offset:         0
        .size:           80
        .value_kind:     by_value
    .group_segment_fixed_size: 0
    .kernarg_segment_align: 8
    .kernarg_segment_size: 80
    .language:       OpenCL C
    .language_version:
      - 2
      - 0
    .max_flat_workgroup_size: 256
    .name:           _ZN7rocprim17ROCPRIM_400000_NS6detail17trampoline_kernelINS0_14default_configENS1_38merge_sort_block_merge_config_selectorIyNS0_10empty_typeEEEZZNS1_27merge_sort_block_merge_implIS3_N6thrust23THRUST_200600_302600_NS6detail15normal_iteratorINS9_10device_ptrIyEEEEPS5_m9comp_mod3IyEEE10hipError_tT0_T1_T2_jT3_P12ihipStream_tbPNSt15iterator_traitsISJ_E10value_typeEPNSP_ISK_E10value_typeEPSL_NS1_7vsmem_tEENKUlT_SJ_SK_SL_E_clIPySE_SF_SF_EESI_SY_SJ_SK_SL_EUlSY_E0_NS1_11comp_targetILNS1_3genE2ELNS1_11target_archE906ELNS1_3gpuE6ELNS1_3repE0EEENS1_38merge_mergepath_config_static_selectorELNS0_4arch9wavefront6targetE0EEEvSK_
    .private_segment_fixed_size: 0
    .sgpr_count:     0
    .sgpr_spill_count: 0
    .symbol:         _ZN7rocprim17ROCPRIM_400000_NS6detail17trampoline_kernelINS0_14default_configENS1_38merge_sort_block_merge_config_selectorIyNS0_10empty_typeEEEZZNS1_27merge_sort_block_merge_implIS3_N6thrust23THRUST_200600_302600_NS6detail15normal_iteratorINS9_10device_ptrIyEEEEPS5_m9comp_mod3IyEEE10hipError_tT0_T1_T2_jT3_P12ihipStream_tbPNSt15iterator_traitsISJ_E10value_typeEPNSP_ISK_E10value_typeEPSL_NS1_7vsmem_tEENKUlT_SJ_SK_SL_E_clIPySE_SF_SF_EESI_SY_SJ_SK_SL_EUlSY_E0_NS1_11comp_targetILNS1_3genE2ELNS1_11target_archE906ELNS1_3gpuE6ELNS1_3repE0EEENS1_38merge_mergepath_config_static_selectorELNS0_4arch9wavefront6targetE0EEEvSK_.kd
    .uniform_work_group_size: 1
    .uses_dynamic_stack: false
    .vgpr_count:     0
    .vgpr_spill_count: 0
    .wavefront_size: 32
    .workgroup_processor_mode: 1
  - .args:
      - .offset:         0
        .size:           80
        .value_kind:     by_value
    .group_segment_fixed_size: 0
    .kernarg_segment_align: 8
    .kernarg_segment_size: 80
    .language:       OpenCL C
    .language_version:
      - 2
      - 0
    .max_flat_workgroup_size: 512
    .name:           _ZN7rocprim17ROCPRIM_400000_NS6detail17trampoline_kernelINS0_14default_configENS1_38merge_sort_block_merge_config_selectorIyNS0_10empty_typeEEEZZNS1_27merge_sort_block_merge_implIS3_N6thrust23THRUST_200600_302600_NS6detail15normal_iteratorINS9_10device_ptrIyEEEEPS5_m9comp_mod3IyEEE10hipError_tT0_T1_T2_jT3_P12ihipStream_tbPNSt15iterator_traitsISJ_E10value_typeEPNSP_ISK_E10value_typeEPSL_NS1_7vsmem_tEENKUlT_SJ_SK_SL_E_clIPySE_SF_SF_EESI_SY_SJ_SK_SL_EUlSY_E0_NS1_11comp_targetILNS1_3genE9ELNS1_11target_archE1100ELNS1_3gpuE3ELNS1_3repE0EEENS1_38merge_mergepath_config_static_selectorELNS0_4arch9wavefront6targetE0EEEvSK_
    .private_segment_fixed_size: 0
    .sgpr_count:     0
    .sgpr_spill_count: 0
    .symbol:         _ZN7rocprim17ROCPRIM_400000_NS6detail17trampoline_kernelINS0_14default_configENS1_38merge_sort_block_merge_config_selectorIyNS0_10empty_typeEEEZZNS1_27merge_sort_block_merge_implIS3_N6thrust23THRUST_200600_302600_NS6detail15normal_iteratorINS9_10device_ptrIyEEEEPS5_m9comp_mod3IyEEE10hipError_tT0_T1_T2_jT3_P12ihipStream_tbPNSt15iterator_traitsISJ_E10value_typeEPNSP_ISK_E10value_typeEPSL_NS1_7vsmem_tEENKUlT_SJ_SK_SL_E_clIPySE_SF_SF_EESI_SY_SJ_SK_SL_EUlSY_E0_NS1_11comp_targetILNS1_3genE9ELNS1_11target_archE1100ELNS1_3gpuE3ELNS1_3repE0EEENS1_38merge_mergepath_config_static_selectorELNS0_4arch9wavefront6targetE0EEEvSK_.kd
    .uniform_work_group_size: 1
    .uses_dynamic_stack: false
    .vgpr_count:     0
    .vgpr_spill_count: 0
    .wavefront_size: 32
    .workgroup_processor_mode: 1
  - .args:
      - .offset:         0
        .size:           80
        .value_kind:     by_value
      - .offset:         80
        .size:           4
        .value_kind:     hidden_block_count_x
      - .offset:         84
        .size:           4
        .value_kind:     hidden_block_count_y
      - .offset:         88
        .size:           4
        .value_kind:     hidden_block_count_z
      - .offset:         92
        .size:           2
        .value_kind:     hidden_group_size_x
      - .offset:         94
        .size:           2
        .value_kind:     hidden_group_size_y
      - .offset:         96
        .size:           2
        .value_kind:     hidden_group_size_z
      - .offset:         98
        .size:           2
        .value_kind:     hidden_remainder_x
      - .offset:         100
        .size:           2
        .value_kind:     hidden_remainder_y
      - .offset:         102
        .size:           2
        .value_kind:     hidden_remainder_z
      - .offset:         120
        .size:           8
        .value_kind:     hidden_global_offset_x
      - .offset:         128
        .size:           8
        .value_kind:     hidden_global_offset_y
      - .offset:         136
        .size:           8
        .value_kind:     hidden_global_offset_z
      - .offset:         144
        .size:           2
        .value_kind:     hidden_grid_dims
    .group_segment_fixed_size: 8208
    .kernarg_segment_align: 8
    .kernarg_segment_size: 336
    .language:       OpenCL C
    .language_version:
      - 2
      - 0
    .max_flat_workgroup_size: 1024
    .name:           _ZN7rocprim17ROCPRIM_400000_NS6detail17trampoline_kernelINS0_14default_configENS1_38merge_sort_block_merge_config_selectorIyNS0_10empty_typeEEEZZNS1_27merge_sort_block_merge_implIS3_N6thrust23THRUST_200600_302600_NS6detail15normal_iteratorINS9_10device_ptrIyEEEEPS5_m9comp_mod3IyEEE10hipError_tT0_T1_T2_jT3_P12ihipStream_tbPNSt15iterator_traitsISJ_E10value_typeEPNSP_ISK_E10value_typeEPSL_NS1_7vsmem_tEENKUlT_SJ_SK_SL_E_clIPySE_SF_SF_EESI_SY_SJ_SK_SL_EUlSY_E0_NS1_11comp_targetILNS1_3genE8ELNS1_11target_archE1030ELNS1_3gpuE2ELNS1_3repE0EEENS1_38merge_mergepath_config_static_selectorELNS0_4arch9wavefront6targetE0EEEvSK_
    .private_segment_fixed_size: 0
    .sgpr_count:     26
    .sgpr_spill_count: 0
    .symbol:         _ZN7rocprim17ROCPRIM_400000_NS6detail17trampoline_kernelINS0_14default_configENS1_38merge_sort_block_merge_config_selectorIyNS0_10empty_typeEEEZZNS1_27merge_sort_block_merge_implIS3_N6thrust23THRUST_200600_302600_NS6detail15normal_iteratorINS9_10device_ptrIyEEEEPS5_m9comp_mod3IyEEE10hipError_tT0_T1_T2_jT3_P12ihipStream_tbPNSt15iterator_traitsISJ_E10value_typeEPNSP_ISK_E10value_typeEPSL_NS1_7vsmem_tEENKUlT_SJ_SK_SL_E_clIPySE_SF_SF_EESI_SY_SJ_SK_SL_EUlSY_E0_NS1_11comp_targetILNS1_3genE8ELNS1_11target_archE1030ELNS1_3gpuE2ELNS1_3repE0EEENS1_38merge_mergepath_config_static_selectorELNS0_4arch9wavefront6targetE0EEEvSK_.kd
    .uniform_work_group_size: 1
    .uses_dynamic_stack: false
    .vgpr_count:     15
    .vgpr_spill_count: 0
    .wavefront_size: 32
    .workgroup_processor_mode: 1
  - .args:
      - .offset:         0
        .size:           56
        .value_kind:     by_value
    .group_segment_fixed_size: 0
    .kernarg_segment_align: 8
    .kernarg_segment_size: 56
    .language:       OpenCL C
    .language_version:
      - 2
      - 0
    .max_flat_workgroup_size: 256
    .name:           _ZN7rocprim17ROCPRIM_400000_NS6detail17trampoline_kernelINS0_14default_configENS1_38merge_sort_block_merge_config_selectorIyNS0_10empty_typeEEEZZNS1_27merge_sort_block_merge_implIS3_N6thrust23THRUST_200600_302600_NS6detail15normal_iteratorINS9_10device_ptrIyEEEEPS5_m9comp_mod3IyEEE10hipError_tT0_T1_T2_jT3_P12ihipStream_tbPNSt15iterator_traitsISJ_E10value_typeEPNSP_ISK_E10value_typeEPSL_NS1_7vsmem_tEENKUlT_SJ_SK_SL_E_clIPySE_SF_SF_EESI_SY_SJ_SK_SL_EUlSY_E1_NS1_11comp_targetILNS1_3genE0ELNS1_11target_archE4294967295ELNS1_3gpuE0ELNS1_3repE0EEENS1_36merge_oddeven_config_static_selectorELNS0_4arch9wavefront6targetE0EEEvSK_
    .private_segment_fixed_size: 0
    .sgpr_count:     0
    .sgpr_spill_count: 0
    .symbol:         _ZN7rocprim17ROCPRIM_400000_NS6detail17trampoline_kernelINS0_14default_configENS1_38merge_sort_block_merge_config_selectorIyNS0_10empty_typeEEEZZNS1_27merge_sort_block_merge_implIS3_N6thrust23THRUST_200600_302600_NS6detail15normal_iteratorINS9_10device_ptrIyEEEEPS5_m9comp_mod3IyEEE10hipError_tT0_T1_T2_jT3_P12ihipStream_tbPNSt15iterator_traitsISJ_E10value_typeEPNSP_ISK_E10value_typeEPSL_NS1_7vsmem_tEENKUlT_SJ_SK_SL_E_clIPySE_SF_SF_EESI_SY_SJ_SK_SL_EUlSY_E1_NS1_11comp_targetILNS1_3genE0ELNS1_11target_archE4294967295ELNS1_3gpuE0ELNS1_3repE0EEENS1_36merge_oddeven_config_static_selectorELNS0_4arch9wavefront6targetE0EEEvSK_.kd
    .uniform_work_group_size: 1
    .uses_dynamic_stack: false
    .vgpr_count:     0
    .vgpr_spill_count: 0
    .wavefront_size: 32
    .workgroup_processor_mode: 1
  - .args:
      - .offset:         0
        .size:           56
        .value_kind:     by_value
    .group_segment_fixed_size: 0
    .kernarg_segment_align: 8
    .kernarg_segment_size: 56
    .language:       OpenCL C
    .language_version:
      - 2
      - 0
    .max_flat_workgroup_size: 256
    .name:           _ZN7rocprim17ROCPRIM_400000_NS6detail17trampoline_kernelINS0_14default_configENS1_38merge_sort_block_merge_config_selectorIyNS0_10empty_typeEEEZZNS1_27merge_sort_block_merge_implIS3_N6thrust23THRUST_200600_302600_NS6detail15normal_iteratorINS9_10device_ptrIyEEEEPS5_m9comp_mod3IyEEE10hipError_tT0_T1_T2_jT3_P12ihipStream_tbPNSt15iterator_traitsISJ_E10value_typeEPNSP_ISK_E10value_typeEPSL_NS1_7vsmem_tEENKUlT_SJ_SK_SL_E_clIPySE_SF_SF_EESI_SY_SJ_SK_SL_EUlSY_E1_NS1_11comp_targetILNS1_3genE10ELNS1_11target_archE1201ELNS1_3gpuE5ELNS1_3repE0EEENS1_36merge_oddeven_config_static_selectorELNS0_4arch9wavefront6targetE0EEEvSK_
    .private_segment_fixed_size: 0
    .sgpr_count:     0
    .sgpr_spill_count: 0
    .symbol:         _ZN7rocprim17ROCPRIM_400000_NS6detail17trampoline_kernelINS0_14default_configENS1_38merge_sort_block_merge_config_selectorIyNS0_10empty_typeEEEZZNS1_27merge_sort_block_merge_implIS3_N6thrust23THRUST_200600_302600_NS6detail15normal_iteratorINS9_10device_ptrIyEEEEPS5_m9comp_mod3IyEEE10hipError_tT0_T1_T2_jT3_P12ihipStream_tbPNSt15iterator_traitsISJ_E10value_typeEPNSP_ISK_E10value_typeEPSL_NS1_7vsmem_tEENKUlT_SJ_SK_SL_E_clIPySE_SF_SF_EESI_SY_SJ_SK_SL_EUlSY_E1_NS1_11comp_targetILNS1_3genE10ELNS1_11target_archE1201ELNS1_3gpuE5ELNS1_3repE0EEENS1_36merge_oddeven_config_static_selectorELNS0_4arch9wavefront6targetE0EEEvSK_.kd
    .uniform_work_group_size: 1
    .uses_dynamic_stack: false
    .vgpr_count:     0
    .vgpr_spill_count: 0
    .wavefront_size: 32
    .workgroup_processor_mode: 1
  - .args:
      - .offset:         0
        .size:           56
        .value_kind:     by_value
    .group_segment_fixed_size: 0
    .kernarg_segment_align: 8
    .kernarg_segment_size: 56
    .language:       OpenCL C
    .language_version:
      - 2
      - 0
    .max_flat_workgroup_size: 256
    .name:           _ZN7rocprim17ROCPRIM_400000_NS6detail17trampoline_kernelINS0_14default_configENS1_38merge_sort_block_merge_config_selectorIyNS0_10empty_typeEEEZZNS1_27merge_sort_block_merge_implIS3_N6thrust23THRUST_200600_302600_NS6detail15normal_iteratorINS9_10device_ptrIyEEEEPS5_m9comp_mod3IyEEE10hipError_tT0_T1_T2_jT3_P12ihipStream_tbPNSt15iterator_traitsISJ_E10value_typeEPNSP_ISK_E10value_typeEPSL_NS1_7vsmem_tEENKUlT_SJ_SK_SL_E_clIPySE_SF_SF_EESI_SY_SJ_SK_SL_EUlSY_E1_NS1_11comp_targetILNS1_3genE5ELNS1_11target_archE942ELNS1_3gpuE9ELNS1_3repE0EEENS1_36merge_oddeven_config_static_selectorELNS0_4arch9wavefront6targetE0EEEvSK_
    .private_segment_fixed_size: 0
    .sgpr_count:     0
    .sgpr_spill_count: 0
    .symbol:         _ZN7rocprim17ROCPRIM_400000_NS6detail17trampoline_kernelINS0_14default_configENS1_38merge_sort_block_merge_config_selectorIyNS0_10empty_typeEEEZZNS1_27merge_sort_block_merge_implIS3_N6thrust23THRUST_200600_302600_NS6detail15normal_iteratorINS9_10device_ptrIyEEEEPS5_m9comp_mod3IyEEE10hipError_tT0_T1_T2_jT3_P12ihipStream_tbPNSt15iterator_traitsISJ_E10value_typeEPNSP_ISK_E10value_typeEPSL_NS1_7vsmem_tEENKUlT_SJ_SK_SL_E_clIPySE_SF_SF_EESI_SY_SJ_SK_SL_EUlSY_E1_NS1_11comp_targetILNS1_3genE5ELNS1_11target_archE942ELNS1_3gpuE9ELNS1_3repE0EEENS1_36merge_oddeven_config_static_selectorELNS0_4arch9wavefront6targetE0EEEvSK_.kd
    .uniform_work_group_size: 1
    .uses_dynamic_stack: false
    .vgpr_count:     0
    .vgpr_spill_count: 0
    .wavefront_size: 32
    .workgroup_processor_mode: 1
  - .args:
      - .offset:         0
        .size:           56
        .value_kind:     by_value
    .group_segment_fixed_size: 0
    .kernarg_segment_align: 8
    .kernarg_segment_size: 56
    .language:       OpenCL C
    .language_version:
      - 2
      - 0
    .max_flat_workgroup_size: 256
    .name:           _ZN7rocprim17ROCPRIM_400000_NS6detail17trampoline_kernelINS0_14default_configENS1_38merge_sort_block_merge_config_selectorIyNS0_10empty_typeEEEZZNS1_27merge_sort_block_merge_implIS3_N6thrust23THRUST_200600_302600_NS6detail15normal_iteratorINS9_10device_ptrIyEEEEPS5_m9comp_mod3IyEEE10hipError_tT0_T1_T2_jT3_P12ihipStream_tbPNSt15iterator_traitsISJ_E10value_typeEPNSP_ISK_E10value_typeEPSL_NS1_7vsmem_tEENKUlT_SJ_SK_SL_E_clIPySE_SF_SF_EESI_SY_SJ_SK_SL_EUlSY_E1_NS1_11comp_targetILNS1_3genE4ELNS1_11target_archE910ELNS1_3gpuE8ELNS1_3repE0EEENS1_36merge_oddeven_config_static_selectorELNS0_4arch9wavefront6targetE0EEEvSK_
    .private_segment_fixed_size: 0
    .sgpr_count:     0
    .sgpr_spill_count: 0
    .symbol:         _ZN7rocprim17ROCPRIM_400000_NS6detail17trampoline_kernelINS0_14default_configENS1_38merge_sort_block_merge_config_selectorIyNS0_10empty_typeEEEZZNS1_27merge_sort_block_merge_implIS3_N6thrust23THRUST_200600_302600_NS6detail15normal_iteratorINS9_10device_ptrIyEEEEPS5_m9comp_mod3IyEEE10hipError_tT0_T1_T2_jT3_P12ihipStream_tbPNSt15iterator_traitsISJ_E10value_typeEPNSP_ISK_E10value_typeEPSL_NS1_7vsmem_tEENKUlT_SJ_SK_SL_E_clIPySE_SF_SF_EESI_SY_SJ_SK_SL_EUlSY_E1_NS1_11comp_targetILNS1_3genE4ELNS1_11target_archE910ELNS1_3gpuE8ELNS1_3repE0EEENS1_36merge_oddeven_config_static_selectorELNS0_4arch9wavefront6targetE0EEEvSK_.kd
    .uniform_work_group_size: 1
    .uses_dynamic_stack: false
    .vgpr_count:     0
    .vgpr_spill_count: 0
    .wavefront_size: 32
    .workgroup_processor_mode: 1
  - .args:
      - .offset:         0
        .size:           56
        .value_kind:     by_value
    .group_segment_fixed_size: 0
    .kernarg_segment_align: 8
    .kernarg_segment_size: 56
    .language:       OpenCL C
    .language_version:
      - 2
      - 0
    .max_flat_workgroup_size: 256
    .name:           _ZN7rocprim17ROCPRIM_400000_NS6detail17trampoline_kernelINS0_14default_configENS1_38merge_sort_block_merge_config_selectorIyNS0_10empty_typeEEEZZNS1_27merge_sort_block_merge_implIS3_N6thrust23THRUST_200600_302600_NS6detail15normal_iteratorINS9_10device_ptrIyEEEEPS5_m9comp_mod3IyEEE10hipError_tT0_T1_T2_jT3_P12ihipStream_tbPNSt15iterator_traitsISJ_E10value_typeEPNSP_ISK_E10value_typeEPSL_NS1_7vsmem_tEENKUlT_SJ_SK_SL_E_clIPySE_SF_SF_EESI_SY_SJ_SK_SL_EUlSY_E1_NS1_11comp_targetILNS1_3genE3ELNS1_11target_archE908ELNS1_3gpuE7ELNS1_3repE0EEENS1_36merge_oddeven_config_static_selectorELNS0_4arch9wavefront6targetE0EEEvSK_
    .private_segment_fixed_size: 0
    .sgpr_count:     0
    .sgpr_spill_count: 0
    .symbol:         _ZN7rocprim17ROCPRIM_400000_NS6detail17trampoline_kernelINS0_14default_configENS1_38merge_sort_block_merge_config_selectorIyNS0_10empty_typeEEEZZNS1_27merge_sort_block_merge_implIS3_N6thrust23THRUST_200600_302600_NS6detail15normal_iteratorINS9_10device_ptrIyEEEEPS5_m9comp_mod3IyEEE10hipError_tT0_T1_T2_jT3_P12ihipStream_tbPNSt15iterator_traitsISJ_E10value_typeEPNSP_ISK_E10value_typeEPSL_NS1_7vsmem_tEENKUlT_SJ_SK_SL_E_clIPySE_SF_SF_EESI_SY_SJ_SK_SL_EUlSY_E1_NS1_11comp_targetILNS1_3genE3ELNS1_11target_archE908ELNS1_3gpuE7ELNS1_3repE0EEENS1_36merge_oddeven_config_static_selectorELNS0_4arch9wavefront6targetE0EEEvSK_.kd
    .uniform_work_group_size: 1
    .uses_dynamic_stack: false
    .vgpr_count:     0
    .vgpr_spill_count: 0
    .wavefront_size: 32
    .workgroup_processor_mode: 1
  - .args:
      - .offset:         0
        .size:           56
        .value_kind:     by_value
    .group_segment_fixed_size: 0
    .kernarg_segment_align: 8
    .kernarg_segment_size: 56
    .language:       OpenCL C
    .language_version:
      - 2
      - 0
    .max_flat_workgroup_size: 256
    .name:           _ZN7rocprim17ROCPRIM_400000_NS6detail17trampoline_kernelINS0_14default_configENS1_38merge_sort_block_merge_config_selectorIyNS0_10empty_typeEEEZZNS1_27merge_sort_block_merge_implIS3_N6thrust23THRUST_200600_302600_NS6detail15normal_iteratorINS9_10device_ptrIyEEEEPS5_m9comp_mod3IyEEE10hipError_tT0_T1_T2_jT3_P12ihipStream_tbPNSt15iterator_traitsISJ_E10value_typeEPNSP_ISK_E10value_typeEPSL_NS1_7vsmem_tEENKUlT_SJ_SK_SL_E_clIPySE_SF_SF_EESI_SY_SJ_SK_SL_EUlSY_E1_NS1_11comp_targetILNS1_3genE2ELNS1_11target_archE906ELNS1_3gpuE6ELNS1_3repE0EEENS1_36merge_oddeven_config_static_selectorELNS0_4arch9wavefront6targetE0EEEvSK_
    .private_segment_fixed_size: 0
    .sgpr_count:     0
    .sgpr_spill_count: 0
    .symbol:         _ZN7rocprim17ROCPRIM_400000_NS6detail17trampoline_kernelINS0_14default_configENS1_38merge_sort_block_merge_config_selectorIyNS0_10empty_typeEEEZZNS1_27merge_sort_block_merge_implIS3_N6thrust23THRUST_200600_302600_NS6detail15normal_iteratorINS9_10device_ptrIyEEEEPS5_m9comp_mod3IyEEE10hipError_tT0_T1_T2_jT3_P12ihipStream_tbPNSt15iterator_traitsISJ_E10value_typeEPNSP_ISK_E10value_typeEPSL_NS1_7vsmem_tEENKUlT_SJ_SK_SL_E_clIPySE_SF_SF_EESI_SY_SJ_SK_SL_EUlSY_E1_NS1_11comp_targetILNS1_3genE2ELNS1_11target_archE906ELNS1_3gpuE6ELNS1_3repE0EEENS1_36merge_oddeven_config_static_selectorELNS0_4arch9wavefront6targetE0EEEvSK_.kd
    .uniform_work_group_size: 1
    .uses_dynamic_stack: false
    .vgpr_count:     0
    .vgpr_spill_count: 0
    .wavefront_size: 32
    .workgroup_processor_mode: 1
  - .args:
      - .offset:         0
        .size:           56
        .value_kind:     by_value
    .group_segment_fixed_size: 0
    .kernarg_segment_align: 8
    .kernarg_segment_size: 56
    .language:       OpenCL C
    .language_version:
      - 2
      - 0
    .max_flat_workgroup_size: 256
    .name:           _ZN7rocprim17ROCPRIM_400000_NS6detail17trampoline_kernelINS0_14default_configENS1_38merge_sort_block_merge_config_selectorIyNS0_10empty_typeEEEZZNS1_27merge_sort_block_merge_implIS3_N6thrust23THRUST_200600_302600_NS6detail15normal_iteratorINS9_10device_ptrIyEEEEPS5_m9comp_mod3IyEEE10hipError_tT0_T1_T2_jT3_P12ihipStream_tbPNSt15iterator_traitsISJ_E10value_typeEPNSP_ISK_E10value_typeEPSL_NS1_7vsmem_tEENKUlT_SJ_SK_SL_E_clIPySE_SF_SF_EESI_SY_SJ_SK_SL_EUlSY_E1_NS1_11comp_targetILNS1_3genE9ELNS1_11target_archE1100ELNS1_3gpuE3ELNS1_3repE0EEENS1_36merge_oddeven_config_static_selectorELNS0_4arch9wavefront6targetE0EEEvSK_
    .private_segment_fixed_size: 0
    .sgpr_count:     0
    .sgpr_spill_count: 0
    .symbol:         _ZN7rocprim17ROCPRIM_400000_NS6detail17trampoline_kernelINS0_14default_configENS1_38merge_sort_block_merge_config_selectorIyNS0_10empty_typeEEEZZNS1_27merge_sort_block_merge_implIS3_N6thrust23THRUST_200600_302600_NS6detail15normal_iteratorINS9_10device_ptrIyEEEEPS5_m9comp_mod3IyEEE10hipError_tT0_T1_T2_jT3_P12ihipStream_tbPNSt15iterator_traitsISJ_E10value_typeEPNSP_ISK_E10value_typeEPSL_NS1_7vsmem_tEENKUlT_SJ_SK_SL_E_clIPySE_SF_SF_EESI_SY_SJ_SK_SL_EUlSY_E1_NS1_11comp_targetILNS1_3genE9ELNS1_11target_archE1100ELNS1_3gpuE3ELNS1_3repE0EEENS1_36merge_oddeven_config_static_selectorELNS0_4arch9wavefront6targetE0EEEvSK_.kd
    .uniform_work_group_size: 1
    .uses_dynamic_stack: false
    .vgpr_count:     0
    .vgpr_spill_count: 0
    .wavefront_size: 32
    .workgroup_processor_mode: 1
  - .args:
      - .offset:         0
        .size:           56
        .value_kind:     by_value
    .group_segment_fixed_size: 0
    .kernarg_segment_align: 8
    .kernarg_segment_size: 56
    .language:       OpenCL C
    .language_version:
      - 2
      - 0
    .max_flat_workgroup_size: 256
    .name:           _ZN7rocprim17ROCPRIM_400000_NS6detail17trampoline_kernelINS0_14default_configENS1_38merge_sort_block_merge_config_selectorIyNS0_10empty_typeEEEZZNS1_27merge_sort_block_merge_implIS3_N6thrust23THRUST_200600_302600_NS6detail15normal_iteratorINS9_10device_ptrIyEEEEPS5_m9comp_mod3IyEEE10hipError_tT0_T1_T2_jT3_P12ihipStream_tbPNSt15iterator_traitsISJ_E10value_typeEPNSP_ISK_E10value_typeEPSL_NS1_7vsmem_tEENKUlT_SJ_SK_SL_E_clIPySE_SF_SF_EESI_SY_SJ_SK_SL_EUlSY_E1_NS1_11comp_targetILNS1_3genE8ELNS1_11target_archE1030ELNS1_3gpuE2ELNS1_3repE0EEENS1_36merge_oddeven_config_static_selectorELNS0_4arch9wavefront6targetE0EEEvSK_
    .private_segment_fixed_size: 0
    .sgpr_count:     20
    .sgpr_spill_count: 0
    .symbol:         _ZN7rocprim17ROCPRIM_400000_NS6detail17trampoline_kernelINS0_14default_configENS1_38merge_sort_block_merge_config_selectorIyNS0_10empty_typeEEEZZNS1_27merge_sort_block_merge_implIS3_N6thrust23THRUST_200600_302600_NS6detail15normal_iteratorINS9_10device_ptrIyEEEEPS5_m9comp_mod3IyEEE10hipError_tT0_T1_T2_jT3_P12ihipStream_tbPNSt15iterator_traitsISJ_E10value_typeEPNSP_ISK_E10value_typeEPSL_NS1_7vsmem_tEENKUlT_SJ_SK_SL_E_clIPySE_SF_SF_EESI_SY_SJ_SK_SL_EUlSY_E1_NS1_11comp_targetILNS1_3genE8ELNS1_11target_archE1030ELNS1_3gpuE2ELNS1_3repE0EEENS1_36merge_oddeven_config_static_selectorELNS0_4arch9wavefront6targetE0EEEvSK_.kd
    .uniform_work_group_size: 1
    .uses_dynamic_stack: false
    .vgpr_count:     15
    .vgpr_spill_count: 0
    .wavefront_size: 32
    .workgroup_processor_mode: 1
  - .args:
      - .offset:         0
        .size:           48
        .value_kind:     by_value
    .group_segment_fixed_size: 0
    .kernarg_segment_align: 8
    .kernarg_segment_size: 48
    .language:       OpenCL C
    .language_version:
      - 2
      - 0
    .max_flat_workgroup_size: 128
    .name:           _ZN7rocprim17ROCPRIM_400000_NS6detail17trampoline_kernelINS0_14default_configENS1_38merge_sort_block_merge_config_selectorIyNS0_10empty_typeEEEZZNS1_27merge_sort_block_merge_implIS3_N6thrust23THRUST_200600_302600_NS6detail15normal_iteratorINS9_10device_ptrIyEEEEPS5_m9comp_mod3IyEEE10hipError_tT0_T1_T2_jT3_P12ihipStream_tbPNSt15iterator_traitsISJ_E10value_typeEPNSP_ISK_E10value_typeEPSL_NS1_7vsmem_tEENKUlT_SJ_SK_SL_E_clISE_PySF_SF_EESI_SY_SJ_SK_SL_EUlSY_E_NS1_11comp_targetILNS1_3genE0ELNS1_11target_archE4294967295ELNS1_3gpuE0ELNS1_3repE0EEENS1_48merge_mergepath_partition_config_static_selectorELNS0_4arch9wavefront6targetE0EEEvSK_
    .private_segment_fixed_size: 0
    .sgpr_count:     0
    .sgpr_spill_count: 0
    .symbol:         _ZN7rocprim17ROCPRIM_400000_NS6detail17trampoline_kernelINS0_14default_configENS1_38merge_sort_block_merge_config_selectorIyNS0_10empty_typeEEEZZNS1_27merge_sort_block_merge_implIS3_N6thrust23THRUST_200600_302600_NS6detail15normal_iteratorINS9_10device_ptrIyEEEEPS5_m9comp_mod3IyEEE10hipError_tT0_T1_T2_jT3_P12ihipStream_tbPNSt15iterator_traitsISJ_E10value_typeEPNSP_ISK_E10value_typeEPSL_NS1_7vsmem_tEENKUlT_SJ_SK_SL_E_clISE_PySF_SF_EESI_SY_SJ_SK_SL_EUlSY_E_NS1_11comp_targetILNS1_3genE0ELNS1_11target_archE4294967295ELNS1_3gpuE0ELNS1_3repE0EEENS1_48merge_mergepath_partition_config_static_selectorELNS0_4arch9wavefront6targetE0EEEvSK_.kd
    .uniform_work_group_size: 1
    .uses_dynamic_stack: false
    .vgpr_count:     0
    .vgpr_spill_count: 0
    .wavefront_size: 32
    .workgroup_processor_mode: 1
  - .args:
      - .offset:         0
        .size:           48
        .value_kind:     by_value
    .group_segment_fixed_size: 0
    .kernarg_segment_align: 8
    .kernarg_segment_size: 48
    .language:       OpenCL C
    .language_version:
      - 2
      - 0
    .max_flat_workgroup_size: 128
    .name:           _ZN7rocprim17ROCPRIM_400000_NS6detail17trampoline_kernelINS0_14default_configENS1_38merge_sort_block_merge_config_selectorIyNS0_10empty_typeEEEZZNS1_27merge_sort_block_merge_implIS3_N6thrust23THRUST_200600_302600_NS6detail15normal_iteratorINS9_10device_ptrIyEEEEPS5_m9comp_mod3IyEEE10hipError_tT0_T1_T2_jT3_P12ihipStream_tbPNSt15iterator_traitsISJ_E10value_typeEPNSP_ISK_E10value_typeEPSL_NS1_7vsmem_tEENKUlT_SJ_SK_SL_E_clISE_PySF_SF_EESI_SY_SJ_SK_SL_EUlSY_E_NS1_11comp_targetILNS1_3genE10ELNS1_11target_archE1201ELNS1_3gpuE5ELNS1_3repE0EEENS1_48merge_mergepath_partition_config_static_selectorELNS0_4arch9wavefront6targetE0EEEvSK_
    .private_segment_fixed_size: 0
    .sgpr_count:     0
    .sgpr_spill_count: 0
    .symbol:         _ZN7rocprim17ROCPRIM_400000_NS6detail17trampoline_kernelINS0_14default_configENS1_38merge_sort_block_merge_config_selectorIyNS0_10empty_typeEEEZZNS1_27merge_sort_block_merge_implIS3_N6thrust23THRUST_200600_302600_NS6detail15normal_iteratorINS9_10device_ptrIyEEEEPS5_m9comp_mod3IyEEE10hipError_tT0_T1_T2_jT3_P12ihipStream_tbPNSt15iterator_traitsISJ_E10value_typeEPNSP_ISK_E10value_typeEPSL_NS1_7vsmem_tEENKUlT_SJ_SK_SL_E_clISE_PySF_SF_EESI_SY_SJ_SK_SL_EUlSY_E_NS1_11comp_targetILNS1_3genE10ELNS1_11target_archE1201ELNS1_3gpuE5ELNS1_3repE0EEENS1_48merge_mergepath_partition_config_static_selectorELNS0_4arch9wavefront6targetE0EEEvSK_.kd
    .uniform_work_group_size: 1
    .uses_dynamic_stack: false
    .vgpr_count:     0
    .vgpr_spill_count: 0
    .wavefront_size: 32
    .workgroup_processor_mode: 1
  - .args:
      - .offset:         0
        .size:           48
        .value_kind:     by_value
    .group_segment_fixed_size: 0
    .kernarg_segment_align: 8
    .kernarg_segment_size: 48
    .language:       OpenCL C
    .language_version:
      - 2
      - 0
    .max_flat_workgroup_size: 128
    .name:           _ZN7rocprim17ROCPRIM_400000_NS6detail17trampoline_kernelINS0_14default_configENS1_38merge_sort_block_merge_config_selectorIyNS0_10empty_typeEEEZZNS1_27merge_sort_block_merge_implIS3_N6thrust23THRUST_200600_302600_NS6detail15normal_iteratorINS9_10device_ptrIyEEEEPS5_m9comp_mod3IyEEE10hipError_tT0_T1_T2_jT3_P12ihipStream_tbPNSt15iterator_traitsISJ_E10value_typeEPNSP_ISK_E10value_typeEPSL_NS1_7vsmem_tEENKUlT_SJ_SK_SL_E_clISE_PySF_SF_EESI_SY_SJ_SK_SL_EUlSY_E_NS1_11comp_targetILNS1_3genE5ELNS1_11target_archE942ELNS1_3gpuE9ELNS1_3repE0EEENS1_48merge_mergepath_partition_config_static_selectorELNS0_4arch9wavefront6targetE0EEEvSK_
    .private_segment_fixed_size: 0
    .sgpr_count:     0
    .sgpr_spill_count: 0
    .symbol:         _ZN7rocprim17ROCPRIM_400000_NS6detail17trampoline_kernelINS0_14default_configENS1_38merge_sort_block_merge_config_selectorIyNS0_10empty_typeEEEZZNS1_27merge_sort_block_merge_implIS3_N6thrust23THRUST_200600_302600_NS6detail15normal_iteratorINS9_10device_ptrIyEEEEPS5_m9comp_mod3IyEEE10hipError_tT0_T1_T2_jT3_P12ihipStream_tbPNSt15iterator_traitsISJ_E10value_typeEPNSP_ISK_E10value_typeEPSL_NS1_7vsmem_tEENKUlT_SJ_SK_SL_E_clISE_PySF_SF_EESI_SY_SJ_SK_SL_EUlSY_E_NS1_11comp_targetILNS1_3genE5ELNS1_11target_archE942ELNS1_3gpuE9ELNS1_3repE0EEENS1_48merge_mergepath_partition_config_static_selectorELNS0_4arch9wavefront6targetE0EEEvSK_.kd
    .uniform_work_group_size: 1
    .uses_dynamic_stack: false
    .vgpr_count:     0
    .vgpr_spill_count: 0
    .wavefront_size: 32
    .workgroup_processor_mode: 1
  - .args:
      - .offset:         0
        .size:           48
        .value_kind:     by_value
    .group_segment_fixed_size: 0
    .kernarg_segment_align: 8
    .kernarg_segment_size: 48
    .language:       OpenCL C
    .language_version:
      - 2
      - 0
    .max_flat_workgroup_size: 128
    .name:           _ZN7rocprim17ROCPRIM_400000_NS6detail17trampoline_kernelINS0_14default_configENS1_38merge_sort_block_merge_config_selectorIyNS0_10empty_typeEEEZZNS1_27merge_sort_block_merge_implIS3_N6thrust23THRUST_200600_302600_NS6detail15normal_iteratorINS9_10device_ptrIyEEEEPS5_m9comp_mod3IyEEE10hipError_tT0_T1_T2_jT3_P12ihipStream_tbPNSt15iterator_traitsISJ_E10value_typeEPNSP_ISK_E10value_typeEPSL_NS1_7vsmem_tEENKUlT_SJ_SK_SL_E_clISE_PySF_SF_EESI_SY_SJ_SK_SL_EUlSY_E_NS1_11comp_targetILNS1_3genE4ELNS1_11target_archE910ELNS1_3gpuE8ELNS1_3repE0EEENS1_48merge_mergepath_partition_config_static_selectorELNS0_4arch9wavefront6targetE0EEEvSK_
    .private_segment_fixed_size: 0
    .sgpr_count:     0
    .sgpr_spill_count: 0
    .symbol:         _ZN7rocprim17ROCPRIM_400000_NS6detail17trampoline_kernelINS0_14default_configENS1_38merge_sort_block_merge_config_selectorIyNS0_10empty_typeEEEZZNS1_27merge_sort_block_merge_implIS3_N6thrust23THRUST_200600_302600_NS6detail15normal_iteratorINS9_10device_ptrIyEEEEPS5_m9comp_mod3IyEEE10hipError_tT0_T1_T2_jT3_P12ihipStream_tbPNSt15iterator_traitsISJ_E10value_typeEPNSP_ISK_E10value_typeEPSL_NS1_7vsmem_tEENKUlT_SJ_SK_SL_E_clISE_PySF_SF_EESI_SY_SJ_SK_SL_EUlSY_E_NS1_11comp_targetILNS1_3genE4ELNS1_11target_archE910ELNS1_3gpuE8ELNS1_3repE0EEENS1_48merge_mergepath_partition_config_static_selectorELNS0_4arch9wavefront6targetE0EEEvSK_.kd
    .uniform_work_group_size: 1
    .uses_dynamic_stack: false
    .vgpr_count:     0
    .vgpr_spill_count: 0
    .wavefront_size: 32
    .workgroup_processor_mode: 1
  - .args:
      - .offset:         0
        .size:           48
        .value_kind:     by_value
    .group_segment_fixed_size: 0
    .kernarg_segment_align: 8
    .kernarg_segment_size: 48
    .language:       OpenCL C
    .language_version:
      - 2
      - 0
    .max_flat_workgroup_size: 128
    .name:           _ZN7rocprim17ROCPRIM_400000_NS6detail17trampoline_kernelINS0_14default_configENS1_38merge_sort_block_merge_config_selectorIyNS0_10empty_typeEEEZZNS1_27merge_sort_block_merge_implIS3_N6thrust23THRUST_200600_302600_NS6detail15normal_iteratorINS9_10device_ptrIyEEEEPS5_m9comp_mod3IyEEE10hipError_tT0_T1_T2_jT3_P12ihipStream_tbPNSt15iterator_traitsISJ_E10value_typeEPNSP_ISK_E10value_typeEPSL_NS1_7vsmem_tEENKUlT_SJ_SK_SL_E_clISE_PySF_SF_EESI_SY_SJ_SK_SL_EUlSY_E_NS1_11comp_targetILNS1_3genE3ELNS1_11target_archE908ELNS1_3gpuE7ELNS1_3repE0EEENS1_48merge_mergepath_partition_config_static_selectorELNS0_4arch9wavefront6targetE0EEEvSK_
    .private_segment_fixed_size: 0
    .sgpr_count:     0
    .sgpr_spill_count: 0
    .symbol:         _ZN7rocprim17ROCPRIM_400000_NS6detail17trampoline_kernelINS0_14default_configENS1_38merge_sort_block_merge_config_selectorIyNS0_10empty_typeEEEZZNS1_27merge_sort_block_merge_implIS3_N6thrust23THRUST_200600_302600_NS6detail15normal_iteratorINS9_10device_ptrIyEEEEPS5_m9comp_mod3IyEEE10hipError_tT0_T1_T2_jT3_P12ihipStream_tbPNSt15iterator_traitsISJ_E10value_typeEPNSP_ISK_E10value_typeEPSL_NS1_7vsmem_tEENKUlT_SJ_SK_SL_E_clISE_PySF_SF_EESI_SY_SJ_SK_SL_EUlSY_E_NS1_11comp_targetILNS1_3genE3ELNS1_11target_archE908ELNS1_3gpuE7ELNS1_3repE0EEENS1_48merge_mergepath_partition_config_static_selectorELNS0_4arch9wavefront6targetE0EEEvSK_.kd
    .uniform_work_group_size: 1
    .uses_dynamic_stack: false
    .vgpr_count:     0
    .vgpr_spill_count: 0
    .wavefront_size: 32
    .workgroup_processor_mode: 1
  - .args:
      - .offset:         0
        .size:           48
        .value_kind:     by_value
    .group_segment_fixed_size: 0
    .kernarg_segment_align: 8
    .kernarg_segment_size: 48
    .language:       OpenCL C
    .language_version:
      - 2
      - 0
    .max_flat_workgroup_size: 128
    .name:           _ZN7rocprim17ROCPRIM_400000_NS6detail17trampoline_kernelINS0_14default_configENS1_38merge_sort_block_merge_config_selectorIyNS0_10empty_typeEEEZZNS1_27merge_sort_block_merge_implIS3_N6thrust23THRUST_200600_302600_NS6detail15normal_iteratorINS9_10device_ptrIyEEEEPS5_m9comp_mod3IyEEE10hipError_tT0_T1_T2_jT3_P12ihipStream_tbPNSt15iterator_traitsISJ_E10value_typeEPNSP_ISK_E10value_typeEPSL_NS1_7vsmem_tEENKUlT_SJ_SK_SL_E_clISE_PySF_SF_EESI_SY_SJ_SK_SL_EUlSY_E_NS1_11comp_targetILNS1_3genE2ELNS1_11target_archE906ELNS1_3gpuE6ELNS1_3repE0EEENS1_48merge_mergepath_partition_config_static_selectorELNS0_4arch9wavefront6targetE0EEEvSK_
    .private_segment_fixed_size: 0
    .sgpr_count:     0
    .sgpr_spill_count: 0
    .symbol:         _ZN7rocprim17ROCPRIM_400000_NS6detail17trampoline_kernelINS0_14default_configENS1_38merge_sort_block_merge_config_selectorIyNS0_10empty_typeEEEZZNS1_27merge_sort_block_merge_implIS3_N6thrust23THRUST_200600_302600_NS6detail15normal_iteratorINS9_10device_ptrIyEEEEPS5_m9comp_mod3IyEEE10hipError_tT0_T1_T2_jT3_P12ihipStream_tbPNSt15iterator_traitsISJ_E10value_typeEPNSP_ISK_E10value_typeEPSL_NS1_7vsmem_tEENKUlT_SJ_SK_SL_E_clISE_PySF_SF_EESI_SY_SJ_SK_SL_EUlSY_E_NS1_11comp_targetILNS1_3genE2ELNS1_11target_archE906ELNS1_3gpuE6ELNS1_3repE0EEENS1_48merge_mergepath_partition_config_static_selectorELNS0_4arch9wavefront6targetE0EEEvSK_.kd
    .uniform_work_group_size: 1
    .uses_dynamic_stack: false
    .vgpr_count:     0
    .vgpr_spill_count: 0
    .wavefront_size: 32
    .workgroup_processor_mode: 1
  - .args:
      - .offset:         0
        .size:           48
        .value_kind:     by_value
    .group_segment_fixed_size: 0
    .kernarg_segment_align: 8
    .kernarg_segment_size: 48
    .language:       OpenCL C
    .language_version:
      - 2
      - 0
    .max_flat_workgroup_size: 128
    .name:           _ZN7rocprim17ROCPRIM_400000_NS6detail17trampoline_kernelINS0_14default_configENS1_38merge_sort_block_merge_config_selectorIyNS0_10empty_typeEEEZZNS1_27merge_sort_block_merge_implIS3_N6thrust23THRUST_200600_302600_NS6detail15normal_iteratorINS9_10device_ptrIyEEEEPS5_m9comp_mod3IyEEE10hipError_tT0_T1_T2_jT3_P12ihipStream_tbPNSt15iterator_traitsISJ_E10value_typeEPNSP_ISK_E10value_typeEPSL_NS1_7vsmem_tEENKUlT_SJ_SK_SL_E_clISE_PySF_SF_EESI_SY_SJ_SK_SL_EUlSY_E_NS1_11comp_targetILNS1_3genE9ELNS1_11target_archE1100ELNS1_3gpuE3ELNS1_3repE0EEENS1_48merge_mergepath_partition_config_static_selectorELNS0_4arch9wavefront6targetE0EEEvSK_
    .private_segment_fixed_size: 0
    .sgpr_count:     0
    .sgpr_spill_count: 0
    .symbol:         _ZN7rocprim17ROCPRIM_400000_NS6detail17trampoline_kernelINS0_14default_configENS1_38merge_sort_block_merge_config_selectorIyNS0_10empty_typeEEEZZNS1_27merge_sort_block_merge_implIS3_N6thrust23THRUST_200600_302600_NS6detail15normal_iteratorINS9_10device_ptrIyEEEEPS5_m9comp_mod3IyEEE10hipError_tT0_T1_T2_jT3_P12ihipStream_tbPNSt15iterator_traitsISJ_E10value_typeEPNSP_ISK_E10value_typeEPSL_NS1_7vsmem_tEENKUlT_SJ_SK_SL_E_clISE_PySF_SF_EESI_SY_SJ_SK_SL_EUlSY_E_NS1_11comp_targetILNS1_3genE9ELNS1_11target_archE1100ELNS1_3gpuE3ELNS1_3repE0EEENS1_48merge_mergepath_partition_config_static_selectorELNS0_4arch9wavefront6targetE0EEEvSK_.kd
    .uniform_work_group_size: 1
    .uses_dynamic_stack: false
    .vgpr_count:     0
    .vgpr_spill_count: 0
    .wavefront_size: 32
    .workgroup_processor_mode: 1
  - .args:
      - .offset:         0
        .size:           48
        .value_kind:     by_value
    .group_segment_fixed_size: 0
    .kernarg_segment_align: 8
    .kernarg_segment_size: 48
    .language:       OpenCL C
    .language_version:
      - 2
      - 0
    .max_flat_workgroup_size: 128
    .name:           _ZN7rocprim17ROCPRIM_400000_NS6detail17trampoline_kernelINS0_14default_configENS1_38merge_sort_block_merge_config_selectorIyNS0_10empty_typeEEEZZNS1_27merge_sort_block_merge_implIS3_N6thrust23THRUST_200600_302600_NS6detail15normal_iteratorINS9_10device_ptrIyEEEEPS5_m9comp_mod3IyEEE10hipError_tT0_T1_T2_jT3_P12ihipStream_tbPNSt15iterator_traitsISJ_E10value_typeEPNSP_ISK_E10value_typeEPSL_NS1_7vsmem_tEENKUlT_SJ_SK_SL_E_clISE_PySF_SF_EESI_SY_SJ_SK_SL_EUlSY_E_NS1_11comp_targetILNS1_3genE8ELNS1_11target_archE1030ELNS1_3gpuE2ELNS1_3repE0EEENS1_48merge_mergepath_partition_config_static_selectorELNS0_4arch9wavefront6targetE0EEEvSK_
    .private_segment_fixed_size: 0
    .sgpr_count:     14
    .sgpr_spill_count: 0
    .symbol:         _ZN7rocprim17ROCPRIM_400000_NS6detail17trampoline_kernelINS0_14default_configENS1_38merge_sort_block_merge_config_selectorIyNS0_10empty_typeEEEZZNS1_27merge_sort_block_merge_implIS3_N6thrust23THRUST_200600_302600_NS6detail15normal_iteratorINS9_10device_ptrIyEEEEPS5_m9comp_mod3IyEEE10hipError_tT0_T1_T2_jT3_P12ihipStream_tbPNSt15iterator_traitsISJ_E10value_typeEPNSP_ISK_E10value_typeEPSL_NS1_7vsmem_tEENKUlT_SJ_SK_SL_E_clISE_PySF_SF_EESI_SY_SJ_SK_SL_EUlSY_E_NS1_11comp_targetILNS1_3genE8ELNS1_11target_archE1030ELNS1_3gpuE2ELNS1_3repE0EEENS1_48merge_mergepath_partition_config_static_selectorELNS0_4arch9wavefront6targetE0EEEvSK_.kd
    .uniform_work_group_size: 1
    .uses_dynamic_stack: false
    .vgpr_count:     19
    .vgpr_spill_count: 0
    .wavefront_size: 32
    .workgroup_processor_mode: 1
  - .args:
      - .offset:         0
        .size:           80
        .value_kind:     by_value
    .group_segment_fixed_size: 0
    .kernarg_segment_align: 8
    .kernarg_segment_size: 80
    .language:       OpenCL C
    .language_version:
      - 2
      - 0
    .max_flat_workgroup_size: 128
    .name:           _ZN7rocprim17ROCPRIM_400000_NS6detail17trampoline_kernelINS0_14default_configENS1_38merge_sort_block_merge_config_selectorIyNS0_10empty_typeEEEZZNS1_27merge_sort_block_merge_implIS3_N6thrust23THRUST_200600_302600_NS6detail15normal_iteratorINS9_10device_ptrIyEEEEPS5_m9comp_mod3IyEEE10hipError_tT0_T1_T2_jT3_P12ihipStream_tbPNSt15iterator_traitsISJ_E10value_typeEPNSP_ISK_E10value_typeEPSL_NS1_7vsmem_tEENKUlT_SJ_SK_SL_E_clISE_PySF_SF_EESI_SY_SJ_SK_SL_EUlSY_E0_NS1_11comp_targetILNS1_3genE0ELNS1_11target_archE4294967295ELNS1_3gpuE0ELNS1_3repE0EEENS1_38merge_mergepath_config_static_selectorELNS0_4arch9wavefront6targetE0EEEvSK_
    .private_segment_fixed_size: 0
    .sgpr_count:     0
    .sgpr_spill_count: 0
    .symbol:         _ZN7rocprim17ROCPRIM_400000_NS6detail17trampoline_kernelINS0_14default_configENS1_38merge_sort_block_merge_config_selectorIyNS0_10empty_typeEEEZZNS1_27merge_sort_block_merge_implIS3_N6thrust23THRUST_200600_302600_NS6detail15normal_iteratorINS9_10device_ptrIyEEEEPS5_m9comp_mod3IyEEE10hipError_tT0_T1_T2_jT3_P12ihipStream_tbPNSt15iterator_traitsISJ_E10value_typeEPNSP_ISK_E10value_typeEPSL_NS1_7vsmem_tEENKUlT_SJ_SK_SL_E_clISE_PySF_SF_EESI_SY_SJ_SK_SL_EUlSY_E0_NS1_11comp_targetILNS1_3genE0ELNS1_11target_archE4294967295ELNS1_3gpuE0ELNS1_3repE0EEENS1_38merge_mergepath_config_static_selectorELNS0_4arch9wavefront6targetE0EEEvSK_.kd
    .uniform_work_group_size: 1
    .uses_dynamic_stack: false
    .vgpr_count:     0
    .vgpr_spill_count: 0
    .wavefront_size: 32
    .workgroup_processor_mode: 1
  - .args:
      - .offset:         0
        .size:           80
        .value_kind:     by_value
    .group_segment_fixed_size: 0
    .kernarg_segment_align: 8
    .kernarg_segment_size: 80
    .language:       OpenCL C
    .language_version:
      - 2
      - 0
    .max_flat_workgroup_size: 512
    .name:           _ZN7rocprim17ROCPRIM_400000_NS6detail17trampoline_kernelINS0_14default_configENS1_38merge_sort_block_merge_config_selectorIyNS0_10empty_typeEEEZZNS1_27merge_sort_block_merge_implIS3_N6thrust23THRUST_200600_302600_NS6detail15normal_iteratorINS9_10device_ptrIyEEEEPS5_m9comp_mod3IyEEE10hipError_tT0_T1_T2_jT3_P12ihipStream_tbPNSt15iterator_traitsISJ_E10value_typeEPNSP_ISK_E10value_typeEPSL_NS1_7vsmem_tEENKUlT_SJ_SK_SL_E_clISE_PySF_SF_EESI_SY_SJ_SK_SL_EUlSY_E0_NS1_11comp_targetILNS1_3genE10ELNS1_11target_archE1201ELNS1_3gpuE5ELNS1_3repE0EEENS1_38merge_mergepath_config_static_selectorELNS0_4arch9wavefront6targetE0EEEvSK_
    .private_segment_fixed_size: 0
    .sgpr_count:     0
    .sgpr_spill_count: 0
    .symbol:         _ZN7rocprim17ROCPRIM_400000_NS6detail17trampoline_kernelINS0_14default_configENS1_38merge_sort_block_merge_config_selectorIyNS0_10empty_typeEEEZZNS1_27merge_sort_block_merge_implIS3_N6thrust23THRUST_200600_302600_NS6detail15normal_iteratorINS9_10device_ptrIyEEEEPS5_m9comp_mod3IyEEE10hipError_tT0_T1_T2_jT3_P12ihipStream_tbPNSt15iterator_traitsISJ_E10value_typeEPNSP_ISK_E10value_typeEPSL_NS1_7vsmem_tEENKUlT_SJ_SK_SL_E_clISE_PySF_SF_EESI_SY_SJ_SK_SL_EUlSY_E0_NS1_11comp_targetILNS1_3genE10ELNS1_11target_archE1201ELNS1_3gpuE5ELNS1_3repE0EEENS1_38merge_mergepath_config_static_selectorELNS0_4arch9wavefront6targetE0EEEvSK_.kd
    .uniform_work_group_size: 1
    .uses_dynamic_stack: false
    .vgpr_count:     0
    .vgpr_spill_count: 0
    .wavefront_size: 32
    .workgroup_processor_mode: 1
  - .args:
      - .offset:         0
        .size:           80
        .value_kind:     by_value
    .group_segment_fixed_size: 0
    .kernarg_segment_align: 8
    .kernarg_segment_size: 80
    .language:       OpenCL C
    .language_version:
      - 2
      - 0
    .max_flat_workgroup_size: 128
    .name:           _ZN7rocprim17ROCPRIM_400000_NS6detail17trampoline_kernelINS0_14default_configENS1_38merge_sort_block_merge_config_selectorIyNS0_10empty_typeEEEZZNS1_27merge_sort_block_merge_implIS3_N6thrust23THRUST_200600_302600_NS6detail15normal_iteratorINS9_10device_ptrIyEEEEPS5_m9comp_mod3IyEEE10hipError_tT0_T1_T2_jT3_P12ihipStream_tbPNSt15iterator_traitsISJ_E10value_typeEPNSP_ISK_E10value_typeEPSL_NS1_7vsmem_tEENKUlT_SJ_SK_SL_E_clISE_PySF_SF_EESI_SY_SJ_SK_SL_EUlSY_E0_NS1_11comp_targetILNS1_3genE5ELNS1_11target_archE942ELNS1_3gpuE9ELNS1_3repE0EEENS1_38merge_mergepath_config_static_selectorELNS0_4arch9wavefront6targetE0EEEvSK_
    .private_segment_fixed_size: 0
    .sgpr_count:     0
    .sgpr_spill_count: 0
    .symbol:         _ZN7rocprim17ROCPRIM_400000_NS6detail17trampoline_kernelINS0_14default_configENS1_38merge_sort_block_merge_config_selectorIyNS0_10empty_typeEEEZZNS1_27merge_sort_block_merge_implIS3_N6thrust23THRUST_200600_302600_NS6detail15normal_iteratorINS9_10device_ptrIyEEEEPS5_m9comp_mod3IyEEE10hipError_tT0_T1_T2_jT3_P12ihipStream_tbPNSt15iterator_traitsISJ_E10value_typeEPNSP_ISK_E10value_typeEPSL_NS1_7vsmem_tEENKUlT_SJ_SK_SL_E_clISE_PySF_SF_EESI_SY_SJ_SK_SL_EUlSY_E0_NS1_11comp_targetILNS1_3genE5ELNS1_11target_archE942ELNS1_3gpuE9ELNS1_3repE0EEENS1_38merge_mergepath_config_static_selectorELNS0_4arch9wavefront6targetE0EEEvSK_.kd
    .uniform_work_group_size: 1
    .uses_dynamic_stack: false
    .vgpr_count:     0
    .vgpr_spill_count: 0
    .wavefront_size: 32
    .workgroup_processor_mode: 1
  - .args:
      - .offset:         0
        .size:           80
        .value_kind:     by_value
    .group_segment_fixed_size: 0
    .kernarg_segment_align: 8
    .kernarg_segment_size: 80
    .language:       OpenCL C
    .language_version:
      - 2
      - 0
    .max_flat_workgroup_size: 256
    .name:           _ZN7rocprim17ROCPRIM_400000_NS6detail17trampoline_kernelINS0_14default_configENS1_38merge_sort_block_merge_config_selectorIyNS0_10empty_typeEEEZZNS1_27merge_sort_block_merge_implIS3_N6thrust23THRUST_200600_302600_NS6detail15normal_iteratorINS9_10device_ptrIyEEEEPS5_m9comp_mod3IyEEE10hipError_tT0_T1_T2_jT3_P12ihipStream_tbPNSt15iterator_traitsISJ_E10value_typeEPNSP_ISK_E10value_typeEPSL_NS1_7vsmem_tEENKUlT_SJ_SK_SL_E_clISE_PySF_SF_EESI_SY_SJ_SK_SL_EUlSY_E0_NS1_11comp_targetILNS1_3genE4ELNS1_11target_archE910ELNS1_3gpuE8ELNS1_3repE0EEENS1_38merge_mergepath_config_static_selectorELNS0_4arch9wavefront6targetE0EEEvSK_
    .private_segment_fixed_size: 0
    .sgpr_count:     0
    .sgpr_spill_count: 0
    .symbol:         _ZN7rocprim17ROCPRIM_400000_NS6detail17trampoline_kernelINS0_14default_configENS1_38merge_sort_block_merge_config_selectorIyNS0_10empty_typeEEEZZNS1_27merge_sort_block_merge_implIS3_N6thrust23THRUST_200600_302600_NS6detail15normal_iteratorINS9_10device_ptrIyEEEEPS5_m9comp_mod3IyEEE10hipError_tT0_T1_T2_jT3_P12ihipStream_tbPNSt15iterator_traitsISJ_E10value_typeEPNSP_ISK_E10value_typeEPSL_NS1_7vsmem_tEENKUlT_SJ_SK_SL_E_clISE_PySF_SF_EESI_SY_SJ_SK_SL_EUlSY_E0_NS1_11comp_targetILNS1_3genE4ELNS1_11target_archE910ELNS1_3gpuE8ELNS1_3repE0EEENS1_38merge_mergepath_config_static_selectorELNS0_4arch9wavefront6targetE0EEEvSK_.kd
    .uniform_work_group_size: 1
    .uses_dynamic_stack: false
    .vgpr_count:     0
    .vgpr_spill_count: 0
    .wavefront_size: 32
    .workgroup_processor_mode: 1
  - .args:
      - .offset:         0
        .size:           80
        .value_kind:     by_value
    .group_segment_fixed_size: 0
    .kernarg_segment_align: 8
    .kernarg_segment_size: 80
    .language:       OpenCL C
    .language_version:
      - 2
      - 0
    .max_flat_workgroup_size: 128
    .name:           _ZN7rocprim17ROCPRIM_400000_NS6detail17trampoline_kernelINS0_14default_configENS1_38merge_sort_block_merge_config_selectorIyNS0_10empty_typeEEEZZNS1_27merge_sort_block_merge_implIS3_N6thrust23THRUST_200600_302600_NS6detail15normal_iteratorINS9_10device_ptrIyEEEEPS5_m9comp_mod3IyEEE10hipError_tT0_T1_T2_jT3_P12ihipStream_tbPNSt15iterator_traitsISJ_E10value_typeEPNSP_ISK_E10value_typeEPSL_NS1_7vsmem_tEENKUlT_SJ_SK_SL_E_clISE_PySF_SF_EESI_SY_SJ_SK_SL_EUlSY_E0_NS1_11comp_targetILNS1_3genE3ELNS1_11target_archE908ELNS1_3gpuE7ELNS1_3repE0EEENS1_38merge_mergepath_config_static_selectorELNS0_4arch9wavefront6targetE0EEEvSK_
    .private_segment_fixed_size: 0
    .sgpr_count:     0
    .sgpr_spill_count: 0
    .symbol:         _ZN7rocprim17ROCPRIM_400000_NS6detail17trampoline_kernelINS0_14default_configENS1_38merge_sort_block_merge_config_selectorIyNS0_10empty_typeEEEZZNS1_27merge_sort_block_merge_implIS3_N6thrust23THRUST_200600_302600_NS6detail15normal_iteratorINS9_10device_ptrIyEEEEPS5_m9comp_mod3IyEEE10hipError_tT0_T1_T2_jT3_P12ihipStream_tbPNSt15iterator_traitsISJ_E10value_typeEPNSP_ISK_E10value_typeEPSL_NS1_7vsmem_tEENKUlT_SJ_SK_SL_E_clISE_PySF_SF_EESI_SY_SJ_SK_SL_EUlSY_E0_NS1_11comp_targetILNS1_3genE3ELNS1_11target_archE908ELNS1_3gpuE7ELNS1_3repE0EEENS1_38merge_mergepath_config_static_selectorELNS0_4arch9wavefront6targetE0EEEvSK_.kd
    .uniform_work_group_size: 1
    .uses_dynamic_stack: false
    .vgpr_count:     0
    .vgpr_spill_count: 0
    .wavefront_size: 32
    .workgroup_processor_mode: 1
  - .args:
      - .offset:         0
        .size:           80
        .value_kind:     by_value
    .group_segment_fixed_size: 0
    .kernarg_segment_align: 8
    .kernarg_segment_size: 80
    .language:       OpenCL C
    .language_version:
      - 2
      - 0
    .max_flat_workgroup_size: 256
    .name:           _ZN7rocprim17ROCPRIM_400000_NS6detail17trampoline_kernelINS0_14default_configENS1_38merge_sort_block_merge_config_selectorIyNS0_10empty_typeEEEZZNS1_27merge_sort_block_merge_implIS3_N6thrust23THRUST_200600_302600_NS6detail15normal_iteratorINS9_10device_ptrIyEEEEPS5_m9comp_mod3IyEEE10hipError_tT0_T1_T2_jT3_P12ihipStream_tbPNSt15iterator_traitsISJ_E10value_typeEPNSP_ISK_E10value_typeEPSL_NS1_7vsmem_tEENKUlT_SJ_SK_SL_E_clISE_PySF_SF_EESI_SY_SJ_SK_SL_EUlSY_E0_NS1_11comp_targetILNS1_3genE2ELNS1_11target_archE906ELNS1_3gpuE6ELNS1_3repE0EEENS1_38merge_mergepath_config_static_selectorELNS0_4arch9wavefront6targetE0EEEvSK_
    .private_segment_fixed_size: 0
    .sgpr_count:     0
    .sgpr_spill_count: 0
    .symbol:         _ZN7rocprim17ROCPRIM_400000_NS6detail17trampoline_kernelINS0_14default_configENS1_38merge_sort_block_merge_config_selectorIyNS0_10empty_typeEEEZZNS1_27merge_sort_block_merge_implIS3_N6thrust23THRUST_200600_302600_NS6detail15normal_iteratorINS9_10device_ptrIyEEEEPS5_m9comp_mod3IyEEE10hipError_tT0_T1_T2_jT3_P12ihipStream_tbPNSt15iterator_traitsISJ_E10value_typeEPNSP_ISK_E10value_typeEPSL_NS1_7vsmem_tEENKUlT_SJ_SK_SL_E_clISE_PySF_SF_EESI_SY_SJ_SK_SL_EUlSY_E0_NS1_11comp_targetILNS1_3genE2ELNS1_11target_archE906ELNS1_3gpuE6ELNS1_3repE0EEENS1_38merge_mergepath_config_static_selectorELNS0_4arch9wavefront6targetE0EEEvSK_.kd
    .uniform_work_group_size: 1
    .uses_dynamic_stack: false
    .vgpr_count:     0
    .vgpr_spill_count: 0
    .wavefront_size: 32
    .workgroup_processor_mode: 1
  - .args:
      - .offset:         0
        .size:           80
        .value_kind:     by_value
    .group_segment_fixed_size: 0
    .kernarg_segment_align: 8
    .kernarg_segment_size: 80
    .language:       OpenCL C
    .language_version:
      - 2
      - 0
    .max_flat_workgroup_size: 512
    .name:           _ZN7rocprim17ROCPRIM_400000_NS6detail17trampoline_kernelINS0_14default_configENS1_38merge_sort_block_merge_config_selectorIyNS0_10empty_typeEEEZZNS1_27merge_sort_block_merge_implIS3_N6thrust23THRUST_200600_302600_NS6detail15normal_iteratorINS9_10device_ptrIyEEEEPS5_m9comp_mod3IyEEE10hipError_tT0_T1_T2_jT3_P12ihipStream_tbPNSt15iterator_traitsISJ_E10value_typeEPNSP_ISK_E10value_typeEPSL_NS1_7vsmem_tEENKUlT_SJ_SK_SL_E_clISE_PySF_SF_EESI_SY_SJ_SK_SL_EUlSY_E0_NS1_11comp_targetILNS1_3genE9ELNS1_11target_archE1100ELNS1_3gpuE3ELNS1_3repE0EEENS1_38merge_mergepath_config_static_selectorELNS0_4arch9wavefront6targetE0EEEvSK_
    .private_segment_fixed_size: 0
    .sgpr_count:     0
    .sgpr_spill_count: 0
    .symbol:         _ZN7rocprim17ROCPRIM_400000_NS6detail17trampoline_kernelINS0_14default_configENS1_38merge_sort_block_merge_config_selectorIyNS0_10empty_typeEEEZZNS1_27merge_sort_block_merge_implIS3_N6thrust23THRUST_200600_302600_NS6detail15normal_iteratorINS9_10device_ptrIyEEEEPS5_m9comp_mod3IyEEE10hipError_tT0_T1_T2_jT3_P12ihipStream_tbPNSt15iterator_traitsISJ_E10value_typeEPNSP_ISK_E10value_typeEPSL_NS1_7vsmem_tEENKUlT_SJ_SK_SL_E_clISE_PySF_SF_EESI_SY_SJ_SK_SL_EUlSY_E0_NS1_11comp_targetILNS1_3genE9ELNS1_11target_archE1100ELNS1_3gpuE3ELNS1_3repE0EEENS1_38merge_mergepath_config_static_selectorELNS0_4arch9wavefront6targetE0EEEvSK_.kd
    .uniform_work_group_size: 1
    .uses_dynamic_stack: false
    .vgpr_count:     0
    .vgpr_spill_count: 0
    .wavefront_size: 32
    .workgroup_processor_mode: 1
  - .args:
      - .offset:         0
        .size:           80
        .value_kind:     by_value
      - .offset:         80
        .size:           4
        .value_kind:     hidden_block_count_x
      - .offset:         84
        .size:           4
        .value_kind:     hidden_block_count_y
      - .offset:         88
        .size:           4
        .value_kind:     hidden_block_count_z
      - .offset:         92
        .size:           2
        .value_kind:     hidden_group_size_x
      - .offset:         94
        .size:           2
        .value_kind:     hidden_group_size_y
      - .offset:         96
        .size:           2
        .value_kind:     hidden_group_size_z
      - .offset:         98
        .size:           2
        .value_kind:     hidden_remainder_x
      - .offset:         100
        .size:           2
        .value_kind:     hidden_remainder_y
      - .offset:         102
        .size:           2
        .value_kind:     hidden_remainder_z
      - .offset:         120
        .size:           8
        .value_kind:     hidden_global_offset_x
      - .offset:         128
        .size:           8
        .value_kind:     hidden_global_offset_y
      - .offset:         136
        .size:           8
        .value_kind:     hidden_global_offset_z
      - .offset:         144
        .size:           2
        .value_kind:     hidden_grid_dims
    .group_segment_fixed_size: 8208
    .kernarg_segment_align: 8
    .kernarg_segment_size: 336
    .language:       OpenCL C
    .language_version:
      - 2
      - 0
    .max_flat_workgroup_size: 1024
    .name:           _ZN7rocprim17ROCPRIM_400000_NS6detail17trampoline_kernelINS0_14default_configENS1_38merge_sort_block_merge_config_selectorIyNS0_10empty_typeEEEZZNS1_27merge_sort_block_merge_implIS3_N6thrust23THRUST_200600_302600_NS6detail15normal_iteratorINS9_10device_ptrIyEEEEPS5_m9comp_mod3IyEEE10hipError_tT0_T1_T2_jT3_P12ihipStream_tbPNSt15iterator_traitsISJ_E10value_typeEPNSP_ISK_E10value_typeEPSL_NS1_7vsmem_tEENKUlT_SJ_SK_SL_E_clISE_PySF_SF_EESI_SY_SJ_SK_SL_EUlSY_E0_NS1_11comp_targetILNS1_3genE8ELNS1_11target_archE1030ELNS1_3gpuE2ELNS1_3repE0EEENS1_38merge_mergepath_config_static_selectorELNS0_4arch9wavefront6targetE0EEEvSK_
    .private_segment_fixed_size: 0
    .sgpr_count:     30
    .sgpr_spill_count: 0
    .symbol:         _ZN7rocprim17ROCPRIM_400000_NS6detail17trampoline_kernelINS0_14default_configENS1_38merge_sort_block_merge_config_selectorIyNS0_10empty_typeEEEZZNS1_27merge_sort_block_merge_implIS3_N6thrust23THRUST_200600_302600_NS6detail15normal_iteratorINS9_10device_ptrIyEEEEPS5_m9comp_mod3IyEEE10hipError_tT0_T1_T2_jT3_P12ihipStream_tbPNSt15iterator_traitsISJ_E10value_typeEPNSP_ISK_E10value_typeEPSL_NS1_7vsmem_tEENKUlT_SJ_SK_SL_E_clISE_PySF_SF_EESI_SY_SJ_SK_SL_EUlSY_E0_NS1_11comp_targetILNS1_3genE8ELNS1_11target_archE1030ELNS1_3gpuE2ELNS1_3repE0EEENS1_38merge_mergepath_config_static_selectorELNS0_4arch9wavefront6targetE0EEEvSK_.kd
    .uniform_work_group_size: 1
    .uses_dynamic_stack: false
    .vgpr_count:     16
    .vgpr_spill_count: 0
    .wavefront_size: 32
    .workgroup_processor_mode: 1
  - .args:
      - .offset:         0
        .size:           56
        .value_kind:     by_value
    .group_segment_fixed_size: 0
    .kernarg_segment_align: 8
    .kernarg_segment_size: 56
    .language:       OpenCL C
    .language_version:
      - 2
      - 0
    .max_flat_workgroup_size: 256
    .name:           _ZN7rocprim17ROCPRIM_400000_NS6detail17trampoline_kernelINS0_14default_configENS1_38merge_sort_block_merge_config_selectorIyNS0_10empty_typeEEEZZNS1_27merge_sort_block_merge_implIS3_N6thrust23THRUST_200600_302600_NS6detail15normal_iteratorINS9_10device_ptrIyEEEEPS5_m9comp_mod3IyEEE10hipError_tT0_T1_T2_jT3_P12ihipStream_tbPNSt15iterator_traitsISJ_E10value_typeEPNSP_ISK_E10value_typeEPSL_NS1_7vsmem_tEENKUlT_SJ_SK_SL_E_clISE_PySF_SF_EESI_SY_SJ_SK_SL_EUlSY_E1_NS1_11comp_targetILNS1_3genE0ELNS1_11target_archE4294967295ELNS1_3gpuE0ELNS1_3repE0EEENS1_36merge_oddeven_config_static_selectorELNS0_4arch9wavefront6targetE0EEEvSK_
    .private_segment_fixed_size: 0
    .sgpr_count:     0
    .sgpr_spill_count: 0
    .symbol:         _ZN7rocprim17ROCPRIM_400000_NS6detail17trampoline_kernelINS0_14default_configENS1_38merge_sort_block_merge_config_selectorIyNS0_10empty_typeEEEZZNS1_27merge_sort_block_merge_implIS3_N6thrust23THRUST_200600_302600_NS6detail15normal_iteratorINS9_10device_ptrIyEEEEPS5_m9comp_mod3IyEEE10hipError_tT0_T1_T2_jT3_P12ihipStream_tbPNSt15iterator_traitsISJ_E10value_typeEPNSP_ISK_E10value_typeEPSL_NS1_7vsmem_tEENKUlT_SJ_SK_SL_E_clISE_PySF_SF_EESI_SY_SJ_SK_SL_EUlSY_E1_NS1_11comp_targetILNS1_3genE0ELNS1_11target_archE4294967295ELNS1_3gpuE0ELNS1_3repE0EEENS1_36merge_oddeven_config_static_selectorELNS0_4arch9wavefront6targetE0EEEvSK_.kd
    .uniform_work_group_size: 1
    .uses_dynamic_stack: false
    .vgpr_count:     0
    .vgpr_spill_count: 0
    .wavefront_size: 32
    .workgroup_processor_mode: 1
  - .args:
      - .offset:         0
        .size:           56
        .value_kind:     by_value
    .group_segment_fixed_size: 0
    .kernarg_segment_align: 8
    .kernarg_segment_size: 56
    .language:       OpenCL C
    .language_version:
      - 2
      - 0
    .max_flat_workgroup_size: 256
    .name:           _ZN7rocprim17ROCPRIM_400000_NS6detail17trampoline_kernelINS0_14default_configENS1_38merge_sort_block_merge_config_selectorIyNS0_10empty_typeEEEZZNS1_27merge_sort_block_merge_implIS3_N6thrust23THRUST_200600_302600_NS6detail15normal_iteratorINS9_10device_ptrIyEEEEPS5_m9comp_mod3IyEEE10hipError_tT0_T1_T2_jT3_P12ihipStream_tbPNSt15iterator_traitsISJ_E10value_typeEPNSP_ISK_E10value_typeEPSL_NS1_7vsmem_tEENKUlT_SJ_SK_SL_E_clISE_PySF_SF_EESI_SY_SJ_SK_SL_EUlSY_E1_NS1_11comp_targetILNS1_3genE10ELNS1_11target_archE1201ELNS1_3gpuE5ELNS1_3repE0EEENS1_36merge_oddeven_config_static_selectorELNS0_4arch9wavefront6targetE0EEEvSK_
    .private_segment_fixed_size: 0
    .sgpr_count:     0
    .sgpr_spill_count: 0
    .symbol:         _ZN7rocprim17ROCPRIM_400000_NS6detail17trampoline_kernelINS0_14default_configENS1_38merge_sort_block_merge_config_selectorIyNS0_10empty_typeEEEZZNS1_27merge_sort_block_merge_implIS3_N6thrust23THRUST_200600_302600_NS6detail15normal_iteratorINS9_10device_ptrIyEEEEPS5_m9comp_mod3IyEEE10hipError_tT0_T1_T2_jT3_P12ihipStream_tbPNSt15iterator_traitsISJ_E10value_typeEPNSP_ISK_E10value_typeEPSL_NS1_7vsmem_tEENKUlT_SJ_SK_SL_E_clISE_PySF_SF_EESI_SY_SJ_SK_SL_EUlSY_E1_NS1_11comp_targetILNS1_3genE10ELNS1_11target_archE1201ELNS1_3gpuE5ELNS1_3repE0EEENS1_36merge_oddeven_config_static_selectorELNS0_4arch9wavefront6targetE0EEEvSK_.kd
    .uniform_work_group_size: 1
    .uses_dynamic_stack: false
    .vgpr_count:     0
    .vgpr_spill_count: 0
    .wavefront_size: 32
    .workgroup_processor_mode: 1
  - .args:
      - .offset:         0
        .size:           56
        .value_kind:     by_value
    .group_segment_fixed_size: 0
    .kernarg_segment_align: 8
    .kernarg_segment_size: 56
    .language:       OpenCL C
    .language_version:
      - 2
      - 0
    .max_flat_workgroup_size: 256
    .name:           _ZN7rocprim17ROCPRIM_400000_NS6detail17trampoline_kernelINS0_14default_configENS1_38merge_sort_block_merge_config_selectorIyNS0_10empty_typeEEEZZNS1_27merge_sort_block_merge_implIS3_N6thrust23THRUST_200600_302600_NS6detail15normal_iteratorINS9_10device_ptrIyEEEEPS5_m9comp_mod3IyEEE10hipError_tT0_T1_T2_jT3_P12ihipStream_tbPNSt15iterator_traitsISJ_E10value_typeEPNSP_ISK_E10value_typeEPSL_NS1_7vsmem_tEENKUlT_SJ_SK_SL_E_clISE_PySF_SF_EESI_SY_SJ_SK_SL_EUlSY_E1_NS1_11comp_targetILNS1_3genE5ELNS1_11target_archE942ELNS1_3gpuE9ELNS1_3repE0EEENS1_36merge_oddeven_config_static_selectorELNS0_4arch9wavefront6targetE0EEEvSK_
    .private_segment_fixed_size: 0
    .sgpr_count:     0
    .sgpr_spill_count: 0
    .symbol:         _ZN7rocprim17ROCPRIM_400000_NS6detail17trampoline_kernelINS0_14default_configENS1_38merge_sort_block_merge_config_selectorIyNS0_10empty_typeEEEZZNS1_27merge_sort_block_merge_implIS3_N6thrust23THRUST_200600_302600_NS6detail15normal_iteratorINS9_10device_ptrIyEEEEPS5_m9comp_mod3IyEEE10hipError_tT0_T1_T2_jT3_P12ihipStream_tbPNSt15iterator_traitsISJ_E10value_typeEPNSP_ISK_E10value_typeEPSL_NS1_7vsmem_tEENKUlT_SJ_SK_SL_E_clISE_PySF_SF_EESI_SY_SJ_SK_SL_EUlSY_E1_NS1_11comp_targetILNS1_3genE5ELNS1_11target_archE942ELNS1_3gpuE9ELNS1_3repE0EEENS1_36merge_oddeven_config_static_selectorELNS0_4arch9wavefront6targetE0EEEvSK_.kd
    .uniform_work_group_size: 1
    .uses_dynamic_stack: false
    .vgpr_count:     0
    .vgpr_spill_count: 0
    .wavefront_size: 32
    .workgroup_processor_mode: 1
  - .args:
      - .offset:         0
        .size:           56
        .value_kind:     by_value
    .group_segment_fixed_size: 0
    .kernarg_segment_align: 8
    .kernarg_segment_size: 56
    .language:       OpenCL C
    .language_version:
      - 2
      - 0
    .max_flat_workgroup_size: 256
    .name:           _ZN7rocprim17ROCPRIM_400000_NS6detail17trampoline_kernelINS0_14default_configENS1_38merge_sort_block_merge_config_selectorIyNS0_10empty_typeEEEZZNS1_27merge_sort_block_merge_implIS3_N6thrust23THRUST_200600_302600_NS6detail15normal_iteratorINS9_10device_ptrIyEEEEPS5_m9comp_mod3IyEEE10hipError_tT0_T1_T2_jT3_P12ihipStream_tbPNSt15iterator_traitsISJ_E10value_typeEPNSP_ISK_E10value_typeEPSL_NS1_7vsmem_tEENKUlT_SJ_SK_SL_E_clISE_PySF_SF_EESI_SY_SJ_SK_SL_EUlSY_E1_NS1_11comp_targetILNS1_3genE4ELNS1_11target_archE910ELNS1_3gpuE8ELNS1_3repE0EEENS1_36merge_oddeven_config_static_selectorELNS0_4arch9wavefront6targetE0EEEvSK_
    .private_segment_fixed_size: 0
    .sgpr_count:     0
    .sgpr_spill_count: 0
    .symbol:         _ZN7rocprim17ROCPRIM_400000_NS6detail17trampoline_kernelINS0_14default_configENS1_38merge_sort_block_merge_config_selectorIyNS0_10empty_typeEEEZZNS1_27merge_sort_block_merge_implIS3_N6thrust23THRUST_200600_302600_NS6detail15normal_iteratorINS9_10device_ptrIyEEEEPS5_m9comp_mod3IyEEE10hipError_tT0_T1_T2_jT3_P12ihipStream_tbPNSt15iterator_traitsISJ_E10value_typeEPNSP_ISK_E10value_typeEPSL_NS1_7vsmem_tEENKUlT_SJ_SK_SL_E_clISE_PySF_SF_EESI_SY_SJ_SK_SL_EUlSY_E1_NS1_11comp_targetILNS1_3genE4ELNS1_11target_archE910ELNS1_3gpuE8ELNS1_3repE0EEENS1_36merge_oddeven_config_static_selectorELNS0_4arch9wavefront6targetE0EEEvSK_.kd
    .uniform_work_group_size: 1
    .uses_dynamic_stack: false
    .vgpr_count:     0
    .vgpr_spill_count: 0
    .wavefront_size: 32
    .workgroup_processor_mode: 1
  - .args:
      - .offset:         0
        .size:           56
        .value_kind:     by_value
    .group_segment_fixed_size: 0
    .kernarg_segment_align: 8
    .kernarg_segment_size: 56
    .language:       OpenCL C
    .language_version:
      - 2
      - 0
    .max_flat_workgroup_size: 256
    .name:           _ZN7rocprim17ROCPRIM_400000_NS6detail17trampoline_kernelINS0_14default_configENS1_38merge_sort_block_merge_config_selectorIyNS0_10empty_typeEEEZZNS1_27merge_sort_block_merge_implIS3_N6thrust23THRUST_200600_302600_NS6detail15normal_iteratorINS9_10device_ptrIyEEEEPS5_m9comp_mod3IyEEE10hipError_tT0_T1_T2_jT3_P12ihipStream_tbPNSt15iterator_traitsISJ_E10value_typeEPNSP_ISK_E10value_typeEPSL_NS1_7vsmem_tEENKUlT_SJ_SK_SL_E_clISE_PySF_SF_EESI_SY_SJ_SK_SL_EUlSY_E1_NS1_11comp_targetILNS1_3genE3ELNS1_11target_archE908ELNS1_3gpuE7ELNS1_3repE0EEENS1_36merge_oddeven_config_static_selectorELNS0_4arch9wavefront6targetE0EEEvSK_
    .private_segment_fixed_size: 0
    .sgpr_count:     0
    .sgpr_spill_count: 0
    .symbol:         _ZN7rocprim17ROCPRIM_400000_NS6detail17trampoline_kernelINS0_14default_configENS1_38merge_sort_block_merge_config_selectorIyNS0_10empty_typeEEEZZNS1_27merge_sort_block_merge_implIS3_N6thrust23THRUST_200600_302600_NS6detail15normal_iteratorINS9_10device_ptrIyEEEEPS5_m9comp_mod3IyEEE10hipError_tT0_T1_T2_jT3_P12ihipStream_tbPNSt15iterator_traitsISJ_E10value_typeEPNSP_ISK_E10value_typeEPSL_NS1_7vsmem_tEENKUlT_SJ_SK_SL_E_clISE_PySF_SF_EESI_SY_SJ_SK_SL_EUlSY_E1_NS1_11comp_targetILNS1_3genE3ELNS1_11target_archE908ELNS1_3gpuE7ELNS1_3repE0EEENS1_36merge_oddeven_config_static_selectorELNS0_4arch9wavefront6targetE0EEEvSK_.kd
    .uniform_work_group_size: 1
    .uses_dynamic_stack: false
    .vgpr_count:     0
    .vgpr_spill_count: 0
    .wavefront_size: 32
    .workgroup_processor_mode: 1
  - .args:
      - .offset:         0
        .size:           56
        .value_kind:     by_value
    .group_segment_fixed_size: 0
    .kernarg_segment_align: 8
    .kernarg_segment_size: 56
    .language:       OpenCL C
    .language_version:
      - 2
      - 0
    .max_flat_workgroup_size: 256
    .name:           _ZN7rocprim17ROCPRIM_400000_NS6detail17trampoline_kernelINS0_14default_configENS1_38merge_sort_block_merge_config_selectorIyNS0_10empty_typeEEEZZNS1_27merge_sort_block_merge_implIS3_N6thrust23THRUST_200600_302600_NS6detail15normal_iteratorINS9_10device_ptrIyEEEEPS5_m9comp_mod3IyEEE10hipError_tT0_T1_T2_jT3_P12ihipStream_tbPNSt15iterator_traitsISJ_E10value_typeEPNSP_ISK_E10value_typeEPSL_NS1_7vsmem_tEENKUlT_SJ_SK_SL_E_clISE_PySF_SF_EESI_SY_SJ_SK_SL_EUlSY_E1_NS1_11comp_targetILNS1_3genE2ELNS1_11target_archE906ELNS1_3gpuE6ELNS1_3repE0EEENS1_36merge_oddeven_config_static_selectorELNS0_4arch9wavefront6targetE0EEEvSK_
    .private_segment_fixed_size: 0
    .sgpr_count:     0
    .sgpr_spill_count: 0
    .symbol:         _ZN7rocprim17ROCPRIM_400000_NS6detail17trampoline_kernelINS0_14default_configENS1_38merge_sort_block_merge_config_selectorIyNS0_10empty_typeEEEZZNS1_27merge_sort_block_merge_implIS3_N6thrust23THRUST_200600_302600_NS6detail15normal_iteratorINS9_10device_ptrIyEEEEPS5_m9comp_mod3IyEEE10hipError_tT0_T1_T2_jT3_P12ihipStream_tbPNSt15iterator_traitsISJ_E10value_typeEPNSP_ISK_E10value_typeEPSL_NS1_7vsmem_tEENKUlT_SJ_SK_SL_E_clISE_PySF_SF_EESI_SY_SJ_SK_SL_EUlSY_E1_NS1_11comp_targetILNS1_3genE2ELNS1_11target_archE906ELNS1_3gpuE6ELNS1_3repE0EEENS1_36merge_oddeven_config_static_selectorELNS0_4arch9wavefront6targetE0EEEvSK_.kd
    .uniform_work_group_size: 1
    .uses_dynamic_stack: false
    .vgpr_count:     0
    .vgpr_spill_count: 0
    .wavefront_size: 32
    .workgroup_processor_mode: 1
  - .args:
      - .offset:         0
        .size:           56
        .value_kind:     by_value
    .group_segment_fixed_size: 0
    .kernarg_segment_align: 8
    .kernarg_segment_size: 56
    .language:       OpenCL C
    .language_version:
      - 2
      - 0
    .max_flat_workgroup_size: 256
    .name:           _ZN7rocprim17ROCPRIM_400000_NS6detail17trampoline_kernelINS0_14default_configENS1_38merge_sort_block_merge_config_selectorIyNS0_10empty_typeEEEZZNS1_27merge_sort_block_merge_implIS3_N6thrust23THRUST_200600_302600_NS6detail15normal_iteratorINS9_10device_ptrIyEEEEPS5_m9comp_mod3IyEEE10hipError_tT0_T1_T2_jT3_P12ihipStream_tbPNSt15iterator_traitsISJ_E10value_typeEPNSP_ISK_E10value_typeEPSL_NS1_7vsmem_tEENKUlT_SJ_SK_SL_E_clISE_PySF_SF_EESI_SY_SJ_SK_SL_EUlSY_E1_NS1_11comp_targetILNS1_3genE9ELNS1_11target_archE1100ELNS1_3gpuE3ELNS1_3repE0EEENS1_36merge_oddeven_config_static_selectorELNS0_4arch9wavefront6targetE0EEEvSK_
    .private_segment_fixed_size: 0
    .sgpr_count:     0
    .sgpr_spill_count: 0
    .symbol:         _ZN7rocprim17ROCPRIM_400000_NS6detail17trampoline_kernelINS0_14default_configENS1_38merge_sort_block_merge_config_selectorIyNS0_10empty_typeEEEZZNS1_27merge_sort_block_merge_implIS3_N6thrust23THRUST_200600_302600_NS6detail15normal_iteratorINS9_10device_ptrIyEEEEPS5_m9comp_mod3IyEEE10hipError_tT0_T1_T2_jT3_P12ihipStream_tbPNSt15iterator_traitsISJ_E10value_typeEPNSP_ISK_E10value_typeEPSL_NS1_7vsmem_tEENKUlT_SJ_SK_SL_E_clISE_PySF_SF_EESI_SY_SJ_SK_SL_EUlSY_E1_NS1_11comp_targetILNS1_3genE9ELNS1_11target_archE1100ELNS1_3gpuE3ELNS1_3repE0EEENS1_36merge_oddeven_config_static_selectorELNS0_4arch9wavefront6targetE0EEEvSK_.kd
    .uniform_work_group_size: 1
    .uses_dynamic_stack: false
    .vgpr_count:     0
    .vgpr_spill_count: 0
    .wavefront_size: 32
    .workgroup_processor_mode: 1
  - .args:
      - .offset:         0
        .size:           56
        .value_kind:     by_value
    .group_segment_fixed_size: 0
    .kernarg_segment_align: 8
    .kernarg_segment_size: 56
    .language:       OpenCL C
    .language_version:
      - 2
      - 0
    .max_flat_workgroup_size: 256
    .name:           _ZN7rocprim17ROCPRIM_400000_NS6detail17trampoline_kernelINS0_14default_configENS1_38merge_sort_block_merge_config_selectorIyNS0_10empty_typeEEEZZNS1_27merge_sort_block_merge_implIS3_N6thrust23THRUST_200600_302600_NS6detail15normal_iteratorINS9_10device_ptrIyEEEEPS5_m9comp_mod3IyEEE10hipError_tT0_T1_T2_jT3_P12ihipStream_tbPNSt15iterator_traitsISJ_E10value_typeEPNSP_ISK_E10value_typeEPSL_NS1_7vsmem_tEENKUlT_SJ_SK_SL_E_clISE_PySF_SF_EESI_SY_SJ_SK_SL_EUlSY_E1_NS1_11comp_targetILNS1_3genE8ELNS1_11target_archE1030ELNS1_3gpuE2ELNS1_3repE0EEENS1_36merge_oddeven_config_static_selectorELNS0_4arch9wavefront6targetE0EEEvSK_
    .private_segment_fixed_size: 0
    .sgpr_count:     20
    .sgpr_spill_count: 0
    .symbol:         _ZN7rocprim17ROCPRIM_400000_NS6detail17trampoline_kernelINS0_14default_configENS1_38merge_sort_block_merge_config_selectorIyNS0_10empty_typeEEEZZNS1_27merge_sort_block_merge_implIS3_N6thrust23THRUST_200600_302600_NS6detail15normal_iteratorINS9_10device_ptrIyEEEEPS5_m9comp_mod3IyEEE10hipError_tT0_T1_T2_jT3_P12ihipStream_tbPNSt15iterator_traitsISJ_E10value_typeEPNSP_ISK_E10value_typeEPSL_NS1_7vsmem_tEENKUlT_SJ_SK_SL_E_clISE_PySF_SF_EESI_SY_SJ_SK_SL_EUlSY_E1_NS1_11comp_targetILNS1_3genE8ELNS1_11target_archE1030ELNS1_3gpuE2ELNS1_3repE0EEENS1_36merge_oddeven_config_static_selectorELNS0_4arch9wavefront6targetE0EEEvSK_.kd
    .uniform_work_group_size: 1
    .uses_dynamic_stack: false
    .vgpr_count:     15
    .vgpr_spill_count: 0
    .wavefront_size: 32
    .workgroup_processor_mode: 1
  - .args:
      - .offset:         0
        .size:           64
        .value_kind:     by_value
    .group_segment_fixed_size: 0
    .kernarg_segment_align: 8
    .kernarg_segment_size: 64
    .language:       OpenCL C
    .language_version:
      - 2
      - 0
    .max_flat_workgroup_size: 256
    .name:           _ZN7rocprim17ROCPRIM_400000_NS6detail17trampoline_kernelINS0_14default_configENS1_37merge_sort_block_sort_config_selectorIjNS0_10empty_typeEEEZNS1_21merge_sort_block_sortIS3_N6thrust23THRUST_200600_302600_NS6detail15normal_iteratorINS9_10device_ptrIjEEEESE_PS5_SF_9comp_mod3IjEEE10hipError_tT0_T1_T2_T3_mRjT4_P12ihipStream_tbNS1_7vsmem_tEEUlT_E_NS1_11comp_targetILNS1_3genE0ELNS1_11target_archE4294967295ELNS1_3gpuE0ELNS1_3repE0EEENS1_30default_config_static_selectorELNS0_4arch9wavefront6targetE0EEEvSK_
    .private_segment_fixed_size: 0
    .sgpr_count:     0
    .sgpr_spill_count: 0
    .symbol:         _ZN7rocprim17ROCPRIM_400000_NS6detail17trampoline_kernelINS0_14default_configENS1_37merge_sort_block_sort_config_selectorIjNS0_10empty_typeEEEZNS1_21merge_sort_block_sortIS3_N6thrust23THRUST_200600_302600_NS6detail15normal_iteratorINS9_10device_ptrIjEEEESE_PS5_SF_9comp_mod3IjEEE10hipError_tT0_T1_T2_T3_mRjT4_P12ihipStream_tbNS1_7vsmem_tEEUlT_E_NS1_11comp_targetILNS1_3genE0ELNS1_11target_archE4294967295ELNS1_3gpuE0ELNS1_3repE0EEENS1_30default_config_static_selectorELNS0_4arch9wavefront6targetE0EEEvSK_.kd
    .uniform_work_group_size: 1
    .uses_dynamic_stack: false
    .vgpr_count:     0
    .vgpr_spill_count: 0
    .wavefront_size: 32
    .workgroup_processor_mode: 1
  - .args:
      - .offset:         0
        .size:           64
        .value_kind:     by_value
    .group_segment_fixed_size: 0
    .kernarg_segment_align: 8
    .kernarg_segment_size: 64
    .language:       OpenCL C
    .language_version:
      - 2
      - 0
    .max_flat_workgroup_size: 256
    .name:           _ZN7rocprim17ROCPRIM_400000_NS6detail17trampoline_kernelINS0_14default_configENS1_37merge_sort_block_sort_config_selectorIjNS0_10empty_typeEEEZNS1_21merge_sort_block_sortIS3_N6thrust23THRUST_200600_302600_NS6detail15normal_iteratorINS9_10device_ptrIjEEEESE_PS5_SF_9comp_mod3IjEEE10hipError_tT0_T1_T2_T3_mRjT4_P12ihipStream_tbNS1_7vsmem_tEEUlT_E_NS1_11comp_targetILNS1_3genE5ELNS1_11target_archE942ELNS1_3gpuE9ELNS1_3repE0EEENS1_30default_config_static_selectorELNS0_4arch9wavefront6targetE0EEEvSK_
    .private_segment_fixed_size: 0
    .sgpr_count:     0
    .sgpr_spill_count: 0
    .symbol:         _ZN7rocprim17ROCPRIM_400000_NS6detail17trampoline_kernelINS0_14default_configENS1_37merge_sort_block_sort_config_selectorIjNS0_10empty_typeEEEZNS1_21merge_sort_block_sortIS3_N6thrust23THRUST_200600_302600_NS6detail15normal_iteratorINS9_10device_ptrIjEEEESE_PS5_SF_9comp_mod3IjEEE10hipError_tT0_T1_T2_T3_mRjT4_P12ihipStream_tbNS1_7vsmem_tEEUlT_E_NS1_11comp_targetILNS1_3genE5ELNS1_11target_archE942ELNS1_3gpuE9ELNS1_3repE0EEENS1_30default_config_static_selectorELNS0_4arch9wavefront6targetE0EEEvSK_.kd
    .uniform_work_group_size: 1
    .uses_dynamic_stack: false
    .vgpr_count:     0
    .vgpr_spill_count: 0
    .wavefront_size: 32
    .workgroup_processor_mode: 1
  - .args:
      - .offset:         0
        .size:           64
        .value_kind:     by_value
    .group_segment_fixed_size: 0
    .kernarg_segment_align: 8
    .kernarg_segment_size: 64
    .language:       OpenCL C
    .language_version:
      - 2
      - 0
    .max_flat_workgroup_size: 256
    .name:           _ZN7rocprim17ROCPRIM_400000_NS6detail17trampoline_kernelINS0_14default_configENS1_37merge_sort_block_sort_config_selectorIjNS0_10empty_typeEEEZNS1_21merge_sort_block_sortIS3_N6thrust23THRUST_200600_302600_NS6detail15normal_iteratorINS9_10device_ptrIjEEEESE_PS5_SF_9comp_mod3IjEEE10hipError_tT0_T1_T2_T3_mRjT4_P12ihipStream_tbNS1_7vsmem_tEEUlT_E_NS1_11comp_targetILNS1_3genE4ELNS1_11target_archE910ELNS1_3gpuE8ELNS1_3repE0EEENS1_30default_config_static_selectorELNS0_4arch9wavefront6targetE0EEEvSK_
    .private_segment_fixed_size: 0
    .sgpr_count:     0
    .sgpr_spill_count: 0
    .symbol:         _ZN7rocprim17ROCPRIM_400000_NS6detail17trampoline_kernelINS0_14default_configENS1_37merge_sort_block_sort_config_selectorIjNS0_10empty_typeEEEZNS1_21merge_sort_block_sortIS3_N6thrust23THRUST_200600_302600_NS6detail15normal_iteratorINS9_10device_ptrIjEEEESE_PS5_SF_9comp_mod3IjEEE10hipError_tT0_T1_T2_T3_mRjT4_P12ihipStream_tbNS1_7vsmem_tEEUlT_E_NS1_11comp_targetILNS1_3genE4ELNS1_11target_archE910ELNS1_3gpuE8ELNS1_3repE0EEENS1_30default_config_static_selectorELNS0_4arch9wavefront6targetE0EEEvSK_.kd
    .uniform_work_group_size: 1
    .uses_dynamic_stack: false
    .vgpr_count:     0
    .vgpr_spill_count: 0
    .wavefront_size: 32
    .workgroup_processor_mode: 1
  - .args:
      - .offset:         0
        .size:           64
        .value_kind:     by_value
    .group_segment_fixed_size: 0
    .kernarg_segment_align: 8
    .kernarg_segment_size: 64
    .language:       OpenCL C
    .language_version:
      - 2
      - 0
    .max_flat_workgroup_size: 256
    .name:           _ZN7rocprim17ROCPRIM_400000_NS6detail17trampoline_kernelINS0_14default_configENS1_37merge_sort_block_sort_config_selectorIjNS0_10empty_typeEEEZNS1_21merge_sort_block_sortIS3_N6thrust23THRUST_200600_302600_NS6detail15normal_iteratorINS9_10device_ptrIjEEEESE_PS5_SF_9comp_mod3IjEEE10hipError_tT0_T1_T2_T3_mRjT4_P12ihipStream_tbNS1_7vsmem_tEEUlT_E_NS1_11comp_targetILNS1_3genE3ELNS1_11target_archE908ELNS1_3gpuE7ELNS1_3repE0EEENS1_30default_config_static_selectorELNS0_4arch9wavefront6targetE0EEEvSK_
    .private_segment_fixed_size: 0
    .sgpr_count:     0
    .sgpr_spill_count: 0
    .symbol:         _ZN7rocprim17ROCPRIM_400000_NS6detail17trampoline_kernelINS0_14default_configENS1_37merge_sort_block_sort_config_selectorIjNS0_10empty_typeEEEZNS1_21merge_sort_block_sortIS3_N6thrust23THRUST_200600_302600_NS6detail15normal_iteratorINS9_10device_ptrIjEEEESE_PS5_SF_9comp_mod3IjEEE10hipError_tT0_T1_T2_T3_mRjT4_P12ihipStream_tbNS1_7vsmem_tEEUlT_E_NS1_11comp_targetILNS1_3genE3ELNS1_11target_archE908ELNS1_3gpuE7ELNS1_3repE0EEENS1_30default_config_static_selectorELNS0_4arch9wavefront6targetE0EEEvSK_.kd
    .uniform_work_group_size: 1
    .uses_dynamic_stack: false
    .vgpr_count:     0
    .vgpr_spill_count: 0
    .wavefront_size: 32
    .workgroup_processor_mode: 1
  - .args:
      - .offset:         0
        .size:           64
        .value_kind:     by_value
    .group_segment_fixed_size: 0
    .kernarg_segment_align: 8
    .kernarg_segment_size: 64
    .language:       OpenCL C
    .language_version:
      - 2
      - 0
    .max_flat_workgroup_size: 256
    .name:           _ZN7rocprim17ROCPRIM_400000_NS6detail17trampoline_kernelINS0_14default_configENS1_37merge_sort_block_sort_config_selectorIjNS0_10empty_typeEEEZNS1_21merge_sort_block_sortIS3_N6thrust23THRUST_200600_302600_NS6detail15normal_iteratorINS9_10device_ptrIjEEEESE_PS5_SF_9comp_mod3IjEEE10hipError_tT0_T1_T2_T3_mRjT4_P12ihipStream_tbNS1_7vsmem_tEEUlT_E_NS1_11comp_targetILNS1_3genE2ELNS1_11target_archE906ELNS1_3gpuE6ELNS1_3repE0EEENS1_30default_config_static_selectorELNS0_4arch9wavefront6targetE0EEEvSK_
    .private_segment_fixed_size: 0
    .sgpr_count:     0
    .sgpr_spill_count: 0
    .symbol:         _ZN7rocprim17ROCPRIM_400000_NS6detail17trampoline_kernelINS0_14default_configENS1_37merge_sort_block_sort_config_selectorIjNS0_10empty_typeEEEZNS1_21merge_sort_block_sortIS3_N6thrust23THRUST_200600_302600_NS6detail15normal_iteratorINS9_10device_ptrIjEEEESE_PS5_SF_9comp_mod3IjEEE10hipError_tT0_T1_T2_T3_mRjT4_P12ihipStream_tbNS1_7vsmem_tEEUlT_E_NS1_11comp_targetILNS1_3genE2ELNS1_11target_archE906ELNS1_3gpuE6ELNS1_3repE0EEENS1_30default_config_static_selectorELNS0_4arch9wavefront6targetE0EEEvSK_.kd
    .uniform_work_group_size: 1
    .uses_dynamic_stack: false
    .vgpr_count:     0
    .vgpr_spill_count: 0
    .wavefront_size: 32
    .workgroup_processor_mode: 1
  - .args:
      - .offset:         0
        .size:           64
        .value_kind:     by_value
    .group_segment_fixed_size: 0
    .kernarg_segment_align: 8
    .kernarg_segment_size: 64
    .language:       OpenCL C
    .language_version:
      - 2
      - 0
    .max_flat_workgroup_size: 256
    .name:           _ZN7rocprim17ROCPRIM_400000_NS6detail17trampoline_kernelINS0_14default_configENS1_37merge_sort_block_sort_config_selectorIjNS0_10empty_typeEEEZNS1_21merge_sort_block_sortIS3_N6thrust23THRUST_200600_302600_NS6detail15normal_iteratorINS9_10device_ptrIjEEEESE_PS5_SF_9comp_mod3IjEEE10hipError_tT0_T1_T2_T3_mRjT4_P12ihipStream_tbNS1_7vsmem_tEEUlT_E_NS1_11comp_targetILNS1_3genE10ELNS1_11target_archE1201ELNS1_3gpuE5ELNS1_3repE0EEENS1_30default_config_static_selectorELNS0_4arch9wavefront6targetE0EEEvSK_
    .private_segment_fixed_size: 0
    .sgpr_count:     0
    .sgpr_spill_count: 0
    .symbol:         _ZN7rocprim17ROCPRIM_400000_NS6detail17trampoline_kernelINS0_14default_configENS1_37merge_sort_block_sort_config_selectorIjNS0_10empty_typeEEEZNS1_21merge_sort_block_sortIS3_N6thrust23THRUST_200600_302600_NS6detail15normal_iteratorINS9_10device_ptrIjEEEESE_PS5_SF_9comp_mod3IjEEE10hipError_tT0_T1_T2_T3_mRjT4_P12ihipStream_tbNS1_7vsmem_tEEUlT_E_NS1_11comp_targetILNS1_3genE10ELNS1_11target_archE1201ELNS1_3gpuE5ELNS1_3repE0EEENS1_30default_config_static_selectorELNS0_4arch9wavefront6targetE0EEEvSK_.kd
    .uniform_work_group_size: 1
    .uses_dynamic_stack: false
    .vgpr_count:     0
    .vgpr_spill_count: 0
    .wavefront_size: 32
    .workgroup_processor_mode: 1
  - .args:
      - .offset:         0
        .size:           64
        .value_kind:     by_value
    .group_segment_fixed_size: 0
    .kernarg_segment_align: 8
    .kernarg_segment_size: 64
    .language:       OpenCL C
    .language_version:
      - 2
      - 0
    .max_flat_workgroup_size: 256
    .name:           _ZN7rocprim17ROCPRIM_400000_NS6detail17trampoline_kernelINS0_14default_configENS1_37merge_sort_block_sort_config_selectorIjNS0_10empty_typeEEEZNS1_21merge_sort_block_sortIS3_N6thrust23THRUST_200600_302600_NS6detail15normal_iteratorINS9_10device_ptrIjEEEESE_PS5_SF_9comp_mod3IjEEE10hipError_tT0_T1_T2_T3_mRjT4_P12ihipStream_tbNS1_7vsmem_tEEUlT_E_NS1_11comp_targetILNS1_3genE10ELNS1_11target_archE1200ELNS1_3gpuE4ELNS1_3repE0EEENS1_30default_config_static_selectorELNS0_4arch9wavefront6targetE0EEEvSK_
    .private_segment_fixed_size: 0
    .sgpr_count:     0
    .sgpr_spill_count: 0
    .symbol:         _ZN7rocprim17ROCPRIM_400000_NS6detail17trampoline_kernelINS0_14default_configENS1_37merge_sort_block_sort_config_selectorIjNS0_10empty_typeEEEZNS1_21merge_sort_block_sortIS3_N6thrust23THRUST_200600_302600_NS6detail15normal_iteratorINS9_10device_ptrIjEEEESE_PS5_SF_9comp_mod3IjEEE10hipError_tT0_T1_T2_T3_mRjT4_P12ihipStream_tbNS1_7vsmem_tEEUlT_E_NS1_11comp_targetILNS1_3genE10ELNS1_11target_archE1200ELNS1_3gpuE4ELNS1_3repE0EEENS1_30default_config_static_selectorELNS0_4arch9wavefront6targetE0EEEvSK_.kd
    .uniform_work_group_size: 1
    .uses_dynamic_stack: false
    .vgpr_count:     0
    .vgpr_spill_count: 0
    .wavefront_size: 32
    .workgroup_processor_mode: 1
  - .args:
      - .offset:         0
        .size:           64
        .value_kind:     by_value
    .group_segment_fixed_size: 0
    .kernarg_segment_align: 8
    .kernarg_segment_size: 64
    .language:       OpenCL C
    .language_version:
      - 2
      - 0
    .max_flat_workgroup_size: 256
    .name:           _ZN7rocprim17ROCPRIM_400000_NS6detail17trampoline_kernelINS0_14default_configENS1_37merge_sort_block_sort_config_selectorIjNS0_10empty_typeEEEZNS1_21merge_sort_block_sortIS3_N6thrust23THRUST_200600_302600_NS6detail15normal_iteratorINS9_10device_ptrIjEEEESE_PS5_SF_9comp_mod3IjEEE10hipError_tT0_T1_T2_T3_mRjT4_P12ihipStream_tbNS1_7vsmem_tEEUlT_E_NS1_11comp_targetILNS1_3genE9ELNS1_11target_archE1100ELNS1_3gpuE3ELNS1_3repE0EEENS1_30default_config_static_selectorELNS0_4arch9wavefront6targetE0EEEvSK_
    .private_segment_fixed_size: 0
    .sgpr_count:     0
    .sgpr_spill_count: 0
    .symbol:         _ZN7rocprim17ROCPRIM_400000_NS6detail17trampoline_kernelINS0_14default_configENS1_37merge_sort_block_sort_config_selectorIjNS0_10empty_typeEEEZNS1_21merge_sort_block_sortIS3_N6thrust23THRUST_200600_302600_NS6detail15normal_iteratorINS9_10device_ptrIjEEEESE_PS5_SF_9comp_mod3IjEEE10hipError_tT0_T1_T2_T3_mRjT4_P12ihipStream_tbNS1_7vsmem_tEEUlT_E_NS1_11comp_targetILNS1_3genE9ELNS1_11target_archE1100ELNS1_3gpuE3ELNS1_3repE0EEENS1_30default_config_static_selectorELNS0_4arch9wavefront6targetE0EEEvSK_.kd
    .uniform_work_group_size: 1
    .uses_dynamic_stack: false
    .vgpr_count:     0
    .vgpr_spill_count: 0
    .wavefront_size: 32
    .workgroup_processor_mode: 1
  - .args:
      - .offset:         0
        .size:           64
        .value_kind:     by_value
      - .offset:         64
        .size:           4
        .value_kind:     hidden_block_count_x
      - .offset:         68
        .size:           4
        .value_kind:     hidden_block_count_y
      - .offset:         72
        .size:           4
        .value_kind:     hidden_block_count_z
      - .offset:         76
        .size:           2
        .value_kind:     hidden_group_size_x
      - .offset:         78
        .size:           2
        .value_kind:     hidden_group_size_y
      - .offset:         80
        .size:           2
        .value_kind:     hidden_group_size_z
      - .offset:         82
        .size:           2
        .value_kind:     hidden_remainder_x
      - .offset:         84
        .size:           2
        .value_kind:     hidden_remainder_y
      - .offset:         86
        .size:           2
        .value_kind:     hidden_remainder_z
      - .offset:         104
        .size:           8
        .value_kind:     hidden_global_offset_x
      - .offset:         112
        .size:           8
        .value_kind:     hidden_global_offset_y
      - .offset:         120
        .size:           8
        .value_kind:     hidden_global_offset_z
      - .offset:         128
        .size:           2
        .value_kind:     hidden_grid_dims
    .group_segment_fixed_size: 8448
    .kernarg_segment_align: 8
    .kernarg_segment_size: 320
    .language:       OpenCL C
    .language_version:
      - 2
      - 0
    .max_flat_workgroup_size: 256
    .name:           _ZN7rocprim17ROCPRIM_400000_NS6detail17trampoline_kernelINS0_14default_configENS1_37merge_sort_block_sort_config_selectorIjNS0_10empty_typeEEEZNS1_21merge_sort_block_sortIS3_N6thrust23THRUST_200600_302600_NS6detail15normal_iteratorINS9_10device_ptrIjEEEESE_PS5_SF_9comp_mod3IjEEE10hipError_tT0_T1_T2_T3_mRjT4_P12ihipStream_tbNS1_7vsmem_tEEUlT_E_NS1_11comp_targetILNS1_3genE8ELNS1_11target_archE1030ELNS1_3gpuE2ELNS1_3repE0EEENS1_30default_config_static_selectorELNS0_4arch9wavefront6targetE0EEEvSK_
    .private_segment_fixed_size: 0
    .sgpr_count:     26
    .sgpr_spill_count: 0
    .symbol:         _ZN7rocprim17ROCPRIM_400000_NS6detail17trampoline_kernelINS0_14default_configENS1_37merge_sort_block_sort_config_selectorIjNS0_10empty_typeEEEZNS1_21merge_sort_block_sortIS3_N6thrust23THRUST_200600_302600_NS6detail15normal_iteratorINS9_10device_ptrIjEEEESE_PS5_SF_9comp_mod3IjEEE10hipError_tT0_T1_T2_T3_mRjT4_P12ihipStream_tbNS1_7vsmem_tEEUlT_E_NS1_11comp_targetILNS1_3genE8ELNS1_11target_archE1030ELNS1_3gpuE2ELNS1_3repE0EEENS1_30default_config_static_selectorELNS0_4arch9wavefront6targetE0EEEvSK_.kd
    .uniform_work_group_size: 1
    .uses_dynamic_stack: false
    .vgpr_count:     56
    .vgpr_spill_count: 0
    .wavefront_size: 32
    .workgroup_processor_mode: 1
  - .args:
      - .offset:         0
        .size:           48
        .value_kind:     by_value
    .group_segment_fixed_size: 0
    .kernarg_segment_align: 8
    .kernarg_segment_size: 48
    .language:       OpenCL C
    .language_version:
      - 2
      - 0
    .max_flat_workgroup_size: 128
    .name:           _ZN7rocprim17ROCPRIM_400000_NS6detail17trampoline_kernelINS0_14default_configENS1_38merge_sort_block_merge_config_selectorIjNS0_10empty_typeEEEZZNS1_27merge_sort_block_merge_implIS3_N6thrust23THRUST_200600_302600_NS6detail15normal_iteratorINS9_10device_ptrIjEEEEPS5_m9comp_mod3IjEEE10hipError_tT0_T1_T2_jT3_P12ihipStream_tbPNSt15iterator_traitsISJ_E10value_typeEPNSP_ISK_E10value_typeEPSL_NS1_7vsmem_tEENKUlT_SJ_SK_SL_E_clIPjSE_SF_SF_EESI_SY_SJ_SK_SL_EUlSY_E_NS1_11comp_targetILNS1_3genE0ELNS1_11target_archE4294967295ELNS1_3gpuE0ELNS1_3repE0EEENS1_48merge_mergepath_partition_config_static_selectorELNS0_4arch9wavefront6targetE0EEEvSK_
    .private_segment_fixed_size: 0
    .sgpr_count:     0
    .sgpr_spill_count: 0
    .symbol:         _ZN7rocprim17ROCPRIM_400000_NS6detail17trampoline_kernelINS0_14default_configENS1_38merge_sort_block_merge_config_selectorIjNS0_10empty_typeEEEZZNS1_27merge_sort_block_merge_implIS3_N6thrust23THRUST_200600_302600_NS6detail15normal_iteratorINS9_10device_ptrIjEEEEPS5_m9comp_mod3IjEEE10hipError_tT0_T1_T2_jT3_P12ihipStream_tbPNSt15iterator_traitsISJ_E10value_typeEPNSP_ISK_E10value_typeEPSL_NS1_7vsmem_tEENKUlT_SJ_SK_SL_E_clIPjSE_SF_SF_EESI_SY_SJ_SK_SL_EUlSY_E_NS1_11comp_targetILNS1_3genE0ELNS1_11target_archE4294967295ELNS1_3gpuE0ELNS1_3repE0EEENS1_48merge_mergepath_partition_config_static_selectorELNS0_4arch9wavefront6targetE0EEEvSK_.kd
    .uniform_work_group_size: 1
    .uses_dynamic_stack: false
    .vgpr_count:     0
    .vgpr_spill_count: 0
    .wavefront_size: 32
    .workgroup_processor_mode: 1
  - .args:
      - .offset:         0
        .size:           48
        .value_kind:     by_value
    .group_segment_fixed_size: 0
    .kernarg_segment_align: 8
    .kernarg_segment_size: 48
    .language:       OpenCL C
    .language_version:
      - 2
      - 0
    .max_flat_workgroup_size: 128
    .name:           _ZN7rocprim17ROCPRIM_400000_NS6detail17trampoline_kernelINS0_14default_configENS1_38merge_sort_block_merge_config_selectorIjNS0_10empty_typeEEEZZNS1_27merge_sort_block_merge_implIS3_N6thrust23THRUST_200600_302600_NS6detail15normal_iteratorINS9_10device_ptrIjEEEEPS5_m9comp_mod3IjEEE10hipError_tT0_T1_T2_jT3_P12ihipStream_tbPNSt15iterator_traitsISJ_E10value_typeEPNSP_ISK_E10value_typeEPSL_NS1_7vsmem_tEENKUlT_SJ_SK_SL_E_clIPjSE_SF_SF_EESI_SY_SJ_SK_SL_EUlSY_E_NS1_11comp_targetILNS1_3genE10ELNS1_11target_archE1201ELNS1_3gpuE5ELNS1_3repE0EEENS1_48merge_mergepath_partition_config_static_selectorELNS0_4arch9wavefront6targetE0EEEvSK_
    .private_segment_fixed_size: 0
    .sgpr_count:     0
    .sgpr_spill_count: 0
    .symbol:         _ZN7rocprim17ROCPRIM_400000_NS6detail17trampoline_kernelINS0_14default_configENS1_38merge_sort_block_merge_config_selectorIjNS0_10empty_typeEEEZZNS1_27merge_sort_block_merge_implIS3_N6thrust23THRUST_200600_302600_NS6detail15normal_iteratorINS9_10device_ptrIjEEEEPS5_m9comp_mod3IjEEE10hipError_tT0_T1_T2_jT3_P12ihipStream_tbPNSt15iterator_traitsISJ_E10value_typeEPNSP_ISK_E10value_typeEPSL_NS1_7vsmem_tEENKUlT_SJ_SK_SL_E_clIPjSE_SF_SF_EESI_SY_SJ_SK_SL_EUlSY_E_NS1_11comp_targetILNS1_3genE10ELNS1_11target_archE1201ELNS1_3gpuE5ELNS1_3repE0EEENS1_48merge_mergepath_partition_config_static_selectorELNS0_4arch9wavefront6targetE0EEEvSK_.kd
    .uniform_work_group_size: 1
    .uses_dynamic_stack: false
    .vgpr_count:     0
    .vgpr_spill_count: 0
    .wavefront_size: 32
    .workgroup_processor_mode: 1
  - .args:
      - .offset:         0
        .size:           48
        .value_kind:     by_value
    .group_segment_fixed_size: 0
    .kernarg_segment_align: 8
    .kernarg_segment_size: 48
    .language:       OpenCL C
    .language_version:
      - 2
      - 0
    .max_flat_workgroup_size: 128
    .name:           _ZN7rocprim17ROCPRIM_400000_NS6detail17trampoline_kernelINS0_14default_configENS1_38merge_sort_block_merge_config_selectorIjNS0_10empty_typeEEEZZNS1_27merge_sort_block_merge_implIS3_N6thrust23THRUST_200600_302600_NS6detail15normal_iteratorINS9_10device_ptrIjEEEEPS5_m9comp_mod3IjEEE10hipError_tT0_T1_T2_jT3_P12ihipStream_tbPNSt15iterator_traitsISJ_E10value_typeEPNSP_ISK_E10value_typeEPSL_NS1_7vsmem_tEENKUlT_SJ_SK_SL_E_clIPjSE_SF_SF_EESI_SY_SJ_SK_SL_EUlSY_E_NS1_11comp_targetILNS1_3genE5ELNS1_11target_archE942ELNS1_3gpuE9ELNS1_3repE0EEENS1_48merge_mergepath_partition_config_static_selectorELNS0_4arch9wavefront6targetE0EEEvSK_
    .private_segment_fixed_size: 0
    .sgpr_count:     0
    .sgpr_spill_count: 0
    .symbol:         _ZN7rocprim17ROCPRIM_400000_NS6detail17trampoline_kernelINS0_14default_configENS1_38merge_sort_block_merge_config_selectorIjNS0_10empty_typeEEEZZNS1_27merge_sort_block_merge_implIS3_N6thrust23THRUST_200600_302600_NS6detail15normal_iteratorINS9_10device_ptrIjEEEEPS5_m9comp_mod3IjEEE10hipError_tT0_T1_T2_jT3_P12ihipStream_tbPNSt15iterator_traitsISJ_E10value_typeEPNSP_ISK_E10value_typeEPSL_NS1_7vsmem_tEENKUlT_SJ_SK_SL_E_clIPjSE_SF_SF_EESI_SY_SJ_SK_SL_EUlSY_E_NS1_11comp_targetILNS1_3genE5ELNS1_11target_archE942ELNS1_3gpuE9ELNS1_3repE0EEENS1_48merge_mergepath_partition_config_static_selectorELNS0_4arch9wavefront6targetE0EEEvSK_.kd
    .uniform_work_group_size: 1
    .uses_dynamic_stack: false
    .vgpr_count:     0
    .vgpr_spill_count: 0
    .wavefront_size: 32
    .workgroup_processor_mode: 1
  - .args:
      - .offset:         0
        .size:           48
        .value_kind:     by_value
    .group_segment_fixed_size: 0
    .kernarg_segment_align: 8
    .kernarg_segment_size: 48
    .language:       OpenCL C
    .language_version:
      - 2
      - 0
    .max_flat_workgroup_size: 128
    .name:           _ZN7rocprim17ROCPRIM_400000_NS6detail17trampoline_kernelINS0_14default_configENS1_38merge_sort_block_merge_config_selectorIjNS0_10empty_typeEEEZZNS1_27merge_sort_block_merge_implIS3_N6thrust23THRUST_200600_302600_NS6detail15normal_iteratorINS9_10device_ptrIjEEEEPS5_m9comp_mod3IjEEE10hipError_tT0_T1_T2_jT3_P12ihipStream_tbPNSt15iterator_traitsISJ_E10value_typeEPNSP_ISK_E10value_typeEPSL_NS1_7vsmem_tEENKUlT_SJ_SK_SL_E_clIPjSE_SF_SF_EESI_SY_SJ_SK_SL_EUlSY_E_NS1_11comp_targetILNS1_3genE4ELNS1_11target_archE910ELNS1_3gpuE8ELNS1_3repE0EEENS1_48merge_mergepath_partition_config_static_selectorELNS0_4arch9wavefront6targetE0EEEvSK_
    .private_segment_fixed_size: 0
    .sgpr_count:     0
    .sgpr_spill_count: 0
    .symbol:         _ZN7rocprim17ROCPRIM_400000_NS6detail17trampoline_kernelINS0_14default_configENS1_38merge_sort_block_merge_config_selectorIjNS0_10empty_typeEEEZZNS1_27merge_sort_block_merge_implIS3_N6thrust23THRUST_200600_302600_NS6detail15normal_iteratorINS9_10device_ptrIjEEEEPS5_m9comp_mod3IjEEE10hipError_tT0_T1_T2_jT3_P12ihipStream_tbPNSt15iterator_traitsISJ_E10value_typeEPNSP_ISK_E10value_typeEPSL_NS1_7vsmem_tEENKUlT_SJ_SK_SL_E_clIPjSE_SF_SF_EESI_SY_SJ_SK_SL_EUlSY_E_NS1_11comp_targetILNS1_3genE4ELNS1_11target_archE910ELNS1_3gpuE8ELNS1_3repE0EEENS1_48merge_mergepath_partition_config_static_selectorELNS0_4arch9wavefront6targetE0EEEvSK_.kd
    .uniform_work_group_size: 1
    .uses_dynamic_stack: false
    .vgpr_count:     0
    .vgpr_spill_count: 0
    .wavefront_size: 32
    .workgroup_processor_mode: 1
  - .args:
      - .offset:         0
        .size:           48
        .value_kind:     by_value
    .group_segment_fixed_size: 0
    .kernarg_segment_align: 8
    .kernarg_segment_size: 48
    .language:       OpenCL C
    .language_version:
      - 2
      - 0
    .max_flat_workgroup_size: 128
    .name:           _ZN7rocprim17ROCPRIM_400000_NS6detail17trampoline_kernelINS0_14default_configENS1_38merge_sort_block_merge_config_selectorIjNS0_10empty_typeEEEZZNS1_27merge_sort_block_merge_implIS3_N6thrust23THRUST_200600_302600_NS6detail15normal_iteratorINS9_10device_ptrIjEEEEPS5_m9comp_mod3IjEEE10hipError_tT0_T1_T2_jT3_P12ihipStream_tbPNSt15iterator_traitsISJ_E10value_typeEPNSP_ISK_E10value_typeEPSL_NS1_7vsmem_tEENKUlT_SJ_SK_SL_E_clIPjSE_SF_SF_EESI_SY_SJ_SK_SL_EUlSY_E_NS1_11comp_targetILNS1_3genE3ELNS1_11target_archE908ELNS1_3gpuE7ELNS1_3repE0EEENS1_48merge_mergepath_partition_config_static_selectorELNS0_4arch9wavefront6targetE0EEEvSK_
    .private_segment_fixed_size: 0
    .sgpr_count:     0
    .sgpr_spill_count: 0
    .symbol:         _ZN7rocprim17ROCPRIM_400000_NS6detail17trampoline_kernelINS0_14default_configENS1_38merge_sort_block_merge_config_selectorIjNS0_10empty_typeEEEZZNS1_27merge_sort_block_merge_implIS3_N6thrust23THRUST_200600_302600_NS6detail15normal_iteratorINS9_10device_ptrIjEEEEPS5_m9comp_mod3IjEEE10hipError_tT0_T1_T2_jT3_P12ihipStream_tbPNSt15iterator_traitsISJ_E10value_typeEPNSP_ISK_E10value_typeEPSL_NS1_7vsmem_tEENKUlT_SJ_SK_SL_E_clIPjSE_SF_SF_EESI_SY_SJ_SK_SL_EUlSY_E_NS1_11comp_targetILNS1_3genE3ELNS1_11target_archE908ELNS1_3gpuE7ELNS1_3repE0EEENS1_48merge_mergepath_partition_config_static_selectorELNS0_4arch9wavefront6targetE0EEEvSK_.kd
    .uniform_work_group_size: 1
    .uses_dynamic_stack: false
    .vgpr_count:     0
    .vgpr_spill_count: 0
    .wavefront_size: 32
    .workgroup_processor_mode: 1
  - .args:
      - .offset:         0
        .size:           48
        .value_kind:     by_value
    .group_segment_fixed_size: 0
    .kernarg_segment_align: 8
    .kernarg_segment_size: 48
    .language:       OpenCL C
    .language_version:
      - 2
      - 0
    .max_flat_workgroup_size: 128
    .name:           _ZN7rocprim17ROCPRIM_400000_NS6detail17trampoline_kernelINS0_14default_configENS1_38merge_sort_block_merge_config_selectorIjNS0_10empty_typeEEEZZNS1_27merge_sort_block_merge_implIS3_N6thrust23THRUST_200600_302600_NS6detail15normal_iteratorINS9_10device_ptrIjEEEEPS5_m9comp_mod3IjEEE10hipError_tT0_T1_T2_jT3_P12ihipStream_tbPNSt15iterator_traitsISJ_E10value_typeEPNSP_ISK_E10value_typeEPSL_NS1_7vsmem_tEENKUlT_SJ_SK_SL_E_clIPjSE_SF_SF_EESI_SY_SJ_SK_SL_EUlSY_E_NS1_11comp_targetILNS1_3genE2ELNS1_11target_archE906ELNS1_3gpuE6ELNS1_3repE0EEENS1_48merge_mergepath_partition_config_static_selectorELNS0_4arch9wavefront6targetE0EEEvSK_
    .private_segment_fixed_size: 0
    .sgpr_count:     0
    .sgpr_spill_count: 0
    .symbol:         _ZN7rocprim17ROCPRIM_400000_NS6detail17trampoline_kernelINS0_14default_configENS1_38merge_sort_block_merge_config_selectorIjNS0_10empty_typeEEEZZNS1_27merge_sort_block_merge_implIS3_N6thrust23THRUST_200600_302600_NS6detail15normal_iteratorINS9_10device_ptrIjEEEEPS5_m9comp_mod3IjEEE10hipError_tT0_T1_T2_jT3_P12ihipStream_tbPNSt15iterator_traitsISJ_E10value_typeEPNSP_ISK_E10value_typeEPSL_NS1_7vsmem_tEENKUlT_SJ_SK_SL_E_clIPjSE_SF_SF_EESI_SY_SJ_SK_SL_EUlSY_E_NS1_11comp_targetILNS1_3genE2ELNS1_11target_archE906ELNS1_3gpuE6ELNS1_3repE0EEENS1_48merge_mergepath_partition_config_static_selectorELNS0_4arch9wavefront6targetE0EEEvSK_.kd
    .uniform_work_group_size: 1
    .uses_dynamic_stack: false
    .vgpr_count:     0
    .vgpr_spill_count: 0
    .wavefront_size: 32
    .workgroup_processor_mode: 1
  - .args:
      - .offset:         0
        .size:           48
        .value_kind:     by_value
    .group_segment_fixed_size: 0
    .kernarg_segment_align: 8
    .kernarg_segment_size: 48
    .language:       OpenCL C
    .language_version:
      - 2
      - 0
    .max_flat_workgroup_size: 128
    .name:           _ZN7rocprim17ROCPRIM_400000_NS6detail17trampoline_kernelINS0_14default_configENS1_38merge_sort_block_merge_config_selectorIjNS0_10empty_typeEEEZZNS1_27merge_sort_block_merge_implIS3_N6thrust23THRUST_200600_302600_NS6detail15normal_iteratorINS9_10device_ptrIjEEEEPS5_m9comp_mod3IjEEE10hipError_tT0_T1_T2_jT3_P12ihipStream_tbPNSt15iterator_traitsISJ_E10value_typeEPNSP_ISK_E10value_typeEPSL_NS1_7vsmem_tEENKUlT_SJ_SK_SL_E_clIPjSE_SF_SF_EESI_SY_SJ_SK_SL_EUlSY_E_NS1_11comp_targetILNS1_3genE9ELNS1_11target_archE1100ELNS1_3gpuE3ELNS1_3repE0EEENS1_48merge_mergepath_partition_config_static_selectorELNS0_4arch9wavefront6targetE0EEEvSK_
    .private_segment_fixed_size: 0
    .sgpr_count:     0
    .sgpr_spill_count: 0
    .symbol:         _ZN7rocprim17ROCPRIM_400000_NS6detail17trampoline_kernelINS0_14default_configENS1_38merge_sort_block_merge_config_selectorIjNS0_10empty_typeEEEZZNS1_27merge_sort_block_merge_implIS3_N6thrust23THRUST_200600_302600_NS6detail15normal_iteratorINS9_10device_ptrIjEEEEPS5_m9comp_mod3IjEEE10hipError_tT0_T1_T2_jT3_P12ihipStream_tbPNSt15iterator_traitsISJ_E10value_typeEPNSP_ISK_E10value_typeEPSL_NS1_7vsmem_tEENKUlT_SJ_SK_SL_E_clIPjSE_SF_SF_EESI_SY_SJ_SK_SL_EUlSY_E_NS1_11comp_targetILNS1_3genE9ELNS1_11target_archE1100ELNS1_3gpuE3ELNS1_3repE0EEENS1_48merge_mergepath_partition_config_static_selectorELNS0_4arch9wavefront6targetE0EEEvSK_.kd
    .uniform_work_group_size: 1
    .uses_dynamic_stack: false
    .vgpr_count:     0
    .vgpr_spill_count: 0
    .wavefront_size: 32
    .workgroup_processor_mode: 1
  - .args:
      - .offset:         0
        .size:           48
        .value_kind:     by_value
    .group_segment_fixed_size: 0
    .kernarg_segment_align: 8
    .kernarg_segment_size: 48
    .language:       OpenCL C
    .language_version:
      - 2
      - 0
    .max_flat_workgroup_size: 128
    .name:           _ZN7rocprim17ROCPRIM_400000_NS6detail17trampoline_kernelINS0_14default_configENS1_38merge_sort_block_merge_config_selectorIjNS0_10empty_typeEEEZZNS1_27merge_sort_block_merge_implIS3_N6thrust23THRUST_200600_302600_NS6detail15normal_iteratorINS9_10device_ptrIjEEEEPS5_m9comp_mod3IjEEE10hipError_tT0_T1_T2_jT3_P12ihipStream_tbPNSt15iterator_traitsISJ_E10value_typeEPNSP_ISK_E10value_typeEPSL_NS1_7vsmem_tEENKUlT_SJ_SK_SL_E_clIPjSE_SF_SF_EESI_SY_SJ_SK_SL_EUlSY_E_NS1_11comp_targetILNS1_3genE8ELNS1_11target_archE1030ELNS1_3gpuE2ELNS1_3repE0EEENS1_48merge_mergepath_partition_config_static_selectorELNS0_4arch9wavefront6targetE0EEEvSK_
    .private_segment_fixed_size: 0
    .sgpr_count:     18
    .sgpr_spill_count: 0
    .symbol:         _ZN7rocprim17ROCPRIM_400000_NS6detail17trampoline_kernelINS0_14default_configENS1_38merge_sort_block_merge_config_selectorIjNS0_10empty_typeEEEZZNS1_27merge_sort_block_merge_implIS3_N6thrust23THRUST_200600_302600_NS6detail15normal_iteratorINS9_10device_ptrIjEEEEPS5_m9comp_mod3IjEEE10hipError_tT0_T1_T2_jT3_P12ihipStream_tbPNSt15iterator_traitsISJ_E10value_typeEPNSP_ISK_E10value_typeEPSL_NS1_7vsmem_tEENKUlT_SJ_SK_SL_E_clIPjSE_SF_SF_EESI_SY_SJ_SK_SL_EUlSY_E_NS1_11comp_targetILNS1_3genE8ELNS1_11target_archE1030ELNS1_3gpuE2ELNS1_3repE0EEENS1_48merge_mergepath_partition_config_static_selectorELNS0_4arch9wavefront6targetE0EEEvSK_.kd
    .uniform_work_group_size: 1
    .uses_dynamic_stack: false
    .vgpr_count:     17
    .vgpr_spill_count: 0
    .wavefront_size: 32
    .workgroup_processor_mode: 1
  - .args:
      - .offset:         0
        .size:           80
        .value_kind:     by_value
    .group_segment_fixed_size: 0
    .kernarg_segment_align: 8
    .kernarg_segment_size: 80
    .language:       OpenCL C
    .language_version:
      - 2
      - 0
    .max_flat_workgroup_size: 128
    .name:           _ZN7rocprim17ROCPRIM_400000_NS6detail17trampoline_kernelINS0_14default_configENS1_38merge_sort_block_merge_config_selectorIjNS0_10empty_typeEEEZZNS1_27merge_sort_block_merge_implIS3_N6thrust23THRUST_200600_302600_NS6detail15normal_iteratorINS9_10device_ptrIjEEEEPS5_m9comp_mod3IjEEE10hipError_tT0_T1_T2_jT3_P12ihipStream_tbPNSt15iterator_traitsISJ_E10value_typeEPNSP_ISK_E10value_typeEPSL_NS1_7vsmem_tEENKUlT_SJ_SK_SL_E_clIPjSE_SF_SF_EESI_SY_SJ_SK_SL_EUlSY_E0_NS1_11comp_targetILNS1_3genE0ELNS1_11target_archE4294967295ELNS1_3gpuE0ELNS1_3repE0EEENS1_38merge_mergepath_config_static_selectorELNS0_4arch9wavefront6targetE0EEEvSK_
    .private_segment_fixed_size: 0
    .sgpr_count:     0
    .sgpr_spill_count: 0
    .symbol:         _ZN7rocprim17ROCPRIM_400000_NS6detail17trampoline_kernelINS0_14default_configENS1_38merge_sort_block_merge_config_selectorIjNS0_10empty_typeEEEZZNS1_27merge_sort_block_merge_implIS3_N6thrust23THRUST_200600_302600_NS6detail15normal_iteratorINS9_10device_ptrIjEEEEPS5_m9comp_mod3IjEEE10hipError_tT0_T1_T2_jT3_P12ihipStream_tbPNSt15iterator_traitsISJ_E10value_typeEPNSP_ISK_E10value_typeEPSL_NS1_7vsmem_tEENKUlT_SJ_SK_SL_E_clIPjSE_SF_SF_EESI_SY_SJ_SK_SL_EUlSY_E0_NS1_11comp_targetILNS1_3genE0ELNS1_11target_archE4294967295ELNS1_3gpuE0ELNS1_3repE0EEENS1_38merge_mergepath_config_static_selectorELNS0_4arch9wavefront6targetE0EEEvSK_.kd
    .uniform_work_group_size: 1
    .uses_dynamic_stack: false
    .vgpr_count:     0
    .vgpr_spill_count: 0
    .wavefront_size: 32
    .workgroup_processor_mode: 1
  - .args:
      - .offset:         0
        .size:           80
        .value_kind:     by_value
    .group_segment_fixed_size: 0
    .kernarg_segment_align: 8
    .kernarg_segment_size: 80
    .language:       OpenCL C
    .language_version:
      - 2
      - 0
    .max_flat_workgroup_size: 256
    .name:           _ZN7rocprim17ROCPRIM_400000_NS6detail17trampoline_kernelINS0_14default_configENS1_38merge_sort_block_merge_config_selectorIjNS0_10empty_typeEEEZZNS1_27merge_sort_block_merge_implIS3_N6thrust23THRUST_200600_302600_NS6detail15normal_iteratorINS9_10device_ptrIjEEEEPS5_m9comp_mod3IjEEE10hipError_tT0_T1_T2_jT3_P12ihipStream_tbPNSt15iterator_traitsISJ_E10value_typeEPNSP_ISK_E10value_typeEPSL_NS1_7vsmem_tEENKUlT_SJ_SK_SL_E_clIPjSE_SF_SF_EESI_SY_SJ_SK_SL_EUlSY_E0_NS1_11comp_targetILNS1_3genE10ELNS1_11target_archE1201ELNS1_3gpuE5ELNS1_3repE0EEENS1_38merge_mergepath_config_static_selectorELNS0_4arch9wavefront6targetE0EEEvSK_
    .private_segment_fixed_size: 0
    .sgpr_count:     0
    .sgpr_spill_count: 0
    .symbol:         _ZN7rocprim17ROCPRIM_400000_NS6detail17trampoline_kernelINS0_14default_configENS1_38merge_sort_block_merge_config_selectorIjNS0_10empty_typeEEEZZNS1_27merge_sort_block_merge_implIS3_N6thrust23THRUST_200600_302600_NS6detail15normal_iteratorINS9_10device_ptrIjEEEEPS5_m9comp_mod3IjEEE10hipError_tT0_T1_T2_jT3_P12ihipStream_tbPNSt15iterator_traitsISJ_E10value_typeEPNSP_ISK_E10value_typeEPSL_NS1_7vsmem_tEENKUlT_SJ_SK_SL_E_clIPjSE_SF_SF_EESI_SY_SJ_SK_SL_EUlSY_E0_NS1_11comp_targetILNS1_3genE10ELNS1_11target_archE1201ELNS1_3gpuE5ELNS1_3repE0EEENS1_38merge_mergepath_config_static_selectorELNS0_4arch9wavefront6targetE0EEEvSK_.kd
    .uniform_work_group_size: 1
    .uses_dynamic_stack: false
    .vgpr_count:     0
    .vgpr_spill_count: 0
    .wavefront_size: 32
    .workgroup_processor_mode: 1
  - .args:
      - .offset:         0
        .size:           80
        .value_kind:     by_value
    .group_segment_fixed_size: 0
    .kernarg_segment_align: 8
    .kernarg_segment_size: 80
    .language:       OpenCL C
    .language_version:
      - 2
      - 0
    .max_flat_workgroup_size: 128
    .name:           _ZN7rocprim17ROCPRIM_400000_NS6detail17trampoline_kernelINS0_14default_configENS1_38merge_sort_block_merge_config_selectorIjNS0_10empty_typeEEEZZNS1_27merge_sort_block_merge_implIS3_N6thrust23THRUST_200600_302600_NS6detail15normal_iteratorINS9_10device_ptrIjEEEEPS5_m9comp_mod3IjEEE10hipError_tT0_T1_T2_jT3_P12ihipStream_tbPNSt15iterator_traitsISJ_E10value_typeEPNSP_ISK_E10value_typeEPSL_NS1_7vsmem_tEENKUlT_SJ_SK_SL_E_clIPjSE_SF_SF_EESI_SY_SJ_SK_SL_EUlSY_E0_NS1_11comp_targetILNS1_3genE5ELNS1_11target_archE942ELNS1_3gpuE9ELNS1_3repE0EEENS1_38merge_mergepath_config_static_selectorELNS0_4arch9wavefront6targetE0EEEvSK_
    .private_segment_fixed_size: 0
    .sgpr_count:     0
    .sgpr_spill_count: 0
    .symbol:         _ZN7rocprim17ROCPRIM_400000_NS6detail17trampoline_kernelINS0_14default_configENS1_38merge_sort_block_merge_config_selectorIjNS0_10empty_typeEEEZZNS1_27merge_sort_block_merge_implIS3_N6thrust23THRUST_200600_302600_NS6detail15normal_iteratorINS9_10device_ptrIjEEEEPS5_m9comp_mod3IjEEE10hipError_tT0_T1_T2_jT3_P12ihipStream_tbPNSt15iterator_traitsISJ_E10value_typeEPNSP_ISK_E10value_typeEPSL_NS1_7vsmem_tEENKUlT_SJ_SK_SL_E_clIPjSE_SF_SF_EESI_SY_SJ_SK_SL_EUlSY_E0_NS1_11comp_targetILNS1_3genE5ELNS1_11target_archE942ELNS1_3gpuE9ELNS1_3repE0EEENS1_38merge_mergepath_config_static_selectorELNS0_4arch9wavefront6targetE0EEEvSK_.kd
    .uniform_work_group_size: 1
    .uses_dynamic_stack: false
    .vgpr_count:     0
    .vgpr_spill_count: 0
    .wavefront_size: 32
    .workgroup_processor_mode: 1
  - .args:
      - .offset:         0
        .size:           80
        .value_kind:     by_value
    .group_segment_fixed_size: 0
    .kernarg_segment_align: 8
    .kernarg_segment_size: 80
    .language:       OpenCL C
    .language_version:
      - 2
      - 0
    .max_flat_workgroup_size: 128
    .name:           _ZN7rocprim17ROCPRIM_400000_NS6detail17trampoline_kernelINS0_14default_configENS1_38merge_sort_block_merge_config_selectorIjNS0_10empty_typeEEEZZNS1_27merge_sort_block_merge_implIS3_N6thrust23THRUST_200600_302600_NS6detail15normal_iteratorINS9_10device_ptrIjEEEEPS5_m9comp_mod3IjEEE10hipError_tT0_T1_T2_jT3_P12ihipStream_tbPNSt15iterator_traitsISJ_E10value_typeEPNSP_ISK_E10value_typeEPSL_NS1_7vsmem_tEENKUlT_SJ_SK_SL_E_clIPjSE_SF_SF_EESI_SY_SJ_SK_SL_EUlSY_E0_NS1_11comp_targetILNS1_3genE4ELNS1_11target_archE910ELNS1_3gpuE8ELNS1_3repE0EEENS1_38merge_mergepath_config_static_selectorELNS0_4arch9wavefront6targetE0EEEvSK_
    .private_segment_fixed_size: 0
    .sgpr_count:     0
    .sgpr_spill_count: 0
    .symbol:         _ZN7rocprim17ROCPRIM_400000_NS6detail17trampoline_kernelINS0_14default_configENS1_38merge_sort_block_merge_config_selectorIjNS0_10empty_typeEEEZZNS1_27merge_sort_block_merge_implIS3_N6thrust23THRUST_200600_302600_NS6detail15normal_iteratorINS9_10device_ptrIjEEEEPS5_m9comp_mod3IjEEE10hipError_tT0_T1_T2_jT3_P12ihipStream_tbPNSt15iterator_traitsISJ_E10value_typeEPNSP_ISK_E10value_typeEPSL_NS1_7vsmem_tEENKUlT_SJ_SK_SL_E_clIPjSE_SF_SF_EESI_SY_SJ_SK_SL_EUlSY_E0_NS1_11comp_targetILNS1_3genE4ELNS1_11target_archE910ELNS1_3gpuE8ELNS1_3repE0EEENS1_38merge_mergepath_config_static_selectorELNS0_4arch9wavefront6targetE0EEEvSK_.kd
    .uniform_work_group_size: 1
    .uses_dynamic_stack: false
    .vgpr_count:     0
    .vgpr_spill_count: 0
    .wavefront_size: 32
    .workgroup_processor_mode: 1
  - .args:
      - .offset:         0
        .size:           80
        .value_kind:     by_value
    .group_segment_fixed_size: 0
    .kernarg_segment_align: 8
    .kernarg_segment_size: 80
    .language:       OpenCL C
    .language_version:
      - 2
      - 0
    .max_flat_workgroup_size: 128
    .name:           _ZN7rocprim17ROCPRIM_400000_NS6detail17trampoline_kernelINS0_14default_configENS1_38merge_sort_block_merge_config_selectorIjNS0_10empty_typeEEEZZNS1_27merge_sort_block_merge_implIS3_N6thrust23THRUST_200600_302600_NS6detail15normal_iteratorINS9_10device_ptrIjEEEEPS5_m9comp_mod3IjEEE10hipError_tT0_T1_T2_jT3_P12ihipStream_tbPNSt15iterator_traitsISJ_E10value_typeEPNSP_ISK_E10value_typeEPSL_NS1_7vsmem_tEENKUlT_SJ_SK_SL_E_clIPjSE_SF_SF_EESI_SY_SJ_SK_SL_EUlSY_E0_NS1_11comp_targetILNS1_3genE3ELNS1_11target_archE908ELNS1_3gpuE7ELNS1_3repE0EEENS1_38merge_mergepath_config_static_selectorELNS0_4arch9wavefront6targetE0EEEvSK_
    .private_segment_fixed_size: 0
    .sgpr_count:     0
    .sgpr_spill_count: 0
    .symbol:         _ZN7rocprim17ROCPRIM_400000_NS6detail17trampoline_kernelINS0_14default_configENS1_38merge_sort_block_merge_config_selectorIjNS0_10empty_typeEEEZZNS1_27merge_sort_block_merge_implIS3_N6thrust23THRUST_200600_302600_NS6detail15normal_iteratorINS9_10device_ptrIjEEEEPS5_m9comp_mod3IjEEE10hipError_tT0_T1_T2_jT3_P12ihipStream_tbPNSt15iterator_traitsISJ_E10value_typeEPNSP_ISK_E10value_typeEPSL_NS1_7vsmem_tEENKUlT_SJ_SK_SL_E_clIPjSE_SF_SF_EESI_SY_SJ_SK_SL_EUlSY_E0_NS1_11comp_targetILNS1_3genE3ELNS1_11target_archE908ELNS1_3gpuE7ELNS1_3repE0EEENS1_38merge_mergepath_config_static_selectorELNS0_4arch9wavefront6targetE0EEEvSK_.kd
    .uniform_work_group_size: 1
    .uses_dynamic_stack: false
    .vgpr_count:     0
    .vgpr_spill_count: 0
    .wavefront_size: 32
    .workgroup_processor_mode: 1
  - .args:
      - .offset:         0
        .size:           80
        .value_kind:     by_value
    .group_segment_fixed_size: 0
    .kernarg_segment_align: 8
    .kernarg_segment_size: 80
    .language:       OpenCL C
    .language_version:
      - 2
      - 0
    .max_flat_workgroup_size: 128
    .name:           _ZN7rocprim17ROCPRIM_400000_NS6detail17trampoline_kernelINS0_14default_configENS1_38merge_sort_block_merge_config_selectorIjNS0_10empty_typeEEEZZNS1_27merge_sort_block_merge_implIS3_N6thrust23THRUST_200600_302600_NS6detail15normal_iteratorINS9_10device_ptrIjEEEEPS5_m9comp_mod3IjEEE10hipError_tT0_T1_T2_jT3_P12ihipStream_tbPNSt15iterator_traitsISJ_E10value_typeEPNSP_ISK_E10value_typeEPSL_NS1_7vsmem_tEENKUlT_SJ_SK_SL_E_clIPjSE_SF_SF_EESI_SY_SJ_SK_SL_EUlSY_E0_NS1_11comp_targetILNS1_3genE2ELNS1_11target_archE906ELNS1_3gpuE6ELNS1_3repE0EEENS1_38merge_mergepath_config_static_selectorELNS0_4arch9wavefront6targetE0EEEvSK_
    .private_segment_fixed_size: 0
    .sgpr_count:     0
    .sgpr_spill_count: 0
    .symbol:         _ZN7rocprim17ROCPRIM_400000_NS6detail17trampoline_kernelINS0_14default_configENS1_38merge_sort_block_merge_config_selectorIjNS0_10empty_typeEEEZZNS1_27merge_sort_block_merge_implIS3_N6thrust23THRUST_200600_302600_NS6detail15normal_iteratorINS9_10device_ptrIjEEEEPS5_m9comp_mod3IjEEE10hipError_tT0_T1_T2_jT3_P12ihipStream_tbPNSt15iterator_traitsISJ_E10value_typeEPNSP_ISK_E10value_typeEPSL_NS1_7vsmem_tEENKUlT_SJ_SK_SL_E_clIPjSE_SF_SF_EESI_SY_SJ_SK_SL_EUlSY_E0_NS1_11comp_targetILNS1_3genE2ELNS1_11target_archE906ELNS1_3gpuE6ELNS1_3repE0EEENS1_38merge_mergepath_config_static_selectorELNS0_4arch9wavefront6targetE0EEEvSK_.kd
    .uniform_work_group_size: 1
    .uses_dynamic_stack: false
    .vgpr_count:     0
    .vgpr_spill_count: 0
    .wavefront_size: 32
    .workgroup_processor_mode: 1
  - .args:
      - .offset:         0
        .size:           80
        .value_kind:     by_value
    .group_segment_fixed_size: 0
    .kernarg_segment_align: 8
    .kernarg_segment_size: 80
    .language:       OpenCL C
    .language_version:
      - 2
      - 0
    .max_flat_workgroup_size: 256
    .name:           _ZN7rocprim17ROCPRIM_400000_NS6detail17trampoline_kernelINS0_14default_configENS1_38merge_sort_block_merge_config_selectorIjNS0_10empty_typeEEEZZNS1_27merge_sort_block_merge_implIS3_N6thrust23THRUST_200600_302600_NS6detail15normal_iteratorINS9_10device_ptrIjEEEEPS5_m9comp_mod3IjEEE10hipError_tT0_T1_T2_jT3_P12ihipStream_tbPNSt15iterator_traitsISJ_E10value_typeEPNSP_ISK_E10value_typeEPSL_NS1_7vsmem_tEENKUlT_SJ_SK_SL_E_clIPjSE_SF_SF_EESI_SY_SJ_SK_SL_EUlSY_E0_NS1_11comp_targetILNS1_3genE9ELNS1_11target_archE1100ELNS1_3gpuE3ELNS1_3repE0EEENS1_38merge_mergepath_config_static_selectorELNS0_4arch9wavefront6targetE0EEEvSK_
    .private_segment_fixed_size: 0
    .sgpr_count:     0
    .sgpr_spill_count: 0
    .symbol:         _ZN7rocprim17ROCPRIM_400000_NS6detail17trampoline_kernelINS0_14default_configENS1_38merge_sort_block_merge_config_selectorIjNS0_10empty_typeEEEZZNS1_27merge_sort_block_merge_implIS3_N6thrust23THRUST_200600_302600_NS6detail15normal_iteratorINS9_10device_ptrIjEEEEPS5_m9comp_mod3IjEEE10hipError_tT0_T1_T2_jT3_P12ihipStream_tbPNSt15iterator_traitsISJ_E10value_typeEPNSP_ISK_E10value_typeEPSL_NS1_7vsmem_tEENKUlT_SJ_SK_SL_E_clIPjSE_SF_SF_EESI_SY_SJ_SK_SL_EUlSY_E0_NS1_11comp_targetILNS1_3genE9ELNS1_11target_archE1100ELNS1_3gpuE3ELNS1_3repE0EEENS1_38merge_mergepath_config_static_selectorELNS0_4arch9wavefront6targetE0EEEvSK_.kd
    .uniform_work_group_size: 1
    .uses_dynamic_stack: false
    .vgpr_count:     0
    .vgpr_spill_count: 0
    .wavefront_size: 32
    .workgroup_processor_mode: 1
  - .args:
      - .offset:         0
        .size:           80
        .value_kind:     by_value
      - .offset:         80
        .size:           4
        .value_kind:     hidden_block_count_x
      - .offset:         84
        .size:           4
        .value_kind:     hidden_block_count_y
      - .offset:         88
        .size:           4
        .value_kind:     hidden_block_count_z
      - .offset:         92
        .size:           2
        .value_kind:     hidden_group_size_x
      - .offset:         94
        .size:           2
        .value_kind:     hidden_group_size_y
      - .offset:         96
        .size:           2
        .value_kind:     hidden_group_size_z
      - .offset:         98
        .size:           2
        .value_kind:     hidden_remainder_x
      - .offset:         100
        .size:           2
        .value_kind:     hidden_remainder_y
      - .offset:         102
        .size:           2
        .value_kind:     hidden_remainder_z
      - .offset:         120
        .size:           8
        .value_kind:     hidden_global_offset_x
      - .offset:         128
        .size:           8
        .value_kind:     hidden_global_offset_y
      - .offset:         136
        .size:           8
        .value_kind:     hidden_global_offset_z
      - .offset:         144
        .size:           2
        .value_kind:     hidden_grid_dims
    .group_segment_fixed_size: 4224
    .kernarg_segment_align: 8
    .kernarg_segment_size: 336
    .language:       OpenCL C
    .language_version:
      - 2
      - 0
    .max_flat_workgroup_size: 512
    .name:           _ZN7rocprim17ROCPRIM_400000_NS6detail17trampoline_kernelINS0_14default_configENS1_38merge_sort_block_merge_config_selectorIjNS0_10empty_typeEEEZZNS1_27merge_sort_block_merge_implIS3_N6thrust23THRUST_200600_302600_NS6detail15normal_iteratorINS9_10device_ptrIjEEEEPS5_m9comp_mod3IjEEE10hipError_tT0_T1_T2_jT3_P12ihipStream_tbPNSt15iterator_traitsISJ_E10value_typeEPNSP_ISK_E10value_typeEPSL_NS1_7vsmem_tEENKUlT_SJ_SK_SL_E_clIPjSE_SF_SF_EESI_SY_SJ_SK_SL_EUlSY_E0_NS1_11comp_targetILNS1_3genE8ELNS1_11target_archE1030ELNS1_3gpuE2ELNS1_3repE0EEENS1_38merge_mergepath_config_static_selectorELNS0_4arch9wavefront6targetE0EEEvSK_
    .private_segment_fixed_size: 0
    .sgpr_count:     34
    .sgpr_spill_count: 0
    .symbol:         _ZN7rocprim17ROCPRIM_400000_NS6detail17trampoline_kernelINS0_14default_configENS1_38merge_sort_block_merge_config_selectorIjNS0_10empty_typeEEEZZNS1_27merge_sort_block_merge_implIS3_N6thrust23THRUST_200600_302600_NS6detail15normal_iteratorINS9_10device_ptrIjEEEEPS5_m9comp_mod3IjEEE10hipError_tT0_T1_T2_jT3_P12ihipStream_tbPNSt15iterator_traitsISJ_E10value_typeEPNSP_ISK_E10value_typeEPSL_NS1_7vsmem_tEENKUlT_SJ_SK_SL_E_clIPjSE_SF_SF_EESI_SY_SJ_SK_SL_EUlSY_E0_NS1_11comp_targetILNS1_3genE8ELNS1_11target_archE1030ELNS1_3gpuE2ELNS1_3repE0EEENS1_38merge_mergepath_config_static_selectorELNS0_4arch9wavefront6targetE0EEEvSK_.kd
    .uniform_work_group_size: 1
    .uses_dynamic_stack: false
    .vgpr_count:     15
    .vgpr_spill_count: 0
    .wavefront_size: 32
    .workgroup_processor_mode: 1
  - .args:
      - .offset:         0
        .size:           56
        .value_kind:     by_value
    .group_segment_fixed_size: 0
    .kernarg_segment_align: 8
    .kernarg_segment_size: 56
    .language:       OpenCL C
    .language_version:
      - 2
      - 0
    .max_flat_workgroup_size: 256
    .name:           _ZN7rocprim17ROCPRIM_400000_NS6detail17trampoline_kernelINS0_14default_configENS1_38merge_sort_block_merge_config_selectorIjNS0_10empty_typeEEEZZNS1_27merge_sort_block_merge_implIS3_N6thrust23THRUST_200600_302600_NS6detail15normal_iteratorINS9_10device_ptrIjEEEEPS5_m9comp_mod3IjEEE10hipError_tT0_T1_T2_jT3_P12ihipStream_tbPNSt15iterator_traitsISJ_E10value_typeEPNSP_ISK_E10value_typeEPSL_NS1_7vsmem_tEENKUlT_SJ_SK_SL_E_clIPjSE_SF_SF_EESI_SY_SJ_SK_SL_EUlSY_E1_NS1_11comp_targetILNS1_3genE0ELNS1_11target_archE4294967295ELNS1_3gpuE0ELNS1_3repE0EEENS1_36merge_oddeven_config_static_selectorELNS0_4arch9wavefront6targetE0EEEvSK_
    .private_segment_fixed_size: 0
    .sgpr_count:     0
    .sgpr_spill_count: 0
    .symbol:         _ZN7rocprim17ROCPRIM_400000_NS6detail17trampoline_kernelINS0_14default_configENS1_38merge_sort_block_merge_config_selectorIjNS0_10empty_typeEEEZZNS1_27merge_sort_block_merge_implIS3_N6thrust23THRUST_200600_302600_NS6detail15normal_iteratorINS9_10device_ptrIjEEEEPS5_m9comp_mod3IjEEE10hipError_tT0_T1_T2_jT3_P12ihipStream_tbPNSt15iterator_traitsISJ_E10value_typeEPNSP_ISK_E10value_typeEPSL_NS1_7vsmem_tEENKUlT_SJ_SK_SL_E_clIPjSE_SF_SF_EESI_SY_SJ_SK_SL_EUlSY_E1_NS1_11comp_targetILNS1_3genE0ELNS1_11target_archE4294967295ELNS1_3gpuE0ELNS1_3repE0EEENS1_36merge_oddeven_config_static_selectorELNS0_4arch9wavefront6targetE0EEEvSK_.kd
    .uniform_work_group_size: 1
    .uses_dynamic_stack: false
    .vgpr_count:     0
    .vgpr_spill_count: 0
    .wavefront_size: 32
    .workgroup_processor_mode: 1
  - .args:
      - .offset:         0
        .size:           56
        .value_kind:     by_value
    .group_segment_fixed_size: 0
    .kernarg_segment_align: 8
    .kernarg_segment_size: 56
    .language:       OpenCL C
    .language_version:
      - 2
      - 0
    .max_flat_workgroup_size: 256
    .name:           _ZN7rocprim17ROCPRIM_400000_NS6detail17trampoline_kernelINS0_14default_configENS1_38merge_sort_block_merge_config_selectorIjNS0_10empty_typeEEEZZNS1_27merge_sort_block_merge_implIS3_N6thrust23THRUST_200600_302600_NS6detail15normal_iteratorINS9_10device_ptrIjEEEEPS5_m9comp_mod3IjEEE10hipError_tT0_T1_T2_jT3_P12ihipStream_tbPNSt15iterator_traitsISJ_E10value_typeEPNSP_ISK_E10value_typeEPSL_NS1_7vsmem_tEENKUlT_SJ_SK_SL_E_clIPjSE_SF_SF_EESI_SY_SJ_SK_SL_EUlSY_E1_NS1_11comp_targetILNS1_3genE10ELNS1_11target_archE1201ELNS1_3gpuE5ELNS1_3repE0EEENS1_36merge_oddeven_config_static_selectorELNS0_4arch9wavefront6targetE0EEEvSK_
    .private_segment_fixed_size: 0
    .sgpr_count:     0
    .sgpr_spill_count: 0
    .symbol:         _ZN7rocprim17ROCPRIM_400000_NS6detail17trampoline_kernelINS0_14default_configENS1_38merge_sort_block_merge_config_selectorIjNS0_10empty_typeEEEZZNS1_27merge_sort_block_merge_implIS3_N6thrust23THRUST_200600_302600_NS6detail15normal_iteratorINS9_10device_ptrIjEEEEPS5_m9comp_mod3IjEEE10hipError_tT0_T1_T2_jT3_P12ihipStream_tbPNSt15iterator_traitsISJ_E10value_typeEPNSP_ISK_E10value_typeEPSL_NS1_7vsmem_tEENKUlT_SJ_SK_SL_E_clIPjSE_SF_SF_EESI_SY_SJ_SK_SL_EUlSY_E1_NS1_11comp_targetILNS1_3genE10ELNS1_11target_archE1201ELNS1_3gpuE5ELNS1_3repE0EEENS1_36merge_oddeven_config_static_selectorELNS0_4arch9wavefront6targetE0EEEvSK_.kd
    .uniform_work_group_size: 1
    .uses_dynamic_stack: false
    .vgpr_count:     0
    .vgpr_spill_count: 0
    .wavefront_size: 32
    .workgroup_processor_mode: 1
  - .args:
      - .offset:         0
        .size:           56
        .value_kind:     by_value
    .group_segment_fixed_size: 0
    .kernarg_segment_align: 8
    .kernarg_segment_size: 56
    .language:       OpenCL C
    .language_version:
      - 2
      - 0
    .max_flat_workgroup_size: 256
    .name:           _ZN7rocprim17ROCPRIM_400000_NS6detail17trampoline_kernelINS0_14default_configENS1_38merge_sort_block_merge_config_selectorIjNS0_10empty_typeEEEZZNS1_27merge_sort_block_merge_implIS3_N6thrust23THRUST_200600_302600_NS6detail15normal_iteratorINS9_10device_ptrIjEEEEPS5_m9comp_mod3IjEEE10hipError_tT0_T1_T2_jT3_P12ihipStream_tbPNSt15iterator_traitsISJ_E10value_typeEPNSP_ISK_E10value_typeEPSL_NS1_7vsmem_tEENKUlT_SJ_SK_SL_E_clIPjSE_SF_SF_EESI_SY_SJ_SK_SL_EUlSY_E1_NS1_11comp_targetILNS1_3genE5ELNS1_11target_archE942ELNS1_3gpuE9ELNS1_3repE0EEENS1_36merge_oddeven_config_static_selectorELNS0_4arch9wavefront6targetE0EEEvSK_
    .private_segment_fixed_size: 0
    .sgpr_count:     0
    .sgpr_spill_count: 0
    .symbol:         _ZN7rocprim17ROCPRIM_400000_NS6detail17trampoline_kernelINS0_14default_configENS1_38merge_sort_block_merge_config_selectorIjNS0_10empty_typeEEEZZNS1_27merge_sort_block_merge_implIS3_N6thrust23THRUST_200600_302600_NS6detail15normal_iteratorINS9_10device_ptrIjEEEEPS5_m9comp_mod3IjEEE10hipError_tT0_T1_T2_jT3_P12ihipStream_tbPNSt15iterator_traitsISJ_E10value_typeEPNSP_ISK_E10value_typeEPSL_NS1_7vsmem_tEENKUlT_SJ_SK_SL_E_clIPjSE_SF_SF_EESI_SY_SJ_SK_SL_EUlSY_E1_NS1_11comp_targetILNS1_3genE5ELNS1_11target_archE942ELNS1_3gpuE9ELNS1_3repE0EEENS1_36merge_oddeven_config_static_selectorELNS0_4arch9wavefront6targetE0EEEvSK_.kd
    .uniform_work_group_size: 1
    .uses_dynamic_stack: false
    .vgpr_count:     0
    .vgpr_spill_count: 0
    .wavefront_size: 32
    .workgroup_processor_mode: 1
  - .args:
      - .offset:         0
        .size:           56
        .value_kind:     by_value
    .group_segment_fixed_size: 0
    .kernarg_segment_align: 8
    .kernarg_segment_size: 56
    .language:       OpenCL C
    .language_version:
      - 2
      - 0
    .max_flat_workgroup_size: 256
    .name:           _ZN7rocprim17ROCPRIM_400000_NS6detail17trampoline_kernelINS0_14default_configENS1_38merge_sort_block_merge_config_selectorIjNS0_10empty_typeEEEZZNS1_27merge_sort_block_merge_implIS3_N6thrust23THRUST_200600_302600_NS6detail15normal_iteratorINS9_10device_ptrIjEEEEPS5_m9comp_mod3IjEEE10hipError_tT0_T1_T2_jT3_P12ihipStream_tbPNSt15iterator_traitsISJ_E10value_typeEPNSP_ISK_E10value_typeEPSL_NS1_7vsmem_tEENKUlT_SJ_SK_SL_E_clIPjSE_SF_SF_EESI_SY_SJ_SK_SL_EUlSY_E1_NS1_11comp_targetILNS1_3genE4ELNS1_11target_archE910ELNS1_3gpuE8ELNS1_3repE0EEENS1_36merge_oddeven_config_static_selectorELNS0_4arch9wavefront6targetE0EEEvSK_
    .private_segment_fixed_size: 0
    .sgpr_count:     0
    .sgpr_spill_count: 0
    .symbol:         _ZN7rocprim17ROCPRIM_400000_NS6detail17trampoline_kernelINS0_14default_configENS1_38merge_sort_block_merge_config_selectorIjNS0_10empty_typeEEEZZNS1_27merge_sort_block_merge_implIS3_N6thrust23THRUST_200600_302600_NS6detail15normal_iteratorINS9_10device_ptrIjEEEEPS5_m9comp_mod3IjEEE10hipError_tT0_T1_T2_jT3_P12ihipStream_tbPNSt15iterator_traitsISJ_E10value_typeEPNSP_ISK_E10value_typeEPSL_NS1_7vsmem_tEENKUlT_SJ_SK_SL_E_clIPjSE_SF_SF_EESI_SY_SJ_SK_SL_EUlSY_E1_NS1_11comp_targetILNS1_3genE4ELNS1_11target_archE910ELNS1_3gpuE8ELNS1_3repE0EEENS1_36merge_oddeven_config_static_selectorELNS0_4arch9wavefront6targetE0EEEvSK_.kd
    .uniform_work_group_size: 1
    .uses_dynamic_stack: false
    .vgpr_count:     0
    .vgpr_spill_count: 0
    .wavefront_size: 32
    .workgroup_processor_mode: 1
  - .args:
      - .offset:         0
        .size:           56
        .value_kind:     by_value
    .group_segment_fixed_size: 0
    .kernarg_segment_align: 8
    .kernarg_segment_size: 56
    .language:       OpenCL C
    .language_version:
      - 2
      - 0
    .max_flat_workgroup_size: 256
    .name:           _ZN7rocprim17ROCPRIM_400000_NS6detail17trampoline_kernelINS0_14default_configENS1_38merge_sort_block_merge_config_selectorIjNS0_10empty_typeEEEZZNS1_27merge_sort_block_merge_implIS3_N6thrust23THRUST_200600_302600_NS6detail15normal_iteratorINS9_10device_ptrIjEEEEPS5_m9comp_mod3IjEEE10hipError_tT0_T1_T2_jT3_P12ihipStream_tbPNSt15iterator_traitsISJ_E10value_typeEPNSP_ISK_E10value_typeEPSL_NS1_7vsmem_tEENKUlT_SJ_SK_SL_E_clIPjSE_SF_SF_EESI_SY_SJ_SK_SL_EUlSY_E1_NS1_11comp_targetILNS1_3genE3ELNS1_11target_archE908ELNS1_3gpuE7ELNS1_3repE0EEENS1_36merge_oddeven_config_static_selectorELNS0_4arch9wavefront6targetE0EEEvSK_
    .private_segment_fixed_size: 0
    .sgpr_count:     0
    .sgpr_spill_count: 0
    .symbol:         _ZN7rocprim17ROCPRIM_400000_NS6detail17trampoline_kernelINS0_14default_configENS1_38merge_sort_block_merge_config_selectorIjNS0_10empty_typeEEEZZNS1_27merge_sort_block_merge_implIS3_N6thrust23THRUST_200600_302600_NS6detail15normal_iteratorINS9_10device_ptrIjEEEEPS5_m9comp_mod3IjEEE10hipError_tT0_T1_T2_jT3_P12ihipStream_tbPNSt15iterator_traitsISJ_E10value_typeEPNSP_ISK_E10value_typeEPSL_NS1_7vsmem_tEENKUlT_SJ_SK_SL_E_clIPjSE_SF_SF_EESI_SY_SJ_SK_SL_EUlSY_E1_NS1_11comp_targetILNS1_3genE3ELNS1_11target_archE908ELNS1_3gpuE7ELNS1_3repE0EEENS1_36merge_oddeven_config_static_selectorELNS0_4arch9wavefront6targetE0EEEvSK_.kd
    .uniform_work_group_size: 1
    .uses_dynamic_stack: false
    .vgpr_count:     0
    .vgpr_spill_count: 0
    .wavefront_size: 32
    .workgroup_processor_mode: 1
  - .args:
      - .offset:         0
        .size:           56
        .value_kind:     by_value
    .group_segment_fixed_size: 0
    .kernarg_segment_align: 8
    .kernarg_segment_size: 56
    .language:       OpenCL C
    .language_version:
      - 2
      - 0
    .max_flat_workgroup_size: 256
    .name:           _ZN7rocprim17ROCPRIM_400000_NS6detail17trampoline_kernelINS0_14default_configENS1_38merge_sort_block_merge_config_selectorIjNS0_10empty_typeEEEZZNS1_27merge_sort_block_merge_implIS3_N6thrust23THRUST_200600_302600_NS6detail15normal_iteratorINS9_10device_ptrIjEEEEPS5_m9comp_mod3IjEEE10hipError_tT0_T1_T2_jT3_P12ihipStream_tbPNSt15iterator_traitsISJ_E10value_typeEPNSP_ISK_E10value_typeEPSL_NS1_7vsmem_tEENKUlT_SJ_SK_SL_E_clIPjSE_SF_SF_EESI_SY_SJ_SK_SL_EUlSY_E1_NS1_11comp_targetILNS1_3genE2ELNS1_11target_archE906ELNS1_3gpuE6ELNS1_3repE0EEENS1_36merge_oddeven_config_static_selectorELNS0_4arch9wavefront6targetE0EEEvSK_
    .private_segment_fixed_size: 0
    .sgpr_count:     0
    .sgpr_spill_count: 0
    .symbol:         _ZN7rocprim17ROCPRIM_400000_NS6detail17trampoline_kernelINS0_14default_configENS1_38merge_sort_block_merge_config_selectorIjNS0_10empty_typeEEEZZNS1_27merge_sort_block_merge_implIS3_N6thrust23THRUST_200600_302600_NS6detail15normal_iteratorINS9_10device_ptrIjEEEEPS5_m9comp_mod3IjEEE10hipError_tT0_T1_T2_jT3_P12ihipStream_tbPNSt15iterator_traitsISJ_E10value_typeEPNSP_ISK_E10value_typeEPSL_NS1_7vsmem_tEENKUlT_SJ_SK_SL_E_clIPjSE_SF_SF_EESI_SY_SJ_SK_SL_EUlSY_E1_NS1_11comp_targetILNS1_3genE2ELNS1_11target_archE906ELNS1_3gpuE6ELNS1_3repE0EEENS1_36merge_oddeven_config_static_selectorELNS0_4arch9wavefront6targetE0EEEvSK_.kd
    .uniform_work_group_size: 1
    .uses_dynamic_stack: false
    .vgpr_count:     0
    .vgpr_spill_count: 0
    .wavefront_size: 32
    .workgroup_processor_mode: 1
  - .args:
      - .offset:         0
        .size:           56
        .value_kind:     by_value
    .group_segment_fixed_size: 0
    .kernarg_segment_align: 8
    .kernarg_segment_size: 56
    .language:       OpenCL C
    .language_version:
      - 2
      - 0
    .max_flat_workgroup_size: 256
    .name:           _ZN7rocprim17ROCPRIM_400000_NS6detail17trampoline_kernelINS0_14default_configENS1_38merge_sort_block_merge_config_selectorIjNS0_10empty_typeEEEZZNS1_27merge_sort_block_merge_implIS3_N6thrust23THRUST_200600_302600_NS6detail15normal_iteratorINS9_10device_ptrIjEEEEPS5_m9comp_mod3IjEEE10hipError_tT0_T1_T2_jT3_P12ihipStream_tbPNSt15iterator_traitsISJ_E10value_typeEPNSP_ISK_E10value_typeEPSL_NS1_7vsmem_tEENKUlT_SJ_SK_SL_E_clIPjSE_SF_SF_EESI_SY_SJ_SK_SL_EUlSY_E1_NS1_11comp_targetILNS1_3genE9ELNS1_11target_archE1100ELNS1_3gpuE3ELNS1_3repE0EEENS1_36merge_oddeven_config_static_selectorELNS0_4arch9wavefront6targetE0EEEvSK_
    .private_segment_fixed_size: 0
    .sgpr_count:     0
    .sgpr_spill_count: 0
    .symbol:         _ZN7rocprim17ROCPRIM_400000_NS6detail17trampoline_kernelINS0_14default_configENS1_38merge_sort_block_merge_config_selectorIjNS0_10empty_typeEEEZZNS1_27merge_sort_block_merge_implIS3_N6thrust23THRUST_200600_302600_NS6detail15normal_iteratorINS9_10device_ptrIjEEEEPS5_m9comp_mod3IjEEE10hipError_tT0_T1_T2_jT3_P12ihipStream_tbPNSt15iterator_traitsISJ_E10value_typeEPNSP_ISK_E10value_typeEPSL_NS1_7vsmem_tEENKUlT_SJ_SK_SL_E_clIPjSE_SF_SF_EESI_SY_SJ_SK_SL_EUlSY_E1_NS1_11comp_targetILNS1_3genE9ELNS1_11target_archE1100ELNS1_3gpuE3ELNS1_3repE0EEENS1_36merge_oddeven_config_static_selectorELNS0_4arch9wavefront6targetE0EEEvSK_.kd
    .uniform_work_group_size: 1
    .uses_dynamic_stack: false
    .vgpr_count:     0
    .vgpr_spill_count: 0
    .wavefront_size: 32
    .workgroup_processor_mode: 1
  - .args:
      - .offset:         0
        .size:           56
        .value_kind:     by_value
    .group_segment_fixed_size: 0
    .kernarg_segment_align: 8
    .kernarg_segment_size: 56
    .language:       OpenCL C
    .language_version:
      - 2
      - 0
    .max_flat_workgroup_size: 256
    .name:           _ZN7rocprim17ROCPRIM_400000_NS6detail17trampoline_kernelINS0_14default_configENS1_38merge_sort_block_merge_config_selectorIjNS0_10empty_typeEEEZZNS1_27merge_sort_block_merge_implIS3_N6thrust23THRUST_200600_302600_NS6detail15normal_iteratorINS9_10device_ptrIjEEEEPS5_m9comp_mod3IjEEE10hipError_tT0_T1_T2_jT3_P12ihipStream_tbPNSt15iterator_traitsISJ_E10value_typeEPNSP_ISK_E10value_typeEPSL_NS1_7vsmem_tEENKUlT_SJ_SK_SL_E_clIPjSE_SF_SF_EESI_SY_SJ_SK_SL_EUlSY_E1_NS1_11comp_targetILNS1_3genE8ELNS1_11target_archE1030ELNS1_3gpuE2ELNS1_3repE0EEENS1_36merge_oddeven_config_static_selectorELNS0_4arch9wavefront6targetE0EEEvSK_
    .private_segment_fixed_size: 0
    .sgpr_count:     20
    .sgpr_spill_count: 0
    .symbol:         _ZN7rocprim17ROCPRIM_400000_NS6detail17trampoline_kernelINS0_14default_configENS1_38merge_sort_block_merge_config_selectorIjNS0_10empty_typeEEEZZNS1_27merge_sort_block_merge_implIS3_N6thrust23THRUST_200600_302600_NS6detail15normal_iteratorINS9_10device_ptrIjEEEEPS5_m9comp_mod3IjEEE10hipError_tT0_T1_T2_jT3_P12ihipStream_tbPNSt15iterator_traitsISJ_E10value_typeEPNSP_ISK_E10value_typeEPSL_NS1_7vsmem_tEENKUlT_SJ_SK_SL_E_clIPjSE_SF_SF_EESI_SY_SJ_SK_SL_EUlSY_E1_NS1_11comp_targetILNS1_3genE8ELNS1_11target_archE1030ELNS1_3gpuE2ELNS1_3repE0EEENS1_36merge_oddeven_config_static_selectorELNS0_4arch9wavefront6targetE0EEEvSK_.kd
    .uniform_work_group_size: 1
    .uses_dynamic_stack: false
    .vgpr_count:     13
    .vgpr_spill_count: 0
    .wavefront_size: 32
    .workgroup_processor_mode: 1
  - .args:
      - .offset:         0
        .size:           48
        .value_kind:     by_value
    .group_segment_fixed_size: 0
    .kernarg_segment_align: 8
    .kernarg_segment_size: 48
    .language:       OpenCL C
    .language_version:
      - 2
      - 0
    .max_flat_workgroup_size: 128
    .name:           _ZN7rocprim17ROCPRIM_400000_NS6detail17trampoline_kernelINS0_14default_configENS1_38merge_sort_block_merge_config_selectorIjNS0_10empty_typeEEEZZNS1_27merge_sort_block_merge_implIS3_N6thrust23THRUST_200600_302600_NS6detail15normal_iteratorINS9_10device_ptrIjEEEEPS5_m9comp_mod3IjEEE10hipError_tT0_T1_T2_jT3_P12ihipStream_tbPNSt15iterator_traitsISJ_E10value_typeEPNSP_ISK_E10value_typeEPSL_NS1_7vsmem_tEENKUlT_SJ_SK_SL_E_clISE_PjSF_SF_EESI_SY_SJ_SK_SL_EUlSY_E_NS1_11comp_targetILNS1_3genE0ELNS1_11target_archE4294967295ELNS1_3gpuE0ELNS1_3repE0EEENS1_48merge_mergepath_partition_config_static_selectorELNS0_4arch9wavefront6targetE0EEEvSK_
    .private_segment_fixed_size: 0
    .sgpr_count:     0
    .sgpr_spill_count: 0
    .symbol:         _ZN7rocprim17ROCPRIM_400000_NS6detail17trampoline_kernelINS0_14default_configENS1_38merge_sort_block_merge_config_selectorIjNS0_10empty_typeEEEZZNS1_27merge_sort_block_merge_implIS3_N6thrust23THRUST_200600_302600_NS6detail15normal_iteratorINS9_10device_ptrIjEEEEPS5_m9comp_mod3IjEEE10hipError_tT0_T1_T2_jT3_P12ihipStream_tbPNSt15iterator_traitsISJ_E10value_typeEPNSP_ISK_E10value_typeEPSL_NS1_7vsmem_tEENKUlT_SJ_SK_SL_E_clISE_PjSF_SF_EESI_SY_SJ_SK_SL_EUlSY_E_NS1_11comp_targetILNS1_3genE0ELNS1_11target_archE4294967295ELNS1_3gpuE0ELNS1_3repE0EEENS1_48merge_mergepath_partition_config_static_selectorELNS0_4arch9wavefront6targetE0EEEvSK_.kd
    .uniform_work_group_size: 1
    .uses_dynamic_stack: false
    .vgpr_count:     0
    .vgpr_spill_count: 0
    .wavefront_size: 32
    .workgroup_processor_mode: 1
  - .args:
      - .offset:         0
        .size:           48
        .value_kind:     by_value
    .group_segment_fixed_size: 0
    .kernarg_segment_align: 8
    .kernarg_segment_size: 48
    .language:       OpenCL C
    .language_version:
      - 2
      - 0
    .max_flat_workgroup_size: 128
    .name:           _ZN7rocprim17ROCPRIM_400000_NS6detail17trampoline_kernelINS0_14default_configENS1_38merge_sort_block_merge_config_selectorIjNS0_10empty_typeEEEZZNS1_27merge_sort_block_merge_implIS3_N6thrust23THRUST_200600_302600_NS6detail15normal_iteratorINS9_10device_ptrIjEEEEPS5_m9comp_mod3IjEEE10hipError_tT0_T1_T2_jT3_P12ihipStream_tbPNSt15iterator_traitsISJ_E10value_typeEPNSP_ISK_E10value_typeEPSL_NS1_7vsmem_tEENKUlT_SJ_SK_SL_E_clISE_PjSF_SF_EESI_SY_SJ_SK_SL_EUlSY_E_NS1_11comp_targetILNS1_3genE10ELNS1_11target_archE1201ELNS1_3gpuE5ELNS1_3repE0EEENS1_48merge_mergepath_partition_config_static_selectorELNS0_4arch9wavefront6targetE0EEEvSK_
    .private_segment_fixed_size: 0
    .sgpr_count:     0
    .sgpr_spill_count: 0
    .symbol:         _ZN7rocprim17ROCPRIM_400000_NS6detail17trampoline_kernelINS0_14default_configENS1_38merge_sort_block_merge_config_selectorIjNS0_10empty_typeEEEZZNS1_27merge_sort_block_merge_implIS3_N6thrust23THRUST_200600_302600_NS6detail15normal_iteratorINS9_10device_ptrIjEEEEPS5_m9comp_mod3IjEEE10hipError_tT0_T1_T2_jT3_P12ihipStream_tbPNSt15iterator_traitsISJ_E10value_typeEPNSP_ISK_E10value_typeEPSL_NS1_7vsmem_tEENKUlT_SJ_SK_SL_E_clISE_PjSF_SF_EESI_SY_SJ_SK_SL_EUlSY_E_NS1_11comp_targetILNS1_3genE10ELNS1_11target_archE1201ELNS1_3gpuE5ELNS1_3repE0EEENS1_48merge_mergepath_partition_config_static_selectorELNS0_4arch9wavefront6targetE0EEEvSK_.kd
    .uniform_work_group_size: 1
    .uses_dynamic_stack: false
    .vgpr_count:     0
    .vgpr_spill_count: 0
    .wavefront_size: 32
    .workgroup_processor_mode: 1
  - .args:
      - .offset:         0
        .size:           48
        .value_kind:     by_value
    .group_segment_fixed_size: 0
    .kernarg_segment_align: 8
    .kernarg_segment_size: 48
    .language:       OpenCL C
    .language_version:
      - 2
      - 0
    .max_flat_workgroup_size: 128
    .name:           _ZN7rocprim17ROCPRIM_400000_NS6detail17trampoline_kernelINS0_14default_configENS1_38merge_sort_block_merge_config_selectorIjNS0_10empty_typeEEEZZNS1_27merge_sort_block_merge_implIS3_N6thrust23THRUST_200600_302600_NS6detail15normal_iteratorINS9_10device_ptrIjEEEEPS5_m9comp_mod3IjEEE10hipError_tT0_T1_T2_jT3_P12ihipStream_tbPNSt15iterator_traitsISJ_E10value_typeEPNSP_ISK_E10value_typeEPSL_NS1_7vsmem_tEENKUlT_SJ_SK_SL_E_clISE_PjSF_SF_EESI_SY_SJ_SK_SL_EUlSY_E_NS1_11comp_targetILNS1_3genE5ELNS1_11target_archE942ELNS1_3gpuE9ELNS1_3repE0EEENS1_48merge_mergepath_partition_config_static_selectorELNS0_4arch9wavefront6targetE0EEEvSK_
    .private_segment_fixed_size: 0
    .sgpr_count:     0
    .sgpr_spill_count: 0
    .symbol:         _ZN7rocprim17ROCPRIM_400000_NS6detail17trampoline_kernelINS0_14default_configENS1_38merge_sort_block_merge_config_selectorIjNS0_10empty_typeEEEZZNS1_27merge_sort_block_merge_implIS3_N6thrust23THRUST_200600_302600_NS6detail15normal_iteratorINS9_10device_ptrIjEEEEPS5_m9comp_mod3IjEEE10hipError_tT0_T1_T2_jT3_P12ihipStream_tbPNSt15iterator_traitsISJ_E10value_typeEPNSP_ISK_E10value_typeEPSL_NS1_7vsmem_tEENKUlT_SJ_SK_SL_E_clISE_PjSF_SF_EESI_SY_SJ_SK_SL_EUlSY_E_NS1_11comp_targetILNS1_3genE5ELNS1_11target_archE942ELNS1_3gpuE9ELNS1_3repE0EEENS1_48merge_mergepath_partition_config_static_selectorELNS0_4arch9wavefront6targetE0EEEvSK_.kd
    .uniform_work_group_size: 1
    .uses_dynamic_stack: false
    .vgpr_count:     0
    .vgpr_spill_count: 0
    .wavefront_size: 32
    .workgroup_processor_mode: 1
  - .args:
      - .offset:         0
        .size:           48
        .value_kind:     by_value
    .group_segment_fixed_size: 0
    .kernarg_segment_align: 8
    .kernarg_segment_size: 48
    .language:       OpenCL C
    .language_version:
      - 2
      - 0
    .max_flat_workgroup_size: 128
    .name:           _ZN7rocprim17ROCPRIM_400000_NS6detail17trampoline_kernelINS0_14default_configENS1_38merge_sort_block_merge_config_selectorIjNS0_10empty_typeEEEZZNS1_27merge_sort_block_merge_implIS3_N6thrust23THRUST_200600_302600_NS6detail15normal_iteratorINS9_10device_ptrIjEEEEPS5_m9comp_mod3IjEEE10hipError_tT0_T1_T2_jT3_P12ihipStream_tbPNSt15iterator_traitsISJ_E10value_typeEPNSP_ISK_E10value_typeEPSL_NS1_7vsmem_tEENKUlT_SJ_SK_SL_E_clISE_PjSF_SF_EESI_SY_SJ_SK_SL_EUlSY_E_NS1_11comp_targetILNS1_3genE4ELNS1_11target_archE910ELNS1_3gpuE8ELNS1_3repE0EEENS1_48merge_mergepath_partition_config_static_selectorELNS0_4arch9wavefront6targetE0EEEvSK_
    .private_segment_fixed_size: 0
    .sgpr_count:     0
    .sgpr_spill_count: 0
    .symbol:         _ZN7rocprim17ROCPRIM_400000_NS6detail17trampoline_kernelINS0_14default_configENS1_38merge_sort_block_merge_config_selectorIjNS0_10empty_typeEEEZZNS1_27merge_sort_block_merge_implIS3_N6thrust23THRUST_200600_302600_NS6detail15normal_iteratorINS9_10device_ptrIjEEEEPS5_m9comp_mod3IjEEE10hipError_tT0_T1_T2_jT3_P12ihipStream_tbPNSt15iterator_traitsISJ_E10value_typeEPNSP_ISK_E10value_typeEPSL_NS1_7vsmem_tEENKUlT_SJ_SK_SL_E_clISE_PjSF_SF_EESI_SY_SJ_SK_SL_EUlSY_E_NS1_11comp_targetILNS1_3genE4ELNS1_11target_archE910ELNS1_3gpuE8ELNS1_3repE0EEENS1_48merge_mergepath_partition_config_static_selectorELNS0_4arch9wavefront6targetE0EEEvSK_.kd
    .uniform_work_group_size: 1
    .uses_dynamic_stack: false
    .vgpr_count:     0
    .vgpr_spill_count: 0
    .wavefront_size: 32
    .workgroup_processor_mode: 1
  - .args:
      - .offset:         0
        .size:           48
        .value_kind:     by_value
    .group_segment_fixed_size: 0
    .kernarg_segment_align: 8
    .kernarg_segment_size: 48
    .language:       OpenCL C
    .language_version:
      - 2
      - 0
    .max_flat_workgroup_size: 128
    .name:           _ZN7rocprim17ROCPRIM_400000_NS6detail17trampoline_kernelINS0_14default_configENS1_38merge_sort_block_merge_config_selectorIjNS0_10empty_typeEEEZZNS1_27merge_sort_block_merge_implIS3_N6thrust23THRUST_200600_302600_NS6detail15normal_iteratorINS9_10device_ptrIjEEEEPS5_m9comp_mod3IjEEE10hipError_tT0_T1_T2_jT3_P12ihipStream_tbPNSt15iterator_traitsISJ_E10value_typeEPNSP_ISK_E10value_typeEPSL_NS1_7vsmem_tEENKUlT_SJ_SK_SL_E_clISE_PjSF_SF_EESI_SY_SJ_SK_SL_EUlSY_E_NS1_11comp_targetILNS1_3genE3ELNS1_11target_archE908ELNS1_3gpuE7ELNS1_3repE0EEENS1_48merge_mergepath_partition_config_static_selectorELNS0_4arch9wavefront6targetE0EEEvSK_
    .private_segment_fixed_size: 0
    .sgpr_count:     0
    .sgpr_spill_count: 0
    .symbol:         _ZN7rocprim17ROCPRIM_400000_NS6detail17trampoline_kernelINS0_14default_configENS1_38merge_sort_block_merge_config_selectorIjNS0_10empty_typeEEEZZNS1_27merge_sort_block_merge_implIS3_N6thrust23THRUST_200600_302600_NS6detail15normal_iteratorINS9_10device_ptrIjEEEEPS5_m9comp_mod3IjEEE10hipError_tT0_T1_T2_jT3_P12ihipStream_tbPNSt15iterator_traitsISJ_E10value_typeEPNSP_ISK_E10value_typeEPSL_NS1_7vsmem_tEENKUlT_SJ_SK_SL_E_clISE_PjSF_SF_EESI_SY_SJ_SK_SL_EUlSY_E_NS1_11comp_targetILNS1_3genE3ELNS1_11target_archE908ELNS1_3gpuE7ELNS1_3repE0EEENS1_48merge_mergepath_partition_config_static_selectorELNS0_4arch9wavefront6targetE0EEEvSK_.kd
    .uniform_work_group_size: 1
    .uses_dynamic_stack: false
    .vgpr_count:     0
    .vgpr_spill_count: 0
    .wavefront_size: 32
    .workgroup_processor_mode: 1
  - .args:
      - .offset:         0
        .size:           48
        .value_kind:     by_value
    .group_segment_fixed_size: 0
    .kernarg_segment_align: 8
    .kernarg_segment_size: 48
    .language:       OpenCL C
    .language_version:
      - 2
      - 0
    .max_flat_workgroup_size: 128
    .name:           _ZN7rocprim17ROCPRIM_400000_NS6detail17trampoline_kernelINS0_14default_configENS1_38merge_sort_block_merge_config_selectorIjNS0_10empty_typeEEEZZNS1_27merge_sort_block_merge_implIS3_N6thrust23THRUST_200600_302600_NS6detail15normal_iteratorINS9_10device_ptrIjEEEEPS5_m9comp_mod3IjEEE10hipError_tT0_T1_T2_jT3_P12ihipStream_tbPNSt15iterator_traitsISJ_E10value_typeEPNSP_ISK_E10value_typeEPSL_NS1_7vsmem_tEENKUlT_SJ_SK_SL_E_clISE_PjSF_SF_EESI_SY_SJ_SK_SL_EUlSY_E_NS1_11comp_targetILNS1_3genE2ELNS1_11target_archE906ELNS1_3gpuE6ELNS1_3repE0EEENS1_48merge_mergepath_partition_config_static_selectorELNS0_4arch9wavefront6targetE0EEEvSK_
    .private_segment_fixed_size: 0
    .sgpr_count:     0
    .sgpr_spill_count: 0
    .symbol:         _ZN7rocprim17ROCPRIM_400000_NS6detail17trampoline_kernelINS0_14default_configENS1_38merge_sort_block_merge_config_selectorIjNS0_10empty_typeEEEZZNS1_27merge_sort_block_merge_implIS3_N6thrust23THRUST_200600_302600_NS6detail15normal_iteratorINS9_10device_ptrIjEEEEPS5_m9comp_mod3IjEEE10hipError_tT0_T1_T2_jT3_P12ihipStream_tbPNSt15iterator_traitsISJ_E10value_typeEPNSP_ISK_E10value_typeEPSL_NS1_7vsmem_tEENKUlT_SJ_SK_SL_E_clISE_PjSF_SF_EESI_SY_SJ_SK_SL_EUlSY_E_NS1_11comp_targetILNS1_3genE2ELNS1_11target_archE906ELNS1_3gpuE6ELNS1_3repE0EEENS1_48merge_mergepath_partition_config_static_selectorELNS0_4arch9wavefront6targetE0EEEvSK_.kd
    .uniform_work_group_size: 1
    .uses_dynamic_stack: false
    .vgpr_count:     0
    .vgpr_spill_count: 0
    .wavefront_size: 32
    .workgroup_processor_mode: 1
  - .args:
      - .offset:         0
        .size:           48
        .value_kind:     by_value
    .group_segment_fixed_size: 0
    .kernarg_segment_align: 8
    .kernarg_segment_size: 48
    .language:       OpenCL C
    .language_version:
      - 2
      - 0
    .max_flat_workgroup_size: 128
    .name:           _ZN7rocprim17ROCPRIM_400000_NS6detail17trampoline_kernelINS0_14default_configENS1_38merge_sort_block_merge_config_selectorIjNS0_10empty_typeEEEZZNS1_27merge_sort_block_merge_implIS3_N6thrust23THRUST_200600_302600_NS6detail15normal_iteratorINS9_10device_ptrIjEEEEPS5_m9comp_mod3IjEEE10hipError_tT0_T1_T2_jT3_P12ihipStream_tbPNSt15iterator_traitsISJ_E10value_typeEPNSP_ISK_E10value_typeEPSL_NS1_7vsmem_tEENKUlT_SJ_SK_SL_E_clISE_PjSF_SF_EESI_SY_SJ_SK_SL_EUlSY_E_NS1_11comp_targetILNS1_3genE9ELNS1_11target_archE1100ELNS1_3gpuE3ELNS1_3repE0EEENS1_48merge_mergepath_partition_config_static_selectorELNS0_4arch9wavefront6targetE0EEEvSK_
    .private_segment_fixed_size: 0
    .sgpr_count:     0
    .sgpr_spill_count: 0
    .symbol:         _ZN7rocprim17ROCPRIM_400000_NS6detail17trampoline_kernelINS0_14default_configENS1_38merge_sort_block_merge_config_selectorIjNS0_10empty_typeEEEZZNS1_27merge_sort_block_merge_implIS3_N6thrust23THRUST_200600_302600_NS6detail15normal_iteratorINS9_10device_ptrIjEEEEPS5_m9comp_mod3IjEEE10hipError_tT0_T1_T2_jT3_P12ihipStream_tbPNSt15iterator_traitsISJ_E10value_typeEPNSP_ISK_E10value_typeEPSL_NS1_7vsmem_tEENKUlT_SJ_SK_SL_E_clISE_PjSF_SF_EESI_SY_SJ_SK_SL_EUlSY_E_NS1_11comp_targetILNS1_3genE9ELNS1_11target_archE1100ELNS1_3gpuE3ELNS1_3repE0EEENS1_48merge_mergepath_partition_config_static_selectorELNS0_4arch9wavefront6targetE0EEEvSK_.kd
    .uniform_work_group_size: 1
    .uses_dynamic_stack: false
    .vgpr_count:     0
    .vgpr_spill_count: 0
    .wavefront_size: 32
    .workgroup_processor_mode: 1
  - .args:
      - .offset:         0
        .size:           48
        .value_kind:     by_value
    .group_segment_fixed_size: 0
    .kernarg_segment_align: 8
    .kernarg_segment_size: 48
    .language:       OpenCL C
    .language_version:
      - 2
      - 0
    .max_flat_workgroup_size: 128
    .name:           _ZN7rocprim17ROCPRIM_400000_NS6detail17trampoline_kernelINS0_14default_configENS1_38merge_sort_block_merge_config_selectorIjNS0_10empty_typeEEEZZNS1_27merge_sort_block_merge_implIS3_N6thrust23THRUST_200600_302600_NS6detail15normal_iteratorINS9_10device_ptrIjEEEEPS5_m9comp_mod3IjEEE10hipError_tT0_T1_T2_jT3_P12ihipStream_tbPNSt15iterator_traitsISJ_E10value_typeEPNSP_ISK_E10value_typeEPSL_NS1_7vsmem_tEENKUlT_SJ_SK_SL_E_clISE_PjSF_SF_EESI_SY_SJ_SK_SL_EUlSY_E_NS1_11comp_targetILNS1_3genE8ELNS1_11target_archE1030ELNS1_3gpuE2ELNS1_3repE0EEENS1_48merge_mergepath_partition_config_static_selectorELNS0_4arch9wavefront6targetE0EEEvSK_
    .private_segment_fixed_size: 0
    .sgpr_count:     14
    .sgpr_spill_count: 0
    .symbol:         _ZN7rocprim17ROCPRIM_400000_NS6detail17trampoline_kernelINS0_14default_configENS1_38merge_sort_block_merge_config_selectorIjNS0_10empty_typeEEEZZNS1_27merge_sort_block_merge_implIS3_N6thrust23THRUST_200600_302600_NS6detail15normal_iteratorINS9_10device_ptrIjEEEEPS5_m9comp_mod3IjEEE10hipError_tT0_T1_T2_jT3_P12ihipStream_tbPNSt15iterator_traitsISJ_E10value_typeEPNSP_ISK_E10value_typeEPSL_NS1_7vsmem_tEENKUlT_SJ_SK_SL_E_clISE_PjSF_SF_EESI_SY_SJ_SK_SL_EUlSY_E_NS1_11comp_targetILNS1_3genE8ELNS1_11target_archE1030ELNS1_3gpuE2ELNS1_3repE0EEENS1_48merge_mergepath_partition_config_static_selectorELNS0_4arch9wavefront6targetE0EEEvSK_.kd
    .uniform_work_group_size: 1
    .uses_dynamic_stack: false
    .vgpr_count:     17
    .vgpr_spill_count: 0
    .wavefront_size: 32
    .workgroup_processor_mode: 1
  - .args:
      - .offset:         0
        .size:           80
        .value_kind:     by_value
    .group_segment_fixed_size: 0
    .kernarg_segment_align: 8
    .kernarg_segment_size: 80
    .language:       OpenCL C
    .language_version:
      - 2
      - 0
    .max_flat_workgroup_size: 128
    .name:           _ZN7rocprim17ROCPRIM_400000_NS6detail17trampoline_kernelINS0_14default_configENS1_38merge_sort_block_merge_config_selectorIjNS0_10empty_typeEEEZZNS1_27merge_sort_block_merge_implIS3_N6thrust23THRUST_200600_302600_NS6detail15normal_iteratorINS9_10device_ptrIjEEEEPS5_m9comp_mod3IjEEE10hipError_tT0_T1_T2_jT3_P12ihipStream_tbPNSt15iterator_traitsISJ_E10value_typeEPNSP_ISK_E10value_typeEPSL_NS1_7vsmem_tEENKUlT_SJ_SK_SL_E_clISE_PjSF_SF_EESI_SY_SJ_SK_SL_EUlSY_E0_NS1_11comp_targetILNS1_3genE0ELNS1_11target_archE4294967295ELNS1_3gpuE0ELNS1_3repE0EEENS1_38merge_mergepath_config_static_selectorELNS0_4arch9wavefront6targetE0EEEvSK_
    .private_segment_fixed_size: 0
    .sgpr_count:     0
    .sgpr_spill_count: 0
    .symbol:         _ZN7rocprim17ROCPRIM_400000_NS6detail17trampoline_kernelINS0_14default_configENS1_38merge_sort_block_merge_config_selectorIjNS0_10empty_typeEEEZZNS1_27merge_sort_block_merge_implIS3_N6thrust23THRUST_200600_302600_NS6detail15normal_iteratorINS9_10device_ptrIjEEEEPS5_m9comp_mod3IjEEE10hipError_tT0_T1_T2_jT3_P12ihipStream_tbPNSt15iterator_traitsISJ_E10value_typeEPNSP_ISK_E10value_typeEPSL_NS1_7vsmem_tEENKUlT_SJ_SK_SL_E_clISE_PjSF_SF_EESI_SY_SJ_SK_SL_EUlSY_E0_NS1_11comp_targetILNS1_3genE0ELNS1_11target_archE4294967295ELNS1_3gpuE0ELNS1_3repE0EEENS1_38merge_mergepath_config_static_selectorELNS0_4arch9wavefront6targetE0EEEvSK_.kd
    .uniform_work_group_size: 1
    .uses_dynamic_stack: false
    .vgpr_count:     0
    .vgpr_spill_count: 0
    .wavefront_size: 32
    .workgroup_processor_mode: 1
  - .args:
      - .offset:         0
        .size:           80
        .value_kind:     by_value
    .group_segment_fixed_size: 0
    .kernarg_segment_align: 8
    .kernarg_segment_size: 80
    .language:       OpenCL C
    .language_version:
      - 2
      - 0
    .max_flat_workgroup_size: 256
    .name:           _ZN7rocprim17ROCPRIM_400000_NS6detail17trampoline_kernelINS0_14default_configENS1_38merge_sort_block_merge_config_selectorIjNS0_10empty_typeEEEZZNS1_27merge_sort_block_merge_implIS3_N6thrust23THRUST_200600_302600_NS6detail15normal_iteratorINS9_10device_ptrIjEEEEPS5_m9comp_mod3IjEEE10hipError_tT0_T1_T2_jT3_P12ihipStream_tbPNSt15iterator_traitsISJ_E10value_typeEPNSP_ISK_E10value_typeEPSL_NS1_7vsmem_tEENKUlT_SJ_SK_SL_E_clISE_PjSF_SF_EESI_SY_SJ_SK_SL_EUlSY_E0_NS1_11comp_targetILNS1_3genE10ELNS1_11target_archE1201ELNS1_3gpuE5ELNS1_3repE0EEENS1_38merge_mergepath_config_static_selectorELNS0_4arch9wavefront6targetE0EEEvSK_
    .private_segment_fixed_size: 0
    .sgpr_count:     0
    .sgpr_spill_count: 0
    .symbol:         _ZN7rocprim17ROCPRIM_400000_NS6detail17trampoline_kernelINS0_14default_configENS1_38merge_sort_block_merge_config_selectorIjNS0_10empty_typeEEEZZNS1_27merge_sort_block_merge_implIS3_N6thrust23THRUST_200600_302600_NS6detail15normal_iteratorINS9_10device_ptrIjEEEEPS5_m9comp_mod3IjEEE10hipError_tT0_T1_T2_jT3_P12ihipStream_tbPNSt15iterator_traitsISJ_E10value_typeEPNSP_ISK_E10value_typeEPSL_NS1_7vsmem_tEENKUlT_SJ_SK_SL_E_clISE_PjSF_SF_EESI_SY_SJ_SK_SL_EUlSY_E0_NS1_11comp_targetILNS1_3genE10ELNS1_11target_archE1201ELNS1_3gpuE5ELNS1_3repE0EEENS1_38merge_mergepath_config_static_selectorELNS0_4arch9wavefront6targetE0EEEvSK_.kd
    .uniform_work_group_size: 1
    .uses_dynamic_stack: false
    .vgpr_count:     0
    .vgpr_spill_count: 0
    .wavefront_size: 32
    .workgroup_processor_mode: 1
  - .args:
      - .offset:         0
        .size:           80
        .value_kind:     by_value
    .group_segment_fixed_size: 0
    .kernarg_segment_align: 8
    .kernarg_segment_size: 80
    .language:       OpenCL C
    .language_version:
      - 2
      - 0
    .max_flat_workgroup_size: 128
    .name:           _ZN7rocprim17ROCPRIM_400000_NS6detail17trampoline_kernelINS0_14default_configENS1_38merge_sort_block_merge_config_selectorIjNS0_10empty_typeEEEZZNS1_27merge_sort_block_merge_implIS3_N6thrust23THRUST_200600_302600_NS6detail15normal_iteratorINS9_10device_ptrIjEEEEPS5_m9comp_mod3IjEEE10hipError_tT0_T1_T2_jT3_P12ihipStream_tbPNSt15iterator_traitsISJ_E10value_typeEPNSP_ISK_E10value_typeEPSL_NS1_7vsmem_tEENKUlT_SJ_SK_SL_E_clISE_PjSF_SF_EESI_SY_SJ_SK_SL_EUlSY_E0_NS1_11comp_targetILNS1_3genE5ELNS1_11target_archE942ELNS1_3gpuE9ELNS1_3repE0EEENS1_38merge_mergepath_config_static_selectorELNS0_4arch9wavefront6targetE0EEEvSK_
    .private_segment_fixed_size: 0
    .sgpr_count:     0
    .sgpr_spill_count: 0
    .symbol:         _ZN7rocprim17ROCPRIM_400000_NS6detail17trampoline_kernelINS0_14default_configENS1_38merge_sort_block_merge_config_selectorIjNS0_10empty_typeEEEZZNS1_27merge_sort_block_merge_implIS3_N6thrust23THRUST_200600_302600_NS6detail15normal_iteratorINS9_10device_ptrIjEEEEPS5_m9comp_mod3IjEEE10hipError_tT0_T1_T2_jT3_P12ihipStream_tbPNSt15iterator_traitsISJ_E10value_typeEPNSP_ISK_E10value_typeEPSL_NS1_7vsmem_tEENKUlT_SJ_SK_SL_E_clISE_PjSF_SF_EESI_SY_SJ_SK_SL_EUlSY_E0_NS1_11comp_targetILNS1_3genE5ELNS1_11target_archE942ELNS1_3gpuE9ELNS1_3repE0EEENS1_38merge_mergepath_config_static_selectorELNS0_4arch9wavefront6targetE0EEEvSK_.kd
    .uniform_work_group_size: 1
    .uses_dynamic_stack: false
    .vgpr_count:     0
    .vgpr_spill_count: 0
    .wavefront_size: 32
    .workgroup_processor_mode: 1
  - .args:
      - .offset:         0
        .size:           80
        .value_kind:     by_value
    .group_segment_fixed_size: 0
    .kernarg_segment_align: 8
    .kernarg_segment_size: 80
    .language:       OpenCL C
    .language_version:
      - 2
      - 0
    .max_flat_workgroup_size: 128
    .name:           _ZN7rocprim17ROCPRIM_400000_NS6detail17trampoline_kernelINS0_14default_configENS1_38merge_sort_block_merge_config_selectorIjNS0_10empty_typeEEEZZNS1_27merge_sort_block_merge_implIS3_N6thrust23THRUST_200600_302600_NS6detail15normal_iteratorINS9_10device_ptrIjEEEEPS5_m9comp_mod3IjEEE10hipError_tT0_T1_T2_jT3_P12ihipStream_tbPNSt15iterator_traitsISJ_E10value_typeEPNSP_ISK_E10value_typeEPSL_NS1_7vsmem_tEENKUlT_SJ_SK_SL_E_clISE_PjSF_SF_EESI_SY_SJ_SK_SL_EUlSY_E0_NS1_11comp_targetILNS1_3genE4ELNS1_11target_archE910ELNS1_3gpuE8ELNS1_3repE0EEENS1_38merge_mergepath_config_static_selectorELNS0_4arch9wavefront6targetE0EEEvSK_
    .private_segment_fixed_size: 0
    .sgpr_count:     0
    .sgpr_spill_count: 0
    .symbol:         _ZN7rocprim17ROCPRIM_400000_NS6detail17trampoline_kernelINS0_14default_configENS1_38merge_sort_block_merge_config_selectorIjNS0_10empty_typeEEEZZNS1_27merge_sort_block_merge_implIS3_N6thrust23THRUST_200600_302600_NS6detail15normal_iteratorINS9_10device_ptrIjEEEEPS5_m9comp_mod3IjEEE10hipError_tT0_T1_T2_jT3_P12ihipStream_tbPNSt15iterator_traitsISJ_E10value_typeEPNSP_ISK_E10value_typeEPSL_NS1_7vsmem_tEENKUlT_SJ_SK_SL_E_clISE_PjSF_SF_EESI_SY_SJ_SK_SL_EUlSY_E0_NS1_11comp_targetILNS1_3genE4ELNS1_11target_archE910ELNS1_3gpuE8ELNS1_3repE0EEENS1_38merge_mergepath_config_static_selectorELNS0_4arch9wavefront6targetE0EEEvSK_.kd
    .uniform_work_group_size: 1
    .uses_dynamic_stack: false
    .vgpr_count:     0
    .vgpr_spill_count: 0
    .wavefront_size: 32
    .workgroup_processor_mode: 1
  - .args:
      - .offset:         0
        .size:           80
        .value_kind:     by_value
    .group_segment_fixed_size: 0
    .kernarg_segment_align: 8
    .kernarg_segment_size: 80
    .language:       OpenCL C
    .language_version:
      - 2
      - 0
    .max_flat_workgroup_size: 128
    .name:           _ZN7rocprim17ROCPRIM_400000_NS6detail17trampoline_kernelINS0_14default_configENS1_38merge_sort_block_merge_config_selectorIjNS0_10empty_typeEEEZZNS1_27merge_sort_block_merge_implIS3_N6thrust23THRUST_200600_302600_NS6detail15normal_iteratorINS9_10device_ptrIjEEEEPS5_m9comp_mod3IjEEE10hipError_tT0_T1_T2_jT3_P12ihipStream_tbPNSt15iterator_traitsISJ_E10value_typeEPNSP_ISK_E10value_typeEPSL_NS1_7vsmem_tEENKUlT_SJ_SK_SL_E_clISE_PjSF_SF_EESI_SY_SJ_SK_SL_EUlSY_E0_NS1_11comp_targetILNS1_3genE3ELNS1_11target_archE908ELNS1_3gpuE7ELNS1_3repE0EEENS1_38merge_mergepath_config_static_selectorELNS0_4arch9wavefront6targetE0EEEvSK_
    .private_segment_fixed_size: 0
    .sgpr_count:     0
    .sgpr_spill_count: 0
    .symbol:         _ZN7rocprim17ROCPRIM_400000_NS6detail17trampoline_kernelINS0_14default_configENS1_38merge_sort_block_merge_config_selectorIjNS0_10empty_typeEEEZZNS1_27merge_sort_block_merge_implIS3_N6thrust23THRUST_200600_302600_NS6detail15normal_iteratorINS9_10device_ptrIjEEEEPS5_m9comp_mod3IjEEE10hipError_tT0_T1_T2_jT3_P12ihipStream_tbPNSt15iterator_traitsISJ_E10value_typeEPNSP_ISK_E10value_typeEPSL_NS1_7vsmem_tEENKUlT_SJ_SK_SL_E_clISE_PjSF_SF_EESI_SY_SJ_SK_SL_EUlSY_E0_NS1_11comp_targetILNS1_3genE3ELNS1_11target_archE908ELNS1_3gpuE7ELNS1_3repE0EEENS1_38merge_mergepath_config_static_selectorELNS0_4arch9wavefront6targetE0EEEvSK_.kd
    .uniform_work_group_size: 1
    .uses_dynamic_stack: false
    .vgpr_count:     0
    .vgpr_spill_count: 0
    .wavefront_size: 32
    .workgroup_processor_mode: 1
  - .args:
      - .offset:         0
        .size:           80
        .value_kind:     by_value
    .group_segment_fixed_size: 0
    .kernarg_segment_align: 8
    .kernarg_segment_size: 80
    .language:       OpenCL C
    .language_version:
      - 2
      - 0
    .max_flat_workgroup_size: 128
    .name:           _ZN7rocprim17ROCPRIM_400000_NS6detail17trampoline_kernelINS0_14default_configENS1_38merge_sort_block_merge_config_selectorIjNS0_10empty_typeEEEZZNS1_27merge_sort_block_merge_implIS3_N6thrust23THRUST_200600_302600_NS6detail15normal_iteratorINS9_10device_ptrIjEEEEPS5_m9comp_mod3IjEEE10hipError_tT0_T1_T2_jT3_P12ihipStream_tbPNSt15iterator_traitsISJ_E10value_typeEPNSP_ISK_E10value_typeEPSL_NS1_7vsmem_tEENKUlT_SJ_SK_SL_E_clISE_PjSF_SF_EESI_SY_SJ_SK_SL_EUlSY_E0_NS1_11comp_targetILNS1_3genE2ELNS1_11target_archE906ELNS1_3gpuE6ELNS1_3repE0EEENS1_38merge_mergepath_config_static_selectorELNS0_4arch9wavefront6targetE0EEEvSK_
    .private_segment_fixed_size: 0
    .sgpr_count:     0
    .sgpr_spill_count: 0
    .symbol:         _ZN7rocprim17ROCPRIM_400000_NS6detail17trampoline_kernelINS0_14default_configENS1_38merge_sort_block_merge_config_selectorIjNS0_10empty_typeEEEZZNS1_27merge_sort_block_merge_implIS3_N6thrust23THRUST_200600_302600_NS6detail15normal_iteratorINS9_10device_ptrIjEEEEPS5_m9comp_mod3IjEEE10hipError_tT0_T1_T2_jT3_P12ihipStream_tbPNSt15iterator_traitsISJ_E10value_typeEPNSP_ISK_E10value_typeEPSL_NS1_7vsmem_tEENKUlT_SJ_SK_SL_E_clISE_PjSF_SF_EESI_SY_SJ_SK_SL_EUlSY_E0_NS1_11comp_targetILNS1_3genE2ELNS1_11target_archE906ELNS1_3gpuE6ELNS1_3repE0EEENS1_38merge_mergepath_config_static_selectorELNS0_4arch9wavefront6targetE0EEEvSK_.kd
    .uniform_work_group_size: 1
    .uses_dynamic_stack: false
    .vgpr_count:     0
    .vgpr_spill_count: 0
    .wavefront_size: 32
    .workgroup_processor_mode: 1
  - .args:
      - .offset:         0
        .size:           80
        .value_kind:     by_value
    .group_segment_fixed_size: 0
    .kernarg_segment_align: 8
    .kernarg_segment_size: 80
    .language:       OpenCL C
    .language_version:
      - 2
      - 0
    .max_flat_workgroup_size: 256
    .name:           _ZN7rocprim17ROCPRIM_400000_NS6detail17trampoline_kernelINS0_14default_configENS1_38merge_sort_block_merge_config_selectorIjNS0_10empty_typeEEEZZNS1_27merge_sort_block_merge_implIS3_N6thrust23THRUST_200600_302600_NS6detail15normal_iteratorINS9_10device_ptrIjEEEEPS5_m9comp_mod3IjEEE10hipError_tT0_T1_T2_jT3_P12ihipStream_tbPNSt15iterator_traitsISJ_E10value_typeEPNSP_ISK_E10value_typeEPSL_NS1_7vsmem_tEENKUlT_SJ_SK_SL_E_clISE_PjSF_SF_EESI_SY_SJ_SK_SL_EUlSY_E0_NS1_11comp_targetILNS1_3genE9ELNS1_11target_archE1100ELNS1_3gpuE3ELNS1_3repE0EEENS1_38merge_mergepath_config_static_selectorELNS0_4arch9wavefront6targetE0EEEvSK_
    .private_segment_fixed_size: 0
    .sgpr_count:     0
    .sgpr_spill_count: 0
    .symbol:         _ZN7rocprim17ROCPRIM_400000_NS6detail17trampoline_kernelINS0_14default_configENS1_38merge_sort_block_merge_config_selectorIjNS0_10empty_typeEEEZZNS1_27merge_sort_block_merge_implIS3_N6thrust23THRUST_200600_302600_NS6detail15normal_iteratorINS9_10device_ptrIjEEEEPS5_m9comp_mod3IjEEE10hipError_tT0_T1_T2_jT3_P12ihipStream_tbPNSt15iterator_traitsISJ_E10value_typeEPNSP_ISK_E10value_typeEPSL_NS1_7vsmem_tEENKUlT_SJ_SK_SL_E_clISE_PjSF_SF_EESI_SY_SJ_SK_SL_EUlSY_E0_NS1_11comp_targetILNS1_3genE9ELNS1_11target_archE1100ELNS1_3gpuE3ELNS1_3repE0EEENS1_38merge_mergepath_config_static_selectorELNS0_4arch9wavefront6targetE0EEEvSK_.kd
    .uniform_work_group_size: 1
    .uses_dynamic_stack: false
    .vgpr_count:     0
    .vgpr_spill_count: 0
    .wavefront_size: 32
    .workgroup_processor_mode: 1
  - .args:
      - .offset:         0
        .size:           80
        .value_kind:     by_value
      - .offset:         80
        .size:           4
        .value_kind:     hidden_block_count_x
      - .offset:         84
        .size:           4
        .value_kind:     hidden_block_count_y
      - .offset:         88
        .size:           4
        .value_kind:     hidden_block_count_z
      - .offset:         92
        .size:           2
        .value_kind:     hidden_group_size_x
      - .offset:         94
        .size:           2
        .value_kind:     hidden_group_size_y
      - .offset:         96
        .size:           2
        .value_kind:     hidden_group_size_z
      - .offset:         98
        .size:           2
        .value_kind:     hidden_remainder_x
      - .offset:         100
        .size:           2
        .value_kind:     hidden_remainder_y
      - .offset:         102
        .size:           2
        .value_kind:     hidden_remainder_z
      - .offset:         120
        .size:           8
        .value_kind:     hidden_global_offset_x
      - .offset:         128
        .size:           8
        .value_kind:     hidden_global_offset_y
      - .offset:         136
        .size:           8
        .value_kind:     hidden_global_offset_z
      - .offset:         144
        .size:           2
        .value_kind:     hidden_grid_dims
    .group_segment_fixed_size: 4224
    .kernarg_segment_align: 8
    .kernarg_segment_size: 336
    .language:       OpenCL C
    .language_version:
      - 2
      - 0
    .max_flat_workgroup_size: 512
    .name:           _ZN7rocprim17ROCPRIM_400000_NS6detail17trampoline_kernelINS0_14default_configENS1_38merge_sort_block_merge_config_selectorIjNS0_10empty_typeEEEZZNS1_27merge_sort_block_merge_implIS3_N6thrust23THRUST_200600_302600_NS6detail15normal_iteratorINS9_10device_ptrIjEEEEPS5_m9comp_mod3IjEEE10hipError_tT0_T1_T2_jT3_P12ihipStream_tbPNSt15iterator_traitsISJ_E10value_typeEPNSP_ISK_E10value_typeEPSL_NS1_7vsmem_tEENKUlT_SJ_SK_SL_E_clISE_PjSF_SF_EESI_SY_SJ_SK_SL_EUlSY_E0_NS1_11comp_targetILNS1_3genE8ELNS1_11target_archE1030ELNS1_3gpuE2ELNS1_3repE0EEENS1_38merge_mergepath_config_static_selectorELNS0_4arch9wavefront6targetE0EEEvSK_
    .private_segment_fixed_size: 0
    .sgpr_count:     34
    .sgpr_spill_count: 0
    .symbol:         _ZN7rocprim17ROCPRIM_400000_NS6detail17trampoline_kernelINS0_14default_configENS1_38merge_sort_block_merge_config_selectorIjNS0_10empty_typeEEEZZNS1_27merge_sort_block_merge_implIS3_N6thrust23THRUST_200600_302600_NS6detail15normal_iteratorINS9_10device_ptrIjEEEEPS5_m9comp_mod3IjEEE10hipError_tT0_T1_T2_jT3_P12ihipStream_tbPNSt15iterator_traitsISJ_E10value_typeEPNSP_ISK_E10value_typeEPSL_NS1_7vsmem_tEENKUlT_SJ_SK_SL_E_clISE_PjSF_SF_EESI_SY_SJ_SK_SL_EUlSY_E0_NS1_11comp_targetILNS1_3genE8ELNS1_11target_archE1030ELNS1_3gpuE2ELNS1_3repE0EEENS1_38merge_mergepath_config_static_selectorELNS0_4arch9wavefront6targetE0EEEvSK_.kd
    .uniform_work_group_size: 1
    .uses_dynamic_stack: false
    .vgpr_count:     15
    .vgpr_spill_count: 0
    .wavefront_size: 32
    .workgroup_processor_mode: 1
  - .args:
      - .offset:         0
        .size:           56
        .value_kind:     by_value
    .group_segment_fixed_size: 0
    .kernarg_segment_align: 8
    .kernarg_segment_size: 56
    .language:       OpenCL C
    .language_version:
      - 2
      - 0
    .max_flat_workgroup_size: 256
    .name:           _ZN7rocprim17ROCPRIM_400000_NS6detail17trampoline_kernelINS0_14default_configENS1_38merge_sort_block_merge_config_selectorIjNS0_10empty_typeEEEZZNS1_27merge_sort_block_merge_implIS3_N6thrust23THRUST_200600_302600_NS6detail15normal_iteratorINS9_10device_ptrIjEEEEPS5_m9comp_mod3IjEEE10hipError_tT0_T1_T2_jT3_P12ihipStream_tbPNSt15iterator_traitsISJ_E10value_typeEPNSP_ISK_E10value_typeEPSL_NS1_7vsmem_tEENKUlT_SJ_SK_SL_E_clISE_PjSF_SF_EESI_SY_SJ_SK_SL_EUlSY_E1_NS1_11comp_targetILNS1_3genE0ELNS1_11target_archE4294967295ELNS1_3gpuE0ELNS1_3repE0EEENS1_36merge_oddeven_config_static_selectorELNS0_4arch9wavefront6targetE0EEEvSK_
    .private_segment_fixed_size: 0
    .sgpr_count:     0
    .sgpr_spill_count: 0
    .symbol:         _ZN7rocprim17ROCPRIM_400000_NS6detail17trampoline_kernelINS0_14default_configENS1_38merge_sort_block_merge_config_selectorIjNS0_10empty_typeEEEZZNS1_27merge_sort_block_merge_implIS3_N6thrust23THRUST_200600_302600_NS6detail15normal_iteratorINS9_10device_ptrIjEEEEPS5_m9comp_mod3IjEEE10hipError_tT0_T1_T2_jT3_P12ihipStream_tbPNSt15iterator_traitsISJ_E10value_typeEPNSP_ISK_E10value_typeEPSL_NS1_7vsmem_tEENKUlT_SJ_SK_SL_E_clISE_PjSF_SF_EESI_SY_SJ_SK_SL_EUlSY_E1_NS1_11comp_targetILNS1_3genE0ELNS1_11target_archE4294967295ELNS1_3gpuE0ELNS1_3repE0EEENS1_36merge_oddeven_config_static_selectorELNS0_4arch9wavefront6targetE0EEEvSK_.kd
    .uniform_work_group_size: 1
    .uses_dynamic_stack: false
    .vgpr_count:     0
    .vgpr_spill_count: 0
    .wavefront_size: 32
    .workgroup_processor_mode: 1
  - .args:
      - .offset:         0
        .size:           56
        .value_kind:     by_value
    .group_segment_fixed_size: 0
    .kernarg_segment_align: 8
    .kernarg_segment_size: 56
    .language:       OpenCL C
    .language_version:
      - 2
      - 0
    .max_flat_workgroup_size: 256
    .name:           _ZN7rocprim17ROCPRIM_400000_NS6detail17trampoline_kernelINS0_14default_configENS1_38merge_sort_block_merge_config_selectorIjNS0_10empty_typeEEEZZNS1_27merge_sort_block_merge_implIS3_N6thrust23THRUST_200600_302600_NS6detail15normal_iteratorINS9_10device_ptrIjEEEEPS5_m9comp_mod3IjEEE10hipError_tT0_T1_T2_jT3_P12ihipStream_tbPNSt15iterator_traitsISJ_E10value_typeEPNSP_ISK_E10value_typeEPSL_NS1_7vsmem_tEENKUlT_SJ_SK_SL_E_clISE_PjSF_SF_EESI_SY_SJ_SK_SL_EUlSY_E1_NS1_11comp_targetILNS1_3genE10ELNS1_11target_archE1201ELNS1_3gpuE5ELNS1_3repE0EEENS1_36merge_oddeven_config_static_selectorELNS0_4arch9wavefront6targetE0EEEvSK_
    .private_segment_fixed_size: 0
    .sgpr_count:     0
    .sgpr_spill_count: 0
    .symbol:         _ZN7rocprim17ROCPRIM_400000_NS6detail17trampoline_kernelINS0_14default_configENS1_38merge_sort_block_merge_config_selectorIjNS0_10empty_typeEEEZZNS1_27merge_sort_block_merge_implIS3_N6thrust23THRUST_200600_302600_NS6detail15normal_iteratorINS9_10device_ptrIjEEEEPS5_m9comp_mod3IjEEE10hipError_tT0_T1_T2_jT3_P12ihipStream_tbPNSt15iterator_traitsISJ_E10value_typeEPNSP_ISK_E10value_typeEPSL_NS1_7vsmem_tEENKUlT_SJ_SK_SL_E_clISE_PjSF_SF_EESI_SY_SJ_SK_SL_EUlSY_E1_NS1_11comp_targetILNS1_3genE10ELNS1_11target_archE1201ELNS1_3gpuE5ELNS1_3repE0EEENS1_36merge_oddeven_config_static_selectorELNS0_4arch9wavefront6targetE0EEEvSK_.kd
    .uniform_work_group_size: 1
    .uses_dynamic_stack: false
    .vgpr_count:     0
    .vgpr_spill_count: 0
    .wavefront_size: 32
    .workgroup_processor_mode: 1
  - .args:
      - .offset:         0
        .size:           56
        .value_kind:     by_value
    .group_segment_fixed_size: 0
    .kernarg_segment_align: 8
    .kernarg_segment_size: 56
    .language:       OpenCL C
    .language_version:
      - 2
      - 0
    .max_flat_workgroup_size: 256
    .name:           _ZN7rocprim17ROCPRIM_400000_NS6detail17trampoline_kernelINS0_14default_configENS1_38merge_sort_block_merge_config_selectorIjNS0_10empty_typeEEEZZNS1_27merge_sort_block_merge_implIS3_N6thrust23THRUST_200600_302600_NS6detail15normal_iteratorINS9_10device_ptrIjEEEEPS5_m9comp_mod3IjEEE10hipError_tT0_T1_T2_jT3_P12ihipStream_tbPNSt15iterator_traitsISJ_E10value_typeEPNSP_ISK_E10value_typeEPSL_NS1_7vsmem_tEENKUlT_SJ_SK_SL_E_clISE_PjSF_SF_EESI_SY_SJ_SK_SL_EUlSY_E1_NS1_11comp_targetILNS1_3genE5ELNS1_11target_archE942ELNS1_3gpuE9ELNS1_3repE0EEENS1_36merge_oddeven_config_static_selectorELNS0_4arch9wavefront6targetE0EEEvSK_
    .private_segment_fixed_size: 0
    .sgpr_count:     0
    .sgpr_spill_count: 0
    .symbol:         _ZN7rocprim17ROCPRIM_400000_NS6detail17trampoline_kernelINS0_14default_configENS1_38merge_sort_block_merge_config_selectorIjNS0_10empty_typeEEEZZNS1_27merge_sort_block_merge_implIS3_N6thrust23THRUST_200600_302600_NS6detail15normal_iteratorINS9_10device_ptrIjEEEEPS5_m9comp_mod3IjEEE10hipError_tT0_T1_T2_jT3_P12ihipStream_tbPNSt15iterator_traitsISJ_E10value_typeEPNSP_ISK_E10value_typeEPSL_NS1_7vsmem_tEENKUlT_SJ_SK_SL_E_clISE_PjSF_SF_EESI_SY_SJ_SK_SL_EUlSY_E1_NS1_11comp_targetILNS1_3genE5ELNS1_11target_archE942ELNS1_3gpuE9ELNS1_3repE0EEENS1_36merge_oddeven_config_static_selectorELNS0_4arch9wavefront6targetE0EEEvSK_.kd
    .uniform_work_group_size: 1
    .uses_dynamic_stack: false
    .vgpr_count:     0
    .vgpr_spill_count: 0
    .wavefront_size: 32
    .workgroup_processor_mode: 1
  - .args:
      - .offset:         0
        .size:           56
        .value_kind:     by_value
    .group_segment_fixed_size: 0
    .kernarg_segment_align: 8
    .kernarg_segment_size: 56
    .language:       OpenCL C
    .language_version:
      - 2
      - 0
    .max_flat_workgroup_size: 256
    .name:           _ZN7rocprim17ROCPRIM_400000_NS6detail17trampoline_kernelINS0_14default_configENS1_38merge_sort_block_merge_config_selectorIjNS0_10empty_typeEEEZZNS1_27merge_sort_block_merge_implIS3_N6thrust23THRUST_200600_302600_NS6detail15normal_iteratorINS9_10device_ptrIjEEEEPS5_m9comp_mod3IjEEE10hipError_tT0_T1_T2_jT3_P12ihipStream_tbPNSt15iterator_traitsISJ_E10value_typeEPNSP_ISK_E10value_typeEPSL_NS1_7vsmem_tEENKUlT_SJ_SK_SL_E_clISE_PjSF_SF_EESI_SY_SJ_SK_SL_EUlSY_E1_NS1_11comp_targetILNS1_3genE4ELNS1_11target_archE910ELNS1_3gpuE8ELNS1_3repE0EEENS1_36merge_oddeven_config_static_selectorELNS0_4arch9wavefront6targetE0EEEvSK_
    .private_segment_fixed_size: 0
    .sgpr_count:     0
    .sgpr_spill_count: 0
    .symbol:         _ZN7rocprim17ROCPRIM_400000_NS6detail17trampoline_kernelINS0_14default_configENS1_38merge_sort_block_merge_config_selectorIjNS0_10empty_typeEEEZZNS1_27merge_sort_block_merge_implIS3_N6thrust23THRUST_200600_302600_NS6detail15normal_iteratorINS9_10device_ptrIjEEEEPS5_m9comp_mod3IjEEE10hipError_tT0_T1_T2_jT3_P12ihipStream_tbPNSt15iterator_traitsISJ_E10value_typeEPNSP_ISK_E10value_typeEPSL_NS1_7vsmem_tEENKUlT_SJ_SK_SL_E_clISE_PjSF_SF_EESI_SY_SJ_SK_SL_EUlSY_E1_NS1_11comp_targetILNS1_3genE4ELNS1_11target_archE910ELNS1_3gpuE8ELNS1_3repE0EEENS1_36merge_oddeven_config_static_selectorELNS0_4arch9wavefront6targetE0EEEvSK_.kd
    .uniform_work_group_size: 1
    .uses_dynamic_stack: false
    .vgpr_count:     0
    .vgpr_spill_count: 0
    .wavefront_size: 32
    .workgroup_processor_mode: 1
  - .args:
      - .offset:         0
        .size:           56
        .value_kind:     by_value
    .group_segment_fixed_size: 0
    .kernarg_segment_align: 8
    .kernarg_segment_size: 56
    .language:       OpenCL C
    .language_version:
      - 2
      - 0
    .max_flat_workgroup_size: 256
    .name:           _ZN7rocprim17ROCPRIM_400000_NS6detail17trampoline_kernelINS0_14default_configENS1_38merge_sort_block_merge_config_selectorIjNS0_10empty_typeEEEZZNS1_27merge_sort_block_merge_implIS3_N6thrust23THRUST_200600_302600_NS6detail15normal_iteratorINS9_10device_ptrIjEEEEPS5_m9comp_mod3IjEEE10hipError_tT0_T1_T2_jT3_P12ihipStream_tbPNSt15iterator_traitsISJ_E10value_typeEPNSP_ISK_E10value_typeEPSL_NS1_7vsmem_tEENKUlT_SJ_SK_SL_E_clISE_PjSF_SF_EESI_SY_SJ_SK_SL_EUlSY_E1_NS1_11comp_targetILNS1_3genE3ELNS1_11target_archE908ELNS1_3gpuE7ELNS1_3repE0EEENS1_36merge_oddeven_config_static_selectorELNS0_4arch9wavefront6targetE0EEEvSK_
    .private_segment_fixed_size: 0
    .sgpr_count:     0
    .sgpr_spill_count: 0
    .symbol:         _ZN7rocprim17ROCPRIM_400000_NS6detail17trampoline_kernelINS0_14default_configENS1_38merge_sort_block_merge_config_selectorIjNS0_10empty_typeEEEZZNS1_27merge_sort_block_merge_implIS3_N6thrust23THRUST_200600_302600_NS6detail15normal_iteratorINS9_10device_ptrIjEEEEPS5_m9comp_mod3IjEEE10hipError_tT0_T1_T2_jT3_P12ihipStream_tbPNSt15iterator_traitsISJ_E10value_typeEPNSP_ISK_E10value_typeEPSL_NS1_7vsmem_tEENKUlT_SJ_SK_SL_E_clISE_PjSF_SF_EESI_SY_SJ_SK_SL_EUlSY_E1_NS1_11comp_targetILNS1_3genE3ELNS1_11target_archE908ELNS1_3gpuE7ELNS1_3repE0EEENS1_36merge_oddeven_config_static_selectorELNS0_4arch9wavefront6targetE0EEEvSK_.kd
    .uniform_work_group_size: 1
    .uses_dynamic_stack: false
    .vgpr_count:     0
    .vgpr_spill_count: 0
    .wavefront_size: 32
    .workgroup_processor_mode: 1
  - .args:
      - .offset:         0
        .size:           56
        .value_kind:     by_value
    .group_segment_fixed_size: 0
    .kernarg_segment_align: 8
    .kernarg_segment_size: 56
    .language:       OpenCL C
    .language_version:
      - 2
      - 0
    .max_flat_workgroup_size: 256
    .name:           _ZN7rocprim17ROCPRIM_400000_NS6detail17trampoline_kernelINS0_14default_configENS1_38merge_sort_block_merge_config_selectorIjNS0_10empty_typeEEEZZNS1_27merge_sort_block_merge_implIS3_N6thrust23THRUST_200600_302600_NS6detail15normal_iteratorINS9_10device_ptrIjEEEEPS5_m9comp_mod3IjEEE10hipError_tT0_T1_T2_jT3_P12ihipStream_tbPNSt15iterator_traitsISJ_E10value_typeEPNSP_ISK_E10value_typeEPSL_NS1_7vsmem_tEENKUlT_SJ_SK_SL_E_clISE_PjSF_SF_EESI_SY_SJ_SK_SL_EUlSY_E1_NS1_11comp_targetILNS1_3genE2ELNS1_11target_archE906ELNS1_3gpuE6ELNS1_3repE0EEENS1_36merge_oddeven_config_static_selectorELNS0_4arch9wavefront6targetE0EEEvSK_
    .private_segment_fixed_size: 0
    .sgpr_count:     0
    .sgpr_spill_count: 0
    .symbol:         _ZN7rocprim17ROCPRIM_400000_NS6detail17trampoline_kernelINS0_14default_configENS1_38merge_sort_block_merge_config_selectorIjNS0_10empty_typeEEEZZNS1_27merge_sort_block_merge_implIS3_N6thrust23THRUST_200600_302600_NS6detail15normal_iteratorINS9_10device_ptrIjEEEEPS5_m9comp_mod3IjEEE10hipError_tT0_T1_T2_jT3_P12ihipStream_tbPNSt15iterator_traitsISJ_E10value_typeEPNSP_ISK_E10value_typeEPSL_NS1_7vsmem_tEENKUlT_SJ_SK_SL_E_clISE_PjSF_SF_EESI_SY_SJ_SK_SL_EUlSY_E1_NS1_11comp_targetILNS1_3genE2ELNS1_11target_archE906ELNS1_3gpuE6ELNS1_3repE0EEENS1_36merge_oddeven_config_static_selectorELNS0_4arch9wavefront6targetE0EEEvSK_.kd
    .uniform_work_group_size: 1
    .uses_dynamic_stack: false
    .vgpr_count:     0
    .vgpr_spill_count: 0
    .wavefront_size: 32
    .workgroup_processor_mode: 1
  - .args:
      - .offset:         0
        .size:           56
        .value_kind:     by_value
    .group_segment_fixed_size: 0
    .kernarg_segment_align: 8
    .kernarg_segment_size: 56
    .language:       OpenCL C
    .language_version:
      - 2
      - 0
    .max_flat_workgroup_size: 256
    .name:           _ZN7rocprim17ROCPRIM_400000_NS6detail17trampoline_kernelINS0_14default_configENS1_38merge_sort_block_merge_config_selectorIjNS0_10empty_typeEEEZZNS1_27merge_sort_block_merge_implIS3_N6thrust23THRUST_200600_302600_NS6detail15normal_iteratorINS9_10device_ptrIjEEEEPS5_m9comp_mod3IjEEE10hipError_tT0_T1_T2_jT3_P12ihipStream_tbPNSt15iterator_traitsISJ_E10value_typeEPNSP_ISK_E10value_typeEPSL_NS1_7vsmem_tEENKUlT_SJ_SK_SL_E_clISE_PjSF_SF_EESI_SY_SJ_SK_SL_EUlSY_E1_NS1_11comp_targetILNS1_3genE9ELNS1_11target_archE1100ELNS1_3gpuE3ELNS1_3repE0EEENS1_36merge_oddeven_config_static_selectorELNS0_4arch9wavefront6targetE0EEEvSK_
    .private_segment_fixed_size: 0
    .sgpr_count:     0
    .sgpr_spill_count: 0
    .symbol:         _ZN7rocprim17ROCPRIM_400000_NS6detail17trampoline_kernelINS0_14default_configENS1_38merge_sort_block_merge_config_selectorIjNS0_10empty_typeEEEZZNS1_27merge_sort_block_merge_implIS3_N6thrust23THRUST_200600_302600_NS6detail15normal_iteratorINS9_10device_ptrIjEEEEPS5_m9comp_mod3IjEEE10hipError_tT0_T1_T2_jT3_P12ihipStream_tbPNSt15iterator_traitsISJ_E10value_typeEPNSP_ISK_E10value_typeEPSL_NS1_7vsmem_tEENKUlT_SJ_SK_SL_E_clISE_PjSF_SF_EESI_SY_SJ_SK_SL_EUlSY_E1_NS1_11comp_targetILNS1_3genE9ELNS1_11target_archE1100ELNS1_3gpuE3ELNS1_3repE0EEENS1_36merge_oddeven_config_static_selectorELNS0_4arch9wavefront6targetE0EEEvSK_.kd
    .uniform_work_group_size: 1
    .uses_dynamic_stack: false
    .vgpr_count:     0
    .vgpr_spill_count: 0
    .wavefront_size: 32
    .workgroup_processor_mode: 1
  - .args:
      - .offset:         0
        .size:           56
        .value_kind:     by_value
    .group_segment_fixed_size: 0
    .kernarg_segment_align: 8
    .kernarg_segment_size: 56
    .language:       OpenCL C
    .language_version:
      - 2
      - 0
    .max_flat_workgroup_size: 256
    .name:           _ZN7rocprim17ROCPRIM_400000_NS6detail17trampoline_kernelINS0_14default_configENS1_38merge_sort_block_merge_config_selectorIjNS0_10empty_typeEEEZZNS1_27merge_sort_block_merge_implIS3_N6thrust23THRUST_200600_302600_NS6detail15normal_iteratorINS9_10device_ptrIjEEEEPS5_m9comp_mod3IjEEE10hipError_tT0_T1_T2_jT3_P12ihipStream_tbPNSt15iterator_traitsISJ_E10value_typeEPNSP_ISK_E10value_typeEPSL_NS1_7vsmem_tEENKUlT_SJ_SK_SL_E_clISE_PjSF_SF_EESI_SY_SJ_SK_SL_EUlSY_E1_NS1_11comp_targetILNS1_3genE8ELNS1_11target_archE1030ELNS1_3gpuE2ELNS1_3repE0EEENS1_36merge_oddeven_config_static_selectorELNS0_4arch9wavefront6targetE0EEEvSK_
    .private_segment_fixed_size: 0
    .sgpr_count:     20
    .sgpr_spill_count: 0
    .symbol:         _ZN7rocprim17ROCPRIM_400000_NS6detail17trampoline_kernelINS0_14default_configENS1_38merge_sort_block_merge_config_selectorIjNS0_10empty_typeEEEZZNS1_27merge_sort_block_merge_implIS3_N6thrust23THRUST_200600_302600_NS6detail15normal_iteratorINS9_10device_ptrIjEEEEPS5_m9comp_mod3IjEEE10hipError_tT0_T1_T2_jT3_P12ihipStream_tbPNSt15iterator_traitsISJ_E10value_typeEPNSP_ISK_E10value_typeEPSL_NS1_7vsmem_tEENKUlT_SJ_SK_SL_E_clISE_PjSF_SF_EESI_SY_SJ_SK_SL_EUlSY_E1_NS1_11comp_targetILNS1_3genE8ELNS1_11target_archE1030ELNS1_3gpuE2ELNS1_3repE0EEENS1_36merge_oddeven_config_static_selectorELNS0_4arch9wavefront6targetE0EEEvSK_.kd
    .uniform_work_group_size: 1
    .uses_dynamic_stack: false
    .vgpr_count:     13
    .vgpr_spill_count: 0
    .wavefront_size: 32
    .workgroup_processor_mode: 1
  - .args:
      - .offset:         0
        .size:           64
        .value_kind:     by_value
    .group_segment_fixed_size: 0
    .kernarg_segment_align: 8
    .kernarg_segment_size: 64
    .language:       OpenCL C
    .language_version:
      - 2
      - 0
    .max_flat_workgroup_size: 256
    .name:           _ZN7rocprim17ROCPRIM_400000_NS6detail17trampoline_kernelINS0_14default_configENS1_37merge_sort_block_sort_config_selectorItNS0_10empty_typeEEEZNS1_21merge_sort_block_sortIS3_N6thrust23THRUST_200600_302600_NS6detail15normal_iteratorINS9_10device_ptrItEEEESE_PS5_SF_9comp_mod3ItEEE10hipError_tT0_T1_T2_T3_mRjT4_P12ihipStream_tbNS1_7vsmem_tEEUlT_E_NS1_11comp_targetILNS1_3genE0ELNS1_11target_archE4294967295ELNS1_3gpuE0ELNS1_3repE0EEENS1_30default_config_static_selectorELNS0_4arch9wavefront6targetE0EEEvSK_
    .private_segment_fixed_size: 0
    .sgpr_count:     0
    .sgpr_spill_count: 0
    .symbol:         _ZN7rocprim17ROCPRIM_400000_NS6detail17trampoline_kernelINS0_14default_configENS1_37merge_sort_block_sort_config_selectorItNS0_10empty_typeEEEZNS1_21merge_sort_block_sortIS3_N6thrust23THRUST_200600_302600_NS6detail15normal_iteratorINS9_10device_ptrItEEEESE_PS5_SF_9comp_mod3ItEEE10hipError_tT0_T1_T2_T3_mRjT4_P12ihipStream_tbNS1_7vsmem_tEEUlT_E_NS1_11comp_targetILNS1_3genE0ELNS1_11target_archE4294967295ELNS1_3gpuE0ELNS1_3repE0EEENS1_30default_config_static_selectorELNS0_4arch9wavefront6targetE0EEEvSK_.kd
    .uniform_work_group_size: 1
    .uses_dynamic_stack: false
    .vgpr_count:     0
    .vgpr_spill_count: 0
    .wavefront_size: 32
    .workgroup_processor_mode: 1
  - .args:
      - .offset:         0
        .size:           64
        .value_kind:     by_value
    .group_segment_fixed_size: 0
    .kernarg_segment_align: 8
    .kernarg_segment_size: 64
    .language:       OpenCL C
    .language_version:
      - 2
      - 0
    .max_flat_workgroup_size: 256
    .name:           _ZN7rocprim17ROCPRIM_400000_NS6detail17trampoline_kernelINS0_14default_configENS1_37merge_sort_block_sort_config_selectorItNS0_10empty_typeEEEZNS1_21merge_sort_block_sortIS3_N6thrust23THRUST_200600_302600_NS6detail15normal_iteratorINS9_10device_ptrItEEEESE_PS5_SF_9comp_mod3ItEEE10hipError_tT0_T1_T2_T3_mRjT4_P12ihipStream_tbNS1_7vsmem_tEEUlT_E_NS1_11comp_targetILNS1_3genE5ELNS1_11target_archE942ELNS1_3gpuE9ELNS1_3repE0EEENS1_30default_config_static_selectorELNS0_4arch9wavefront6targetE0EEEvSK_
    .private_segment_fixed_size: 0
    .sgpr_count:     0
    .sgpr_spill_count: 0
    .symbol:         _ZN7rocprim17ROCPRIM_400000_NS6detail17trampoline_kernelINS0_14default_configENS1_37merge_sort_block_sort_config_selectorItNS0_10empty_typeEEEZNS1_21merge_sort_block_sortIS3_N6thrust23THRUST_200600_302600_NS6detail15normal_iteratorINS9_10device_ptrItEEEESE_PS5_SF_9comp_mod3ItEEE10hipError_tT0_T1_T2_T3_mRjT4_P12ihipStream_tbNS1_7vsmem_tEEUlT_E_NS1_11comp_targetILNS1_3genE5ELNS1_11target_archE942ELNS1_3gpuE9ELNS1_3repE0EEENS1_30default_config_static_selectorELNS0_4arch9wavefront6targetE0EEEvSK_.kd
    .uniform_work_group_size: 1
    .uses_dynamic_stack: false
    .vgpr_count:     0
    .vgpr_spill_count: 0
    .wavefront_size: 32
    .workgroup_processor_mode: 1
  - .args:
      - .offset:         0
        .size:           64
        .value_kind:     by_value
    .group_segment_fixed_size: 0
    .kernarg_segment_align: 8
    .kernarg_segment_size: 64
    .language:       OpenCL C
    .language_version:
      - 2
      - 0
    .max_flat_workgroup_size: 256
    .name:           _ZN7rocprim17ROCPRIM_400000_NS6detail17trampoline_kernelINS0_14default_configENS1_37merge_sort_block_sort_config_selectorItNS0_10empty_typeEEEZNS1_21merge_sort_block_sortIS3_N6thrust23THRUST_200600_302600_NS6detail15normal_iteratorINS9_10device_ptrItEEEESE_PS5_SF_9comp_mod3ItEEE10hipError_tT0_T1_T2_T3_mRjT4_P12ihipStream_tbNS1_7vsmem_tEEUlT_E_NS1_11comp_targetILNS1_3genE4ELNS1_11target_archE910ELNS1_3gpuE8ELNS1_3repE0EEENS1_30default_config_static_selectorELNS0_4arch9wavefront6targetE0EEEvSK_
    .private_segment_fixed_size: 0
    .sgpr_count:     0
    .sgpr_spill_count: 0
    .symbol:         _ZN7rocprim17ROCPRIM_400000_NS6detail17trampoline_kernelINS0_14default_configENS1_37merge_sort_block_sort_config_selectorItNS0_10empty_typeEEEZNS1_21merge_sort_block_sortIS3_N6thrust23THRUST_200600_302600_NS6detail15normal_iteratorINS9_10device_ptrItEEEESE_PS5_SF_9comp_mod3ItEEE10hipError_tT0_T1_T2_T3_mRjT4_P12ihipStream_tbNS1_7vsmem_tEEUlT_E_NS1_11comp_targetILNS1_3genE4ELNS1_11target_archE910ELNS1_3gpuE8ELNS1_3repE0EEENS1_30default_config_static_selectorELNS0_4arch9wavefront6targetE0EEEvSK_.kd
    .uniform_work_group_size: 1
    .uses_dynamic_stack: false
    .vgpr_count:     0
    .vgpr_spill_count: 0
    .wavefront_size: 32
    .workgroup_processor_mode: 1
  - .args:
      - .offset:         0
        .size:           64
        .value_kind:     by_value
    .group_segment_fixed_size: 0
    .kernarg_segment_align: 8
    .kernarg_segment_size: 64
    .language:       OpenCL C
    .language_version:
      - 2
      - 0
    .max_flat_workgroup_size: 256
    .name:           _ZN7rocprim17ROCPRIM_400000_NS6detail17trampoline_kernelINS0_14default_configENS1_37merge_sort_block_sort_config_selectorItNS0_10empty_typeEEEZNS1_21merge_sort_block_sortIS3_N6thrust23THRUST_200600_302600_NS6detail15normal_iteratorINS9_10device_ptrItEEEESE_PS5_SF_9comp_mod3ItEEE10hipError_tT0_T1_T2_T3_mRjT4_P12ihipStream_tbNS1_7vsmem_tEEUlT_E_NS1_11comp_targetILNS1_3genE3ELNS1_11target_archE908ELNS1_3gpuE7ELNS1_3repE0EEENS1_30default_config_static_selectorELNS0_4arch9wavefront6targetE0EEEvSK_
    .private_segment_fixed_size: 0
    .sgpr_count:     0
    .sgpr_spill_count: 0
    .symbol:         _ZN7rocprim17ROCPRIM_400000_NS6detail17trampoline_kernelINS0_14default_configENS1_37merge_sort_block_sort_config_selectorItNS0_10empty_typeEEEZNS1_21merge_sort_block_sortIS3_N6thrust23THRUST_200600_302600_NS6detail15normal_iteratorINS9_10device_ptrItEEEESE_PS5_SF_9comp_mod3ItEEE10hipError_tT0_T1_T2_T3_mRjT4_P12ihipStream_tbNS1_7vsmem_tEEUlT_E_NS1_11comp_targetILNS1_3genE3ELNS1_11target_archE908ELNS1_3gpuE7ELNS1_3repE0EEENS1_30default_config_static_selectorELNS0_4arch9wavefront6targetE0EEEvSK_.kd
    .uniform_work_group_size: 1
    .uses_dynamic_stack: false
    .vgpr_count:     0
    .vgpr_spill_count: 0
    .wavefront_size: 32
    .workgroup_processor_mode: 1
  - .args:
      - .offset:         0
        .size:           64
        .value_kind:     by_value
    .group_segment_fixed_size: 0
    .kernarg_segment_align: 8
    .kernarg_segment_size: 64
    .language:       OpenCL C
    .language_version:
      - 2
      - 0
    .max_flat_workgroup_size: 256
    .name:           _ZN7rocprim17ROCPRIM_400000_NS6detail17trampoline_kernelINS0_14default_configENS1_37merge_sort_block_sort_config_selectorItNS0_10empty_typeEEEZNS1_21merge_sort_block_sortIS3_N6thrust23THRUST_200600_302600_NS6detail15normal_iteratorINS9_10device_ptrItEEEESE_PS5_SF_9comp_mod3ItEEE10hipError_tT0_T1_T2_T3_mRjT4_P12ihipStream_tbNS1_7vsmem_tEEUlT_E_NS1_11comp_targetILNS1_3genE2ELNS1_11target_archE906ELNS1_3gpuE6ELNS1_3repE0EEENS1_30default_config_static_selectorELNS0_4arch9wavefront6targetE0EEEvSK_
    .private_segment_fixed_size: 0
    .sgpr_count:     0
    .sgpr_spill_count: 0
    .symbol:         _ZN7rocprim17ROCPRIM_400000_NS6detail17trampoline_kernelINS0_14default_configENS1_37merge_sort_block_sort_config_selectorItNS0_10empty_typeEEEZNS1_21merge_sort_block_sortIS3_N6thrust23THRUST_200600_302600_NS6detail15normal_iteratorINS9_10device_ptrItEEEESE_PS5_SF_9comp_mod3ItEEE10hipError_tT0_T1_T2_T3_mRjT4_P12ihipStream_tbNS1_7vsmem_tEEUlT_E_NS1_11comp_targetILNS1_3genE2ELNS1_11target_archE906ELNS1_3gpuE6ELNS1_3repE0EEENS1_30default_config_static_selectorELNS0_4arch9wavefront6targetE0EEEvSK_.kd
    .uniform_work_group_size: 1
    .uses_dynamic_stack: false
    .vgpr_count:     0
    .vgpr_spill_count: 0
    .wavefront_size: 32
    .workgroup_processor_mode: 1
  - .args:
      - .offset:         0
        .size:           64
        .value_kind:     by_value
    .group_segment_fixed_size: 0
    .kernarg_segment_align: 8
    .kernarg_segment_size: 64
    .language:       OpenCL C
    .language_version:
      - 2
      - 0
    .max_flat_workgroup_size: 256
    .name:           _ZN7rocprim17ROCPRIM_400000_NS6detail17trampoline_kernelINS0_14default_configENS1_37merge_sort_block_sort_config_selectorItNS0_10empty_typeEEEZNS1_21merge_sort_block_sortIS3_N6thrust23THRUST_200600_302600_NS6detail15normal_iteratorINS9_10device_ptrItEEEESE_PS5_SF_9comp_mod3ItEEE10hipError_tT0_T1_T2_T3_mRjT4_P12ihipStream_tbNS1_7vsmem_tEEUlT_E_NS1_11comp_targetILNS1_3genE10ELNS1_11target_archE1201ELNS1_3gpuE5ELNS1_3repE0EEENS1_30default_config_static_selectorELNS0_4arch9wavefront6targetE0EEEvSK_
    .private_segment_fixed_size: 0
    .sgpr_count:     0
    .sgpr_spill_count: 0
    .symbol:         _ZN7rocprim17ROCPRIM_400000_NS6detail17trampoline_kernelINS0_14default_configENS1_37merge_sort_block_sort_config_selectorItNS0_10empty_typeEEEZNS1_21merge_sort_block_sortIS3_N6thrust23THRUST_200600_302600_NS6detail15normal_iteratorINS9_10device_ptrItEEEESE_PS5_SF_9comp_mod3ItEEE10hipError_tT0_T1_T2_T3_mRjT4_P12ihipStream_tbNS1_7vsmem_tEEUlT_E_NS1_11comp_targetILNS1_3genE10ELNS1_11target_archE1201ELNS1_3gpuE5ELNS1_3repE0EEENS1_30default_config_static_selectorELNS0_4arch9wavefront6targetE0EEEvSK_.kd
    .uniform_work_group_size: 1
    .uses_dynamic_stack: false
    .vgpr_count:     0
    .vgpr_spill_count: 0
    .wavefront_size: 32
    .workgroup_processor_mode: 1
  - .args:
      - .offset:         0
        .size:           64
        .value_kind:     by_value
    .group_segment_fixed_size: 0
    .kernarg_segment_align: 8
    .kernarg_segment_size: 64
    .language:       OpenCL C
    .language_version:
      - 2
      - 0
    .max_flat_workgroup_size: 256
    .name:           _ZN7rocprim17ROCPRIM_400000_NS6detail17trampoline_kernelINS0_14default_configENS1_37merge_sort_block_sort_config_selectorItNS0_10empty_typeEEEZNS1_21merge_sort_block_sortIS3_N6thrust23THRUST_200600_302600_NS6detail15normal_iteratorINS9_10device_ptrItEEEESE_PS5_SF_9comp_mod3ItEEE10hipError_tT0_T1_T2_T3_mRjT4_P12ihipStream_tbNS1_7vsmem_tEEUlT_E_NS1_11comp_targetILNS1_3genE10ELNS1_11target_archE1200ELNS1_3gpuE4ELNS1_3repE0EEENS1_30default_config_static_selectorELNS0_4arch9wavefront6targetE0EEEvSK_
    .private_segment_fixed_size: 0
    .sgpr_count:     0
    .sgpr_spill_count: 0
    .symbol:         _ZN7rocprim17ROCPRIM_400000_NS6detail17trampoline_kernelINS0_14default_configENS1_37merge_sort_block_sort_config_selectorItNS0_10empty_typeEEEZNS1_21merge_sort_block_sortIS3_N6thrust23THRUST_200600_302600_NS6detail15normal_iteratorINS9_10device_ptrItEEEESE_PS5_SF_9comp_mod3ItEEE10hipError_tT0_T1_T2_T3_mRjT4_P12ihipStream_tbNS1_7vsmem_tEEUlT_E_NS1_11comp_targetILNS1_3genE10ELNS1_11target_archE1200ELNS1_3gpuE4ELNS1_3repE0EEENS1_30default_config_static_selectorELNS0_4arch9wavefront6targetE0EEEvSK_.kd
    .uniform_work_group_size: 1
    .uses_dynamic_stack: false
    .vgpr_count:     0
    .vgpr_spill_count: 0
    .wavefront_size: 32
    .workgroup_processor_mode: 1
  - .args:
      - .offset:         0
        .size:           64
        .value_kind:     by_value
    .group_segment_fixed_size: 0
    .kernarg_segment_align: 8
    .kernarg_segment_size: 64
    .language:       OpenCL C
    .language_version:
      - 2
      - 0
    .max_flat_workgroup_size: 256
    .name:           _ZN7rocprim17ROCPRIM_400000_NS6detail17trampoline_kernelINS0_14default_configENS1_37merge_sort_block_sort_config_selectorItNS0_10empty_typeEEEZNS1_21merge_sort_block_sortIS3_N6thrust23THRUST_200600_302600_NS6detail15normal_iteratorINS9_10device_ptrItEEEESE_PS5_SF_9comp_mod3ItEEE10hipError_tT0_T1_T2_T3_mRjT4_P12ihipStream_tbNS1_7vsmem_tEEUlT_E_NS1_11comp_targetILNS1_3genE9ELNS1_11target_archE1100ELNS1_3gpuE3ELNS1_3repE0EEENS1_30default_config_static_selectorELNS0_4arch9wavefront6targetE0EEEvSK_
    .private_segment_fixed_size: 0
    .sgpr_count:     0
    .sgpr_spill_count: 0
    .symbol:         _ZN7rocprim17ROCPRIM_400000_NS6detail17trampoline_kernelINS0_14default_configENS1_37merge_sort_block_sort_config_selectorItNS0_10empty_typeEEEZNS1_21merge_sort_block_sortIS3_N6thrust23THRUST_200600_302600_NS6detail15normal_iteratorINS9_10device_ptrItEEEESE_PS5_SF_9comp_mod3ItEEE10hipError_tT0_T1_T2_T3_mRjT4_P12ihipStream_tbNS1_7vsmem_tEEUlT_E_NS1_11comp_targetILNS1_3genE9ELNS1_11target_archE1100ELNS1_3gpuE3ELNS1_3repE0EEENS1_30default_config_static_selectorELNS0_4arch9wavefront6targetE0EEEvSK_.kd
    .uniform_work_group_size: 1
    .uses_dynamic_stack: false
    .vgpr_count:     0
    .vgpr_spill_count: 0
    .wavefront_size: 32
    .workgroup_processor_mode: 1
  - .args:
      - .offset:         0
        .size:           64
        .value_kind:     by_value
      - .offset:         64
        .size:           4
        .value_kind:     hidden_block_count_x
      - .offset:         68
        .size:           4
        .value_kind:     hidden_block_count_y
      - .offset:         72
        .size:           4
        .value_kind:     hidden_block_count_z
      - .offset:         76
        .size:           2
        .value_kind:     hidden_group_size_x
      - .offset:         78
        .size:           2
        .value_kind:     hidden_group_size_y
      - .offset:         80
        .size:           2
        .value_kind:     hidden_group_size_z
      - .offset:         82
        .size:           2
        .value_kind:     hidden_remainder_x
      - .offset:         84
        .size:           2
        .value_kind:     hidden_remainder_y
      - .offset:         86
        .size:           2
        .value_kind:     hidden_remainder_z
      - .offset:         104
        .size:           8
        .value_kind:     hidden_global_offset_x
      - .offset:         112
        .size:           8
        .value_kind:     hidden_global_offset_y
      - .offset:         120
        .size:           8
        .value_kind:     hidden_global_offset_z
      - .offset:         128
        .size:           2
        .value_kind:     hidden_grid_dims
    .group_segment_fixed_size: 16896
    .kernarg_segment_align: 8
    .kernarg_segment_size: 320
    .language:       OpenCL C
    .language_version:
      - 2
      - 0
    .max_flat_workgroup_size: 256
    .name:           _ZN7rocprim17ROCPRIM_400000_NS6detail17trampoline_kernelINS0_14default_configENS1_37merge_sort_block_sort_config_selectorItNS0_10empty_typeEEEZNS1_21merge_sort_block_sortIS3_N6thrust23THRUST_200600_302600_NS6detail15normal_iteratorINS9_10device_ptrItEEEESE_PS5_SF_9comp_mod3ItEEE10hipError_tT0_T1_T2_T3_mRjT4_P12ihipStream_tbNS1_7vsmem_tEEUlT_E_NS1_11comp_targetILNS1_3genE8ELNS1_11target_archE1030ELNS1_3gpuE2ELNS1_3repE0EEENS1_30default_config_static_selectorELNS0_4arch9wavefront6targetE0EEEvSK_
    .private_segment_fixed_size: 144
    .sgpr_count:     98
    .sgpr_spill_count: 0
    .symbol:         _ZN7rocprim17ROCPRIM_400000_NS6detail17trampoline_kernelINS0_14default_configENS1_37merge_sort_block_sort_config_selectorItNS0_10empty_typeEEEZNS1_21merge_sort_block_sortIS3_N6thrust23THRUST_200600_302600_NS6detail15normal_iteratorINS9_10device_ptrItEEEESE_PS5_SF_9comp_mod3ItEEE10hipError_tT0_T1_T2_T3_mRjT4_P12ihipStream_tbNS1_7vsmem_tEEUlT_E_NS1_11comp_targetILNS1_3genE8ELNS1_11target_archE1030ELNS1_3gpuE2ELNS1_3repE0EEENS1_30default_config_static_selectorELNS0_4arch9wavefront6targetE0EEEvSK_.kd
    .uniform_work_group_size: 1
    .uses_dynamic_stack: false
    .vgpr_count:     248
    .vgpr_spill_count: 0
    .wavefront_size: 32
    .workgroup_processor_mode: 1
  - .args:
      - .offset:         0
        .size:           48
        .value_kind:     by_value
    .group_segment_fixed_size: 0
    .kernarg_segment_align: 8
    .kernarg_segment_size: 48
    .language:       OpenCL C
    .language_version:
      - 2
      - 0
    .max_flat_workgroup_size: 128
    .name:           _ZN7rocprim17ROCPRIM_400000_NS6detail17trampoline_kernelINS0_14default_configENS1_38merge_sort_block_merge_config_selectorItNS0_10empty_typeEEEZZNS1_27merge_sort_block_merge_implIS3_N6thrust23THRUST_200600_302600_NS6detail15normal_iteratorINS9_10device_ptrItEEEEPS5_m9comp_mod3ItEEE10hipError_tT0_T1_T2_jT3_P12ihipStream_tbPNSt15iterator_traitsISJ_E10value_typeEPNSP_ISK_E10value_typeEPSL_NS1_7vsmem_tEENKUlT_SJ_SK_SL_E_clIPtSE_SF_SF_EESI_SY_SJ_SK_SL_EUlSY_E_NS1_11comp_targetILNS1_3genE0ELNS1_11target_archE4294967295ELNS1_3gpuE0ELNS1_3repE0EEENS1_48merge_mergepath_partition_config_static_selectorELNS0_4arch9wavefront6targetE0EEEvSK_
    .private_segment_fixed_size: 0
    .sgpr_count:     0
    .sgpr_spill_count: 0
    .symbol:         _ZN7rocprim17ROCPRIM_400000_NS6detail17trampoline_kernelINS0_14default_configENS1_38merge_sort_block_merge_config_selectorItNS0_10empty_typeEEEZZNS1_27merge_sort_block_merge_implIS3_N6thrust23THRUST_200600_302600_NS6detail15normal_iteratorINS9_10device_ptrItEEEEPS5_m9comp_mod3ItEEE10hipError_tT0_T1_T2_jT3_P12ihipStream_tbPNSt15iterator_traitsISJ_E10value_typeEPNSP_ISK_E10value_typeEPSL_NS1_7vsmem_tEENKUlT_SJ_SK_SL_E_clIPtSE_SF_SF_EESI_SY_SJ_SK_SL_EUlSY_E_NS1_11comp_targetILNS1_3genE0ELNS1_11target_archE4294967295ELNS1_3gpuE0ELNS1_3repE0EEENS1_48merge_mergepath_partition_config_static_selectorELNS0_4arch9wavefront6targetE0EEEvSK_.kd
    .uniform_work_group_size: 1
    .uses_dynamic_stack: false
    .vgpr_count:     0
    .vgpr_spill_count: 0
    .wavefront_size: 32
    .workgroup_processor_mode: 1
  - .args:
      - .offset:         0
        .size:           48
        .value_kind:     by_value
    .group_segment_fixed_size: 0
    .kernarg_segment_align: 8
    .kernarg_segment_size: 48
    .language:       OpenCL C
    .language_version:
      - 2
      - 0
    .max_flat_workgroup_size: 128
    .name:           _ZN7rocprim17ROCPRIM_400000_NS6detail17trampoline_kernelINS0_14default_configENS1_38merge_sort_block_merge_config_selectorItNS0_10empty_typeEEEZZNS1_27merge_sort_block_merge_implIS3_N6thrust23THRUST_200600_302600_NS6detail15normal_iteratorINS9_10device_ptrItEEEEPS5_m9comp_mod3ItEEE10hipError_tT0_T1_T2_jT3_P12ihipStream_tbPNSt15iterator_traitsISJ_E10value_typeEPNSP_ISK_E10value_typeEPSL_NS1_7vsmem_tEENKUlT_SJ_SK_SL_E_clIPtSE_SF_SF_EESI_SY_SJ_SK_SL_EUlSY_E_NS1_11comp_targetILNS1_3genE10ELNS1_11target_archE1201ELNS1_3gpuE5ELNS1_3repE0EEENS1_48merge_mergepath_partition_config_static_selectorELNS0_4arch9wavefront6targetE0EEEvSK_
    .private_segment_fixed_size: 0
    .sgpr_count:     0
    .sgpr_spill_count: 0
    .symbol:         _ZN7rocprim17ROCPRIM_400000_NS6detail17trampoline_kernelINS0_14default_configENS1_38merge_sort_block_merge_config_selectorItNS0_10empty_typeEEEZZNS1_27merge_sort_block_merge_implIS3_N6thrust23THRUST_200600_302600_NS6detail15normal_iteratorINS9_10device_ptrItEEEEPS5_m9comp_mod3ItEEE10hipError_tT0_T1_T2_jT3_P12ihipStream_tbPNSt15iterator_traitsISJ_E10value_typeEPNSP_ISK_E10value_typeEPSL_NS1_7vsmem_tEENKUlT_SJ_SK_SL_E_clIPtSE_SF_SF_EESI_SY_SJ_SK_SL_EUlSY_E_NS1_11comp_targetILNS1_3genE10ELNS1_11target_archE1201ELNS1_3gpuE5ELNS1_3repE0EEENS1_48merge_mergepath_partition_config_static_selectorELNS0_4arch9wavefront6targetE0EEEvSK_.kd
    .uniform_work_group_size: 1
    .uses_dynamic_stack: false
    .vgpr_count:     0
    .vgpr_spill_count: 0
    .wavefront_size: 32
    .workgroup_processor_mode: 1
  - .args:
      - .offset:         0
        .size:           48
        .value_kind:     by_value
    .group_segment_fixed_size: 0
    .kernarg_segment_align: 8
    .kernarg_segment_size: 48
    .language:       OpenCL C
    .language_version:
      - 2
      - 0
    .max_flat_workgroup_size: 128
    .name:           _ZN7rocprim17ROCPRIM_400000_NS6detail17trampoline_kernelINS0_14default_configENS1_38merge_sort_block_merge_config_selectorItNS0_10empty_typeEEEZZNS1_27merge_sort_block_merge_implIS3_N6thrust23THRUST_200600_302600_NS6detail15normal_iteratorINS9_10device_ptrItEEEEPS5_m9comp_mod3ItEEE10hipError_tT0_T1_T2_jT3_P12ihipStream_tbPNSt15iterator_traitsISJ_E10value_typeEPNSP_ISK_E10value_typeEPSL_NS1_7vsmem_tEENKUlT_SJ_SK_SL_E_clIPtSE_SF_SF_EESI_SY_SJ_SK_SL_EUlSY_E_NS1_11comp_targetILNS1_3genE5ELNS1_11target_archE942ELNS1_3gpuE9ELNS1_3repE0EEENS1_48merge_mergepath_partition_config_static_selectorELNS0_4arch9wavefront6targetE0EEEvSK_
    .private_segment_fixed_size: 0
    .sgpr_count:     0
    .sgpr_spill_count: 0
    .symbol:         _ZN7rocprim17ROCPRIM_400000_NS6detail17trampoline_kernelINS0_14default_configENS1_38merge_sort_block_merge_config_selectorItNS0_10empty_typeEEEZZNS1_27merge_sort_block_merge_implIS3_N6thrust23THRUST_200600_302600_NS6detail15normal_iteratorINS9_10device_ptrItEEEEPS5_m9comp_mod3ItEEE10hipError_tT0_T1_T2_jT3_P12ihipStream_tbPNSt15iterator_traitsISJ_E10value_typeEPNSP_ISK_E10value_typeEPSL_NS1_7vsmem_tEENKUlT_SJ_SK_SL_E_clIPtSE_SF_SF_EESI_SY_SJ_SK_SL_EUlSY_E_NS1_11comp_targetILNS1_3genE5ELNS1_11target_archE942ELNS1_3gpuE9ELNS1_3repE0EEENS1_48merge_mergepath_partition_config_static_selectorELNS0_4arch9wavefront6targetE0EEEvSK_.kd
    .uniform_work_group_size: 1
    .uses_dynamic_stack: false
    .vgpr_count:     0
    .vgpr_spill_count: 0
    .wavefront_size: 32
    .workgroup_processor_mode: 1
  - .args:
      - .offset:         0
        .size:           48
        .value_kind:     by_value
    .group_segment_fixed_size: 0
    .kernarg_segment_align: 8
    .kernarg_segment_size: 48
    .language:       OpenCL C
    .language_version:
      - 2
      - 0
    .max_flat_workgroup_size: 128
    .name:           _ZN7rocprim17ROCPRIM_400000_NS6detail17trampoline_kernelINS0_14default_configENS1_38merge_sort_block_merge_config_selectorItNS0_10empty_typeEEEZZNS1_27merge_sort_block_merge_implIS3_N6thrust23THRUST_200600_302600_NS6detail15normal_iteratorINS9_10device_ptrItEEEEPS5_m9comp_mod3ItEEE10hipError_tT0_T1_T2_jT3_P12ihipStream_tbPNSt15iterator_traitsISJ_E10value_typeEPNSP_ISK_E10value_typeEPSL_NS1_7vsmem_tEENKUlT_SJ_SK_SL_E_clIPtSE_SF_SF_EESI_SY_SJ_SK_SL_EUlSY_E_NS1_11comp_targetILNS1_3genE4ELNS1_11target_archE910ELNS1_3gpuE8ELNS1_3repE0EEENS1_48merge_mergepath_partition_config_static_selectorELNS0_4arch9wavefront6targetE0EEEvSK_
    .private_segment_fixed_size: 0
    .sgpr_count:     0
    .sgpr_spill_count: 0
    .symbol:         _ZN7rocprim17ROCPRIM_400000_NS6detail17trampoline_kernelINS0_14default_configENS1_38merge_sort_block_merge_config_selectorItNS0_10empty_typeEEEZZNS1_27merge_sort_block_merge_implIS3_N6thrust23THRUST_200600_302600_NS6detail15normal_iteratorINS9_10device_ptrItEEEEPS5_m9comp_mod3ItEEE10hipError_tT0_T1_T2_jT3_P12ihipStream_tbPNSt15iterator_traitsISJ_E10value_typeEPNSP_ISK_E10value_typeEPSL_NS1_7vsmem_tEENKUlT_SJ_SK_SL_E_clIPtSE_SF_SF_EESI_SY_SJ_SK_SL_EUlSY_E_NS1_11comp_targetILNS1_3genE4ELNS1_11target_archE910ELNS1_3gpuE8ELNS1_3repE0EEENS1_48merge_mergepath_partition_config_static_selectorELNS0_4arch9wavefront6targetE0EEEvSK_.kd
    .uniform_work_group_size: 1
    .uses_dynamic_stack: false
    .vgpr_count:     0
    .vgpr_spill_count: 0
    .wavefront_size: 32
    .workgroup_processor_mode: 1
  - .args:
      - .offset:         0
        .size:           48
        .value_kind:     by_value
    .group_segment_fixed_size: 0
    .kernarg_segment_align: 8
    .kernarg_segment_size: 48
    .language:       OpenCL C
    .language_version:
      - 2
      - 0
    .max_flat_workgroup_size: 128
    .name:           _ZN7rocprim17ROCPRIM_400000_NS6detail17trampoline_kernelINS0_14default_configENS1_38merge_sort_block_merge_config_selectorItNS0_10empty_typeEEEZZNS1_27merge_sort_block_merge_implIS3_N6thrust23THRUST_200600_302600_NS6detail15normal_iteratorINS9_10device_ptrItEEEEPS5_m9comp_mod3ItEEE10hipError_tT0_T1_T2_jT3_P12ihipStream_tbPNSt15iterator_traitsISJ_E10value_typeEPNSP_ISK_E10value_typeEPSL_NS1_7vsmem_tEENKUlT_SJ_SK_SL_E_clIPtSE_SF_SF_EESI_SY_SJ_SK_SL_EUlSY_E_NS1_11comp_targetILNS1_3genE3ELNS1_11target_archE908ELNS1_3gpuE7ELNS1_3repE0EEENS1_48merge_mergepath_partition_config_static_selectorELNS0_4arch9wavefront6targetE0EEEvSK_
    .private_segment_fixed_size: 0
    .sgpr_count:     0
    .sgpr_spill_count: 0
    .symbol:         _ZN7rocprim17ROCPRIM_400000_NS6detail17trampoline_kernelINS0_14default_configENS1_38merge_sort_block_merge_config_selectorItNS0_10empty_typeEEEZZNS1_27merge_sort_block_merge_implIS3_N6thrust23THRUST_200600_302600_NS6detail15normal_iteratorINS9_10device_ptrItEEEEPS5_m9comp_mod3ItEEE10hipError_tT0_T1_T2_jT3_P12ihipStream_tbPNSt15iterator_traitsISJ_E10value_typeEPNSP_ISK_E10value_typeEPSL_NS1_7vsmem_tEENKUlT_SJ_SK_SL_E_clIPtSE_SF_SF_EESI_SY_SJ_SK_SL_EUlSY_E_NS1_11comp_targetILNS1_3genE3ELNS1_11target_archE908ELNS1_3gpuE7ELNS1_3repE0EEENS1_48merge_mergepath_partition_config_static_selectorELNS0_4arch9wavefront6targetE0EEEvSK_.kd
    .uniform_work_group_size: 1
    .uses_dynamic_stack: false
    .vgpr_count:     0
    .vgpr_spill_count: 0
    .wavefront_size: 32
    .workgroup_processor_mode: 1
  - .args:
      - .offset:         0
        .size:           48
        .value_kind:     by_value
    .group_segment_fixed_size: 0
    .kernarg_segment_align: 8
    .kernarg_segment_size: 48
    .language:       OpenCL C
    .language_version:
      - 2
      - 0
    .max_flat_workgroup_size: 128
    .name:           _ZN7rocprim17ROCPRIM_400000_NS6detail17trampoline_kernelINS0_14default_configENS1_38merge_sort_block_merge_config_selectorItNS0_10empty_typeEEEZZNS1_27merge_sort_block_merge_implIS3_N6thrust23THRUST_200600_302600_NS6detail15normal_iteratorINS9_10device_ptrItEEEEPS5_m9comp_mod3ItEEE10hipError_tT0_T1_T2_jT3_P12ihipStream_tbPNSt15iterator_traitsISJ_E10value_typeEPNSP_ISK_E10value_typeEPSL_NS1_7vsmem_tEENKUlT_SJ_SK_SL_E_clIPtSE_SF_SF_EESI_SY_SJ_SK_SL_EUlSY_E_NS1_11comp_targetILNS1_3genE2ELNS1_11target_archE906ELNS1_3gpuE6ELNS1_3repE0EEENS1_48merge_mergepath_partition_config_static_selectorELNS0_4arch9wavefront6targetE0EEEvSK_
    .private_segment_fixed_size: 0
    .sgpr_count:     0
    .sgpr_spill_count: 0
    .symbol:         _ZN7rocprim17ROCPRIM_400000_NS6detail17trampoline_kernelINS0_14default_configENS1_38merge_sort_block_merge_config_selectorItNS0_10empty_typeEEEZZNS1_27merge_sort_block_merge_implIS3_N6thrust23THRUST_200600_302600_NS6detail15normal_iteratorINS9_10device_ptrItEEEEPS5_m9comp_mod3ItEEE10hipError_tT0_T1_T2_jT3_P12ihipStream_tbPNSt15iterator_traitsISJ_E10value_typeEPNSP_ISK_E10value_typeEPSL_NS1_7vsmem_tEENKUlT_SJ_SK_SL_E_clIPtSE_SF_SF_EESI_SY_SJ_SK_SL_EUlSY_E_NS1_11comp_targetILNS1_3genE2ELNS1_11target_archE906ELNS1_3gpuE6ELNS1_3repE0EEENS1_48merge_mergepath_partition_config_static_selectorELNS0_4arch9wavefront6targetE0EEEvSK_.kd
    .uniform_work_group_size: 1
    .uses_dynamic_stack: false
    .vgpr_count:     0
    .vgpr_spill_count: 0
    .wavefront_size: 32
    .workgroup_processor_mode: 1
  - .args:
      - .offset:         0
        .size:           48
        .value_kind:     by_value
    .group_segment_fixed_size: 0
    .kernarg_segment_align: 8
    .kernarg_segment_size: 48
    .language:       OpenCL C
    .language_version:
      - 2
      - 0
    .max_flat_workgroup_size: 128
    .name:           _ZN7rocprim17ROCPRIM_400000_NS6detail17trampoline_kernelINS0_14default_configENS1_38merge_sort_block_merge_config_selectorItNS0_10empty_typeEEEZZNS1_27merge_sort_block_merge_implIS3_N6thrust23THRUST_200600_302600_NS6detail15normal_iteratorINS9_10device_ptrItEEEEPS5_m9comp_mod3ItEEE10hipError_tT0_T1_T2_jT3_P12ihipStream_tbPNSt15iterator_traitsISJ_E10value_typeEPNSP_ISK_E10value_typeEPSL_NS1_7vsmem_tEENKUlT_SJ_SK_SL_E_clIPtSE_SF_SF_EESI_SY_SJ_SK_SL_EUlSY_E_NS1_11comp_targetILNS1_3genE9ELNS1_11target_archE1100ELNS1_3gpuE3ELNS1_3repE0EEENS1_48merge_mergepath_partition_config_static_selectorELNS0_4arch9wavefront6targetE0EEEvSK_
    .private_segment_fixed_size: 0
    .sgpr_count:     0
    .sgpr_spill_count: 0
    .symbol:         _ZN7rocprim17ROCPRIM_400000_NS6detail17trampoline_kernelINS0_14default_configENS1_38merge_sort_block_merge_config_selectorItNS0_10empty_typeEEEZZNS1_27merge_sort_block_merge_implIS3_N6thrust23THRUST_200600_302600_NS6detail15normal_iteratorINS9_10device_ptrItEEEEPS5_m9comp_mod3ItEEE10hipError_tT0_T1_T2_jT3_P12ihipStream_tbPNSt15iterator_traitsISJ_E10value_typeEPNSP_ISK_E10value_typeEPSL_NS1_7vsmem_tEENKUlT_SJ_SK_SL_E_clIPtSE_SF_SF_EESI_SY_SJ_SK_SL_EUlSY_E_NS1_11comp_targetILNS1_3genE9ELNS1_11target_archE1100ELNS1_3gpuE3ELNS1_3repE0EEENS1_48merge_mergepath_partition_config_static_selectorELNS0_4arch9wavefront6targetE0EEEvSK_.kd
    .uniform_work_group_size: 1
    .uses_dynamic_stack: false
    .vgpr_count:     0
    .vgpr_spill_count: 0
    .wavefront_size: 32
    .workgroup_processor_mode: 1
  - .args:
      - .offset:         0
        .size:           48
        .value_kind:     by_value
    .group_segment_fixed_size: 0
    .kernarg_segment_align: 8
    .kernarg_segment_size: 48
    .language:       OpenCL C
    .language_version:
      - 2
      - 0
    .max_flat_workgroup_size: 128
    .name:           _ZN7rocprim17ROCPRIM_400000_NS6detail17trampoline_kernelINS0_14default_configENS1_38merge_sort_block_merge_config_selectorItNS0_10empty_typeEEEZZNS1_27merge_sort_block_merge_implIS3_N6thrust23THRUST_200600_302600_NS6detail15normal_iteratorINS9_10device_ptrItEEEEPS5_m9comp_mod3ItEEE10hipError_tT0_T1_T2_jT3_P12ihipStream_tbPNSt15iterator_traitsISJ_E10value_typeEPNSP_ISK_E10value_typeEPSL_NS1_7vsmem_tEENKUlT_SJ_SK_SL_E_clIPtSE_SF_SF_EESI_SY_SJ_SK_SL_EUlSY_E_NS1_11comp_targetILNS1_3genE8ELNS1_11target_archE1030ELNS1_3gpuE2ELNS1_3repE0EEENS1_48merge_mergepath_partition_config_static_selectorELNS0_4arch9wavefront6targetE0EEEvSK_
    .private_segment_fixed_size: 0
    .sgpr_count:     18
    .sgpr_spill_count: 0
    .symbol:         _ZN7rocprim17ROCPRIM_400000_NS6detail17trampoline_kernelINS0_14default_configENS1_38merge_sort_block_merge_config_selectorItNS0_10empty_typeEEEZZNS1_27merge_sort_block_merge_implIS3_N6thrust23THRUST_200600_302600_NS6detail15normal_iteratorINS9_10device_ptrItEEEEPS5_m9comp_mod3ItEEE10hipError_tT0_T1_T2_jT3_P12ihipStream_tbPNSt15iterator_traitsISJ_E10value_typeEPNSP_ISK_E10value_typeEPSL_NS1_7vsmem_tEENKUlT_SJ_SK_SL_E_clIPtSE_SF_SF_EESI_SY_SJ_SK_SL_EUlSY_E_NS1_11comp_targetILNS1_3genE8ELNS1_11target_archE1030ELNS1_3gpuE2ELNS1_3repE0EEENS1_48merge_mergepath_partition_config_static_selectorELNS0_4arch9wavefront6targetE0EEEvSK_.kd
    .uniform_work_group_size: 1
    .uses_dynamic_stack: false
    .vgpr_count:     17
    .vgpr_spill_count: 0
    .wavefront_size: 32
    .workgroup_processor_mode: 1
  - .args:
      - .offset:         0
        .size:           80
        .value_kind:     by_value
    .group_segment_fixed_size: 0
    .kernarg_segment_align: 8
    .kernarg_segment_size: 80
    .language:       OpenCL C
    .language_version:
      - 2
      - 0
    .max_flat_workgroup_size: 128
    .name:           _ZN7rocprim17ROCPRIM_400000_NS6detail17trampoline_kernelINS0_14default_configENS1_38merge_sort_block_merge_config_selectorItNS0_10empty_typeEEEZZNS1_27merge_sort_block_merge_implIS3_N6thrust23THRUST_200600_302600_NS6detail15normal_iteratorINS9_10device_ptrItEEEEPS5_m9comp_mod3ItEEE10hipError_tT0_T1_T2_jT3_P12ihipStream_tbPNSt15iterator_traitsISJ_E10value_typeEPNSP_ISK_E10value_typeEPSL_NS1_7vsmem_tEENKUlT_SJ_SK_SL_E_clIPtSE_SF_SF_EESI_SY_SJ_SK_SL_EUlSY_E0_NS1_11comp_targetILNS1_3genE0ELNS1_11target_archE4294967295ELNS1_3gpuE0ELNS1_3repE0EEENS1_38merge_mergepath_config_static_selectorELNS0_4arch9wavefront6targetE0EEEvSK_
    .private_segment_fixed_size: 0
    .sgpr_count:     0
    .sgpr_spill_count: 0
    .symbol:         _ZN7rocprim17ROCPRIM_400000_NS6detail17trampoline_kernelINS0_14default_configENS1_38merge_sort_block_merge_config_selectorItNS0_10empty_typeEEEZZNS1_27merge_sort_block_merge_implIS3_N6thrust23THRUST_200600_302600_NS6detail15normal_iteratorINS9_10device_ptrItEEEEPS5_m9comp_mod3ItEEE10hipError_tT0_T1_T2_jT3_P12ihipStream_tbPNSt15iterator_traitsISJ_E10value_typeEPNSP_ISK_E10value_typeEPSL_NS1_7vsmem_tEENKUlT_SJ_SK_SL_E_clIPtSE_SF_SF_EESI_SY_SJ_SK_SL_EUlSY_E0_NS1_11comp_targetILNS1_3genE0ELNS1_11target_archE4294967295ELNS1_3gpuE0ELNS1_3repE0EEENS1_38merge_mergepath_config_static_selectorELNS0_4arch9wavefront6targetE0EEEvSK_.kd
    .uniform_work_group_size: 1
    .uses_dynamic_stack: false
    .vgpr_count:     0
    .vgpr_spill_count: 0
    .wavefront_size: 32
    .workgroup_processor_mode: 1
  - .args:
      - .offset:         0
        .size:           80
        .value_kind:     by_value
    .group_segment_fixed_size: 0
    .kernarg_segment_align: 8
    .kernarg_segment_size: 80
    .language:       OpenCL C
    .language_version:
      - 2
      - 0
    .max_flat_workgroup_size: 128
    .name:           _ZN7rocprim17ROCPRIM_400000_NS6detail17trampoline_kernelINS0_14default_configENS1_38merge_sort_block_merge_config_selectorItNS0_10empty_typeEEEZZNS1_27merge_sort_block_merge_implIS3_N6thrust23THRUST_200600_302600_NS6detail15normal_iteratorINS9_10device_ptrItEEEEPS5_m9comp_mod3ItEEE10hipError_tT0_T1_T2_jT3_P12ihipStream_tbPNSt15iterator_traitsISJ_E10value_typeEPNSP_ISK_E10value_typeEPSL_NS1_7vsmem_tEENKUlT_SJ_SK_SL_E_clIPtSE_SF_SF_EESI_SY_SJ_SK_SL_EUlSY_E0_NS1_11comp_targetILNS1_3genE10ELNS1_11target_archE1201ELNS1_3gpuE5ELNS1_3repE0EEENS1_38merge_mergepath_config_static_selectorELNS0_4arch9wavefront6targetE0EEEvSK_
    .private_segment_fixed_size: 0
    .sgpr_count:     0
    .sgpr_spill_count: 0
    .symbol:         _ZN7rocprim17ROCPRIM_400000_NS6detail17trampoline_kernelINS0_14default_configENS1_38merge_sort_block_merge_config_selectorItNS0_10empty_typeEEEZZNS1_27merge_sort_block_merge_implIS3_N6thrust23THRUST_200600_302600_NS6detail15normal_iteratorINS9_10device_ptrItEEEEPS5_m9comp_mod3ItEEE10hipError_tT0_T1_T2_jT3_P12ihipStream_tbPNSt15iterator_traitsISJ_E10value_typeEPNSP_ISK_E10value_typeEPSL_NS1_7vsmem_tEENKUlT_SJ_SK_SL_E_clIPtSE_SF_SF_EESI_SY_SJ_SK_SL_EUlSY_E0_NS1_11comp_targetILNS1_3genE10ELNS1_11target_archE1201ELNS1_3gpuE5ELNS1_3repE0EEENS1_38merge_mergepath_config_static_selectorELNS0_4arch9wavefront6targetE0EEEvSK_.kd
    .uniform_work_group_size: 1
    .uses_dynamic_stack: false
    .vgpr_count:     0
    .vgpr_spill_count: 0
    .wavefront_size: 32
    .workgroup_processor_mode: 1
  - .args:
      - .offset:         0
        .size:           80
        .value_kind:     by_value
    .group_segment_fixed_size: 0
    .kernarg_segment_align: 8
    .kernarg_segment_size: 80
    .language:       OpenCL C
    .language_version:
      - 2
      - 0
    .max_flat_workgroup_size: 128
    .name:           _ZN7rocprim17ROCPRIM_400000_NS6detail17trampoline_kernelINS0_14default_configENS1_38merge_sort_block_merge_config_selectorItNS0_10empty_typeEEEZZNS1_27merge_sort_block_merge_implIS3_N6thrust23THRUST_200600_302600_NS6detail15normal_iteratorINS9_10device_ptrItEEEEPS5_m9comp_mod3ItEEE10hipError_tT0_T1_T2_jT3_P12ihipStream_tbPNSt15iterator_traitsISJ_E10value_typeEPNSP_ISK_E10value_typeEPSL_NS1_7vsmem_tEENKUlT_SJ_SK_SL_E_clIPtSE_SF_SF_EESI_SY_SJ_SK_SL_EUlSY_E0_NS1_11comp_targetILNS1_3genE5ELNS1_11target_archE942ELNS1_3gpuE9ELNS1_3repE0EEENS1_38merge_mergepath_config_static_selectorELNS0_4arch9wavefront6targetE0EEEvSK_
    .private_segment_fixed_size: 0
    .sgpr_count:     0
    .sgpr_spill_count: 0
    .symbol:         _ZN7rocprim17ROCPRIM_400000_NS6detail17trampoline_kernelINS0_14default_configENS1_38merge_sort_block_merge_config_selectorItNS0_10empty_typeEEEZZNS1_27merge_sort_block_merge_implIS3_N6thrust23THRUST_200600_302600_NS6detail15normal_iteratorINS9_10device_ptrItEEEEPS5_m9comp_mod3ItEEE10hipError_tT0_T1_T2_jT3_P12ihipStream_tbPNSt15iterator_traitsISJ_E10value_typeEPNSP_ISK_E10value_typeEPSL_NS1_7vsmem_tEENKUlT_SJ_SK_SL_E_clIPtSE_SF_SF_EESI_SY_SJ_SK_SL_EUlSY_E0_NS1_11comp_targetILNS1_3genE5ELNS1_11target_archE942ELNS1_3gpuE9ELNS1_3repE0EEENS1_38merge_mergepath_config_static_selectorELNS0_4arch9wavefront6targetE0EEEvSK_.kd
    .uniform_work_group_size: 1
    .uses_dynamic_stack: false
    .vgpr_count:     0
    .vgpr_spill_count: 0
    .wavefront_size: 32
    .workgroup_processor_mode: 1
  - .args:
      - .offset:         0
        .size:           80
        .value_kind:     by_value
    .group_segment_fixed_size: 0
    .kernarg_segment_align: 8
    .kernarg_segment_size: 80
    .language:       OpenCL C
    .language_version:
      - 2
      - 0
    .max_flat_workgroup_size: 128
    .name:           _ZN7rocprim17ROCPRIM_400000_NS6detail17trampoline_kernelINS0_14default_configENS1_38merge_sort_block_merge_config_selectorItNS0_10empty_typeEEEZZNS1_27merge_sort_block_merge_implIS3_N6thrust23THRUST_200600_302600_NS6detail15normal_iteratorINS9_10device_ptrItEEEEPS5_m9comp_mod3ItEEE10hipError_tT0_T1_T2_jT3_P12ihipStream_tbPNSt15iterator_traitsISJ_E10value_typeEPNSP_ISK_E10value_typeEPSL_NS1_7vsmem_tEENKUlT_SJ_SK_SL_E_clIPtSE_SF_SF_EESI_SY_SJ_SK_SL_EUlSY_E0_NS1_11comp_targetILNS1_3genE4ELNS1_11target_archE910ELNS1_3gpuE8ELNS1_3repE0EEENS1_38merge_mergepath_config_static_selectorELNS0_4arch9wavefront6targetE0EEEvSK_
    .private_segment_fixed_size: 0
    .sgpr_count:     0
    .sgpr_spill_count: 0
    .symbol:         _ZN7rocprim17ROCPRIM_400000_NS6detail17trampoline_kernelINS0_14default_configENS1_38merge_sort_block_merge_config_selectorItNS0_10empty_typeEEEZZNS1_27merge_sort_block_merge_implIS3_N6thrust23THRUST_200600_302600_NS6detail15normal_iteratorINS9_10device_ptrItEEEEPS5_m9comp_mod3ItEEE10hipError_tT0_T1_T2_jT3_P12ihipStream_tbPNSt15iterator_traitsISJ_E10value_typeEPNSP_ISK_E10value_typeEPSL_NS1_7vsmem_tEENKUlT_SJ_SK_SL_E_clIPtSE_SF_SF_EESI_SY_SJ_SK_SL_EUlSY_E0_NS1_11comp_targetILNS1_3genE4ELNS1_11target_archE910ELNS1_3gpuE8ELNS1_3repE0EEENS1_38merge_mergepath_config_static_selectorELNS0_4arch9wavefront6targetE0EEEvSK_.kd
    .uniform_work_group_size: 1
    .uses_dynamic_stack: false
    .vgpr_count:     0
    .vgpr_spill_count: 0
    .wavefront_size: 32
    .workgroup_processor_mode: 1
  - .args:
      - .offset:         0
        .size:           80
        .value_kind:     by_value
    .group_segment_fixed_size: 0
    .kernarg_segment_align: 8
    .kernarg_segment_size: 80
    .language:       OpenCL C
    .language_version:
      - 2
      - 0
    .max_flat_workgroup_size: 128
    .name:           _ZN7rocprim17ROCPRIM_400000_NS6detail17trampoline_kernelINS0_14default_configENS1_38merge_sort_block_merge_config_selectorItNS0_10empty_typeEEEZZNS1_27merge_sort_block_merge_implIS3_N6thrust23THRUST_200600_302600_NS6detail15normal_iteratorINS9_10device_ptrItEEEEPS5_m9comp_mod3ItEEE10hipError_tT0_T1_T2_jT3_P12ihipStream_tbPNSt15iterator_traitsISJ_E10value_typeEPNSP_ISK_E10value_typeEPSL_NS1_7vsmem_tEENKUlT_SJ_SK_SL_E_clIPtSE_SF_SF_EESI_SY_SJ_SK_SL_EUlSY_E0_NS1_11comp_targetILNS1_3genE3ELNS1_11target_archE908ELNS1_3gpuE7ELNS1_3repE0EEENS1_38merge_mergepath_config_static_selectorELNS0_4arch9wavefront6targetE0EEEvSK_
    .private_segment_fixed_size: 0
    .sgpr_count:     0
    .sgpr_spill_count: 0
    .symbol:         _ZN7rocprim17ROCPRIM_400000_NS6detail17trampoline_kernelINS0_14default_configENS1_38merge_sort_block_merge_config_selectorItNS0_10empty_typeEEEZZNS1_27merge_sort_block_merge_implIS3_N6thrust23THRUST_200600_302600_NS6detail15normal_iteratorINS9_10device_ptrItEEEEPS5_m9comp_mod3ItEEE10hipError_tT0_T1_T2_jT3_P12ihipStream_tbPNSt15iterator_traitsISJ_E10value_typeEPNSP_ISK_E10value_typeEPSL_NS1_7vsmem_tEENKUlT_SJ_SK_SL_E_clIPtSE_SF_SF_EESI_SY_SJ_SK_SL_EUlSY_E0_NS1_11comp_targetILNS1_3genE3ELNS1_11target_archE908ELNS1_3gpuE7ELNS1_3repE0EEENS1_38merge_mergepath_config_static_selectorELNS0_4arch9wavefront6targetE0EEEvSK_.kd
    .uniform_work_group_size: 1
    .uses_dynamic_stack: false
    .vgpr_count:     0
    .vgpr_spill_count: 0
    .wavefront_size: 32
    .workgroup_processor_mode: 1
  - .args:
      - .offset:         0
        .size:           80
        .value_kind:     by_value
    .group_segment_fixed_size: 0
    .kernarg_segment_align: 8
    .kernarg_segment_size: 80
    .language:       OpenCL C
    .language_version:
      - 2
      - 0
    .max_flat_workgroup_size: 128
    .name:           _ZN7rocprim17ROCPRIM_400000_NS6detail17trampoline_kernelINS0_14default_configENS1_38merge_sort_block_merge_config_selectorItNS0_10empty_typeEEEZZNS1_27merge_sort_block_merge_implIS3_N6thrust23THRUST_200600_302600_NS6detail15normal_iteratorINS9_10device_ptrItEEEEPS5_m9comp_mod3ItEEE10hipError_tT0_T1_T2_jT3_P12ihipStream_tbPNSt15iterator_traitsISJ_E10value_typeEPNSP_ISK_E10value_typeEPSL_NS1_7vsmem_tEENKUlT_SJ_SK_SL_E_clIPtSE_SF_SF_EESI_SY_SJ_SK_SL_EUlSY_E0_NS1_11comp_targetILNS1_3genE2ELNS1_11target_archE906ELNS1_3gpuE6ELNS1_3repE0EEENS1_38merge_mergepath_config_static_selectorELNS0_4arch9wavefront6targetE0EEEvSK_
    .private_segment_fixed_size: 0
    .sgpr_count:     0
    .sgpr_spill_count: 0
    .symbol:         _ZN7rocprim17ROCPRIM_400000_NS6detail17trampoline_kernelINS0_14default_configENS1_38merge_sort_block_merge_config_selectorItNS0_10empty_typeEEEZZNS1_27merge_sort_block_merge_implIS3_N6thrust23THRUST_200600_302600_NS6detail15normal_iteratorINS9_10device_ptrItEEEEPS5_m9comp_mod3ItEEE10hipError_tT0_T1_T2_jT3_P12ihipStream_tbPNSt15iterator_traitsISJ_E10value_typeEPNSP_ISK_E10value_typeEPSL_NS1_7vsmem_tEENKUlT_SJ_SK_SL_E_clIPtSE_SF_SF_EESI_SY_SJ_SK_SL_EUlSY_E0_NS1_11comp_targetILNS1_3genE2ELNS1_11target_archE906ELNS1_3gpuE6ELNS1_3repE0EEENS1_38merge_mergepath_config_static_selectorELNS0_4arch9wavefront6targetE0EEEvSK_.kd
    .uniform_work_group_size: 1
    .uses_dynamic_stack: false
    .vgpr_count:     0
    .vgpr_spill_count: 0
    .wavefront_size: 32
    .workgroup_processor_mode: 1
  - .args:
      - .offset:         0
        .size:           80
        .value_kind:     by_value
    .group_segment_fixed_size: 0
    .kernarg_segment_align: 8
    .kernarg_segment_size: 80
    .language:       OpenCL C
    .language_version:
      - 2
      - 0
    .max_flat_workgroup_size: 128
    .name:           _ZN7rocprim17ROCPRIM_400000_NS6detail17trampoline_kernelINS0_14default_configENS1_38merge_sort_block_merge_config_selectorItNS0_10empty_typeEEEZZNS1_27merge_sort_block_merge_implIS3_N6thrust23THRUST_200600_302600_NS6detail15normal_iteratorINS9_10device_ptrItEEEEPS5_m9comp_mod3ItEEE10hipError_tT0_T1_T2_jT3_P12ihipStream_tbPNSt15iterator_traitsISJ_E10value_typeEPNSP_ISK_E10value_typeEPSL_NS1_7vsmem_tEENKUlT_SJ_SK_SL_E_clIPtSE_SF_SF_EESI_SY_SJ_SK_SL_EUlSY_E0_NS1_11comp_targetILNS1_3genE9ELNS1_11target_archE1100ELNS1_3gpuE3ELNS1_3repE0EEENS1_38merge_mergepath_config_static_selectorELNS0_4arch9wavefront6targetE0EEEvSK_
    .private_segment_fixed_size: 0
    .sgpr_count:     0
    .sgpr_spill_count: 0
    .symbol:         _ZN7rocprim17ROCPRIM_400000_NS6detail17trampoline_kernelINS0_14default_configENS1_38merge_sort_block_merge_config_selectorItNS0_10empty_typeEEEZZNS1_27merge_sort_block_merge_implIS3_N6thrust23THRUST_200600_302600_NS6detail15normal_iteratorINS9_10device_ptrItEEEEPS5_m9comp_mod3ItEEE10hipError_tT0_T1_T2_jT3_P12ihipStream_tbPNSt15iterator_traitsISJ_E10value_typeEPNSP_ISK_E10value_typeEPSL_NS1_7vsmem_tEENKUlT_SJ_SK_SL_E_clIPtSE_SF_SF_EESI_SY_SJ_SK_SL_EUlSY_E0_NS1_11comp_targetILNS1_3genE9ELNS1_11target_archE1100ELNS1_3gpuE3ELNS1_3repE0EEENS1_38merge_mergepath_config_static_selectorELNS0_4arch9wavefront6targetE0EEEvSK_.kd
    .uniform_work_group_size: 1
    .uses_dynamic_stack: false
    .vgpr_count:     0
    .vgpr_spill_count: 0
    .wavefront_size: 32
    .workgroup_processor_mode: 1
  - .args:
      - .offset:         0
        .size:           80
        .value_kind:     by_value
      - .offset:         80
        .size:           4
        .value_kind:     hidden_block_count_x
      - .offset:         84
        .size:           4
        .value_kind:     hidden_block_count_y
      - .offset:         88
        .size:           4
        .value_kind:     hidden_block_count_z
      - .offset:         92
        .size:           2
        .value_kind:     hidden_group_size_x
      - .offset:         94
        .size:           2
        .value_kind:     hidden_group_size_y
      - .offset:         96
        .size:           2
        .value_kind:     hidden_group_size_z
      - .offset:         98
        .size:           2
        .value_kind:     hidden_remainder_x
      - .offset:         100
        .size:           2
        .value_kind:     hidden_remainder_y
      - .offset:         102
        .size:           2
        .value_kind:     hidden_remainder_z
      - .offset:         120
        .size:           8
        .value_kind:     hidden_global_offset_x
      - .offset:         128
        .size:           8
        .value_kind:     hidden_global_offset_y
      - .offset:         136
        .size:           8
        .value_kind:     hidden_global_offset_z
      - .offset:         144
        .size:           2
        .value_kind:     hidden_grid_dims
    .group_segment_fixed_size: 2112
    .kernarg_segment_align: 8
    .kernarg_segment_size: 336
    .language:       OpenCL C
    .language_version:
      - 2
      - 0
    .max_flat_workgroup_size: 128
    .name:           _ZN7rocprim17ROCPRIM_400000_NS6detail17trampoline_kernelINS0_14default_configENS1_38merge_sort_block_merge_config_selectorItNS0_10empty_typeEEEZZNS1_27merge_sort_block_merge_implIS3_N6thrust23THRUST_200600_302600_NS6detail15normal_iteratorINS9_10device_ptrItEEEEPS5_m9comp_mod3ItEEE10hipError_tT0_T1_T2_jT3_P12ihipStream_tbPNSt15iterator_traitsISJ_E10value_typeEPNSP_ISK_E10value_typeEPSL_NS1_7vsmem_tEENKUlT_SJ_SK_SL_E_clIPtSE_SF_SF_EESI_SY_SJ_SK_SL_EUlSY_E0_NS1_11comp_targetILNS1_3genE8ELNS1_11target_archE1030ELNS1_3gpuE2ELNS1_3repE0EEENS1_38merge_mergepath_config_static_selectorELNS0_4arch9wavefront6targetE0EEEvSK_
    .private_segment_fixed_size: 0
    .sgpr_count:     34
    .sgpr_spill_count: 0
    .symbol:         _ZN7rocprim17ROCPRIM_400000_NS6detail17trampoline_kernelINS0_14default_configENS1_38merge_sort_block_merge_config_selectorItNS0_10empty_typeEEEZZNS1_27merge_sort_block_merge_implIS3_N6thrust23THRUST_200600_302600_NS6detail15normal_iteratorINS9_10device_ptrItEEEEPS5_m9comp_mod3ItEEE10hipError_tT0_T1_T2_jT3_P12ihipStream_tbPNSt15iterator_traitsISJ_E10value_typeEPNSP_ISK_E10value_typeEPSL_NS1_7vsmem_tEENKUlT_SJ_SK_SL_E_clIPtSE_SF_SF_EESI_SY_SJ_SK_SL_EUlSY_E0_NS1_11comp_targetILNS1_3genE8ELNS1_11target_archE1030ELNS1_3gpuE2ELNS1_3repE0EEENS1_38merge_mergepath_config_static_selectorELNS0_4arch9wavefront6targetE0EEEvSK_.kd
    .uniform_work_group_size: 1
    .uses_dynamic_stack: false
    .vgpr_count:     33
    .vgpr_spill_count: 0
    .wavefront_size: 32
    .workgroup_processor_mode: 1
  - .args:
      - .offset:         0
        .size:           56
        .value_kind:     by_value
    .group_segment_fixed_size: 0
    .kernarg_segment_align: 8
    .kernarg_segment_size: 56
    .language:       OpenCL C
    .language_version:
      - 2
      - 0
    .max_flat_workgroup_size: 256
    .name:           _ZN7rocprim17ROCPRIM_400000_NS6detail17trampoline_kernelINS0_14default_configENS1_38merge_sort_block_merge_config_selectorItNS0_10empty_typeEEEZZNS1_27merge_sort_block_merge_implIS3_N6thrust23THRUST_200600_302600_NS6detail15normal_iteratorINS9_10device_ptrItEEEEPS5_m9comp_mod3ItEEE10hipError_tT0_T1_T2_jT3_P12ihipStream_tbPNSt15iterator_traitsISJ_E10value_typeEPNSP_ISK_E10value_typeEPSL_NS1_7vsmem_tEENKUlT_SJ_SK_SL_E_clIPtSE_SF_SF_EESI_SY_SJ_SK_SL_EUlSY_E1_NS1_11comp_targetILNS1_3genE0ELNS1_11target_archE4294967295ELNS1_3gpuE0ELNS1_3repE0EEENS1_36merge_oddeven_config_static_selectorELNS0_4arch9wavefront6targetE0EEEvSK_
    .private_segment_fixed_size: 0
    .sgpr_count:     0
    .sgpr_spill_count: 0
    .symbol:         _ZN7rocprim17ROCPRIM_400000_NS6detail17trampoline_kernelINS0_14default_configENS1_38merge_sort_block_merge_config_selectorItNS0_10empty_typeEEEZZNS1_27merge_sort_block_merge_implIS3_N6thrust23THRUST_200600_302600_NS6detail15normal_iteratorINS9_10device_ptrItEEEEPS5_m9comp_mod3ItEEE10hipError_tT0_T1_T2_jT3_P12ihipStream_tbPNSt15iterator_traitsISJ_E10value_typeEPNSP_ISK_E10value_typeEPSL_NS1_7vsmem_tEENKUlT_SJ_SK_SL_E_clIPtSE_SF_SF_EESI_SY_SJ_SK_SL_EUlSY_E1_NS1_11comp_targetILNS1_3genE0ELNS1_11target_archE4294967295ELNS1_3gpuE0ELNS1_3repE0EEENS1_36merge_oddeven_config_static_selectorELNS0_4arch9wavefront6targetE0EEEvSK_.kd
    .uniform_work_group_size: 1
    .uses_dynamic_stack: false
    .vgpr_count:     0
    .vgpr_spill_count: 0
    .wavefront_size: 32
    .workgroup_processor_mode: 1
  - .args:
      - .offset:         0
        .size:           56
        .value_kind:     by_value
    .group_segment_fixed_size: 0
    .kernarg_segment_align: 8
    .kernarg_segment_size: 56
    .language:       OpenCL C
    .language_version:
      - 2
      - 0
    .max_flat_workgroup_size: 256
    .name:           _ZN7rocprim17ROCPRIM_400000_NS6detail17trampoline_kernelINS0_14default_configENS1_38merge_sort_block_merge_config_selectorItNS0_10empty_typeEEEZZNS1_27merge_sort_block_merge_implIS3_N6thrust23THRUST_200600_302600_NS6detail15normal_iteratorINS9_10device_ptrItEEEEPS5_m9comp_mod3ItEEE10hipError_tT0_T1_T2_jT3_P12ihipStream_tbPNSt15iterator_traitsISJ_E10value_typeEPNSP_ISK_E10value_typeEPSL_NS1_7vsmem_tEENKUlT_SJ_SK_SL_E_clIPtSE_SF_SF_EESI_SY_SJ_SK_SL_EUlSY_E1_NS1_11comp_targetILNS1_3genE10ELNS1_11target_archE1201ELNS1_3gpuE5ELNS1_3repE0EEENS1_36merge_oddeven_config_static_selectorELNS0_4arch9wavefront6targetE0EEEvSK_
    .private_segment_fixed_size: 0
    .sgpr_count:     0
    .sgpr_spill_count: 0
    .symbol:         _ZN7rocprim17ROCPRIM_400000_NS6detail17trampoline_kernelINS0_14default_configENS1_38merge_sort_block_merge_config_selectorItNS0_10empty_typeEEEZZNS1_27merge_sort_block_merge_implIS3_N6thrust23THRUST_200600_302600_NS6detail15normal_iteratorINS9_10device_ptrItEEEEPS5_m9comp_mod3ItEEE10hipError_tT0_T1_T2_jT3_P12ihipStream_tbPNSt15iterator_traitsISJ_E10value_typeEPNSP_ISK_E10value_typeEPSL_NS1_7vsmem_tEENKUlT_SJ_SK_SL_E_clIPtSE_SF_SF_EESI_SY_SJ_SK_SL_EUlSY_E1_NS1_11comp_targetILNS1_3genE10ELNS1_11target_archE1201ELNS1_3gpuE5ELNS1_3repE0EEENS1_36merge_oddeven_config_static_selectorELNS0_4arch9wavefront6targetE0EEEvSK_.kd
    .uniform_work_group_size: 1
    .uses_dynamic_stack: false
    .vgpr_count:     0
    .vgpr_spill_count: 0
    .wavefront_size: 32
    .workgroup_processor_mode: 1
  - .args:
      - .offset:         0
        .size:           56
        .value_kind:     by_value
    .group_segment_fixed_size: 0
    .kernarg_segment_align: 8
    .kernarg_segment_size: 56
    .language:       OpenCL C
    .language_version:
      - 2
      - 0
    .max_flat_workgroup_size: 256
    .name:           _ZN7rocprim17ROCPRIM_400000_NS6detail17trampoline_kernelINS0_14default_configENS1_38merge_sort_block_merge_config_selectorItNS0_10empty_typeEEEZZNS1_27merge_sort_block_merge_implIS3_N6thrust23THRUST_200600_302600_NS6detail15normal_iteratorINS9_10device_ptrItEEEEPS5_m9comp_mod3ItEEE10hipError_tT0_T1_T2_jT3_P12ihipStream_tbPNSt15iterator_traitsISJ_E10value_typeEPNSP_ISK_E10value_typeEPSL_NS1_7vsmem_tEENKUlT_SJ_SK_SL_E_clIPtSE_SF_SF_EESI_SY_SJ_SK_SL_EUlSY_E1_NS1_11comp_targetILNS1_3genE5ELNS1_11target_archE942ELNS1_3gpuE9ELNS1_3repE0EEENS1_36merge_oddeven_config_static_selectorELNS0_4arch9wavefront6targetE0EEEvSK_
    .private_segment_fixed_size: 0
    .sgpr_count:     0
    .sgpr_spill_count: 0
    .symbol:         _ZN7rocprim17ROCPRIM_400000_NS6detail17trampoline_kernelINS0_14default_configENS1_38merge_sort_block_merge_config_selectorItNS0_10empty_typeEEEZZNS1_27merge_sort_block_merge_implIS3_N6thrust23THRUST_200600_302600_NS6detail15normal_iteratorINS9_10device_ptrItEEEEPS5_m9comp_mod3ItEEE10hipError_tT0_T1_T2_jT3_P12ihipStream_tbPNSt15iterator_traitsISJ_E10value_typeEPNSP_ISK_E10value_typeEPSL_NS1_7vsmem_tEENKUlT_SJ_SK_SL_E_clIPtSE_SF_SF_EESI_SY_SJ_SK_SL_EUlSY_E1_NS1_11comp_targetILNS1_3genE5ELNS1_11target_archE942ELNS1_3gpuE9ELNS1_3repE0EEENS1_36merge_oddeven_config_static_selectorELNS0_4arch9wavefront6targetE0EEEvSK_.kd
    .uniform_work_group_size: 1
    .uses_dynamic_stack: false
    .vgpr_count:     0
    .vgpr_spill_count: 0
    .wavefront_size: 32
    .workgroup_processor_mode: 1
  - .args:
      - .offset:         0
        .size:           56
        .value_kind:     by_value
    .group_segment_fixed_size: 0
    .kernarg_segment_align: 8
    .kernarg_segment_size: 56
    .language:       OpenCL C
    .language_version:
      - 2
      - 0
    .max_flat_workgroup_size: 256
    .name:           _ZN7rocprim17ROCPRIM_400000_NS6detail17trampoline_kernelINS0_14default_configENS1_38merge_sort_block_merge_config_selectorItNS0_10empty_typeEEEZZNS1_27merge_sort_block_merge_implIS3_N6thrust23THRUST_200600_302600_NS6detail15normal_iteratorINS9_10device_ptrItEEEEPS5_m9comp_mod3ItEEE10hipError_tT0_T1_T2_jT3_P12ihipStream_tbPNSt15iterator_traitsISJ_E10value_typeEPNSP_ISK_E10value_typeEPSL_NS1_7vsmem_tEENKUlT_SJ_SK_SL_E_clIPtSE_SF_SF_EESI_SY_SJ_SK_SL_EUlSY_E1_NS1_11comp_targetILNS1_3genE4ELNS1_11target_archE910ELNS1_3gpuE8ELNS1_3repE0EEENS1_36merge_oddeven_config_static_selectorELNS0_4arch9wavefront6targetE0EEEvSK_
    .private_segment_fixed_size: 0
    .sgpr_count:     0
    .sgpr_spill_count: 0
    .symbol:         _ZN7rocprim17ROCPRIM_400000_NS6detail17trampoline_kernelINS0_14default_configENS1_38merge_sort_block_merge_config_selectorItNS0_10empty_typeEEEZZNS1_27merge_sort_block_merge_implIS3_N6thrust23THRUST_200600_302600_NS6detail15normal_iteratorINS9_10device_ptrItEEEEPS5_m9comp_mod3ItEEE10hipError_tT0_T1_T2_jT3_P12ihipStream_tbPNSt15iterator_traitsISJ_E10value_typeEPNSP_ISK_E10value_typeEPSL_NS1_7vsmem_tEENKUlT_SJ_SK_SL_E_clIPtSE_SF_SF_EESI_SY_SJ_SK_SL_EUlSY_E1_NS1_11comp_targetILNS1_3genE4ELNS1_11target_archE910ELNS1_3gpuE8ELNS1_3repE0EEENS1_36merge_oddeven_config_static_selectorELNS0_4arch9wavefront6targetE0EEEvSK_.kd
    .uniform_work_group_size: 1
    .uses_dynamic_stack: false
    .vgpr_count:     0
    .vgpr_spill_count: 0
    .wavefront_size: 32
    .workgroup_processor_mode: 1
  - .args:
      - .offset:         0
        .size:           56
        .value_kind:     by_value
    .group_segment_fixed_size: 0
    .kernarg_segment_align: 8
    .kernarg_segment_size: 56
    .language:       OpenCL C
    .language_version:
      - 2
      - 0
    .max_flat_workgroup_size: 256
    .name:           _ZN7rocprim17ROCPRIM_400000_NS6detail17trampoline_kernelINS0_14default_configENS1_38merge_sort_block_merge_config_selectorItNS0_10empty_typeEEEZZNS1_27merge_sort_block_merge_implIS3_N6thrust23THRUST_200600_302600_NS6detail15normal_iteratorINS9_10device_ptrItEEEEPS5_m9comp_mod3ItEEE10hipError_tT0_T1_T2_jT3_P12ihipStream_tbPNSt15iterator_traitsISJ_E10value_typeEPNSP_ISK_E10value_typeEPSL_NS1_7vsmem_tEENKUlT_SJ_SK_SL_E_clIPtSE_SF_SF_EESI_SY_SJ_SK_SL_EUlSY_E1_NS1_11comp_targetILNS1_3genE3ELNS1_11target_archE908ELNS1_3gpuE7ELNS1_3repE0EEENS1_36merge_oddeven_config_static_selectorELNS0_4arch9wavefront6targetE0EEEvSK_
    .private_segment_fixed_size: 0
    .sgpr_count:     0
    .sgpr_spill_count: 0
    .symbol:         _ZN7rocprim17ROCPRIM_400000_NS6detail17trampoline_kernelINS0_14default_configENS1_38merge_sort_block_merge_config_selectorItNS0_10empty_typeEEEZZNS1_27merge_sort_block_merge_implIS3_N6thrust23THRUST_200600_302600_NS6detail15normal_iteratorINS9_10device_ptrItEEEEPS5_m9comp_mod3ItEEE10hipError_tT0_T1_T2_jT3_P12ihipStream_tbPNSt15iterator_traitsISJ_E10value_typeEPNSP_ISK_E10value_typeEPSL_NS1_7vsmem_tEENKUlT_SJ_SK_SL_E_clIPtSE_SF_SF_EESI_SY_SJ_SK_SL_EUlSY_E1_NS1_11comp_targetILNS1_3genE3ELNS1_11target_archE908ELNS1_3gpuE7ELNS1_3repE0EEENS1_36merge_oddeven_config_static_selectorELNS0_4arch9wavefront6targetE0EEEvSK_.kd
    .uniform_work_group_size: 1
    .uses_dynamic_stack: false
    .vgpr_count:     0
    .vgpr_spill_count: 0
    .wavefront_size: 32
    .workgroup_processor_mode: 1
  - .args:
      - .offset:         0
        .size:           56
        .value_kind:     by_value
    .group_segment_fixed_size: 0
    .kernarg_segment_align: 8
    .kernarg_segment_size: 56
    .language:       OpenCL C
    .language_version:
      - 2
      - 0
    .max_flat_workgroup_size: 256
    .name:           _ZN7rocprim17ROCPRIM_400000_NS6detail17trampoline_kernelINS0_14default_configENS1_38merge_sort_block_merge_config_selectorItNS0_10empty_typeEEEZZNS1_27merge_sort_block_merge_implIS3_N6thrust23THRUST_200600_302600_NS6detail15normal_iteratorINS9_10device_ptrItEEEEPS5_m9comp_mod3ItEEE10hipError_tT0_T1_T2_jT3_P12ihipStream_tbPNSt15iterator_traitsISJ_E10value_typeEPNSP_ISK_E10value_typeEPSL_NS1_7vsmem_tEENKUlT_SJ_SK_SL_E_clIPtSE_SF_SF_EESI_SY_SJ_SK_SL_EUlSY_E1_NS1_11comp_targetILNS1_3genE2ELNS1_11target_archE906ELNS1_3gpuE6ELNS1_3repE0EEENS1_36merge_oddeven_config_static_selectorELNS0_4arch9wavefront6targetE0EEEvSK_
    .private_segment_fixed_size: 0
    .sgpr_count:     0
    .sgpr_spill_count: 0
    .symbol:         _ZN7rocprim17ROCPRIM_400000_NS6detail17trampoline_kernelINS0_14default_configENS1_38merge_sort_block_merge_config_selectorItNS0_10empty_typeEEEZZNS1_27merge_sort_block_merge_implIS3_N6thrust23THRUST_200600_302600_NS6detail15normal_iteratorINS9_10device_ptrItEEEEPS5_m9comp_mod3ItEEE10hipError_tT0_T1_T2_jT3_P12ihipStream_tbPNSt15iterator_traitsISJ_E10value_typeEPNSP_ISK_E10value_typeEPSL_NS1_7vsmem_tEENKUlT_SJ_SK_SL_E_clIPtSE_SF_SF_EESI_SY_SJ_SK_SL_EUlSY_E1_NS1_11comp_targetILNS1_3genE2ELNS1_11target_archE906ELNS1_3gpuE6ELNS1_3repE0EEENS1_36merge_oddeven_config_static_selectorELNS0_4arch9wavefront6targetE0EEEvSK_.kd
    .uniform_work_group_size: 1
    .uses_dynamic_stack: false
    .vgpr_count:     0
    .vgpr_spill_count: 0
    .wavefront_size: 32
    .workgroup_processor_mode: 1
  - .args:
      - .offset:         0
        .size:           56
        .value_kind:     by_value
    .group_segment_fixed_size: 0
    .kernarg_segment_align: 8
    .kernarg_segment_size: 56
    .language:       OpenCL C
    .language_version:
      - 2
      - 0
    .max_flat_workgroup_size: 256
    .name:           _ZN7rocprim17ROCPRIM_400000_NS6detail17trampoline_kernelINS0_14default_configENS1_38merge_sort_block_merge_config_selectorItNS0_10empty_typeEEEZZNS1_27merge_sort_block_merge_implIS3_N6thrust23THRUST_200600_302600_NS6detail15normal_iteratorINS9_10device_ptrItEEEEPS5_m9comp_mod3ItEEE10hipError_tT0_T1_T2_jT3_P12ihipStream_tbPNSt15iterator_traitsISJ_E10value_typeEPNSP_ISK_E10value_typeEPSL_NS1_7vsmem_tEENKUlT_SJ_SK_SL_E_clIPtSE_SF_SF_EESI_SY_SJ_SK_SL_EUlSY_E1_NS1_11comp_targetILNS1_3genE9ELNS1_11target_archE1100ELNS1_3gpuE3ELNS1_3repE0EEENS1_36merge_oddeven_config_static_selectorELNS0_4arch9wavefront6targetE0EEEvSK_
    .private_segment_fixed_size: 0
    .sgpr_count:     0
    .sgpr_spill_count: 0
    .symbol:         _ZN7rocprim17ROCPRIM_400000_NS6detail17trampoline_kernelINS0_14default_configENS1_38merge_sort_block_merge_config_selectorItNS0_10empty_typeEEEZZNS1_27merge_sort_block_merge_implIS3_N6thrust23THRUST_200600_302600_NS6detail15normal_iteratorINS9_10device_ptrItEEEEPS5_m9comp_mod3ItEEE10hipError_tT0_T1_T2_jT3_P12ihipStream_tbPNSt15iterator_traitsISJ_E10value_typeEPNSP_ISK_E10value_typeEPSL_NS1_7vsmem_tEENKUlT_SJ_SK_SL_E_clIPtSE_SF_SF_EESI_SY_SJ_SK_SL_EUlSY_E1_NS1_11comp_targetILNS1_3genE9ELNS1_11target_archE1100ELNS1_3gpuE3ELNS1_3repE0EEENS1_36merge_oddeven_config_static_selectorELNS0_4arch9wavefront6targetE0EEEvSK_.kd
    .uniform_work_group_size: 1
    .uses_dynamic_stack: false
    .vgpr_count:     0
    .vgpr_spill_count: 0
    .wavefront_size: 32
    .workgroup_processor_mode: 1
  - .args:
      - .offset:         0
        .size:           56
        .value_kind:     by_value
    .group_segment_fixed_size: 0
    .kernarg_segment_align: 8
    .kernarg_segment_size: 56
    .language:       OpenCL C
    .language_version:
      - 2
      - 0
    .max_flat_workgroup_size: 256
    .name:           _ZN7rocprim17ROCPRIM_400000_NS6detail17trampoline_kernelINS0_14default_configENS1_38merge_sort_block_merge_config_selectorItNS0_10empty_typeEEEZZNS1_27merge_sort_block_merge_implIS3_N6thrust23THRUST_200600_302600_NS6detail15normal_iteratorINS9_10device_ptrItEEEEPS5_m9comp_mod3ItEEE10hipError_tT0_T1_T2_jT3_P12ihipStream_tbPNSt15iterator_traitsISJ_E10value_typeEPNSP_ISK_E10value_typeEPSL_NS1_7vsmem_tEENKUlT_SJ_SK_SL_E_clIPtSE_SF_SF_EESI_SY_SJ_SK_SL_EUlSY_E1_NS1_11comp_targetILNS1_3genE8ELNS1_11target_archE1030ELNS1_3gpuE2ELNS1_3repE0EEENS1_36merge_oddeven_config_static_selectorELNS0_4arch9wavefront6targetE0EEEvSK_
    .private_segment_fixed_size: 0
    .sgpr_count:     20
    .sgpr_spill_count: 0
    .symbol:         _ZN7rocprim17ROCPRIM_400000_NS6detail17trampoline_kernelINS0_14default_configENS1_38merge_sort_block_merge_config_selectorItNS0_10empty_typeEEEZZNS1_27merge_sort_block_merge_implIS3_N6thrust23THRUST_200600_302600_NS6detail15normal_iteratorINS9_10device_ptrItEEEEPS5_m9comp_mod3ItEEE10hipError_tT0_T1_T2_jT3_P12ihipStream_tbPNSt15iterator_traitsISJ_E10value_typeEPNSP_ISK_E10value_typeEPSL_NS1_7vsmem_tEENKUlT_SJ_SK_SL_E_clIPtSE_SF_SF_EESI_SY_SJ_SK_SL_EUlSY_E1_NS1_11comp_targetILNS1_3genE8ELNS1_11target_archE1030ELNS1_3gpuE2ELNS1_3repE0EEENS1_36merge_oddeven_config_static_selectorELNS0_4arch9wavefront6targetE0EEEvSK_.kd
    .uniform_work_group_size: 1
    .uses_dynamic_stack: false
    .vgpr_count:     11
    .vgpr_spill_count: 0
    .wavefront_size: 32
    .workgroup_processor_mode: 1
  - .args:
      - .offset:         0
        .size:           48
        .value_kind:     by_value
    .group_segment_fixed_size: 0
    .kernarg_segment_align: 8
    .kernarg_segment_size: 48
    .language:       OpenCL C
    .language_version:
      - 2
      - 0
    .max_flat_workgroup_size: 128
    .name:           _ZN7rocprim17ROCPRIM_400000_NS6detail17trampoline_kernelINS0_14default_configENS1_38merge_sort_block_merge_config_selectorItNS0_10empty_typeEEEZZNS1_27merge_sort_block_merge_implIS3_N6thrust23THRUST_200600_302600_NS6detail15normal_iteratorINS9_10device_ptrItEEEEPS5_m9comp_mod3ItEEE10hipError_tT0_T1_T2_jT3_P12ihipStream_tbPNSt15iterator_traitsISJ_E10value_typeEPNSP_ISK_E10value_typeEPSL_NS1_7vsmem_tEENKUlT_SJ_SK_SL_E_clISE_PtSF_SF_EESI_SY_SJ_SK_SL_EUlSY_E_NS1_11comp_targetILNS1_3genE0ELNS1_11target_archE4294967295ELNS1_3gpuE0ELNS1_3repE0EEENS1_48merge_mergepath_partition_config_static_selectorELNS0_4arch9wavefront6targetE0EEEvSK_
    .private_segment_fixed_size: 0
    .sgpr_count:     0
    .sgpr_spill_count: 0
    .symbol:         _ZN7rocprim17ROCPRIM_400000_NS6detail17trampoline_kernelINS0_14default_configENS1_38merge_sort_block_merge_config_selectorItNS0_10empty_typeEEEZZNS1_27merge_sort_block_merge_implIS3_N6thrust23THRUST_200600_302600_NS6detail15normal_iteratorINS9_10device_ptrItEEEEPS5_m9comp_mod3ItEEE10hipError_tT0_T1_T2_jT3_P12ihipStream_tbPNSt15iterator_traitsISJ_E10value_typeEPNSP_ISK_E10value_typeEPSL_NS1_7vsmem_tEENKUlT_SJ_SK_SL_E_clISE_PtSF_SF_EESI_SY_SJ_SK_SL_EUlSY_E_NS1_11comp_targetILNS1_3genE0ELNS1_11target_archE4294967295ELNS1_3gpuE0ELNS1_3repE0EEENS1_48merge_mergepath_partition_config_static_selectorELNS0_4arch9wavefront6targetE0EEEvSK_.kd
    .uniform_work_group_size: 1
    .uses_dynamic_stack: false
    .vgpr_count:     0
    .vgpr_spill_count: 0
    .wavefront_size: 32
    .workgroup_processor_mode: 1
  - .args:
      - .offset:         0
        .size:           48
        .value_kind:     by_value
    .group_segment_fixed_size: 0
    .kernarg_segment_align: 8
    .kernarg_segment_size: 48
    .language:       OpenCL C
    .language_version:
      - 2
      - 0
    .max_flat_workgroup_size: 128
    .name:           _ZN7rocprim17ROCPRIM_400000_NS6detail17trampoline_kernelINS0_14default_configENS1_38merge_sort_block_merge_config_selectorItNS0_10empty_typeEEEZZNS1_27merge_sort_block_merge_implIS3_N6thrust23THRUST_200600_302600_NS6detail15normal_iteratorINS9_10device_ptrItEEEEPS5_m9comp_mod3ItEEE10hipError_tT0_T1_T2_jT3_P12ihipStream_tbPNSt15iterator_traitsISJ_E10value_typeEPNSP_ISK_E10value_typeEPSL_NS1_7vsmem_tEENKUlT_SJ_SK_SL_E_clISE_PtSF_SF_EESI_SY_SJ_SK_SL_EUlSY_E_NS1_11comp_targetILNS1_3genE10ELNS1_11target_archE1201ELNS1_3gpuE5ELNS1_3repE0EEENS1_48merge_mergepath_partition_config_static_selectorELNS0_4arch9wavefront6targetE0EEEvSK_
    .private_segment_fixed_size: 0
    .sgpr_count:     0
    .sgpr_spill_count: 0
    .symbol:         _ZN7rocprim17ROCPRIM_400000_NS6detail17trampoline_kernelINS0_14default_configENS1_38merge_sort_block_merge_config_selectorItNS0_10empty_typeEEEZZNS1_27merge_sort_block_merge_implIS3_N6thrust23THRUST_200600_302600_NS6detail15normal_iteratorINS9_10device_ptrItEEEEPS5_m9comp_mod3ItEEE10hipError_tT0_T1_T2_jT3_P12ihipStream_tbPNSt15iterator_traitsISJ_E10value_typeEPNSP_ISK_E10value_typeEPSL_NS1_7vsmem_tEENKUlT_SJ_SK_SL_E_clISE_PtSF_SF_EESI_SY_SJ_SK_SL_EUlSY_E_NS1_11comp_targetILNS1_3genE10ELNS1_11target_archE1201ELNS1_3gpuE5ELNS1_3repE0EEENS1_48merge_mergepath_partition_config_static_selectorELNS0_4arch9wavefront6targetE0EEEvSK_.kd
    .uniform_work_group_size: 1
    .uses_dynamic_stack: false
    .vgpr_count:     0
    .vgpr_spill_count: 0
    .wavefront_size: 32
    .workgroup_processor_mode: 1
  - .args:
      - .offset:         0
        .size:           48
        .value_kind:     by_value
    .group_segment_fixed_size: 0
    .kernarg_segment_align: 8
    .kernarg_segment_size: 48
    .language:       OpenCL C
    .language_version:
      - 2
      - 0
    .max_flat_workgroup_size: 128
    .name:           _ZN7rocprim17ROCPRIM_400000_NS6detail17trampoline_kernelINS0_14default_configENS1_38merge_sort_block_merge_config_selectorItNS0_10empty_typeEEEZZNS1_27merge_sort_block_merge_implIS3_N6thrust23THRUST_200600_302600_NS6detail15normal_iteratorINS9_10device_ptrItEEEEPS5_m9comp_mod3ItEEE10hipError_tT0_T1_T2_jT3_P12ihipStream_tbPNSt15iterator_traitsISJ_E10value_typeEPNSP_ISK_E10value_typeEPSL_NS1_7vsmem_tEENKUlT_SJ_SK_SL_E_clISE_PtSF_SF_EESI_SY_SJ_SK_SL_EUlSY_E_NS1_11comp_targetILNS1_3genE5ELNS1_11target_archE942ELNS1_3gpuE9ELNS1_3repE0EEENS1_48merge_mergepath_partition_config_static_selectorELNS0_4arch9wavefront6targetE0EEEvSK_
    .private_segment_fixed_size: 0
    .sgpr_count:     0
    .sgpr_spill_count: 0
    .symbol:         _ZN7rocprim17ROCPRIM_400000_NS6detail17trampoline_kernelINS0_14default_configENS1_38merge_sort_block_merge_config_selectorItNS0_10empty_typeEEEZZNS1_27merge_sort_block_merge_implIS3_N6thrust23THRUST_200600_302600_NS6detail15normal_iteratorINS9_10device_ptrItEEEEPS5_m9comp_mod3ItEEE10hipError_tT0_T1_T2_jT3_P12ihipStream_tbPNSt15iterator_traitsISJ_E10value_typeEPNSP_ISK_E10value_typeEPSL_NS1_7vsmem_tEENKUlT_SJ_SK_SL_E_clISE_PtSF_SF_EESI_SY_SJ_SK_SL_EUlSY_E_NS1_11comp_targetILNS1_3genE5ELNS1_11target_archE942ELNS1_3gpuE9ELNS1_3repE0EEENS1_48merge_mergepath_partition_config_static_selectorELNS0_4arch9wavefront6targetE0EEEvSK_.kd
    .uniform_work_group_size: 1
    .uses_dynamic_stack: false
    .vgpr_count:     0
    .vgpr_spill_count: 0
    .wavefront_size: 32
    .workgroup_processor_mode: 1
  - .args:
      - .offset:         0
        .size:           48
        .value_kind:     by_value
    .group_segment_fixed_size: 0
    .kernarg_segment_align: 8
    .kernarg_segment_size: 48
    .language:       OpenCL C
    .language_version:
      - 2
      - 0
    .max_flat_workgroup_size: 128
    .name:           _ZN7rocprim17ROCPRIM_400000_NS6detail17trampoline_kernelINS0_14default_configENS1_38merge_sort_block_merge_config_selectorItNS0_10empty_typeEEEZZNS1_27merge_sort_block_merge_implIS3_N6thrust23THRUST_200600_302600_NS6detail15normal_iteratorINS9_10device_ptrItEEEEPS5_m9comp_mod3ItEEE10hipError_tT0_T1_T2_jT3_P12ihipStream_tbPNSt15iterator_traitsISJ_E10value_typeEPNSP_ISK_E10value_typeEPSL_NS1_7vsmem_tEENKUlT_SJ_SK_SL_E_clISE_PtSF_SF_EESI_SY_SJ_SK_SL_EUlSY_E_NS1_11comp_targetILNS1_3genE4ELNS1_11target_archE910ELNS1_3gpuE8ELNS1_3repE0EEENS1_48merge_mergepath_partition_config_static_selectorELNS0_4arch9wavefront6targetE0EEEvSK_
    .private_segment_fixed_size: 0
    .sgpr_count:     0
    .sgpr_spill_count: 0
    .symbol:         _ZN7rocprim17ROCPRIM_400000_NS6detail17trampoline_kernelINS0_14default_configENS1_38merge_sort_block_merge_config_selectorItNS0_10empty_typeEEEZZNS1_27merge_sort_block_merge_implIS3_N6thrust23THRUST_200600_302600_NS6detail15normal_iteratorINS9_10device_ptrItEEEEPS5_m9comp_mod3ItEEE10hipError_tT0_T1_T2_jT3_P12ihipStream_tbPNSt15iterator_traitsISJ_E10value_typeEPNSP_ISK_E10value_typeEPSL_NS1_7vsmem_tEENKUlT_SJ_SK_SL_E_clISE_PtSF_SF_EESI_SY_SJ_SK_SL_EUlSY_E_NS1_11comp_targetILNS1_3genE4ELNS1_11target_archE910ELNS1_3gpuE8ELNS1_3repE0EEENS1_48merge_mergepath_partition_config_static_selectorELNS0_4arch9wavefront6targetE0EEEvSK_.kd
    .uniform_work_group_size: 1
    .uses_dynamic_stack: false
    .vgpr_count:     0
    .vgpr_spill_count: 0
    .wavefront_size: 32
    .workgroup_processor_mode: 1
  - .args:
      - .offset:         0
        .size:           48
        .value_kind:     by_value
    .group_segment_fixed_size: 0
    .kernarg_segment_align: 8
    .kernarg_segment_size: 48
    .language:       OpenCL C
    .language_version:
      - 2
      - 0
    .max_flat_workgroup_size: 128
    .name:           _ZN7rocprim17ROCPRIM_400000_NS6detail17trampoline_kernelINS0_14default_configENS1_38merge_sort_block_merge_config_selectorItNS0_10empty_typeEEEZZNS1_27merge_sort_block_merge_implIS3_N6thrust23THRUST_200600_302600_NS6detail15normal_iteratorINS9_10device_ptrItEEEEPS5_m9comp_mod3ItEEE10hipError_tT0_T1_T2_jT3_P12ihipStream_tbPNSt15iterator_traitsISJ_E10value_typeEPNSP_ISK_E10value_typeEPSL_NS1_7vsmem_tEENKUlT_SJ_SK_SL_E_clISE_PtSF_SF_EESI_SY_SJ_SK_SL_EUlSY_E_NS1_11comp_targetILNS1_3genE3ELNS1_11target_archE908ELNS1_3gpuE7ELNS1_3repE0EEENS1_48merge_mergepath_partition_config_static_selectorELNS0_4arch9wavefront6targetE0EEEvSK_
    .private_segment_fixed_size: 0
    .sgpr_count:     0
    .sgpr_spill_count: 0
    .symbol:         _ZN7rocprim17ROCPRIM_400000_NS6detail17trampoline_kernelINS0_14default_configENS1_38merge_sort_block_merge_config_selectorItNS0_10empty_typeEEEZZNS1_27merge_sort_block_merge_implIS3_N6thrust23THRUST_200600_302600_NS6detail15normal_iteratorINS9_10device_ptrItEEEEPS5_m9comp_mod3ItEEE10hipError_tT0_T1_T2_jT3_P12ihipStream_tbPNSt15iterator_traitsISJ_E10value_typeEPNSP_ISK_E10value_typeEPSL_NS1_7vsmem_tEENKUlT_SJ_SK_SL_E_clISE_PtSF_SF_EESI_SY_SJ_SK_SL_EUlSY_E_NS1_11comp_targetILNS1_3genE3ELNS1_11target_archE908ELNS1_3gpuE7ELNS1_3repE0EEENS1_48merge_mergepath_partition_config_static_selectorELNS0_4arch9wavefront6targetE0EEEvSK_.kd
    .uniform_work_group_size: 1
    .uses_dynamic_stack: false
    .vgpr_count:     0
    .vgpr_spill_count: 0
    .wavefront_size: 32
    .workgroup_processor_mode: 1
  - .args:
      - .offset:         0
        .size:           48
        .value_kind:     by_value
    .group_segment_fixed_size: 0
    .kernarg_segment_align: 8
    .kernarg_segment_size: 48
    .language:       OpenCL C
    .language_version:
      - 2
      - 0
    .max_flat_workgroup_size: 128
    .name:           _ZN7rocprim17ROCPRIM_400000_NS6detail17trampoline_kernelINS0_14default_configENS1_38merge_sort_block_merge_config_selectorItNS0_10empty_typeEEEZZNS1_27merge_sort_block_merge_implIS3_N6thrust23THRUST_200600_302600_NS6detail15normal_iteratorINS9_10device_ptrItEEEEPS5_m9comp_mod3ItEEE10hipError_tT0_T1_T2_jT3_P12ihipStream_tbPNSt15iterator_traitsISJ_E10value_typeEPNSP_ISK_E10value_typeEPSL_NS1_7vsmem_tEENKUlT_SJ_SK_SL_E_clISE_PtSF_SF_EESI_SY_SJ_SK_SL_EUlSY_E_NS1_11comp_targetILNS1_3genE2ELNS1_11target_archE906ELNS1_3gpuE6ELNS1_3repE0EEENS1_48merge_mergepath_partition_config_static_selectorELNS0_4arch9wavefront6targetE0EEEvSK_
    .private_segment_fixed_size: 0
    .sgpr_count:     0
    .sgpr_spill_count: 0
    .symbol:         _ZN7rocprim17ROCPRIM_400000_NS6detail17trampoline_kernelINS0_14default_configENS1_38merge_sort_block_merge_config_selectorItNS0_10empty_typeEEEZZNS1_27merge_sort_block_merge_implIS3_N6thrust23THRUST_200600_302600_NS6detail15normal_iteratorINS9_10device_ptrItEEEEPS5_m9comp_mod3ItEEE10hipError_tT0_T1_T2_jT3_P12ihipStream_tbPNSt15iterator_traitsISJ_E10value_typeEPNSP_ISK_E10value_typeEPSL_NS1_7vsmem_tEENKUlT_SJ_SK_SL_E_clISE_PtSF_SF_EESI_SY_SJ_SK_SL_EUlSY_E_NS1_11comp_targetILNS1_3genE2ELNS1_11target_archE906ELNS1_3gpuE6ELNS1_3repE0EEENS1_48merge_mergepath_partition_config_static_selectorELNS0_4arch9wavefront6targetE0EEEvSK_.kd
    .uniform_work_group_size: 1
    .uses_dynamic_stack: false
    .vgpr_count:     0
    .vgpr_spill_count: 0
    .wavefront_size: 32
    .workgroup_processor_mode: 1
  - .args:
      - .offset:         0
        .size:           48
        .value_kind:     by_value
    .group_segment_fixed_size: 0
    .kernarg_segment_align: 8
    .kernarg_segment_size: 48
    .language:       OpenCL C
    .language_version:
      - 2
      - 0
    .max_flat_workgroup_size: 128
    .name:           _ZN7rocprim17ROCPRIM_400000_NS6detail17trampoline_kernelINS0_14default_configENS1_38merge_sort_block_merge_config_selectorItNS0_10empty_typeEEEZZNS1_27merge_sort_block_merge_implIS3_N6thrust23THRUST_200600_302600_NS6detail15normal_iteratorINS9_10device_ptrItEEEEPS5_m9comp_mod3ItEEE10hipError_tT0_T1_T2_jT3_P12ihipStream_tbPNSt15iterator_traitsISJ_E10value_typeEPNSP_ISK_E10value_typeEPSL_NS1_7vsmem_tEENKUlT_SJ_SK_SL_E_clISE_PtSF_SF_EESI_SY_SJ_SK_SL_EUlSY_E_NS1_11comp_targetILNS1_3genE9ELNS1_11target_archE1100ELNS1_3gpuE3ELNS1_3repE0EEENS1_48merge_mergepath_partition_config_static_selectorELNS0_4arch9wavefront6targetE0EEEvSK_
    .private_segment_fixed_size: 0
    .sgpr_count:     0
    .sgpr_spill_count: 0
    .symbol:         _ZN7rocprim17ROCPRIM_400000_NS6detail17trampoline_kernelINS0_14default_configENS1_38merge_sort_block_merge_config_selectorItNS0_10empty_typeEEEZZNS1_27merge_sort_block_merge_implIS3_N6thrust23THRUST_200600_302600_NS6detail15normal_iteratorINS9_10device_ptrItEEEEPS5_m9comp_mod3ItEEE10hipError_tT0_T1_T2_jT3_P12ihipStream_tbPNSt15iterator_traitsISJ_E10value_typeEPNSP_ISK_E10value_typeEPSL_NS1_7vsmem_tEENKUlT_SJ_SK_SL_E_clISE_PtSF_SF_EESI_SY_SJ_SK_SL_EUlSY_E_NS1_11comp_targetILNS1_3genE9ELNS1_11target_archE1100ELNS1_3gpuE3ELNS1_3repE0EEENS1_48merge_mergepath_partition_config_static_selectorELNS0_4arch9wavefront6targetE0EEEvSK_.kd
    .uniform_work_group_size: 1
    .uses_dynamic_stack: false
    .vgpr_count:     0
    .vgpr_spill_count: 0
    .wavefront_size: 32
    .workgroup_processor_mode: 1
  - .args:
      - .offset:         0
        .size:           48
        .value_kind:     by_value
    .group_segment_fixed_size: 0
    .kernarg_segment_align: 8
    .kernarg_segment_size: 48
    .language:       OpenCL C
    .language_version:
      - 2
      - 0
    .max_flat_workgroup_size: 128
    .name:           _ZN7rocprim17ROCPRIM_400000_NS6detail17trampoline_kernelINS0_14default_configENS1_38merge_sort_block_merge_config_selectorItNS0_10empty_typeEEEZZNS1_27merge_sort_block_merge_implIS3_N6thrust23THRUST_200600_302600_NS6detail15normal_iteratorINS9_10device_ptrItEEEEPS5_m9comp_mod3ItEEE10hipError_tT0_T1_T2_jT3_P12ihipStream_tbPNSt15iterator_traitsISJ_E10value_typeEPNSP_ISK_E10value_typeEPSL_NS1_7vsmem_tEENKUlT_SJ_SK_SL_E_clISE_PtSF_SF_EESI_SY_SJ_SK_SL_EUlSY_E_NS1_11comp_targetILNS1_3genE8ELNS1_11target_archE1030ELNS1_3gpuE2ELNS1_3repE0EEENS1_48merge_mergepath_partition_config_static_selectorELNS0_4arch9wavefront6targetE0EEEvSK_
    .private_segment_fixed_size: 0
    .sgpr_count:     14
    .sgpr_spill_count: 0
    .symbol:         _ZN7rocprim17ROCPRIM_400000_NS6detail17trampoline_kernelINS0_14default_configENS1_38merge_sort_block_merge_config_selectorItNS0_10empty_typeEEEZZNS1_27merge_sort_block_merge_implIS3_N6thrust23THRUST_200600_302600_NS6detail15normal_iteratorINS9_10device_ptrItEEEEPS5_m9comp_mod3ItEEE10hipError_tT0_T1_T2_jT3_P12ihipStream_tbPNSt15iterator_traitsISJ_E10value_typeEPNSP_ISK_E10value_typeEPSL_NS1_7vsmem_tEENKUlT_SJ_SK_SL_E_clISE_PtSF_SF_EESI_SY_SJ_SK_SL_EUlSY_E_NS1_11comp_targetILNS1_3genE8ELNS1_11target_archE1030ELNS1_3gpuE2ELNS1_3repE0EEENS1_48merge_mergepath_partition_config_static_selectorELNS0_4arch9wavefront6targetE0EEEvSK_.kd
    .uniform_work_group_size: 1
    .uses_dynamic_stack: false
    .vgpr_count:     17
    .vgpr_spill_count: 0
    .wavefront_size: 32
    .workgroup_processor_mode: 1
  - .args:
      - .offset:         0
        .size:           80
        .value_kind:     by_value
    .group_segment_fixed_size: 0
    .kernarg_segment_align: 8
    .kernarg_segment_size: 80
    .language:       OpenCL C
    .language_version:
      - 2
      - 0
    .max_flat_workgroup_size: 128
    .name:           _ZN7rocprim17ROCPRIM_400000_NS6detail17trampoline_kernelINS0_14default_configENS1_38merge_sort_block_merge_config_selectorItNS0_10empty_typeEEEZZNS1_27merge_sort_block_merge_implIS3_N6thrust23THRUST_200600_302600_NS6detail15normal_iteratorINS9_10device_ptrItEEEEPS5_m9comp_mod3ItEEE10hipError_tT0_T1_T2_jT3_P12ihipStream_tbPNSt15iterator_traitsISJ_E10value_typeEPNSP_ISK_E10value_typeEPSL_NS1_7vsmem_tEENKUlT_SJ_SK_SL_E_clISE_PtSF_SF_EESI_SY_SJ_SK_SL_EUlSY_E0_NS1_11comp_targetILNS1_3genE0ELNS1_11target_archE4294967295ELNS1_3gpuE0ELNS1_3repE0EEENS1_38merge_mergepath_config_static_selectorELNS0_4arch9wavefront6targetE0EEEvSK_
    .private_segment_fixed_size: 0
    .sgpr_count:     0
    .sgpr_spill_count: 0
    .symbol:         _ZN7rocprim17ROCPRIM_400000_NS6detail17trampoline_kernelINS0_14default_configENS1_38merge_sort_block_merge_config_selectorItNS0_10empty_typeEEEZZNS1_27merge_sort_block_merge_implIS3_N6thrust23THRUST_200600_302600_NS6detail15normal_iteratorINS9_10device_ptrItEEEEPS5_m9comp_mod3ItEEE10hipError_tT0_T1_T2_jT3_P12ihipStream_tbPNSt15iterator_traitsISJ_E10value_typeEPNSP_ISK_E10value_typeEPSL_NS1_7vsmem_tEENKUlT_SJ_SK_SL_E_clISE_PtSF_SF_EESI_SY_SJ_SK_SL_EUlSY_E0_NS1_11comp_targetILNS1_3genE0ELNS1_11target_archE4294967295ELNS1_3gpuE0ELNS1_3repE0EEENS1_38merge_mergepath_config_static_selectorELNS0_4arch9wavefront6targetE0EEEvSK_.kd
    .uniform_work_group_size: 1
    .uses_dynamic_stack: false
    .vgpr_count:     0
    .vgpr_spill_count: 0
    .wavefront_size: 32
    .workgroup_processor_mode: 1
  - .args:
      - .offset:         0
        .size:           80
        .value_kind:     by_value
    .group_segment_fixed_size: 0
    .kernarg_segment_align: 8
    .kernarg_segment_size: 80
    .language:       OpenCL C
    .language_version:
      - 2
      - 0
    .max_flat_workgroup_size: 128
    .name:           _ZN7rocprim17ROCPRIM_400000_NS6detail17trampoline_kernelINS0_14default_configENS1_38merge_sort_block_merge_config_selectorItNS0_10empty_typeEEEZZNS1_27merge_sort_block_merge_implIS3_N6thrust23THRUST_200600_302600_NS6detail15normal_iteratorINS9_10device_ptrItEEEEPS5_m9comp_mod3ItEEE10hipError_tT0_T1_T2_jT3_P12ihipStream_tbPNSt15iterator_traitsISJ_E10value_typeEPNSP_ISK_E10value_typeEPSL_NS1_7vsmem_tEENKUlT_SJ_SK_SL_E_clISE_PtSF_SF_EESI_SY_SJ_SK_SL_EUlSY_E0_NS1_11comp_targetILNS1_3genE10ELNS1_11target_archE1201ELNS1_3gpuE5ELNS1_3repE0EEENS1_38merge_mergepath_config_static_selectorELNS0_4arch9wavefront6targetE0EEEvSK_
    .private_segment_fixed_size: 0
    .sgpr_count:     0
    .sgpr_spill_count: 0
    .symbol:         _ZN7rocprim17ROCPRIM_400000_NS6detail17trampoline_kernelINS0_14default_configENS1_38merge_sort_block_merge_config_selectorItNS0_10empty_typeEEEZZNS1_27merge_sort_block_merge_implIS3_N6thrust23THRUST_200600_302600_NS6detail15normal_iteratorINS9_10device_ptrItEEEEPS5_m9comp_mod3ItEEE10hipError_tT0_T1_T2_jT3_P12ihipStream_tbPNSt15iterator_traitsISJ_E10value_typeEPNSP_ISK_E10value_typeEPSL_NS1_7vsmem_tEENKUlT_SJ_SK_SL_E_clISE_PtSF_SF_EESI_SY_SJ_SK_SL_EUlSY_E0_NS1_11comp_targetILNS1_3genE10ELNS1_11target_archE1201ELNS1_3gpuE5ELNS1_3repE0EEENS1_38merge_mergepath_config_static_selectorELNS0_4arch9wavefront6targetE0EEEvSK_.kd
    .uniform_work_group_size: 1
    .uses_dynamic_stack: false
    .vgpr_count:     0
    .vgpr_spill_count: 0
    .wavefront_size: 32
    .workgroup_processor_mode: 1
  - .args:
      - .offset:         0
        .size:           80
        .value_kind:     by_value
    .group_segment_fixed_size: 0
    .kernarg_segment_align: 8
    .kernarg_segment_size: 80
    .language:       OpenCL C
    .language_version:
      - 2
      - 0
    .max_flat_workgroup_size: 128
    .name:           _ZN7rocprim17ROCPRIM_400000_NS6detail17trampoline_kernelINS0_14default_configENS1_38merge_sort_block_merge_config_selectorItNS0_10empty_typeEEEZZNS1_27merge_sort_block_merge_implIS3_N6thrust23THRUST_200600_302600_NS6detail15normal_iteratorINS9_10device_ptrItEEEEPS5_m9comp_mod3ItEEE10hipError_tT0_T1_T2_jT3_P12ihipStream_tbPNSt15iterator_traitsISJ_E10value_typeEPNSP_ISK_E10value_typeEPSL_NS1_7vsmem_tEENKUlT_SJ_SK_SL_E_clISE_PtSF_SF_EESI_SY_SJ_SK_SL_EUlSY_E0_NS1_11comp_targetILNS1_3genE5ELNS1_11target_archE942ELNS1_3gpuE9ELNS1_3repE0EEENS1_38merge_mergepath_config_static_selectorELNS0_4arch9wavefront6targetE0EEEvSK_
    .private_segment_fixed_size: 0
    .sgpr_count:     0
    .sgpr_spill_count: 0
    .symbol:         _ZN7rocprim17ROCPRIM_400000_NS6detail17trampoline_kernelINS0_14default_configENS1_38merge_sort_block_merge_config_selectorItNS0_10empty_typeEEEZZNS1_27merge_sort_block_merge_implIS3_N6thrust23THRUST_200600_302600_NS6detail15normal_iteratorINS9_10device_ptrItEEEEPS5_m9comp_mod3ItEEE10hipError_tT0_T1_T2_jT3_P12ihipStream_tbPNSt15iterator_traitsISJ_E10value_typeEPNSP_ISK_E10value_typeEPSL_NS1_7vsmem_tEENKUlT_SJ_SK_SL_E_clISE_PtSF_SF_EESI_SY_SJ_SK_SL_EUlSY_E0_NS1_11comp_targetILNS1_3genE5ELNS1_11target_archE942ELNS1_3gpuE9ELNS1_3repE0EEENS1_38merge_mergepath_config_static_selectorELNS0_4arch9wavefront6targetE0EEEvSK_.kd
    .uniform_work_group_size: 1
    .uses_dynamic_stack: false
    .vgpr_count:     0
    .vgpr_spill_count: 0
    .wavefront_size: 32
    .workgroup_processor_mode: 1
  - .args:
      - .offset:         0
        .size:           80
        .value_kind:     by_value
    .group_segment_fixed_size: 0
    .kernarg_segment_align: 8
    .kernarg_segment_size: 80
    .language:       OpenCL C
    .language_version:
      - 2
      - 0
    .max_flat_workgroup_size: 128
    .name:           _ZN7rocprim17ROCPRIM_400000_NS6detail17trampoline_kernelINS0_14default_configENS1_38merge_sort_block_merge_config_selectorItNS0_10empty_typeEEEZZNS1_27merge_sort_block_merge_implIS3_N6thrust23THRUST_200600_302600_NS6detail15normal_iteratorINS9_10device_ptrItEEEEPS5_m9comp_mod3ItEEE10hipError_tT0_T1_T2_jT3_P12ihipStream_tbPNSt15iterator_traitsISJ_E10value_typeEPNSP_ISK_E10value_typeEPSL_NS1_7vsmem_tEENKUlT_SJ_SK_SL_E_clISE_PtSF_SF_EESI_SY_SJ_SK_SL_EUlSY_E0_NS1_11comp_targetILNS1_3genE4ELNS1_11target_archE910ELNS1_3gpuE8ELNS1_3repE0EEENS1_38merge_mergepath_config_static_selectorELNS0_4arch9wavefront6targetE0EEEvSK_
    .private_segment_fixed_size: 0
    .sgpr_count:     0
    .sgpr_spill_count: 0
    .symbol:         _ZN7rocprim17ROCPRIM_400000_NS6detail17trampoline_kernelINS0_14default_configENS1_38merge_sort_block_merge_config_selectorItNS0_10empty_typeEEEZZNS1_27merge_sort_block_merge_implIS3_N6thrust23THRUST_200600_302600_NS6detail15normal_iteratorINS9_10device_ptrItEEEEPS5_m9comp_mod3ItEEE10hipError_tT0_T1_T2_jT3_P12ihipStream_tbPNSt15iterator_traitsISJ_E10value_typeEPNSP_ISK_E10value_typeEPSL_NS1_7vsmem_tEENKUlT_SJ_SK_SL_E_clISE_PtSF_SF_EESI_SY_SJ_SK_SL_EUlSY_E0_NS1_11comp_targetILNS1_3genE4ELNS1_11target_archE910ELNS1_3gpuE8ELNS1_3repE0EEENS1_38merge_mergepath_config_static_selectorELNS0_4arch9wavefront6targetE0EEEvSK_.kd
    .uniform_work_group_size: 1
    .uses_dynamic_stack: false
    .vgpr_count:     0
    .vgpr_spill_count: 0
    .wavefront_size: 32
    .workgroup_processor_mode: 1
  - .args:
      - .offset:         0
        .size:           80
        .value_kind:     by_value
    .group_segment_fixed_size: 0
    .kernarg_segment_align: 8
    .kernarg_segment_size: 80
    .language:       OpenCL C
    .language_version:
      - 2
      - 0
    .max_flat_workgroup_size: 128
    .name:           _ZN7rocprim17ROCPRIM_400000_NS6detail17trampoline_kernelINS0_14default_configENS1_38merge_sort_block_merge_config_selectorItNS0_10empty_typeEEEZZNS1_27merge_sort_block_merge_implIS3_N6thrust23THRUST_200600_302600_NS6detail15normal_iteratorINS9_10device_ptrItEEEEPS5_m9comp_mod3ItEEE10hipError_tT0_T1_T2_jT3_P12ihipStream_tbPNSt15iterator_traitsISJ_E10value_typeEPNSP_ISK_E10value_typeEPSL_NS1_7vsmem_tEENKUlT_SJ_SK_SL_E_clISE_PtSF_SF_EESI_SY_SJ_SK_SL_EUlSY_E0_NS1_11comp_targetILNS1_3genE3ELNS1_11target_archE908ELNS1_3gpuE7ELNS1_3repE0EEENS1_38merge_mergepath_config_static_selectorELNS0_4arch9wavefront6targetE0EEEvSK_
    .private_segment_fixed_size: 0
    .sgpr_count:     0
    .sgpr_spill_count: 0
    .symbol:         _ZN7rocprim17ROCPRIM_400000_NS6detail17trampoline_kernelINS0_14default_configENS1_38merge_sort_block_merge_config_selectorItNS0_10empty_typeEEEZZNS1_27merge_sort_block_merge_implIS3_N6thrust23THRUST_200600_302600_NS6detail15normal_iteratorINS9_10device_ptrItEEEEPS5_m9comp_mod3ItEEE10hipError_tT0_T1_T2_jT3_P12ihipStream_tbPNSt15iterator_traitsISJ_E10value_typeEPNSP_ISK_E10value_typeEPSL_NS1_7vsmem_tEENKUlT_SJ_SK_SL_E_clISE_PtSF_SF_EESI_SY_SJ_SK_SL_EUlSY_E0_NS1_11comp_targetILNS1_3genE3ELNS1_11target_archE908ELNS1_3gpuE7ELNS1_3repE0EEENS1_38merge_mergepath_config_static_selectorELNS0_4arch9wavefront6targetE0EEEvSK_.kd
    .uniform_work_group_size: 1
    .uses_dynamic_stack: false
    .vgpr_count:     0
    .vgpr_spill_count: 0
    .wavefront_size: 32
    .workgroup_processor_mode: 1
  - .args:
      - .offset:         0
        .size:           80
        .value_kind:     by_value
    .group_segment_fixed_size: 0
    .kernarg_segment_align: 8
    .kernarg_segment_size: 80
    .language:       OpenCL C
    .language_version:
      - 2
      - 0
    .max_flat_workgroup_size: 128
    .name:           _ZN7rocprim17ROCPRIM_400000_NS6detail17trampoline_kernelINS0_14default_configENS1_38merge_sort_block_merge_config_selectorItNS0_10empty_typeEEEZZNS1_27merge_sort_block_merge_implIS3_N6thrust23THRUST_200600_302600_NS6detail15normal_iteratorINS9_10device_ptrItEEEEPS5_m9comp_mod3ItEEE10hipError_tT0_T1_T2_jT3_P12ihipStream_tbPNSt15iterator_traitsISJ_E10value_typeEPNSP_ISK_E10value_typeEPSL_NS1_7vsmem_tEENKUlT_SJ_SK_SL_E_clISE_PtSF_SF_EESI_SY_SJ_SK_SL_EUlSY_E0_NS1_11comp_targetILNS1_3genE2ELNS1_11target_archE906ELNS1_3gpuE6ELNS1_3repE0EEENS1_38merge_mergepath_config_static_selectorELNS0_4arch9wavefront6targetE0EEEvSK_
    .private_segment_fixed_size: 0
    .sgpr_count:     0
    .sgpr_spill_count: 0
    .symbol:         _ZN7rocprim17ROCPRIM_400000_NS6detail17trampoline_kernelINS0_14default_configENS1_38merge_sort_block_merge_config_selectorItNS0_10empty_typeEEEZZNS1_27merge_sort_block_merge_implIS3_N6thrust23THRUST_200600_302600_NS6detail15normal_iteratorINS9_10device_ptrItEEEEPS5_m9comp_mod3ItEEE10hipError_tT0_T1_T2_jT3_P12ihipStream_tbPNSt15iterator_traitsISJ_E10value_typeEPNSP_ISK_E10value_typeEPSL_NS1_7vsmem_tEENKUlT_SJ_SK_SL_E_clISE_PtSF_SF_EESI_SY_SJ_SK_SL_EUlSY_E0_NS1_11comp_targetILNS1_3genE2ELNS1_11target_archE906ELNS1_3gpuE6ELNS1_3repE0EEENS1_38merge_mergepath_config_static_selectorELNS0_4arch9wavefront6targetE0EEEvSK_.kd
    .uniform_work_group_size: 1
    .uses_dynamic_stack: false
    .vgpr_count:     0
    .vgpr_spill_count: 0
    .wavefront_size: 32
    .workgroup_processor_mode: 1
  - .args:
      - .offset:         0
        .size:           80
        .value_kind:     by_value
    .group_segment_fixed_size: 0
    .kernarg_segment_align: 8
    .kernarg_segment_size: 80
    .language:       OpenCL C
    .language_version:
      - 2
      - 0
    .max_flat_workgroup_size: 128
    .name:           _ZN7rocprim17ROCPRIM_400000_NS6detail17trampoline_kernelINS0_14default_configENS1_38merge_sort_block_merge_config_selectorItNS0_10empty_typeEEEZZNS1_27merge_sort_block_merge_implIS3_N6thrust23THRUST_200600_302600_NS6detail15normal_iteratorINS9_10device_ptrItEEEEPS5_m9comp_mod3ItEEE10hipError_tT0_T1_T2_jT3_P12ihipStream_tbPNSt15iterator_traitsISJ_E10value_typeEPNSP_ISK_E10value_typeEPSL_NS1_7vsmem_tEENKUlT_SJ_SK_SL_E_clISE_PtSF_SF_EESI_SY_SJ_SK_SL_EUlSY_E0_NS1_11comp_targetILNS1_3genE9ELNS1_11target_archE1100ELNS1_3gpuE3ELNS1_3repE0EEENS1_38merge_mergepath_config_static_selectorELNS0_4arch9wavefront6targetE0EEEvSK_
    .private_segment_fixed_size: 0
    .sgpr_count:     0
    .sgpr_spill_count: 0
    .symbol:         _ZN7rocprim17ROCPRIM_400000_NS6detail17trampoline_kernelINS0_14default_configENS1_38merge_sort_block_merge_config_selectorItNS0_10empty_typeEEEZZNS1_27merge_sort_block_merge_implIS3_N6thrust23THRUST_200600_302600_NS6detail15normal_iteratorINS9_10device_ptrItEEEEPS5_m9comp_mod3ItEEE10hipError_tT0_T1_T2_jT3_P12ihipStream_tbPNSt15iterator_traitsISJ_E10value_typeEPNSP_ISK_E10value_typeEPSL_NS1_7vsmem_tEENKUlT_SJ_SK_SL_E_clISE_PtSF_SF_EESI_SY_SJ_SK_SL_EUlSY_E0_NS1_11comp_targetILNS1_3genE9ELNS1_11target_archE1100ELNS1_3gpuE3ELNS1_3repE0EEENS1_38merge_mergepath_config_static_selectorELNS0_4arch9wavefront6targetE0EEEvSK_.kd
    .uniform_work_group_size: 1
    .uses_dynamic_stack: false
    .vgpr_count:     0
    .vgpr_spill_count: 0
    .wavefront_size: 32
    .workgroup_processor_mode: 1
  - .args:
      - .offset:         0
        .size:           80
        .value_kind:     by_value
      - .offset:         80
        .size:           4
        .value_kind:     hidden_block_count_x
      - .offset:         84
        .size:           4
        .value_kind:     hidden_block_count_y
      - .offset:         88
        .size:           4
        .value_kind:     hidden_block_count_z
      - .offset:         92
        .size:           2
        .value_kind:     hidden_group_size_x
      - .offset:         94
        .size:           2
        .value_kind:     hidden_group_size_y
      - .offset:         96
        .size:           2
        .value_kind:     hidden_group_size_z
      - .offset:         98
        .size:           2
        .value_kind:     hidden_remainder_x
      - .offset:         100
        .size:           2
        .value_kind:     hidden_remainder_y
      - .offset:         102
        .size:           2
        .value_kind:     hidden_remainder_z
      - .offset:         120
        .size:           8
        .value_kind:     hidden_global_offset_x
      - .offset:         128
        .size:           8
        .value_kind:     hidden_global_offset_y
      - .offset:         136
        .size:           8
        .value_kind:     hidden_global_offset_z
      - .offset:         144
        .size:           2
        .value_kind:     hidden_grid_dims
    .group_segment_fixed_size: 2112
    .kernarg_segment_align: 8
    .kernarg_segment_size: 336
    .language:       OpenCL C
    .language_version:
      - 2
      - 0
    .max_flat_workgroup_size: 128
    .name:           _ZN7rocprim17ROCPRIM_400000_NS6detail17trampoline_kernelINS0_14default_configENS1_38merge_sort_block_merge_config_selectorItNS0_10empty_typeEEEZZNS1_27merge_sort_block_merge_implIS3_N6thrust23THRUST_200600_302600_NS6detail15normal_iteratorINS9_10device_ptrItEEEEPS5_m9comp_mod3ItEEE10hipError_tT0_T1_T2_jT3_P12ihipStream_tbPNSt15iterator_traitsISJ_E10value_typeEPNSP_ISK_E10value_typeEPSL_NS1_7vsmem_tEENKUlT_SJ_SK_SL_E_clISE_PtSF_SF_EESI_SY_SJ_SK_SL_EUlSY_E0_NS1_11comp_targetILNS1_3genE8ELNS1_11target_archE1030ELNS1_3gpuE2ELNS1_3repE0EEENS1_38merge_mergepath_config_static_selectorELNS0_4arch9wavefront6targetE0EEEvSK_
    .private_segment_fixed_size: 0
    .sgpr_count:     34
    .sgpr_spill_count: 0
    .symbol:         _ZN7rocprim17ROCPRIM_400000_NS6detail17trampoline_kernelINS0_14default_configENS1_38merge_sort_block_merge_config_selectorItNS0_10empty_typeEEEZZNS1_27merge_sort_block_merge_implIS3_N6thrust23THRUST_200600_302600_NS6detail15normal_iteratorINS9_10device_ptrItEEEEPS5_m9comp_mod3ItEEE10hipError_tT0_T1_T2_jT3_P12ihipStream_tbPNSt15iterator_traitsISJ_E10value_typeEPNSP_ISK_E10value_typeEPSL_NS1_7vsmem_tEENKUlT_SJ_SK_SL_E_clISE_PtSF_SF_EESI_SY_SJ_SK_SL_EUlSY_E0_NS1_11comp_targetILNS1_3genE8ELNS1_11target_archE1030ELNS1_3gpuE2ELNS1_3repE0EEENS1_38merge_mergepath_config_static_selectorELNS0_4arch9wavefront6targetE0EEEvSK_.kd
    .uniform_work_group_size: 1
    .uses_dynamic_stack: false
    .vgpr_count:     29
    .vgpr_spill_count: 0
    .wavefront_size: 32
    .workgroup_processor_mode: 1
  - .args:
      - .offset:         0
        .size:           56
        .value_kind:     by_value
    .group_segment_fixed_size: 0
    .kernarg_segment_align: 8
    .kernarg_segment_size: 56
    .language:       OpenCL C
    .language_version:
      - 2
      - 0
    .max_flat_workgroup_size: 256
    .name:           _ZN7rocprim17ROCPRIM_400000_NS6detail17trampoline_kernelINS0_14default_configENS1_38merge_sort_block_merge_config_selectorItNS0_10empty_typeEEEZZNS1_27merge_sort_block_merge_implIS3_N6thrust23THRUST_200600_302600_NS6detail15normal_iteratorINS9_10device_ptrItEEEEPS5_m9comp_mod3ItEEE10hipError_tT0_T1_T2_jT3_P12ihipStream_tbPNSt15iterator_traitsISJ_E10value_typeEPNSP_ISK_E10value_typeEPSL_NS1_7vsmem_tEENKUlT_SJ_SK_SL_E_clISE_PtSF_SF_EESI_SY_SJ_SK_SL_EUlSY_E1_NS1_11comp_targetILNS1_3genE0ELNS1_11target_archE4294967295ELNS1_3gpuE0ELNS1_3repE0EEENS1_36merge_oddeven_config_static_selectorELNS0_4arch9wavefront6targetE0EEEvSK_
    .private_segment_fixed_size: 0
    .sgpr_count:     0
    .sgpr_spill_count: 0
    .symbol:         _ZN7rocprim17ROCPRIM_400000_NS6detail17trampoline_kernelINS0_14default_configENS1_38merge_sort_block_merge_config_selectorItNS0_10empty_typeEEEZZNS1_27merge_sort_block_merge_implIS3_N6thrust23THRUST_200600_302600_NS6detail15normal_iteratorINS9_10device_ptrItEEEEPS5_m9comp_mod3ItEEE10hipError_tT0_T1_T2_jT3_P12ihipStream_tbPNSt15iterator_traitsISJ_E10value_typeEPNSP_ISK_E10value_typeEPSL_NS1_7vsmem_tEENKUlT_SJ_SK_SL_E_clISE_PtSF_SF_EESI_SY_SJ_SK_SL_EUlSY_E1_NS1_11comp_targetILNS1_3genE0ELNS1_11target_archE4294967295ELNS1_3gpuE0ELNS1_3repE0EEENS1_36merge_oddeven_config_static_selectorELNS0_4arch9wavefront6targetE0EEEvSK_.kd
    .uniform_work_group_size: 1
    .uses_dynamic_stack: false
    .vgpr_count:     0
    .vgpr_spill_count: 0
    .wavefront_size: 32
    .workgroup_processor_mode: 1
  - .args:
      - .offset:         0
        .size:           56
        .value_kind:     by_value
    .group_segment_fixed_size: 0
    .kernarg_segment_align: 8
    .kernarg_segment_size: 56
    .language:       OpenCL C
    .language_version:
      - 2
      - 0
    .max_flat_workgroup_size: 256
    .name:           _ZN7rocprim17ROCPRIM_400000_NS6detail17trampoline_kernelINS0_14default_configENS1_38merge_sort_block_merge_config_selectorItNS0_10empty_typeEEEZZNS1_27merge_sort_block_merge_implIS3_N6thrust23THRUST_200600_302600_NS6detail15normal_iteratorINS9_10device_ptrItEEEEPS5_m9comp_mod3ItEEE10hipError_tT0_T1_T2_jT3_P12ihipStream_tbPNSt15iterator_traitsISJ_E10value_typeEPNSP_ISK_E10value_typeEPSL_NS1_7vsmem_tEENKUlT_SJ_SK_SL_E_clISE_PtSF_SF_EESI_SY_SJ_SK_SL_EUlSY_E1_NS1_11comp_targetILNS1_3genE10ELNS1_11target_archE1201ELNS1_3gpuE5ELNS1_3repE0EEENS1_36merge_oddeven_config_static_selectorELNS0_4arch9wavefront6targetE0EEEvSK_
    .private_segment_fixed_size: 0
    .sgpr_count:     0
    .sgpr_spill_count: 0
    .symbol:         _ZN7rocprim17ROCPRIM_400000_NS6detail17trampoline_kernelINS0_14default_configENS1_38merge_sort_block_merge_config_selectorItNS0_10empty_typeEEEZZNS1_27merge_sort_block_merge_implIS3_N6thrust23THRUST_200600_302600_NS6detail15normal_iteratorINS9_10device_ptrItEEEEPS5_m9comp_mod3ItEEE10hipError_tT0_T1_T2_jT3_P12ihipStream_tbPNSt15iterator_traitsISJ_E10value_typeEPNSP_ISK_E10value_typeEPSL_NS1_7vsmem_tEENKUlT_SJ_SK_SL_E_clISE_PtSF_SF_EESI_SY_SJ_SK_SL_EUlSY_E1_NS1_11comp_targetILNS1_3genE10ELNS1_11target_archE1201ELNS1_3gpuE5ELNS1_3repE0EEENS1_36merge_oddeven_config_static_selectorELNS0_4arch9wavefront6targetE0EEEvSK_.kd
    .uniform_work_group_size: 1
    .uses_dynamic_stack: false
    .vgpr_count:     0
    .vgpr_spill_count: 0
    .wavefront_size: 32
    .workgroup_processor_mode: 1
  - .args:
      - .offset:         0
        .size:           56
        .value_kind:     by_value
    .group_segment_fixed_size: 0
    .kernarg_segment_align: 8
    .kernarg_segment_size: 56
    .language:       OpenCL C
    .language_version:
      - 2
      - 0
    .max_flat_workgroup_size: 256
    .name:           _ZN7rocprim17ROCPRIM_400000_NS6detail17trampoline_kernelINS0_14default_configENS1_38merge_sort_block_merge_config_selectorItNS0_10empty_typeEEEZZNS1_27merge_sort_block_merge_implIS3_N6thrust23THRUST_200600_302600_NS6detail15normal_iteratorINS9_10device_ptrItEEEEPS5_m9comp_mod3ItEEE10hipError_tT0_T1_T2_jT3_P12ihipStream_tbPNSt15iterator_traitsISJ_E10value_typeEPNSP_ISK_E10value_typeEPSL_NS1_7vsmem_tEENKUlT_SJ_SK_SL_E_clISE_PtSF_SF_EESI_SY_SJ_SK_SL_EUlSY_E1_NS1_11comp_targetILNS1_3genE5ELNS1_11target_archE942ELNS1_3gpuE9ELNS1_3repE0EEENS1_36merge_oddeven_config_static_selectorELNS0_4arch9wavefront6targetE0EEEvSK_
    .private_segment_fixed_size: 0
    .sgpr_count:     0
    .sgpr_spill_count: 0
    .symbol:         _ZN7rocprim17ROCPRIM_400000_NS6detail17trampoline_kernelINS0_14default_configENS1_38merge_sort_block_merge_config_selectorItNS0_10empty_typeEEEZZNS1_27merge_sort_block_merge_implIS3_N6thrust23THRUST_200600_302600_NS6detail15normal_iteratorINS9_10device_ptrItEEEEPS5_m9comp_mod3ItEEE10hipError_tT0_T1_T2_jT3_P12ihipStream_tbPNSt15iterator_traitsISJ_E10value_typeEPNSP_ISK_E10value_typeEPSL_NS1_7vsmem_tEENKUlT_SJ_SK_SL_E_clISE_PtSF_SF_EESI_SY_SJ_SK_SL_EUlSY_E1_NS1_11comp_targetILNS1_3genE5ELNS1_11target_archE942ELNS1_3gpuE9ELNS1_3repE0EEENS1_36merge_oddeven_config_static_selectorELNS0_4arch9wavefront6targetE0EEEvSK_.kd
    .uniform_work_group_size: 1
    .uses_dynamic_stack: false
    .vgpr_count:     0
    .vgpr_spill_count: 0
    .wavefront_size: 32
    .workgroup_processor_mode: 1
  - .args:
      - .offset:         0
        .size:           56
        .value_kind:     by_value
    .group_segment_fixed_size: 0
    .kernarg_segment_align: 8
    .kernarg_segment_size: 56
    .language:       OpenCL C
    .language_version:
      - 2
      - 0
    .max_flat_workgroup_size: 256
    .name:           _ZN7rocprim17ROCPRIM_400000_NS6detail17trampoline_kernelINS0_14default_configENS1_38merge_sort_block_merge_config_selectorItNS0_10empty_typeEEEZZNS1_27merge_sort_block_merge_implIS3_N6thrust23THRUST_200600_302600_NS6detail15normal_iteratorINS9_10device_ptrItEEEEPS5_m9comp_mod3ItEEE10hipError_tT0_T1_T2_jT3_P12ihipStream_tbPNSt15iterator_traitsISJ_E10value_typeEPNSP_ISK_E10value_typeEPSL_NS1_7vsmem_tEENKUlT_SJ_SK_SL_E_clISE_PtSF_SF_EESI_SY_SJ_SK_SL_EUlSY_E1_NS1_11comp_targetILNS1_3genE4ELNS1_11target_archE910ELNS1_3gpuE8ELNS1_3repE0EEENS1_36merge_oddeven_config_static_selectorELNS0_4arch9wavefront6targetE0EEEvSK_
    .private_segment_fixed_size: 0
    .sgpr_count:     0
    .sgpr_spill_count: 0
    .symbol:         _ZN7rocprim17ROCPRIM_400000_NS6detail17trampoline_kernelINS0_14default_configENS1_38merge_sort_block_merge_config_selectorItNS0_10empty_typeEEEZZNS1_27merge_sort_block_merge_implIS3_N6thrust23THRUST_200600_302600_NS6detail15normal_iteratorINS9_10device_ptrItEEEEPS5_m9comp_mod3ItEEE10hipError_tT0_T1_T2_jT3_P12ihipStream_tbPNSt15iterator_traitsISJ_E10value_typeEPNSP_ISK_E10value_typeEPSL_NS1_7vsmem_tEENKUlT_SJ_SK_SL_E_clISE_PtSF_SF_EESI_SY_SJ_SK_SL_EUlSY_E1_NS1_11comp_targetILNS1_3genE4ELNS1_11target_archE910ELNS1_3gpuE8ELNS1_3repE0EEENS1_36merge_oddeven_config_static_selectorELNS0_4arch9wavefront6targetE0EEEvSK_.kd
    .uniform_work_group_size: 1
    .uses_dynamic_stack: false
    .vgpr_count:     0
    .vgpr_spill_count: 0
    .wavefront_size: 32
    .workgroup_processor_mode: 1
  - .args:
      - .offset:         0
        .size:           56
        .value_kind:     by_value
    .group_segment_fixed_size: 0
    .kernarg_segment_align: 8
    .kernarg_segment_size: 56
    .language:       OpenCL C
    .language_version:
      - 2
      - 0
    .max_flat_workgroup_size: 256
    .name:           _ZN7rocprim17ROCPRIM_400000_NS6detail17trampoline_kernelINS0_14default_configENS1_38merge_sort_block_merge_config_selectorItNS0_10empty_typeEEEZZNS1_27merge_sort_block_merge_implIS3_N6thrust23THRUST_200600_302600_NS6detail15normal_iteratorINS9_10device_ptrItEEEEPS5_m9comp_mod3ItEEE10hipError_tT0_T1_T2_jT3_P12ihipStream_tbPNSt15iterator_traitsISJ_E10value_typeEPNSP_ISK_E10value_typeEPSL_NS1_7vsmem_tEENKUlT_SJ_SK_SL_E_clISE_PtSF_SF_EESI_SY_SJ_SK_SL_EUlSY_E1_NS1_11comp_targetILNS1_3genE3ELNS1_11target_archE908ELNS1_3gpuE7ELNS1_3repE0EEENS1_36merge_oddeven_config_static_selectorELNS0_4arch9wavefront6targetE0EEEvSK_
    .private_segment_fixed_size: 0
    .sgpr_count:     0
    .sgpr_spill_count: 0
    .symbol:         _ZN7rocprim17ROCPRIM_400000_NS6detail17trampoline_kernelINS0_14default_configENS1_38merge_sort_block_merge_config_selectorItNS0_10empty_typeEEEZZNS1_27merge_sort_block_merge_implIS3_N6thrust23THRUST_200600_302600_NS6detail15normal_iteratorINS9_10device_ptrItEEEEPS5_m9comp_mod3ItEEE10hipError_tT0_T1_T2_jT3_P12ihipStream_tbPNSt15iterator_traitsISJ_E10value_typeEPNSP_ISK_E10value_typeEPSL_NS1_7vsmem_tEENKUlT_SJ_SK_SL_E_clISE_PtSF_SF_EESI_SY_SJ_SK_SL_EUlSY_E1_NS1_11comp_targetILNS1_3genE3ELNS1_11target_archE908ELNS1_3gpuE7ELNS1_3repE0EEENS1_36merge_oddeven_config_static_selectorELNS0_4arch9wavefront6targetE0EEEvSK_.kd
    .uniform_work_group_size: 1
    .uses_dynamic_stack: false
    .vgpr_count:     0
    .vgpr_spill_count: 0
    .wavefront_size: 32
    .workgroup_processor_mode: 1
  - .args:
      - .offset:         0
        .size:           56
        .value_kind:     by_value
    .group_segment_fixed_size: 0
    .kernarg_segment_align: 8
    .kernarg_segment_size: 56
    .language:       OpenCL C
    .language_version:
      - 2
      - 0
    .max_flat_workgroup_size: 256
    .name:           _ZN7rocprim17ROCPRIM_400000_NS6detail17trampoline_kernelINS0_14default_configENS1_38merge_sort_block_merge_config_selectorItNS0_10empty_typeEEEZZNS1_27merge_sort_block_merge_implIS3_N6thrust23THRUST_200600_302600_NS6detail15normal_iteratorINS9_10device_ptrItEEEEPS5_m9comp_mod3ItEEE10hipError_tT0_T1_T2_jT3_P12ihipStream_tbPNSt15iterator_traitsISJ_E10value_typeEPNSP_ISK_E10value_typeEPSL_NS1_7vsmem_tEENKUlT_SJ_SK_SL_E_clISE_PtSF_SF_EESI_SY_SJ_SK_SL_EUlSY_E1_NS1_11comp_targetILNS1_3genE2ELNS1_11target_archE906ELNS1_3gpuE6ELNS1_3repE0EEENS1_36merge_oddeven_config_static_selectorELNS0_4arch9wavefront6targetE0EEEvSK_
    .private_segment_fixed_size: 0
    .sgpr_count:     0
    .sgpr_spill_count: 0
    .symbol:         _ZN7rocprim17ROCPRIM_400000_NS6detail17trampoline_kernelINS0_14default_configENS1_38merge_sort_block_merge_config_selectorItNS0_10empty_typeEEEZZNS1_27merge_sort_block_merge_implIS3_N6thrust23THRUST_200600_302600_NS6detail15normal_iteratorINS9_10device_ptrItEEEEPS5_m9comp_mod3ItEEE10hipError_tT0_T1_T2_jT3_P12ihipStream_tbPNSt15iterator_traitsISJ_E10value_typeEPNSP_ISK_E10value_typeEPSL_NS1_7vsmem_tEENKUlT_SJ_SK_SL_E_clISE_PtSF_SF_EESI_SY_SJ_SK_SL_EUlSY_E1_NS1_11comp_targetILNS1_3genE2ELNS1_11target_archE906ELNS1_3gpuE6ELNS1_3repE0EEENS1_36merge_oddeven_config_static_selectorELNS0_4arch9wavefront6targetE0EEEvSK_.kd
    .uniform_work_group_size: 1
    .uses_dynamic_stack: false
    .vgpr_count:     0
    .vgpr_spill_count: 0
    .wavefront_size: 32
    .workgroup_processor_mode: 1
  - .args:
      - .offset:         0
        .size:           56
        .value_kind:     by_value
    .group_segment_fixed_size: 0
    .kernarg_segment_align: 8
    .kernarg_segment_size: 56
    .language:       OpenCL C
    .language_version:
      - 2
      - 0
    .max_flat_workgroup_size: 256
    .name:           _ZN7rocprim17ROCPRIM_400000_NS6detail17trampoline_kernelINS0_14default_configENS1_38merge_sort_block_merge_config_selectorItNS0_10empty_typeEEEZZNS1_27merge_sort_block_merge_implIS3_N6thrust23THRUST_200600_302600_NS6detail15normal_iteratorINS9_10device_ptrItEEEEPS5_m9comp_mod3ItEEE10hipError_tT0_T1_T2_jT3_P12ihipStream_tbPNSt15iterator_traitsISJ_E10value_typeEPNSP_ISK_E10value_typeEPSL_NS1_7vsmem_tEENKUlT_SJ_SK_SL_E_clISE_PtSF_SF_EESI_SY_SJ_SK_SL_EUlSY_E1_NS1_11comp_targetILNS1_3genE9ELNS1_11target_archE1100ELNS1_3gpuE3ELNS1_3repE0EEENS1_36merge_oddeven_config_static_selectorELNS0_4arch9wavefront6targetE0EEEvSK_
    .private_segment_fixed_size: 0
    .sgpr_count:     0
    .sgpr_spill_count: 0
    .symbol:         _ZN7rocprim17ROCPRIM_400000_NS6detail17trampoline_kernelINS0_14default_configENS1_38merge_sort_block_merge_config_selectorItNS0_10empty_typeEEEZZNS1_27merge_sort_block_merge_implIS3_N6thrust23THRUST_200600_302600_NS6detail15normal_iteratorINS9_10device_ptrItEEEEPS5_m9comp_mod3ItEEE10hipError_tT0_T1_T2_jT3_P12ihipStream_tbPNSt15iterator_traitsISJ_E10value_typeEPNSP_ISK_E10value_typeEPSL_NS1_7vsmem_tEENKUlT_SJ_SK_SL_E_clISE_PtSF_SF_EESI_SY_SJ_SK_SL_EUlSY_E1_NS1_11comp_targetILNS1_3genE9ELNS1_11target_archE1100ELNS1_3gpuE3ELNS1_3repE0EEENS1_36merge_oddeven_config_static_selectorELNS0_4arch9wavefront6targetE0EEEvSK_.kd
    .uniform_work_group_size: 1
    .uses_dynamic_stack: false
    .vgpr_count:     0
    .vgpr_spill_count: 0
    .wavefront_size: 32
    .workgroup_processor_mode: 1
  - .args:
      - .offset:         0
        .size:           56
        .value_kind:     by_value
    .group_segment_fixed_size: 0
    .kernarg_segment_align: 8
    .kernarg_segment_size: 56
    .language:       OpenCL C
    .language_version:
      - 2
      - 0
    .max_flat_workgroup_size: 256
    .name:           _ZN7rocprim17ROCPRIM_400000_NS6detail17trampoline_kernelINS0_14default_configENS1_38merge_sort_block_merge_config_selectorItNS0_10empty_typeEEEZZNS1_27merge_sort_block_merge_implIS3_N6thrust23THRUST_200600_302600_NS6detail15normal_iteratorINS9_10device_ptrItEEEEPS5_m9comp_mod3ItEEE10hipError_tT0_T1_T2_jT3_P12ihipStream_tbPNSt15iterator_traitsISJ_E10value_typeEPNSP_ISK_E10value_typeEPSL_NS1_7vsmem_tEENKUlT_SJ_SK_SL_E_clISE_PtSF_SF_EESI_SY_SJ_SK_SL_EUlSY_E1_NS1_11comp_targetILNS1_3genE8ELNS1_11target_archE1030ELNS1_3gpuE2ELNS1_3repE0EEENS1_36merge_oddeven_config_static_selectorELNS0_4arch9wavefront6targetE0EEEvSK_
    .private_segment_fixed_size: 0
    .sgpr_count:     20
    .sgpr_spill_count: 0
    .symbol:         _ZN7rocprim17ROCPRIM_400000_NS6detail17trampoline_kernelINS0_14default_configENS1_38merge_sort_block_merge_config_selectorItNS0_10empty_typeEEEZZNS1_27merge_sort_block_merge_implIS3_N6thrust23THRUST_200600_302600_NS6detail15normal_iteratorINS9_10device_ptrItEEEEPS5_m9comp_mod3ItEEE10hipError_tT0_T1_T2_jT3_P12ihipStream_tbPNSt15iterator_traitsISJ_E10value_typeEPNSP_ISK_E10value_typeEPSL_NS1_7vsmem_tEENKUlT_SJ_SK_SL_E_clISE_PtSF_SF_EESI_SY_SJ_SK_SL_EUlSY_E1_NS1_11comp_targetILNS1_3genE8ELNS1_11target_archE1030ELNS1_3gpuE2ELNS1_3repE0EEENS1_36merge_oddeven_config_static_selectorELNS0_4arch9wavefront6targetE0EEEvSK_.kd
    .uniform_work_group_size: 1
    .uses_dynamic_stack: false
    .vgpr_count:     11
    .vgpr_spill_count: 0
    .wavefront_size: 32
    .workgroup_processor_mode: 1
  - .args:
      - .offset:         0
        .size:           64
        .value_kind:     by_value
    .group_segment_fixed_size: 0
    .kernarg_segment_align: 8
    .kernarg_segment_size: 64
    .language:       OpenCL C
    .language_version:
      - 2
      - 0
    .max_flat_workgroup_size: 256
    .name:           _ZN7rocprim17ROCPRIM_400000_NS6detail17trampoline_kernelINS0_14default_configENS1_37merge_sort_block_sort_config_selectorIxNS0_10empty_typeEEEZNS1_21merge_sort_block_sortIS3_N6thrust23THRUST_200600_302600_NS6detail15normal_iteratorINS9_10device_ptrIxEEEESE_PS5_SF_9comp_mod3IxEEE10hipError_tT0_T1_T2_T3_mRjT4_P12ihipStream_tbNS1_7vsmem_tEEUlT_E_NS1_11comp_targetILNS1_3genE0ELNS1_11target_archE4294967295ELNS1_3gpuE0ELNS1_3repE0EEENS1_30default_config_static_selectorELNS0_4arch9wavefront6targetE0EEEvSK_
    .private_segment_fixed_size: 0
    .sgpr_count:     0
    .sgpr_spill_count: 0
    .symbol:         _ZN7rocprim17ROCPRIM_400000_NS6detail17trampoline_kernelINS0_14default_configENS1_37merge_sort_block_sort_config_selectorIxNS0_10empty_typeEEEZNS1_21merge_sort_block_sortIS3_N6thrust23THRUST_200600_302600_NS6detail15normal_iteratorINS9_10device_ptrIxEEEESE_PS5_SF_9comp_mod3IxEEE10hipError_tT0_T1_T2_T3_mRjT4_P12ihipStream_tbNS1_7vsmem_tEEUlT_E_NS1_11comp_targetILNS1_3genE0ELNS1_11target_archE4294967295ELNS1_3gpuE0ELNS1_3repE0EEENS1_30default_config_static_selectorELNS0_4arch9wavefront6targetE0EEEvSK_.kd
    .uniform_work_group_size: 1
    .uses_dynamic_stack: false
    .vgpr_count:     0
    .vgpr_spill_count: 0
    .wavefront_size: 32
    .workgroup_processor_mode: 1
  - .args:
      - .offset:         0
        .size:           64
        .value_kind:     by_value
    .group_segment_fixed_size: 0
    .kernarg_segment_align: 8
    .kernarg_segment_size: 64
    .language:       OpenCL C
    .language_version:
      - 2
      - 0
    .max_flat_workgroup_size: 256
    .name:           _ZN7rocprim17ROCPRIM_400000_NS6detail17trampoline_kernelINS0_14default_configENS1_37merge_sort_block_sort_config_selectorIxNS0_10empty_typeEEEZNS1_21merge_sort_block_sortIS3_N6thrust23THRUST_200600_302600_NS6detail15normal_iteratorINS9_10device_ptrIxEEEESE_PS5_SF_9comp_mod3IxEEE10hipError_tT0_T1_T2_T3_mRjT4_P12ihipStream_tbNS1_7vsmem_tEEUlT_E_NS1_11comp_targetILNS1_3genE5ELNS1_11target_archE942ELNS1_3gpuE9ELNS1_3repE0EEENS1_30default_config_static_selectorELNS0_4arch9wavefront6targetE0EEEvSK_
    .private_segment_fixed_size: 0
    .sgpr_count:     0
    .sgpr_spill_count: 0
    .symbol:         _ZN7rocprim17ROCPRIM_400000_NS6detail17trampoline_kernelINS0_14default_configENS1_37merge_sort_block_sort_config_selectorIxNS0_10empty_typeEEEZNS1_21merge_sort_block_sortIS3_N6thrust23THRUST_200600_302600_NS6detail15normal_iteratorINS9_10device_ptrIxEEEESE_PS5_SF_9comp_mod3IxEEE10hipError_tT0_T1_T2_T3_mRjT4_P12ihipStream_tbNS1_7vsmem_tEEUlT_E_NS1_11comp_targetILNS1_3genE5ELNS1_11target_archE942ELNS1_3gpuE9ELNS1_3repE0EEENS1_30default_config_static_selectorELNS0_4arch9wavefront6targetE0EEEvSK_.kd
    .uniform_work_group_size: 1
    .uses_dynamic_stack: false
    .vgpr_count:     0
    .vgpr_spill_count: 0
    .wavefront_size: 32
    .workgroup_processor_mode: 1
  - .args:
      - .offset:         0
        .size:           64
        .value_kind:     by_value
    .group_segment_fixed_size: 0
    .kernarg_segment_align: 8
    .kernarg_segment_size: 64
    .language:       OpenCL C
    .language_version:
      - 2
      - 0
    .max_flat_workgroup_size: 256
    .name:           _ZN7rocprim17ROCPRIM_400000_NS6detail17trampoline_kernelINS0_14default_configENS1_37merge_sort_block_sort_config_selectorIxNS0_10empty_typeEEEZNS1_21merge_sort_block_sortIS3_N6thrust23THRUST_200600_302600_NS6detail15normal_iteratorINS9_10device_ptrIxEEEESE_PS5_SF_9comp_mod3IxEEE10hipError_tT0_T1_T2_T3_mRjT4_P12ihipStream_tbNS1_7vsmem_tEEUlT_E_NS1_11comp_targetILNS1_3genE4ELNS1_11target_archE910ELNS1_3gpuE8ELNS1_3repE0EEENS1_30default_config_static_selectorELNS0_4arch9wavefront6targetE0EEEvSK_
    .private_segment_fixed_size: 0
    .sgpr_count:     0
    .sgpr_spill_count: 0
    .symbol:         _ZN7rocprim17ROCPRIM_400000_NS6detail17trampoline_kernelINS0_14default_configENS1_37merge_sort_block_sort_config_selectorIxNS0_10empty_typeEEEZNS1_21merge_sort_block_sortIS3_N6thrust23THRUST_200600_302600_NS6detail15normal_iteratorINS9_10device_ptrIxEEEESE_PS5_SF_9comp_mod3IxEEE10hipError_tT0_T1_T2_T3_mRjT4_P12ihipStream_tbNS1_7vsmem_tEEUlT_E_NS1_11comp_targetILNS1_3genE4ELNS1_11target_archE910ELNS1_3gpuE8ELNS1_3repE0EEENS1_30default_config_static_selectorELNS0_4arch9wavefront6targetE0EEEvSK_.kd
    .uniform_work_group_size: 1
    .uses_dynamic_stack: false
    .vgpr_count:     0
    .vgpr_spill_count: 0
    .wavefront_size: 32
    .workgroup_processor_mode: 1
  - .args:
      - .offset:         0
        .size:           64
        .value_kind:     by_value
    .group_segment_fixed_size: 0
    .kernarg_segment_align: 8
    .kernarg_segment_size: 64
    .language:       OpenCL C
    .language_version:
      - 2
      - 0
    .max_flat_workgroup_size: 256
    .name:           _ZN7rocprim17ROCPRIM_400000_NS6detail17trampoline_kernelINS0_14default_configENS1_37merge_sort_block_sort_config_selectorIxNS0_10empty_typeEEEZNS1_21merge_sort_block_sortIS3_N6thrust23THRUST_200600_302600_NS6detail15normal_iteratorINS9_10device_ptrIxEEEESE_PS5_SF_9comp_mod3IxEEE10hipError_tT0_T1_T2_T3_mRjT4_P12ihipStream_tbNS1_7vsmem_tEEUlT_E_NS1_11comp_targetILNS1_3genE3ELNS1_11target_archE908ELNS1_3gpuE7ELNS1_3repE0EEENS1_30default_config_static_selectorELNS0_4arch9wavefront6targetE0EEEvSK_
    .private_segment_fixed_size: 0
    .sgpr_count:     0
    .sgpr_spill_count: 0
    .symbol:         _ZN7rocprim17ROCPRIM_400000_NS6detail17trampoline_kernelINS0_14default_configENS1_37merge_sort_block_sort_config_selectorIxNS0_10empty_typeEEEZNS1_21merge_sort_block_sortIS3_N6thrust23THRUST_200600_302600_NS6detail15normal_iteratorINS9_10device_ptrIxEEEESE_PS5_SF_9comp_mod3IxEEE10hipError_tT0_T1_T2_T3_mRjT4_P12ihipStream_tbNS1_7vsmem_tEEUlT_E_NS1_11comp_targetILNS1_3genE3ELNS1_11target_archE908ELNS1_3gpuE7ELNS1_3repE0EEENS1_30default_config_static_selectorELNS0_4arch9wavefront6targetE0EEEvSK_.kd
    .uniform_work_group_size: 1
    .uses_dynamic_stack: false
    .vgpr_count:     0
    .vgpr_spill_count: 0
    .wavefront_size: 32
    .workgroup_processor_mode: 1
  - .args:
      - .offset:         0
        .size:           64
        .value_kind:     by_value
    .group_segment_fixed_size: 0
    .kernarg_segment_align: 8
    .kernarg_segment_size: 64
    .language:       OpenCL C
    .language_version:
      - 2
      - 0
    .max_flat_workgroup_size: 256
    .name:           _ZN7rocprim17ROCPRIM_400000_NS6detail17trampoline_kernelINS0_14default_configENS1_37merge_sort_block_sort_config_selectorIxNS0_10empty_typeEEEZNS1_21merge_sort_block_sortIS3_N6thrust23THRUST_200600_302600_NS6detail15normal_iteratorINS9_10device_ptrIxEEEESE_PS5_SF_9comp_mod3IxEEE10hipError_tT0_T1_T2_T3_mRjT4_P12ihipStream_tbNS1_7vsmem_tEEUlT_E_NS1_11comp_targetILNS1_3genE2ELNS1_11target_archE906ELNS1_3gpuE6ELNS1_3repE0EEENS1_30default_config_static_selectorELNS0_4arch9wavefront6targetE0EEEvSK_
    .private_segment_fixed_size: 0
    .sgpr_count:     0
    .sgpr_spill_count: 0
    .symbol:         _ZN7rocprim17ROCPRIM_400000_NS6detail17trampoline_kernelINS0_14default_configENS1_37merge_sort_block_sort_config_selectorIxNS0_10empty_typeEEEZNS1_21merge_sort_block_sortIS3_N6thrust23THRUST_200600_302600_NS6detail15normal_iteratorINS9_10device_ptrIxEEEESE_PS5_SF_9comp_mod3IxEEE10hipError_tT0_T1_T2_T3_mRjT4_P12ihipStream_tbNS1_7vsmem_tEEUlT_E_NS1_11comp_targetILNS1_3genE2ELNS1_11target_archE906ELNS1_3gpuE6ELNS1_3repE0EEENS1_30default_config_static_selectorELNS0_4arch9wavefront6targetE0EEEvSK_.kd
    .uniform_work_group_size: 1
    .uses_dynamic_stack: false
    .vgpr_count:     0
    .vgpr_spill_count: 0
    .wavefront_size: 32
    .workgroup_processor_mode: 1
  - .args:
      - .offset:         0
        .size:           64
        .value_kind:     by_value
    .group_segment_fixed_size: 0
    .kernarg_segment_align: 8
    .kernarg_segment_size: 64
    .language:       OpenCL C
    .language_version:
      - 2
      - 0
    .max_flat_workgroup_size: 256
    .name:           _ZN7rocprim17ROCPRIM_400000_NS6detail17trampoline_kernelINS0_14default_configENS1_37merge_sort_block_sort_config_selectorIxNS0_10empty_typeEEEZNS1_21merge_sort_block_sortIS3_N6thrust23THRUST_200600_302600_NS6detail15normal_iteratorINS9_10device_ptrIxEEEESE_PS5_SF_9comp_mod3IxEEE10hipError_tT0_T1_T2_T3_mRjT4_P12ihipStream_tbNS1_7vsmem_tEEUlT_E_NS1_11comp_targetILNS1_3genE10ELNS1_11target_archE1201ELNS1_3gpuE5ELNS1_3repE0EEENS1_30default_config_static_selectorELNS0_4arch9wavefront6targetE0EEEvSK_
    .private_segment_fixed_size: 0
    .sgpr_count:     0
    .sgpr_spill_count: 0
    .symbol:         _ZN7rocprim17ROCPRIM_400000_NS6detail17trampoline_kernelINS0_14default_configENS1_37merge_sort_block_sort_config_selectorIxNS0_10empty_typeEEEZNS1_21merge_sort_block_sortIS3_N6thrust23THRUST_200600_302600_NS6detail15normal_iteratorINS9_10device_ptrIxEEEESE_PS5_SF_9comp_mod3IxEEE10hipError_tT0_T1_T2_T3_mRjT4_P12ihipStream_tbNS1_7vsmem_tEEUlT_E_NS1_11comp_targetILNS1_3genE10ELNS1_11target_archE1201ELNS1_3gpuE5ELNS1_3repE0EEENS1_30default_config_static_selectorELNS0_4arch9wavefront6targetE0EEEvSK_.kd
    .uniform_work_group_size: 1
    .uses_dynamic_stack: false
    .vgpr_count:     0
    .vgpr_spill_count: 0
    .wavefront_size: 32
    .workgroup_processor_mode: 1
  - .args:
      - .offset:         0
        .size:           64
        .value_kind:     by_value
    .group_segment_fixed_size: 0
    .kernarg_segment_align: 8
    .kernarg_segment_size: 64
    .language:       OpenCL C
    .language_version:
      - 2
      - 0
    .max_flat_workgroup_size: 512
    .name:           _ZN7rocprim17ROCPRIM_400000_NS6detail17trampoline_kernelINS0_14default_configENS1_37merge_sort_block_sort_config_selectorIxNS0_10empty_typeEEEZNS1_21merge_sort_block_sortIS3_N6thrust23THRUST_200600_302600_NS6detail15normal_iteratorINS9_10device_ptrIxEEEESE_PS5_SF_9comp_mod3IxEEE10hipError_tT0_T1_T2_T3_mRjT4_P12ihipStream_tbNS1_7vsmem_tEEUlT_E_NS1_11comp_targetILNS1_3genE10ELNS1_11target_archE1200ELNS1_3gpuE4ELNS1_3repE0EEENS1_30default_config_static_selectorELNS0_4arch9wavefront6targetE0EEEvSK_
    .private_segment_fixed_size: 0
    .sgpr_count:     0
    .sgpr_spill_count: 0
    .symbol:         _ZN7rocprim17ROCPRIM_400000_NS6detail17trampoline_kernelINS0_14default_configENS1_37merge_sort_block_sort_config_selectorIxNS0_10empty_typeEEEZNS1_21merge_sort_block_sortIS3_N6thrust23THRUST_200600_302600_NS6detail15normal_iteratorINS9_10device_ptrIxEEEESE_PS5_SF_9comp_mod3IxEEE10hipError_tT0_T1_T2_T3_mRjT4_P12ihipStream_tbNS1_7vsmem_tEEUlT_E_NS1_11comp_targetILNS1_3genE10ELNS1_11target_archE1200ELNS1_3gpuE4ELNS1_3repE0EEENS1_30default_config_static_selectorELNS0_4arch9wavefront6targetE0EEEvSK_.kd
    .uniform_work_group_size: 1
    .uses_dynamic_stack: false
    .vgpr_count:     0
    .vgpr_spill_count: 0
    .wavefront_size: 32
    .workgroup_processor_mode: 1
  - .args:
      - .offset:         0
        .size:           64
        .value_kind:     by_value
    .group_segment_fixed_size: 0
    .kernarg_segment_align: 8
    .kernarg_segment_size: 64
    .language:       OpenCL C
    .language_version:
      - 2
      - 0
    .max_flat_workgroup_size: 256
    .name:           _ZN7rocprim17ROCPRIM_400000_NS6detail17trampoline_kernelINS0_14default_configENS1_37merge_sort_block_sort_config_selectorIxNS0_10empty_typeEEEZNS1_21merge_sort_block_sortIS3_N6thrust23THRUST_200600_302600_NS6detail15normal_iteratorINS9_10device_ptrIxEEEESE_PS5_SF_9comp_mod3IxEEE10hipError_tT0_T1_T2_T3_mRjT4_P12ihipStream_tbNS1_7vsmem_tEEUlT_E_NS1_11comp_targetILNS1_3genE9ELNS1_11target_archE1100ELNS1_3gpuE3ELNS1_3repE0EEENS1_30default_config_static_selectorELNS0_4arch9wavefront6targetE0EEEvSK_
    .private_segment_fixed_size: 0
    .sgpr_count:     0
    .sgpr_spill_count: 0
    .symbol:         _ZN7rocprim17ROCPRIM_400000_NS6detail17trampoline_kernelINS0_14default_configENS1_37merge_sort_block_sort_config_selectorIxNS0_10empty_typeEEEZNS1_21merge_sort_block_sortIS3_N6thrust23THRUST_200600_302600_NS6detail15normal_iteratorINS9_10device_ptrIxEEEESE_PS5_SF_9comp_mod3IxEEE10hipError_tT0_T1_T2_T3_mRjT4_P12ihipStream_tbNS1_7vsmem_tEEUlT_E_NS1_11comp_targetILNS1_3genE9ELNS1_11target_archE1100ELNS1_3gpuE3ELNS1_3repE0EEENS1_30default_config_static_selectorELNS0_4arch9wavefront6targetE0EEEvSK_.kd
    .uniform_work_group_size: 1
    .uses_dynamic_stack: false
    .vgpr_count:     0
    .vgpr_spill_count: 0
    .wavefront_size: 32
    .workgroup_processor_mode: 1
  - .args:
      - .offset:         0
        .size:           64
        .value_kind:     by_value
      - .offset:         64
        .size:           4
        .value_kind:     hidden_block_count_x
      - .offset:         68
        .size:           4
        .value_kind:     hidden_block_count_y
      - .offset:         72
        .size:           4
        .value_kind:     hidden_block_count_z
      - .offset:         76
        .size:           2
        .value_kind:     hidden_group_size_x
      - .offset:         78
        .size:           2
        .value_kind:     hidden_group_size_y
      - .offset:         80
        .size:           2
        .value_kind:     hidden_group_size_z
      - .offset:         82
        .size:           2
        .value_kind:     hidden_remainder_x
      - .offset:         84
        .size:           2
        .value_kind:     hidden_remainder_y
      - .offset:         86
        .size:           2
        .value_kind:     hidden_remainder_z
      - .offset:         104
        .size:           8
        .value_kind:     hidden_global_offset_x
      - .offset:         112
        .size:           8
        .value_kind:     hidden_global_offset_y
      - .offset:         120
        .size:           8
        .value_kind:     hidden_global_offset_z
      - .offset:         128
        .size:           2
        .value_kind:     hidden_grid_dims
    .group_segment_fixed_size: 8448
    .kernarg_segment_align: 8
    .kernarg_segment_size: 320
    .language:       OpenCL C
    .language_version:
      - 2
      - 0
    .max_flat_workgroup_size: 256
    .name:           _ZN7rocprim17ROCPRIM_400000_NS6detail17trampoline_kernelINS0_14default_configENS1_37merge_sort_block_sort_config_selectorIxNS0_10empty_typeEEEZNS1_21merge_sort_block_sortIS3_N6thrust23THRUST_200600_302600_NS6detail15normal_iteratorINS9_10device_ptrIxEEEESE_PS5_SF_9comp_mod3IxEEE10hipError_tT0_T1_T2_T3_mRjT4_P12ihipStream_tbNS1_7vsmem_tEEUlT_E_NS1_11comp_targetILNS1_3genE8ELNS1_11target_archE1030ELNS1_3gpuE2ELNS1_3repE0EEENS1_30default_config_static_selectorELNS0_4arch9wavefront6targetE0EEEvSK_
    .private_segment_fixed_size: 0
    .sgpr_count:     24
    .sgpr_spill_count: 0
    .symbol:         _ZN7rocprim17ROCPRIM_400000_NS6detail17trampoline_kernelINS0_14default_configENS1_37merge_sort_block_sort_config_selectorIxNS0_10empty_typeEEEZNS1_21merge_sort_block_sortIS3_N6thrust23THRUST_200600_302600_NS6detail15normal_iteratorINS9_10device_ptrIxEEEESE_PS5_SF_9comp_mod3IxEEE10hipError_tT0_T1_T2_T3_mRjT4_P12ihipStream_tbNS1_7vsmem_tEEUlT_E_NS1_11comp_targetILNS1_3genE8ELNS1_11target_archE1030ELNS1_3gpuE2ELNS1_3repE0EEENS1_30default_config_static_selectorELNS0_4arch9wavefront6targetE0EEEvSK_.kd
    .uniform_work_group_size: 1
    .uses_dynamic_stack: false
    .vgpr_count:     49
    .vgpr_spill_count: 0
    .wavefront_size: 32
    .workgroup_processor_mode: 1
  - .args:
      - .offset:         0
        .size:           48
        .value_kind:     by_value
    .group_segment_fixed_size: 0
    .kernarg_segment_align: 8
    .kernarg_segment_size: 48
    .language:       OpenCL C
    .language_version:
      - 2
      - 0
    .max_flat_workgroup_size: 128
    .name:           _ZN7rocprim17ROCPRIM_400000_NS6detail17trampoline_kernelINS0_14default_configENS1_38merge_sort_block_merge_config_selectorIxNS0_10empty_typeEEEZZNS1_27merge_sort_block_merge_implIS3_N6thrust23THRUST_200600_302600_NS6detail15normal_iteratorINS9_10device_ptrIxEEEEPS5_m9comp_mod3IxEEE10hipError_tT0_T1_T2_jT3_P12ihipStream_tbPNSt15iterator_traitsISJ_E10value_typeEPNSP_ISK_E10value_typeEPSL_NS1_7vsmem_tEENKUlT_SJ_SK_SL_E_clIPxSE_SF_SF_EESI_SY_SJ_SK_SL_EUlSY_E_NS1_11comp_targetILNS1_3genE0ELNS1_11target_archE4294967295ELNS1_3gpuE0ELNS1_3repE0EEENS1_48merge_mergepath_partition_config_static_selectorELNS0_4arch9wavefront6targetE0EEEvSK_
    .private_segment_fixed_size: 0
    .sgpr_count:     0
    .sgpr_spill_count: 0
    .symbol:         _ZN7rocprim17ROCPRIM_400000_NS6detail17trampoline_kernelINS0_14default_configENS1_38merge_sort_block_merge_config_selectorIxNS0_10empty_typeEEEZZNS1_27merge_sort_block_merge_implIS3_N6thrust23THRUST_200600_302600_NS6detail15normal_iteratorINS9_10device_ptrIxEEEEPS5_m9comp_mod3IxEEE10hipError_tT0_T1_T2_jT3_P12ihipStream_tbPNSt15iterator_traitsISJ_E10value_typeEPNSP_ISK_E10value_typeEPSL_NS1_7vsmem_tEENKUlT_SJ_SK_SL_E_clIPxSE_SF_SF_EESI_SY_SJ_SK_SL_EUlSY_E_NS1_11comp_targetILNS1_3genE0ELNS1_11target_archE4294967295ELNS1_3gpuE0ELNS1_3repE0EEENS1_48merge_mergepath_partition_config_static_selectorELNS0_4arch9wavefront6targetE0EEEvSK_.kd
    .uniform_work_group_size: 1
    .uses_dynamic_stack: false
    .vgpr_count:     0
    .vgpr_spill_count: 0
    .wavefront_size: 32
    .workgroup_processor_mode: 1
  - .args:
      - .offset:         0
        .size:           48
        .value_kind:     by_value
    .group_segment_fixed_size: 0
    .kernarg_segment_align: 8
    .kernarg_segment_size: 48
    .language:       OpenCL C
    .language_version:
      - 2
      - 0
    .max_flat_workgroup_size: 128
    .name:           _ZN7rocprim17ROCPRIM_400000_NS6detail17trampoline_kernelINS0_14default_configENS1_38merge_sort_block_merge_config_selectorIxNS0_10empty_typeEEEZZNS1_27merge_sort_block_merge_implIS3_N6thrust23THRUST_200600_302600_NS6detail15normal_iteratorINS9_10device_ptrIxEEEEPS5_m9comp_mod3IxEEE10hipError_tT0_T1_T2_jT3_P12ihipStream_tbPNSt15iterator_traitsISJ_E10value_typeEPNSP_ISK_E10value_typeEPSL_NS1_7vsmem_tEENKUlT_SJ_SK_SL_E_clIPxSE_SF_SF_EESI_SY_SJ_SK_SL_EUlSY_E_NS1_11comp_targetILNS1_3genE10ELNS1_11target_archE1201ELNS1_3gpuE5ELNS1_3repE0EEENS1_48merge_mergepath_partition_config_static_selectorELNS0_4arch9wavefront6targetE0EEEvSK_
    .private_segment_fixed_size: 0
    .sgpr_count:     0
    .sgpr_spill_count: 0
    .symbol:         _ZN7rocprim17ROCPRIM_400000_NS6detail17trampoline_kernelINS0_14default_configENS1_38merge_sort_block_merge_config_selectorIxNS0_10empty_typeEEEZZNS1_27merge_sort_block_merge_implIS3_N6thrust23THRUST_200600_302600_NS6detail15normal_iteratorINS9_10device_ptrIxEEEEPS5_m9comp_mod3IxEEE10hipError_tT0_T1_T2_jT3_P12ihipStream_tbPNSt15iterator_traitsISJ_E10value_typeEPNSP_ISK_E10value_typeEPSL_NS1_7vsmem_tEENKUlT_SJ_SK_SL_E_clIPxSE_SF_SF_EESI_SY_SJ_SK_SL_EUlSY_E_NS1_11comp_targetILNS1_3genE10ELNS1_11target_archE1201ELNS1_3gpuE5ELNS1_3repE0EEENS1_48merge_mergepath_partition_config_static_selectorELNS0_4arch9wavefront6targetE0EEEvSK_.kd
    .uniform_work_group_size: 1
    .uses_dynamic_stack: false
    .vgpr_count:     0
    .vgpr_spill_count: 0
    .wavefront_size: 32
    .workgroup_processor_mode: 1
  - .args:
      - .offset:         0
        .size:           48
        .value_kind:     by_value
    .group_segment_fixed_size: 0
    .kernarg_segment_align: 8
    .kernarg_segment_size: 48
    .language:       OpenCL C
    .language_version:
      - 2
      - 0
    .max_flat_workgroup_size: 128
    .name:           _ZN7rocprim17ROCPRIM_400000_NS6detail17trampoline_kernelINS0_14default_configENS1_38merge_sort_block_merge_config_selectorIxNS0_10empty_typeEEEZZNS1_27merge_sort_block_merge_implIS3_N6thrust23THRUST_200600_302600_NS6detail15normal_iteratorINS9_10device_ptrIxEEEEPS5_m9comp_mod3IxEEE10hipError_tT0_T1_T2_jT3_P12ihipStream_tbPNSt15iterator_traitsISJ_E10value_typeEPNSP_ISK_E10value_typeEPSL_NS1_7vsmem_tEENKUlT_SJ_SK_SL_E_clIPxSE_SF_SF_EESI_SY_SJ_SK_SL_EUlSY_E_NS1_11comp_targetILNS1_3genE5ELNS1_11target_archE942ELNS1_3gpuE9ELNS1_3repE0EEENS1_48merge_mergepath_partition_config_static_selectorELNS0_4arch9wavefront6targetE0EEEvSK_
    .private_segment_fixed_size: 0
    .sgpr_count:     0
    .sgpr_spill_count: 0
    .symbol:         _ZN7rocprim17ROCPRIM_400000_NS6detail17trampoline_kernelINS0_14default_configENS1_38merge_sort_block_merge_config_selectorIxNS0_10empty_typeEEEZZNS1_27merge_sort_block_merge_implIS3_N6thrust23THRUST_200600_302600_NS6detail15normal_iteratorINS9_10device_ptrIxEEEEPS5_m9comp_mod3IxEEE10hipError_tT0_T1_T2_jT3_P12ihipStream_tbPNSt15iterator_traitsISJ_E10value_typeEPNSP_ISK_E10value_typeEPSL_NS1_7vsmem_tEENKUlT_SJ_SK_SL_E_clIPxSE_SF_SF_EESI_SY_SJ_SK_SL_EUlSY_E_NS1_11comp_targetILNS1_3genE5ELNS1_11target_archE942ELNS1_3gpuE9ELNS1_3repE0EEENS1_48merge_mergepath_partition_config_static_selectorELNS0_4arch9wavefront6targetE0EEEvSK_.kd
    .uniform_work_group_size: 1
    .uses_dynamic_stack: false
    .vgpr_count:     0
    .vgpr_spill_count: 0
    .wavefront_size: 32
    .workgroup_processor_mode: 1
  - .args:
      - .offset:         0
        .size:           48
        .value_kind:     by_value
    .group_segment_fixed_size: 0
    .kernarg_segment_align: 8
    .kernarg_segment_size: 48
    .language:       OpenCL C
    .language_version:
      - 2
      - 0
    .max_flat_workgroup_size: 128
    .name:           _ZN7rocprim17ROCPRIM_400000_NS6detail17trampoline_kernelINS0_14default_configENS1_38merge_sort_block_merge_config_selectorIxNS0_10empty_typeEEEZZNS1_27merge_sort_block_merge_implIS3_N6thrust23THRUST_200600_302600_NS6detail15normal_iteratorINS9_10device_ptrIxEEEEPS5_m9comp_mod3IxEEE10hipError_tT0_T1_T2_jT3_P12ihipStream_tbPNSt15iterator_traitsISJ_E10value_typeEPNSP_ISK_E10value_typeEPSL_NS1_7vsmem_tEENKUlT_SJ_SK_SL_E_clIPxSE_SF_SF_EESI_SY_SJ_SK_SL_EUlSY_E_NS1_11comp_targetILNS1_3genE4ELNS1_11target_archE910ELNS1_3gpuE8ELNS1_3repE0EEENS1_48merge_mergepath_partition_config_static_selectorELNS0_4arch9wavefront6targetE0EEEvSK_
    .private_segment_fixed_size: 0
    .sgpr_count:     0
    .sgpr_spill_count: 0
    .symbol:         _ZN7rocprim17ROCPRIM_400000_NS6detail17trampoline_kernelINS0_14default_configENS1_38merge_sort_block_merge_config_selectorIxNS0_10empty_typeEEEZZNS1_27merge_sort_block_merge_implIS3_N6thrust23THRUST_200600_302600_NS6detail15normal_iteratorINS9_10device_ptrIxEEEEPS5_m9comp_mod3IxEEE10hipError_tT0_T1_T2_jT3_P12ihipStream_tbPNSt15iterator_traitsISJ_E10value_typeEPNSP_ISK_E10value_typeEPSL_NS1_7vsmem_tEENKUlT_SJ_SK_SL_E_clIPxSE_SF_SF_EESI_SY_SJ_SK_SL_EUlSY_E_NS1_11comp_targetILNS1_3genE4ELNS1_11target_archE910ELNS1_3gpuE8ELNS1_3repE0EEENS1_48merge_mergepath_partition_config_static_selectorELNS0_4arch9wavefront6targetE0EEEvSK_.kd
    .uniform_work_group_size: 1
    .uses_dynamic_stack: false
    .vgpr_count:     0
    .vgpr_spill_count: 0
    .wavefront_size: 32
    .workgroup_processor_mode: 1
  - .args:
      - .offset:         0
        .size:           48
        .value_kind:     by_value
    .group_segment_fixed_size: 0
    .kernarg_segment_align: 8
    .kernarg_segment_size: 48
    .language:       OpenCL C
    .language_version:
      - 2
      - 0
    .max_flat_workgroup_size: 128
    .name:           _ZN7rocprim17ROCPRIM_400000_NS6detail17trampoline_kernelINS0_14default_configENS1_38merge_sort_block_merge_config_selectorIxNS0_10empty_typeEEEZZNS1_27merge_sort_block_merge_implIS3_N6thrust23THRUST_200600_302600_NS6detail15normal_iteratorINS9_10device_ptrIxEEEEPS5_m9comp_mod3IxEEE10hipError_tT0_T1_T2_jT3_P12ihipStream_tbPNSt15iterator_traitsISJ_E10value_typeEPNSP_ISK_E10value_typeEPSL_NS1_7vsmem_tEENKUlT_SJ_SK_SL_E_clIPxSE_SF_SF_EESI_SY_SJ_SK_SL_EUlSY_E_NS1_11comp_targetILNS1_3genE3ELNS1_11target_archE908ELNS1_3gpuE7ELNS1_3repE0EEENS1_48merge_mergepath_partition_config_static_selectorELNS0_4arch9wavefront6targetE0EEEvSK_
    .private_segment_fixed_size: 0
    .sgpr_count:     0
    .sgpr_spill_count: 0
    .symbol:         _ZN7rocprim17ROCPRIM_400000_NS6detail17trampoline_kernelINS0_14default_configENS1_38merge_sort_block_merge_config_selectorIxNS0_10empty_typeEEEZZNS1_27merge_sort_block_merge_implIS3_N6thrust23THRUST_200600_302600_NS6detail15normal_iteratorINS9_10device_ptrIxEEEEPS5_m9comp_mod3IxEEE10hipError_tT0_T1_T2_jT3_P12ihipStream_tbPNSt15iterator_traitsISJ_E10value_typeEPNSP_ISK_E10value_typeEPSL_NS1_7vsmem_tEENKUlT_SJ_SK_SL_E_clIPxSE_SF_SF_EESI_SY_SJ_SK_SL_EUlSY_E_NS1_11comp_targetILNS1_3genE3ELNS1_11target_archE908ELNS1_3gpuE7ELNS1_3repE0EEENS1_48merge_mergepath_partition_config_static_selectorELNS0_4arch9wavefront6targetE0EEEvSK_.kd
    .uniform_work_group_size: 1
    .uses_dynamic_stack: false
    .vgpr_count:     0
    .vgpr_spill_count: 0
    .wavefront_size: 32
    .workgroup_processor_mode: 1
  - .args:
      - .offset:         0
        .size:           48
        .value_kind:     by_value
    .group_segment_fixed_size: 0
    .kernarg_segment_align: 8
    .kernarg_segment_size: 48
    .language:       OpenCL C
    .language_version:
      - 2
      - 0
    .max_flat_workgroup_size: 128
    .name:           _ZN7rocprim17ROCPRIM_400000_NS6detail17trampoline_kernelINS0_14default_configENS1_38merge_sort_block_merge_config_selectorIxNS0_10empty_typeEEEZZNS1_27merge_sort_block_merge_implIS3_N6thrust23THRUST_200600_302600_NS6detail15normal_iteratorINS9_10device_ptrIxEEEEPS5_m9comp_mod3IxEEE10hipError_tT0_T1_T2_jT3_P12ihipStream_tbPNSt15iterator_traitsISJ_E10value_typeEPNSP_ISK_E10value_typeEPSL_NS1_7vsmem_tEENKUlT_SJ_SK_SL_E_clIPxSE_SF_SF_EESI_SY_SJ_SK_SL_EUlSY_E_NS1_11comp_targetILNS1_3genE2ELNS1_11target_archE906ELNS1_3gpuE6ELNS1_3repE0EEENS1_48merge_mergepath_partition_config_static_selectorELNS0_4arch9wavefront6targetE0EEEvSK_
    .private_segment_fixed_size: 0
    .sgpr_count:     0
    .sgpr_spill_count: 0
    .symbol:         _ZN7rocprim17ROCPRIM_400000_NS6detail17trampoline_kernelINS0_14default_configENS1_38merge_sort_block_merge_config_selectorIxNS0_10empty_typeEEEZZNS1_27merge_sort_block_merge_implIS3_N6thrust23THRUST_200600_302600_NS6detail15normal_iteratorINS9_10device_ptrIxEEEEPS5_m9comp_mod3IxEEE10hipError_tT0_T1_T2_jT3_P12ihipStream_tbPNSt15iterator_traitsISJ_E10value_typeEPNSP_ISK_E10value_typeEPSL_NS1_7vsmem_tEENKUlT_SJ_SK_SL_E_clIPxSE_SF_SF_EESI_SY_SJ_SK_SL_EUlSY_E_NS1_11comp_targetILNS1_3genE2ELNS1_11target_archE906ELNS1_3gpuE6ELNS1_3repE0EEENS1_48merge_mergepath_partition_config_static_selectorELNS0_4arch9wavefront6targetE0EEEvSK_.kd
    .uniform_work_group_size: 1
    .uses_dynamic_stack: false
    .vgpr_count:     0
    .vgpr_spill_count: 0
    .wavefront_size: 32
    .workgroup_processor_mode: 1
  - .args:
      - .offset:         0
        .size:           48
        .value_kind:     by_value
    .group_segment_fixed_size: 0
    .kernarg_segment_align: 8
    .kernarg_segment_size: 48
    .language:       OpenCL C
    .language_version:
      - 2
      - 0
    .max_flat_workgroup_size: 128
    .name:           _ZN7rocprim17ROCPRIM_400000_NS6detail17trampoline_kernelINS0_14default_configENS1_38merge_sort_block_merge_config_selectorIxNS0_10empty_typeEEEZZNS1_27merge_sort_block_merge_implIS3_N6thrust23THRUST_200600_302600_NS6detail15normal_iteratorINS9_10device_ptrIxEEEEPS5_m9comp_mod3IxEEE10hipError_tT0_T1_T2_jT3_P12ihipStream_tbPNSt15iterator_traitsISJ_E10value_typeEPNSP_ISK_E10value_typeEPSL_NS1_7vsmem_tEENKUlT_SJ_SK_SL_E_clIPxSE_SF_SF_EESI_SY_SJ_SK_SL_EUlSY_E_NS1_11comp_targetILNS1_3genE9ELNS1_11target_archE1100ELNS1_3gpuE3ELNS1_3repE0EEENS1_48merge_mergepath_partition_config_static_selectorELNS0_4arch9wavefront6targetE0EEEvSK_
    .private_segment_fixed_size: 0
    .sgpr_count:     0
    .sgpr_spill_count: 0
    .symbol:         _ZN7rocprim17ROCPRIM_400000_NS6detail17trampoline_kernelINS0_14default_configENS1_38merge_sort_block_merge_config_selectorIxNS0_10empty_typeEEEZZNS1_27merge_sort_block_merge_implIS3_N6thrust23THRUST_200600_302600_NS6detail15normal_iteratorINS9_10device_ptrIxEEEEPS5_m9comp_mod3IxEEE10hipError_tT0_T1_T2_jT3_P12ihipStream_tbPNSt15iterator_traitsISJ_E10value_typeEPNSP_ISK_E10value_typeEPSL_NS1_7vsmem_tEENKUlT_SJ_SK_SL_E_clIPxSE_SF_SF_EESI_SY_SJ_SK_SL_EUlSY_E_NS1_11comp_targetILNS1_3genE9ELNS1_11target_archE1100ELNS1_3gpuE3ELNS1_3repE0EEENS1_48merge_mergepath_partition_config_static_selectorELNS0_4arch9wavefront6targetE0EEEvSK_.kd
    .uniform_work_group_size: 1
    .uses_dynamic_stack: false
    .vgpr_count:     0
    .vgpr_spill_count: 0
    .wavefront_size: 32
    .workgroup_processor_mode: 1
  - .args:
      - .offset:         0
        .size:           48
        .value_kind:     by_value
    .group_segment_fixed_size: 0
    .kernarg_segment_align: 8
    .kernarg_segment_size: 48
    .language:       OpenCL C
    .language_version:
      - 2
      - 0
    .max_flat_workgroup_size: 128
    .name:           _ZN7rocprim17ROCPRIM_400000_NS6detail17trampoline_kernelINS0_14default_configENS1_38merge_sort_block_merge_config_selectorIxNS0_10empty_typeEEEZZNS1_27merge_sort_block_merge_implIS3_N6thrust23THRUST_200600_302600_NS6detail15normal_iteratorINS9_10device_ptrIxEEEEPS5_m9comp_mod3IxEEE10hipError_tT0_T1_T2_jT3_P12ihipStream_tbPNSt15iterator_traitsISJ_E10value_typeEPNSP_ISK_E10value_typeEPSL_NS1_7vsmem_tEENKUlT_SJ_SK_SL_E_clIPxSE_SF_SF_EESI_SY_SJ_SK_SL_EUlSY_E_NS1_11comp_targetILNS1_3genE8ELNS1_11target_archE1030ELNS1_3gpuE2ELNS1_3repE0EEENS1_48merge_mergepath_partition_config_static_selectorELNS0_4arch9wavefront6targetE0EEEvSK_
    .private_segment_fixed_size: 0
    .sgpr_count:     18
    .sgpr_spill_count: 0
    .symbol:         _ZN7rocprim17ROCPRIM_400000_NS6detail17trampoline_kernelINS0_14default_configENS1_38merge_sort_block_merge_config_selectorIxNS0_10empty_typeEEEZZNS1_27merge_sort_block_merge_implIS3_N6thrust23THRUST_200600_302600_NS6detail15normal_iteratorINS9_10device_ptrIxEEEEPS5_m9comp_mod3IxEEE10hipError_tT0_T1_T2_jT3_P12ihipStream_tbPNSt15iterator_traitsISJ_E10value_typeEPNSP_ISK_E10value_typeEPSL_NS1_7vsmem_tEENKUlT_SJ_SK_SL_E_clIPxSE_SF_SF_EESI_SY_SJ_SK_SL_EUlSY_E_NS1_11comp_targetILNS1_3genE8ELNS1_11target_archE1030ELNS1_3gpuE2ELNS1_3repE0EEENS1_48merge_mergepath_partition_config_static_selectorELNS0_4arch9wavefront6targetE0EEEvSK_.kd
    .uniform_work_group_size: 1
    .uses_dynamic_stack: false
    .vgpr_count:     19
    .vgpr_spill_count: 0
    .wavefront_size: 32
    .workgroup_processor_mode: 1
  - .args:
      - .offset:         0
        .size:           80
        .value_kind:     by_value
    .group_segment_fixed_size: 0
    .kernarg_segment_align: 8
    .kernarg_segment_size: 80
    .language:       OpenCL C
    .language_version:
      - 2
      - 0
    .max_flat_workgroup_size: 128
    .name:           _ZN7rocprim17ROCPRIM_400000_NS6detail17trampoline_kernelINS0_14default_configENS1_38merge_sort_block_merge_config_selectorIxNS0_10empty_typeEEEZZNS1_27merge_sort_block_merge_implIS3_N6thrust23THRUST_200600_302600_NS6detail15normal_iteratorINS9_10device_ptrIxEEEEPS5_m9comp_mod3IxEEE10hipError_tT0_T1_T2_jT3_P12ihipStream_tbPNSt15iterator_traitsISJ_E10value_typeEPNSP_ISK_E10value_typeEPSL_NS1_7vsmem_tEENKUlT_SJ_SK_SL_E_clIPxSE_SF_SF_EESI_SY_SJ_SK_SL_EUlSY_E0_NS1_11comp_targetILNS1_3genE0ELNS1_11target_archE4294967295ELNS1_3gpuE0ELNS1_3repE0EEENS1_38merge_mergepath_config_static_selectorELNS0_4arch9wavefront6targetE0EEEvSK_
    .private_segment_fixed_size: 0
    .sgpr_count:     0
    .sgpr_spill_count: 0
    .symbol:         _ZN7rocprim17ROCPRIM_400000_NS6detail17trampoline_kernelINS0_14default_configENS1_38merge_sort_block_merge_config_selectorIxNS0_10empty_typeEEEZZNS1_27merge_sort_block_merge_implIS3_N6thrust23THRUST_200600_302600_NS6detail15normal_iteratorINS9_10device_ptrIxEEEEPS5_m9comp_mod3IxEEE10hipError_tT0_T1_T2_jT3_P12ihipStream_tbPNSt15iterator_traitsISJ_E10value_typeEPNSP_ISK_E10value_typeEPSL_NS1_7vsmem_tEENKUlT_SJ_SK_SL_E_clIPxSE_SF_SF_EESI_SY_SJ_SK_SL_EUlSY_E0_NS1_11comp_targetILNS1_3genE0ELNS1_11target_archE4294967295ELNS1_3gpuE0ELNS1_3repE0EEENS1_38merge_mergepath_config_static_selectorELNS0_4arch9wavefront6targetE0EEEvSK_.kd
    .uniform_work_group_size: 1
    .uses_dynamic_stack: false
    .vgpr_count:     0
    .vgpr_spill_count: 0
    .wavefront_size: 32
    .workgroup_processor_mode: 1
  - .args:
      - .offset:         0
        .size:           80
        .value_kind:     by_value
    .group_segment_fixed_size: 0
    .kernarg_segment_align: 8
    .kernarg_segment_size: 80
    .language:       OpenCL C
    .language_version:
      - 2
      - 0
    .max_flat_workgroup_size: 512
    .name:           _ZN7rocprim17ROCPRIM_400000_NS6detail17trampoline_kernelINS0_14default_configENS1_38merge_sort_block_merge_config_selectorIxNS0_10empty_typeEEEZZNS1_27merge_sort_block_merge_implIS3_N6thrust23THRUST_200600_302600_NS6detail15normal_iteratorINS9_10device_ptrIxEEEEPS5_m9comp_mod3IxEEE10hipError_tT0_T1_T2_jT3_P12ihipStream_tbPNSt15iterator_traitsISJ_E10value_typeEPNSP_ISK_E10value_typeEPSL_NS1_7vsmem_tEENKUlT_SJ_SK_SL_E_clIPxSE_SF_SF_EESI_SY_SJ_SK_SL_EUlSY_E0_NS1_11comp_targetILNS1_3genE10ELNS1_11target_archE1201ELNS1_3gpuE5ELNS1_3repE0EEENS1_38merge_mergepath_config_static_selectorELNS0_4arch9wavefront6targetE0EEEvSK_
    .private_segment_fixed_size: 0
    .sgpr_count:     0
    .sgpr_spill_count: 0
    .symbol:         _ZN7rocprim17ROCPRIM_400000_NS6detail17trampoline_kernelINS0_14default_configENS1_38merge_sort_block_merge_config_selectorIxNS0_10empty_typeEEEZZNS1_27merge_sort_block_merge_implIS3_N6thrust23THRUST_200600_302600_NS6detail15normal_iteratorINS9_10device_ptrIxEEEEPS5_m9comp_mod3IxEEE10hipError_tT0_T1_T2_jT3_P12ihipStream_tbPNSt15iterator_traitsISJ_E10value_typeEPNSP_ISK_E10value_typeEPSL_NS1_7vsmem_tEENKUlT_SJ_SK_SL_E_clIPxSE_SF_SF_EESI_SY_SJ_SK_SL_EUlSY_E0_NS1_11comp_targetILNS1_3genE10ELNS1_11target_archE1201ELNS1_3gpuE5ELNS1_3repE0EEENS1_38merge_mergepath_config_static_selectorELNS0_4arch9wavefront6targetE0EEEvSK_.kd
    .uniform_work_group_size: 1
    .uses_dynamic_stack: false
    .vgpr_count:     0
    .vgpr_spill_count: 0
    .wavefront_size: 32
    .workgroup_processor_mode: 1
  - .args:
      - .offset:         0
        .size:           80
        .value_kind:     by_value
    .group_segment_fixed_size: 0
    .kernarg_segment_align: 8
    .kernarg_segment_size: 80
    .language:       OpenCL C
    .language_version:
      - 2
      - 0
    .max_flat_workgroup_size: 128
    .name:           _ZN7rocprim17ROCPRIM_400000_NS6detail17trampoline_kernelINS0_14default_configENS1_38merge_sort_block_merge_config_selectorIxNS0_10empty_typeEEEZZNS1_27merge_sort_block_merge_implIS3_N6thrust23THRUST_200600_302600_NS6detail15normal_iteratorINS9_10device_ptrIxEEEEPS5_m9comp_mod3IxEEE10hipError_tT0_T1_T2_jT3_P12ihipStream_tbPNSt15iterator_traitsISJ_E10value_typeEPNSP_ISK_E10value_typeEPSL_NS1_7vsmem_tEENKUlT_SJ_SK_SL_E_clIPxSE_SF_SF_EESI_SY_SJ_SK_SL_EUlSY_E0_NS1_11comp_targetILNS1_3genE5ELNS1_11target_archE942ELNS1_3gpuE9ELNS1_3repE0EEENS1_38merge_mergepath_config_static_selectorELNS0_4arch9wavefront6targetE0EEEvSK_
    .private_segment_fixed_size: 0
    .sgpr_count:     0
    .sgpr_spill_count: 0
    .symbol:         _ZN7rocprim17ROCPRIM_400000_NS6detail17trampoline_kernelINS0_14default_configENS1_38merge_sort_block_merge_config_selectorIxNS0_10empty_typeEEEZZNS1_27merge_sort_block_merge_implIS3_N6thrust23THRUST_200600_302600_NS6detail15normal_iteratorINS9_10device_ptrIxEEEEPS5_m9comp_mod3IxEEE10hipError_tT0_T1_T2_jT3_P12ihipStream_tbPNSt15iterator_traitsISJ_E10value_typeEPNSP_ISK_E10value_typeEPSL_NS1_7vsmem_tEENKUlT_SJ_SK_SL_E_clIPxSE_SF_SF_EESI_SY_SJ_SK_SL_EUlSY_E0_NS1_11comp_targetILNS1_3genE5ELNS1_11target_archE942ELNS1_3gpuE9ELNS1_3repE0EEENS1_38merge_mergepath_config_static_selectorELNS0_4arch9wavefront6targetE0EEEvSK_.kd
    .uniform_work_group_size: 1
    .uses_dynamic_stack: false
    .vgpr_count:     0
    .vgpr_spill_count: 0
    .wavefront_size: 32
    .workgroup_processor_mode: 1
  - .args:
      - .offset:         0
        .size:           80
        .value_kind:     by_value
    .group_segment_fixed_size: 0
    .kernarg_segment_align: 8
    .kernarg_segment_size: 80
    .language:       OpenCL C
    .language_version:
      - 2
      - 0
    .max_flat_workgroup_size: 256
    .name:           _ZN7rocprim17ROCPRIM_400000_NS6detail17trampoline_kernelINS0_14default_configENS1_38merge_sort_block_merge_config_selectorIxNS0_10empty_typeEEEZZNS1_27merge_sort_block_merge_implIS3_N6thrust23THRUST_200600_302600_NS6detail15normal_iteratorINS9_10device_ptrIxEEEEPS5_m9comp_mod3IxEEE10hipError_tT0_T1_T2_jT3_P12ihipStream_tbPNSt15iterator_traitsISJ_E10value_typeEPNSP_ISK_E10value_typeEPSL_NS1_7vsmem_tEENKUlT_SJ_SK_SL_E_clIPxSE_SF_SF_EESI_SY_SJ_SK_SL_EUlSY_E0_NS1_11comp_targetILNS1_3genE4ELNS1_11target_archE910ELNS1_3gpuE8ELNS1_3repE0EEENS1_38merge_mergepath_config_static_selectorELNS0_4arch9wavefront6targetE0EEEvSK_
    .private_segment_fixed_size: 0
    .sgpr_count:     0
    .sgpr_spill_count: 0
    .symbol:         _ZN7rocprim17ROCPRIM_400000_NS6detail17trampoline_kernelINS0_14default_configENS1_38merge_sort_block_merge_config_selectorIxNS0_10empty_typeEEEZZNS1_27merge_sort_block_merge_implIS3_N6thrust23THRUST_200600_302600_NS6detail15normal_iteratorINS9_10device_ptrIxEEEEPS5_m9comp_mod3IxEEE10hipError_tT0_T1_T2_jT3_P12ihipStream_tbPNSt15iterator_traitsISJ_E10value_typeEPNSP_ISK_E10value_typeEPSL_NS1_7vsmem_tEENKUlT_SJ_SK_SL_E_clIPxSE_SF_SF_EESI_SY_SJ_SK_SL_EUlSY_E0_NS1_11comp_targetILNS1_3genE4ELNS1_11target_archE910ELNS1_3gpuE8ELNS1_3repE0EEENS1_38merge_mergepath_config_static_selectorELNS0_4arch9wavefront6targetE0EEEvSK_.kd
    .uniform_work_group_size: 1
    .uses_dynamic_stack: false
    .vgpr_count:     0
    .vgpr_spill_count: 0
    .wavefront_size: 32
    .workgroup_processor_mode: 1
  - .args:
      - .offset:         0
        .size:           80
        .value_kind:     by_value
    .group_segment_fixed_size: 0
    .kernarg_segment_align: 8
    .kernarg_segment_size: 80
    .language:       OpenCL C
    .language_version:
      - 2
      - 0
    .max_flat_workgroup_size: 128
    .name:           _ZN7rocprim17ROCPRIM_400000_NS6detail17trampoline_kernelINS0_14default_configENS1_38merge_sort_block_merge_config_selectorIxNS0_10empty_typeEEEZZNS1_27merge_sort_block_merge_implIS3_N6thrust23THRUST_200600_302600_NS6detail15normal_iteratorINS9_10device_ptrIxEEEEPS5_m9comp_mod3IxEEE10hipError_tT0_T1_T2_jT3_P12ihipStream_tbPNSt15iterator_traitsISJ_E10value_typeEPNSP_ISK_E10value_typeEPSL_NS1_7vsmem_tEENKUlT_SJ_SK_SL_E_clIPxSE_SF_SF_EESI_SY_SJ_SK_SL_EUlSY_E0_NS1_11comp_targetILNS1_3genE3ELNS1_11target_archE908ELNS1_3gpuE7ELNS1_3repE0EEENS1_38merge_mergepath_config_static_selectorELNS0_4arch9wavefront6targetE0EEEvSK_
    .private_segment_fixed_size: 0
    .sgpr_count:     0
    .sgpr_spill_count: 0
    .symbol:         _ZN7rocprim17ROCPRIM_400000_NS6detail17trampoline_kernelINS0_14default_configENS1_38merge_sort_block_merge_config_selectorIxNS0_10empty_typeEEEZZNS1_27merge_sort_block_merge_implIS3_N6thrust23THRUST_200600_302600_NS6detail15normal_iteratorINS9_10device_ptrIxEEEEPS5_m9comp_mod3IxEEE10hipError_tT0_T1_T2_jT3_P12ihipStream_tbPNSt15iterator_traitsISJ_E10value_typeEPNSP_ISK_E10value_typeEPSL_NS1_7vsmem_tEENKUlT_SJ_SK_SL_E_clIPxSE_SF_SF_EESI_SY_SJ_SK_SL_EUlSY_E0_NS1_11comp_targetILNS1_3genE3ELNS1_11target_archE908ELNS1_3gpuE7ELNS1_3repE0EEENS1_38merge_mergepath_config_static_selectorELNS0_4arch9wavefront6targetE0EEEvSK_.kd
    .uniform_work_group_size: 1
    .uses_dynamic_stack: false
    .vgpr_count:     0
    .vgpr_spill_count: 0
    .wavefront_size: 32
    .workgroup_processor_mode: 1
  - .args:
      - .offset:         0
        .size:           80
        .value_kind:     by_value
    .group_segment_fixed_size: 0
    .kernarg_segment_align: 8
    .kernarg_segment_size: 80
    .language:       OpenCL C
    .language_version:
      - 2
      - 0
    .max_flat_workgroup_size: 256
    .name:           _ZN7rocprim17ROCPRIM_400000_NS6detail17trampoline_kernelINS0_14default_configENS1_38merge_sort_block_merge_config_selectorIxNS0_10empty_typeEEEZZNS1_27merge_sort_block_merge_implIS3_N6thrust23THRUST_200600_302600_NS6detail15normal_iteratorINS9_10device_ptrIxEEEEPS5_m9comp_mod3IxEEE10hipError_tT0_T1_T2_jT3_P12ihipStream_tbPNSt15iterator_traitsISJ_E10value_typeEPNSP_ISK_E10value_typeEPSL_NS1_7vsmem_tEENKUlT_SJ_SK_SL_E_clIPxSE_SF_SF_EESI_SY_SJ_SK_SL_EUlSY_E0_NS1_11comp_targetILNS1_3genE2ELNS1_11target_archE906ELNS1_3gpuE6ELNS1_3repE0EEENS1_38merge_mergepath_config_static_selectorELNS0_4arch9wavefront6targetE0EEEvSK_
    .private_segment_fixed_size: 0
    .sgpr_count:     0
    .sgpr_spill_count: 0
    .symbol:         _ZN7rocprim17ROCPRIM_400000_NS6detail17trampoline_kernelINS0_14default_configENS1_38merge_sort_block_merge_config_selectorIxNS0_10empty_typeEEEZZNS1_27merge_sort_block_merge_implIS3_N6thrust23THRUST_200600_302600_NS6detail15normal_iteratorINS9_10device_ptrIxEEEEPS5_m9comp_mod3IxEEE10hipError_tT0_T1_T2_jT3_P12ihipStream_tbPNSt15iterator_traitsISJ_E10value_typeEPNSP_ISK_E10value_typeEPSL_NS1_7vsmem_tEENKUlT_SJ_SK_SL_E_clIPxSE_SF_SF_EESI_SY_SJ_SK_SL_EUlSY_E0_NS1_11comp_targetILNS1_3genE2ELNS1_11target_archE906ELNS1_3gpuE6ELNS1_3repE0EEENS1_38merge_mergepath_config_static_selectorELNS0_4arch9wavefront6targetE0EEEvSK_.kd
    .uniform_work_group_size: 1
    .uses_dynamic_stack: false
    .vgpr_count:     0
    .vgpr_spill_count: 0
    .wavefront_size: 32
    .workgroup_processor_mode: 1
  - .args:
      - .offset:         0
        .size:           80
        .value_kind:     by_value
    .group_segment_fixed_size: 0
    .kernarg_segment_align: 8
    .kernarg_segment_size: 80
    .language:       OpenCL C
    .language_version:
      - 2
      - 0
    .max_flat_workgroup_size: 512
    .name:           _ZN7rocprim17ROCPRIM_400000_NS6detail17trampoline_kernelINS0_14default_configENS1_38merge_sort_block_merge_config_selectorIxNS0_10empty_typeEEEZZNS1_27merge_sort_block_merge_implIS3_N6thrust23THRUST_200600_302600_NS6detail15normal_iteratorINS9_10device_ptrIxEEEEPS5_m9comp_mod3IxEEE10hipError_tT0_T1_T2_jT3_P12ihipStream_tbPNSt15iterator_traitsISJ_E10value_typeEPNSP_ISK_E10value_typeEPSL_NS1_7vsmem_tEENKUlT_SJ_SK_SL_E_clIPxSE_SF_SF_EESI_SY_SJ_SK_SL_EUlSY_E0_NS1_11comp_targetILNS1_3genE9ELNS1_11target_archE1100ELNS1_3gpuE3ELNS1_3repE0EEENS1_38merge_mergepath_config_static_selectorELNS0_4arch9wavefront6targetE0EEEvSK_
    .private_segment_fixed_size: 0
    .sgpr_count:     0
    .sgpr_spill_count: 0
    .symbol:         _ZN7rocprim17ROCPRIM_400000_NS6detail17trampoline_kernelINS0_14default_configENS1_38merge_sort_block_merge_config_selectorIxNS0_10empty_typeEEEZZNS1_27merge_sort_block_merge_implIS3_N6thrust23THRUST_200600_302600_NS6detail15normal_iteratorINS9_10device_ptrIxEEEEPS5_m9comp_mod3IxEEE10hipError_tT0_T1_T2_jT3_P12ihipStream_tbPNSt15iterator_traitsISJ_E10value_typeEPNSP_ISK_E10value_typeEPSL_NS1_7vsmem_tEENKUlT_SJ_SK_SL_E_clIPxSE_SF_SF_EESI_SY_SJ_SK_SL_EUlSY_E0_NS1_11comp_targetILNS1_3genE9ELNS1_11target_archE1100ELNS1_3gpuE3ELNS1_3repE0EEENS1_38merge_mergepath_config_static_selectorELNS0_4arch9wavefront6targetE0EEEvSK_.kd
    .uniform_work_group_size: 1
    .uses_dynamic_stack: false
    .vgpr_count:     0
    .vgpr_spill_count: 0
    .wavefront_size: 32
    .workgroup_processor_mode: 1
  - .args:
      - .offset:         0
        .size:           80
        .value_kind:     by_value
      - .offset:         80
        .size:           4
        .value_kind:     hidden_block_count_x
      - .offset:         84
        .size:           4
        .value_kind:     hidden_block_count_y
      - .offset:         88
        .size:           4
        .value_kind:     hidden_block_count_z
      - .offset:         92
        .size:           2
        .value_kind:     hidden_group_size_x
      - .offset:         94
        .size:           2
        .value_kind:     hidden_group_size_y
      - .offset:         96
        .size:           2
        .value_kind:     hidden_group_size_z
      - .offset:         98
        .size:           2
        .value_kind:     hidden_remainder_x
      - .offset:         100
        .size:           2
        .value_kind:     hidden_remainder_y
      - .offset:         102
        .size:           2
        .value_kind:     hidden_remainder_z
      - .offset:         120
        .size:           8
        .value_kind:     hidden_global_offset_x
      - .offset:         128
        .size:           8
        .value_kind:     hidden_global_offset_y
      - .offset:         136
        .size:           8
        .value_kind:     hidden_global_offset_z
      - .offset:         144
        .size:           2
        .value_kind:     hidden_grid_dims
    .group_segment_fixed_size: 8208
    .kernarg_segment_align: 8
    .kernarg_segment_size: 336
    .language:       OpenCL C
    .language_version:
      - 2
      - 0
    .max_flat_workgroup_size: 1024
    .name:           _ZN7rocprim17ROCPRIM_400000_NS6detail17trampoline_kernelINS0_14default_configENS1_38merge_sort_block_merge_config_selectorIxNS0_10empty_typeEEEZZNS1_27merge_sort_block_merge_implIS3_N6thrust23THRUST_200600_302600_NS6detail15normal_iteratorINS9_10device_ptrIxEEEEPS5_m9comp_mod3IxEEE10hipError_tT0_T1_T2_jT3_P12ihipStream_tbPNSt15iterator_traitsISJ_E10value_typeEPNSP_ISK_E10value_typeEPSL_NS1_7vsmem_tEENKUlT_SJ_SK_SL_E_clIPxSE_SF_SF_EESI_SY_SJ_SK_SL_EUlSY_E0_NS1_11comp_targetILNS1_3genE8ELNS1_11target_archE1030ELNS1_3gpuE2ELNS1_3repE0EEENS1_38merge_mergepath_config_static_selectorELNS0_4arch9wavefront6targetE0EEEvSK_
    .private_segment_fixed_size: 0
    .sgpr_count:     26
    .sgpr_spill_count: 0
    .symbol:         _ZN7rocprim17ROCPRIM_400000_NS6detail17trampoline_kernelINS0_14default_configENS1_38merge_sort_block_merge_config_selectorIxNS0_10empty_typeEEEZZNS1_27merge_sort_block_merge_implIS3_N6thrust23THRUST_200600_302600_NS6detail15normal_iteratorINS9_10device_ptrIxEEEEPS5_m9comp_mod3IxEEE10hipError_tT0_T1_T2_jT3_P12ihipStream_tbPNSt15iterator_traitsISJ_E10value_typeEPNSP_ISK_E10value_typeEPSL_NS1_7vsmem_tEENKUlT_SJ_SK_SL_E_clIPxSE_SF_SF_EESI_SY_SJ_SK_SL_EUlSY_E0_NS1_11comp_targetILNS1_3genE8ELNS1_11target_archE1030ELNS1_3gpuE2ELNS1_3repE0EEENS1_38merge_mergepath_config_static_selectorELNS0_4arch9wavefront6targetE0EEEvSK_.kd
    .uniform_work_group_size: 1
    .uses_dynamic_stack: false
    .vgpr_count:     15
    .vgpr_spill_count: 0
    .wavefront_size: 32
    .workgroup_processor_mode: 1
  - .args:
      - .offset:         0
        .size:           56
        .value_kind:     by_value
    .group_segment_fixed_size: 0
    .kernarg_segment_align: 8
    .kernarg_segment_size: 56
    .language:       OpenCL C
    .language_version:
      - 2
      - 0
    .max_flat_workgroup_size: 256
    .name:           _ZN7rocprim17ROCPRIM_400000_NS6detail17trampoline_kernelINS0_14default_configENS1_38merge_sort_block_merge_config_selectorIxNS0_10empty_typeEEEZZNS1_27merge_sort_block_merge_implIS3_N6thrust23THRUST_200600_302600_NS6detail15normal_iteratorINS9_10device_ptrIxEEEEPS5_m9comp_mod3IxEEE10hipError_tT0_T1_T2_jT3_P12ihipStream_tbPNSt15iterator_traitsISJ_E10value_typeEPNSP_ISK_E10value_typeEPSL_NS1_7vsmem_tEENKUlT_SJ_SK_SL_E_clIPxSE_SF_SF_EESI_SY_SJ_SK_SL_EUlSY_E1_NS1_11comp_targetILNS1_3genE0ELNS1_11target_archE4294967295ELNS1_3gpuE0ELNS1_3repE0EEENS1_36merge_oddeven_config_static_selectorELNS0_4arch9wavefront6targetE0EEEvSK_
    .private_segment_fixed_size: 0
    .sgpr_count:     0
    .sgpr_spill_count: 0
    .symbol:         _ZN7rocprim17ROCPRIM_400000_NS6detail17trampoline_kernelINS0_14default_configENS1_38merge_sort_block_merge_config_selectorIxNS0_10empty_typeEEEZZNS1_27merge_sort_block_merge_implIS3_N6thrust23THRUST_200600_302600_NS6detail15normal_iteratorINS9_10device_ptrIxEEEEPS5_m9comp_mod3IxEEE10hipError_tT0_T1_T2_jT3_P12ihipStream_tbPNSt15iterator_traitsISJ_E10value_typeEPNSP_ISK_E10value_typeEPSL_NS1_7vsmem_tEENKUlT_SJ_SK_SL_E_clIPxSE_SF_SF_EESI_SY_SJ_SK_SL_EUlSY_E1_NS1_11comp_targetILNS1_3genE0ELNS1_11target_archE4294967295ELNS1_3gpuE0ELNS1_3repE0EEENS1_36merge_oddeven_config_static_selectorELNS0_4arch9wavefront6targetE0EEEvSK_.kd
    .uniform_work_group_size: 1
    .uses_dynamic_stack: false
    .vgpr_count:     0
    .vgpr_spill_count: 0
    .wavefront_size: 32
    .workgroup_processor_mode: 1
  - .args:
      - .offset:         0
        .size:           56
        .value_kind:     by_value
    .group_segment_fixed_size: 0
    .kernarg_segment_align: 8
    .kernarg_segment_size: 56
    .language:       OpenCL C
    .language_version:
      - 2
      - 0
    .max_flat_workgroup_size: 256
    .name:           _ZN7rocprim17ROCPRIM_400000_NS6detail17trampoline_kernelINS0_14default_configENS1_38merge_sort_block_merge_config_selectorIxNS0_10empty_typeEEEZZNS1_27merge_sort_block_merge_implIS3_N6thrust23THRUST_200600_302600_NS6detail15normal_iteratorINS9_10device_ptrIxEEEEPS5_m9comp_mod3IxEEE10hipError_tT0_T1_T2_jT3_P12ihipStream_tbPNSt15iterator_traitsISJ_E10value_typeEPNSP_ISK_E10value_typeEPSL_NS1_7vsmem_tEENKUlT_SJ_SK_SL_E_clIPxSE_SF_SF_EESI_SY_SJ_SK_SL_EUlSY_E1_NS1_11comp_targetILNS1_3genE10ELNS1_11target_archE1201ELNS1_3gpuE5ELNS1_3repE0EEENS1_36merge_oddeven_config_static_selectorELNS0_4arch9wavefront6targetE0EEEvSK_
    .private_segment_fixed_size: 0
    .sgpr_count:     0
    .sgpr_spill_count: 0
    .symbol:         _ZN7rocprim17ROCPRIM_400000_NS6detail17trampoline_kernelINS0_14default_configENS1_38merge_sort_block_merge_config_selectorIxNS0_10empty_typeEEEZZNS1_27merge_sort_block_merge_implIS3_N6thrust23THRUST_200600_302600_NS6detail15normal_iteratorINS9_10device_ptrIxEEEEPS5_m9comp_mod3IxEEE10hipError_tT0_T1_T2_jT3_P12ihipStream_tbPNSt15iterator_traitsISJ_E10value_typeEPNSP_ISK_E10value_typeEPSL_NS1_7vsmem_tEENKUlT_SJ_SK_SL_E_clIPxSE_SF_SF_EESI_SY_SJ_SK_SL_EUlSY_E1_NS1_11comp_targetILNS1_3genE10ELNS1_11target_archE1201ELNS1_3gpuE5ELNS1_3repE0EEENS1_36merge_oddeven_config_static_selectorELNS0_4arch9wavefront6targetE0EEEvSK_.kd
    .uniform_work_group_size: 1
    .uses_dynamic_stack: false
    .vgpr_count:     0
    .vgpr_spill_count: 0
    .wavefront_size: 32
    .workgroup_processor_mode: 1
  - .args:
      - .offset:         0
        .size:           56
        .value_kind:     by_value
    .group_segment_fixed_size: 0
    .kernarg_segment_align: 8
    .kernarg_segment_size: 56
    .language:       OpenCL C
    .language_version:
      - 2
      - 0
    .max_flat_workgroup_size: 256
    .name:           _ZN7rocprim17ROCPRIM_400000_NS6detail17trampoline_kernelINS0_14default_configENS1_38merge_sort_block_merge_config_selectorIxNS0_10empty_typeEEEZZNS1_27merge_sort_block_merge_implIS3_N6thrust23THRUST_200600_302600_NS6detail15normal_iteratorINS9_10device_ptrIxEEEEPS5_m9comp_mod3IxEEE10hipError_tT0_T1_T2_jT3_P12ihipStream_tbPNSt15iterator_traitsISJ_E10value_typeEPNSP_ISK_E10value_typeEPSL_NS1_7vsmem_tEENKUlT_SJ_SK_SL_E_clIPxSE_SF_SF_EESI_SY_SJ_SK_SL_EUlSY_E1_NS1_11comp_targetILNS1_3genE5ELNS1_11target_archE942ELNS1_3gpuE9ELNS1_3repE0EEENS1_36merge_oddeven_config_static_selectorELNS0_4arch9wavefront6targetE0EEEvSK_
    .private_segment_fixed_size: 0
    .sgpr_count:     0
    .sgpr_spill_count: 0
    .symbol:         _ZN7rocprim17ROCPRIM_400000_NS6detail17trampoline_kernelINS0_14default_configENS1_38merge_sort_block_merge_config_selectorIxNS0_10empty_typeEEEZZNS1_27merge_sort_block_merge_implIS3_N6thrust23THRUST_200600_302600_NS6detail15normal_iteratorINS9_10device_ptrIxEEEEPS5_m9comp_mod3IxEEE10hipError_tT0_T1_T2_jT3_P12ihipStream_tbPNSt15iterator_traitsISJ_E10value_typeEPNSP_ISK_E10value_typeEPSL_NS1_7vsmem_tEENKUlT_SJ_SK_SL_E_clIPxSE_SF_SF_EESI_SY_SJ_SK_SL_EUlSY_E1_NS1_11comp_targetILNS1_3genE5ELNS1_11target_archE942ELNS1_3gpuE9ELNS1_3repE0EEENS1_36merge_oddeven_config_static_selectorELNS0_4arch9wavefront6targetE0EEEvSK_.kd
    .uniform_work_group_size: 1
    .uses_dynamic_stack: false
    .vgpr_count:     0
    .vgpr_spill_count: 0
    .wavefront_size: 32
    .workgroup_processor_mode: 1
  - .args:
      - .offset:         0
        .size:           56
        .value_kind:     by_value
    .group_segment_fixed_size: 0
    .kernarg_segment_align: 8
    .kernarg_segment_size: 56
    .language:       OpenCL C
    .language_version:
      - 2
      - 0
    .max_flat_workgroup_size: 256
    .name:           _ZN7rocprim17ROCPRIM_400000_NS6detail17trampoline_kernelINS0_14default_configENS1_38merge_sort_block_merge_config_selectorIxNS0_10empty_typeEEEZZNS1_27merge_sort_block_merge_implIS3_N6thrust23THRUST_200600_302600_NS6detail15normal_iteratorINS9_10device_ptrIxEEEEPS5_m9comp_mod3IxEEE10hipError_tT0_T1_T2_jT3_P12ihipStream_tbPNSt15iterator_traitsISJ_E10value_typeEPNSP_ISK_E10value_typeEPSL_NS1_7vsmem_tEENKUlT_SJ_SK_SL_E_clIPxSE_SF_SF_EESI_SY_SJ_SK_SL_EUlSY_E1_NS1_11comp_targetILNS1_3genE4ELNS1_11target_archE910ELNS1_3gpuE8ELNS1_3repE0EEENS1_36merge_oddeven_config_static_selectorELNS0_4arch9wavefront6targetE0EEEvSK_
    .private_segment_fixed_size: 0
    .sgpr_count:     0
    .sgpr_spill_count: 0
    .symbol:         _ZN7rocprim17ROCPRIM_400000_NS6detail17trampoline_kernelINS0_14default_configENS1_38merge_sort_block_merge_config_selectorIxNS0_10empty_typeEEEZZNS1_27merge_sort_block_merge_implIS3_N6thrust23THRUST_200600_302600_NS6detail15normal_iteratorINS9_10device_ptrIxEEEEPS5_m9comp_mod3IxEEE10hipError_tT0_T1_T2_jT3_P12ihipStream_tbPNSt15iterator_traitsISJ_E10value_typeEPNSP_ISK_E10value_typeEPSL_NS1_7vsmem_tEENKUlT_SJ_SK_SL_E_clIPxSE_SF_SF_EESI_SY_SJ_SK_SL_EUlSY_E1_NS1_11comp_targetILNS1_3genE4ELNS1_11target_archE910ELNS1_3gpuE8ELNS1_3repE0EEENS1_36merge_oddeven_config_static_selectorELNS0_4arch9wavefront6targetE0EEEvSK_.kd
    .uniform_work_group_size: 1
    .uses_dynamic_stack: false
    .vgpr_count:     0
    .vgpr_spill_count: 0
    .wavefront_size: 32
    .workgroup_processor_mode: 1
  - .args:
      - .offset:         0
        .size:           56
        .value_kind:     by_value
    .group_segment_fixed_size: 0
    .kernarg_segment_align: 8
    .kernarg_segment_size: 56
    .language:       OpenCL C
    .language_version:
      - 2
      - 0
    .max_flat_workgroup_size: 256
    .name:           _ZN7rocprim17ROCPRIM_400000_NS6detail17trampoline_kernelINS0_14default_configENS1_38merge_sort_block_merge_config_selectorIxNS0_10empty_typeEEEZZNS1_27merge_sort_block_merge_implIS3_N6thrust23THRUST_200600_302600_NS6detail15normal_iteratorINS9_10device_ptrIxEEEEPS5_m9comp_mod3IxEEE10hipError_tT0_T1_T2_jT3_P12ihipStream_tbPNSt15iterator_traitsISJ_E10value_typeEPNSP_ISK_E10value_typeEPSL_NS1_7vsmem_tEENKUlT_SJ_SK_SL_E_clIPxSE_SF_SF_EESI_SY_SJ_SK_SL_EUlSY_E1_NS1_11comp_targetILNS1_3genE3ELNS1_11target_archE908ELNS1_3gpuE7ELNS1_3repE0EEENS1_36merge_oddeven_config_static_selectorELNS0_4arch9wavefront6targetE0EEEvSK_
    .private_segment_fixed_size: 0
    .sgpr_count:     0
    .sgpr_spill_count: 0
    .symbol:         _ZN7rocprim17ROCPRIM_400000_NS6detail17trampoline_kernelINS0_14default_configENS1_38merge_sort_block_merge_config_selectorIxNS0_10empty_typeEEEZZNS1_27merge_sort_block_merge_implIS3_N6thrust23THRUST_200600_302600_NS6detail15normal_iteratorINS9_10device_ptrIxEEEEPS5_m9comp_mod3IxEEE10hipError_tT0_T1_T2_jT3_P12ihipStream_tbPNSt15iterator_traitsISJ_E10value_typeEPNSP_ISK_E10value_typeEPSL_NS1_7vsmem_tEENKUlT_SJ_SK_SL_E_clIPxSE_SF_SF_EESI_SY_SJ_SK_SL_EUlSY_E1_NS1_11comp_targetILNS1_3genE3ELNS1_11target_archE908ELNS1_3gpuE7ELNS1_3repE0EEENS1_36merge_oddeven_config_static_selectorELNS0_4arch9wavefront6targetE0EEEvSK_.kd
    .uniform_work_group_size: 1
    .uses_dynamic_stack: false
    .vgpr_count:     0
    .vgpr_spill_count: 0
    .wavefront_size: 32
    .workgroup_processor_mode: 1
  - .args:
      - .offset:         0
        .size:           56
        .value_kind:     by_value
    .group_segment_fixed_size: 0
    .kernarg_segment_align: 8
    .kernarg_segment_size: 56
    .language:       OpenCL C
    .language_version:
      - 2
      - 0
    .max_flat_workgroup_size: 256
    .name:           _ZN7rocprim17ROCPRIM_400000_NS6detail17trampoline_kernelINS0_14default_configENS1_38merge_sort_block_merge_config_selectorIxNS0_10empty_typeEEEZZNS1_27merge_sort_block_merge_implIS3_N6thrust23THRUST_200600_302600_NS6detail15normal_iteratorINS9_10device_ptrIxEEEEPS5_m9comp_mod3IxEEE10hipError_tT0_T1_T2_jT3_P12ihipStream_tbPNSt15iterator_traitsISJ_E10value_typeEPNSP_ISK_E10value_typeEPSL_NS1_7vsmem_tEENKUlT_SJ_SK_SL_E_clIPxSE_SF_SF_EESI_SY_SJ_SK_SL_EUlSY_E1_NS1_11comp_targetILNS1_3genE2ELNS1_11target_archE906ELNS1_3gpuE6ELNS1_3repE0EEENS1_36merge_oddeven_config_static_selectorELNS0_4arch9wavefront6targetE0EEEvSK_
    .private_segment_fixed_size: 0
    .sgpr_count:     0
    .sgpr_spill_count: 0
    .symbol:         _ZN7rocprim17ROCPRIM_400000_NS6detail17trampoline_kernelINS0_14default_configENS1_38merge_sort_block_merge_config_selectorIxNS0_10empty_typeEEEZZNS1_27merge_sort_block_merge_implIS3_N6thrust23THRUST_200600_302600_NS6detail15normal_iteratorINS9_10device_ptrIxEEEEPS5_m9comp_mod3IxEEE10hipError_tT0_T1_T2_jT3_P12ihipStream_tbPNSt15iterator_traitsISJ_E10value_typeEPNSP_ISK_E10value_typeEPSL_NS1_7vsmem_tEENKUlT_SJ_SK_SL_E_clIPxSE_SF_SF_EESI_SY_SJ_SK_SL_EUlSY_E1_NS1_11comp_targetILNS1_3genE2ELNS1_11target_archE906ELNS1_3gpuE6ELNS1_3repE0EEENS1_36merge_oddeven_config_static_selectorELNS0_4arch9wavefront6targetE0EEEvSK_.kd
    .uniform_work_group_size: 1
    .uses_dynamic_stack: false
    .vgpr_count:     0
    .vgpr_spill_count: 0
    .wavefront_size: 32
    .workgroup_processor_mode: 1
  - .args:
      - .offset:         0
        .size:           56
        .value_kind:     by_value
    .group_segment_fixed_size: 0
    .kernarg_segment_align: 8
    .kernarg_segment_size: 56
    .language:       OpenCL C
    .language_version:
      - 2
      - 0
    .max_flat_workgroup_size: 256
    .name:           _ZN7rocprim17ROCPRIM_400000_NS6detail17trampoline_kernelINS0_14default_configENS1_38merge_sort_block_merge_config_selectorIxNS0_10empty_typeEEEZZNS1_27merge_sort_block_merge_implIS3_N6thrust23THRUST_200600_302600_NS6detail15normal_iteratorINS9_10device_ptrIxEEEEPS5_m9comp_mod3IxEEE10hipError_tT0_T1_T2_jT3_P12ihipStream_tbPNSt15iterator_traitsISJ_E10value_typeEPNSP_ISK_E10value_typeEPSL_NS1_7vsmem_tEENKUlT_SJ_SK_SL_E_clIPxSE_SF_SF_EESI_SY_SJ_SK_SL_EUlSY_E1_NS1_11comp_targetILNS1_3genE9ELNS1_11target_archE1100ELNS1_3gpuE3ELNS1_3repE0EEENS1_36merge_oddeven_config_static_selectorELNS0_4arch9wavefront6targetE0EEEvSK_
    .private_segment_fixed_size: 0
    .sgpr_count:     0
    .sgpr_spill_count: 0
    .symbol:         _ZN7rocprim17ROCPRIM_400000_NS6detail17trampoline_kernelINS0_14default_configENS1_38merge_sort_block_merge_config_selectorIxNS0_10empty_typeEEEZZNS1_27merge_sort_block_merge_implIS3_N6thrust23THRUST_200600_302600_NS6detail15normal_iteratorINS9_10device_ptrIxEEEEPS5_m9comp_mod3IxEEE10hipError_tT0_T1_T2_jT3_P12ihipStream_tbPNSt15iterator_traitsISJ_E10value_typeEPNSP_ISK_E10value_typeEPSL_NS1_7vsmem_tEENKUlT_SJ_SK_SL_E_clIPxSE_SF_SF_EESI_SY_SJ_SK_SL_EUlSY_E1_NS1_11comp_targetILNS1_3genE9ELNS1_11target_archE1100ELNS1_3gpuE3ELNS1_3repE0EEENS1_36merge_oddeven_config_static_selectorELNS0_4arch9wavefront6targetE0EEEvSK_.kd
    .uniform_work_group_size: 1
    .uses_dynamic_stack: false
    .vgpr_count:     0
    .vgpr_spill_count: 0
    .wavefront_size: 32
    .workgroup_processor_mode: 1
  - .args:
      - .offset:         0
        .size:           56
        .value_kind:     by_value
    .group_segment_fixed_size: 0
    .kernarg_segment_align: 8
    .kernarg_segment_size: 56
    .language:       OpenCL C
    .language_version:
      - 2
      - 0
    .max_flat_workgroup_size: 256
    .name:           _ZN7rocprim17ROCPRIM_400000_NS6detail17trampoline_kernelINS0_14default_configENS1_38merge_sort_block_merge_config_selectorIxNS0_10empty_typeEEEZZNS1_27merge_sort_block_merge_implIS3_N6thrust23THRUST_200600_302600_NS6detail15normal_iteratorINS9_10device_ptrIxEEEEPS5_m9comp_mod3IxEEE10hipError_tT0_T1_T2_jT3_P12ihipStream_tbPNSt15iterator_traitsISJ_E10value_typeEPNSP_ISK_E10value_typeEPSL_NS1_7vsmem_tEENKUlT_SJ_SK_SL_E_clIPxSE_SF_SF_EESI_SY_SJ_SK_SL_EUlSY_E1_NS1_11comp_targetILNS1_3genE8ELNS1_11target_archE1030ELNS1_3gpuE2ELNS1_3repE0EEENS1_36merge_oddeven_config_static_selectorELNS0_4arch9wavefront6targetE0EEEvSK_
    .private_segment_fixed_size: 0
    .sgpr_count:     20
    .sgpr_spill_count: 0
    .symbol:         _ZN7rocprim17ROCPRIM_400000_NS6detail17trampoline_kernelINS0_14default_configENS1_38merge_sort_block_merge_config_selectorIxNS0_10empty_typeEEEZZNS1_27merge_sort_block_merge_implIS3_N6thrust23THRUST_200600_302600_NS6detail15normal_iteratorINS9_10device_ptrIxEEEEPS5_m9comp_mod3IxEEE10hipError_tT0_T1_T2_jT3_P12ihipStream_tbPNSt15iterator_traitsISJ_E10value_typeEPNSP_ISK_E10value_typeEPSL_NS1_7vsmem_tEENKUlT_SJ_SK_SL_E_clIPxSE_SF_SF_EESI_SY_SJ_SK_SL_EUlSY_E1_NS1_11comp_targetILNS1_3genE8ELNS1_11target_archE1030ELNS1_3gpuE2ELNS1_3repE0EEENS1_36merge_oddeven_config_static_selectorELNS0_4arch9wavefront6targetE0EEEvSK_.kd
    .uniform_work_group_size: 1
    .uses_dynamic_stack: false
    .vgpr_count:     15
    .vgpr_spill_count: 0
    .wavefront_size: 32
    .workgroup_processor_mode: 1
  - .args:
      - .offset:         0
        .size:           48
        .value_kind:     by_value
    .group_segment_fixed_size: 0
    .kernarg_segment_align: 8
    .kernarg_segment_size: 48
    .language:       OpenCL C
    .language_version:
      - 2
      - 0
    .max_flat_workgroup_size: 128
    .name:           _ZN7rocprim17ROCPRIM_400000_NS6detail17trampoline_kernelINS0_14default_configENS1_38merge_sort_block_merge_config_selectorIxNS0_10empty_typeEEEZZNS1_27merge_sort_block_merge_implIS3_N6thrust23THRUST_200600_302600_NS6detail15normal_iteratorINS9_10device_ptrIxEEEEPS5_m9comp_mod3IxEEE10hipError_tT0_T1_T2_jT3_P12ihipStream_tbPNSt15iterator_traitsISJ_E10value_typeEPNSP_ISK_E10value_typeEPSL_NS1_7vsmem_tEENKUlT_SJ_SK_SL_E_clISE_PxSF_SF_EESI_SY_SJ_SK_SL_EUlSY_E_NS1_11comp_targetILNS1_3genE0ELNS1_11target_archE4294967295ELNS1_3gpuE0ELNS1_3repE0EEENS1_48merge_mergepath_partition_config_static_selectorELNS0_4arch9wavefront6targetE0EEEvSK_
    .private_segment_fixed_size: 0
    .sgpr_count:     0
    .sgpr_spill_count: 0
    .symbol:         _ZN7rocprim17ROCPRIM_400000_NS6detail17trampoline_kernelINS0_14default_configENS1_38merge_sort_block_merge_config_selectorIxNS0_10empty_typeEEEZZNS1_27merge_sort_block_merge_implIS3_N6thrust23THRUST_200600_302600_NS6detail15normal_iteratorINS9_10device_ptrIxEEEEPS5_m9comp_mod3IxEEE10hipError_tT0_T1_T2_jT3_P12ihipStream_tbPNSt15iterator_traitsISJ_E10value_typeEPNSP_ISK_E10value_typeEPSL_NS1_7vsmem_tEENKUlT_SJ_SK_SL_E_clISE_PxSF_SF_EESI_SY_SJ_SK_SL_EUlSY_E_NS1_11comp_targetILNS1_3genE0ELNS1_11target_archE4294967295ELNS1_3gpuE0ELNS1_3repE0EEENS1_48merge_mergepath_partition_config_static_selectorELNS0_4arch9wavefront6targetE0EEEvSK_.kd
    .uniform_work_group_size: 1
    .uses_dynamic_stack: false
    .vgpr_count:     0
    .vgpr_spill_count: 0
    .wavefront_size: 32
    .workgroup_processor_mode: 1
  - .args:
      - .offset:         0
        .size:           48
        .value_kind:     by_value
    .group_segment_fixed_size: 0
    .kernarg_segment_align: 8
    .kernarg_segment_size: 48
    .language:       OpenCL C
    .language_version:
      - 2
      - 0
    .max_flat_workgroup_size: 128
    .name:           _ZN7rocprim17ROCPRIM_400000_NS6detail17trampoline_kernelINS0_14default_configENS1_38merge_sort_block_merge_config_selectorIxNS0_10empty_typeEEEZZNS1_27merge_sort_block_merge_implIS3_N6thrust23THRUST_200600_302600_NS6detail15normal_iteratorINS9_10device_ptrIxEEEEPS5_m9comp_mod3IxEEE10hipError_tT0_T1_T2_jT3_P12ihipStream_tbPNSt15iterator_traitsISJ_E10value_typeEPNSP_ISK_E10value_typeEPSL_NS1_7vsmem_tEENKUlT_SJ_SK_SL_E_clISE_PxSF_SF_EESI_SY_SJ_SK_SL_EUlSY_E_NS1_11comp_targetILNS1_3genE10ELNS1_11target_archE1201ELNS1_3gpuE5ELNS1_3repE0EEENS1_48merge_mergepath_partition_config_static_selectorELNS0_4arch9wavefront6targetE0EEEvSK_
    .private_segment_fixed_size: 0
    .sgpr_count:     0
    .sgpr_spill_count: 0
    .symbol:         _ZN7rocprim17ROCPRIM_400000_NS6detail17trampoline_kernelINS0_14default_configENS1_38merge_sort_block_merge_config_selectorIxNS0_10empty_typeEEEZZNS1_27merge_sort_block_merge_implIS3_N6thrust23THRUST_200600_302600_NS6detail15normal_iteratorINS9_10device_ptrIxEEEEPS5_m9comp_mod3IxEEE10hipError_tT0_T1_T2_jT3_P12ihipStream_tbPNSt15iterator_traitsISJ_E10value_typeEPNSP_ISK_E10value_typeEPSL_NS1_7vsmem_tEENKUlT_SJ_SK_SL_E_clISE_PxSF_SF_EESI_SY_SJ_SK_SL_EUlSY_E_NS1_11comp_targetILNS1_3genE10ELNS1_11target_archE1201ELNS1_3gpuE5ELNS1_3repE0EEENS1_48merge_mergepath_partition_config_static_selectorELNS0_4arch9wavefront6targetE0EEEvSK_.kd
    .uniform_work_group_size: 1
    .uses_dynamic_stack: false
    .vgpr_count:     0
    .vgpr_spill_count: 0
    .wavefront_size: 32
    .workgroup_processor_mode: 1
  - .args:
      - .offset:         0
        .size:           48
        .value_kind:     by_value
    .group_segment_fixed_size: 0
    .kernarg_segment_align: 8
    .kernarg_segment_size: 48
    .language:       OpenCL C
    .language_version:
      - 2
      - 0
    .max_flat_workgroup_size: 128
    .name:           _ZN7rocprim17ROCPRIM_400000_NS6detail17trampoline_kernelINS0_14default_configENS1_38merge_sort_block_merge_config_selectorIxNS0_10empty_typeEEEZZNS1_27merge_sort_block_merge_implIS3_N6thrust23THRUST_200600_302600_NS6detail15normal_iteratorINS9_10device_ptrIxEEEEPS5_m9comp_mod3IxEEE10hipError_tT0_T1_T2_jT3_P12ihipStream_tbPNSt15iterator_traitsISJ_E10value_typeEPNSP_ISK_E10value_typeEPSL_NS1_7vsmem_tEENKUlT_SJ_SK_SL_E_clISE_PxSF_SF_EESI_SY_SJ_SK_SL_EUlSY_E_NS1_11comp_targetILNS1_3genE5ELNS1_11target_archE942ELNS1_3gpuE9ELNS1_3repE0EEENS1_48merge_mergepath_partition_config_static_selectorELNS0_4arch9wavefront6targetE0EEEvSK_
    .private_segment_fixed_size: 0
    .sgpr_count:     0
    .sgpr_spill_count: 0
    .symbol:         _ZN7rocprim17ROCPRIM_400000_NS6detail17trampoline_kernelINS0_14default_configENS1_38merge_sort_block_merge_config_selectorIxNS0_10empty_typeEEEZZNS1_27merge_sort_block_merge_implIS3_N6thrust23THRUST_200600_302600_NS6detail15normal_iteratorINS9_10device_ptrIxEEEEPS5_m9comp_mod3IxEEE10hipError_tT0_T1_T2_jT3_P12ihipStream_tbPNSt15iterator_traitsISJ_E10value_typeEPNSP_ISK_E10value_typeEPSL_NS1_7vsmem_tEENKUlT_SJ_SK_SL_E_clISE_PxSF_SF_EESI_SY_SJ_SK_SL_EUlSY_E_NS1_11comp_targetILNS1_3genE5ELNS1_11target_archE942ELNS1_3gpuE9ELNS1_3repE0EEENS1_48merge_mergepath_partition_config_static_selectorELNS0_4arch9wavefront6targetE0EEEvSK_.kd
    .uniform_work_group_size: 1
    .uses_dynamic_stack: false
    .vgpr_count:     0
    .vgpr_spill_count: 0
    .wavefront_size: 32
    .workgroup_processor_mode: 1
  - .args:
      - .offset:         0
        .size:           48
        .value_kind:     by_value
    .group_segment_fixed_size: 0
    .kernarg_segment_align: 8
    .kernarg_segment_size: 48
    .language:       OpenCL C
    .language_version:
      - 2
      - 0
    .max_flat_workgroup_size: 128
    .name:           _ZN7rocprim17ROCPRIM_400000_NS6detail17trampoline_kernelINS0_14default_configENS1_38merge_sort_block_merge_config_selectorIxNS0_10empty_typeEEEZZNS1_27merge_sort_block_merge_implIS3_N6thrust23THRUST_200600_302600_NS6detail15normal_iteratorINS9_10device_ptrIxEEEEPS5_m9comp_mod3IxEEE10hipError_tT0_T1_T2_jT3_P12ihipStream_tbPNSt15iterator_traitsISJ_E10value_typeEPNSP_ISK_E10value_typeEPSL_NS1_7vsmem_tEENKUlT_SJ_SK_SL_E_clISE_PxSF_SF_EESI_SY_SJ_SK_SL_EUlSY_E_NS1_11comp_targetILNS1_3genE4ELNS1_11target_archE910ELNS1_3gpuE8ELNS1_3repE0EEENS1_48merge_mergepath_partition_config_static_selectorELNS0_4arch9wavefront6targetE0EEEvSK_
    .private_segment_fixed_size: 0
    .sgpr_count:     0
    .sgpr_spill_count: 0
    .symbol:         _ZN7rocprim17ROCPRIM_400000_NS6detail17trampoline_kernelINS0_14default_configENS1_38merge_sort_block_merge_config_selectorIxNS0_10empty_typeEEEZZNS1_27merge_sort_block_merge_implIS3_N6thrust23THRUST_200600_302600_NS6detail15normal_iteratorINS9_10device_ptrIxEEEEPS5_m9comp_mod3IxEEE10hipError_tT0_T1_T2_jT3_P12ihipStream_tbPNSt15iterator_traitsISJ_E10value_typeEPNSP_ISK_E10value_typeEPSL_NS1_7vsmem_tEENKUlT_SJ_SK_SL_E_clISE_PxSF_SF_EESI_SY_SJ_SK_SL_EUlSY_E_NS1_11comp_targetILNS1_3genE4ELNS1_11target_archE910ELNS1_3gpuE8ELNS1_3repE0EEENS1_48merge_mergepath_partition_config_static_selectorELNS0_4arch9wavefront6targetE0EEEvSK_.kd
    .uniform_work_group_size: 1
    .uses_dynamic_stack: false
    .vgpr_count:     0
    .vgpr_spill_count: 0
    .wavefront_size: 32
    .workgroup_processor_mode: 1
  - .args:
      - .offset:         0
        .size:           48
        .value_kind:     by_value
    .group_segment_fixed_size: 0
    .kernarg_segment_align: 8
    .kernarg_segment_size: 48
    .language:       OpenCL C
    .language_version:
      - 2
      - 0
    .max_flat_workgroup_size: 128
    .name:           _ZN7rocprim17ROCPRIM_400000_NS6detail17trampoline_kernelINS0_14default_configENS1_38merge_sort_block_merge_config_selectorIxNS0_10empty_typeEEEZZNS1_27merge_sort_block_merge_implIS3_N6thrust23THRUST_200600_302600_NS6detail15normal_iteratorINS9_10device_ptrIxEEEEPS5_m9comp_mod3IxEEE10hipError_tT0_T1_T2_jT3_P12ihipStream_tbPNSt15iterator_traitsISJ_E10value_typeEPNSP_ISK_E10value_typeEPSL_NS1_7vsmem_tEENKUlT_SJ_SK_SL_E_clISE_PxSF_SF_EESI_SY_SJ_SK_SL_EUlSY_E_NS1_11comp_targetILNS1_3genE3ELNS1_11target_archE908ELNS1_3gpuE7ELNS1_3repE0EEENS1_48merge_mergepath_partition_config_static_selectorELNS0_4arch9wavefront6targetE0EEEvSK_
    .private_segment_fixed_size: 0
    .sgpr_count:     0
    .sgpr_spill_count: 0
    .symbol:         _ZN7rocprim17ROCPRIM_400000_NS6detail17trampoline_kernelINS0_14default_configENS1_38merge_sort_block_merge_config_selectorIxNS0_10empty_typeEEEZZNS1_27merge_sort_block_merge_implIS3_N6thrust23THRUST_200600_302600_NS6detail15normal_iteratorINS9_10device_ptrIxEEEEPS5_m9comp_mod3IxEEE10hipError_tT0_T1_T2_jT3_P12ihipStream_tbPNSt15iterator_traitsISJ_E10value_typeEPNSP_ISK_E10value_typeEPSL_NS1_7vsmem_tEENKUlT_SJ_SK_SL_E_clISE_PxSF_SF_EESI_SY_SJ_SK_SL_EUlSY_E_NS1_11comp_targetILNS1_3genE3ELNS1_11target_archE908ELNS1_3gpuE7ELNS1_3repE0EEENS1_48merge_mergepath_partition_config_static_selectorELNS0_4arch9wavefront6targetE0EEEvSK_.kd
    .uniform_work_group_size: 1
    .uses_dynamic_stack: false
    .vgpr_count:     0
    .vgpr_spill_count: 0
    .wavefront_size: 32
    .workgroup_processor_mode: 1
  - .args:
      - .offset:         0
        .size:           48
        .value_kind:     by_value
    .group_segment_fixed_size: 0
    .kernarg_segment_align: 8
    .kernarg_segment_size: 48
    .language:       OpenCL C
    .language_version:
      - 2
      - 0
    .max_flat_workgroup_size: 128
    .name:           _ZN7rocprim17ROCPRIM_400000_NS6detail17trampoline_kernelINS0_14default_configENS1_38merge_sort_block_merge_config_selectorIxNS0_10empty_typeEEEZZNS1_27merge_sort_block_merge_implIS3_N6thrust23THRUST_200600_302600_NS6detail15normal_iteratorINS9_10device_ptrIxEEEEPS5_m9comp_mod3IxEEE10hipError_tT0_T1_T2_jT3_P12ihipStream_tbPNSt15iterator_traitsISJ_E10value_typeEPNSP_ISK_E10value_typeEPSL_NS1_7vsmem_tEENKUlT_SJ_SK_SL_E_clISE_PxSF_SF_EESI_SY_SJ_SK_SL_EUlSY_E_NS1_11comp_targetILNS1_3genE2ELNS1_11target_archE906ELNS1_3gpuE6ELNS1_3repE0EEENS1_48merge_mergepath_partition_config_static_selectorELNS0_4arch9wavefront6targetE0EEEvSK_
    .private_segment_fixed_size: 0
    .sgpr_count:     0
    .sgpr_spill_count: 0
    .symbol:         _ZN7rocprim17ROCPRIM_400000_NS6detail17trampoline_kernelINS0_14default_configENS1_38merge_sort_block_merge_config_selectorIxNS0_10empty_typeEEEZZNS1_27merge_sort_block_merge_implIS3_N6thrust23THRUST_200600_302600_NS6detail15normal_iteratorINS9_10device_ptrIxEEEEPS5_m9comp_mod3IxEEE10hipError_tT0_T1_T2_jT3_P12ihipStream_tbPNSt15iterator_traitsISJ_E10value_typeEPNSP_ISK_E10value_typeEPSL_NS1_7vsmem_tEENKUlT_SJ_SK_SL_E_clISE_PxSF_SF_EESI_SY_SJ_SK_SL_EUlSY_E_NS1_11comp_targetILNS1_3genE2ELNS1_11target_archE906ELNS1_3gpuE6ELNS1_3repE0EEENS1_48merge_mergepath_partition_config_static_selectorELNS0_4arch9wavefront6targetE0EEEvSK_.kd
    .uniform_work_group_size: 1
    .uses_dynamic_stack: false
    .vgpr_count:     0
    .vgpr_spill_count: 0
    .wavefront_size: 32
    .workgroup_processor_mode: 1
  - .args:
      - .offset:         0
        .size:           48
        .value_kind:     by_value
    .group_segment_fixed_size: 0
    .kernarg_segment_align: 8
    .kernarg_segment_size: 48
    .language:       OpenCL C
    .language_version:
      - 2
      - 0
    .max_flat_workgroup_size: 128
    .name:           _ZN7rocprim17ROCPRIM_400000_NS6detail17trampoline_kernelINS0_14default_configENS1_38merge_sort_block_merge_config_selectorIxNS0_10empty_typeEEEZZNS1_27merge_sort_block_merge_implIS3_N6thrust23THRUST_200600_302600_NS6detail15normal_iteratorINS9_10device_ptrIxEEEEPS5_m9comp_mod3IxEEE10hipError_tT0_T1_T2_jT3_P12ihipStream_tbPNSt15iterator_traitsISJ_E10value_typeEPNSP_ISK_E10value_typeEPSL_NS1_7vsmem_tEENKUlT_SJ_SK_SL_E_clISE_PxSF_SF_EESI_SY_SJ_SK_SL_EUlSY_E_NS1_11comp_targetILNS1_3genE9ELNS1_11target_archE1100ELNS1_3gpuE3ELNS1_3repE0EEENS1_48merge_mergepath_partition_config_static_selectorELNS0_4arch9wavefront6targetE0EEEvSK_
    .private_segment_fixed_size: 0
    .sgpr_count:     0
    .sgpr_spill_count: 0
    .symbol:         _ZN7rocprim17ROCPRIM_400000_NS6detail17trampoline_kernelINS0_14default_configENS1_38merge_sort_block_merge_config_selectorIxNS0_10empty_typeEEEZZNS1_27merge_sort_block_merge_implIS3_N6thrust23THRUST_200600_302600_NS6detail15normal_iteratorINS9_10device_ptrIxEEEEPS5_m9comp_mod3IxEEE10hipError_tT0_T1_T2_jT3_P12ihipStream_tbPNSt15iterator_traitsISJ_E10value_typeEPNSP_ISK_E10value_typeEPSL_NS1_7vsmem_tEENKUlT_SJ_SK_SL_E_clISE_PxSF_SF_EESI_SY_SJ_SK_SL_EUlSY_E_NS1_11comp_targetILNS1_3genE9ELNS1_11target_archE1100ELNS1_3gpuE3ELNS1_3repE0EEENS1_48merge_mergepath_partition_config_static_selectorELNS0_4arch9wavefront6targetE0EEEvSK_.kd
    .uniform_work_group_size: 1
    .uses_dynamic_stack: false
    .vgpr_count:     0
    .vgpr_spill_count: 0
    .wavefront_size: 32
    .workgroup_processor_mode: 1
  - .args:
      - .offset:         0
        .size:           48
        .value_kind:     by_value
    .group_segment_fixed_size: 0
    .kernarg_segment_align: 8
    .kernarg_segment_size: 48
    .language:       OpenCL C
    .language_version:
      - 2
      - 0
    .max_flat_workgroup_size: 128
    .name:           _ZN7rocprim17ROCPRIM_400000_NS6detail17trampoline_kernelINS0_14default_configENS1_38merge_sort_block_merge_config_selectorIxNS0_10empty_typeEEEZZNS1_27merge_sort_block_merge_implIS3_N6thrust23THRUST_200600_302600_NS6detail15normal_iteratorINS9_10device_ptrIxEEEEPS5_m9comp_mod3IxEEE10hipError_tT0_T1_T2_jT3_P12ihipStream_tbPNSt15iterator_traitsISJ_E10value_typeEPNSP_ISK_E10value_typeEPSL_NS1_7vsmem_tEENKUlT_SJ_SK_SL_E_clISE_PxSF_SF_EESI_SY_SJ_SK_SL_EUlSY_E_NS1_11comp_targetILNS1_3genE8ELNS1_11target_archE1030ELNS1_3gpuE2ELNS1_3repE0EEENS1_48merge_mergepath_partition_config_static_selectorELNS0_4arch9wavefront6targetE0EEEvSK_
    .private_segment_fixed_size: 0
    .sgpr_count:     14
    .sgpr_spill_count: 0
    .symbol:         _ZN7rocprim17ROCPRIM_400000_NS6detail17trampoline_kernelINS0_14default_configENS1_38merge_sort_block_merge_config_selectorIxNS0_10empty_typeEEEZZNS1_27merge_sort_block_merge_implIS3_N6thrust23THRUST_200600_302600_NS6detail15normal_iteratorINS9_10device_ptrIxEEEEPS5_m9comp_mod3IxEEE10hipError_tT0_T1_T2_jT3_P12ihipStream_tbPNSt15iterator_traitsISJ_E10value_typeEPNSP_ISK_E10value_typeEPSL_NS1_7vsmem_tEENKUlT_SJ_SK_SL_E_clISE_PxSF_SF_EESI_SY_SJ_SK_SL_EUlSY_E_NS1_11comp_targetILNS1_3genE8ELNS1_11target_archE1030ELNS1_3gpuE2ELNS1_3repE0EEENS1_48merge_mergepath_partition_config_static_selectorELNS0_4arch9wavefront6targetE0EEEvSK_.kd
    .uniform_work_group_size: 1
    .uses_dynamic_stack: false
    .vgpr_count:     19
    .vgpr_spill_count: 0
    .wavefront_size: 32
    .workgroup_processor_mode: 1
  - .args:
      - .offset:         0
        .size:           80
        .value_kind:     by_value
    .group_segment_fixed_size: 0
    .kernarg_segment_align: 8
    .kernarg_segment_size: 80
    .language:       OpenCL C
    .language_version:
      - 2
      - 0
    .max_flat_workgroup_size: 128
    .name:           _ZN7rocprim17ROCPRIM_400000_NS6detail17trampoline_kernelINS0_14default_configENS1_38merge_sort_block_merge_config_selectorIxNS0_10empty_typeEEEZZNS1_27merge_sort_block_merge_implIS3_N6thrust23THRUST_200600_302600_NS6detail15normal_iteratorINS9_10device_ptrIxEEEEPS5_m9comp_mod3IxEEE10hipError_tT0_T1_T2_jT3_P12ihipStream_tbPNSt15iterator_traitsISJ_E10value_typeEPNSP_ISK_E10value_typeEPSL_NS1_7vsmem_tEENKUlT_SJ_SK_SL_E_clISE_PxSF_SF_EESI_SY_SJ_SK_SL_EUlSY_E0_NS1_11comp_targetILNS1_3genE0ELNS1_11target_archE4294967295ELNS1_3gpuE0ELNS1_3repE0EEENS1_38merge_mergepath_config_static_selectorELNS0_4arch9wavefront6targetE0EEEvSK_
    .private_segment_fixed_size: 0
    .sgpr_count:     0
    .sgpr_spill_count: 0
    .symbol:         _ZN7rocprim17ROCPRIM_400000_NS6detail17trampoline_kernelINS0_14default_configENS1_38merge_sort_block_merge_config_selectorIxNS0_10empty_typeEEEZZNS1_27merge_sort_block_merge_implIS3_N6thrust23THRUST_200600_302600_NS6detail15normal_iteratorINS9_10device_ptrIxEEEEPS5_m9comp_mod3IxEEE10hipError_tT0_T1_T2_jT3_P12ihipStream_tbPNSt15iterator_traitsISJ_E10value_typeEPNSP_ISK_E10value_typeEPSL_NS1_7vsmem_tEENKUlT_SJ_SK_SL_E_clISE_PxSF_SF_EESI_SY_SJ_SK_SL_EUlSY_E0_NS1_11comp_targetILNS1_3genE0ELNS1_11target_archE4294967295ELNS1_3gpuE0ELNS1_3repE0EEENS1_38merge_mergepath_config_static_selectorELNS0_4arch9wavefront6targetE0EEEvSK_.kd
    .uniform_work_group_size: 1
    .uses_dynamic_stack: false
    .vgpr_count:     0
    .vgpr_spill_count: 0
    .wavefront_size: 32
    .workgroup_processor_mode: 1
  - .args:
      - .offset:         0
        .size:           80
        .value_kind:     by_value
    .group_segment_fixed_size: 0
    .kernarg_segment_align: 8
    .kernarg_segment_size: 80
    .language:       OpenCL C
    .language_version:
      - 2
      - 0
    .max_flat_workgroup_size: 512
    .name:           _ZN7rocprim17ROCPRIM_400000_NS6detail17trampoline_kernelINS0_14default_configENS1_38merge_sort_block_merge_config_selectorIxNS0_10empty_typeEEEZZNS1_27merge_sort_block_merge_implIS3_N6thrust23THRUST_200600_302600_NS6detail15normal_iteratorINS9_10device_ptrIxEEEEPS5_m9comp_mod3IxEEE10hipError_tT0_T1_T2_jT3_P12ihipStream_tbPNSt15iterator_traitsISJ_E10value_typeEPNSP_ISK_E10value_typeEPSL_NS1_7vsmem_tEENKUlT_SJ_SK_SL_E_clISE_PxSF_SF_EESI_SY_SJ_SK_SL_EUlSY_E0_NS1_11comp_targetILNS1_3genE10ELNS1_11target_archE1201ELNS1_3gpuE5ELNS1_3repE0EEENS1_38merge_mergepath_config_static_selectorELNS0_4arch9wavefront6targetE0EEEvSK_
    .private_segment_fixed_size: 0
    .sgpr_count:     0
    .sgpr_spill_count: 0
    .symbol:         _ZN7rocprim17ROCPRIM_400000_NS6detail17trampoline_kernelINS0_14default_configENS1_38merge_sort_block_merge_config_selectorIxNS0_10empty_typeEEEZZNS1_27merge_sort_block_merge_implIS3_N6thrust23THRUST_200600_302600_NS6detail15normal_iteratorINS9_10device_ptrIxEEEEPS5_m9comp_mod3IxEEE10hipError_tT0_T1_T2_jT3_P12ihipStream_tbPNSt15iterator_traitsISJ_E10value_typeEPNSP_ISK_E10value_typeEPSL_NS1_7vsmem_tEENKUlT_SJ_SK_SL_E_clISE_PxSF_SF_EESI_SY_SJ_SK_SL_EUlSY_E0_NS1_11comp_targetILNS1_3genE10ELNS1_11target_archE1201ELNS1_3gpuE5ELNS1_3repE0EEENS1_38merge_mergepath_config_static_selectorELNS0_4arch9wavefront6targetE0EEEvSK_.kd
    .uniform_work_group_size: 1
    .uses_dynamic_stack: false
    .vgpr_count:     0
    .vgpr_spill_count: 0
    .wavefront_size: 32
    .workgroup_processor_mode: 1
  - .args:
      - .offset:         0
        .size:           80
        .value_kind:     by_value
    .group_segment_fixed_size: 0
    .kernarg_segment_align: 8
    .kernarg_segment_size: 80
    .language:       OpenCL C
    .language_version:
      - 2
      - 0
    .max_flat_workgroup_size: 128
    .name:           _ZN7rocprim17ROCPRIM_400000_NS6detail17trampoline_kernelINS0_14default_configENS1_38merge_sort_block_merge_config_selectorIxNS0_10empty_typeEEEZZNS1_27merge_sort_block_merge_implIS3_N6thrust23THRUST_200600_302600_NS6detail15normal_iteratorINS9_10device_ptrIxEEEEPS5_m9comp_mod3IxEEE10hipError_tT0_T1_T2_jT3_P12ihipStream_tbPNSt15iterator_traitsISJ_E10value_typeEPNSP_ISK_E10value_typeEPSL_NS1_7vsmem_tEENKUlT_SJ_SK_SL_E_clISE_PxSF_SF_EESI_SY_SJ_SK_SL_EUlSY_E0_NS1_11comp_targetILNS1_3genE5ELNS1_11target_archE942ELNS1_3gpuE9ELNS1_3repE0EEENS1_38merge_mergepath_config_static_selectorELNS0_4arch9wavefront6targetE0EEEvSK_
    .private_segment_fixed_size: 0
    .sgpr_count:     0
    .sgpr_spill_count: 0
    .symbol:         _ZN7rocprim17ROCPRIM_400000_NS6detail17trampoline_kernelINS0_14default_configENS1_38merge_sort_block_merge_config_selectorIxNS0_10empty_typeEEEZZNS1_27merge_sort_block_merge_implIS3_N6thrust23THRUST_200600_302600_NS6detail15normal_iteratorINS9_10device_ptrIxEEEEPS5_m9comp_mod3IxEEE10hipError_tT0_T1_T2_jT3_P12ihipStream_tbPNSt15iterator_traitsISJ_E10value_typeEPNSP_ISK_E10value_typeEPSL_NS1_7vsmem_tEENKUlT_SJ_SK_SL_E_clISE_PxSF_SF_EESI_SY_SJ_SK_SL_EUlSY_E0_NS1_11comp_targetILNS1_3genE5ELNS1_11target_archE942ELNS1_3gpuE9ELNS1_3repE0EEENS1_38merge_mergepath_config_static_selectorELNS0_4arch9wavefront6targetE0EEEvSK_.kd
    .uniform_work_group_size: 1
    .uses_dynamic_stack: false
    .vgpr_count:     0
    .vgpr_spill_count: 0
    .wavefront_size: 32
    .workgroup_processor_mode: 1
  - .args:
      - .offset:         0
        .size:           80
        .value_kind:     by_value
    .group_segment_fixed_size: 0
    .kernarg_segment_align: 8
    .kernarg_segment_size: 80
    .language:       OpenCL C
    .language_version:
      - 2
      - 0
    .max_flat_workgroup_size: 256
    .name:           _ZN7rocprim17ROCPRIM_400000_NS6detail17trampoline_kernelINS0_14default_configENS1_38merge_sort_block_merge_config_selectorIxNS0_10empty_typeEEEZZNS1_27merge_sort_block_merge_implIS3_N6thrust23THRUST_200600_302600_NS6detail15normal_iteratorINS9_10device_ptrIxEEEEPS5_m9comp_mod3IxEEE10hipError_tT0_T1_T2_jT3_P12ihipStream_tbPNSt15iterator_traitsISJ_E10value_typeEPNSP_ISK_E10value_typeEPSL_NS1_7vsmem_tEENKUlT_SJ_SK_SL_E_clISE_PxSF_SF_EESI_SY_SJ_SK_SL_EUlSY_E0_NS1_11comp_targetILNS1_3genE4ELNS1_11target_archE910ELNS1_3gpuE8ELNS1_3repE0EEENS1_38merge_mergepath_config_static_selectorELNS0_4arch9wavefront6targetE0EEEvSK_
    .private_segment_fixed_size: 0
    .sgpr_count:     0
    .sgpr_spill_count: 0
    .symbol:         _ZN7rocprim17ROCPRIM_400000_NS6detail17trampoline_kernelINS0_14default_configENS1_38merge_sort_block_merge_config_selectorIxNS0_10empty_typeEEEZZNS1_27merge_sort_block_merge_implIS3_N6thrust23THRUST_200600_302600_NS6detail15normal_iteratorINS9_10device_ptrIxEEEEPS5_m9comp_mod3IxEEE10hipError_tT0_T1_T2_jT3_P12ihipStream_tbPNSt15iterator_traitsISJ_E10value_typeEPNSP_ISK_E10value_typeEPSL_NS1_7vsmem_tEENKUlT_SJ_SK_SL_E_clISE_PxSF_SF_EESI_SY_SJ_SK_SL_EUlSY_E0_NS1_11comp_targetILNS1_3genE4ELNS1_11target_archE910ELNS1_3gpuE8ELNS1_3repE0EEENS1_38merge_mergepath_config_static_selectorELNS0_4arch9wavefront6targetE0EEEvSK_.kd
    .uniform_work_group_size: 1
    .uses_dynamic_stack: false
    .vgpr_count:     0
    .vgpr_spill_count: 0
    .wavefront_size: 32
    .workgroup_processor_mode: 1
  - .args:
      - .offset:         0
        .size:           80
        .value_kind:     by_value
    .group_segment_fixed_size: 0
    .kernarg_segment_align: 8
    .kernarg_segment_size: 80
    .language:       OpenCL C
    .language_version:
      - 2
      - 0
    .max_flat_workgroup_size: 128
    .name:           _ZN7rocprim17ROCPRIM_400000_NS6detail17trampoline_kernelINS0_14default_configENS1_38merge_sort_block_merge_config_selectorIxNS0_10empty_typeEEEZZNS1_27merge_sort_block_merge_implIS3_N6thrust23THRUST_200600_302600_NS6detail15normal_iteratorINS9_10device_ptrIxEEEEPS5_m9comp_mod3IxEEE10hipError_tT0_T1_T2_jT3_P12ihipStream_tbPNSt15iterator_traitsISJ_E10value_typeEPNSP_ISK_E10value_typeEPSL_NS1_7vsmem_tEENKUlT_SJ_SK_SL_E_clISE_PxSF_SF_EESI_SY_SJ_SK_SL_EUlSY_E0_NS1_11comp_targetILNS1_3genE3ELNS1_11target_archE908ELNS1_3gpuE7ELNS1_3repE0EEENS1_38merge_mergepath_config_static_selectorELNS0_4arch9wavefront6targetE0EEEvSK_
    .private_segment_fixed_size: 0
    .sgpr_count:     0
    .sgpr_spill_count: 0
    .symbol:         _ZN7rocprim17ROCPRIM_400000_NS6detail17trampoline_kernelINS0_14default_configENS1_38merge_sort_block_merge_config_selectorIxNS0_10empty_typeEEEZZNS1_27merge_sort_block_merge_implIS3_N6thrust23THRUST_200600_302600_NS6detail15normal_iteratorINS9_10device_ptrIxEEEEPS5_m9comp_mod3IxEEE10hipError_tT0_T1_T2_jT3_P12ihipStream_tbPNSt15iterator_traitsISJ_E10value_typeEPNSP_ISK_E10value_typeEPSL_NS1_7vsmem_tEENKUlT_SJ_SK_SL_E_clISE_PxSF_SF_EESI_SY_SJ_SK_SL_EUlSY_E0_NS1_11comp_targetILNS1_3genE3ELNS1_11target_archE908ELNS1_3gpuE7ELNS1_3repE0EEENS1_38merge_mergepath_config_static_selectorELNS0_4arch9wavefront6targetE0EEEvSK_.kd
    .uniform_work_group_size: 1
    .uses_dynamic_stack: false
    .vgpr_count:     0
    .vgpr_spill_count: 0
    .wavefront_size: 32
    .workgroup_processor_mode: 1
  - .args:
      - .offset:         0
        .size:           80
        .value_kind:     by_value
    .group_segment_fixed_size: 0
    .kernarg_segment_align: 8
    .kernarg_segment_size: 80
    .language:       OpenCL C
    .language_version:
      - 2
      - 0
    .max_flat_workgroup_size: 256
    .name:           _ZN7rocprim17ROCPRIM_400000_NS6detail17trampoline_kernelINS0_14default_configENS1_38merge_sort_block_merge_config_selectorIxNS0_10empty_typeEEEZZNS1_27merge_sort_block_merge_implIS3_N6thrust23THRUST_200600_302600_NS6detail15normal_iteratorINS9_10device_ptrIxEEEEPS5_m9comp_mod3IxEEE10hipError_tT0_T1_T2_jT3_P12ihipStream_tbPNSt15iterator_traitsISJ_E10value_typeEPNSP_ISK_E10value_typeEPSL_NS1_7vsmem_tEENKUlT_SJ_SK_SL_E_clISE_PxSF_SF_EESI_SY_SJ_SK_SL_EUlSY_E0_NS1_11comp_targetILNS1_3genE2ELNS1_11target_archE906ELNS1_3gpuE6ELNS1_3repE0EEENS1_38merge_mergepath_config_static_selectorELNS0_4arch9wavefront6targetE0EEEvSK_
    .private_segment_fixed_size: 0
    .sgpr_count:     0
    .sgpr_spill_count: 0
    .symbol:         _ZN7rocprim17ROCPRIM_400000_NS6detail17trampoline_kernelINS0_14default_configENS1_38merge_sort_block_merge_config_selectorIxNS0_10empty_typeEEEZZNS1_27merge_sort_block_merge_implIS3_N6thrust23THRUST_200600_302600_NS6detail15normal_iteratorINS9_10device_ptrIxEEEEPS5_m9comp_mod3IxEEE10hipError_tT0_T1_T2_jT3_P12ihipStream_tbPNSt15iterator_traitsISJ_E10value_typeEPNSP_ISK_E10value_typeEPSL_NS1_7vsmem_tEENKUlT_SJ_SK_SL_E_clISE_PxSF_SF_EESI_SY_SJ_SK_SL_EUlSY_E0_NS1_11comp_targetILNS1_3genE2ELNS1_11target_archE906ELNS1_3gpuE6ELNS1_3repE0EEENS1_38merge_mergepath_config_static_selectorELNS0_4arch9wavefront6targetE0EEEvSK_.kd
    .uniform_work_group_size: 1
    .uses_dynamic_stack: false
    .vgpr_count:     0
    .vgpr_spill_count: 0
    .wavefront_size: 32
    .workgroup_processor_mode: 1
  - .args:
      - .offset:         0
        .size:           80
        .value_kind:     by_value
    .group_segment_fixed_size: 0
    .kernarg_segment_align: 8
    .kernarg_segment_size: 80
    .language:       OpenCL C
    .language_version:
      - 2
      - 0
    .max_flat_workgroup_size: 512
    .name:           _ZN7rocprim17ROCPRIM_400000_NS6detail17trampoline_kernelINS0_14default_configENS1_38merge_sort_block_merge_config_selectorIxNS0_10empty_typeEEEZZNS1_27merge_sort_block_merge_implIS3_N6thrust23THRUST_200600_302600_NS6detail15normal_iteratorINS9_10device_ptrIxEEEEPS5_m9comp_mod3IxEEE10hipError_tT0_T1_T2_jT3_P12ihipStream_tbPNSt15iterator_traitsISJ_E10value_typeEPNSP_ISK_E10value_typeEPSL_NS1_7vsmem_tEENKUlT_SJ_SK_SL_E_clISE_PxSF_SF_EESI_SY_SJ_SK_SL_EUlSY_E0_NS1_11comp_targetILNS1_3genE9ELNS1_11target_archE1100ELNS1_3gpuE3ELNS1_3repE0EEENS1_38merge_mergepath_config_static_selectorELNS0_4arch9wavefront6targetE0EEEvSK_
    .private_segment_fixed_size: 0
    .sgpr_count:     0
    .sgpr_spill_count: 0
    .symbol:         _ZN7rocprim17ROCPRIM_400000_NS6detail17trampoline_kernelINS0_14default_configENS1_38merge_sort_block_merge_config_selectorIxNS0_10empty_typeEEEZZNS1_27merge_sort_block_merge_implIS3_N6thrust23THRUST_200600_302600_NS6detail15normal_iteratorINS9_10device_ptrIxEEEEPS5_m9comp_mod3IxEEE10hipError_tT0_T1_T2_jT3_P12ihipStream_tbPNSt15iterator_traitsISJ_E10value_typeEPNSP_ISK_E10value_typeEPSL_NS1_7vsmem_tEENKUlT_SJ_SK_SL_E_clISE_PxSF_SF_EESI_SY_SJ_SK_SL_EUlSY_E0_NS1_11comp_targetILNS1_3genE9ELNS1_11target_archE1100ELNS1_3gpuE3ELNS1_3repE0EEENS1_38merge_mergepath_config_static_selectorELNS0_4arch9wavefront6targetE0EEEvSK_.kd
    .uniform_work_group_size: 1
    .uses_dynamic_stack: false
    .vgpr_count:     0
    .vgpr_spill_count: 0
    .wavefront_size: 32
    .workgroup_processor_mode: 1
  - .args:
      - .offset:         0
        .size:           80
        .value_kind:     by_value
      - .offset:         80
        .size:           4
        .value_kind:     hidden_block_count_x
      - .offset:         84
        .size:           4
        .value_kind:     hidden_block_count_y
      - .offset:         88
        .size:           4
        .value_kind:     hidden_block_count_z
      - .offset:         92
        .size:           2
        .value_kind:     hidden_group_size_x
      - .offset:         94
        .size:           2
        .value_kind:     hidden_group_size_y
      - .offset:         96
        .size:           2
        .value_kind:     hidden_group_size_z
      - .offset:         98
        .size:           2
        .value_kind:     hidden_remainder_x
      - .offset:         100
        .size:           2
        .value_kind:     hidden_remainder_y
      - .offset:         102
        .size:           2
        .value_kind:     hidden_remainder_z
      - .offset:         120
        .size:           8
        .value_kind:     hidden_global_offset_x
      - .offset:         128
        .size:           8
        .value_kind:     hidden_global_offset_y
      - .offset:         136
        .size:           8
        .value_kind:     hidden_global_offset_z
      - .offset:         144
        .size:           2
        .value_kind:     hidden_grid_dims
    .group_segment_fixed_size: 8208
    .kernarg_segment_align: 8
    .kernarg_segment_size: 336
    .language:       OpenCL C
    .language_version:
      - 2
      - 0
    .max_flat_workgroup_size: 1024
    .name:           _ZN7rocprim17ROCPRIM_400000_NS6detail17trampoline_kernelINS0_14default_configENS1_38merge_sort_block_merge_config_selectorIxNS0_10empty_typeEEEZZNS1_27merge_sort_block_merge_implIS3_N6thrust23THRUST_200600_302600_NS6detail15normal_iteratorINS9_10device_ptrIxEEEEPS5_m9comp_mod3IxEEE10hipError_tT0_T1_T2_jT3_P12ihipStream_tbPNSt15iterator_traitsISJ_E10value_typeEPNSP_ISK_E10value_typeEPSL_NS1_7vsmem_tEENKUlT_SJ_SK_SL_E_clISE_PxSF_SF_EESI_SY_SJ_SK_SL_EUlSY_E0_NS1_11comp_targetILNS1_3genE8ELNS1_11target_archE1030ELNS1_3gpuE2ELNS1_3repE0EEENS1_38merge_mergepath_config_static_selectorELNS0_4arch9wavefront6targetE0EEEvSK_
    .private_segment_fixed_size: 0
    .sgpr_count:     30
    .sgpr_spill_count: 0
    .symbol:         _ZN7rocprim17ROCPRIM_400000_NS6detail17trampoline_kernelINS0_14default_configENS1_38merge_sort_block_merge_config_selectorIxNS0_10empty_typeEEEZZNS1_27merge_sort_block_merge_implIS3_N6thrust23THRUST_200600_302600_NS6detail15normal_iteratorINS9_10device_ptrIxEEEEPS5_m9comp_mod3IxEEE10hipError_tT0_T1_T2_jT3_P12ihipStream_tbPNSt15iterator_traitsISJ_E10value_typeEPNSP_ISK_E10value_typeEPSL_NS1_7vsmem_tEENKUlT_SJ_SK_SL_E_clISE_PxSF_SF_EESI_SY_SJ_SK_SL_EUlSY_E0_NS1_11comp_targetILNS1_3genE8ELNS1_11target_archE1030ELNS1_3gpuE2ELNS1_3repE0EEENS1_38merge_mergepath_config_static_selectorELNS0_4arch9wavefront6targetE0EEEvSK_.kd
    .uniform_work_group_size: 1
    .uses_dynamic_stack: false
    .vgpr_count:     16
    .vgpr_spill_count: 0
    .wavefront_size: 32
    .workgroup_processor_mode: 1
  - .args:
      - .offset:         0
        .size:           56
        .value_kind:     by_value
    .group_segment_fixed_size: 0
    .kernarg_segment_align: 8
    .kernarg_segment_size: 56
    .language:       OpenCL C
    .language_version:
      - 2
      - 0
    .max_flat_workgroup_size: 256
    .name:           _ZN7rocprim17ROCPRIM_400000_NS6detail17trampoline_kernelINS0_14default_configENS1_38merge_sort_block_merge_config_selectorIxNS0_10empty_typeEEEZZNS1_27merge_sort_block_merge_implIS3_N6thrust23THRUST_200600_302600_NS6detail15normal_iteratorINS9_10device_ptrIxEEEEPS5_m9comp_mod3IxEEE10hipError_tT0_T1_T2_jT3_P12ihipStream_tbPNSt15iterator_traitsISJ_E10value_typeEPNSP_ISK_E10value_typeEPSL_NS1_7vsmem_tEENKUlT_SJ_SK_SL_E_clISE_PxSF_SF_EESI_SY_SJ_SK_SL_EUlSY_E1_NS1_11comp_targetILNS1_3genE0ELNS1_11target_archE4294967295ELNS1_3gpuE0ELNS1_3repE0EEENS1_36merge_oddeven_config_static_selectorELNS0_4arch9wavefront6targetE0EEEvSK_
    .private_segment_fixed_size: 0
    .sgpr_count:     0
    .sgpr_spill_count: 0
    .symbol:         _ZN7rocprim17ROCPRIM_400000_NS6detail17trampoline_kernelINS0_14default_configENS1_38merge_sort_block_merge_config_selectorIxNS0_10empty_typeEEEZZNS1_27merge_sort_block_merge_implIS3_N6thrust23THRUST_200600_302600_NS6detail15normal_iteratorINS9_10device_ptrIxEEEEPS5_m9comp_mod3IxEEE10hipError_tT0_T1_T2_jT3_P12ihipStream_tbPNSt15iterator_traitsISJ_E10value_typeEPNSP_ISK_E10value_typeEPSL_NS1_7vsmem_tEENKUlT_SJ_SK_SL_E_clISE_PxSF_SF_EESI_SY_SJ_SK_SL_EUlSY_E1_NS1_11comp_targetILNS1_3genE0ELNS1_11target_archE4294967295ELNS1_3gpuE0ELNS1_3repE0EEENS1_36merge_oddeven_config_static_selectorELNS0_4arch9wavefront6targetE0EEEvSK_.kd
    .uniform_work_group_size: 1
    .uses_dynamic_stack: false
    .vgpr_count:     0
    .vgpr_spill_count: 0
    .wavefront_size: 32
    .workgroup_processor_mode: 1
  - .args:
      - .offset:         0
        .size:           56
        .value_kind:     by_value
    .group_segment_fixed_size: 0
    .kernarg_segment_align: 8
    .kernarg_segment_size: 56
    .language:       OpenCL C
    .language_version:
      - 2
      - 0
    .max_flat_workgroup_size: 256
    .name:           _ZN7rocprim17ROCPRIM_400000_NS6detail17trampoline_kernelINS0_14default_configENS1_38merge_sort_block_merge_config_selectorIxNS0_10empty_typeEEEZZNS1_27merge_sort_block_merge_implIS3_N6thrust23THRUST_200600_302600_NS6detail15normal_iteratorINS9_10device_ptrIxEEEEPS5_m9comp_mod3IxEEE10hipError_tT0_T1_T2_jT3_P12ihipStream_tbPNSt15iterator_traitsISJ_E10value_typeEPNSP_ISK_E10value_typeEPSL_NS1_7vsmem_tEENKUlT_SJ_SK_SL_E_clISE_PxSF_SF_EESI_SY_SJ_SK_SL_EUlSY_E1_NS1_11comp_targetILNS1_3genE10ELNS1_11target_archE1201ELNS1_3gpuE5ELNS1_3repE0EEENS1_36merge_oddeven_config_static_selectorELNS0_4arch9wavefront6targetE0EEEvSK_
    .private_segment_fixed_size: 0
    .sgpr_count:     0
    .sgpr_spill_count: 0
    .symbol:         _ZN7rocprim17ROCPRIM_400000_NS6detail17trampoline_kernelINS0_14default_configENS1_38merge_sort_block_merge_config_selectorIxNS0_10empty_typeEEEZZNS1_27merge_sort_block_merge_implIS3_N6thrust23THRUST_200600_302600_NS6detail15normal_iteratorINS9_10device_ptrIxEEEEPS5_m9comp_mod3IxEEE10hipError_tT0_T1_T2_jT3_P12ihipStream_tbPNSt15iterator_traitsISJ_E10value_typeEPNSP_ISK_E10value_typeEPSL_NS1_7vsmem_tEENKUlT_SJ_SK_SL_E_clISE_PxSF_SF_EESI_SY_SJ_SK_SL_EUlSY_E1_NS1_11comp_targetILNS1_3genE10ELNS1_11target_archE1201ELNS1_3gpuE5ELNS1_3repE0EEENS1_36merge_oddeven_config_static_selectorELNS0_4arch9wavefront6targetE0EEEvSK_.kd
    .uniform_work_group_size: 1
    .uses_dynamic_stack: false
    .vgpr_count:     0
    .vgpr_spill_count: 0
    .wavefront_size: 32
    .workgroup_processor_mode: 1
  - .args:
      - .offset:         0
        .size:           56
        .value_kind:     by_value
    .group_segment_fixed_size: 0
    .kernarg_segment_align: 8
    .kernarg_segment_size: 56
    .language:       OpenCL C
    .language_version:
      - 2
      - 0
    .max_flat_workgroup_size: 256
    .name:           _ZN7rocprim17ROCPRIM_400000_NS6detail17trampoline_kernelINS0_14default_configENS1_38merge_sort_block_merge_config_selectorIxNS0_10empty_typeEEEZZNS1_27merge_sort_block_merge_implIS3_N6thrust23THRUST_200600_302600_NS6detail15normal_iteratorINS9_10device_ptrIxEEEEPS5_m9comp_mod3IxEEE10hipError_tT0_T1_T2_jT3_P12ihipStream_tbPNSt15iterator_traitsISJ_E10value_typeEPNSP_ISK_E10value_typeEPSL_NS1_7vsmem_tEENKUlT_SJ_SK_SL_E_clISE_PxSF_SF_EESI_SY_SJ_SK_SL_EUlSY_E1_NS1_11comp_targetILNS1_3genE5ELNS1_11target_archE942ELNS1_3gpuE9ELNS1_3repE0EEENS1_36merge_oddeven_config_static_selectorELNS0_4arch9wavefront6targetE0EEEvSK_
    .private_segment_fixed_size: 0
    .sgpr_count:     0
    .sgpr_spill_count: 0
    .symbol:         _ZN7rocprim17ROCPRIM_400000_NS6detail17trampoline_kernelINS0_14default_configENS1_38merge_sort_block_merge_config_selectorIxNS0_10empty_typeEEEZZNS1_27merge_sort_block_merge_implIS3_N6thrust23THRUST_200600_302600_NS6detail15normal_iteratorINS9_10device_ptrIxEEEEPS5_m9comp_mod3IxEEE10hipError_tT0_T1_T2_jT3_P12ihipStream_tbPNSt15iterator_traitsISJ_E10value_typeEPNSP_ISK_E10value_typeEPSL_NS1_7vsmem_tEENKUlT_SJ_SK_SL_E_clISE_PxSF_SF_EESI_SY_SJ_SK_SL_EUlSY_E1_NS1_11comp_targetILNS1_3genE5ELNS1_11target_archE942ELNS1_3gpuE9ELNS1_3repE0EEENS1_36merge_oddeven_config_static_selectorELNS0_4arch9wavefront6targetE0EEEvSK_.kd
    .uniform_work_group_size: 1
    .uses_dynamic_stack: false
    .vgpr_count:     0
    .vgpr_spill_count: 0
    .wavefront_size: 32
    .workgroup_processor_mode: 1
  - .args:
      - .offset:         0
        .size:           56
        .value_kind:     by_value
    .group_segment_fixed_size: 0
    .kernarg_segment_align: 8
    .kernarg_segment_size: 56
    .language:       OpenCL C
    .language_version:
      - 2
      - 0
    .max_flat_workgroup_size: 256
    .name:           _ZN7rocprim17ROCPRIM_400000_NS6detail17trampoline_kernelINS0_14default_configENS1_38merge_sort_block_merge_config_selectorIxNS0_10empty_typeEEEZZNS1_27merge_sort_block_merge_implIS3_N6thrust23THRUST_200600_302600_NS6detail15normal_iteratorINS9_10device_ptrIxEEEEPS5_m9comp_mod3IxEEE10hipError_tT0_T1_T2_jT3_P12ihipStream_tbPNSt15iterator_traitsISJ_E10value_typeEPNSP_ISK_E10value_typeEPSL_NS1_7vsmem_tEENKUlT_SJ_SK_SL_E_clISE_PxSF_SF_EESI_SY_SJ_SK_SL_EUlSY_E1_NS1_11comp_targetILNS1_3genE4ELNS1_11target_archE910ELNS1_3gpuE8ELNS1_3repE0EEENS1_36merge_oddeven_config_static_selectorELNS0_4arch9wavefront6targetE0EEEvSK_
    .private_segment_fixed_size: 0
    .sgpr_count:     0
    .sgpr_spill_count: 0
    .symbol:         _ZN7rocprim17ROCPRIM_400000_NS6detail17trampoline_kernelINS0_14default_configENS1_38merge_sort_block_merge_config_selectorIxNS0_10empty_typeEEEZZNS1_27merge_sort_block_merge_implIS3_N6thrust23THRUST_200600_302600_NS6detail15normal_iteratorINS9_10device_ptrIxEEEEPS5_m9comp_mod3IxEEE10hipError_tT0_T1_T2_jT3_P12ihipStream_tbPNSt15iterator_traitsISJ_E10value_typeEPNSP_ISK_E10value_typeEPSL_NS1_7vsmem_tEENKUlT_SJ_SK_SL_E_clISE_PxSF_SF_EESI_SY_SJ_SK_SL_EUlSY_E1_NS1_11comp_targetILNS1_3genE4ELNS1_11target_archE910ELNS1_3gpuE8ELNS1_3repE0EEENS1_36merge_oddeven_config_static_selectorELNS0_4arch9wavefront6targetE0EEEvSK_.kd
    .uniform_work_group_size: 1
    .uses_dynamic_stack: false
    .vgpr_count:     0
    .vgpr_spill_count: 0
    .wavefront_size: 32
    .workgroup_processor_mode: 1
  - .args:
      - .offset:         0
        .size:           56
        .value_kind:     by_value
    .group_segment_fixed_size: 0
    .kernarg_segment_align: 8
    .kernarg_segment_size: 56
    .language:       OpenCL C
    .language_version:
      - 2
      - 0
    .max_flat_workgroup_size: 256
    .name:           _ZN7rocprim17ROCPRIM_400000_NS6detail17trampoline_kernelINS0_14default_configENS1_38merge_sort_block_merge_config_selectorIxNS0_10empty_typeEEEZZNS1_27merge_sort_block_merge_implIS3_N6thrust23THRUST_200600_302600_NS6detail15normal_iteratorINS9_10device_ptrIxEEEEPS5_m9comp_mod3IxEEE10hipError_tT0_T1_T2_jT3_P12ihipStream_tbPNSt15iterator_traitsISJ_E10value_typeEPNSP_ISK_E10value_typeEPSL_NS1_7vsmem_tEENKUlT_SJ_SK_SL_E_clISE_PxSF_SF_EESI_SY_SJ_SK_SL_EUlSY_E1_NS1_11comp_targetILNS1_3genE3ELNS1_11target_archE908ELNS1_3gpuE7ELNS1_3repE0EEENS1_36merge_oddeven_config_static_selectorELNS0_4arch9wavefront6targetE0EEEvSK_
    .private_segment_fixed_size: 0
    .sgpr_count:     0
    .sgpr_spill_count: 0
    .symbol:         _ZN7rocprim17ROCPRIM_400000_NS6detail17trampoline_kernelINS0_14default_configENS1_38merge_sort_block_merge_config_selectorIxNS0_10empty_typeEEEZZNS1_27merge_sort_block_merge_implIS3_N6thrust23THRUST_200600_302600_NS6detail15normal_iteratorINS9_10device_ptrIxEEEEPS5_m9comp_mod3IxEEE10hipError_tT0_T1_T2_jT3_P12ihipStream_tbPNSt15iterator_traitsISJ_E10value_typeEPNSP_ISK_E10value_typeEPSL_NS1_7vsmem_tEENKUlT_SJ_SK_SL_E_clISE_PxSF_SF_EESI_SY_SJ_SK_SL_EUlSY_E1_NS1_11comp_targetILNS1_3genE3ELNS1_11target_archE908ELNS1_3gpuE7ELNS1_3repE0EEENS1_36merge_oddeven_config_static_selectorELNS0_4arch9wavefront6targetE0EEEvSK_.kd
    .uniform_work_group_size: 1
    .uses_dynamic_stack: false
    .vgpr_count:     0
    .vgpr_spill_count: 0
    .wavefront_size: 32
    .workgroup_processor_mode: 1
  - .args:
      - .offset:         0
        .size:           56
        .value_kind:     by_value
    .group_segment_fixed_size: 0
    .kernarg_segment_align: 8
    .kernarg_segment_size: 56
    .language:       OpenCL C
    .language_version:
      - 2
      - 0
    .max_flat_workgroup_size: 256
    .name:           _ZN7rocprim17ROCPRIM_400000_NS6detail17trampoline_kernelINS0_14default_configENS1_38merge_sort_block_merge_config_selectorIxNS0_10empty_typeEEEZZNS1_27merge_sort_block_merge_implIS3_N6thrust23THRUST_200600_302600_NS6detail15normal_iteratorINS9_10device_ptrIxEEEEPS5_m9comp_mod3IxEEE10hipError_tT0_T1_T2_jT3_P12ihipStream_tbPNSt15iterator_traitsISJ_E10value_typeEPNSP_ISK_E10value_typeEPSL_NS1_7vsmem_tEENKUlT_SJ_SK_SL_E_clISE_PxSF_SF_EESI_SY_SJ_SK_SL_EUlSY_E1_NS1_11comp_targetILNS1_3genE2ELNS1_11target_archE906ELNS1_3gpuE6ELNS1_3repE0EEENS1_36merge_oddeven_config_static_selectorELNS0_4arch9wavefront6targetE0EEEvSK_
    .private_segment_fixed_size: 0
    .sgpr_count:     0
    .sgpr_spill_count: 0
    .symbol:         _ZN7rocprim17ROCPRIM_400000_NS6detail17trampoline_kernelINS0_14default_configENS1_38merge_sort_block_merge_config_selectorIxNS0_10empty_typeEEEZZNS1_27merge_sort_block_merge_implIS3_N6thrust23THRUST_200600_302600_NS6detail15normal_iteratorINS9_10device_ptrIxEEEEPS5_m9comp_mod3IxEEE10hipError_tT0_T1_T2_jT3_P12ihipStream_tbPNSt15iterator_traitsISJ_E10value_typeEPNSP_ISK_E10value_typeEPSL_NS1_7vsmem_tEENKUlT_SJ_SK_SL_E_clISE_PxSF_SF_EESI_SY_SJ_SK_SL_EUlSY_E1_NS1_11comp_targetILNS1_3genE2ELNS1_11target_archE906ELNS1_3gpuE6ELNS1_3repE0EEENS1_36merge_oddeven_config_static_selectorELNS0_4arch9wavefront6targetE0EEEvSK_.kd
    .uniform_work_group_size: 1
    .uses_dynamic_stack: false
    .vgpr_count:     0
    .vgpr_spill_count: 0
    .wavefront_size: 32
    .workgroup_processor_mode: 1
  - .args:
      - .offset:         0
        .size:           56
        .value_kind:     by_value
    .group_segment_fixed_size: 0
    .kernarg_segment_align: 8
    .kernarg_segment_size: 56
    .language:       OpenCL C
    .language_version:
      - 2
      - 0
    .max_flat_workgroup_size: 256
    .name:           _ZN7rocprim17ROCPRIM_400000_NS6detail17trampoline_kernelINS0_14default_configENS1_38merge_sort_block_merge_config_selectorIxNS0_10empty_typeEEEZZNS1_27merge_sort_block_merge_implIS3_N6thrust23THRUST_200600_302600_NS6detail15normal_iteratorINS9_10device_ptrIxEEEEPS5_m9comp_mod3IxEEE10hipError_tT0_T1_T2_jT3_P12ihipStream_tbPNSt15iterator_traitsISJ_E10value_typeEPNSP_ISK_E10value_typeEPSL_NS1_7vsmem_tEENKUlT_SJ_SK_SL_E_clISE_PxSF_SF_EESI_SY_SJ_SK_SL_EUlSY_E1_NS1_11comp_targetILNS1_3genE9ELNS1_11target_archE1100ELNS1_3gpuE3ELNS1_3repE0EEENS1_36merge_oddeven_config_static_selectorELNS0_4arch9wavefront6targetE0EEEvSK_
    .private_segment_fixed_size: 0
    .sgpr_count:     0
    .sgpr_spill_count: 0
    .symbol:         _ZN7rocprim17ROCPRIM_400000_NS6detail17trampoline_kernelINS0_14default_configENS1_38merge_sort_block_merge_config_selectorIxNS0_10empty_typeEEEZZNS1_27merge_sort_block_merge_implIS3_N6thrust23THRUST_200600_302600_NS6detail15normal_iteratorINS9_10device_ptrIxEEEEPS5_m9comp_mod3IxEEE10hipError_tT0_T1_T2_jT3_P12ihipStream_tbPNSt15iterator_traitsISJ_E10value_typeEPNSP_ISK_E10value_typeEPSL_NS1_7vsmem_tEENKUlT_SJ_SK_SL_E_clISE_PxSF_SF_EESI_SY_SJ_SK_SL_EUlSY_E1_NS1_11comp_targetILNS1_3genE9ELNS1_11target_archE1100ELNS1_3gpuE3ELNS1_3repE0EEENS1_36merge_oddeven_config_static_selectorELNS0_4arch9wavefront6targetE0EEEvSK_.kd
    .uniform_work_group_size: 1
    .uses_dynamic_stack: false
    .vgpr_count:     0
    .vgpr_spill_count: 0
    .wavefront_size: 32
    .workgroup_processor_mode: 1
  - .args:
      - .offset:         0
        .size:           56
        .value_kind:     by_value
    .group_segment_fixed_size: 0
    .kernarg_segment_align: 8
    .kernarg_segment_size: 56
    .language:       OpenCL C
    .language_version:
      - 2
      - 0
    .max_flat_workgroup_size: 256
    .name:           _ZN7rocprim17ROCPRIM_400000_NS6detail17trampoline_kernelINS0_14default_configENS1_38merge_sort_block_merge_config_selectorIxNS0_10empty_typeEEEZZNS1_27merge_sort_block_merge_implIS3_N6thrust23THRUST_200600_302600_NS6detail15normal_iteratorINS9_10device_ptrIxEEEEPS5_m9comp_mod3IxEEE10hipError_tT0_T1_T2_jT3_P12ihipStream_tbPNSt15iterator_traitsISJ_E10value_typeEPNSP_ISK_E10value_typeEPSL_NS1_7vsmem_tEENKUlT_SJ_SK_SL_E_clISE_PxSF_SF_EESI_SY_SJ_SK_SL_EUlSY_E1_NS1_11comp_targetILNS1_3genE8ELNS1_11target_archE1030ELNS1_3gpuE2ELNS1_3repE0EEENS1_36merge_oddeven_config_static_selectorELNS0_4arch9wavefront6targetE0EEEvSK_
    .private_segment_fixed_size: 0
    .sgpr_count:     20
    .sgpr_spill_count: 0
    .symbol:         _ZN7rocprim17ROCPRIM_400000_NS6detail17trampoline_kernelINS0_14default_configENS1_38merge_sort_block_merge_config_selectorIxNS0_10empty_typeEEEZZNS1_27merge_sort_block_merge_implIS3_N6thrust23THRUST_200600_302600_NS6detail15normal_iteratorINS9_10device_ptrIxEEEEPS5_m9comp_mod3IxEEE10hipError_tT0_T1_T2_jT3_P12ihipStream_tbPNSt15iterator_traitsISJ_E10value_typeEPNSP_ISK_E10value_typeEPSL_NS1_7vsmem_tEENKUlT_SJ_SK_SL_E_clISE_PxSF_SF_EESI_SY_SJ_SK_SL_EUlSY_E1_NS1_11comp_targetILNS1_3genE8ELNS1_11target_archE1030ELNS1_3gpuE2ELNS1_3repE0EEENS1_36merge_oddeven_config_static_selectorELNS0_4arch9wavefront6targetE0EEEvSK_.kd
    .uniform_work_group_size: 1
    .uses_dynamic_stack: false
    .vgpr_count:     15
    .vgpr_spill_count: 0
    .wavefront_size: 32
    .workgroup_processor_mode: 1
  - .args:
      - .offset:         0
        .size:           64
        .value_kind:     by_value
    .group_segment_fixed_size: 0
    .kernarg_segment_align: 8
    .kernarg_segment_size: 64
    .language:       OpenCL C
    .language_version:
      - 2
      - 0
    .max_flat_workgroup_size: 256
    .name:           _ZN7rocprim17ROCPRIM_400000_NS6detail17trampoline_kernelINS0_14default_configENS1_37merge_sort_block_sort_config_selectorIiNS0_10empty_typeEEEZNS1_21merge_sort_block_sortIS3_N6thrust23THRUST_200600_302600_NS6detail15normal_iteratorINS9_10device_ptrIiEEEESE_PS5_SF_9comp_mod3IiEEE10hipError_tT0_T1_T2_T3_mRjT4_P12ihipStream_tbNS1_7vsmem_tEEUlT_E_NS1_11comp_targetILNS1_3genE0ELNS1_11target_archE4294967295ELNS1_3gpuE0ELNS1_3repE0EEENS1_30default_config_static_selectorELNS0_4arch9wavefront6targetE0EEEvSK_
    .private_segment_fixed_size: 0
    .sgpr_count:     0
    .sgpr_spill_count: 0
    .symbol:         _ZN7rocprim17ROCPRIM_400000_NS6detail17trampoline_kernelINS0_14default_configENS1_37merge_sort_block_sort_config_selectorIiNS0_10empty_typeEEEZNS1_21merge_sort_block_sortIS3_N6thrust23THRUST_200600_302600_NS6detail15normal_iteratorINS9_10device_ptrIiEEEESE_PS5_SF_9comp_mod3IiEEE10hipError_tT0_T1_T2_T3_mRjT4_P12ihipStream_tbNS1_7vsmem_tEEUlT_E_NS1_11comp_targetILNS1_3genE0ELNS1_11target_archE4294967295ELNS1_3gpuE0ELNS1_3repE0EEENS1_30default_config_static_selectorELNS0_4arch9wavefront6targetE0EEEvSK_.kd
    .uniform_work_group_size: 1
    .uses_dynamic_stack: false
    .vgpr_count:     0
    .vgpr_spill_count: 0
    .wavefront_size: 32
    .workgroup_processor_mode: 1
  - .args:
      - .offset:         0
        .size:           64
        .value_kind:     by_value
    .group_segment_fixed_size: 0
    .kernarg_segment_align: 8
    .kernarg_segment_size: 64
    .language:       OpenCL C
    .language_version:
      - 2
      - 0
    .max_flat_workgroup_size: 256
    .name:           _ZN7rocprim17ROCPRIM_400000_NS6detail17trampoline_kernelINS0_14default_configENS1_37merge_sort_block_sort_config_selectorIiNS0_10empty_typeEEEZNS1_21merge_sort_block_sortIS3_N6thrust23THRUST_200600_302600_NS6detail15normal_iteratorINS9_10device_ptrIiEEEESE_PS5_SF_9comp_mod3IiEEE10hipError_tT0_T1_T2_T3_mRjT4_P12ihipStream_tbNS1_7vsmem_tEEUlT_E_NS1_11comp_targetILNS1_3genE5ELNS1_11target_archE942ELNS1_3gpuE9ELNS1_3repE0EEENS1_30default_config_static_selectorELNS0_4arch9wavefront6targetE0EEEvSK_
    .private_segment_fixed_size: 0
    .sgpr_count:     0
    .sgpr_spill_count: 0
    .symbol:         _ZN7rocprim17ROCPRIM_400000_NS6detail17trampoline_kernelINS0_14default_configENS1_37merge_sort_block_sort_config_selectorIiNS0_10empty_typeEEEZNS1_21merge_sort_block_sortIS3_N6thrust23THRUST_200600_302600_NS6detail15normal_iteratorINS9_10device_ptrIiEEEESE_PS5_SF_9comp_mod3IiEEE10hipError_tT0_T1_T2_T3_mRjT4_P12ihipStream_tbNS1_7vsmem_tEEUlT_E_NS1_11comp_targetILNS1_3genE5ELNS1_11target_archE942ELNS1_3gpuE9ELNS1_3repE0EEENS1_30default_config_static_selectorELNS0_4arch9wavefront6targetE0EEEvSK_.kd
    .uniform_work_group_size: 1
    .uses_dynamic_stack: false
    .vgpr_count:     0
    .vgpr_spill_count: 0
    .wavefront_size: 32
    .workgroup_processor_mode: 1
  - .args:
      - .offset:         0
        .size:           64
        .value_kind:     by_value
    .group_segment_fixed_size: 0
    .kernarg_segment_align: 8
    .kernarg_segment_size: 64
    .language:       OpenCL C
    .language_version:
      - 2
      - 0
    .max_flat_workgroup_size: 256
    .name:           _ZN7rocprim17ROCPRIM_400000_NS6detail17trampoline_kernelINS0_14default_configENS1_37merge_sort_block_sort_config_selectorIiNS0_10empty_typeEEEZNS1_21merge_sort_block_sortIS3_N6thrust23THRUST_200600_302600_NS6detail15normal_iteratorINS9_10device_ptrIiEEEESE_PS5_SF_9comp_mod3IiEEE10hipError_tT0_T1_T2_T3_mRjT4_P12ihipStream_tbNS1_7vsmem_tEEUlT_E_NS1_11comp_targetILNS1_3genE4ELNS1_11target_archE910ELNS1_3gpuE8ELNS1_3repE0EEENS1_30default_config_static_selectorELNS0_4arch9wavefront6targetE0EEEvSK_
    .private_segment_fixed_size: 0
    .sgpr_count:     0
    .sgpr_spill_count: 0
    .symbol:         _ZN7rocprim17ROCPRIM_400000_NS6detail17trampoline_kernelINS0_14default_configENS1_37merge_sort_block_sort_config_selectorIiNS0_10empty_typeEEEZNS1_21merge_sort_block_sortIS3_N6thrust23THRUST_200600_302600_NS6detail15normal_iteratorINS9_10device_ptrIiEEEESE_PS5_SF_9comp_mod3IiEEE10hipError_tT0_T1_T2_T3_mRjT4_P12ihipStream_tbNS1_7vsmem_tEEUlT_E_NS1_11comp_targetILNS1_3genE4ELNS1_11target_archE910ELNS1_3gpuE8ELNS1_3repE0EEENS1_30default_config_static_selectorELNS0_4arch9wavefront6targetE0EEEvSK_.kd
    .uniform_work_group_size: 1
    .uses_dynamic_stack: false
    .vgpr_count:     0
    .vgpr_spill_count: 0
    .wavefront_size: 32
    .workgroup_processor_mode: 1
  - .args:
      - .offset:         0
        .size:           64
        .value_kind:     by_value
    .group_segment_fixed_size: 0
    .kernarg_segment_align: 8
    .kernarg_segment_size: 64
    .language:       OpenCL C
    .language_version:
      - 2
      - 0
    .max_flat_workgroup_size: 256
    .name:           _ZN7rocprim17ROCPRIM_400000_NS6detail17trampoline_kernelINS0_14default_configENS1_37merge_sort_block_sort_config_selectorIiNS0_10empty_typeEEEZNS1_21merge_sort_block_sortIS3_N6thrust23THRUST_200600_302600_NS6detail15normal_iteratorINS9_10device_ptrIiEEEESE_PS5_SF_9comp_mod3IiEEE10hipError_tT0_T1_T2_T3_mRjT4_P12ihipStream_tbNS1_7vsmem_tEEUlT_E_NS1_11comp_targetILNS1_3genE3ELNS1_11target_archE908ELNS1_3gpuE7ELNS1_3repE0EEENS1_30default_config_static_selectorELNS0_4arch9wavefront6targetE0EEEvSK_
    .private_segment_fixed_size: 0
    .sgpr_count:     0
    .sgpr_spill_count: 0
    .symbol:         _ZN7rocprim17ROCPRIM_400000_NS6detail17trampoline_kernelINS0_14default_configENS1_37merge_sort_block_sort_config_selectorIiNS0_10empty_typeEEEZNS1_21merge_sort_block_sortIS3_N6thrust23THRUST_200600_302600_NS6detail15normal_iteratorINS9_10device_ptrIiEEEESE_PS5_SF_9comp_mod3IiEEE10hipError_tT0_T1_T2_T3_mRjT4_P12ihipStream_tbNS1_7vsmem_tEEUlT_E_NS1_11comp_targetILNS1_3genE3ELNS1_11target_archE908ELNS1_3gpuE7ELNS1_3repE0EEENS1_30default_config_static_selectorELNS0_4arch9wavefront6targetE0EEEvSK_.kd
    .uniform_work_group_size: 1
    .uses_dynamic_stack: false
    .vgpr_count:     0
    .vgpr_spill_count: 0
    .wavefront_size: 32
    .workgroup_processor_mode: 1
  - .args:
      - .offset:         0
        .size:           64
        .value_kind:     by_value
    .group_segment_fixed_size: 0
    .kernarg_segment_align: 8
    .kernarg_segment_size: 64
    .language:       OpenCL C
    .language_version:
      - 2
      - 0
    .max_flat_workgroup_size: 256
    .name:           _ZN7rocprim17ROCPRIM_400000_NS6detail17trampoline_kernelINS0_14default_configENS1_37merge_sort_block_sort_config_selectorIiNS0_10empty_typeEEEZNS1_21merge_sort_block_sortIS3_N6thrust23THRUST_200600_302600_NS6detail15normal_iteratorINS9_10device_ptrIiEEEESE_PS5_SF_9comp_mod3IiEEE10hipError_tT0_T1_T2_T3_mRjT4_P12ihipStream_tbNS1_7vsmem_tEEUlT_E_NS1_11comp_targetILNS1_3genE2ELNS1_11target_archE906ELNS1_3gpuE6ELNS1_3repE0EEENS1_30default_config_static_selectorELNS0_4arch9wavefront6targetE0EEEvSK_
    .private_segment_fixed_size: 0
    .sgpr_count:     0
    .sgpr_spill_count: 0
    .symbol:         _ZN7rocprim17ROCPRIM_400000_NS6detail17trampoline_kernelINS0_14default_configENS1_37merge_sort_block_sort_config_selectorIiNS0_10empty_typeEEEZNS1_21merge_sort_block_sortIS3_N6thrust23THRUST_200600_302600_NS6detail15normal_iteratorINS9_10device_ptrIiEEEESE_PS5_SF_9comp_mod3IiEEE10hipError_tT0_T1_T2_T3_mRjT4_P12ihipStream_tbNS1_7vsmem_tEEUlT_E_NS1_11comp_targetILNS1_3genE2ELNS1_11target_archE906ELNS1_3gpuE6ELNS1_3repE0EEENS1_30default_config_static_selectorELNS0_4arch9wavefront6targetE0EEEvSK_.kd
    .uniform_work_group_size: 1
    .uses_dynamic_stack: false
    .vgpr_count:     0
    .vgpr_spill_count: 0
    .wavefront_size: 32
    .workgroup_processor_mode: 1
  - .args:
      - .offset:         0
        .size:           64
        .value_kind:     by_value
    .group_segment_fixed_size: 0
    .kernarg_segment_align: 8
    .kernarg_segment_size: 64
    .language:       OpenCL C
    .language_version:
      - 2
      - 0
    .max_flat_workgroup_size: 256
    .name:           _ZN7rocprim17ROCPRIM_400000_NS6detail17trampoline_kernelINS0_14default_configENS1_37merge_sort_block_sort_config_selectorIiNS0_10empty_typeEEEZNS1_21merge_sort_block_sortIS3_N6thrust23THRUST_200600_302600_NS6detail15normal_iteratorINS9_10device_ptrIiEEEESE_PS5_SF_9comp_mod3IiEEE10hipError_tT0_T1_T2_T3_mRjT4_P12ihipStream_tbNS1_7vsmem_tEEUlT_E_NS1_11comp_targetILNS1_3genE10ELNS1_11target_archE1201ELNS1_3gpuE5ELNS1_3repE0EEENS1_30default_config_static_selectorELNS0_4arch9wavefront6targetE0EEEvSK_
    .private_segment_fixed_size: 0
    .sgpr_count:     0
    .sgpr_spill_count: 0
    .symbol:         _ZN7rocprim17ROCPRIM_400000_NS6detail17trampoline_kernelINS0_14default_configENS1_37merge_sort_block_sort_config_selectorIiNS0_10empty_typeEEEZNS1_21merge_sort_block_sortIS3_N6thrust23THRUST_200600_302600_NS6detail15normal_iteratorINS9_10device_ptrIiEEEESE_PS5_SF_9comp_mod3IiEEE10hipError_tT0_T1_T2_T3_mRjT4_P12ihipStream_tbNS1_7vsmem_tEEUlT_E_NS1_11comp_targetILNS1_3genE10ELNS1_11target_archE1201ELNS1_3gpuE5ELNS1_3repE0EEENS1_30default_config_static_selectorELNS0_4arch9wavefront6targetE0EEEvSK_.kd
    .uniform_work_group_size: 1
    .uses_dynamic_stack: false
    .vgpr_count:     0
    .vgpr_spill_count: 0
    .wavefront_size: 32
    .workgroup_processor_mode: 1
  - .args:
      - .offset:         0
        .size:           64
        .value_kind:     by_value
    .group_segment_fixed_size: 0
    .kernarg_segment_align: 8
    .kernarg_segment_size: 64
    .language:       OpenCL C
    .language_version:
      - 2
      - 0
    .max_flat_workgroup_size: 256
    .name:           _ZN7rocprim17ROCPRIM_400000_NS6detail17trampoline_kernelINS0_14default_configENS1_37merge_sort_block_sort_config_selectorIiNS0_10empty_typeEEEZNS1_21merge_sort_block_sortIS3_N6thrust23THRUST_200600_302600_NS6detail15normal_iteratorINS9_10device_ptrIiEEEESE_PS5_SF_9comp_mod3IiEEE10hipError_tT0_T1_T2_T3_mRjT4_P12ihipStream_tbNS1_7vsmem_tEEUlT_E_NS1_11comp_targetILNS1_3genE10ELNS1_11target_archE1200ELNS1_3gpuE4ELNS1_3repE0EEENS1_30default_config_static_selectorELNS0_4arch9wavefront6targetE0EEEvSK_
    .private_segment_fixed_size: 0
    .sgpr_count:     0
    .sgpr_spill_count: 0
    .symbol:         _ZN7rocprim17ROCPRIM_400000_NS6detail17trampoline_kernelINS0_14default_configENS1_37merge_sort_block_sort_config_selectorIiNS0_10empty_typeEEEZNS1_21merge_sort_block_sortIS3_N6thrust23THRUST_200600_302600_NS6detail15normal_iteratorINS9_10device_ptrIiEEEESE_PS5_SF_9comp_mod3IiEEE10hipError_tT0_T1_T2_T3_mRjT4_P12ihipStream_tbNS1_7vsmem_tEEUlT_E_NS1_11comp_targetILNS1_3genE10ELNS1_11target_archE1200ELNS1_3gpuE4ELNS1_3repE0EEENS1_30default_config_static_selectorELNS0_4arch9wavefront6targetE0EEEvSK_.kd
    .uniform_work_group_size: 1
    .uses_dynamic_stack: false
    .vgpr_count:     0
    .vgpr_spill_count: 0
    .wavefront_size: 32
    .workgroup_processor_mode: 1
  - .args:
      - .offset:         0
        .size:           64
        .value_kind:     by_value
    .group_segment_fixed_size: 0
    .kernarg_segment_align: 8
    .kernarg_segment_size: 64
    .language:       OpenCL C
    .language_version:
      - 2
      - 0
    .max_flat_workgroup_size: 256
    .name:           _ZN7rocprim17ROCPRIM_400000_NS6detail17trampoline_kernelINS0_14default_configENS1_37merge_sort_block_sort_config_selectorIiNS0_10empty_typeEEEZNS1_21merge_sort_block_sortIS3_N6thrust23THRUST_200600_302600_NS6detail15normal_iteratorINS9_10device_ptrIiEEEESE_PS5_SF_9comp_mod3IiEEE10hipError_tT0_T1_T2_T3_mRjT4_P12ihipStream_tbNS1_7vsmem_tEEUlT_E_NS1_11comp_targetILNS1_3genE9ELNS1_11target_archE1100ELNS1_3gpuE3ELNS1_3repE0EEENS1_30default_config_static_selectorELNS0_4arch9wavefront6targetE0EEEvSK_
    .private_segment_fixed_size: 0
    .sgpr_count:     0
    .sgpr_spill_count: 0
    .symbol:         _ZN7rocprim17ROCPRIM_400000_NS6detail17trampoline_kernelINS0_14default_configENS1_37merge_sort_block_sort_config_selectorIiNS0_10empty_typeEEEZNS1_21merge_sort_block_sortIS3_N6thrust23THRUST_200600_302600_NS6detail15normal_iteratorINS9_10device_ptrIiEEEESE_PS5_SF_9comp_mod3IiEEE10hipError_tT0_T1_T2_T3_mRjT4_P12ihipStream_tbNS1_7vsmem_tEEUlT_E_NS1_11comp_targetILNS1_3genE9ELNS1_11target_archE1100ELNS1_3gpuE3ELNS1_3repE0EEENS1_30default_config_static_selectorELNS0_4arch9wavefront6targetE0EEEvSK_.kd
    .uniform_work_group_size: 1
    .uses_dynamic_stack: false
    .vgpr_count:     0
    .vgpr_spill_count: 0
    .wavefront_size: 32
    .workgroup_processor_mode: 1
  - .args:
      - .offset:         0
        .size:           64
        .value_kind:     by_value
      - .offset:         64
        .size:           4
        .value_kind:     hidden_block_count_x
      - .offset:         68
        .size:           4
        .value_kind:     hidden_block_count_y
      - .offset:         72
        .size:           4
        .value_kind:     hidden_block_count_z
      - .offset:         76
        .size:           2
        .value_kind:     hidden_group_size_x
      - .offset:         78
        .size:           2
        .value_kind:     hidden_group_size_y
      - .offset:         80
        .size:           2
        .value_kind:     hidden_group_size_z
      - .offset:         82
        .size:           2
        .value_kind:     hidden_remainder_x
      - .offset:         84
        .size:           2
        .value_kind:     hidden_remainder_y
      - .offset:         86
        .size:           2
        .value_kind:     hidden_remainder_z
      - .offset:         104
        .size:           8
        .value_kind:     hidden_global_offset_x
      - .offset:         112
        .size:           8
        .value_kind:     hidden_global_offset_y
      - .offset:         120
        .size:           8
        .value_kind:     hidden_global_offset_z
      - .offset:         128
        .size:           2
        .value_kind:     hidden_grid_dims
    .group_segment_fixed_size: 8448
    .kernarg_segment_align: 8
    .kernarg_segment_size: 320
    .language:       OpenCL C
    .language_version:
      - 2
      - 0
    .max_flat_workgroup_size: 256
    .name:           _ZN7rocprim17ROCPRIM_400000_NS6detail17trampoline_kernelINS0_14default_configENS1_37merge_sort_block_sort_config_selectorIiNS0_10empty_typeEEEZNS1_21merge_sort_block_sortIS3_N6thrust23THRUST_200600_302600_NS6detail15normal_iteratorINS9_10device_ptrIiEEEESE_PS5_SF_9comp_mod3IiEEE10hipError_tT0_T1_T2_T3_mRjT4_P12ihipStream_tbNS1_7vsmem_tEEUlT_E_NS1_11comp_targetILNS1_3genE8ELNS1_11target_archE1030ELNS1_3gpuE2ELNS1_3repE0EEENS1_30default_config_static_selectorELNS0_4arch9wavefront6targetE0EEEvSK_
    .private_segment_fixed_size: 0
    .sgpr_count:     26
    .sgpr_spill_count: 0
    .symbol:         _ZN7rocprim17ROCPRIM_400000_NS6detail17trampoline_kernelINS0_14default_configENS1_37merge_sort_block_sort_config_selectorIiNS0_10empty_typeEEEZNS1_21merge_sort_block_sortIS3_N6thrust23THRUST_200600_302600_NS6detail15normal_iteratorINS9_10device_ptrIiEEEESE_PS5_SF_9comp_mod3IiEEE10hipError_tT0_T1_T2_T3_mRjT4_P12ihipStream_tbNS1_7vsmem_tEEUlT_E_NS1_11comp_targetILNS1_3genE8ELNS1_11target_archE1030ELNS1_3gpuE2ELNS1_3repE0EEENS1_30default_config_static_selectorELNS0_4arch9wavefront6targetE0EEEvSK_.kd
    .uniform_work_group_size: 1
    .uses_dynamic_stack: false
    .vgpr_count:     56
    .vgpr_spill_count: 0
    .wavefront_size: 32
    .workgroup_processor_mode: 1
  - .args:
      - .offset:         0
        .size:           48
        .value_kind:     by_value
    .group_segment_fixed_size: 0
    .kernarg_segment_align: 8
    .kernarg_segment_size: 48
    .language:       OpenCL C
    .language_version:
      - 2
      - 0
    .max_flat_workgroup_size: 128
    .name:           _ZN7rocprim17ROCPRIM_400000_NS6detail17trampoline_kernelINS0_14default_configENS1_38merge_sort_block_merge_config_selectorIiNS0_10empty_typeEEEZZNS1_27merge_sort_block_merge_implIS3_N6thrust23THRUST_200600_302600_NS6detail15normal_iteratorINS9_10device_ptrIiEEEEPS5_m9comp_mod3IiEEE10hipError_tT0_T1_T2_jT3_P12ihipStream_tbPNSt15iterator_traitsISJ_E10value_typeEPNSP_ISK_E10value_typeEPSL_NS1_7vsmem_tEENKUlT_SJ_SK_SL_E_clIPiSE_SF_SF_EESI_SY_SJ_SK_SL_EUlSY_E_NS1_11comp_targetILNS1_3genE0ELNS1_11target_archE4294967295ELNS1_3gpuE0ELNS1_3repE0EEENS1_48merge_mergepath_partition_config_static_selectorELNS0_4arch9wavefront6targetE0EEEvSK_
    .private_segment_fixed_size: 0
    .sgpr_count:     0
    .sgpr_spill_count: 0
    .symbol:         _ZN7rocprim17ROCPRIM_400000_NS6detail17trampoline_kernelINS0_14default_configENS1_38merge_sort_block_merge_config_selectorIiNS0_10empty_typeEEEZZNS1_27merge_sort_block_merge_implIS3_N6thrust23THRUST_200600_302600_NS6detail15normal_iteratorINS9_10device_ptrIiEEEEPS5_m9comp_mod3IiEEE10hipError_tT0_T1_T2_jT3_P12ihipStream_tbPNSt15iterator_traitsISJ_E10value_typeEPNSP_ISK_E10value_typeEPSL_NS1_7vsmem_tEENKUlT_SJ_SK_SL_E_clIPiSE_SF_SF_EESI_SY_SJ_SK_SL_EUlSY_E_NS1_11comp_targetILNS1_3genE0ELNS1_11target_archE4294967295ELNS1_3gpuE0ELNS1_3repE0EEENS1_48merge_mergepath_partition_config_static_selectorELNS0_4arch9wavefront6targetE0EEEvSK_.kd
    .uniform_work_group_size: 1
    .uses_dynamic_stack: false
    .vgpr_count:     0
    .vgpr_spill_count: 0
    .wavefront_size: 32
    .workgroup_processor_mode: 1
  - .args:
      - .offset:         0
        .size:           48
        .value_kind:     by_value
    .group_segment_fixed_size: 0
    .kernarg_segment_align: 8
    .kernarg_segment_size: 48
    .language:       OpenCL C
    .language_version:
      - 2
      - 0
    .max_flat_workgroup_size: 128
    .name:           _ZN7rocprim17ROCPRIM_400000_NS6detail17trampoline_kernelINS0_14default_configENS1_38merge_sort_block_merge_config_selectorIiNS0_10empty_typeEEEZZNS1_27merge_sort_block_merge_implIS3_N6thrust23THRUST_200600_302600_NS6detail15normal_iteratorINS9_10device_ptrIiEEEEPS5_m9comp_mod3IiEEE10hipError_tT0_T1_T2_jT3_P12ihipStream_tbPNSt15iterator_traitsISJ_E10value_typeEPNSP_ISK_E10value_typeEPSL_NS1_7vsmem_tEENKUlT_SJ_SK_SL_E_clIPiSE_SF_SF_EESI_SY_SJ_SK_SL_EUlSY_E_NS1_11comp_targetILNS1_3genE10ELNS1_11target_archE1201ELNS1_3gpuE5ELNS1_3repE0EEENS1_48merge_mergepath_partition_config_static_selectorELNS0_4arch9wavefront6targetE0EEEvSK_
    .private_segment_fixed_size: 0
    .sgpr_count:     0
    .sgpr_spill_count: 0
    .symbol:         _ZN7rocprim17ROCPRIM_400000_NS6detail17trampoline_kernelINS0_14default_configENS1_38merge_sort_block_merge_config_selectorIiNS0_10empty_typeEEEZZNS1_27merge_sort_block_merge_implIS3_N6thrust23THRUST_200600_302600_NS6detail15normal_iteratorINS9_10device_ptrIiEEEEPS5_m9comp_mod3IiEEE10hipError_tT0_T1_T2_jT3_P12ihipStream_tbPNSt15iterator_traitsISJ_E10value_typeEPNSP_ISK_E10value_typeEPSL_NS1_7vsmem_tEENKUlT_SJ_SK_SL_E_clIPiSE_SF_SF_EESI_SY_SJ_SK_SL_EUlSY_E_NS1_11comp_targetILNS1_3genE10ELNS1_11target_archE1201ELNS1_3gpuE5ELNS1_3repE0EEENS1_48merge_mergepath_partition_config_static_selectorELNS0_4arch9wavefront6targetE0EEEvSK_.kd
    .uniform_work_group_size: 1
    .uses_dynamic_stack: false
    .vgpr_count:     0
    .vgpr_spill_count: 0
    .wavefront_size: 32
    .workgroup_processor_mode: 1
  - .args:
      - .offset:         0
        .size:           48
        .value_kind:     by_value
    .group_segment_fixed_size: 0
    .kernarg_segment_align: 8
    .kernarg_segment_size: 48
    .language:       OpenCL C
    .language_version:
      - 2
      - 0
    .max_flat_workgroup_size: 128
    .name:           _ZN7rocprim17ROCPRIM_400000_NS6detail17trampoline_kernelINS0_14default_configENS1_38merge_sort_block_merge_config_selectorIiNS0_10empty_typeEEEZZNS1_27merge_sort_block_merge_implIS3_N6thrust23THRUST_200600_302600_NS6detail15normal_iteratorINS9_10device_ptrIiEEEEPS5_m9comp_mod3IiEEE10hipError_tT0_T1_T2_jT3_P12ihipStream_tbPNSt15iterator_traitsISJ_E10value_typeEPNSP_ISK_E10value_typeEPSL_NS1_7vsmem_tEENKUlT_SJ_SK_SL_E_clIPiSE_SF_SF_EESI_SY_SJ_SK_SL_EUlSY_E_NS1_11comp_targetILNS1_3genE5ELNS1_11target_archE942ELNS1_3gpuE9ELNS1_3repE0EEENS1_48merge_mergepath_partition_config_static_selectorELNS0_4arch9wavefront6targetE0EEEvSK_
    .private_segment_fixed_size: 0
    .sgpr_count:     0
    .sgpr_spill_count: 0
    .symbol:         _ZN7rocprim17ROCPRIM_400000_NS6detail17trampoline_kernelINS0_14default_configENS1_38merge_sort_block_merge_config_selectorIiNS0_10empty_typeEEEZZNS1_27merge_sort_block_merge_implIS3_N6thrust23THRUST_200600_302600_NS6detail15normal_iteratorINS9_10device_ptrIiEEEEPS5_m9comp_mod3IiEEE10hipError_tT0_T1_T2_jT3_P12ihipStream_tbPNSt15iterator_traitsISJ_E10value_typeEPNSP_ISK_E10value_typeEPSL_NS1_7vsmem_tEENKUlT_SJ_SK_SL_E_clIPiSE_SF_SF_EESI_SY_SJ_SK_SL_EUlSY_E_NS1_11comp_targetILNS1_3genE5ELNS1_11target_archE942ELNS1_3gpuE9ELNS1_3repE0EEENS1_48merge_mergepath_partition_config_static_selectorELNS0_4arch9wavefront6targetE0EEEvSK_.kd
    .uniform_work_group_size: 1
    .uses_dynamic_stack: false
    .vgpr_count:     0
    .vgpr_spill_count: 0
    .wavefront_size: 32
    .workgroup_processor_mode: 1
  - .args:
      - .offset:         0
        .size:           48
        .value_kind:     by_value
    .group_segment_fixed_size: 0
    .kernarg_segment_align: 8
    .kernarg_segment_size: 48
    .language:       OpenCL C
    .language_version:
      - 2
      - 0
    .max_flat_workgroup_size: 128
    .name:           _ZN7rocprim17ROCPRIM_400000_NS6detail17trampoline_kernelINS0_14default_configENS1_38merge_sort_block_merge_config_selectorIiNS0_10empty_typeEEEZZNS1_27merge_sort_block_merge_implIS3_N6thrust23THRUST_200600_302600_NS6detail15normal_iteratorINS9_10device_ptrIiEEEEPS5_m9comp_mod3IiEEE10hipError_tT0_T1_T2_jT3_P12ihipStream_tbPNSt15iterator_traitsISJ_E10value_typeEPNSP_ISK_E10value_typeEPSL_NS1_7vsmem_tEENKUlT_SJ_SK_SL_E_clIPiSE_SF_SF_EESI_SY_SJ_SK_SL_EUlSY_E_NS1_11comp_targetILNS1_3genE4ELNS1_11target_archE910ELNS1_3gpuE8ELNS1_3repE0EEENS1_48merge_mergepath_partition_config_static_selectorELNS0_4arch9wavefront6targetE0EEEvSK_
    .private_segment_fixed_size: 0
    .sgpr_count:     0
    .sgpr_spill_count: 0
    .symbol:         _ZN7rocprim17ROCPRIM_400000_NS6detail17trampoline_kernelINS0_14default_configENS1_38merge_sort_block_merge_config_selectorIiNS0_10empty_typeEEEZZNS1_27merge_sort_block_merge_implIS3_N6thrust23THRUST_200600_302600_NS6detail15normal_iteratorINS9_10device_ptrIiEEEEPS5_m9comp_mod3IiEEE10hipError_tT0_T1_T2_jT3_P12ihipStream_tbPNSt15iterator_traitsISJ_E10value_typeEPNSP_ISK_E10value_typeEPSL_NS1_7vsmem_tEENKUlT_SJ_SK_SL_E_clIPiSE_SF_SF_EESI_SY_SJ_SK_SL_EUlSY_E_NS1_11comp_targetILNS1_3genE4ELNS1_11target_archE910ELNS1_3gpuE8ELNS1_3repE0EEENS1_48merge_mergepath_partition_config_static_selectorELNS0_4arch9wavefront6targetE0EEEvSK_.kd
    .uniform_work_group_size: 1
    .uses_dynamic_stack: false
    .vgpr_count:     0
    .vgpr_spill_count: 0
    .wavefront_size: 32
    .workgroup_processor_mode: 1
  - .args:
      - .offset:         0
        .size:           48
        .value_kind:     by_value
    .group_segment_fixed_size: 0
    .kernarg_segment_align: 8
    .kernarg_segment_size: 48
    .language:       OpenCL C
    .language_version:
      - 2
      - 0
    .max_flat_workgroup_size: 128
    .name:           _ZN7rocprim17ROCPRIM_400000_NS6detail17trampoline_kernelINS0_14default_configENS1_38merge_sort_block_merge_config_selectorIiNS0_10empty_typeEEEZZNS1_27merge_sort_block_merge_implIS3_N6thrust23THRUST_200600_302600_NS6detail15normal_iteratorINS9_10device_ptrIiEEEEPS5_m9comp_mod3IiEEE10hipError_tT0_T1_T2_jT3_P12ihipStream_tbPNSt15iterator_traitsISJ_E10value_typeEPNSP_ISK_E10value_typeEPSL_NS1_7vsmem_tEENKUlT_SJ_SK_SL_E_clIPiSE_SF_SF_EESI_SY_SJ_SK_SL_EUlSY_E_NS1_11comp_targetILNS1_3genE3ELNS1_11target_archE908ELNS1_3gpuE7ELNS1_3repE0EEENS1_48merge_mergepath_partition_config_static_selectorELNS0_4arch9wavefront6targetE0EEEvSK_
    .private_segment_fixed_size: 0
    .sgpr_count:     0
    .sgpr_spill_count: 0
    .symbol:         _ZN7rocprim17ROCPRIM_400000_NS6detail17trampoline_kernelINS0_14default_configENS1_38merge_sort_block_merge_config_selectorIiNS0_10empty_typeEEEZZNS1_27merge_sort_block_merge_implIS3_N6thrust23THRUST_200600_302600_NS6detail15normal_iteratorINS9_10device_ptrIiEEEEPS5_m9comp_mod3IiEEE10hipError_tT0_T1_T2_jT3_P12ihipStream_tbPNSt15iterator_traitsISJ_E10value_typeEPNSP_ISK_E10value_typeEPSL_NS1_7vsmem_tEENKUlT_SJ_SK_SL_E_clIPiSE_SF_SF_EESI_SY_SJ_SK_SL_EUlSY_E_NS1_11comp_targetILNS1_3genE3ELNS1_11target_archE908ELNS1_3gpuE7ELNS1_3repE0EEENS1_48merge_mergepath_partition_config_static_selectorELNS0_4arch9wavefront6targetE0EEEvSK_.kd
    .uniform_work_group_size: 1
    .uses_dynamic_stack: false
    .vgpr_count:     0
    .vgpr_spill_count: 0
    .wavefront_size: 32
    .workgroup_processor_mode: 1
  - .args:
      - .offset:         0
        .size:           48
        .value_kind:     by_value
    .group_segment_fixed_size: 0
    .kernarg_segment_align: 8
    .kernarg_segment_size: 48
    .language:       OpenCL C
    .language_version:
      - 2
      - 0
    .max_flat_workgroup_size: 128
    .name:           _ZN7rocprim17ROCPRIM_400000_NS6detail17trampoline_kernelINS0_14default_configENS1_38merge_sort_block_merge_config_selectorIiNS0_10empty_typeEEEZZNS1_27merge_sort_block_merge_implIS3_N6thrust23THRUST_200600_302600_NS6detail15normal_iteratorINS9_10device_ptrIiEEEEPS5_m9comp_mod3IiEEE10hipError_tT0_T1_T2_jT3_P12ihipStream_tbPNSt15iterator_traitsISJ_E10value_typeEPNSP_ISK_E10value_typeEPSL_NS1_7vsmem_tEENKUlT_SJ_SK_SL_E_clIPiSE_SF_SF_EESI_SY_SJ_SK_SL_EUlSY_E_NS1_11comp_targetILNS1_3genE2ELNS1_11target_archE906ELNS1_3gpuE6ELNS1_3repE0EEENS1_48merge_mergepath_partition_config_static_selectorELNS0_4arch9wavefront6targetE0EEEvSK_
    .private_segment_fixed_size: 0
    .sgpr_count:     0
    .sgpr_spill_count: 0
    .symbol:         _ZN7rocprim17ROCPRIM_400000_NS6detail17trampoline_kernelINS0_14default_configENS1_38merge_sort_block_merge_config_selectorIiNS0_10empty_typeEEEZZNS1_27merge_sort_block_merge_implIS3_N6thrust23THRUST_200600_302600_NS6detail15normal_iteratorINS9_10device_ptrIiEEEEPS5_m9comp_mod3IiEEE10hipError_tT0_T1_T2_jT3_P12ihipStream_tbPNSt15iterator_traitsISJ_E10value_typeEPNSP_ISK_E10value_typeEPSL_NS1_7vsmem_tEENKUlT_SJ_SK_SL_E_clIPiSE_SF_SF_EESI_SY_SJ_SK_SL_EUlSY_E_NS1_11comp_targetILNS1_3genE2ELNS1_11target_archE906ELNS1_3gpuE6ELNS1_3repE0EEENS1_48merge_mergepath_partition_config_static_selectorELNS0_4arch9wavefront6targetE0EEEvSK_.kd
    .uniform_work_group_size: 1
    .uses_dynamic_stack: false
    .vgpr_count:     0
    .vgpr_spill_count: 0
    .wavefront_size: 32
    .workgroup_processor_mode: 1
  - .args:
      - .offset:         0
        .size:           48
        .value_kind:     by_value
    .group_segment_fixed_size: 0
    .kernarg_segment_align: 8
    .kernarg_segment_size: 48
    .language:       OpenCL C
    .language_version:
      - 2
      - 0
    .max_flat_workgroup_size: 128
    .name:           _ZN7rocprim17ROCPRIM_400000_NS6detail17trampoline_kernelINS0_14default_configENS1_38merge_sort_block_merge_config_selectorIiNS0_10empty_typeEEEZZNS1_27merge_sort_block_merge_implIS3_N6thrust23THRUST_200600_302600_NS6detail15normal_iteratorINS9_10device_ptrIiEEEEPS5_m9comp_mod3IiEEE10hipError_tT0_T1_T2_jT3_P12ihipStream_tbPNSt15iterator_traitsISJ_E10value_typeEPNSP_ISK_E10value_typeEPSL_NS1_7vsmem_tEENKUlT_SJ_SK_SL_E_clIPiSE_SF_SF_EESI_SY_SJ_SK_SL_EUlSY_E_NS1_11comp_targetILNS1_3genE9ELNS1_11target_archE1100ELNS1_3gpuE3ELNS1_3repE0EEENS1_48merge_mergepath_partition_config_static_selectorELNS0_4arch9wavefront6targetE0EEEvSK_
    .private_segment_fixed_size: 0
    .sgpr_count:     0
    .sgpr_spill_count: 0
    .symbol:         _ZN7rocprim17ROCPRIM_400000_NS6detail17trampoline_kernelINS0_14default_configENS1_38merge_sort_block_merge_config_selectorIiNS0_10empty_typeEEEZZNS1_27merge_sort_block_merge_implIS3_N6thrust23THRUST_200600_302600_NS6detail15normal_iteratorINS9_10device_ptrIiEEEEPS5_m9comp_mod3IiEEE10hipError_tT0_T1_T2_jT3_P12ihipStream_tbPNSt15iterator_traitsISJ_E10value_typeEPNSP_ISK_E10value_typeEPSL_NS1_7vsmem_tEENKUlT_SJ_SK_SL_E_clIPiSE_SF_SF_EESI_SY_SJ_SK_SL_EUlSY_E_NS1_11comp_targetILNS1_3genE9ELNS1_11target_archE1100ELNS1_3gpuE3ELNS1_3repE0EEENS1_48merge_mergepath_partition_config_static_selectorELNS0_4arch9wavefront6targetE0EEEvSK_.kd
    .uniform_work_group_size: 1
    .uses_dynamic_stack: false
    .vgpr_count:     0
    .vgpr_spill_count: 0
    .wavefront_size: 32
    .workgroup_processor_mode: 1
  - .args:
      - .offset:         0
        .size:           48
        .value_kind:     by_value
    .group_segment_fixed_size: 0
    .kernarg_segment_align: 8
    .kernarg_segment_size: 48
    .language:       OpenCL C
    .language_version:
      - 2
      - 0
    .max_flat_workgroup_size: 128
    .name:           _ZN7rocprim17ROCPRIM_400000_NS6detail17trampoline_kernelINS0_14default_configENS1_38merge_sort_block_merge_config_selectorIiNS0_10empty_typeEEEZZNS1_27merge_sort_block_merge_implIS3_N6thrust23THRUST_200600_302600_NS6detail15normal_iteratorINS9_10device_ptrIiEEEEPS5_m9comp_mod3IiEEE10hipError_tT0_T1_T2_jT3_P12ihipStream_tbPNSt15iterator_traitsISJ_E10value_typeEPNSP_ISK_E10value_typeEPSL_NS1_7vsmem_tEENKUlT_SJ_SK_SL_E_clIPiSE_SF_SF_EESI_SY_SJ_SK_SL_EUlSY_E_NS1_11comp_targetILNS1_3genE8ELNS1_11target_archE1030ELNS1_3gpuE2ELNS1_3repE0EEENS1_48merge_mergepath_partition_config_static_selectorELNS0_4arch9wavefront6targetE0EEEvSK_
    .private_segment_fixed_size: 0
    .sgpr_count:     18
    .sgpr_spill_count: 0
    .symbol:         _ZN7rocprim17ROCPRIM_400000_NS6detail17trampoline_kernelINS0_14default_configENS1_38merge_sort_block_merge_config_selectorIiNS0_10empty_typeEEEZZNS1_27merge_sort_block_merge_implIS3_N6thrust23THRUST_200600_302600_NS6detail15normal_iteratorINS9_10device_ptrIiEEEEPS5_m9comp_mod3IiEEE10hipError_tT0_T1_T2_jT3_P12ihipStream_tbPNSt15iterator_traitsISJ_E10value_typeEPNSP_ISK_E10value_typeEPSL_NS1_7vsmem_tEENKUlT_SJ_SK_SL_E_clIPiSE_SF_SF_EESI_SY_SJ_SK_SL_EUlSY_E_NS1_11comp_targetILNS1_3genE8ELNS1_11target_archE1030ELNS1_3gpuE2ELNS1_3repE0EEENS1_48merge_mergepath_partition_config_static_selectorELNS0_4arch9wavefront6targetE0EEEvSK_.kd
    .uniform_work_group_size: 1
    .uses_dynamic_stack: false
    .vgpr_count:     17
    .vgpr_spill_count: 0
    .wavefront_size: 32
    .workgroup_processor_mode: 1
  - .args:
      - .offset:         0
        .size:           80
        .value_kind:     by_value
    .group_segment_fixed_size: 0
    .kernarg_segment_align: 8
    .kernarg_segment_size: 80
    .language:       OpenCL C
    .language_version:
      - 2
      - 0
    .max_flat_workgroup_size: 128
    .name:           _ZN7rocprim17ROCPRIM_400000_NS6detail17trampoline_kernelINS0_14default_configENS1_38merge_sort_block_merge_config_selectorIiNS0_10empty_typeEEEZZNS1_27merge_sort_block_merge_implIS3_N6thrust23THRUST_200600_302600_NS6detail15normal_iteratorINS9_10device_ptrIiEEEEPS5_m9comp_mod3IiEEE10hipError_tT0_T1_T2_jT3_P12ihipStream_tbPNSt15iterator_traitsISJ_E10value_typeEPNSP_ISK_E10value_typeEPSL_NS1_7vsmem_tEENKUlT_SJ_SK_SL_E_clIPiSE_SF_SF_EESI_SY_SJ_SK_SL_EUlSY_E0_NS1_11comp_targetILNS1_3genE0ELNS1_11target_archE4294967295ELNS1_3gpuE0ELNS1_3repE0EEENS1_38merge_mergepath_config_static_selectorELNS0_4arch9wavefront6targetE0EEEvSK_
    .private_segment_fixed_size: 0
    .sgpr_count:     0
    .sgpr_spill_count: 0
    .symbol:         _ZN7rocprim17ROCPRIM_400000_NS6detail17trampoline_kernelINS0_14default_configENS1_38merge_sort_block_merge_config_selectorIiNS0_10empty_typeEEEZZNS1_27merge_sort_block_merge_implIS3_N6thrust23THRUST_200600_302600_NS6detail15normal_iteratorINS9_10device_ptrIiEEEEPS5_m9comp_mod3IiEEE10hipError_tT0_T1_T2_jT3_P12ihipStream_tbPNSt15iterator_traitsISJ_E10value_typeEPNSP_ISK_E10value_typeEPSL_NS1_7vsmem_tEENKUlT_SJ_SK_SL_E_clIPiSE_SF_SF_EESI_SY_SJ_SK_SL_EUlSY_E0_NS1_11comp_targetILNS1_3genE0ELNS1_11target_archE4294967295ELNS1_3gpuE0ELNS1_3repE0EEENS1_38merge_mergepath_config_static_selectorELNS0_4arch9wavefront6targetE0EEEvSK_.kd
    .uniform_work_group_size: 1
    .uses_dynamic_stack: false
    .vgpr_count:     0
    .vgpr_spill_count: 0
    .wavefront_size: 32
    .workgroup_processor_mode: 1
  - .args:
      - .offset:         0
        .size:           80
        .value_kind:     by_value
    .group_segment_fixed_size: 0
    .kernarg_segment_align: 8
    .kernarg_segment_size: 80
    .language:       OpenCL C
    .language_version:
      - 2
      - 0
    .max_flat_workgroup_size: 256
    .name:           _ZN7rocprim17ROCPRIM_400000_NS6detail17trampoline_kernelINS0_14default_configENS1_38merge_sort_block_merge_config_selectorIiNS0_10empty_typeEEEZZNS1_27merge_sort_block_merge_implIS3_N6thrust23THRUST_200600_302600_NS6detail15normal_iteratorINS9_10device_ptrIiEEEEPS5_m9comp_mod3IiEEE10hipError_tT0_T1_T2_jT3_P12ihipStream_tbPNSt15iterator_traitsISJ_E10value_typeEPNSP_ISK_E10value_typeEPSL_NS1_7vsmem_tEENKUlT_SJ_SK_SL_E_clIPiSE_SF_SF_EESI_SY_SJ_SK_SL_EUlSY_E0_NS1_11comp_targetILNS1_3genE10ELNS1_11target_archE1201ELNS1_3gpuE5ELNS1_3repE0EEENS1_38merge_mergepath_config_static_selectorELNS0_4arch9wavefront6targetE0EEEvSK_
    .private_segment_fixed_size: 0
    .sgpr_count:     0
    .sgpr_spill_count: 0
    .symbol:         _ZN7rocprim17ROCPRIM_400000_NS6detail17trampoline_kernelINS0_14default_configENS1_38merge_sort_block_merge_config_selectorIiNS0_10empty_typeEEEZZNS1_27merge_sort_block_merge_implIS3_N6thrust23THRUST_200600_302600_NS6detail15normal_iteratorINS9_10device_ptrIiEEEEPS5_m9comp_mod3IiEEE10hipError_tT0_T1_T2_jT3_P12ihipStream_tbPNSt15iterator_traitsISJ_E10value_typeEPNSP_ISK_E10value_typeEPSL_NS1_7vsmem_tEENKUlT_SJ_SK_SL_E_clIPiSE_SF_SF_EESI_SY_SJ_SK_SL_EUlSY_E0_NS1_11comp_targetILNS1_3genE10ELNS1_11target_archE1201ELNS1_3gpuE5ELNS1_3repE0EEENS1_38merge_mergepath_config_static_selectorELNS0_4arch9wavefront6targetE0EEEvSK_.kd
    .uniform_work_group_size: 1
    .uses_dynamic_stack: false
    .vgpr_count:     0
    .vgpr_spill_count: 0
    .wavefront_size: 32
    .workgroup_processor_mode: 1
  - .args:
      - .offset:         0
        .size:           80
        .value_kind:     by_value
    .group_segment_fixed_size: 0
    .kernarg_segment_align: 8
    .kernarg_segment_size: 80
    .language:       OpenCL C
    .language_version:
      - 2
      - 0
    .max_flat_workgroup_size: 128
    .name:           _ZN7rocprim17ROCPRIM_400000_NS6detail17trampoline_kernelINS0_14default_configENS1_38merge_sort_block_merge_config_selectorIiNS0_10empty_typeEEEZZNS1_27merge_sort_block_merge_implIS3_N6thrust23THRUST_200600_302600_NS6detail15normal_iteratorINS9_10device_ptrIiEEEEPS5_m9comp_mod3IiEEE10hipError_tT0_T1_T2_jT3_P12ihipStream_tbPNSt15iterator_traitsISJ_E10value_typeEPNSP_ISK_E10value_typeEPSL_NS1_7vsmem_tEENKUlT_SJ_SK_SL_E_clIPiSE_SF_SF_EESI_SY_SJ_SK_SL_EUlSY_E0_NS1_11comp_targetILNS1_3genE5ELNS1_11target_archE942ELNS1_3gpuE9ELNS1_3repE0EEENS1_38merge_mergepath_config_static_selectorELNS0_4arch9wavefront6targetE0EEEvSK_
    .private_segment_fixed_size: 0
    .sgpr_count:     0
    .sgpr_spill_count: 0
    .symbol:         _ZN7rocprim17ROCPRIM_400000_NS6detail17trampoline_kernelINS0_14default_configENS1_38merge_sort_block_merge_config_selectorIiNS0_10empty_typeEEEZZNS1_27merge_sort_block_merge_implIS3_N6thrust23THRUST_200600_302600_NS6detail15normal_iteratorINS9_10device_ptrIiEEEEPS5_m9comp_mod3IiEEE10hipError_tT0_T1_T2_jT3_P12ihipStream_tbPNSt15iterator_traitsISJ_E10value_typeEPNSP_ISK_E10value_typeEPSL_NS1_7vsmem_tEENKUlT_SJ_SK_SL_E_clIPiSE_SF_SF_EESI_SY_SJ_SK_SL_EUlSY_E0_NS1_11comp_targetILNS1_3genE5ELNS1_11target_archE942ELNS1_3gpuE9ELNS1_3repE0EEENS1_38merge_mergepath_config_static_selectorELNS0_4arch9wavefront6targetE0EEEvSK_.kd
    .uniform_work_group_size: 1
    .uses_dynamic_stack: false
    .vgpr_count:     0
    .vgpr_spill_count: 0
    .wavefront_size: 32
    .workgroup_processor_mode: 1
  - .args:
      - .offset:         0
        .size:           80
        .value_kind:     by_value
    .group_segment_fixed_size: 0
    .kernarg_segment_align: 8
    .kernarg_segment_size: 80
    .language:       OpenCL C
    .language_version:
      - 2
      - 0
    .max_flat_workgroup_size: 128
    .name:           _ZN7rocprim17ROCPRIM_400000_NS6detail17trampoline_kernelINS0_14default_configENS1_38merge_sort_block_merge_config_selectorIiNS0_10empty_typeEEEZZNS1_27merge_sort_block_merge_implIS3_N6thrust23THRUST_200600_302600_NS6detail15normal_iteratorINS9_10device_ptrIiEEEEPS5_m9comp_mod3IiEEE10hipError_tT0_T1_T2_jT3_P12ihipStream_tbPNSt15iterator_traitsISJ_E10value_typeEPNSP_ISK_E10value_typeEPSL_NS1_7vsmem_tEENKUlT_SJ_SK_SL_E_clIPiSE_SF_SF_EESI_SY_SJ_SK_SL_EUlSY_E0_NS1_11comp_targetILNS1_3genE4ELNS1_11target_archE910ELNS1_3gpuE8ELNS1_3repE0EEENS1_38merge_mergepath_config_static_selectorELNS0_4arch9wavefront6targetE0EEEvSK_
    .private_segment_fixed_size: 0
    .sgpr_count:     0
    .sgpr_spill_count: 0
    .symbol:         _ZN7rocprim17ROCPRIM_400000_NS6detail17trampoline_kernelINS0_14default_configENS1_38merge_sort_block_merge_config_selectorIiNS0_10empty_typeEEEZZNS1_27merge_sort_block_merge_implIS3_N6thrust23THRUST_200600_302600_NS6detail15normal_iteratorINS9_10device_ptrIiEEEEPS5_m9comp_mod3IiEEE10hipError_tT0_T1_T2_jT3_P12ihipStream_tbPNSt15iterator_traitsISJ_E10value_typeEPNSP_ISK_E10value_typeEPSL_NS1_7vsmem_tEENKUlT_SJ_SK_SL_E_clIPiSE_SF_SF_EESI_SY_SJ_SK_SL_EUlSY_E0_NS1_11comp_targetILNS1_3genE4ELNS1_11target_archE910ELNS1_3gpuE8ELNS1_3repE0EEENS1_38merge_mergepath_config_static_selectorELNS0_4arch9wavefront6targetE0EEEvSK_.kd
    .uniform_work_group_size: 1
    .uses_dynamic_stack: false
    .vgpr_count:     0
    .vgpr_spill_count: 0
    .wavefront_size: 32
    .workgroup_processor_mode: 1
  - .args:
      - .offset:         0
        .size:           80
        .value_kind:     by_value
    .group_segment_fixed_size: 0
    .kernarg_segment_align: 8
    .kernarg_segment_size: 80
    .language:       OpenCL C
    .language_version:
      - 2
      - 0
    .max_flat_workgroup_size: 128
    .name:           _ZN7rocprim17ROCPRIM_400000_NS6detail17trampoline_kernelINS0_14default_configENS1_38merge_sort_block_merge_config_selectorIiNS0_10empty_typeEEEZZNS1_27merge_sort_block_merge_implIS3_N6thrust23THRUST_200600_302600_NS6detail15normal_iteratorINS9_10device_ptrIiEEEEPS5_m9comp_mod3IiEEE10hipError_tT0_T1_T2_jT3_P12ihipStream_tbPNSt15iterator_traitsISJ_E10value_typeEPNSP_ISK_E10value_typeEPSL_NS1_7vsmem_tEENKUlT_SJ_SK_SL_E_clIPiSE_SF_SF_EESI_SY_SJ_SK_SL_EUlSY_E0_NS1_11comp_targetILNS1_3genE3ELNS1_11target_archE908ELNS1_3gpuE7ELNS1_3repE0EEENS1_38merge_mergepath_config_static_selectorELNS0_4arch9wavefront6targetE0EEEvSK_
    .private_segment_fixed_size: 0
    .sgpr_count:     0
    .sgpr_spill_count: 0
    .symbol:         _ZN7rocprim17ROCPRIM_400000_NS6detail17trampoline_kernelINS0_14default_configENS1_38merge_sort_block_merge_config_selectorIiNS0_10empty_typeEEEZZNS1_27merge_sort_block_merge_implIS3_N6thrust23THRUST_200600_302600_NS6detail15normal_iteratorINS9_10device_ptrIiEEEEPS5_m9comp_mod3IiEEE10hipError_tT0_T1_T2_jT3_P12ihipStream_tbPNSt15iterator_traitsISJ_E10value_typeEPNSP_ISK_E10value_typeEPSL_NS1_7vsmem_tEENKUlT_SJ_SK_SL_E_clIPiSE_SF_SF_EESI_SY_SJ_SK_SL_EUlSY_E0_NS1_11comp_targetILNS1_3genE3ELNS1_11target_archE908ELNS1_3gpuE7ELNS1_3repE0EEENS1_38merge_mergepath_config_static_selectorELNS0_4arch9wavefront6targetE0EEEvSK_.kd
    .uniform_work_group_size: 1
    .uses_dynamic_stack: false
    .vgpr_count:     0
    .vgpr_spill_count: 0
    .wavefront_size: 32
    .workgroup_processor_mode: 1
  - .args:
      - .offset:         0
        .size:           80
        .value_kind:     by_value
    .group_segment_fixed_size: 0
    .kernarg_segment_align: 8
    .kernarg_segment_size: 80
    .language:       OpenCL C
    .language_version:
      - 2
      - 0
    .max_flat_workgroup_size: 128
    .name:           _ZN7rocprim17ROCPRIM_400000_NS6detail17trampoline_kernelINS0_14default_configENS1_38merge_sort_block_merge_config_selectorIiNS0_10empty_typeEEEZZNS1_27merge_sort_block_merge_implIS3_N6thrust23THRUST_200600_302600_NS6detail15normal_iteratorINS9_10device_ptrIiEEEEPS5_m9comp_mod3IiEEE10hipError_tT0_T1_T2_jT3_P12ihipStream_tbPNSt15iterator_traitsISJ_E10value_typeEPNSP_ISK_E10value_typeEPSL_NS1_7vsmem_tEENKUlT_SJ_SK_SL_E_clIPiSE_SF_SF_EESI_SY_SJ_SK_SL_EUlSY_E0_NS1_11comp_targetILNS1_3genE2ELNS1_11target_archE906ELNS1_3gpuE6ELNS1_3repE0EEENS1_38merge_mergepath_config_static_selectorELNS0_4arch9wavefront6targetE0EEEvSK_
    .private_segment_fixed_size: 0
    .sgpr_count:     0
    .sgpr_spill_count: 0
    .symbol:         _ZN7rocprim17ROCPRIM_400000_NS6detail17trampoline_kernelINS0_14default_configENS1_38merge_sort_block_merge_config_selectorIiNS0_10empty_typeEEEZZNS1_27merge_sort_block_merge_implIS3_N6thrust23THRUST_200600_302600_NS6detail15normal_iteratorINS9_10device_ptrIiEEEEPS5_m9comp_mod3IiEEE10hipError_tT0_T1_T2_jT3_P12ihipStream_tbPNSt15iterator_traitsISJ_E10value_typeEPNSP_ISK_E10value_typeEPSL_NS1_7vsmem_tEENKUlT_SJ_SK_SL_E_clIPiSE_SF_SF_EESI_SY_SJ_SK_SL_EUlSY_E0_NS1_11comp_targetILNS1_3genE2ELNS1_11target_archE906ELNS1_3gpuE6ELNS1_3repE0EEENS1_38merge_mergepath_config_static_selectorELNS0_4arch9wavefront6targetE0EEEvSK_.kd
    .uniform_work_group_size: 1
    .uses_dynamic_stack: false
    .vgpr_count:     0
    .vgpr_spill_count: 0
    .wavefront_size: 32
    .workgroup_processor_mode: 1
  - .args:
      - .offset:         0
        .size:           80
        .value_kind:     by_value
    .group_segment_fixed_size: 0
    .kernarg_segment_align: 8
    .kernarg_segment_size: 80
    .language:       OpenCL C
    .language_version:
      - 2
      - 0
    .max_flat_workgroup_size: 256
    .name:           _ZN7rocprim17ROCPRIM_400000_NS6detail17trampoline_kernelINS0_14default_configENS1_38merge_sort_block_merge_config_selectorIiNS0_10empty_typeEEEZZNS1_27merge_sort_block_merge_implIS3_N6thrust23THRUST_200600_302600_NS6detail15normal_iteratorINS9_10device_ptrIiEEEEPS5_m9comp_mod3IiEEE10hipError_tT0_T1_T2_jT3_P12ihipStream_tbPNSt15iterator_traitsISJ_E10value_typeEPNSP_ISK_E10value_typeEPSL_NS1_7vsmem_tEENKUlT_SJ_SK_SL_E_clIPiSE_SF_SF_EESI_SY_SJ_SK_SL_EUlSY_E0_NS1_11comp_targetILNS1_3genE9ELNS1_11target_archE1100ELNS1_3gpuE3ELNS1_3repE0EEENS1_38merge_mergepath_config_static_selectorELNS0_4arch9wavefront6targetE0EEEvSK_
    .private_segment_fixed_size: 0
    .sgpr_count:     0
    .sgpr_spill_count: 0
    .symbol:         _ZN7rocprim17ROCPRIM_400000_NS6detail17trampoline_kernelINS0_14default_configENS1_38merge_sort_block_merge_config_selectorIiNS0_10empty_typeEEEZZNS1_27merge_sort_block_merge_implIS3_N6thrust23THRUST_200600_302600_NS6detail15normal_iteratorINS9_10device_ptrIiEEEEPS5_m9comp_mod3IiEEE10hipError_tT0_T1_T2_jT3_P12ihipStream_tbPNSt15iterator_traitsISJ_E10value_typeEPNSP_ISK_E10value_typeEPSL_NS1_7vsmem_tEENKUlT_SJ_SK_SL_E_clIPiSE_SF_SF_EESI_SY_SJ_SK_SL_EUlSY_E0_NS1_11comp_targetILNS1_3genE9ELNS1_11target_archE1100ELNS1_3gpuE3ELNS1_3repE0EEENS1_38merge_mergepath_config_static_selectorELNS0_4arch9wavefront6targetE0EEEvSK_.kd
    .uniform_work_group_size: 1
    .uses_dynamic_stack: false
    .vgpr_count:     0
    .vgpr_spill_count: 0
    .wavefront_size: 32
    .workgroup_processor_mode: 1
  - .args:
      - .offset:         0
        .size:           80
        .value_kind:     by_value
      - .offset:         80
        .size:           4
        .value_kind:     hidden_block_count_x
      - .offset:         84
        .size:           4
        .value_kind:     hidden_block_count_y
      - .offset:         88
        .size:           4
        .value_kind:     hidden_block_count_z
      - .offset:         92
        .size:           2
        .value_kind:     hidden_group_size_x
      - .offset:         94
        .size:           2
        .value_kind:     hidden_group_size_y
      - .offset:         96
        .size:           2
        .value_kind:     hidden_group_size_z
      - .offset:         98
        .size:           2
        .value_kind:     hidden_remainder_x
      - .offset:         100
        .size:           2
        .value_kind:     hidden_remainder_y
      - .offset:         102
        .size:           2
        .value_kind:     hidden_remainder_z
      - .offset:         120
        .size:           8
        .value_kind:     hidden_global_offset_x
      - .offset:         128
        .size:           8
        .value_kind:     hidden_global_offset_y
      - .offset:         136
        .size:           8
        .value_kind:     hidden_global_offset_z
      - .offset:         144
        .size:           2
        .value_kind:     hidden_grid_dims
    .group_segment_fixed_size: 4224
    .kernarg_segment_align: 8
    .kernarg_segment_size: 336
    .language:       OpenCL C
    .language_version:
      - 2
      - 0
    .max_flat_workgroup_size: 512
    .name:           _ZN7rocprim17ROCPRIM_400000_NS6detail17trampoline_kernelINS0_14default_configENS1_38merge_sort_block_merge_config_selectorIiNS0_10empty_typeEEEZZNS1_27merge_sort_block_merge_implIS3_N6thrust23THRUST_200600_302600_NS6detail15normal_iteratorINS9_10device_ptrIiEEEEPS5_m9comp_mod3IiEEE10hipError_tT0_T1_T2_jT3_P12ihipStream_tbPNSt15iterator_traitsISJ_E10value_typeEPNSP_ISK_E10value_typeEPSL_NS1_7vsmem_tEENKUlT_SJ_SK_SL_E_clIPiSE_SF_SF_EESI_SY_SJ_SK_SL_EUlSY_E0_NS1_11comp_targetILNS1_3genE8ELNS1_11target_archE1030ELNS1_3gpuE2ELNS1_3repE0EEENS1_38merge_mergepath_config_static_selectorELNS0_4arch9wavefront6targetE0EEEvSK_
    .private_segment_fixed_size: 0
    .sgpr_count:     34
    .sgpr_spill_count: 0
    .symbol:         _ZN7rocprim17ROCPRIM_400000_NS6detail17trampoline_kernelINS0_14default_configENS1_38merge_sort_block_merge_config_selectorIiNS0_10empty_typeEEEZZNS1_27merge_sort_block_merge_implIS3_N6thrust23THRUST_200600_302600_NS6detail15normal_iteratorINS9_10device_ptrIiEEEEPS5_m9comp_mod3IiEEE10hipError_tT0_T1_T2_jT3_P12ihipStream_tbPNSt15iterator_traitsISJ_E10value_typeEPNSP_ISK_E10value_typeEPSL_NS1_7vsmem_tEENKUlT_SJ_SK_SL_E_clIPiSE_SF_SF_EESI_SY_SJ_SK_SL_EUlSY_E0_NS1_11comp_targetILNS1_3genE8ELNS1_11target_archE1030ELNS1_3gpuE2ELNS1_3repE0EEENS1_38merge_mergepath_config_static_selectorELNS0_4arch9wavefront6targetE0EEEvSK_.kd
    .uniform_work_group_size: 1
    .uses_dynamic_stack: false
    .vgpr_count:     15
    .vgpr_spill_count: 0
    .wavefront_size: 32
    .workgroup_processor_mode: 1
  - .args:
      - .offset:         0
        .size:           56
        .value_kind:     by_value
    .group_segment_fixed_size: 0
    .kernarg_segment_align: 8
    .kernarg_segment_size: 56
    .language:       OpenCL C
    .language_version:
      - 2
      - 0
    .max_flat_workgroup_size: 256
    .name:           _ZN7rocprim17ROCPRIM_400000_NS6detail17trampoline_kernelINS0_14default_configENS1_38merge_sort_block_merge_config_selectorIiNS0_10empty_typeEEEZZNS1_27merge_sort_block_merge_implIS3_N6thrust23THRUST_200600_302600_NS6detail15normal_iteratorINS9_10device_ptrIiEEEEPS5_m9comp_mod3IiEEE10hipError_tT0_T1_T2_jT3_P12ihipStream_tbPNSt15iterator_traitsISJ_E10value_typeEPNSP_ISK_E10value_typeEPSL_NS1_7vsmem_tEENKUlT_SJ_SK_SL_E_clIPiSE_SF_SF_EESI_SY_SJ_SK_SL_EUlSY_E1_NS1_11comp_targetILNS1_3genE0ELNS1_11target_archE4294967295ELNS1_3gpuE0ELNS1_3repE0EEENS1_36merge_oddeven_config_static_selectorELNS0_4arch9wavefront6targetE0EEEvSK_
    .private_segment_fixed_size: 0
    .sgpr_count:     0
    .sgpr_spill_count: 0
    .symbol:         _ZN7rocprim17ROCPRIM_400000_NS6detail17trampoline_kernelINS0_14default_configENS1_38merge_sort_block_merge_config_selectorIiNS0_10empty_typeEEEZZNS1_27merge_sort_block_merge_implIS3_N6thrust23THRUST_200600_302600_NS6detail15normal_iteratorINS9_10device_ptrIiEEEEPS5_m9comp_mod3IiEEE10hipError_tT0_T1_T2_jT3_P12ihipStream_tbPNSt15iterator_traitsISJ_E10value_typeEPNSP_ISK_E10value_typeEPSL_NS1_7vsmem_tEENKUlT_SJ_SK_SL_E_clIPiSE_SF_SF_EESI_SY_SJ_SK_SL_EUlSY_E1_NS1_11comp_targetILNS1_3genE0ELNS1_11target_archE4294967295ELNS1_3gpuE0ELNS1_3repE0EEENS1_36merge_oddeven_config_static_selectorELNS0_4arch9wavefront6targetE0EEEvSK_.kd
    .uniform_work_group_size: 1
    .uses_dynamic_stack: false
    .vgpr_count:     0
    .vgpr_spill_count: 0
    .wavefront_size: 32
    .workgroup_processor_mode: 1
  - .args:
      - .offset:         0
        .size:           56
        .value_kind:     by_value
    .group_segment_fixed_size: 0
    .kernarg_segment_align: 8
    .kernarg_segment_size: 56
    .language:       OpenCL C
    .language_version:
      - 2
      - 0
    .max_flat_workgroup_size: 256
    .name:           _ZN7rocprim17ROCPRIM_400000_NS6detail17trampoline_kernelINS0_14default_configENS1_38merge_sort_block_merge_config_selectorIiNS0_10empty_typeEEEZZNS1_27merge_sort_block_merge_implIS3_N6thrust23THRUST_200600_302600_NS6detail15normal_iteratorINS9_10device_ptrIiEEEEPS5_m9comp_mod3IiEEE10hipError_tT0_T1_T2_jT3_P12ihipStream_tbPNSt15iterator_traitsISJ_E10value_typeEPNSP_ISK_E10value_typeEPSL_NS1_7vsmem_tEENKUlT_SJ_SK_SL_E_clIPiSE_SF_SF_EESI_SY_SJ_SK_SL_EUlSY_E1_NS1_11comp_targetILNS1_3genE10ELNS1_11target_archE1201ELNS1_3gpuE5ELNS1_3repE0EEENS1_36merge_oddeven_config_static_selectorELNS0_4arch9wavefront6targetE0EEEvSK_
    .private_segment_fixed_size: 0
    .sgpr_count:     0
    .sgpr_spill_count: 0
    .symbol:         _ZN7rocprim17ROCPRIM_400000_NS6detail17trampoline_kernelINS0_14default_configENS1_38merge_sort_block_merge_config_selectorIiNS0_10empty_typeEEEZZNS1_27merge_sort_block_merge_implIS3_N6thrust23THRUST_200600_302600_NS6detail15normal_iteratorINS9_10device_ptrIiEEEEPS5_m9comp_mod3IiEEE10hipError_tT0_T1_T2_jT3_P12ihipStream_tbPNSt15iterator_traitsISJ_E10value_typeEPNSP_ISK_E10value_typeEPSL_NS1_7vsmem_tEENKUlT_SJ_SK_SL_E_clIPiSE_SF_SF_EESI_SY_SJ_SK_SL_EUlSY_E1_NS1_11comp_targetILNS1_3genE10ELNS1_11target_archE1201ELNS1_3gpuE5ELNS1_3repE0EEENS1_36merge_oddeven_config_static_selectorELNS0_4arch9wavefront6targetE0EEEvSK_.kd
    .uniform_work_group_size: 1
    .uses_dynamic_stack: false
    .vgpr_count:     0
    .vgpr_spill_count: 0
    .wavefront_size: 32
    .workgroup_processor_mode: 1
  - .args:
      - .offset:         0
        .size:           56
        .value_kind:     by_value
    .group_segment_fixed_size: 0
    .kernarg_segment_align: 8
    .kernarg_segment_size: 56
    .language:       OpenCL C
    .language_version:
      - 2
      - 0
    .max_flat_workgroup_size: 256
    .name:           _ZN7rocprim17ROCPRIM_400000_NS6detail17trampoline_kernelINS0_14default_configENS1_38merge_sort_block_merge_config_selectorIiNS0_10empty_typeEEEZZNS1_27merge_sort_block_merge_implIS3_N6thrust23THRUST_200600_302600_NS6detail15normal_iteratorINS9_10device_ptrIiEEEEPS5_m9comp_mod3IiEEE10hipError_tT0_T1_T2_jT3_P12ihipStream_tbPNSt15iterator_traitsISJ_E10value_typeEPNSP_ISK_E10value_typeEPSL_NS1_7vsmem_tEENKUlT_SJ_SK_SL_E_clIPiSE_SF_SF_EESI_SY_SJ_SK_SL_EUlSY_E1_NS1_11comp_targetILNS1_3genE5ELNS1_11target_archE942ELNS1_3gpuE9ELNS1_3repE0EEENS1_36merge_oddeven_config_static_selectorELNS0_4arch9wavefront6targetE0EEEvSK_
    .private_segment_fixed_size: 0
    .sgpr_count:     0
    .sgpr_spill_count: 0
    .symbol:         _ZN7rocprim17ROCPRIM_400000_NS6detail17trampoline_kernelINS0_14default_configENS1_38merge_sort_block_merge_config_selectorIiNS0_10empty_typeEEEZZNS1_27merge_sort_block_merge_implIS3_N6thrust23THRUST_200600_302600_NS6detail15normal_iteratorINS9_10device_ptrIiEEEEPS5_m9comp_mod3IiEEE10hipError_tT0_T1_T2_jT3_P12ihipStream_tbPNSt15iterator_traitsISJ_E10value_typeEPNSP_ISK_E10value_typeEPSL_NS1_7vsmem_tEENKUlT_SJ_SK_SL_E_clIPiSE_SF_SF_EESI_SY_SJ_SK_SL_EUlSY_E1_NS1_11comp_targetILNS1_3genE5ELNS1_11target_archE942ELNS1_3gpuE9ELNS1_3repE0EEENS1_36merge_oddeven_config_static_selectorELNS0_4arch9wavefront6targetE0EEEvSK_.kd
    .uniform_work_group_size: 1
    .uses_dynamic_stack: false
    .vgpr_count:     0
    .vgpr_spill_count: 0
    .wavefront_size: 32
    .workgroup_processor_mode: 1
  - .args:
      - .offset:         0
        .size:           56
        .value_kind:     by_value
    .group_segment_fixed_size: 0
    .kernarg_segment_align: 8
    .kernarg_segment_size: 56
    .language:       OpenCL C
    .language_version:
      - 2
      - 0
    .max_flat_workgroup_size: 256
    .name:           _ZN7rocprim17ROCPRIM_400000_NS6detail17trampoline_kernelINS0_14default_configENS1_38merge_sort_block_merge_config_selectorIiNS0_10empty_typeEEEZZNS1_27merge_sort_block_merge_implIS3_N6thrust23THRUST_200600_302600_NS6detail15normal_iteratorINS9_10device_ptrIiEEEEPS5_m9comp_mod3IiEEE10hipError_tT0_T1_T2_jT3_P12ihipStream_tbPNSt15iterator_traitsISJ_E10value_typeEPNSP_ISK_E10value_typeEPSL_NS1_7vsmem_tEENKUlT_SJ_SK_SL_E_clIPiSE_SF_SF_EESI_SY_SJ_SK_SL_EUlSY_E1_NS1_11comp_targetILNS1_3genE4ELNS1_11target_archE910ELNS1_3gpuE8ELNS1_3repE0EEENS1_36merge_oddeven_config_static_selectorELNS0_4arch9wavefront6targetE0EEEvSK_
    .private_segment_fixed_size: 0
    .sgpr_count:     0
    .sgpr_spill_count: 0
    .symbol:         _ZN7rocprim17ROCPRIM_400000_NS6detail17trampoline_kernelINS0_14default_configENS1_38merge_sort_block_merge_config_selectorIiNS0_10empty_typeEEEZZNS1_27merge_sort_block_merge_implIS3_N6thrust23THRUST_200600_302600_NS6detail15normal_iteratorINS9_10device_ptrIiEEEEPS5_m9comp_mod3IiEEE10hipError_tT0_T1_T2_jT3_P12ihipStream_tbPNSt15iterator_traitsISJ_E10value_typeEPNSP_ISK_E10value_typeEPSL_NS1_7vsmem_tEENKUlT_SJ_SK_SL_E_clIPiSE_SF_SF_EESI_SY_SJ_SK_SL_EUlSY_E1_NS1_11comp_targetILNS1_3genE4ELNS1_11target_archE910ELNS1_3gpuE8ELNS1_3repE0EEENS1_36merge_oddeven_config_static_selectorELNS0_4arch9wavefront6targetE0EEEvSK_.kd
    .uniform_work_group_size: 1
    .uses_dynamic_stack: false
    .vgpr_count:     0
    .vgpr_spill_count: 0
    .wavefront_size: 32
    .workgroup_processor_mode: 1
  - .args:
      - .offset:         0
        .size:           56
        .value_kind:     by_value
    .group_segment_fixed_size: 0
    .kernarg_segment_align: 8
    .kernarg_segment_size: 56
    .language:       OpenCL C
    .language_version:
      - 2
      - 0
    .max_flat_workgroup_size: 256
    .name:           _ZN7rocprim17ROCPRIM_400000_NS6detail17trampoline_kernelINS0_14default_configENS1_38merge_sort_block_merge_config_selectorIiNS0_10empty_typeEEEZZNS1_27merge_sort_block_merge_implIS3_N6thrust23THRUST_200600_302600_NS6detail15normal_iteratorINS9_10device_ptrIiEEEEPS5_m9comp_mod3IiEEE10hipError_tT0_T1_T2_jT3_P12ihipStream_tbPNSt15iterator_traitsISJ_E10value_typeEPNSP_ISK_E10value_typeEPSL_NS1_7vsmem_tEENKUlT_SJ_SK_SL_E_clIPiSE_SF_SF_EESI_SY_SJ_SK_SL_EUlSY_E1_NS1_11comp_targetILNS1_3genE3ELNS1_11target_archE908ELNS1_3gpuE7ELNS1_3repE0EEENS1_36merge_oddeven_config_static_selectorELNS0_4arch9wavefront6targetE0EEEvSK_
    .private_segment_fixed_size: 0
    .sgpr_count:     0
    .sgpr_spill_count: 0
    .symbol:         _ZN7rocprim17ROCPRIM_400000_NS6detail17trampoline_kernelINS0_14default_configENS1_38merge_sort_block_merge_config_selectorIiNS0_10empty_typeEEEZZNS1_27merge_sort_block_merge_implIS3_N6thrust23THRUST_200600_302600_NS6detail15normal_iteratorINS9_10device_ptrIiEEEEPS5_m9comp_mod3IiEEE10hipError_tT0_T1_T2_jT3_P12ihipStream_tbPNSt15iterator_traitsISJ_E10value_typeEPNSP_ISK_E10value_typeEPSL_NS1_7vsmem_tEENKUlT_SJ_SK_SL_E_clIPiSE_SF_SF_EESI_SY_SJ_SK_SL_EUlSY_E1_NS1_11comp_targetILNS1_3genE3ELNS1_11target_archE908ELNS1_3gpuE7ELNS1_3repE0EEENS1_36merge_oddeven_config_static_selectorELNS0_4arch9wavefront6targetE0EEEvSK_.kd
    .uniform_work_group_size: 1
    .uses_dynamic_stack: false
    .vgpr_count:     0
    .vgpr_spill_count: 0
    .wavefront_size: 32
    .workgroup_processor_mode: 1
  - .args:
      - .offset:         0
        .size:           56
        .value_kind:     by_value
    .group_segment_fixed_size: 0
    .kernarg_segment_align: 8
    .kernarg_segment_size: 56
    .language:       OpenCL C
    .language_version:
      - 2
      - 0
    .max_flat_workgroup_size: 256
    .name:           _ZN7rocprim17ROCPRIM_400000_NS6detail17trampoline_kernelINS0_14default_configENS1_38merge_sort_block_merge_config_selectorIiNS0_10empty_typeEEEZZNS1_27merge_sort_block_merge_implIS3_N6thrust23THRUST_200600_302600_NS6detail15normal_iteratorINS9_10device_ptrIiEEEEPS5_m9comp_mod3IiEEE10hipError_tT0_T1_T2_jT3_P12ihipStream_tbPNSt15iterator_traitsISJ_E10value_typeEPNSP_ISK_E10value_typeEPSL_NS1_7vsmem_tEENKUlT_SJ_SK_SL_E_clIPiSE_SF_SF_EESI_SY_SJ_SK_SL_EUlSY_E1_NS1_11comp_targetILNS1_3genE2ELNS1_11target_archE906ELNS1_3gpuE6ELNS1_3repE0EEENS1_36merge_oddeven_config_static_selectorELNS0_4arch9wavefront6targetE0EEEvSK_
    .private_segment_fixed_size: 0
    .sgpr_count:     0
    .sgpr_spill_count: 0
    .symbol:         _ZN7rocprim17ROCPRIM_400000_NS6detail17trampoline_kernelINS0_14default_configENS1_38merge_sort_block_merge_config_selectorIiNS0_10empty_typeEEEZZNS1_27merge_sort_block_merge_implIS3_N6thrust23THRUST_200600_302600_NS6detail15normal_iteratorINS9_10device_ptrIiEEEEPS5_m9comp_mod3IiEEE10hipError_tT0_T1_T2_jT3_P12ihipStream_tbPNSt15iterator_traitsISJ_E10value_typeEPNSP_ISK_E10value_typeEPSL_NS1_7vsmem_tEENKUlT_SJ_SK_SL_E_clIPiSE_SF_SF_EESI_SY_SJ_SK_SL_EUlSY_E1_NS1_11comp_targetILNS1_3genE2ELNS1_11target_archE906ELNS1_3gpuE6ELNS1_3repE0EEENS1_36merge_oddeven_config_static_selectorELNS0_4arch9wavefront6targetE0EEEvSK_.kd
    .uniform_work_group_size: 1
    .uses_dynamic_stack: false
    .vgpr_count:     0
    .vgpr_spill_count: 0
    .wavefront_size: 32
    .workgroup_processor_mode: 1
  - .args:
      - .offset:         0
        .size:           56
        .value_kind:     by_value
    .group_segment_fixed_size: 0
    .kernarg_segment_align: 8
    .kernarg_segment_size: 56
    .language:       OpenCL C
    .language_version:
      - 2
      - 0
    .max_flat_workgroup_size: 256
    .name:           _ZN7rocprim17ROCPRIM_400000_NS6detail17trampoline_kernelINS0_14default_configENS1_38merge_sort_block_merge_config_selectorIiNS0_10empty_typeEEEZZNS1_27merge_sort_block_merge_implIS3_N6thrust23THRUST_200600_302600_NS6detail15normal_iteratorINS9_10device_ptrIiEEEEPS5_m9comp_mod3IiEEE10hipError_tT0_T1_T2_jT3_P12ihipStream_tbPNSt15iterator_traitsISJ_E10value_typeEPNSP_ISK_E10value_typeEPSL_NS1_7vsmem_tEENKUlT_SJ_SK_SL_E_clIPiSE_SF_SF_EESI_SY_SJ_SK_SL_EUlSY_E1_NS1_11comp_targetILNS1_3genE9ELNS1_11target_archE1100ELNS1_3gpuE3ELNS1_3repE0EEENS1_36merge_oddeven_config_static_selectorELNS0_4arch9wavefront6targetE0EEEvSK_
    .private_segment_fixed_size: 0
    .sgpr_count:     0
    .sgpr_spill_count: 0
    .symbol:         _ZN7rocprim17ROCPRIM_400000_NS6detail17trampoline_kernelINS0_14default_configENS1_38merge_sort_block_merge_config_selectorIiNS0_10empty_typeEEEZZNS1_27merge_sort_block_merge_implIS3_N6thrust23THRUST_200600_302600_NS6detail15normal_iteratorINS9_10device_ptrIiEEEEPS5_m9comp_mod3IiEEE10hipError_tT0_T1_T2_jT3_P12ihipStream_tbPNSt15iterator_traitsISJ_E10value_typeEPNSP_ISK_E10value_typeEPSL_NS1_7vsmem_tEENKUlT_SJ_SK_SL_E_clIPiSE_SF_SF_EESI_SY_SJ_SK_SL_EUlSY_E1_NS1_11comp_targetILNS1_3genE9ELNS1_11target_archE1100ELNS1_3gpuE3ELNS1_3repE0EEENS1_36merge_oddeven_config_static_selectorELNS0_4arch9wavefront6targetE0EEEvSK_.kd
    .uniform_work_group_size: 1
    .uses_dynamic_stack: false
    .vgpr_count:     0
    .vgpr_spill_count: 0
    .wavefront_size: 32
    .workgroup_processor_mode: 1
  - .args:
      - .offset:         0
        .size:           56
        .value_kind:     by_value
    .group_segment_fixed_size: 0
    .kernarg_segment_align: 8
    .kernarg_segment_size: 56
    .language:       OpenCL C
    .language_version:
      - 2
      - 0
    .max_flat_workgroup_size: 256
    .name:           _ZN7rocprim17ROCPRIM_400000_NS6detail17trampoline_kernelINS0_14default_configENS1_38merge_sort_block_merge_config_selectorIiNS0_10empty_typeEEEZZNS1_27merge_sort_block_merge_implIS3_N6thrust23THRUST_200600_302600_NS6detail15normal_iteratorINS9_10device_ptrIiEEEEPS5_m9comp_mod3IiEEE10hipError_tT0_T1_T2_jT3_P12ihipStream_tbPNSt15iterator_traitsISJ_E10value_typeEPNSP_ISK_E10value_typeEPSL_NS1_7vsmem_tEENKUlT_SJ_SK_SL_E_clIPiSE_SF_SF_EESI_SY_SJ_SK_SL_EUlSY_E1_NS1_11comp_targetILNS1_3genE8ELNS1_11target_archE1030ELNS1_3gpuE2ELNS1_3repE0EEENS1_36merge_oddeven_config_static_selectorELNS0_4arch9wavefront6targetE0EEEvSK_
    .private_segment_fixed_size: 0
    .sgpr_count:     20
    .sgpr_spill_count: 0
    .symbol:         _ZN7rocprim17ROCPRIM_400000_NS6detail17trampoline_kernelINS0_14default_configENS1_38merge_sort_block_merge_config_selectorIiNS0_10empty_typeEEEZZNS1_27merge_sort_block_merge_implIS3_N6thrust23THRUST_200600_302600_NS6detail15normal_iteratorINS9_10device_ptrIiEEEEPS5_m9comp_mod3IiEEE10hipError_tT0_T1_T2_jT3_P12ihipStream_tbPNSt15iterator_traitsISJ_E10value_typeEPNSP_ISK_E10value_typeEPSL_NS1_7vsmem_tEENKUlT_SJ_SK_SL_E_clIPiSE_SF_SF_EESI_SY_SJ_SK_SL_EUlSY_E1_NS1_11comp_targetILNS1_3genE8ELNS1_11target_archE1030ELNS1_3gpuE2ELNS1_3repE0EEENS1_36merge_oddeven_config_static_selectorELNS0_4arch9wavefront6targetE0EEEvSK_.kd
    .uniform_work_group_size: 1
    .uses_dynamic_stack: false
    .vgpr_count:     13
    .vgpr_spill_count: 0
    .wavefront_size: 32
    .workgroup_processor_mode: 1
  - .args:
      - .offset:         0
        .size:           48
        .value_kind:     by_value
    .group_segment_fixed_size: 0
    .kernarg_segment_align: 8
    .kernarg_segment_size: 48
    .language:       OpenCL C
    .language_version:
      - 2
      - 0
    .max_flat_workgroup_size: 128
    .name:           _ZN7rocprim17ROCPRIM_400000_NS6detail17trampoline_kernelINS0_14default_configENS1_38merge_sort_block_merge_config_selectorIiNS0_10empty_typeEEEZZNS1_27merge_sort_block_merge_implIS3_N6thrust23THRUST_200600_302600_NS6detail15normal_iteratorINS9_10device_ptrIiEEEEPS5_m9comp_mod3IiEEE10hipError_tT0_T1_T2_jT3_P12ihipStream_tbPNSt15iterator_traitsISJ_E10value_typeEPNSP_ISK_E10value_typeEPSL_NS1_7vsmem_tEENKUlT_SJ_SK_SL_E_clISE_PiSF_SF_EESI_SY_SJ_SK_SL_EUlSY_E_NS1_11comp_targetILNS1_3genE0ELNS1_11target_archE4294967295ELNS1_3gpuE0ELNS1_3repE0EEENS1_48merge_mergepath_partition_config_static_selectorELNS0_4arch9wavefront6targetE0EEEvSK_
    .private_segment_fixed_size: 0
    .sgpr_count:     0
    .sgpr_spill_count: 0
    .symbol:         _ZN7rocprim17ROCPRIM_400000_NS6detail17trampoline_kernelINS0_14default_configENS1_38merge_sort_block_merge_config_selectorIiNS0_10empty_typeEEEZZNS1_27merge_sort_block_merge_implIS3_N6thrust23THRUST_200600_302600_NS6detail15normal_iteratorINS9_10device_ptrIiEEEEPS5_m9comp_mod3IiEEE10hipError_tT0_T1_T2_jT3_P12ihipStream_tbPNSt15iterator_traitsISJ_E10value_typeEPNSP_ISK_E10value_typeEPSL_NS1_7vsmem_tEENKUlT_SJ_SK_SL_E_clISE_PiSF_SF_EESI_SY_SJ_SK_SL_EUlSY_E_NS1_11comp_targetILNS1_3genE0ELNS1_11target_archE4294967295ELNS1_3gpuE0ELNS1_3repE0EEENS1_48merge_mergepath_partition_config_static_selectorELNS0_4arch9wavefront6targetE0EEEvSK_.kd
    .uniform_work_group_size: 1
    .uses_dynamic_stack: false
    .vgpr_count:     0
    .vgpr_spill_count: 0
    .wavefront_size: 32
    .workgroup_processor_mode: 1
  - .args:
      - .offset:         0
        .size:           48
        .value_kind:     by_value
    .group_segment_fixed_size: 0
    .kernarg_segment_align: 8
    .kernarg_segment_size: 48
    .language:       OpenCL C
    .language_version:
      - 2
      - 0
    .max_flat_workgroup_size: 128
    .name:           _ZN7rocprim17ROCPRIM_400000_NS6detail17trampoline_kernelINS0_14default_configENS1_38merge_sort_block_merge_config_selectorIiNS0_10empty_typeEEEZZNS1_27merge_sort_block_merge_implIS3_N6thrust23THRUST_200600_302600_NS6detail15normal_iteratorINS9_10device_ptrIiEEEEPS5_m9comp_mod3IiEEE10hipError_tT0_T1_T2_jT3_P12ihipStream_tbPNSt15iterator_traitsISJ_E10value_typeEPNSP_ISK_E10value_typeEPSL_NS1_7vsmem_tEENKUlT_SJ_SK_SL_E_clISE_PiSF_SF_EESI_SY_SJ_SK_SL_EUlSY_E_NS1_11comp_targetILNS1_3genE10ELNS1_11target_archE1201ELNS1_3gpuE5ELNS1_3repE0EEENS1_48merge_mergepath_partition_config_static_selectorELNS0_4arch9wavefront6targetE0EEEvSK_
    .private_segment_fixed_size: 0
    .sgpr_count:     0
    .sgpr_spill_count: 0
    .symbol:         _ZN7rocprim17ROCPRIM_400000_NS6detail17trampoline_kernelINS0_14default_configENS1_38merge_sort_block_merge_config_selectorIiNS0_10empty_typeEEEZZNS1_27merge_sort_block_merge_implIS3_N6thrust23THRUST_200600_302600_NS6detail15normal_iteratorINS9_10device_ptrIiEEEEPS5_m9comp_mod3IiEEE10hipError_tT0_T1_T2_jT3_P12ihipStream_tbPNSt15iterator_traitsISJ_E10value_typeEPNSP_ISK_E10value_typeEPSL_NS1_7vsmem_tEENKUlT_SJ_SK_SL_E_clISE_PiSF_SF_EESI_SY_SJ_SK_SL_EUlSY_E_NS1_11comp_targetILNS1_3genE10ELNS1_11target_archE1201ELNS1_3gpuE5ELNS1_3repE0EEENS1_48merge_mergepath_partition_config_static_selectorELNS0_4arch9wavefront6targetE0EEEvSK_.kd
    .uniform_work_group_size: 1
    .uses_dynamic_stack: false
    .vgpr_count:     0
    .vgpr_spill_count: 0
    .wavefront_size: 32
    .workgroup_processor_mode: 1
  - .args:
      - .offset:         0
        .size:           48
        .value_kind:     by_value
    .group_segment_fixed_size: 0
    .kernarg_segment_align: 8
    .kernarg_segment_size: 48
    .language:       OpenCL C
    .language_version:
      - 2
      - 0
    .max_flat_workgroup_size: 128
    .name:           _ZN7rocprim17ROCPRIM_400000_NS6detail17trampoline_kernelINS0_14default_configENS1_38merge_sort_block_merge_config_selectorIiNS0_10empty_typeEEEZZNS1_27merge_sort_block_merge_implIS3_N6thrust23THRUST_200600_302600_NS6detail15normal_iteratorINS9_10device_ptrIiEEEEPS5_m9comp_mod3IiEEE10hipError_tT0_T1_T2_jT3_P12ihipStream_tbPNSt15iterator_traitsISJ_E10value_typeEPNSP_ISK_E10value_typeEPSL_NS1_7vsmem_tEENKUlT_SJ_SK_SL_E_clISE_PiSF_SF_EESI_SY_SJ_SK_SL_EUlSY_E_NS1_11comp_targetILNS1_3genE5ELNS1_11target_archE942ELNS1_3gpuE9ELNS1_3repE0EEENS1_48merge_mergepath_partition_config_static_selectorELNS0_4arch9wavefront6targetE0EEEvSK_
    .private_segment_fixed_size: 0
    .sgpr_count:     0
    .sgpr_spill_count: 0
    .symbol:         _ZN7rocprim17ROCPRIM_400000_NS6detail17trampoline_kernelINS0_14default_configENS1_38merge_sort_block_merge_config_selectorIiNS0_10empty_typeEEEZZNS1_27merge_sort_block_merge_implIS3_N6thrust23THRUST_200600_302600_NS6detail15normal_iteratorINS9_10device_ptrIiEEEEPS5_m9comp_mod3IiEEE10hipError_tT0_T1_T2_jT3_P12ihipStream_tbPNSt15iterator_traitsISJ_E10value_typeEPNSP_ISK_E10value_typeEPSL_NS1_7vsmem_tEENKUlT_SJ_SK_SL_E_clISE_PiSF_SF_EESI_SY_SJ_SK_SL_EUlSY_E_NS1_11comp_targetILNS1_3genE5ELNS1_11target_archE942ELNS1_3gpuE9ELNS1_3repE0EEENS1_48merge_mergepath_partition_config_static_selectorELNS0_4arch9wavefront6targetE0EEEvSK_.kd
    .uniform_work_group_size: 1
    .uses_dynamic_stack: false
    .vgpr_count:     0
    .vgpr_spill_count: 0
    .wavefront_size: 32
    .workgroup_processor_mode: 1
  - .args:
      - .offset:         0
        .size:           48
        .value_kind:     by_value
    .group_segment_fixed_size: 0
    .kernarg_segment_align: 8
    .kernarg_segment_size: 48
    .language:       OpenCL C
    .language_version:
      - 2
      - 0
    .max_flat_workgroup_size: 128
    .name:           _ZN7rocprim17ROCPRIM_400000_NS6detail17trampoline_kernelINS0_14default_configENS1_38merge_sort_block_merge_config_selectorIiNS0_10empty_typeEEEZZNS1_27merge_sort_block_merge_implIS3_N6thrust23THRUST_200600_302600_NS6detail15normal_iteratorINS9_10device_ptrIiEEEEPS5_m9comp_mod3IiEEE10hipError_tT0_T1_T2_jT3_P12ihipStream_tbPNSt15iterator_traitsISJ_E10value_typeEPNSP_ISK_E10value_typeEPSL_NS1_7vsmem_tEENKUlT_SJ_SK_SL_E_clISE_PiSF_SF_EESI_SY_SJ_SK_SL_EUlSY_E_NS1_11comp_targetILNS1_3genE4ELNS1_11target_archE910ELNS1_3gpuE8ELNS1_3repE0EEENS1_48merge_mergepath_partition_config_static_selectorELNS0_4arch9wavefront6targetE0EEEvSK_
    .private_segment_fixed_size: 0
    .sgpr_count:     0
    .sgpr_spill_count: 0
    .symbol:         _ZN7rocprim17ROCPRIM_400000_NS6detail17trampoline_kernelINS0_14default_configENS1_38merge_sort_block_merge_config_selectorIiNS0_10empty_typeEEEZZNS1_27merge_sort_block_merge_implIS3_N6thrust23THRUST_200600_302600_NS6detail15normal_iteratorINS9_10device_ptrIiEEEEPS5_m9comp_mod3IiEEE10hipError_tT0_T1_T2_jT3_P12ihipStream_tbPNSt15iterator_traitsISJ_E10value_typeEPNSP_ISK_E10value_typeEPSL_NS1_7vsmem_tEENKUlT_SJ_SK_SL_E_clISE_PiSF_SF_EESI_SY_SJ_SK_SL_EUlSY_E_NS1_11comp_targetILNS1_3genE4ELNS1_11target_archE910ELNS1_3gpuE8ELNS1_3repE0EEENS1_48merge_mergepath_partition_config_static_selectorELNS0_4arch9wavefront6targetE0EEEvSK_.kd
    .uniform_work_group_size: 1
    .uses_dynamic_stack: false
    .vgpr_count:     0
    .vgpr_spill_count: 0
    .wavefront_size: 32
    .workgroup_processor_mode: 1
  - .args:
      - .offset:         0
        .size:           48
        .value_kind:     by_value
    .group_segment_fixed_size: 0
    .kernarg_segment_align: 8
    .kernarg_segment_size: 48
    .language:       OpenCL C
    .language_version:
      - 2
      - 0
    .max_flat_workgroup_size: 128
    .name:           _ZN7rocprim17ROCPRIM_400000_NS6detail17trampoline_kernelINS0_14default_configENS1_38merge_sort_block_merge_config_selectorIiNS0_10empty_typeEEEZZNS1_27merge_sort_block_merge_implIS3_N6thrust23THRUST_200600_302600_NS6detail15normal_iteratorINS9_10device_ptrIiEEEEPS5_m9comp_mod3IiEEE10hipError_tT0_T1_T2_jT3_P12ihipStream_tbPNSt15iterator_traitsISJ_E10value_typeEPNSP_ISK_E10value_typeEPSL_NS1_7vsmem_tEENKUlT_SJ_SK_SL_E_clISE_PiSF_SF_EESI_SY_SJ_SK_SL_EUlSY_E_NS1_11comp_targetILNS1_3genE3ELNS1_11target_archE908ELNS1_3gpuE7ELNS1_3repE0EEENS1_48merge_mergepath_partition_config_static_selectorELNS0_4arch9wavefront6targetE0EEEvSK_
    .private_segment_fixed_size: 0
    .sgpr_count:     0
    .sgpr_spill_count: 0
    .symbol:         _ZN7rocprim17ROCPRIM_400000_NS6detail17trampoline_kernelINS0_14default_configENS1_38merge_sort_block_merge_config_selectorIiNS0_10empty_typeEEEZZNS1_27merge_sort_block_merge_implIS3_N6thrust23THRUST_200600_302600_NS6detail15normal_iteratorINS9_10device_ptrIiEEEEPS5_m9comp_mod3IiEEE10hipError_tT0_T1_T2_jT3_P12ihipStream_tbPNSt15iterator_traitsISJ_E10value_typeEPNSP_ISK_E10value_typeEPSL_NS1_7vsmem_tEENKUlT_SJ_SK_SL_E_clISE_PiSF_SF_EESI_SY_SJ_SK_SL_EUlSY_E_NS1_11comp_targetILNS1_3genE3ELNS1_11target_archE908ELNS1_3gpuE7ELNS1_3repE0EEENS1_48merge_mergepath_partition_config_static_selectorELNS0_4arch9wavefront6targetE0EEEvSK_.kd
    .uniform_work_group_size: 1
    .uses_dynamic_stack: false
    .vgpr_count:     0
    .vgpr_spill_count: 0
    .wavefront_size: 32
    .workgroup_processor_mode: 1
  - .args:
      - .offset:         0
        .size:           48
        .value_kind:     by_value
    .group_segment_fixed_size: 0
    .kernarg_segment_align: 8
    .kernarg_segment_size: 48
    .language:       OpenCL C
    .language_version:
      - 2
      - 0
    .max_flat_workgroup_size: 128
    .name:           _ZN7rocprim17ROCPRIM_400000_NS6detail17trampoline_kernelINS0_14default_configENS1_38merge_sort_block_merge_config_selectorIiNS0_10empty_typeEEEZZNS1_27merge_sort_block_merge_implIS3_N6thrust23THRUST_200600_302600_NS6detail15normal_iteratorINS9_10device_ptrIiEEEEPS5_m9comp_mod3IiEEE10hipError_tT0_T1_T2_jT3_P12ihipStream_tbPNSt15iterator_traitsISJ_E10value_typeEPNSP_ISK_E10value_typeEPSL_NS1_7vsmem_tEENKUlT_SJ_SK_SL_E_clISE_PiSF_SF_EESI_SY_SJ_SK_SL_EUlSY_E_NS1_11comp_targetILNS1_3genE2ELNS1_11target_archE906ELNS1_3gpuE6ELNS1_3repE0EEENS1_48merge_mergepath_partition_config_static_selectorELNS0_4arch9wavefront6targetE0EEEvSK_
    .private_segment_fixed_size: 0
    .sgpr_count:     0
    .sgpr_spill_count: 0
    .symbol:         _ZN7rocprim17ROCPRIM_400000_NS6detail17trampoline_kernelINS0_14default_configENS1_38merge_sort_block_merge_config_selectorIiNS0_10empty_typeEEEZZNS1_27merge_sort_block_merge_implIS3_N6thrust23THRUST_200600_302600_NS6detail15normal_iteratorINS9_10device_ptrIiEEEEPS5_m9comp_mod3IiEEE10hipError_tT0_T1_T2_jT3_P12ihipStream_tbPNSt15iterator_traitsISJ_E10value_typeEPNSP_ISK_E10value_typeEPSL_NS1_7vsmem_tEENKUlT_SJ_SK_SL_E_clISE_PiSF_SF_EESI_SY_SJ_SK_SL_EUlSY_E_NS1_11comp_targetILNS1_3genE2ELNS1_11target_archE906ELNS1_3gpuE6ELNS1_3repE0EEENS1_48merge_mergepath_partition_config_static_selectorELNS0_4arch9wavefront6targetE0EEEvSK_.kd
    .uniform_work_group_size: 1
    .uses_dynamic_stack: false
    .vgpr_count:     0
    .vgpr_spill_count: 0
    .wavefront_size: 32
    .workgroup_processor_mode: 1
  - .args:
      - .offset:         0
        .size:           48
        .value_kind:     by_value
    .group_segment_fixed_size: 0
    .kernarg_segment_align: 8
    .kernarg_segment_size: 48
    .language:       OpenCL C
    .language_version:
      - 2
      - 0
    .max_flat_workgroup_size: 128
    .name:           _ZN7rocprim17ROCPRIM_400000_NS6detail17trampoline_kernelINS0_14default_configENS1_38merge_sort_block_merge_config_selectorIiNS0_10empty_typeEEEZZNS1_27merge_sort_block_merge_implIS3_N6thrust23THRUST_200600_302600_NS6detail15normal_iteratorINS9_10device_ptrIiEEEEPS5_m9comp_mod3IiEEE10hipError_tT0_T1_T2_jT3_P12ihipStream_tbPNSt15iterator_traitsISJ_E10value_typeEPNSP_ISK_E10value_typeEPSL_NS1_7vsmem_tEENKUlT_SJ_SK_SL_E_clISE_PiSF_SF_EESI_SY_SJ_SK_SL_EUlSY_E_NS1_11comp_targetILNS1_3genE9ELNS1_11target_archE1100ELNS1_3gpuE3ELNS1_3repE0EEENS1_48merge_mergepath_partition_config_static_selectorELNS0_4arch9wavefront6targetE0EEEvSK_
    .private_segment_fixed_size: 0
    .sgpr_count:     0
    .sgpr_spill_count: 0
    .symbol:         _ZN7rocprim17ROCPRIM_400000_NS6detail17trampoline_kernelINS0_14default_configENS1_38merge_sort_block_merge_config_selectorIiNS0_10empty_typeEEEZZNS1_27merge_sort_block_merge_implIS3_N6thrust23THRUST_200600_302600_NS6detail15normal_iteratorINS9_10device_ptrIiEEEEPS5_m9comp_mod3IiEEE10hipError_tT0_T1_T2_jT3_P12ihipStream_tbPNSt15iterator_traitsISJ_E10value_typeEPNSP_ISK_E10value_typeEPSL_NS1_7vsmem_tEENKUlT_SJ_SK_SL_E_clISE_PiSF_SF_EESI_SY_SJ_SK_SL_EUlSY_E_NS1_11comp_targetILNS1_3genE9ELNS1_11target_archE1100ELNS1_3gpuE3ELNS1_3repE0EEENS1_48merge_mergepath_partition_config_static_selectorELNS0_4arch9wavefront6targetE0EEEvSK_.kd
    .uniform_work_group_size: 1
    .uses_dynamic_stack: false
    .vgpr_count:     0
    .vgpr_spill_count: 0
    .wavefront_size: 32
    .workgroup_processor_mode: 1
  - .args:
      - .offset:         0
        .size:           48
        .value_kind:     by_value
    .group_segment_fixed_size: 0
    .kernarg_segment_align: 8
    .kernarg_segment_size: 48
    .language:       OpenCL C
    .language_version:
      - 2
      - 0
    .max_flat_workgroup_size: 128
    .name:           _ZN7rocprim17ROCPRIM_400000_NS6detail17trampoline_kernelINS0_14default_configENS1_38merge_sort_block_merge_config_selectorIiNS0_10empty_typeEEEZZNS1_27merge_sort_block_merge_implIS3_N6thrust23THRUST_200600_302600_NS6detail15normal_iteratorINS9_10device_ptrIiEEEEPS5_m9comp_mod3IiEEE10hipError_tT0_T1_T2_jT3_P12ihipStream_tbPNSt15iterator_traitsISJ_E10value_typeEPNSP_ISK_E10value_typeEPSL_NS1_7vsmem_tEENKUlT_SJ_SK_SL_E_clISE_PiSF_SF_EESI_SY_SJ_SK_SL_EUlSY_E_NS1_11comp_targetILNS1_3genE8ELNS1_11target_archE1030ELNS1_3gpuE2ELNS1_3repE0EEENS1_48merge_mergepath_partition_config_static_selectorELNS0_4arch9wavefront6targetE0EEEvSK_
    .private_segment_fixed_size: 0
    .sgpr_count:     14
    .sgpr_spill_count: 0
    .symbol:         _ZN7rocprim17ROCPRIM_400000_NS6detail17trampoline_kernelINS0_14default_configENS1_38merge_sort_block_merge_config_selectorIiNS0_10empty_typeEEEZZNS1_27merge_sort_block_merge_implIS3_N6thrust23THRUST_200600_302600_NS6detail15normal_iteratorINS9_10device_ptrIiEEEEPS5_m9comp_mod3IiEEE10hipError_tT0_T1_T2_jT3_P12ihipStream_tbPNSt15iterator_traitsISJ_E10value_typeEPNSP_ISK_E10value_typeEPSL_NS1_7vsmem_tEENKUlT_SJ_SK_SL_E_clISE_PiSF_SF_EESI_SY_SJ_SK_SL_EUlSY_E_NS1_11comp_targetILNS1_3genE8ELNS1_11target_archE1030ELNS1_3gpuE2ELNS1_3repE0EEENS1_48merge_mergepath_partition_config_static_selectorELNS0_4arch9wavefront6targetE0EEEvSK_.kd
    .uniform_work_group_size: 1
    .uses_dynamic_stack: false
    .vgpr_count:     17
    .vgpr_spill_count: 0
    .wavefront_size: 32
    .workgroup_processor_mode: 1
  - .args:
      - .offset:         0
        .size:           80
        .value_kind:     by_value
    .group_segment_fixed_size: 0
    .kernarg_segment_align: 8
    .kernarg_segment_size: 80
    .language:       OpenCL C
    .language_version:
      - 2
      - 0
    .max_flat_workgroup_size: 128
    .name:           _ZN7rocprim17ROCPRIM_400000_NS6detail17trampoline_kernelINS0_14default_configENS1_38merge_sort_block_merge_config_selectorIiNS0_10empty_typeEEEZZNS1_27merge_sort_block_merge_implIS3_N6thrust23THRUST_200600_302600_NS6detail15normal_iteratorINS9_10device_ptrIiEEEEPS5_m9comp_mod3IiEEE10hipError_tT0_T1_T2_jT3_P12ihipStream_tbPNSt15iterator_traitsISJ_E10value_typeEPNSP_ISK_E10value_typeEPSL_NS1_7vsmem_tEENKUlT_SJ_SK_SL_E_clISE_PiSF_SF_EESI_SY_SJ_SK_SL_EUlSY_E0_NS1_11comp_targetILNS1_3genE0ELNS1_11target_archE4294967295ELNS1_3gpuE0ELNS1_3repE0EEENS1_38merge_mergepath_config_static_selectorELNS0_4arch9wavefront6targetE0EEEvSK_
    .private_segment_fixed_size: 0
    .sgpr_count:     0
    .sgpr_spill_count: 0
    .symbol:         _ZN7rocprim17ROCPRIM_400000_NS6detail17trampoline_kernelINS0_14default_configENS1_38merge_sort_block_merge_config_selectorIiNS0_10empty_typeEEEZZNS1_27merge_sort_block_merge_implIS3_N6thrust23THRUST_200600_302600_NS6detail15normal_iteratorINS9_10device_ptrIiEEEEPS5_m9comp_mod3IiEEE10hipError_tT0_T1_T2_jT3_P12ihipStream_tbPNSt15iterator_traitsISJ_E10value_typeEPNSP_ISK_E10value_typeEPSL_NS1_7vsmem_tEENKUlT_SJ_SK_SL_E_clISE_PiSF_SF_EESI_SY_SJ_SK_SL_EUlSY_E0_NS1_11comp_targetILNS1_3genE0ELNS1_11target_archE4294967295ELNS1_3gpuE0ELNS1_3repE0EEENS1_38merge_mergepath_config_static_selectorELNS0_4arch9wavefront6targetE0EEEvSK_.kd
    .uniform_work_group_size: 1
    .uses_dynamic_stack: false
    .vgpr_count:     0
    .vgpr_spill_count: 0
    .wavefront_size: 32
    .workgroup_processor_mode: 1
  - .args:
      - .offset:         0
        .size:           80
        .value_kind:     by_value
    .group_segment_fixed_size: 0
    .kernarg_segment_align: 8
    .kernarg_segment_size: 80
    .language:       OpenCL C
    .language_version:
      - 2
      - 0
    .max_flat_workgroup_size: 256
    .name:           _ZN7rocprim17ROCPRIM_400000_NS6detail17trampoline_kernelINS0_14default_configENS1_38merge_sort_block_merge_config_selectorIiNS0_10empty_typeEEEZZNS1_27merge_sort_block_merge_implIS3_N6thrust23THRUST_200600_302600_NS6detail15normal_iteratorINS9_10device_ptrIiEEEEPS5_m9comp_mod3IiEEE10hipError_tT0_T1_T2_jT3_P12ihipStream_tbPNSt15iterator_traitsISJ_E10value_typeEPNSP_ISK_E10value_typeEPSL_NS1_7vsmem_tEENKUlT_SJ_SK_SL_E_clISE_PiSF_SF_EESI_SY_SJ_SK_SL_EUlSY_E0_NS1_11comp_targetILNS1_3genE10ELNS1_11target_archE1201ELNS1_3gpuE5ELNS1_3repE0EEENS1_38merge_mergepath_config_static_selectorELNS0_4arch9wavefront6targetE0EEEvSK_
    .private_segment_fixed_size: 0
    .sgpr_count:     0
    .sgpr_spill_count: 0
    .symbol:         _ZN7rocprim17ROCPRIM_400000_NS6detail17trampoline_kernelINS0_14default_configENS1_38merge_sort_block_merge_config_selectorIiNS0_10empty_typeEEEZZNS1_27merge_sort_block_merge_implIS3_N6thrust23THRUST_200600_302600_NS6detail15normal_iteratorINS9_10device_ptrIiEEEEPS5_m9comp_mod3IiEEE10hipError_tT0_T1_T2_jT3_P12ihipStream_tbPNSt15iterator_traitsISJ_E10value_typeEPNSP_ISK_E10value_typeEPSL_NS1_7vsmem_tEENKUlT_SJ_SK_SL_E_clISE_PiSF_SF_EESI_SY_SJ_SK_SL_EUlSY_E0_NS1_11comp_targetILNS1_3genE10ELNS1_11target_archE1201ELNS1_3gpuE5ELNS1_3repE0EEENS1_38merge_mergepath_config_static_selectorELNS0_4arch9wavefront6targetE0EEEvSK_.kd
    .uniform_work_group_size: 1
    .uses_dynamic_stack: false
    .vgpr_count:     0
    .vgpr_spill_count: 0
    .wavefront_size: 32
    .workgroup_processor_mode: 1
  - .args:
      - .offset:         0
        .size:           80
        .value_kind:     by_value
    .group_segment_fixed_size: 0
    .kernarg_segment_align: 8
    .kernarg_segment_size: 80
    .language:       OpenCL C
    .language_version:
      - 2
      - 0
    .max_flat_workgroup_size: 128
    .name:           _ZN7rocprim17ROCPRIM_400000_NS6detail17trampoline_kernelINS0_14default_configENS1_38merge_sort_block_merge_config_selectorIiNS0_10empty_typeEEEZZNS1_27merge_sort_block_merge_implIS3_N6thrust23THRUST_200600_302600_NS6detail15normal_iteratorINS9_10device_ptrIiEEEEPS5_m9comp_mod3IiEEE10hipError_tT0_T1_T2_jT3_P12ihipStream_tbPNSt15iterator_traitsISJ_E10value_typeEPNSP_ISK_E10value_typeEPSL_NS1_7vsmem_tEENKUlT_SJ_SK_SL_E_clISE_PiSF_SF_EESI_SY_SJ_SK_SL_EUlSY_E0_NS1_11comp_targetILNS1_3genE5ELNS1_11target_archE942ELNS1_3gpuE9ELNS1_3repE0EEENS1_38merge_mergepath_config_static_selectorELNS0_4arch9wavefront6targetE0EEEvSK_
    .private_segment_fixed_size: 0
    .sgpr_count:     0
    .sgpr_spill_count: 0
    .symbol:         _ZN7rocprim17ROCPRIM_400000_NS6detail17trampoline_kernelINS0_14default_configENS1_38merge_sort_block_merge_config_selectorIiNS0_10empty_typeEEEZZNS1_27merge_sort_block_merge_implIS3_N6thrust23THRUST_200600_302600_NS6detail15normal_iteratorINS9_10device_ptrIiEEEEPS5_m9comp_mod3IiEEE10hipError_tT0_T1_T2_jT3_P12ihipStream_tbPNSt15iterator_traitsISJ_E10value_typeEPNSP_ISK_E10value_typeEPSL_NS1_7vsmem_tEENKUlT_SJ_SK_SL_E_clISE_PiSF_SF_EESI_SY_SJ_SK_SL_EUlSY_E0_NS1_11comp_targetILNS1_3genE5ELNS1_11target_archE942ELNS1_3gpuE9ELNS1_3repE0EEENS1_38merge_mergepath_config_static_selectorELNS0_4arch9wavefront6targetE0EEEvSK_.kd
    .uniform_work_group_size: 1
    .uses_dynamic_stack: false
    .vgpr_count:     0
    .vgpr_spill_count: 0
    .wavefront_size: 32
    .workgroup_processor_mode: 1
  - .args:
      - .offset:         0
        .size:           80
        .value_kind:     by_value
    .group_segment_fixed_size: 0
    .kernarg_segment_align: 8
    .kernarg_segment_size: 80
    .language:       OpenCL C
    .language_version:
      - 2
      - 0
    .max_flat_workgroup_size: 128
    .name:           _ZN7rocprim17ROCPRIM_400000_NS6detail17trampoline_kernelINS0_14default_configENS1_38merge_sort_block_merge_config_selectorIiNS0_10empty_typeEEEZZNS1_27merge_sort_block_merge_implIS3_N6thrust23THRUST_200600_302600_NS6detail15normal_iteratorINS9_10device_ptrIiEEEEPS5_m9comp_mod3IiEEE10hipError_tT0_T1_T2_jT3_P12ihipStream_tbPNSt15iterator_traitsISJ_E10value_typeEPNSP_ISK_E10value_typeEPSL_NS1_7vsmem_tEENKUlT_SJ_SK_SL_E_clISE_PiSF_SF_EESI_SY_SJ_SK_SL_EUlSY_E0_NS1_11comp_targetILNS1_3genE4ELNS1_11target_archE910ELNS1_3gpuE8ELNS1_3repE0EEENS1_38merge_mergepath_config_static_selectorELNS0_4arch9wavefront6targetE0EEEvSK_
    .private_segment_fixed_size: 0
    .sgpr_count:     0
    .sgpr_spill_count: 0
    .symbol:         _ZN7rocprim17ROCPRIM_400000_NS6detail17trampoline_kernelINS0_14default_configENS1_38merge_sort_block_merge_config_selectorIiNS0_10empty_typeEEEZZNS1_27merge_sort_block_merge_implIS3_N6thrust23THRUST_200600_302600_NS6detail15normal_iteratorINS9_10device_ptrIiEEEEPS5_m9comp_mod3IiEEE10hipError_tT0_T1_T2_jT3_P12ihipStream_tbPNSt15iterator_traitsISJ_E10value_typeEPNSP_ISK_E10value_typeEPSL_NS1_7vsmem_tEENKUlT_SJ_SK_SL_E_clISE_PiSF_SF_EESI_SY_SJ_SK_SL_EUlSY_E0_NS1_11comp_targetILNS1_3genE4ELNS1_11target_archE910ELNS1_3gpuE8ELNS1_3repE0EEENS1_38merge_mergepath_config_static_selectorELNS0_4arch9wavefront6targetE0EEEvSK_.kd
    .uniform_work_group_size: 1
    .uses_dynamic_stack: false
    .vgpr_count:     0
    .vgpr_spill_count: 0
    .wavefront_size: 32
    .workgroup_processor_mode: 1
  - .args:
      - .offset:         0
        .size:           80
        .value_kind:     by_value
    .group_segment_fixed_size: 0
    .kernarg_segment_align: 8
    .kernarg_segment_size: 80
    .language:       OpenCL C
    .language_version:
      - 2
      - 0
    .max_flat_workgroup_size: 128
    .name:           _ZN7rocprim17ROCPRIM_400000_NS6detail17trampoline_kernelINS0_14default_configENS1_38merge_sort_block_merge_config_selectorIiNS0_10empty_typeEEEZZNS1_27merge_sort_block_merge_implIS3_N6thrust23THRUST_200600_302600_NS6detail15normal_iteratorINS9_10device_ptrIiEEEEPS5_m9comp_mod3IiEEE10hipError_tT0_T1_T2_jT3_P12ihipStream_tbPNSt15iterator_traitsISJ_E10value_typeEPNSP_ISK_E10value_typeEPSL_NS1_7vsmem_tEENKUlT_SJ_SK_SL_E_clISE_PiSF_SF_EESI_SY_SJ_SK_SL_EUlSY_E0_NS1_11comp_targetILNS1_3genE3ELNS1_11target_archE908ELNS1_3gpuE7ELNS1_3repE0EEENS1_38merge_mergepath_config_static_selectorELNS0_4arch9wavefront6targetE0EEEvSK_
    .private_segment_fixed_size: 0
    .sgpr_count:     0
    .sgpr_spill_count: 0
    .symbol:         _ZN7rocprim17ROCPRIM_400000_NS6detail17trampoline_kernelINS0_14default_configENS1_38merge_sort_block_merge_config_selectorIiNS0_10empty_typeEEEZZNS1_27merge_sort_block_merge_implIS3_N6thrust23THRUST_200600_302600_NS6detail15normal_iteratorINS9_10device_ptrIiEEEEPS5_m9comp_mod3IiEEE10hipError_tT0_T1_T2_jT3_P12ihipStream_tbPNSt15iterator_traitsISJ_E10value_typeEPNSP_ISK_E10value_typeEPSL_NS1_7vsmem_tEENKUlT_SJ_SK_SL_E_clISE_PiSF_SF_EESI_SY_SJ_SK_SL_EUlSY_E0_NS1_11comp_targetILNS1_3genE3ELNS1_11target_archE908ELNS1_3gpuE7ELNS1_3repE0EEENS1_38merge_mergepath_config_static_selectorELNS0_4arch9wavefront6targetE0EEEvSK_.kd
    .uniform_work_group_size: 1
    .uses_dynamic_stack: false
    .vgpr_count:     0
    .vgpr_spill_count: 0
    .wavefront_size: 32
    .workgroup_processor_mode: 1
  - .args:
      - .offset:         0
        .size:           80
        .value_kind:     by_value
    .group_segment_fixed_size: 0
    .kernarg_segment_align: 8
    .kernarg_segment_size: 80
    .language:       OpenCL C
    .language_version:
      - 2
      - 0
    .max_flat_workgroup_size: 128
    .name:           _ZN7rocprim17ROCPRIM_400000_NS6detail17trampoline_kernelINS0_14default_configENS1_38merge_sort_block_merge_config_selectorIiNS0_10empty_typeEEEZZNS1_27merge_sort_block_merge_implIS3_N6thrust23THRUST_200600_302600_NS6detail15normal_iteratorINS9_10device_ptrIiEEEEPS5_m9comp_mod3IiEEE10hipError_tT0_T1_T2_jT3_P12ihipStream_tbPNSt15iterator_traitsISJ_E10value_typeEPNSP_ISK_E10value_typeEPSL_NS1_7vsmem_tEENKUlT_SJ_SK_SL_E_clISE_PiSF_SF_EESI_SY_SJ_SK_SL_EUlSY_E0_NS1_11comp_targetILNS1_3genE2ELNS1_11target_archE906ELNS1_3gpuE6ELNS1_3repE0EEENS1_38merge_mergepath_config_static_selectorELNS0_4arch9wavefront6targetE0EEEvSK_
    .private_segment_fixed_size: 0
    .sgpr_count:     0
    .sgpr_spill_count: 0
    .symbol:         _ZN7rocprim17ROCPRIM_400000_NS6detail17trampoline_kernelINS0_14default_configENS1_38merge_sort_block_merge_config_selectorIiNS0_10empty_typeEEEZZNS1_27merge_sort_block_merge_implIS3_N6thrust23THRUST_200600_302600_NS6detail15normal_iteratorINS9_10device_ptrIiEEEEPS5_m9comp_mod3IiEEE10hipError_tT0_T1_T2_jT3_P12ihipStream_tbPNSt15iterator_traitsISJ_E10value_typeEPNSP_ISK_E10value_typeEPSL_NS1_7vsmem_tEENKUlT_SJ_SK_SL_E_clISE_PiSF_SF_EESI_SY_SJ_SK_SL_EUlSY_E0_NS1_11comp_targetILNS1_3genE2ELNS1_11target_archE906ELNS1_3gpuE6ELNS1_3repE0EEENS1_38merge_mergepath_config_static_selectorELNS0_4arch9wavefront6targetE0EEEvSK_.kd
    .uniform_work_group_size: 1
    .uses_dynamic_stack: false
    .vgpr_count:     0
    .vgpr_spill_count: 0
    .wavefront_size: 32
    .workgroup_processor_mode: 1
  - .args:
      - .offset:         0
        .size:           80
        .value_kind:     by_value
    .group_segment_fixed_size: 0
    .kernarg_segment_align: 8
    .kernarg_segment_size: 80
    .language:       OpenCL C
    .language_version:
      - 2
      - 0
    .max_flat_workgroup_size: 256
    .name:           _ZN7rocprim17ROCPRIM_400000_NS6detail17trampoline_kernelINS0_14default_configENS1_38merge_sort_block_merge_config_selectorIiNS0_10empty_typeEEEZZNS1_27merge_sort_block_merge_implIS3_N6thrust23THRUST_200600_302600_NS6detail15normal_iteratorINS9_10device_ptrIiEEEEPS5_m9comp_mod3IiEEE10hipError_tT0_T1_T2_jT3_P12ihipStream_tbPNSt15iterator_traitsISJ_E10value_typeEPNSP_ISK_E10value_typeEPSL_NS1_7vsmem_tEENKUlT_SJ_SK_SL_E_clISE_PiSF_SF_EESI_SY_SJ_SK_SL_EUlSY_E0_NS1_11comp_targetILNS1_3genE9ELNS1_11target_archE1100ELNS1_3gpuE3ELNS1_3repE0EEENS1_38merge_mergepath_config_static_selectorELNS0_4arch9wavefront6targetE0EEEvSK_
    .private_segment_fixed_size: 0
    .sgpr_count:     0
    .sgpr_spill_count: 0
    .symbol:         _ZN7rocprim17ROCPRIM_400000_NS6detail17trampoline_kernelINS0_14default_configENS1_38merge_sort_block_merge_config_selectorIiNS0_10empty_typeEEEZZNS1_27merge_sort_block_merge_implIS3_N6thrust23THRUST_200600_302600_NS6detail15normal_iteratorINS9_10device_ptrIiEEEEPS5_m9comp_mod3IiEEE10hipError_tT0_T1_T2_jT3_P12ihipStream_tbPNSt15iterator_traitsISJ_E10value_typeEPNSP_ISK_E10value_typeEPSL_NS1_7vsmem_tEENKUlT_SJ_SK_SL_E_clISE_PiSF_SF_EESI_SY_SJ_SK_SL_EUlSY_E0_NS1_11comp_targetILNS1_3genE9ELNS1_11target_archE1100ELNS1_3gpuE3ELNS1_3repE0EEENS1_38merge_mergepath_config_static_selectorELNS0_4arch9wavefront6targetE0EEEvSK_.kd
    .uniform_work_group_size: 1
    .uses_dynamic_stack: false
    .vgpr_count:     0
    .vgpr_spill_count: 0
    .wavefront_size: 32
    .workgroup_processor_mode: 1
  - .args:
      - .offset:         0
        .size:           80
        .value_kind:     by_value
      - .offset:         80
        .size:           4
        .value_kind:     hidden_block_count_x
      - .offset:         84
        .size:           4
        .value_kind:     hidden_block_count_y
      - .offset:         88
        .size:           4
        .value_kind:     hidden_block_count_z
      - .offset:         92
        .size:           2
        .value_kind:     hidden_group_size_x
      - .offset:         94
        .size:           2
        .value_kind:     hidden_group_size_y
      - .offset:         96
        .size:           2
        .value_kind:     hidden_group_size_z
      - .offset:         98
        .size:           2
        .value_kind:     hidden_remainder_x
      - .offset:         100
        .size:           2
        .value_kind:     hidden_remainder_y
      - .offset:         102
        .size:           2
        .value_kind:     hidden_remainder_z
      - .offset:         120
        .size:           8
        .value_kind:     hidden_global_offset_x
      - .offset:         128
        .size:           8
        .value_kind:     hidden_global_offset_y
      - .offset:         136
        .size:           8
        .value_kind:     hidden_global_offset_z
      - .offset:         144
        .size:           2
        .value_kind:     hidden_grid_dims
    .group_segment_fixed_size: 4224
    .kernarg_segment_align: 8
    .kernarg_segment_size: 336
    .language:       OpenCL C
    .language_version:
      - 2
      - 0
    .max_flat_workgroup_size: 512
    .name:           _ZN7rocprim17ROCPRIM_400000_NS6detail17trampoline_kernelINS0_14default_configENS1_38merge_sort_block_merge_config_selectorIiNS0_10empty_typeEEEZZNS1_27merge_sort_block_merge_implIS3_N6thrust23THRUST_200600_302600_NS6detail15normal_iteratorINS9_10device_ptrIiEEEEPS5_m9comp_mod3IiEEE10hipError_tT0_T1_T2_jT3_P12ihipStream_tbPNSt15iterator_traitsISJ_E10value_typeEPNSP_ISK_E10value_typeEPSL_NS1_7vsmem_tEENKUlT_SJ_SK_SL_E_clISE_PiSF_SF_EESI_SY_SJ_SK_SL_EUlSY_E0_NS1_11comp_targetILNS1_3genE8ELNS1_11target_archE1030ELNS1_3gpuE2ELNS1_3repE0EEENS1_38merge_mergepath_config_static_selectorELNS0_4arch9wavefront6targetE0EEEvSK_
    .private_segment_fixed_size: 0
    .sgpr_count:     34
    .sgpr_spill_count: 0
    .symbol:         _ZN7rocprim17ROCPRIM_400000_NS6detail17trampoline_kernelINS0_14default_configENS1_38merge_sort_block_merge_config_selectorIiNS0_10empty_typeEEEZZNS1_27merge_sort_block_merge_implIS3_N6thrust23THRUST_200600_302600_NS6detail15normal_iteratorINS9_10device_ptrIiEEEEPS5_m9comp_mod3IiEEE10hipError_tT0_T1_T2_jT3_P12ihipStream_tbPNSt15iterator_traitsISJ_E10value_typeEPNSP_ISK_E10value_typeEPSL_NS1_7vsmem_tEENKUlT_SJ_SK_SL_E_clISE_PiSF_SF_EESI_SY_SJ_SK_SL_EUlSY_E0_NS1_11comp_targetILNS1_3genE8ELNS1_11target_archE1030ELNS1_3gpuE2ELNS1_3repE0EEENS1_38merge_mergepath_config_static_selectorELNS0_4arch9wavefront6targetE0EEEvSK_.kd
    .uniform_work_group_size: 1
    .uses_dynamic_stack: false
    .vgpr_count:     15
    .vgpr_spill_count: 0
    .wavefront_size: 32
    .workgroup_processor_mode: 1
  - .args:
      - .offset:         0
        .size:           56
        .value_kind:     by_value
    .group_segment_fixed_size: 0
    .kernarg_segment_align: 8
    .kernarg_segment_size: 56
    .language:       OpenCL C
    .language_version:
      - 2
      - 0
    .max_flat_workgroup_size: 256
    .name:           _ZN7rocprim17ROCPRIM_400000_NS6detail17trampoline_kernelINS0_14default_configENS1_38merge_sort_block_merge_config_selectorIiNS0_10empty_typeEEEZZNS1_27merge_sort_block_merge_implIS3_N6thrust23THRUST_200600_302600_NS6detail15normal_iteratorINS9_10device_ptrIiEEEEPS5_m9comp_mod3IiEEE10hipError_tT0_T1_T2_jT3_P12ihipStream_tbPNSt15iterator_traitsISJ_E10value_typeEPNSP_ISK_E10value_typeEPSL_NS1_7vsmem_tEENKUlT_SJ_SK_SL_E_clISE_PiSF_SF_EESI_SY_SJ_SK_SL_EUlSY_E1_NS1_11comp_targetILNS1_3genE0ELNS1_11target_archE4294967295ELNS1_3gpuE0ELNS1_3repE0EEENS1_36merge_oddeven_config_static_selectorELNS0_4arch9wavefront6targetE0EEEvSK_
    .private_segment_fixed_size: 0
    .sgpr_count:     0
    .sgpr_spill_count: 0
    .symbol:         _ZN7rocprim17ROCPRIM_400000_NS6detail17trampoline_kernelINS0_14default_configENS1_38merge_sort_block_merge_config_selectorIiNS0_10empty_typeEEEZZNS1_27merge_sort_block_merge_implIS3_N6thrust23THRUST_200600_302600_NS6detail15normal_iteratorINS9_10device_ptrIiEEEEPS5_m9comp_mod3IiEEE10hipError_tT0_T1_T2_jT3_P12ihipStream_tbPNSt15iterator_traitsISJ_E10value_typeEPNSP_ISK_E10value_typeEPSL_NS1_7vsmem_tEENKUlT_SJ_SK_SL_E_clISE_PiSF_SF_EESI_SY_SJ_SK_SL_EUlSY_E1_NS1_11comp_targetILNS1_3genE0ELNS1_11target_archE4294967295ELNS1_3gpuE0ELNS1_3repE0EEENS1_36merge_oddeven_config_static_selectorELNS0_4arch9wavefront6targetE0EEEvSK_.kd
    .uniform_work_group_size: 1
    .uses_dynamic_stack: false
    .vgpr_count:     0
    .vgpr_spill_count: 0
    .wavefront_size: 32
    .workgroup_processor_mode: 1
  - .args:
      - .offset:         0
        .size:           56
        .value_kind:     by_value
    .group_segment_fixed_size: 0
    .kernarg_segment_align: 8
    .kernarg_segment_size: 56
    .language:       OpenCL C
    .language_version:
      - 2
      - 0
    .max_flat_workgroup_size: 256
    .name:           _ZN7rocprim17ROCPRIM_400000_NS6detail17trampoline_kernelINS0_14default_configENS1_38merge_sort_block_merge_config_selectorIiNS0_10empty_typeEEEZZNS1_27merge_sort_block_merge_implIS3_N6thrust23THRUST_200600_302600_NS6detail15normal_iteratorINS9_10device_ptrIiEEEEPS5_m9comp_mod3IiEEE10hipError_tT0_T1_T2_jT3_P12ihipStream_tbPNSt15iterator_traitsISJ_E10value_typeEPNSP_ISK_E10value_typeEPSL_NS1_7vsmem_tEENKUlT_SJ_SK_SL_E_clISE_PiSF_SF_EESI_SY_SJ_SK_SL_EUlSY_E1_NS1_11comp_targetILNS1_3genE10ELNS1_11target_archE1201ELNS1_3gpuE5ELNS1_3repE0EEENS1_36merge_oddeven_config_static_selectorELNS0_4arch9wavefront6targetE0EEEvSK_
    .private_segment_fixed_size: 0
    .sgpr_count:     0
    .sgpr_spill_count: 0
    .symbol:         _ZN7rocprim17ROCPRIM_400000_NS6detail17trampoline_kernelINS0_14default_configENS1_38merge_sort_block_merge_config_selectorIiNS0_10empty_typeEEEZZNS1_27merge_sort_block_merge_implIS3_N6thrust23THRUST_200600_302600_NS6detail15normal_iteratorINS9_10device_ptrIiEEEEPS5_m9comp_mod3IiEEE10hipError_tT0_T1_T2_jT3_P12ihipStream_tbPNSt15iterator_traitsISJ_E10value_typeEPNSP_ISK_E10value_typeEPSL_NS1_7vsmem_tEENKUlT_SJ_SK_SL_E_clISE_PiSF_SF_EESI_SY_SJ_SK_SL_EUlSY_E1_NS1_11comp_targetILNS1_3genE10ELNS1_11target_archE1201ELNS1_3gpuE5ELNS1_3repE0EEENS1_36merge_oddeven_config_static_selectorELNS0_4arch9wavefront6targetE0EEEvSK_.kd
    .uniform_work_group_size: 1
    .uses_dynamic_stack: false
    .vgpr_count:     0
    .vgpr_spill_count: 0
    .wavefront_size: 32
    .workgroup_processor_mode: 1
  - .args:
      - .offset:         0
        .size:           56
        .value_kind:     by_value
    .group_segment_fixed_size: 0
    .kernarg_segment_align: 8
    .kernarg_segment_size: 56
    .language:       OpenCL C
    .language_version:
      - 2
      - 0
    .max_flat_workgroup_size: 256
    .name:           _ZN7rocprim17ROCPRIM_400000_NS6detail17trampoline_kernelINS0_14default_configENS1_38merge_sort_block_merge_config_selectorIiNS0_10empty_typeEEEZZNS1_27merge_sort_block_merge_implIS3_N6thrust23THRUST_200600_302600_NS6detail15normal_iteratorINS9_10device_ptrIiEEEEPS5_m9comp_mod3IiEEE10hipError_tT0_T1_T2_jT3_P12ihipStream_tbPNSt15iterator_traitsISJ_E10value_typeEPNSP_ISK_E10value_typeEPSL_NS1_7vsmem_tEENKUlT_SJ_SK_SL_E_clISE_PiSF_SF_EESI_SY_SJ_SK_SL_EUlSY_E1_NS1_11comp_targetILNS1_3genE5ELNS1_11target_archE942ELNS1_3gpuE9ELNS1_3repE0EEENS1_36merge_oddeven_config_static_selectorELNS0_4arch9wavefront6targetE0EEEvSK_
    .private_segment_fixed_size: 0
    .sgpr_count:     0
    .sgpr_spill_count: 0
    .symbol:         _ZN7rocprim17ROCPRIM_400000_NS6detail17trampoline_kernelINS0_14default_configENS1_38merge_sort_block_merge_config_selectorIiNS0_10empty_typeEEEZZNS1_27merge_sort_block_merge_implIS3_N6thrust23THRUST_200600_302600_NS6detail15normal_iteratorINS9_10device_ptrIiEEEEPS5_m9comp_mod3IiEEE10hipError_tT0_T1_T2_jT3_P12ihipStream_tbPNSt15iterator_traitsISJ_E10value_typeEPNSP_ISK_E10value_typeEPSL_NS1_7vsmem_tEENKUlT_SJ_SK_SL_E_clISE_PiSF_SF_EESI_SY_SJ_SK_SL_EUlSY_E1_NS1_11comp_targetILNS1_3genE5ELNS1_11target_archE942ELNS1_3gpuE9ELNS1_3repE0EEENS1_36merge_oddeven_config_static_selectorELNS0_4arch9wavefront6targetE0EEEvSK_.kd
    .uniform_work_group_size: 1
    .uses_dynamic_stack: false
    .vgpr_count:     0
    .vgpr_spill_count: 0
    .wavefront_size: 32
    .workgroup_processor_mode: 1
  - .args:
      - .offset:         0
        .size:           56
        .value_kind:     by_value
    .group_segment_fixed_size: 0
    .kernarg_segment_align: 8
    .kernarg_segment_size: 56
    .language:       OpenCL C
    .language_version:
      - 2
      - 0
    .max_flat_workgroup_size: 256
    .name:           _ZN7rocprim17ROCPRIM_400000_NS6detail17trampoline_kernelINS0_14default_configENS1_38merge_sort_block_merge_config_selectorIiNS0_10empty_typeEEEZZNS1_27merge_sort_block_merge_implIS3_N6thrust23THRUST_200600_302600_NS6detail15normal_iteratorINS9_10device_ptrIiEEEEPS5_m9comp_mod3IiEEE10hipError_tT0_T1_T2_jT3_P12ihipStream_tbPNSt15iterator_traitsISJ_E10value_typeEPNSP_ISK_E10value_typeEPSL_NS1_7vsmem_tEENKUlT_SJ_SK_SL_E_clISE_PiSF_SF_EESI_SY_SJ_SK_SL_EUlSY_E1_NS1_11comp_targetILNS1_3genE4ELNS1_11target_archE910ELNS1_3gpuE8ELNS1_3repE0EEENS1_36merge_oddeven_config_static_selectorELNS0_4arch9wavefront6targetE0EEEvSK_
    .private_segment_fixed_size: 0
    .sgpr_count:     0
    .sgpr_spill_count: 0
    .symbol:         _ZN7rocprim17ROCPRIM_400000_NS6detail17trampoline_kernelINS0_14default_configENS1_38merge_sort_block_merge_config_selectorIiNS0_10empty_typeEEEZZNS1_27merge_sort_block_merge_implIS3_N6thrust23THRUST_200600_302600_NS6detail15normal_iteratorINS9_10device_ptrIiEEEEPS5_m9comp_mod3IiEEE10hipError_tT0_T1_T2_jT3_P12ihipStream_tbPNSt15iterator_traitsISJ_E10value_typeEPNSP_ISK_E10value_typeEPSL_NS1_7vsmem_tEENKUlT_SJ_SK_SL_E_clISE_PiSF_SF_EESI_SY_SJ_SK_SL_EUlSY_E1_NS1_11comp_targetILNS1_3genE4ELNS1_11target_archE910ELNS1_3gpuE8ELNS1_3repE0EEENS1_36merge_oddeven_config_static_selectorELNS0_4arch9wavefront6targetE0EEEvSK_.kd
    .uniform_work_group_size: 1
    .uses_dynamic_stack: false
    .vgpr_count:     0
    .vgpr_spill_count: 0
    .wavefront_size: 32
    .workgroup_processor_mode: 1
  - .args:
      - .offset:         0
        .size:           56
        .value_kind:     by_value
    .group_segment_fixed_size: 0
    .kernarg_segment_align: 8
    .kernarg_segment_size: 56
    .language:       OpenCL C
    .language_version:
      - 2
      - 0
    .max_flat_workgroup_size: 256
    .name:           _ZN7rocprim17ROCPRIM_400000_NS6detail17trampoline_kernelINS0_14default_configENS1_38merge_sort_block_merge_config_selectorIiNS0_10empty_typeEEEZZNS1_27merge_sort_block_merge_implIS3_N6thrust23THRUST_200600_302600_NS6detail15normal_iteratorINS9_10device_ptrIiEEEEPS5_m9comp_mod3IiEEE10hipError_tT0_T1_T2_jT3_P12ihipStream_tbPNSt15iterator_traitsISJ_E10value_typeEPNSP_ISK_E10value_typeEPSL_NS1_7vsmem_tEENKUlT_SJ_SK_SL_E_clISE_PiSF_SF_EESI_SY_SJ_SK_SL_EUlSY_E1_NS1_11comp_targetILNS1_3genE3ELNS1_11target_archE908ELNS1_3gpuE7ELNS1_3repE0EEENS1_36merge_oddeven_config_static_selectorELNS0_4arch9wavefront6targetE0EEEvSK_
    .private_segment_fixed_size: 0
    .sgpr_count:     0
    .sgpr_spill_count: 0
    .symbol:         _ZN7rocprim17ROCPRIM_400000_NS6detail17trampoline_kernelINS0_14default_configENS1_38merge_sort_block_merge_config_selectorIiNS0_10empty_typeEEEZZNS1_27merge_sort_block_merge_implIS3_N6thrust23THRUST_200600_302600_NS6detail15normal_iteratorINS9_10device_ptrIiEEEEPS5_m9comp_mod3IiEEE10hipError_tT0_T1_T2_jT3_P12ihipStream_tbPNSt15iterator_traitsISJ_E10value_typeEPNSP_ISK_E10value_typeEPSL_NS1_7vsmem_tEENKUlT_SJ_SK_SL_E_clISE_PiSF_SF_EESI_SY_SJ_SK_SL_EUlSY_E1_NS1_11comp_targetILNS1_3genE3ELNS1_11target_archE908ELNS1_3gpuE7ELNS1_3repE0EEENS1_36merge_oddeven_config_static_selectorELNS0_4arch9wavefront6targetE0EEEvSK_.kd
    .uniform_work_group_size: 1
    .uses_dynamic_stack: false
    .vgpr_count:     0
    .vgpr_spill_count: 0
    .wavefront_size: 32
    .workgroup_processor_mode: 1
  - .args:
      - .offset:         0
        .size:           56
        .value_kind:     by_value
    .group_segment_fixed_size: 0
    .kernarg_segment_align: 8
    .kernarg_segment_size: 56
    .language:       OpenCL C
    .language_version:
      - 2
      - 0
    .max_flat_workgroup_size: 256
    .name:           _ZN7rocprim17ROCPRIM_400000_NS6detail17trampoline_kernelINS0_14default_configENS1_38merge_sort_block_merge_config_selectorIiNS0_10empty_typeEEEZZNS1_27merge_sort_block_merge_implIS3_N6thrust23THRUST_200600_302600_NS6detail15normal_iteratorINS9_10device_ptrIiEEEEPS5_m9comp_mod3IiEEE10hipError_tT0_T1_T2_jT3_P12ihipStream_tbPNSt15iterator_traitsISJ_E10value_typeEPNSP_ISK_E10value_typeEPSL_NS1_7vsmem_tEENKUlT_SJ_SK_SL_E_clISE_PiSF_SF_EESI_SY_SJ_SK_SL_EUlSY_E1_NS1_11comp_targetILNS1_3genE2ELNS1_11target_archE906ELNS1_3gpuE6ELNS1_3repE0EEENS1_36merge_oddeven_config_static_selectorELNS0_4arch9wavefront6targetE0EEEvSK_
    .private_segment_fixed_size: 0
    .sgpr_count:     0
    .sgpr_spill_count: 0
    .symbol:         _ZN7rocprim17ROCPRIM_400000_NS6detail17trampoline_kernelINS0_14default_configENS1_38merge_sort_block_merge_config_selectorIiNS0_10empty_typeEEEZZNS1_27merge_sort_block_merge_implIS3_N6thrust23THRUST_200600_302600_NS6detail15normal_iteratorINS9_10device_ptrIiEEEEPS5_m9comp_mod3IiEEE10hipError_tT0_T1_T2_jT3_P12ihipStream_tbPNSt15iterator_traitsISJ_E10value_typeEPNSP_ISK_E10value_typeEPSL_NS1_7vsmem_tEENKUlT_SJ_SK_SL_E_clISE_PiSF_SF_EESI_SY_SJ_SK_SL_EUlSY_E1_NS1_11comp_targetILNS1_3genE2ELNS1_11target_archE906ELNS1_3gpuE6ELNS1_3repE0EEENS1_36merge_oddeven_config_static_selectorELNS0_4arch9wavefront6targetE0EEEvSK_.kd
    .uniform_work_group_size: 1
    .uses_dynamic_stack: false
    .vgpr_count:     0
    .vgpr_spill_count: 0
    .wavefront_size: 32
    .workgroup_processor_mode: 1
  - .args:
      - .offset:         0
        .size:           56
        .value_kind:     by_value
    .group_segment_fixed_size: 0
    .kernarg_segment_align: 8
    .kernarg_segment_size: 56
    .language:       OpenCL C
    .language_version:
      - 2
      - 0
    .max_flat_workgroup_size: 256
    .name:           _ZN7rocprim17ROCPRIM_400000_NS6detail17trampoline_kernelINS0_14default_configENS1_38merge_sort_block_merge_config_selectorIiNS0_10empty_typeEEEZZNS1_27merge_sort_block_merge_implIS3_N6thrust23THRUST_200600_302600_NS6detail15normal_iteratorINS9_10device_ptrIiEEEEPS5_m9comp_mod3IiEEE10hipError_tT0_T1_T2_jT3_P12ihipStream_tbPNSt15iterator_traitsISJ_E10value_typeEPNSP_ISK_E10value_typeEPSL_NS1_7vsmem_tEENKUlT_SJ_SK_SL_E_clISE_PiSF_SF_EESI_SY_SJ_SK_SL_EUlSY_E1_NS1_11comp_targetILNS1_3genE9ELNS1_11target_archE1100ELNS1_3gpuE3ELNS1_3repE0EEENS1_36merge_oddeven_config_static_selectorELNS0_4arch9wavefront6targetE0EEEvSK_
    .private_segment_fixed_size: 0
    .sgpr_count:     0
    .sgpr_spill_count: 0
    .symbol:         _ZN7rocprim17ROCPRIM_400000_NS6detail17trampoline_kernelINS0_14default_configENS1_38merge_sort_block_merge_config_selectorIiNS0_10empty_typeEEEZZNS1_27merge_sort_block_merge_implIS3_N6thrust23THRUST_200600_302600_NS6detail15normal_iteratorINS9_10device_ptrIiEEEEPS5_m9comp_mod3IiEEE10hipError_tT0_T1_T2_jT3_P12ihipStream_tbPNSt15iterator_traitsISJ_E10value_typeEPNSP_ISK_E10value_typeEPSL_NS1_7vsmem_tEENKUlT_SJ_SK_SL_E_clISE_PiSF_SF_EESI_SY_SJ_SK_SL_EUlSY_E1_NS1_11comp_targetILNS1_3genE9ELNS1_11target_archE1100ELNS1_3gpuE3ELNS1_3repE0EEENS1_36merge_oddeven_config_static_selectorELNS0_4arch9wavefront6targetE0EEEvSK_.kd
    .uniform_work_group_size: 1
    .uses_dynamic_stack: false
    .vgpr_count:     0
    .vgpr_spill_count: 0
    .wavefront_size: 32
    .workgroup_processor_mode: 1
  - .args:
      - .offset:         0
        .size:           56
        .value_kind:     by_value
    .group_segment_fixed_size: 0
    .kernarg_segment_align: 8
    .kernarg_segment_size: 56
    .language:       OpenCL C
    .language_version:
      - 2
      - 0
    .max_flat_workgroup_size: 256
    .name:           _ZN7rocprim17ROCPRIM_400000_NS6detail17trampoline_kernelINS0_14default_configENS1_38merge_sort_block_merge_config_selectorIiNS0_10empty_typeEEEZZNS1_27merge_sort_block_merge_implIS3_N6thrust23THRUST_200600_302600_NS6detail15normal_iteratorINS9_10device_ptrIiEEEEPS5_m9comp_mod3IiEEE10hipError_tT0_T1_T2_jT3_P12ihipStream_tbPNSt15iterator_traitsISJ_E10value_typeEPNSP_ISK_E10value_typeEPSL_NS1_7vsmem_tEENKUlT_SJ_SK_SL_E_clISE_PiSF_SF_EESI_SY_SJ_SK_SL_EUlSY_E1_NS1_11comp_targetILNS1_3genE8ELNS1_11target_archE1030ELNS1_3gpuE2ELNS1_3repE0EEENS1_36merge_oddeven_config_static_selectorELNS0_4arch9wavefront6targetE0EEEvSK_
    .private_segment_fixed_size: 0
    .sgpr_count:     20
    .sgpr_spill_count: 0
    .symbol:         _ZN7rocprim17ROCPRIM_400000_NS6detail17trampoline_kernelINS0_14default_configENS1_38merge_sort_block_merge_config_selectorIiNS0_10empty_typeEEEZZNS1_27merge_sort_block_merge_implIS3_N6thrust23THRUST_200600_302600_NS6detail15normal_iteratorINS9_10device_ptrIiEEEEPS5_m9comp_mod3IiEEE10hipError_tT0_T1_T2_jT3_P12ihipStream_tbPNSt15iterator_traitsISJ_E10value_typeEPNSP_ISK_E10value_typeEPSL_NS1_7vsmem_tEENKUlT_SJ_SK_SL_E_clISE_PiSF_SF_EESI_SY_SJ_SK_SL_EUlSY_E1_NS1_11comp_targetILNS1_3genE8ELNS1_11target_archE1030ELNS1_3gpuE2ELNS1_3repE0EEENS1_36merge_oddeven_config_static_selectorELNS0_4arch9wavefront6targetE0EEEvSK_.kd
    .uniform_work_group_size: 1
    .uses_dynamic_stack: false
    .vgpr_count:     13
    .vgpr_spill_count: 0
    .wavefront_size: 32
    .workgroup_processor_mode: 1
  - .args:
      - .offset:         0
        .size:           64
        .value_kind:     by_value
    .group_segment_fixed_size: 0
    .kernarg_segment_align: 8
    .kernarg_segment_size: 64
    .language:       OpenCL C
    .language_version:
      - 2
      - 0
    .max_flat_workgroup_size: 256
    .name:           _ZN7rocprim17ROCPRIM_400000_NS6detail17trampoline_kernelINS0_14default_configENS1_37merge_sort_block_sort_config_selectorIsNS0_10empty_typeEEEZNS1_21merge_sort_block_sortIS3_N6thrust23THRUST_200600_302600_NS6detail15normal_iteratorINS9_10device_ptrIsEEEESE_PS5_SF_9comp_mod3IsEEE10hipError_tT0_T1_T2_T3_mRjT4_P12ihipStream_tbNS1_7vsmem_tEEUlT_E_NS1_11comp_targetILNS1_3genE0ELNS1_11target_archE4294967295ELNS1_3gpuE0ELNS1_3repE0EEENS1_30default_config_static_selectorELNS0_4arch9wavefront6targetE0EEEvSK_
    .private_segment_fixed_size: 0
    .sgpr_count:     0
    .sgpr_spill_count: 0
    .symbol:         _ZN7rocprim17ROCPRIM_400000_NS6detail17trampoline_kernelINS0_14default_configENS1_37merge_sort_block_sort_config_selectorIsNS0_10empty_typeEEEZNS1_21merge_sort_block_sortIS3_N6thrust23THRUST_200600_302600_NS6detail15normal_iteratorINS9_10device_ptrIsEEEESE_PS5_SF_9comp_mod3IsEEE10hipError_tT0_T1_T2_T3_mRjT4_P12ihipStream_tbNS1_7vsmem_tEEUlT_E_NS1_11comp_targetILNS1_3genE0ELNS1_11target_archE4294967295ELNS1_3gpuE0ELNS1_3repE0EEENS1_30default_config_static_selectorELNS0_4arch9wavefront6targetE0EEEvSK_.kd
    .uniform_work_group_size: 1
    .uses_dynamic_stack: false
    .vgpr_count:     0
    .vgpr_spill_count: 0
    .wavefront_size: 32
    .workgroup_processor_mode: 1
  - .args:
      - .offset:         0
        .size:           64
        .value_kind:     by_value
    .group_segment_fixed_size: 0
    .kernarg_segment_align: 8
    .kernarg_segment_size: 64
    .language:       OpenCL C
    .language_version:
      - 2
      - 0
    .max_flat_workgroup_size: 256
    .name:           _ZN7rocprim17ROCPRIM_400000_NS6detail17trampoline_kernelINS0_14default_configENS1_37merge_sort_block_sort_config_selectorIsNS0_10empty_typeEEEZNS1_21merge_sort_block_sortIS3_N6thrust23THRUST_200600_302600_NS6detail15normal_iteratorINS9_10device_ptrIsEEEESE_PS5_SF_9comp_mod3IsEEE10hipError_tT0_T1_T2_T3_mRjT4_P12ihipStream_tbNS1_7vsmem_tEEUlT_E_NS1_11comp_targetILNS1_3genE5ELNS1_11target_archE942ELNS1_3gpuE9ELNS1_3repE0EEENS1_30default_config_static_selectorELNS0_4arch9wavefront6targetE0EEEvSK_
    .private_segment_fixed_size: 0
    .sgpr_count:     0
    .sgpr_spill_count: 0
    .symbol:         _ZN7rocprim17ROCPRIM_400000_NS6detail17trampoline_kernelINS0_14default_configENS1_37merge_sort_block_sort_config_selectorIsNS0_10empty_typeEEEZNS1_21merge_sort_block_sortIS3_N6thrust23THRUST_200600_302600_NS6detail15normal_iteratorINS9_10device_ptrIsEEEESE_PS5_SF_9comp_mod3IsEEE10hipError_tT0_T1_T2_T3_mRjT4_P12ihipStream_tbNS1_7vsmem_tEEUlT_E_NS1_11comp_targetILNS1_3genE5ELNS1_11target_archE942ELNS1_3gpuE9ELNS1_3repE0EEENS1_30default_config_static_selectorELNS0_4arch9wavefront6targetE0EEEvSK_.kd
    .uniform_work_group_size: 1
    .uses_dynamic_stack: false
    .vgpr_count:     0
    .vgpr_spill_count: 0
    .wavefront_size: 32
    .workgroup_processor_mode: 1
  - .args:
      - .offset:         0
        .size:           64
        .value_kind:     by_value
    .group_segment_fixed_size: 0
    .kernarg_segment_align: 8
    .kernarg_segment_size: 64
    .language:       OpenCL C
    .language_version:
      - 2
      - 0
    .max_flat_workgroup_size: 256
    .name:           _ZN7rocprim17ROCPRIM_400000_NS6detail17trampoline_kernelINS0_14default_configENS1_37merge_sort_block_sort_config_selectorIsNS0_10empty_typeEEEZNS1_21merge_sort_block_sortIS3_N6thrust23THRUST_200600_302600_NS6detail15normal_iteratorINS9_10device_ptrIsEEEESE_PS5_SF_9comp_mod3IsEEE10hipError_tT0_T1_T2_T3_mRjT4_P12ihipStream_tbNS1_7vsmem_tEEUlT_E_NS1_11comp_targetILNS1_3genE4ELNS1_11target_archE910ELNS1_3gpuE8ELNS1_3repE0EEENS1_30default_config_static_selectorELNS0_4arch9wavefront6targetE0EEEvSK_
    .private_segment_fixed_size: 0
    .sgpr_count:     0
    .sgpr_spill_count: 0
    .symbol:         _ZN7rocprim17ROCPRIM_400000_NS6detail17trampoline_kernelINS0_14default_configENS1_37merge_sort_block_sort_config_selectorIsNS0_10empty_typeEEEZNS1_21merge_sort_block_sortIS3_N6thrust23THRUST_200600_302600_NS6detail15normal_iteratorINS9_10device_ptrIsEEEESE_PS5_SF_9comp_mod3IsEEE10hipError_tT0_T1_T2_T3_mRjT4_P12ihipStream_tbNS1_7vsmem_tEEUlT_E_NS1_11comp_targetILNS1_3genE4ELNS1_11target_archE910ELNS1_3gpuE8ELNS1_3repE0EEENS1_30default_config_static_selectorELNS0_4arch9wavefront6targetE0EEEvSK_.kd
    .uniform_work_group_size: 1
    .uses_dynamic_stack: false
    .vgpr_count:     0
    .vgpr_spill_count: 0
    .wavefront_size: 32
    .workgroup_processor_mode: 1
  - .args:
      - .offset:         0
        .size:           64
        .value_kind:     by_value
    .group_segment_fixed_size: 0
    .kernarg_segment_align: 8
    .kernarg_segment_size: 64
    .language:       OpenCL C
    .language_version:
      - 2
      - 0
    .max_flat_workgroup_size: 256
    .name:           _ZN7rocprim17ROCPRIM_400000_NS6detail17trampoline_kernelINS0_14default_configENS1_37merge_sort_block_sort_config_selectorIsNS0_10empty_typeEEEZNS1_21merge_sort_block_sortIS3_N6thrust23THRUST_200600_302600_NS6detail15normal_iteratorINS9_10device_ptrIsEEEESE_PS5_SF_9comp_mod3IsEEE10hipError_tT0_T1_T2_T3_mRjT4_P12ihipStream_tbNS1_7vsmem_tEEUlT_E_NS1_11comp_targetILNS1_3genE3ELNS1_11target_archE908ELNS1_3gpuE7ELNS1_3repE0EEENS1_30default_config_static_selectorELNS0_4arch9wavefront6targetE0EEEvSK_
    .private_segment_fixed_size: 0
    .sgpr_count:     0
    .sgpr_spill_count: 0
    .symbol:         _ZN7rocprim17ROCPRIM_400000_NS6detail17trampoline_kernelINS0_14default_configENS1_37merge_sort_block_sort_config_selectorIsNS0_10empty_typeEEEZNS1_21merge_sort_block_sortIS3_N6thrust23THRUST_200600_302600_NS6detail15normal_iteratorINS9_10device_ptrIsEEEESE_PS5_SF_9comp_mod3IsEEE10hipError_tT0_T1_T2_T3_mRjT4_P12ihipStream_tbNS1_7vsmem_tEEUlT_E_NS1_11comp_targetILNS1_3genE3ELNS1_11target_archE908ELNS1_3gpuE7ELNS1_3repE0EEENS1_30default_config_static_selectorELNS0_4arch9wavefront6targetE0EEEvSK_.kd
    .uniform_work_group_size: 1
    .uses_dynamic_stack: false
    .vgpr_count:     0
    .vgpr_spill_count: 0
    .wavefront_size: 32
    .workgroup_processor_mode: 1
  - .args:
      - .offset:         0
        .size:           64
        .value_kind:     by_value
    .group_segment_fixed_size: 0
    .kernarg_segment_align: 8
    .kernarg_segment_size: 64
    .language:       OpenCL C
    .language_version:
      - 2
      - 0
    .max_flat_workgroup_size: 256
    .name:           _ZN7rocprim17ROCPRIM_400000_NS6detail17trampoline_kernelINS0_14default_configENS1_37merge_sort_block_sort_config_selectorIsNS0_10empty_typeEEEZNS1_21merge_sort_block_sortIS3_N6thrust23THRUST_200600_302600_NS6detail15normal_iteratorINS9_10device_ptrIsEEEESE_PS5_SF_9comp_mod3IsEEE10hipError_tT0_T1_T2_T3_mRjT4_P12ihipStream_tbNS1_7vsmem_tEEUlT_E_NS1_11comp_targetILNS1_3genE2ELNS1_11target_archE906ELNS1_3gpuE6ELNS1_3repE0EEENS1_30default_config_static_selectorELNS0_4arch9wavefront6targetE0EEEvSK_
    .private_segment_fixed_size: 0
    .sgpr_count:     0
    .sgpr_spill_count: 0
    .symbol:         _ZN7rocprim17ROCPRIM_400000_NS6detail17trampoline_kernelINS0_14default_configENS1_37merge_sort_block_sort_config_selectorIsNS0_10empty_typeEEEZNS1_21merge_sort_block_sortIS3_N6thrust23THRUST_200600_302600_NS6detail15normal_iteratorINS9_10device_ptrIsEEEESE_PS5_SF_9comp_mod3IsEEE10hipError_tT0_T1_T2_T3_mRjT4_P12ihipStream_tbNS1_7vsmem_tEEUlT_E_NS1_11comp_targetILNS1_3genE2ELNS1_11target_archE906ELNS1_3gpuE6ELNS1_3repE0EEENS1_30default_config_static_selectorELNS0_4arch9wavefront6targetE0EEEvSK_.kd
    .uniform_work_group_size: 1
    .uses_dynamic_stack: false
    .vgpr_count:     0
    .vgpr_spill_count: 0
    .wavefront_size: 32
    .workgroup_processor_mode: 1
  - .args:
      - .offset:         0
        .size:           64
        .value_kind:     by_value
    .group_segment_fixed_size: 0
    .kernarg_segment_align: 8
    .kernarg_segment_size: 64
    .language:       OpenCL C
    .language_version:
      - 2
      - 0
    .max_flat_workgroup_size: 256
    .name:           _ZN7rocprim17ROCPRIM_400000_NS6detail17trampoline_kernelINS0_14default_configENS1_37merge_sort_block_sort_config_selectorIsNS0_10empty_typeEEEZNS1_21merge_sort_block_sortIS3_N6thrust23THRUST_200600_302600_NS6detail15normal_iteratorINS9_10device_ptrIsEEEESE_PS5_SF_9comp_mod3IsEEE10hipError_tT0_T1_T2_T3_mRjT4_P12ihipStream_tbNS1_7vsmem_tEEUlT_E_NS1_11comp_targetILNS1_3genE10ELNS1_11target_archE1201ELNS1_3gpuE5ELNS1_3repE0EEENS1_30default_config_static_selectorELNS0_4arch9wavefront6targetE0EEEvSK_
    .private_segment_fixed_size: 0
    .sgpr_count:     0
    .sgpr_spill_count: 0
    .symbol:         _ZN7rocprim17ROCPRIM_400000_NS6detail17trampoline_kernelINS0_14default_configENS1_37merge_sort_block_sort_config_selectorIsNS0_10empty_typeEEEZNS1_21merge_sort_block_sortIS3_N6thrust23THRUST_200600_302600_NS6detail15normal_iteratorINS9_10device_ptrIsEEEESE_PS5_SF_9comp_mod3IsEEE10hipError_tT0_T1_T2_T3_mRjT4_P12ihipStream_tbNS1_7vsmem_tEEUlT_E_NS1_11comp_targetILNS1_3genE10ELNS1_11target_archE1201ELNS1_3gpuE5ELNS1_3repE0EEENS1_30default_config_static_selectorELNS0_4arch9wavefront6targetE0EEEvSK_.kd
    .uniform_work_group_size: 1
    .uses_dynamic_stack: false
    .vgpr_count:     0
    .vgpr_spill_count: 0
    .wavefront_size: 32
    .workgroup_processor_mode: 1
  - .args:
      - .offset:         0
        .size:           64
        .value_kind:     by_value
    .group_segment_fixed_size: 0
    .kernarg_segment_align: 8
    .kernarg_segment_size: 64
    .language:       OpenCL C
    .language_version:
      - 2
      - 0
    .max_flat_workgroup_size: 256
    .name:           _ZN7rocprim17ROCPRIM_400000_NS6detail17trampoline_kernelINS0_14default_configENS1_37merge_sort_block_sort_config_selectorIsNS0_10empty_typeEEEZNS1_21merge_sort_block_sortIS3_N6thrust23THRUST_200600_302600_NS6detail15normal_iteratorINS9_10device_ptrIsEEEESE_PS5_SF_9comp_mod3IsEEE10hipError_tT0_T1_T2_T3_mRjT4_P12ihipStream_tbNS1_7vsmem_tEEUlT_E_NS1_11comp_targetILNS1_3genE10ELNS1_11target_archE1200ELNS1_3gpuE4ELNS1_3repE0EEENS1_30default_config_static_selectorELNS0_4arch9wavefront6targetE0EEEvSK_
    .private_segment_fixed_size: 0
    .sgpr_count:     0
    .sgpr_spill_count: 0
    .symbol:         _ZN7rocprim17ROCPRIM_400000_NS6detail17trampoline_kernelINS0_14default_configENS1_37merge_sort_block_sort_config_selectorIsNS0_10empty_typeEEEZNS1_21merge_sort_block_sortIS3_N6thrust23THRUST_200600_302600_NS6detail15normal_iteratorINS9_10device_ptrIsEEEESE_PS5_SF_9comp_mod3IsEEE10hipError_tT0_T1_T2_T3_mRjT4_P12ihipStream_tbNS1_7vsmem_tEEUlT_E_NS1_11comp_targetILNS1_3genE10ELNS1_11target_archE1200ELNS1_3gpuE4ELNS1_3repE0EEENS1_30default_config_static_selectorELNS0_4arch9wavefront6targetE0EEEvSK_.kd
    .uniform_work_group_size: 1
    .uses_dynamic_stack: false
    .vgpr_count:     0
    .vgpr_spill_count: 0
    .wavefront_size: 32
    .workgroup_processor_mode: 1
  - .args:
      - .offset:         0
        .size:           64
        .value_kind:     by_value
    .group_segment_fixed_size: 0
    .kernarg_segment_align: 8
    .kernarg_segment_size: 64
    .language:       OpenCL C
    .language_version:
      - 2
      - 0
    .max_flat_workgroup_size: 256
    .name:           _ZN7rocprim17ROCPRIM_400000_NS6detail17trampoline_kernelINS0_14default_configENS1_37merge_sort_block_sort_config_selectorIsNS0_10empty_typeEEEZNS1_21merge_sort_block_sortIS3_N6thrust23THRUST_200600_302600_NS6detail15normal_iteratorINS9_10device_ptrIsEEEESE_PS5_SF_9comp_mod3IsEEE10hipError_tT0_T1_T2_T3_mRjT4_P12ihipStream_tbNS1_7vsmem_tEEUlT_E_NS1_11comp_targetILNS1_3genE9ELNS1_11target_archE1100ELNS1_3gpuE3ELNS1_3repE0EEENS1_30default_config_static_selectorELNS0_4arch9wavefront6targetE0EEEvSK_
    .private_segment_fixed_size: 0
    .sgpr_count:     0
    .sgpr_spill_count: 0
    .symbol:         _ZN7rocprim17ROCPRIM_400000_NS6detail17trampoline_kernelINS0_14default_configENS1_37merge_sort_block_sort_config_selectorIsNS0_10empty_typeEEEZNS1_21merge_sort_block_sortIS3_N6thrust23THRUST_200600_302600_NS6detail15normal_iteratorINS9_10device_ptrIsEEEESE_PS5_SF_9comp_mod3IsEEE10hipError_tT0_T1_T2_T3_mRjT4_P12ihipStream_tbNS1_7vsmem_tEEUlT_E_NS1_11comp_targetILNS1_3genE9ELNS1_11target_archE1100ELNS1_3gpuE3ELNS1_3repE0EEENS1_30default_config_static_selectorELNS0_4arch9wavefront6targetE0EEEvSK_.kd
    .uniform_work_group_size: 1
    .uses_dynamic_stack: false
    .vgpr_count:     0
    .vgpr_spill_count: 0
    .wavefront_size: 32
    .workgroup_processor_mode: 1
  - .args:
      - .offset:         0
        .size:           64
        .value_kind:     by_value
      - .offset:         64
        .size:           4
        .value_kind:     hidden_block_count_x
      - .offset:         68
        .size:           4
        .value_kind:     hidden_block_count_y
      - .offset:         72
        .size:           4
        .value_kind:     hidden_block_count_z
      - .offset:         76
        .size:           2
        .value_kind:     hidden_group_size_x
      - .offset:         78
        .size:           2
        .value_kind:     hidden_group_size_y
      - .offset:         80
        .size:           2
        .value_kind:     hidden_group_size_z
      - .offset:         82
        .size:           2
        .value_kind:     hidden_remainder_x
      - .offset:         84
        .size:           2
        .value_kind:     hidden_remainder_y
      - .offset:         86
        .size:           2
        .value_kind:     hidden_remainder_z
      - .offset:         104
        .size:           8
        .value_kind:     hidden_global_offset_x
      - .offset:         112
        .size:           8
        .value_kind:     hidden_global_offset_y
      - .offset:         120
        .size:           8
        .value_kind:     hidden_global_offset_z
      - .offset:         128
        .size:           2
        .value_kind:     hidden_grid_dims
    .group_segment_fixed_size: 16896
    .kernarg_segment_align: 8
    .kernarg_segment_size: 320
    .language:       OpenCL C
    .language_version:
      - 2
      - 0
    .max_flat_workgroup_size: 256
    .name:           _ZN7rocprim17ROCPRIM_400000_NS6detail17trampoline_kernelINS0_14default_configENS1_37merge_sort_block_sort_config_selectorIsNS0_10empty_typeEEEZNS1_21merge_sort_block_sortIS3_N6thrust23THRUST_200600_302600_NS6detail15normal_iteratorINS9_10device_ptrIsEEEESE_PS5_SF_9comp_mod3IsEEE10hipError_tT0_T1_T2_T3_mRjT4_P12ihipStream_tbNS1_7vsmem_tEEUlT_E_NS1_11comp_targetILNS1_3genE8ELNS1_11target_archE1030ELNS1_3gpuE2ELNS1_3repE0EEENS1_30default_config_static_selectorELNS0_4arch9wavefront6targetE0EEEvSK_
    .private_segment_fixed_size: 144
    .sgpr_count:     98
    .sgpr_spill_count: 0
    .symbol:         _ZN7rocprim17ROCPRIM_400000_NS6detail17trampoline_kernelINS0_14default_configENS1_37merge_sort_block_sort_config_selectorIsNS0_10empty_typeEEEZNS1_21merge_sort_block_sortIS3_N6thrust23THRUST_200600_302600_NS6detail15normal_iteratorINS9_10device_ptrIsEEEESE_PS5_SF_9comp_mod3IsEEE10hipError_tT0_T1_T2_T3_mRjT4_P12ihipStream_tbNS1_7vsmem_tEEUlT_E_NS1_11comp_targetILNS1_3genE8ELNS1_11target_archE1030ELNS1_3gpuE2ELNS1_3repE0EEENS1_30default_config_static_selectorELNS0_4arch9wavefront6targetE0EEEvSK_.kd
    .uniform_work_group_size: 1
    .uses_dynamic_stack: false
    .vgpr_count:     248
    .vgpr_spill_count: 0
    .wavefront_size: 32
    .workgroup_processor_mode: 1
  - .args:
      - .offset:         0
        .size:           48
        .value_kind:     by_value
    .group_segment_fixed_size: 0
    .kernarg_segment_align: 8
    .kernarg_segment_size: 48
    .language:       OpenCL C
    .language_version:
      - 2
      - 0
    .max_flat_workgroup_size: 128
    .name:           _ZN7rocprim17ROCPRIM_400000_NS6detail17trampoline_kernelINS0_14default_configENS1_38merge_sort_block_merge_config_selectorIsNS0_10empty_typeEEEZZNS1_27merge_sort_block_merge_implIS3_N6thrust23THRUST_200600_302600_NS6detail15normal_iteratorINS9_10device_ptrIsEEEEPS5_m9comp_mod3IsEEE10hipError_tT0_T1_T2_jT3_P12ihipStream_tbPNSt15iterator_traitsISJ_E10value_typeEPNSP_ISK_E10value_typeEPSL_NS1_7vsmem_tEENKUlT_SJ_SK_SL_E_clIPsSE_SF_SF_EESI_SY_SJ_SK_SL_EUlSY_E_NS1_11comp_targetILNS1_3genE0ELNS1_11target_archE4294967295ELNS1_3gpuE0ELNS1_3repE0EEENS1_48merge_mergepath_partition_config_static_selectorELNS0_4arch9wavefront6targetE0EEEvSK_
    .private_segment_fixed_size: 0
    .sgpr_count:     0
    .sgpr_spill_count: 0
    .symbol:         _ZN7rocprim17ROCPRIM_400000_NS6detail17trampoline_kernelINS0_14default_configENS1_38merge_sort_block_merge_config_selectorIsNS0_10empty_typeEEEZZNS1_27merge_sort_block_merge_implIS3_N6thrust23THRUST_200600_302600_NS6detail15normal_iteratorINS9_10device_ptrIsEEEEPS5_m9comp_mod3IsEEE10hipError_tT0_T1_T2_jT3_P12ihipStream_tbPNSt15iterator_traitsISJ_E10value_typeEPNSP_ISK_E10value_typeEPSL_NS1_7vsmem_tEENKUlT_SJ_SK_SL_E_clIPsSE_SF_SF_EESI_SY_SJ_SK_SL_EUlSY_E_NS1_11comp_targetILNS1_3genE0ELNS1_11target_archE4294967295ELNS1_3gpuE0ELNS1_3repE0EEENS1_48merge_mergepath_partition_config_static_selectorELNS0_4arch9wavefront6targetE0EEEvSK_.kd
    .uniform_work_group_size: 1
    .uses_dynamic_stack: false
    .vgpr_count:     0
    .vgpr_spill_count: 0
    .wavefront_size: 32
    .workgroup_processor_mode: 1
  - .args:
      - .offset:         0
        .size:           48
        .value_kind:     by_value
    .group_segment_fixed_size: 0
    .kernarg_segment_align: 8
    .kernarg_segment_size: 48
    .language:       OpenCL C
    .language_version:
      - 2
      - 0
    .max_flat_workgroup_size: 128
    .name:           _ZN7rocprim17ROCPRIM_400000_NS6detail17trampoline_kernelINS0_14default_configENS1_38merge_sort_block_merge_config_selectorIsNS0_10empty_typeEEEZZNS1_27merge_sort_block_merge_implIS3_N6thrust23THRUST_200600_302600_NS6detail15normal_iteratorINS9_10device_ptrIsEEEEPS5_m9comp_mod3IsEEE10hipError_tT0_T1_T2_jT3_P12ihipStream_tbPNSt15iterator_traitsISJ_E10value_typeEPNSP_ISK_E10value_typeEPSL_NS1_7vsmem_tEENKUlT_SJ_SK_SL_E_clIPsSE_SF_SF_EESI_SY_SJ_SK_SL_EUlSY_E_NS1_11comp_targetILNS1_3genE10ELNS1_11target_archE1201ELNS1_3gpuE5ELNS1_3repE0EEENS1_48merge_mergepath_partition_config_static_selectorELNS0_4arch9wavefront6targetE0EEEvSK_
    .private_segment_fixed_size: 0
    .sgpr_count:     0
    .sgpr_spill_count: 0
    .symbol:         _ZN7rocprim17ROCPRIM_400000_NS6detail17trampoline_kernelINS0_14default_configENS1_38merge_sort_block_merge_config_selectorIsNS0_10empty_typeEEEZZNS1_27merge_sort_block_merge_implIS3_N6thrust23THRUST_200600_302600_NS6detail15normal_iteratorINS9_10device_ptrIsEEEEPS5_m9comp_mod3IsEEE10hipError_tT0_T1_T2_jT3_P12ihipStream_tbPNSt15iterator_traitsISJ_E10value_typeEPNSP_ISK_E10value_typeEPSL_NS1_7vsmem_tEENKUlT_SJ_SK_SL_E_clIPsSE_SF_SF_EESI_SY_SJ_SK_SL_EUlSY_E_NS1_11comp_targetILNS1_3genE10ELNS1_11target_archE1201ELNS1_3gpuE5ELNS1_3repE0EEENS1_48merge_mergepath_partition_config_static_selectorELNS0_4arch9wavefront6targetE0EEEvSK_.kd
    .uniform_work_group_size: 1
    .uses_dynamic_stack: false
    .vgpr_count:     0
    .vgpr_spill_count: 0
    .wavefront_size: 32
    .workgroup_processor_mode: 1
  - .args:
      - .offset:         0
        .size:           48
        .value_kind:     by_value
    .group_segment_fixed_size: 0
    .kernarg_segment_align: 8
    .kernarg_segment_size: 48
    .language:       OpenCL C
    .language_version:
      - 2
      - 0
    .max_flat_workgroup_size: 128
    .name:           _ZN7rocprim17ROCPRIM_400000_NS6detail17trampoline_kernelINS0_14default_configENS1_38merge_sort_block_merge_config_selectorIsNS0_10empty_typeEEEZZNS1_27merge_sort_block_merge_implIS3_N6thrust23THRUST_200600_302600_NS6detail15normal_iteratorINS9_10device_ptrIsEEEEPS5_m9comp_mod3IsEEE10hipError_tT0_T1_T2_jT3_P12ihipStream_tbPNSt15iterator_traitsISJ_E10value_typeEPNSP_ISK_E10value_typeEPSL_NS1_7vsmem_tEENKUlT_SJ_SK_SL_E_clIPsSE_SF_SF_EESI_SY_SJ_SK_SL_EUlSY_E_NS1_11comp_targetILNS1_3genE5ELNS1_11target_archE942ELNS1_3gpuE9ELNS1_3repE0EEENS1_48merge_mergepath_partition_config_static_selectorELNS0_4arch9wavefront6targetE0EEEvSK_
    .private_segment_fixed_size: 0
    .sgpr_count:     0
    .sgpr_spill_count: 0
    .symbol:         _ZN7rocprim17ROCPRIM_400000_NS6detail17trampoline_kernelINS0_14default_configENS1_38merge_sort_block_merge_config_selectorIsNS0_10empty_typeEEEZZNS1_27merge_sort_block_merge_implIS3_N6thrust23THRUST_200600_302600_NS6detail15normal_iteratorINS9_10device_ptrIsEEEEPS5_m9comp_mod3IsEEE10hipError_tT0_T1_T2_jT3_P12ihipStream_tbPNSt15iterator_traitsISJ_E10value_typeEPNSP_ISK_E10value_typeEPSL_NS1_7vsmem_tEENKUlT_SJ_SK_SL_E_clIPsSE_SF_SF_EESI_SY_SJ_SK_SL_EUlSY_E_NS1_11comp_targetILNS1_3genE5ELNS1_11target_archE942ELNS1_3gpuE9ELNS1_3repE0EEENS1_48merge_mergepath_partition_config_static_selectorELNS0_4arch9wavefront6targetE0EEEvSK_.kd
    .uniform_work_group_size: 1
    .uses_dynamic_stack: false
    .vgpr_count:     0
    .vgpr_spill_count: 0
    .wavefront_size: 32
    .workgroup_processor_mode: 1
  - .args:
      - .offset:         0
        .size:           48
        .value_kind:     by_value
    .group_segment_fixed_size: 0
    .kernarg_segment_align: 8
    .kernarg_segment_size: 48
    .language:       OpenCL C
    .language_version:
      - 2
      - 0
    .max_flat_workgroup_size: 128
    .name:           _ZN7rocprim17ROCPRIM_400000_NS6detail17trampoline_kernelINS0_14default_configENS1_38merge_sort_block_merge_config_selectorIsNS0_10empty_typeEEEZZNS1_27merge_sort_block_merge_implIS3_N6thrust23THRUST_200600_302600_NS6detail15normal_iteratorINS9_10device_ptrIsEEEEPS5_m9comp_mod3IsEEE10hipError_tT0_T1_T2_jT3_P12ihipStream_tbPNSt15iterator_traitsISJ_E10value_typeEPNSP_ISK_E10value_typeEPSL_NS1_7vsmem_tEENKUlT_SJ_SK_SL_E_clIPsSE_SF_SF_EESI_SY_SJ_SK_SL_EUlSY_E_NS1_11comp_targetILNS1_3genE4ELNS1_11target_archE910ELNS1_3gpuE8ELNS1_3repE0EEENS1_48merge_mergepath_partition_config_static_selectorELNS0_4arch9wavefront6targetE0EEEvSK_
    .private_segment_fixed_size: 0
    .sgpr_count:     0
    .sgpr_spill_count: 0
    .symbol:         _ZN7rocprim17ROCPRIM_400000_NS6detail17trampoline_kernelINS0_14default_configENS1_38merge_sort_block_merge_config_selectorIsNS0_10empty_typeEEEZZNS1_27merge_sort_block_merge_implIS3_N6thrust23THRUST_200600_302600_NS6detail15normal_iteratorINS9_10device_ptrIsEEEEPS5_m9comp_mod3IsEEE10hipError_tT0_T1_T2_jT3_P12ihipStream_tbPNSt15iterator_traitsISJ_E10value_typeEPNSP_ISK_E10value_typeEPSL_NS1_7vsmem_tEENKUlT_SJ_SK_SL_E_clIPsSE_SF_SF_EESI_SY_SJ_SK_SL_EUlSY_E_NS1_11comp_targetILNS1_3genE4ELNS1_11target_archE910ELNS1_3gpuE8ELNS1_3repE0EEENS1_48merge_mergepath_partition_config_static_selectorELNS0_4arch9wavefront6targetE0EEEvSK_.kd
    .uniform_work_group_size: 1
    .uses_dynamic_stack: false
    .vgpr_count:     0
    .vgpr_spill_count: 0
    .wavefront_size: 32
    .workgroup_processor_mode: 1
  - .args:
      - .offset:         0
        .size:           48
        .value_kind:     by_value
    .group_segment_fixed_size: 0
    .kernarg_segment_align: 8
    .kernarg_segment_size: 48
    .language:       OpenCL C
    .language_version:
      - 2
      - 0
    .max_flat_workgroup_size: 128
    .name:           _ZN7rocprim17ROCPRIM_400000_NS6detail17trampoline_kernelINS0_14default_configENS1_38merge_sort_block_merge_config_selectorIsNS0_10empty_typeEEEZZNS1_27merge_sort_block_merge_implIS3_N6thrust23THRUST_200600_302600_NS6detail15normal_iteratorINS9_10device_ptrIsEEEEPS5_m9comp_mod3IsEEE10hipError_tT0_T1_T2_jT3_P12ihipStream_tbPNSt15iterator_traitsISJ_E10value_typeEPNSP_ISK_E10value_typeEPSL_NS1_7vsmem_tEENKUlT_SJ_SK_SL_E_clIPsSE_SF_SF_EESI_SY_SJ_SK_SL_EUlSY_E_NS1_11comp_targetILNS1_3genE3ELNS1_11target_archE908ELNS1_3gpuE7ELNS1_3repE0EEENS1_48merge_mergepath_partition_config_static_selectorELNS0_4arch9wavefront6targetE0EEEvSK_
    .private_segment_fixed_size: 0
    .sgpr_count:     0
    .sgpr_spill_count: 0
    .symbol:         _ZN7rocprim17ROCPRIM_400000_NS6detail17trampoline_kernelINS0_14default_configENS1_38merge_sort_block_merge_config_selectorIsNS0_10empty_typeEEEZZNS1_27merge_sort_block_merge_implIS3_N6thrust23THRUST_200600_302600_NS6detail15normal_iteratorINS9_10device_ptrIsEEEEPS5_m9comp_mod3IsEEE10hipError_tT0_T1_T2_jT3_P12ihipStream_tbPNSt15iterator_traitsISJ_E10value_typeEPNSP_ISK_E10value_typeEPSL_NS1_7vsmem_tEENKUlT_SJ_SK_SL_E_clIPsSE_SF_SF_EESI_SY_SJ_SK_SL_EUlSY_E_NS1_11comp_targetILNS1_3genE3ELNS1_11target_archE908ELNS1_3gpuE7ELNS1_3repE0EEENS1_48merge_mergepath_partition_config_static_selectorELNS0_4arch9wavefront6targetE0EEEvSK_.kd
    .uniform_work_group_size: 1
    .uses_dynamic_stack: false
    .vgpr_count:     0
    .vgpr_spill_count: 0
    .wavefront_size: 32
    .workgroup_processor_mode: 1
  - .args:
      - .offset:         0
        .size:           48
        .value_kind:     by_value
    .group_segment_fixed_size: 0
    .kernarg_segment_align: 8
    .kernarg_segment_size: 48
    .language:       OpenCL C
    .language_version:
      - 2
      - 0
    .max_flat_workgroup_size: 128
    .name:           _ZN7rocprim17ROCPRIM_400000_NS6detail17trampoline_kernelINS0_14default_configENS1_38merge_sort_block_merge_config_selectorIsNS0_10empty_typeEEEZZNS1_27merge_sort_block_merge_implIS3_N6thrust23THRUST_200600_302600_NS6detail15normal_iteratorINS9_10device_ptrIsEEEEPS5_m9comp_mod3IsEEE10hipError_tT0_T1_T2_jT3_P12ihipStream_tbPNSt15iterator_traitsISJ_E10value_typeEPNSP_ISK_E10value_typeEPSL_NS1_7vsmem_tEENKUlT_SJ_SK_SL_E_clIPsSE_SF_SF_EESI_SY_SJ_SK_SL_EUlSY_E_NS1_11comp_targetILNS1_3genE2ELNS1_11target_archE906ELNS1_3gpuE6ELNS1_3repE0EEENS1_48merge_mergepath_partition_config_static_selectorELNS0_4arch9wavefront6targetE0EEEvSK_
    .private_segment_fixed_size: 0
    .sgpr_count:     0
    .sgpr_spill_count: 0
    .symbol:         _ZN7rocprim17ROCPRIM_400000_NS6detail17trampoline_kernelINS0_14default_configENS1_38merge_sort_block_merge_config_selectorIsNS0_10empty_typeEEEZZNS1_27merge_sort_block_merge_implIS3_N6thrust23THRUST_200600_302600_NS6detail15normal_iteratorINS9_10device_ptrIsEEEEPS5_m9comp_mod3IsEEE10hipError_tT0_T1_T2_jT3_P12ihipStream_tbPNSt15iterator_traitsISJ_E10value_typeEPNSP_ISK_E10value_typeEPSL_NS1_7vsmem_tEENKUlT_SJ_SK_SL_E_clIPsSE_SF_SF_EESI_SY_SJ_SK_SL_EUlSY_E_NS1_11comp_targetILNS1_3genE2ELNS1_11target_archE906ELNS1_3gpuE6ELNS1_3repE0EEENS1_48merge_mergepath_partition_config_static_selectorELNS0_4arch9wavefront6targetE0EEEvSK_.kd
    .uniform_work_group_size: 1
    .uses_dynamic_stack: false
    .vgpr_count:     0
    .vgpr_spill_count: 0
    .wavefront_size: 32
    .workgroup_processor_mode: 1
  - .args:
      - .offset:         0
        .size:           48
        .value_kind:     by_value
    .group_segment_fixed_size: 0
    .kernarg_segment_align: 8
    .kernarg_segment_size: 48
    .language:       OpenCL C
    .language_version:
      - 2
      - 0
    .max_flat_workgroup_size: 128
    .name:           _ZN7rocprim17ROCPRIM_400000_NS6detail17trampoline_kernelINS0_14default_configENS1_38merge_sort_block_merge_config_selectorIsNS0_10empty_typeEEEZZNS1_27merge_sort_block_merge_implIS3_N6thrust23THRUST_200600_302600_NS6detail15normal_iteratorINS9_10device_ptrIsEEEEPS5_m9comp_mod3IsEEE10hipError_tT0_T1_T2_jT3_P12ihipStream_tbPNSt15iterator_traitsISJ_E10value_typeEPNSP_ISK_E10value_typeEPSL_NS1_7vsmem_tEENKUlT_SJ_SK_SL_E_clIPsSE_SF_SF_EESI_SY_SJ_SK_SL_EUlSY_E_NS1_11comp_targetILNS1_3genE9ELNS1_11target_archE1100ELNS1_3gpuE3ELNS1_3repE0EEENS1_48merge_mergepath_partition_config_static_selectorELNS0_4arch9wavefront6targetE0EEEvSK_
    .private_segment_fixed_size: 0
    .sgpr_count:     0
    .sgpr_spill_count: 0
    .symbol:         _ZN7rocprim17ROCPRIM_400000_NS6detail17trampoline_kernelINS0_14default_configENS1_38merge_sort_block_merge_config_selectorIsNS0_10empty_typeEEEZZNS1_27merge_sort_block_merge_implIS3_N6thrust23THRUST_200600_302600_NS6detail15normal_iteratorINS9_10device_ptrIsEEEEPS5_m9comp_mod3IsEEE10hipError_tT0_T1_T2_jT3_P12ihipStream_tbPNSt15iterator_traitsISJ_E10value_typeEPNSP_ISK_E10value_typeEPSL_NS1_7vsmem_tEENKUlT_SJ_SK_SL_E_clIPsSE_SF_SF_EESI_SY_SJ_SK_SL_EUlSY_E_NS1_11comp_targetILNS1_3genE9ELNS1_11target_archE1100ELNS1_3gpuE3ELNS1_3repE0EEENS1_48merge_mergepath_partition_config_static_selectorELNS0_4arch9wavefront6targetE0EEEvSK_.kd
    .uniform_work_group_size: 1
    .uses_dynamic_stack: false
    .vgpr_count:     0
    .vgpr_spill_count: 0
    .wavefront_size: 32
    .workgroup_processor_mode: 1
  - .args:
      - .offset:         0
        .size:           48
        .value_kind:     by_value
    .group_segment_fixed_size: 0
    .kernarg_segment_align: 8
    .kernarg_segment_size: 48
    .language:       OpenCL C
    .language_version:
      - 2
      - 0
    .max_flat_workgroup_size: 128
    .name:           _ZN7rocprim17ROCPRIM_400000_NS6detail17trampoline_kernelINS0_14default_configENS1_38merge_sort_block_merge_config_selectorIsNS0_10empty_typeEEEZZNS1_27merge_sort_block_merge_implIS3_N6thrust23THRUST_200600_302600_NS6detail15normal_iteratorINS9_10device_ptrIsEEEEPS5_m9comp_mod3IsEEE10hipError_tT0_T1_T2_jT3_P12ihipStream_tbPNSt15iterator_traitsISJ_E10value_typeEPNSP_ISK_E10value_typeEPSL_NS1_7vsmem_tEENKUlT_SJ_SK_SL_E_clIPsSE_SF_SF_EESI_SY_SJ_SK_SL_EUlSY_E_NS1_11comp_targetILNS1_3genE8ELNS1_11target_archE1030ELNS1_3gpuE2ELNS1_3repE0EEENS1_48merge_mergepath_partition_config_static_selectorELNS0_4arch9wavefront6targetE0EEEvSK_
    .private_segment_fixed_size: 0
    .sgpr_count:     18
    .sgpr_spill_count: 0
    .symbol:         _ZN7rocprim17ROCPRIM_400000_NS6detail17trampoline_kernelINS0_14default_configENS1_38merge_sort_block_merge_config_selectorIsNS0_10empty_typeEEEZZNS1_27merge_sort_block_merge_implIS3_N6thrust23THRUST_200600_302600_NS6detail15normal_iteratorINS9_10device_ptrIsEEEEPS5_m9comp_mod3IsEEE10hipError_tT0_T1_T2_jT3_P12ihipStream_tbPNSt15iterator_traitsISJ_E10value_typeEPNSP_ISK_E10value_typeEPSL_NS1_7vsmem_tEENKUlT_SJ_SK_SL_E_clIPsSE_SF_SF_EESI_SY_SJ_SK_SL_EUlSY_E_NS1_11comp_targetILNS1_3genE8ELNS1_11target_archE1030ELNS1_3gpuE2ELNS1_3repE0EEENS1_48merge_mergepath_partition_config_static_selectorELNS0_4arch9wavefront6targetE0EEEvSK_.kd
    .uniform_work_group_size: 1
    .uses_dynamic_stack: false
    .vgpr_count:     17
    .vgpr_spill_count: 0
    .wavefront_size: 32
    .workgroup_processor_mode: 1
  - .args:
      - .offset:         0
        .size:           80
        .value_kind:     by_value
    .group_segment_fixed_size: 0
    .kernarg_segment_align: 8
    .kernarg_segment_size: 80
    .language:       OpenCL C
    .language_version:
      - 2
      - 0
    .max_flat_workgroup_size: 128
    .name:           _ZN7rocprim17ROCPRIM_400000_NS6detail17trampoline_kernelINS0_14default_configENS1_38merge_sort_block_merge_config_selectorIsNS0_10empty_typeEEEZZNS1_27merge_sort_block_merge_implIS3_N6thrust23THRUST_200600_302600_NS6detail15normal_iteratorINS9_10device_ptrIsEEEEPS5_m9comp_mod3IsEEE10hipError_tT0_T1_T2_jT3_P12ihipStream_tbPNSt15iterator_traitsISJ_E10value_typeEPNSP_ISK_E10value_typeEPSL_NS1_7vsmem_tEENKUlT_SJ_SK_SL_E_clIPsSE_SF_SF_EESI_SY_SJ_SK_SL_EUlSY_E0_NS1_11comp_targetILNS1_3genE0ELNS1_11target_archE4294967295ELNS1_3gpuE0ELNS1_3repE0EEENS1_38merge_mergepath_config_static_selectorELNS0_4arch9wavefront6targetE0EEEvSK_
    .private_segment_fixed_size: 0
    .sgpr_count:     0
    .sgpr_spill_count: 0
    .symbol:         _ZN7rocprim17ROCPRIM_400000_NS6detail17trampoline_kernelINS0_14default_configENS1_38merge_sort_block_merge_config_selectorIsNS0_10empty_typeEEEZZNS1_27merge_sort_block_merge_implIS3_N6thrust23THRUST_200600_302600_NS6detail15normal_iteratorINS9_10device_ptrIsEEEEPS5_m9comp_mod3IsEEE10hipError_tT0_T1_T2_jT3_P12ihipStream_tbPNSt15iterator_traitsISJ_E10value_typeEPNSP_ISK_E10value_typeEPSL_NS1_7vsmem_tEENKUlT_SJ_SK_SL_E_clIPsSE_SF_SF_EESI_SY_SJ_SK_SL_EUlSY_E0_NS1_11comp_targetILNS1_3genE0ELNS1_11target_archE4294967295ELNS1_3gpuE0ELNS1_3repE0EEENS1_38merge_mergepath_config_static_selectorELNS0_4arch9wavefront6targetE0EEEvSK_.kd
    .uniform_work_group_size: 1
    .uses_dynamic_stack: false
    .vgpr_count:     0
    .vgpr_spill_count: 0
    .wavefront_size: 32
    .workgroup_processor_mode: 1
  - .args:
      - .offset:         0
        .size:           80
        .value_kind:     by_value
    .group_segment_fixed_size: 0
    .kernarg_segment_align: 8
    .kernarg_segment_size: 80
    .language:       OpenCL C
    .language_version:
      - 2
      - 0
    .max_flat_workgroup_size: 128
    .name:           _ZN7rocprim17ROCPRIM_400000_NS6detail17trampoline_kernelINS0_14default_configENS1_38merge_sort_block_merge_config_selectorIsNS0_10empty_typeEEEZZNS1_27merge_sort_block_merge_implIS3_N6thrust23THRUST_200600_302600_NS6detail15normal_iteratorINS9_10device_ptrIsEEEEPS5_m9comp_mod3IsEEE10hipError_tT0_T1_T2_jT3_P12ihipStream_tbPNSt15iterator_traitsISJ_E10value_typeEPNSP_ISK_E10value_typeEPSL_NS1_7vsmem_tEENKUlT_SJ_SK_SL_E_clIPsSE_SF_SF_EESI_SY_SJ_SK_SL_EUlSY_E0_NS1_11comp_targetILNS1_3genE10ELNS1_11target_archE1201ELNS1_3gpuE5ELNS1_3repE0EEENS1_38merge_mergepath_config_static_selectorELNS0_4arch9wavefront6targetE0EEEvSK_
    .private_segment_fixed_size: 0
    .sgpr_count:     0
    .sgpr_spill_count: 0
    .symbol:         _ZN7rocprim17ROCPRIM_400000_NS6detail17trampoline_kernelINS0_14default_configENS1_38merge_sort_block_merge_config_selectorIsNS0_10empty_typeEEEZZNS1_27merge_sort_block_merge_implIS3_N6thrust23THRUST_200600_302600_NS6detail15normal_iteratorINS9_10device_ptrIsEEEEPS5_m9comp_mod3IsEEE10hipError_tT0_T1_T2_jT3_P12ihipStream_tbPNSt15iterator_traitsISJ_E10value_typeEPNSP_ISK_E10value_typeEPSL_NS1_7vsmem_tEENKUlT_SJ_SK_SL_E_clIPsSE_SF_SF_EESI_SY_SJ_SK_SL_EUlSY_E0_NS1_11comp_targetILNS1_3genE10ELNS1_11target_archE1201ELNS1_3gpuE5ELNS1_3repE0EEENS1_38merge_mergepath_config_static_selectorELNS0_4arch9wavefront6targetE0EEEvSK_.kd
    .uniform_work_group_size: 1
    .uses_dynamic_stack: false
    .vgpr_count:     0
    .vgpr_spill_count: 0
    .wavefront_size: 32
    .workgroup_processor_mode: 1
  - .args:
      - .offset:         0
        .size:           80
        .value_kind:     by_value
    .group_segment_fixed_size: 0
    .kernarg_segment_align: 8
    .kernarg_segment_size: 80
    .language:       OpenCL C
    .language_version:
      - 2
      - 0
    .max_flat_workgroup_size: 128
    .name:           _ZN7rocprim17ROCPRIM_400000_NS6detail17trampoline_kernelINS0_14default_configENS1_38merge_sort_block_merge_config_selectorIsNS0_10empty_typeEEEZZNS1_27merge_sort_block_merge_implIS3_N6thrust23THRUST_200600_302600_NS6detail15normal_iteratorINS9_10device_ptrIsEEEEPS5_m9comp_mod3IsEEE10hipError_tT0_T1_T2_jT3_P12ihipStream_tbPNSt15iterator_traitsISJ_E10value_typeEPNSP_ISK_E10value_typeEPSL_NS1_7vsmem_tEENKUlT_SJ_SK_SL_E_clIPsSE_SF_SF_EESI_SY_SJ_SK_SL_EUlSY_E0_NS1_11comp_targetILNS1_3genE5ELNS1_11target_archE942ELNS1_3gpuE9ELNS1_3repE0EEENS1_38merge_mergepath_config_static_selectorELNS0_4arch9wavefront6targetE0EEEvSK_
    .private_segment_fixed_size: 0
    .sgpr_count:     0
    .sgpr_spill_count: 0
    .symbol:         _ZN7rocprim17ROCPRIM_400000_NS6detail17trampoline_kernelINS0_14default_configENS1_38merge_sort_block_merge_config_selectorIsNS0_10empty_typeEEEZZNS1_27merge_sort_block_merge_implIS3_N6thrust23THRUST_200600_302600_NS6detail15normal_iteratorINS9_10device_ptrIsEEEEPS5_m9comp_mod3IsEEE10hipError_tT0_T1_T2_jT3_P12ihipStream_tbPNSt15iterator_traitsISJ_E10value_typeEPNSP_ISK_E10value_typeEPSL_NS1_7vsmem_tEENKUlT_SJ_SK_SL_E_clIPsSE_SF_SF_EESI_SY_SJ_SK_SL_EUlSY_E0_NS1_11comp_targetILNS1_3genE5ELNS1_11target_archE942ELNS1_3gpuE9ELNS1_3repE0EEENS1_38merge_mergepath_config_static_selectorELNS0_4arch9wavefront6targetE0EEEvSK_.kd
    .uniform_work_group_size: 1
    .uses_dynamic_stack: false
    .vgpr_count:     0
    .vgpr_spill_count: 0
    .wavefront_size: 32
    .workgroup_processor_mode: 1
  - .args:
      - .offset:         0
        .size:           80
        .value_kind:     by_value
    .group_segment_fixed_size: 0
    .kernarg_segment_align: 8
    .kernarg_segment_size: 80
    .language:       OpenCL C
    .language_version:
      - 2
      - 0
    .max_flat_workgroup_size: 128
    .name:           _ZN7rocprim17ROCPRIM_400000_NS6detail17trampoline_kernelINS0_14default_configENS1_38merge_sort_block_merge_config_selectorIsNS0_10empty_typeEEEZZNS1_27merge_sort_block_merge_implIS3_N6thrust23THRUST_200600_302600_NS6detail15normal_iteratorINS9_10device_ptrIsEEEEPS5_m9comp_mod3IsEEE10hipError_tT0_T1_T2_jT3_P12ihipStream_tbPNSt15iterator_traitsISJ_E10value_typeEPNSP_ISK_E10value_typeEPSL_NS1_7vsmem_tEENKUlT_SJ_SK_SL_E_clIPsSE_SF_SF_EESI_SY_SJ_SK_SL_EUlSY_E0_NS1_11comp_targetILNS1_3genE4ELNS1_11target_archE910ELNS1_3gpuE8ELNS1_3repE0EEENS1_38merge_mergepath_config_static_selectorELNS0_4arch9wavefront6targetE0EEEvSK_
    .private_segment_fixed_size: 0
    .sgpr_count:     0
    .sgpr_spill_count: 0
    .symbol:         _ZN7rocprim17ROCPRIM_400000_NS6detail17trampoline_kernelINS0_14default_configENS1_38merge_sort_block_merge_config_selectorIsNS0_10empty_typeEEEZZNS1_27merge_sort_block_merge_implIS3_N6thrust23THRUST_200600_302600_NS6detail15normal_iteratorINS9_10device_ptrIsEEEEPS5_m9comp_mod3IsEEE10hipError_tT0_T1_T2_jT3_P12ihipStream_tbPNSt15iterator_traitsISJ_E10value_typeEPNSP_ISK_E10value_typeEPSL_NS1_7vsmem_tEENKUlT_SJ_SK_SL_E_clIPsSE_SF_SF_EESI_SY_SJ_SK_SL_EUlSY_E0_NS1_11comp_targetILNS1_3genE4ELNS1_11target_archE910ELNS1_3gpuE8ELNS1_3repE0EEENS1_38merge_mergepath_config_static_selectorELNS0_4arch9wavefront6targetE0EEEvSK_.kd
    .uniform_work_group_size: 1
    .uses_dynamic_stack: false
    .vgpr_count:     0
    .vgpr_spill_count: 0
    .wavefront_size: 32
    .workgroup_processor_mode: 1
  - .args:
      - .offset:         0
        .size:           80
        .value_kind:     by_value
    .group_segment_fixed_size: 0
    .kernarg_segment_align: 8
    .kernarg_segment_size: 80
    .language:       OpenCL C
    .language_version:
      - 2
      - 0
    .max_flat_workgroup_size: 128
    .name:           _ZN7rocprim17ROCPRIM_400000_NS6detail17trampoline_kernelINS0_14default_configENS1_38merge_sort_block_merge_config_selectorIsNS0_10empty_typeEEEZZNS1_27merge_sort_block_merge_implIS3_N6thrust23THRUST_200600_302600_NS6detail15normal_iteratorINS9_10device_ptrIsEEEEPS5_m9comp_mod3IsEEE10hipError_tT0_T1_T2_jT3_P12ihipStream_tbPNSt15iterator_traitsISJ_E10value_typeEPNSP_ISK_E10value_typeEPSL_NS1_7vsmem_tEENKUlT_SJ_SK_SL_E_clIPsSE_SF_SF_EESI_SY_SJ_SK_SL_EUlSY_E0_NS1_11comp_targetILNS1_3genE3ELNS1_11target_archE908ELNS1_3gpuE7ELNS1_3repE0EEENS1_38merge_mergepath_config_static_selectorELNS0_4arch9wavefront6targetE0EEEvSK_
    .private_segment_fixed_size: 0
    .sgpr_count:     0
    .sgpr_spill_count: 0
    .symbol:         _ZN7rocprim17ROCPRIM_400000_NS6detail17trampoline_kernelINS0_14default_configENS1_38merge_sort_block_merge_config_selectorIsNS0_10empty_typeEEEZZNS1_27merge_sort_block_merge_implIS3_N6thrust23THRUST_200600_302600_NS6detail15normal_iteratorINS9_10device_ptrIsEEEEPS5_m9comp_mod3IsEEE10hipError_tT0_T1_T2_jT3_P12ihipStream_tbPNSt15iterator_traitsISJ_E10value_typeEPNSP_ISK_E10value_typeEPSL_NS1_7vsmem_tEENKUlT_SJ_SK_SL_E_clIPsSE_SF_SF_EESI_SY_SJ_SK_SL_EUlSY_E0_NS1_11comp_targetILNS1_3genE3ELNS1_11target_archE908ELNS1_3gpuE7ELNS1_3repE0EEENS1_38merge_mergepath_config_static_selectorELNS0_4arch9wavefront6targetE0EEEvSK_.kd
    .uniform_work_group_size: 1
    .uses_dynamic_stack: false
    .vgpr_count:     0
    .vgpr_spill_count: 0
    .wavefront_size: 32
    .workgroup_processor_mode: 1
  - .args:
      - .offset:         0
        .size:           80
        .value_kind:     by_value
    .group_segment_fixed_size: 0
    .kernarg_segment_align: 8
    .kernarg_segment_size: 80
    .language:       OpenCL C
    .language_version:
      - 2
      - 0
    .max_flat_workgroup_size: 128
    .name:           _ZN7rocprim17ROCPRIM_400000_NS6detail17trampoline_kernelINS0_14default_configENS1_38merge_sort_block_merge_config_selectorIsNS0_10empty_typeEEEZZNS1_27merge_sort_block_merge_implIS3_N6thrust23THRUST_200600_302600_NS6detail15normal_iteratorINS9_10device_ptrIsEEEEPS5_m9comp_mod3IsEEE10hipError_tT0_T1_T2_jT3_P12ihipStream_tbPNSt15iterator_traitsISJ_E10value_typeEPNSP_ISK_E10value_typeEPSL_NS1_7vsmem_tEENKUlT_SJ_SK_SL_E_clIPsSE_SF_SF_EESI_SY_SJ_SK_SL_EUlSY_E0_NS1_11comp_targetILNS1_3genE2ELNS1_11target_archE906ELNS1_3gpuE6ELNS1_3repE0EEENS1_38merge_mergepath_config_static_selectorELNS0_4arch9wavefront6targetE0EEEvSK_
    .private_segment_fixed_size: 0
    .sgpr_count:     0
    .sgpr_spill_count: 0
    .symbol:         _ZN7rocprim17ROCPRIM_400000_NS6detail17trampoline_kernelINS0_14default_configENS1_38merge_sort_block_merge_config_selectorIsNS0_10empty_typeEEEZZNS1_27merge_sort_block_merge_implIS3_N6thrust23THRUST_200600_302600_NS6detail15normal_iteratorINS9_10device_ptrIsEEEEPS5_m9comp_mod3IsEEE10hipError_tT0_T1_T2_jT3_P12ihipStream_tbPNSt15iterator_traitsISJ_E10value_typeEPNSP_ISK_E10value_typeEPSL_NS1_7vsmem_tEENKUlT_SJ_SK_SL_E_clIPsSE_SF_SF_EESI_SY_SJ_SK_SL_EUlSY_E0_NS1_11comp_targetILNS1_3genE2ELNS1_11target_archE906ELNS1_3gpuE6ELNS1_3repE0EEENS1_38merge_mergepath_config_static_selectorELNS0_4arch9wavefront6targetE0EEEvSK_.kd
    .uniform_work_group_size: 1
    .uses_dynamic_stack: false
    .vgpr_count:     0
    .vgpr_spill_count: 0
    .wavefront_size: 32
    .workgroup_processor_mode: 1
  - .args:
      - .offset:         0
        .size:           80
        .value_kind:     by_value
    .group_segment_fixed_size: 0
    .kernarg_segment_align: 8
    .kernarg_segment_size: 80
    .language:       OpenCL C
    .language_version:
      - 2
      - 0
    .max_flat_workgroup_size: 128
    .name:           _ZN7rocprim17ROCPRIM_400000_NS6detail17trampoline_kernelINS0_14default_configENS1_38merge_sort_block_merge_config_selectorIsNS0_10empty_typeEEEZZNS1_27merge_sort_block_merge_implIS3_N6thrust23THRUST_200600_302600_NS6detail15normal_iteratorINS9_10device_ptrIsEEEEPS5_m9comp_mod3IsEEE10hipError_tT0_T1_T2_jT3_P12ihipStream_tbPNSt15iterator_traitsISJ_E10value_typeEPNSP_ISK_E10value_typeEPSL_NS1_7vsmem_tEENKUlT_SJ_SK_SL_E_clIPsSE_SF_SF_EESI_SY_SJ_SK_SL_EUlSY_E0_NS1_11comp_targetILNS1_3genE9ELNS1_11target_archE1100ELNS1_3gpuE3ELNS1_3repE0EEENS1_38merge_mergepath_config_static_selectorELNS0_4arch9wavefront6targetE0EEEvSK_
    .private_segment_fixed_size: 0
    .sgpr_count:     0
    .sgpr_spill_count: 0
    .symbol:         _ZN7rocprim17ROCPRIM_400000_NS6detail17trampoline_kernelINS0_14default_configENS1_38merge_sort_block_merge_config_selectorIsNS0_10empty_typeEEEZZNS1_27merge_sort_block_merge_implIS3_N6thrust23THRUST_200600_302600_NS6detail15normal_iteratorINS9_10device_ptrIsEEEEPS5_m9comp_mod3IsEEE10hipError_tT0_T1_T2_jT3_P12ihipStream_tbPNSt15iterator_traitsISJ_E10value_typeEPNSP_ISK_E10value_typeEPSL_NS1_7vsmem_tEENKUlT_SJ_SK_SL_E_clIPsSE_SF_SF_EESI_SY_SJ_SK_SL_EUlSY_E0_NS1_11comp_targetILNS1_3genE9ELNS1_11target_archE1100ELNS1_3gpuE3ELNS1_3repE0EEENS1_38merge_mergepath_config_static_selectorELNS0_4arch9wavefront6targetE0EEEvSK_.kd
    .uniform_work_group_size: 1
    .uses_dynamic_stack: false
    .vgpr_count:     0
    .vgpr_spill_count: 0
    .wavefront_size: 32
    .workgroup_processor_mode: 1
  - .args:
      - .offset:         0
        .size:           80
        .value_kind:     by_value
      - .offset:         80
        .size:           4
        .value_kind:     hidden_block_count_x
      - .offset:         84
        .size:           4
        .value_kind:     hidden_block_count_y
      - .offset:         88
        .size:           4
        .value_kind:     hidden_block_count_z
      - .offset:         92
        .size:           2
        .value_kind:     hidden_group_size_x
      - .offset:         94
        .size:           2
        .value_kind:     hidden_group_size_y
      - .offset:         96
        .size:           2
        .value_kind:     hidden_group_size_z
      - .offset:         98
        .size:           2
        .value_kind:     hidden_remainder_x
      - .offset:         100
        .size:           2
        .value_kind:     hidden_remainder_y
      - .offset:         102
        .size:           2
        .value_kind:     hidden_remainder_z
      - .offset:         120
        .size:           8
        .value_kind:     hidden_global_offset_x
      - .offset:         128
        .size:           8
        .value_kind:     hidden_global_offset_y
      - .offset:         136
        .size:           8
        .value_kind:     hidden_global_offset_z
      - .offset:         144
        .size:           2
        .value_kind:     hidden_grid_dims
    .group_segment_fixed_size: 2112
    .kernarg_segment_align: 8
    .kernarg_segment_size: 336
    .language:       OpenCL C
    .language_version:
      - 2
      - 0
    .max_flat_workgroup_size: 128
    .name:           _ZN7rocprim17ROCPRIM_400000_NS6detail17trampoline_kernelINS0_14default_configENS1_38merge_sort_block_merge_config_selectorIsNS0_10empty_typeEEEZZNS1_27merge_sort_block_merge_implIS3_N6thrust23THRUST_200600_302600_NS6detail15normal_iteratorINS9_10device_ptrIsEEEEPS5_m9comp_mod3IsEEE10hipError_tT0_T1_T2_jT3_P12ihipStream_tbPNSt15iterator_traitsISJ_E10value_typeEPNSP_ISK_E10value_typeEPSL_NS1_7vsmem_tEENKUlT_SJ_SK_SL_E_clIPsSE_SF_SF_EESI_SY_SJ_SK_SL_EUlSY_E0_NS1_11comp_targetILNS1_3genE8ELNS1_11target_archE1030ELNS1_3gpuE2ELNS1_3repE0EEENS1_38merge_mergepath_config_static_selectorELNS0_4arch9wavefront6targetE0EEEvSK_
    .private_segment_fixed_size: 0
    .sgpr_count:     34
    .sgpr_spill_count: 0
    .symbol:         _ZN7rocprim17ROCPRIM_400000_NS6detail17trampoline_kernelINS0_14default_configENS1_38merge_sort_block_merge_config_selectorIsNS0_10empty_typeEEEZZNS1_27merge_sort_block_merge_implIS3_N6thrust23THRUST_200600_302600_NS6detail15normal_iteratorINS9_10device_ptrIsEEEEPS5_m9comp_mod3IsEEE10hipError_tT0_T1_T2_jT3_P12ihipStream_tbPNSt15iterator_traitsISJ_E10value_typeEPNSP_ISK_E10value_typeEPSL_NS1_7vsmem_tEENKUlT_SJ_SK_SL_E_clIPsSE_SF_SF_EESI_SY_SJ_SK_SL_EUlSY_E0_NS1_11comp_targetILNS1_3genE8ELNS1_11target_archE1030ELNS1_3gpuE2ELNS1_3repE0EEENS1_38merge_mergepath_config_static_selectorELNS0_4arch9wavefront6targetE0EEEvSK_.kd
    .uniform_work_group_size: 1
    .uses_dynamic_stack: false
    .vgpr_count:     33
    .vgpr_spill_count: 0
    .wavefront_size: 32
    .workgroup_processor_mode: 1
  - .args:
      - .offset:         0
        .size:           56
        .value_kind:     by_value
    .group_segment_fixed_size: 0
    .kernarg_segment_align: 8
    .kernarg_segment_size: 56
    .language:       OpenCL C
    .language_version:
      - 2
      - 0
    .max_flat_workgroup_size: 256
    .name:           _ZN7rocprim17ROCPRIM_400000_NS6detail17trampoline_kernelINS0_14default_configENS1_38merge_sort_block_merge_config_selectorIsNS0_10empty_typeEEEZZNS1_27merge_sort_block_merge_implIS3_N6thrust23THRUST_200600_302600_NS6detail15normal_iteratorINS9_10device_ptrIsEEEEPS5_m9comp_mod3IsEEE10hipError_tT0_T1_T2_jT3_P12ihipStream_tbPNSt15iterator_traitsISJ_E10value_typeEPNSP_ISK_E10value_typeEPSL_NS1_7vsmem_tEENKUlT_SJ_SK_SL_E_clIPsSE_SF_SF_EESI_SY_SJ_SK_SL_EUlSY_E1_NS1_11comp_targetILNS1_3genE0ELNS1_11target_archE4294967295ELNS1_3gpuE0ELNS1_3repE0EEENS1_36merge_oddeven_config_static_selectorELNS0_4arch9wavefront6targetE0EEEvSK_
    .private_segment_fixed_size: 0
    .sgpr_count:     0
    .sgpr_spill_count: 0
    .symbol:         _ZN7rocprim17ROCPRIM_400000_NS6detail17trampoline_kernelINS0_14default_configENS1_38merge_sort_block_merge_config_selectorIsNS0_10empty_typeEEEZZNS1_27merge_sort_block_merge_implIS3_N6thrust23THRUST_200600_302600_NS6detail15normal_iteratorINS9_10device_ptrIsEEEEPS5_m9comp_mod3IsEEE10hipError_tT0_T1_T2_jT3_P12ihipStream_tbPNSt15iterator_traitsISJ_E10value_typeEPNSP_ISK_E10value_typeEPSL_NS1_7vsmem_tEENKUlT_SJ_SK_SL_E_clIPsSE_SF_SF_EESI_SY_SJ_SK_SL_EUlSY_E1_NS1_11comp_targetILNS1_3genE0ELNS1_11target_archE4294967295ELNS1_3gpuE0ELNS1_3repE0EEENS1_36merge_oddeven_config_static_selectorELNS0_4arch9wavefront6targetE0EEEvSK_.kd
    .uniform_work_group_size: 1
    .uses_dynamic_stack: false
    .vgpr_count:     0
    .vgpr_spill_count: 0
    .wavefront_size: 32
    .workgroup_processor_mode: 1
  - .args:
      - .offset:         0
        .size:           56
        .value_kind:     by_value
    .group_segment_fixed_size: 0
    .kernarg_segment_align: 8
    .kernarg_segment_size: 56
    .language:       OpenCL C
    .language_version:
      - 2
      - 0
    .max_flat_workgroup_size: 256
    .name:           _ZN7rocprim17ROCPRIM_400000_NS6detail17trampoline_kernelINS0_14default_configENS1_38merge_sort_block_merge_config_selectorIsNS0_10empty_typeEEEZZNS1_27merge_sort_block_merge_implIS3_N6thrust23THRUST_200600_302600_NS6detail15normal_iteratorINS9_10device_ptrIsEEEEPS5_m9comp_mod3IsEEE10hipError_tT0_T1_T2_jT3_P12ihipStream_tbPNSt15iterator_traitsISJ_E10value_typeEPNSP_ISK_E10value_typeEPSL_NS1_7vsmem_tEENKUlT_SJ_SK_SL_E_clIPsSE_SF_SF_EESI_SY_SJ_SK_SL_EUlSY_E1_NS1_11comp_targetILNS1_3genE10ELNS1_11target_archE1201ELNS1_3gpuE5ELNS1_3repE0EEENS1_36merge_oddeven_config_static_selectorELNS0_4arch9wavefront6targetE0EEEvSK_
    .private_segment_fixed_size: 0
    .sgpr_count:     0
    .sgpr_spill_count: 0
    .symbol:         _ZN7rocprim17ROCPRIM_400000_NS6detail17trampoline_kernelINS0_14default_configENS1_38merge_sort_block_merge_config_selectorIsNS0_10empty_typeEEEZZNS1_27merge_sort_block_merge_implIS3_N6thrust23THRUST_200600_302600_NS6detail15normal_iteratorINS9_10device_ptrIsEEEEPS5_m9comp_mod3IsEEE10hipError_tT0_T1_T2_jT3_P12ihipStream_tbPNSt15iterator_traitsISJ_E10value_typeEPNSP_ISK_E10value_typeEPSL_NS1_7vsmem_tEENKUlT_SJ_SK_SL_E_clIPsSE_SF_SF_EESI_SY_SJ_SK_SL_EUlSY_E1_NS1_11comp_targetILNS1_3genE10ELNS1_11target_archE1201ELNS1_3gpuE5ELNS1_3repE0EEENS1_36merge_oddeven_config_static_selectorELNS0_4arch9wavefront6targetE0EEEvSK_.kd
    .uniform_work_group_size: 1
    .uses_dynamic_stack: false
    .vgpr_count:     0
    .vgpr_spill_count: 0
    .wavefront_size: 32
    .workgroup_processor_mode: 1
  - .args:
      - .offset:         0
        .size:           56
        .value_kind:     by_value
    .group_segment_fixed_size: 0
    .kernarg_segment_align: 8
    .kernarg_segment_size: 56
    .language:       OpenCL C
    .language_version:
      - 2
      - 0
    .max_flat_workgroup_size: 256
    .name:           _ZN7rocprim17ROCPRIM_400000_NS6detail17trampoline_kernelINS0_14default_configENS1_38merge_sort_block_merge_config_selectorIsNS0_10empty_typeEEEZZNS1_27merge_sort_block_merge_implIS3_N6thrust23THRUST_200600_302600_NS6detail15normal_iteratorINS9_10device_ptrIsEEEEPS5_m9comp_mod3IsEEE10hipError_tT0_T1_T2_jT3_P12ihipStream_tbPNSt15iterator_traitsISJ_E10value_typeEPNSP_ISK_E10value_typeEPSL_NS1_7vsmem_tEENKUlT_SJ_SK_SL_E_clIPsSE_SF_SF_EESI_SY_SJ_SK_SL_EUlSY_E1_NS1_11comp_targetILNS1_3genE5ELNS1_11target_archE942ELNS1_3gpuE9ELNS1_3repE0EEENS1_36merge_oddeven_config_static_selectorELNS0_4arch9wavefront6targetE0EEEvSK_
    .private_segment_fixed_size: 0
    .sgpr_count:     0
    .sgpr_spill_count: 0
    .symbol:         _ZN7rocprim17ROCPRIM_400000_NS6detail17trampoline_kernelINS0_14default_configENS1_38merge_sort_block_merge_config_selectorIsNS0_10empty_typeEEEZZNS1_27merge_sort_block_merge_implIS3_N6thrust23THRUST_200600_302600_NS6detail15normal_iteratorINS9_10device_ptrIsEEEEPS5_m9comp_mod3IsEEE10hipError_tT0_T1_T2_jT3_P12ihipStream_tbPNSt15iterator_traitsISJ_E10value_typeEPNSP_ISK_E10value_typeEPSL_NS1_7vsmem_tEENKUlT_SJ_SK_SL_E_clIPsSE_SF_SF_EESI_SY_SJ_SK_SL_EUlSY_E1_NS1_11comp_targetILNS1_3genE5ELNS1_11target_archE942ELNS1_3gpuE9ELNS1_3repE0EEENS1_36merge_oddeven_config_static_selectorELNS0_4arch9wavefront6targetE0EEEvSK_.kd
    .uniform_work_group_size: 1
    .uses_dynamic_stack: false
    .vgpr_count:     0
    .vgpr_spill_count: 0
    .wavefront_size: 32
    .workgroup_processor_mode: 1
  - .args:
      - .offset:         0
        .size:           56
        .value_kind:     by_value
    .group_segment_fixed_size: 0
    .kernarg_segment_align: 8
    .kernarg_segment_size: 56
    .language:       OpenCL C
    .language_version:
      - 2
      - 0
    .max_flat_workgroup_size: 256
    .name:           _ZN7rocprim17ROCPRIM_400000_NS6detail17trampoline_kernelINS0_14default_configENS1_38merge_sort_block_merge_config_selectorIsNS0_10empty_typeEEEZZNS1_27merge_sort_block_merge_implIS3_N6thrust23THRUST_200600_302600_NS6detail15normal_iteratorINS9_10device_ptrIsEEEEPS5_m9comp_mod3IsEEE10hipError_tT0_T1_T2_jT3_P12ihipStream_tbPNSt15iterator_traitsISJ_E10value_typeEPNSP_ISK_E10value_typeEPSL_NS1_7vsmem_tEENKUlT_SJ_SK_SL_E_clIPsSE_SF_SF_EESI_SY_SJ_SK_SL_EUlSY_E1_NS1_11comp_targetILNS1_3genE4ELNS1_11target_archE910ELNS1_3gpuE8ELNS1_3repE0EEENS1_36merge_oddeven_config_static_selectorELNS0_4arch9wavefront6targetE0EEEvSK_
    .private_segment_fixed_size: 0
    .sgpr_count:     0
    .sgpr_spill_count: 0
    .symbol:         _ZN7rocprim17ROCPRIM_400000_NS6detail17trampoline_kernelINS0_14default_configENS1_38merge_sort_block_merge_config_selectorIsNS0_10empty_typeEEEZZNS1_27merge_sort_block_merge_implIS3_N6thrust23THRUST_200600_302600_NS6detail15normal_iteratorINS9_10device_ptrIsEEEEPS5_m9comp_mod3IsEEE10hipError_tT0_T1_T2_jT3_P12ihipStream_tbPNSt15iterator_traitsISJ_E10value_typeEPNSP_ISK_E10value_typeEPSL_NS1_7vsmem_tEENKUlT_SJ_SK_SL_E_clIPsSE_SF_SF_EESI_SY_SJ_SK_SL_EUlSY_E1_NS1_11comp_targetILNS1_3genE4ELNS1_11target_archE910ELNS1_3gpuE8ELNS1_3repE0EEENS1_36merge_oddeven_config_static_selectorELNS0_4arch9wavefront6targetE0EEEvSK_.kd
    .uniform_work_group_size: 1
    .uses_dynamic_stack: false
    .vgpr_count:     0
    .vgpr_spill_count: 0
    .wavefront_size: 32
    .workgroup_processor_mode: 1
  - .args:
      - .offset:         0
        .size:           56
        .value_kind:     by_value
    .group_segment_fixed_size: 0
    .kernarg_segment_align: 8
    .kernarg_segment_size: 56
    .language:       OpenCL C
    .language_version:
      - 2
      - 0
    .max_flat_workgroup_size: 256
    .name:           _ZN7rocprim17ROCPRIM_400000_NS6detail17trampoline_kernelINS0_14default_configENS1_38merge_sort_block_merge_config_selectorIsNS0_10empty_typeEEEZZNS1_27merge_sort_block_merge_implIS3_N6thrust23THRUST_200600_302600_NS6detail15normal_iteratorINS9_10device_ptrIsEEEEPS5_m9comp_mod3IsEEE10hipError_tT0_T1_T2_jT3_P12ihipStream_tbPNSt15iterator_traitsISJ_E10value_typeEPNSP_ISK_E10value_typeEPSL_NS1_7vsmem_tEENKUlT_SJ_SK_SL_E_clIPsSE_SF_SF_EESI_SY_SJ_SK_SL_EUlSY_E1_NS1_11comp_targetILNS1_3genE3ELNS1_11target_archE908ELNS1_3gpuE7ELNS1_3repE0EEENS1_36merge_oddeven_config_static_selectorELNS0_4arch9wavefront6targetE0EEEvSK_
    .private_segment_fixed_size: 0
    .sgpr_count:     0
    .sgpr_spill_count: 0
    .symbol:         _ZN7rocprim17ROCPRIM_400000_NS6detail17trampoline_kernelINS0_14default_configENS1_38merge_sort_block_merge_config_selectorIsNS0_10empty_typeEEEZZNS1_27merge_sort_block_merge_implIS3_N6thrust23THRUST_200600_302600_NS6detail15normal_iteratorINS9_10device_ptrIsEEEEPS5_m9comp_mod3IsEEE10hipError_tT0_T1_T2_jT3_P12ihipStream_tbPNSt15iterator_traitsISJ_E10value_typeEPNSP_ISK_E10value_typeEPSL_NS1_7vsmem_tEENKUlT_SJ_SK_SL_E_clIPsSE_SF_SF_EESI_SY_SJ_SK_SL_EUlSY_E1_NS1_11comp_targetILNS1_3genE3ELNS1_11target_archE908ELNS1_3gpuE7ELNS1_3repE0EEENS1_36merge_oddeven_config_static_selectorELNS0_4arch9wavefront6targetE0EEEvSK_.kd
    .uniform_work_group_size: 1
    .uses_dynamic_stack: false
    .vgpr_count:     0
    .vgpr_spill_count: 0
    .wavefront_size: 32
    .workgroup_processor_mode: 1
  - .args:
      - .offset:         0
        .size:           56
        .value_kind:     by_value
    .group_segment_fixed_size: 0
    .kernarg_segment_align: 8
    .kernarg_segment_size: 56
    .language:       OpenCL C
    .language_version:
      - 2
      - 0
    .max_flat_workgroup_size: 256
    .name:           _ZN7rocprim17ROCPRIM_400000_NS6detail17trampoline_kernelINS0_14default_configENS1_38merge_sort_block_merge_config_selectorIsNS0_10empty_typeEEEZZNS1_27merge_sort_block_merge_implIS3_N6thrust23THRUST_200600_302600_NS6detail15normal_iteratorINS9_10device_ptrIsEEEEPS5_m9comp_mod3IsEEE10hipError_tT0_T1_T2_jT3_P12ihipStream_tbPNSt15iterator_traitsISJ_E10value_typeEPNSP_ISK_E10value_typeEPSL_NS1_7vsmem_tEENKUlT_SJ_SK_SL_E_clIPsSE_SF_SF_EESI_SY_SJ_SK_SL_EUlSY_E1_NS1_11comp_targetILNS1_3genE2ELNS1_11target_archE906ELNS1_3gpuE6ELNS1_3repE0EEENS1_36merge_oddeven_config_static_selectorELNS0_4arch9wavefront6targetE0EEEvSK_
    .private_segment_fixed_size: 0
    .sgpr_count:     0
    .sgpr_spill_count: 0
    .symbol:         _ZN7rocprim17ROCPRIM_400000_NS6detail17trampoline_kernelINS0_14default_configENS1_38merge_sort_block_merge_config_selectorIsNS0_10empty_typeEEEZZNS1_27merge_sort_block_merge_implIS3_N6thrust23THRUST_200600_302600_NS6detail15normal_iteratorINS9_10device_ptrIsEEEEPS5_m9comp_mod3IsEEE10hipError_tT0_T1_T2_jT3_P12ihipStream_tbPNSt15iterator_traitsISJ_E10value_typeEPNSP_ISK_E10value_typeEPSL_NS1_7vsmem_tEENKUlT_SJ_SK_SL_E_clIPsSE_SF_SF_EESI_SY_SJ_SK_SL_EUlSY_E1_NS1_11comp_targetILNS1_3genE2ELNS1_11target_archE906ELNS1_3gpuE6ELNS1_3repE0EEENS1_36merge_oddeven_config_static_selectorELNS0_4arch9wavefront6targetE0EEEvSK_.kd
    .uniform_work_group_size: 1
    .uses_dynamic_stack: false
    .vgpr_count:     0
    .vgpr_spill_count: 0
    .wavefront_size: 32
    .workgroup_processor_mode: 1
  - .args:
      - .offset:         0
        .size:           56
        .value_kind:     by_value
    .group_segment_fixed_size: 0
    .kernarg_segment_align: 8
    .kernarg_segment_size: 56
    .language:       OpenCL C
    .language_version:
      - 2
      - 0
    .max_flat_workgroup_size: 256
    .name:           _ZN7rocprim17ROCPRIM_400000_NS6detail17trampoline_kernelINS0_14default_configENS1_38merge_sort_block_merge_config_selectorIsNS0_10empty_typeEEEZZNS1_27merge_sort_block_merge_implIS3_N6thrust23THRUST_200600_302600_NS6detail15normal_iteratorINS9_10device_ptrIsEEEEPS5_m9comp_mod3IsEEE10hipError_tT0_T1_T2_jT3_P12ihipStream_tbPNSt15iterator_traitsISJ_E10value_typeEPNSP_ISK_E10value_typeEPSL_NS1_7vsmem_tEENKUlT_SJ_SK_SL_E_clIPsSE_SF_SF_EESI_SY_SJ_SK_SL_EUlSY_E1_NS1_11comp_targetILNS1_3genE9ELNS1_11target_archE1100ELNS1_3gpuE3ELNS1_3repE0EEENS1_36merge_oddeven_config_static_selectorELNS0_4arch9wavefront6targetE0EEEvSK_
    .private_segment_fixed_size: 0
    .sgpr_count:     0
    .sgpr_spill_count: 0
    .symbol:         _ZN7rocprim17ROCPRIM_400000_NS6detail17trampoline_kernelINS0_14default_configENS1_38merge_sort_block_merge_config_selectorIsNS0_10empty_typeEEEZZNS1_27merge_sort_block_merge_implIS3_N6thrust23THRUST_200600_302600_NS6detail15normal_iteratorINS9_10device_ptrIsEEEEPS5_m9comp_mod3IsEEE10hipError_tT0_T1_T2_jT3_P12ihipStream_tbPNSt15iterator_traitsISJ_E10value_typeEPNSP_ISK_E10value_typeEPSL_NS1_7vsmem_tEENKUlT_SJ_SK_SL_E_clIPsSE_SF_SF_EESI_SY_SJ_SK_SL_EUlSY_E1_NS1_11comp_targetILNS1_3genE9ELNS1_11target_archE1100ELNS1_3gpuE3ELNS1_3repE0EEENS1_36merge_oddeven_config_static_selectorELNS0_4arch9wavefront6targetE0EEEvSK_.kd
    .uniform_work_group_size: 1
    .uses_dynamic_stack: false
    .vgpr_count:     0
    .vgpr_spill_count: 0
    .wavefront_size: 32
    .workgroup_processor_mode: 1
  - .args:
      - .offset:         0
        .size:           56
        .value_kind:     by_value
    .group_segment_fixed_size: 0
    .kernarg_segment_align: 8
    .kernarg_segment_size: 56
    .language:       OpenCL C
    .language_version:
      - 2
      - 0
    .max_flat_workgroup_size: 256
    .name:           _ZN7rocprim17ROCPRIM_400000_NS6detail17trampoline_kernelINS0_14default_configENS1_38merge_sort_block_merge_config_selectorIsNS0_10empty_typeEEEZZNS1_27merge_sort_block_merge_implIS3_N6thrust23THRUST_200600_302600_NS6detail15normal_iteratorINS9_10device_ptrIsEEEEPS5_m9comp_mod3IsEEE10hipError_tT0_T1_T2_jT3_P12ihipStream_tbPNSt15iterator_traitsISJ_E10value_typeEPNSP_ISK_E10value_typeEPSL_NS1_7vsmem_tEENKUlT_SJ_SK_SL_E_clIPsSE_SF_SF_EESI_SY_SJ_SK_SL_EUlSY_E1_NS1_11comp_targetILNS1_3genE8ELNS1_11target_archE1030ELNS1_3gpuE2ELNS1_3repE0EEENS1_36merge_oddeven_config_static_selectorELNS0_4arch9wavefront6targetE0EEEvSK_
    .private_segment_fixed_size: 0
    .sgpr_count:     20
    .sgpr_spill_count: 0
    .symbol:         _ZN7rocprim17ROCPRIM_400000_NS6detail17trampoline_kernelINS0_14default_configENS1_38merge_sort_block_merge_config_selectorIsNS0_10empty_typeEEEZZNS1_27merge_sort_block_merge_implIS3_N6thrust23THRUST_200600_302600_NS6detail15normal_iteratorINS9_10device_ptrIsEEEEPS5_m9comp_mod3IsEEE10hipError_tT0_T1_T2_jT3_P12ihipStream_tbPNSt15iterator_traitsISJ_E10value_typeEPNSP_ISK_E10value_typeEPSL_NS1_7vsmem_tEENKUlT_SJ_SK_SL_E_clIPsSE_SF_SF_EESI_SY_SJ_SK_SL_EUlSY_E1_NS1_11comp_targetILNS1_3genE8ELNS1_11target_archE1030ELNS1_3gpuE2ELNS1_3repE0EEENS1_36merge_oddeven_config_static_selectorELNS0_4arch9wavefront6targetE0EEEvSK_.kd
    .uniform_work_group_size: 1
    .uses_dynamic_stack: false
    .vgpr_count:     12
    .vgpr_spill_count: 0
    .wavefront_size: 32
    .workgroup_processor_mode: 1
  - .args:
      - .offset:         0
        .size:           48
        .value_kind:     by_value
    .group_segment_fixed_size: 0
    .kernarg_segment_align: 8
    .kernarg_segment_size: 48
    .language:       OpenCL C
    .language_version:
      - 2
      - 0
    .max_flat_workgroup_size: 128
    .name:           _ZN7rocprim17ROCPRIM_400000_NS6detail17trampoline_kernelINS0_14default_configENS1_38merge_sort_block_merge_config_selectorIsNS0_10empty_typeEEEZZNS1_27merge_sort_block_merge_implIS3_N6thrust23THRUST_200600_302600_NS6detail15normal_iteratorINS9_10device_ptrIsEEEEPS5_m9comp_mod3IsEEE10hipError_tT0_T1_T2_jT3_P12ihipStream_tbPNSt15iterator_traitsISJ_E10value_typeEPNSP_ISK_E10value_typeEPSL_NS1_7vsmem_tEENKUlT_SJ_SK_SL_E_clISE_PsSF_SF_EESI_SY_SJ_SK_SL_EUlSY_E_NS1_11comp_targetILNS1_3genE0ELNS1_11target_archE4294967295ELNS1_3gpuE0ELNS1_3repE0EEENS1_48merge_mergepath_partition_config_static_selectorELNS0_4arch9wavefront6targetE0EEEvSK_
    .private_segment_fixed_size: 0
    .sgpr_count:     0
    .sgpr_spill_count: 0
    .symbol:         _ZN7rocprim17ROCPRIM_400000_NS6detail17trampoline_kernelINS0_14default_configENS1_38merge_sort_block_merge_config_selectorIsNS0_10empty_typeEEEZZNS1_27merge_sort_block_merge_implIS3_N6thrust23THRUST_200600_302600_NS6detail15normal_iteratorINS9_10device_ptrIsEEEEPS5_m9comp_mod3IsEEE10hipError_tT0_T1_T2_jT3_P12ihipStream_tbPNSt15iterator_traitsISJ_E10value_typeEPNSP_ISK_E10value_typeEPSL_NS1_7vsmem_tEENKUlT_SJ_SK_SL_E_clISE_PsSF_SF_EESI_SY_SJ_SK_SL_EUlSY_E_NS1_11comp_targetILNS1_3genE0ELNS1_11target_archE4294967295ELNS1_3gpuE0ELNS1_3repE0EEENS1_48merge_mergepath_partition_config_static_selectorELNS0_4arch9wavefront6targetE0EEEvSK_.kd
    .uniform_work_group_size: 1
    .uses_dynamic_stack: false
    .vgpr_count:     0
    .vgpr_spill_count: 0
    .wavefront_size: 32
    .workgroup_processor_mode: 1
  - .args:
      - .offset:         0
        .size:           48
        .value_kind:     by_value
    .group_segment_fixed_size: 0
    .kernarg_segment_align: 8
    .kernarg_segment_size: 48
    .language:       OpenCL C
    .language_version:
      - 2
      - 0
    .max_flat_workgroup_size: 128
    .name:           _ZN7rocprim17ROCPRIM_400000_NS6detail17trampoline_kernelINS0_14default_configENS1_38merge_sort_block_merge_config_selectorIsNS0_10empty_typeEEEZZNS1_27merge_sort_block_merge_implIS3_N6thrust23THRUST_200600_302600_NS6detail15normal_iteratorINS9_10device_ptrIsEEEEPS5_m9comp_mod3IsEEE10hipError_tT0_T1_T2_jT3_P12ihipStream_tbPNSt15iterator_traitsISJ_E10value_typeEPNSP_ISK_E10value_typeEPSL_NS1_7vsmem_tEENKUlT_SJ_SK_SL_E_clISE_PsSF_SF_EESI_SY_SJ_SK_SL_EUlSY_E_NS1_11comp_targetILNS1_3genE10ELNS1_11target_archE1201ELNS1_3gpuE5ELNS1_3repE0EEENS1_48merge_mergepath_partition_config_static_selectorELNS0_4arch9wavefront6targetE0EEEvSK_
    .private_segment_fixed_size: 0
    .sgpr_count:     0
    .sgpr_spill_count: 0
    .symbol:         _ZN7rocprim17ROCPRIM_400000_NS6detail17trampoline_kernelINS0_14default_configENS1_38merge_sort_block_merge_config_selectorIsNS0_10empty_typeEEEZZNS1_27merge_sort_block_merge_implIS3_N6thrust23THRUST_200600_302600_NS6detail15normal_iteratorINS9_10device_ptrIsEEEEPS5_m9comp_mod3IsEEE10hipError_tT0_T1_T2_jT3_P12ihipStream_tbPNSt15iterator_traitsISJ_E10value_typeEPNSP_ISK_E10value_typeEPSL_NS1_7vsmem_tEENKUlT_SJ_SK_SL_E_clISE_PsSF_SF_EESI_SY_SJ_SK_SL_EUlSY_E_NS1_11comp_targetILNS1_3genE10ELNS1_11target_archE1201ELNS1_3gpuE5ELNS1_3repE0EEENS1_48merge_mergepath_partition_config_static_selectorELNS0_4arch9wavefront6targetE0EEEvSK_.kd
    .uniform_work_group_size: 1
    .uses_dynamic_stack: false
    .vgpr_count:     0
    .vgpr_spill_count: 0
    .wavefront_size: 32
    .workgroup_processor_mode: 1
  - .args:
      - .offset:         0
        .size:           48
        .value_kind:     by_value
    .group_segment_fixed_size: 0
    .kernarg_segment_align: 8
    .kernarg_segment_size: 48
    .language:       OpenCL C
    .language_version:
      - 2
      - 0
    .max_flat_workgroup_size: 128
    .name:           _ZN7rocprim17ROCPRIM_400000_NS6detail17trampoline_kernelINS0_14default_configENS1_38merge_sort_block_merge_config_selectorIsNS0_10empty_typeEEEZZNS1_27merge_sort_block_merge_implIS3_N6thrust23THRUST_200600_302600_NS6detail15normal_iteratorINS9_10device_ptrIsEEEEPS5_m9comp_mod3IsEEE10hipError_tT0_T1_T2_jT3_P12ihipStream_tbPNSt15iterator_traitsISJ_E10value_typeEPNSP_ISK_E10value_typeEPSL_NS1_7vsmem_tEENKUlT_SJ_SK_SL_E_clISE_PsSF_SF_EESI_SY_SJ_SK_SL_EUlSY_E_NS1_11comp_targetILNS1_3genE5ELNS1_11target_archE942ELNS1_3gpuE9ELNS1_3repE0EEENS1_48merge_mergepath_partition_config_static_selectorELNS0_4arch9wavefront6targetE0EEEvSK_
    .private_segment_fixed_size: 0
    .sgpr_count:     0
    .sgpr_spill_count: 0
    .symbol:         _ZN7rocprim17ROCPRIM_400000_NS6detail17trampoline_kernelINS0_14default_configENS1_38merge_sort_block_merge_config_selectorIsNS0_10empty_typeEEEZZNS1_27merge_sort_block_merge_implIS3_N6thrust23THRUST_200600_302600_NS6detail15normal_iteratorINS9_10device_ptrIsEEEEPS5_m9comp_mod3IsEEE10hipError_tT0_T1_T2_jT3_P12ihipStream_tbPNSt15iterator_traitsISJ_E10value_typeEPNSP_ISK_E10value_typeEPSL_NS1_7vsmem_tEENKUlT_SJ_SK_SL_E_clISE_PsSF_SF_EESI_SY_SJ_SK_SL_EUlSY_E_NS1_11comp_targetILNS1_3genE5ELNS1_11target_archE942ELNS1_3gpuE9ELNS1_3repE0EEENS1_48merge_mergepath_partition_config_static_selectorELNS0_4arch9wavefront6targetE0EEEvSK_.kd
    .uniform_work_group_size: 1
    .uses_dynamic_stack: false
    .vgpr_count:     0
    .vgpr_spill_count: 0
    .wavefront_size: 32
    .workgroup_processor_mode: 1
  - .args:
      - .offset:         0
        .size:           48
        .value_kind:     by_value
    .group_segment_fixed_size: 0
    .kernarg_segment_align: 8
    .kernarg_segment_size: 48
    .language:       OpenCL C
    .language_version:
      - 2
      - 0
    .max_flat_workgroup_size: 128
    .name:           _ZN7rocprim17ROCPRIM_400000_NS6detail17trampoline_kernelINS0_14default_configENS1_38merge_sort_block_merge_config_selectorIsNS0_10empty_typeEEEZZNS1_27merge_sort_block_merge_implIS3_N6thrust23THRUST_200600_302600_NS6detail15normal_iteratorINS9_10device_ptrIsEEEEPS5_m9comp_mod3IsEEE10hipError_tT0_T1_T2_jT3_P12ihipStream_tbPNSt15iterator_traitsISJ_E10value_typeEPNSP_ISK_E10value_typeEPSL_NS1_7vsmem_tEENKUlT_SJ_SK_SL_E_clISE_PsSF_SF_EESI_SY_SJ_SK_SL_EUlSY_E_NS1_11comp_targetILNS1_3genE4ELNS1_11target_archE910ELNS1_3gpuE8ELNS1_3repE0EEENS1_48merge_mergepath_partition_config_static_selectorELNS0_4arch9wavefront6targetE0EEEvSK_
    .private_segment_fixed_size: 0
    .sgpr_count:     0
    .sgpr_spill_count: 0
    .symbol:         _ZN7rocprim17ROCPRIM_400000_NS6detail17trampoline_kernelINS0_14default_configENS1_38merge_sort_block_merge_config_selectorIsNS0_10empty_typeEEEZZNS1_27merge_sort_block_merge_implIS3_N6thrust23THRUST_200600_302600_NS6detail15normal_iteratorINS9_10device_ptrIsEEEEPS5_m9comp_mod3IsEEE10hipError_tT0_T1_T2_jT3_P12ihipStream_tbPNSt15iterator_traitsISJ_E10value_typeEPNSP_ISK_E10value_typeEPSL_NS1_7vsmem_tEENKUlT_SJ_SK_SL_E_clISE_PsSF_SF_EESI_SY_SJ_SK_SL_EUlSY_E_NS1_11comp_targetILNS1_3genE4ELNS1_11target_archE910ELNS1_3gpuE8ELNS1_3repE0EEENS1_48merge_mergepath_partition_config_static_selectorELNS0_4arch9wavefront6targetE0EEEvSK_.kd
    .uniform_work_group_size: 1
    .uses_dynamic_stack: false
    .vgpr_count:     0
    .vgpr_spill_count: 0
    .wavefront_size: 32
    .workgroup_processor_mode: 1
  - .args:
      - .offset:         0
        .size:           48
        .value_kind:     by_value
    .group_segment_fixed_size: 0
    .kernarg_segment_align: 8
    .kernarg_segment_size: 48
    .language:       OpenCL C
    .language_version:
      - 2
      - 0
    .max_flat_workgroup_size: 128
    .name:           _ZN7rocprim17ROCPRIM_400000_NS6detail17trampoline_kernelINS0_14default_configENS1_38merge_sort_block_merge_config_selectorIsNS0_10empty_typeEEEZZNS1_27merge_sort_block_merge_implIS3_N6thrust23THRUST_200600_302600_NS6detail15normal_iteratorINS9_10device_ptrIsEEEEPS5_m9comp_mod3IsEEE10hipError_tT0_T1_T2_jT3_P12ihipStream_tbPNSt15iterator_traitsISJ_E10value_typeEPNSP_ISK_E10value_typeEPSL_NS1_7vsmem_tEENKUlT_SJ_SK_SL_E_clISE_PsSF_SF_EESI_SY_SJ_SK_SL_EUlSY_E_NS1_11comp_targetILNS1_3genE3ELNS1_11target_archE908ELNS1_3gpuE7ELNS1_3repE0EEENS1_48merge_mergepath_partition_config_static_selectorELNS0_4arch9wavefront6targetE0EEEvSK_
    .private_segment_fixed_size: 0
    .sgpr_count:     0
    .sgpr_spill_count: 0
    .symbol:         _ZN7rocprim17ROCPRIM_400000_NS6detail17trampoline_kernelINS0_14default_configENS1_38merge_sort_block_merge_config_selectorIsNS0_10empty_typeEEEZZNS1_27merge_sort_block_merge_implIS3_N6thrust23THRUST_200600_302600_NS6detail15normal_iteratorINS9_10device_ptrIsEEEEPS5_m9comp_mod3IsEEE10hipError_tT0_T1_T2_jT3_P12ihipStream_tbPNSt15iterator_traitsISJ_E10value_typeEPNSP_ISK_E10value_typeEPSL_NS1_7vsmem_tEENKUlT_SJ_SK_SL_E_clISE_PsSF_SF_EESI_SY_SJ_SK_SL_EUlSY_E_NS1_11comp_targetILNS1_3genE3ELNS1_11target_archE908ELNS1_3gpuE7ELNS1_3repE0EEENS1_48merge_mergepath_partition_config_static_selectorELNS0_4arch9wavefront6targetE0EEEvSK_.kd
    .uniform_work_group_size: 1
    .uses_dynamic_stack: false
    .vgpr_count:     0
    .vgpr_spill_count: 0
    .wavefront_size: 32
    .workgroup_processor_mode: 1
  - .args:
      - .offset:         0
        .size:           48
        .value_kind:     by_value
    .group_segment_fixed_size: 0
    .kernarg_segment_align: 8
    .kernarg_segment_size: 48
    .language:       OpenCL C
    .language_version:
      - 2
      - 0
    .max_flat_workgroup_size: 128
    .name:           _ZN7rocprim17ROCPRIM_400000_NS6detail17trampoline_kernelINS0_14default_configENS1_38merge_sort_block_merge_config_selectorIsNS0_10empty_typeEEEZZNS1_27merge_sort_block_merge_implIS3_N6thrust23THRUST_200600_302600_NS6detail15normal_iteratorINS9_10device_ptrIsEEEEPS5_m9comp_mod3IsEEE10hipError_tT0_T1_T2_jT3_P12ihipStream_tbPNSt15iterator_traitsISJ_E10value_typeEPNSP_ISK_E10value_typeEPSL_NS1_7vsmem_tEENKUlT_SJ_SK_SL_E_clISE_PsSF_SF_EESI_SY_SJ_SK_SL_EUlSY_E_NS1_11comp_targetILNS1_3genE2ELNS1_11target_archE906ELNS1_3gpuE6ELNS1_3repE0EEENS1_48merge_mergepath_partition_config_static_selectorELNS0_4arch9wavefront6targetE0EEEvSK_
    .private_segment_fixed_size: 0
    .sgpr_count:     0
    .sgpr_spill_count: 0
    .symbol:         _ZN7rocprim17ROCPRIM_400000_NS6detail17trampoline_kernelINS0_14default_configENS1_38merge_sort_block_merge_config_selectorIsNS0_10empty_typeEEEZZNS1_27merge_sort_block_merge_implIS3_N6thrust23THRUST_200600_302600_NS6detail15normal_iteratorINS9_10device_ptrIsEEEEPS5_m9comp_mod3IsEEE10hipError_tT0_T1_T2_jT3_P12ihipStream_tbPNSt15iterator_traitsISJ_E10value_typeEPNSP_ISK_E10value_typeEPSL_NS1_7vsmem_tEENKUlT_SJ_SK_SL_E_clISE_PsSF_SF_EESI_SY_SJ_SK_SL_EUlSY_E_NS1_11comp_targetILNS1_3genE2ELNS1_11target_archE906ELNS1_3gpuE6ELNS1_3repE0EEENS1_48merge_mergepath_partition_config_static_selectorELNS0_4arch9wavefront6targetE0EEEvSK_.kd
    .uniform_work_group_size: 1
    .uses_dynamic_stack: false
    .vgpr_count:     0
    .vgpr_spill_count: 0
    .wavefront_size: 32
    .workgroup_processor_mode: 1
  - .args:
      - .offset:         0
        .size:           48
        .value_kind:     by_value
    .group_segment_fixed_size: 0
    .kernarg_segment_align: 8
    .kernarg_segment_size: 48
    .language:       OpenCL C
    .language_version:
      - 2
      - 0
    .max_flat_workgroup_size: 128
    .name:           _ZN7rocprim17ROCPRIM_400000_NS6detail17trampoline_kernelINS0_14default_configENS1_38merge_sort_block_merge_config_selectorIsNS0_10empty_typeEEEZZNS1_27merge_sort_block_merge_implIS3_N6thrust23THRUST_200600_302600_NS6detail15normal_iteratorINS9_10device_ptrIsEEEEPS5_m9comp_mod3IsEEE10hipError_tT0_T1_T2_jT3_P12ihipStream_tbPNSt15iterator_traitsISJ_E10value_typeEPNSP_ISK_E10value_typeEPSL_NS1_7vsmem_tEENKUlT_SJ_SK_SL_E_clISE_PsSF_SF_EESI_SY_SJ_SK_SL_EUlSY_E_NS1_11comp_targetILNS1_3genE9ELNS1_11target_archE1100ELNS1_3gpuE3ELNS1_3repE0EEENS1_48merge_mergepath_partition_config_static_selectorELNS0_4arch9wavefront6targetE0EEEvSK_
    .private_segment_fixed_size: 0
    .sgpr_count:     0
    .sgpr_spill_count: 0
    .symbol:         _ZN7rocprim17ROCPRIM_400000_NS6detail17trampoline_kernelINS0_14default_configENS1_38merge_sort_block_merge_config_selectorIsNS0_10empty_typeEEEZZNS1_27merge_sort_block_merge_implIS3_N6thrust23THRUST_200600_302600_NS6detail15normal_iteratorINS9_10device_ptrIsEEEEPS5_m9comp_mod3IsEEE10hipError_tT0_T1_T2_jT3_P12ihipStream_tbPNSt15iterator_traitsISJ_E10value_typeEPNSP_ISK_E10value_typeEPSL_NS1_7vsmem_tEENKUlT_SJ_SK_SL_E_clISE_PsSF_SF_EESI_SY_SJ_SK_SL_EUlSY_E_NS1_11comp_targetILNS1_3genE9ELNS1_11target_archE1100ELNS1_3gpuE3ELNS1_3repE0EEENS1_48merge_mergepath_partition_config_static_selectorELNS0_4arch9wavefront6targetE0EEEvSK_.kd
    .uniform_work_group_size: 1
    .uses_dynamic_stack: false
    .vgpr_count:     0
    .vgpr_spill_count: 0
    .wavefront_size: 32
    .workgroup_processor_mode: 1
  - .args:
      - .offset:         0
        .size:           48
        .value_kind:     by_value
    .group_segment_fixed_size: 0
    .kernarg_segment_align: 8
    .kernarg_segment_size: 48
    .language:       OpenCL C
    .language_version:
      - 2
      - 0
    .max_flat_workgroup_size: 128
    .name:           _ZN7rocprim17ROCPRIM_400000_NS6detail17trampoline_kernelINS0_14default_configENS1_38merge_sort_block_merge_config_selectorIsNS0_10empty_typeEEEZZNS1_27merge_sort_block_merge_implIS3_N6thrust23THRUST_200600_302600_NS6detail15normal_iteratorINS9_10device_ptrIsEEEEPS5_m9comp_mod3IsEEE10hipError_tT0_T1_T2_jT3_P12ihipStream_tbPNSt15iterator_traitsISJ_E10value_typeEPNSP_ISK_E10value_typeEPSL_NS1_7vsmem_tEENKUlT_SJ_SK_SL_E_clISE_PsSF_SF_EESI_SY_SJ_SK_SL_EUlSY_E_NS1_11comp_targetILNS1_3genE8ELNS1_11target_archE1030ELNS1_3gpuE2ELNS1_3repE0EEENS1_48merge_mergepath_partition_config_static_selectorELNS0_4arch9wavefront6targetE0EEEvSK_
    .private_segment_fixed_size: 0
    .sgpr_count:     14
    .sgpr_spill_count: 0
    .symbol:         _ZN7rocprim17ROCPRIM_400000_NS6detail17trampoline_kernelINS0_14default_configENS1_38merge_sort_block_merge_config_selectorIsNS0_10empty_typeEEEZZNS1_27merge_sort_block_merge_implIS3_N6thrust23THRUST_200600_302600_NS6detail15normal_iteratorINS9_10device_ptrIsEEEEPS5_m9comp_mod3IsEEE10hipError_tT0_T1_T2_jT3_P12ihipStream_tbPNSt15iterator_traitsISJ_E10value_typeEPNSP_ISK_E10value_typeEPSL_NS1_7vsmem_tEENKUlT_SJ_SK_SL_E_clISE_PsSF_SF_EESI_SY_SJ_SK_SL_EUlSY_E_NS1_11comp_targetILNS1_3genE8ELNS1_11target_archE1030ELNS1_3gpuE2ELNS1_3repE0EEENS1_48merge_mergepath_partition_config_static_selectorELNS0_4arch9wavefront6targetE0EEEvSK_.kd
    .uniform_work_group_size: 1
    .uses_dynamic_stack: false
    .vgpr_count:     17
    .vgpr_spill_count: 0
    .wavefront_size: 32
    .workgroup_processor_mode: 1
  - .args:
      - .offset:         0
        .size:           80
        .value_kind:     by_value
    .group_segment_fixed_size: 0
    .kernarg_segment_align: 8
    .kernarg_segment_size: 80
    .language:       OpenCL C
    .language_version:
      - 2
      - 0
    .max_flat_workgroup_size: 128
    .name:           _ZN7rocprim17ROCPRIM_400000_NS6detail17trampoline_kernelINS0_14default_configENS1_38merge_sort_block_merge_config_selectorIsNS0_10empty_typeEEEZZNS1_27merge_sort_block_merge_implIS3_N6thrust23THRUST_200600_302600_NS6detail15normal_iteratorINS9_10device_ptrIsEEEEPS5_m9comp_mod3IsEEE10hipError_tT0_T1_T2_jT3_P12ihipStream_tbPNSt15iterator_traitsISJ_E10value_typeEPNSP_ISK_E10value_typeEPSL_NS1_7vsmem_tEENKUlT_SJ_SK_SL_E_clISE_PsSF_SF_EESI_SY_SJ_SK_SL_EUlSY_E0_NS1_11comp_targetILNS1_3genE0ELNS1_11target_archE4294967295ELNS1_3gpuE0ELNS1_3repE0EEENS1_38merge_mergepath_config_static_selectorELNS0_4arch9wavefront6targetE0EEEvSK_
    .private_segment_fixed_size: 0
    .sgpr_count:     0
    .sgpr_spill_count: 0
    .symbol:         _ZN7rocprim17ROCPRIM_400000_NS6detail17trampoline_kernelINS0_14default_configENS1_38merge_sort_block_merge_config_selectorIsNS0_10empty_typeEEEZZNS1_27merge_sort_block_merge_implIS3_N6thrust23THRUST_200600_302600_NS6detail15normal_iteratorINS9_10device_ptrIsEEEEPS5_m9comp_mod3IsEEE10hipError_tT0_T1_T2_jT3_P12ihipStream_tbPNSt15iterator_traitsISJ_E10value_typeEPNSP_ISK_E10value_typeEPSL_NS1_7vsmem_tEENKUlT_SJ_SK_SL_E_clISE_PsSF_SF_EESI_SY_SJ_SK_SL_EUlSY_E0_NS1_11comp_targetILNS1_3genE0ELNS1_11target_archE4294967295ELNS1_3gpuE0ELNS1_3repE0EEENS1_38merge_mergepath_config_static_selectorELNS0_4arch9wavefront6targetE0EEEvSK_.kd
    .uniform_work_group_size: 1
    .uses_dynamic_stack: false
    .vgpr_count:     0
    .vgpr_spill_count: 0
    .wavefront_size: 32
    .workgroup_processor_mode: 1
  - .args:
      - .offset:         0
        .size:           80
        .value_kind:     by_value
    .group_segment_fixed_size: 0
    .kernarg_segment_align: 8
    .kernarg_segment_size: 80
    .language:       OpenCL C
    .language_version:
      - 2
      - 0
    .max_flat_workgroup_size: 128
    .name:           _ZN7rocprim17ROCPRIM_400000_NS6detail17trampoline_kernelINS0_14default_configENS1_38merge_sort_block_merge_config_selectorIsNS0_10empty_typeEEEZZNS1_27merge_sort_block_merge_implIS3_N6thrust23THRUST_200600_302600_NS6detail15normal_iteratorINS9_10device_ptrIsEEEEPS5_m9comp_mod3IsEEE10hipError_tT0_T1_T2_jT3_P12ihipStream_tbPNSt15iterator_traitsISJ_E10value_typeEPNSP_ISK_E10value_typeEPSL_NS1_7vsmem_tEENKUlT_SJ_SK_SL_E_clISE_PsSF_SF_EESI_SY_SJ_SK_SL_EUlSY_E0_NS1_11comp_targetILNS1_3genE10ELNS1_11target_archE1201ELNS1_3gpuE5ELNS1_3repE0EEENS1_38merge_mergepath_config_static_selectorELNS0_4arch9wavefront6targetE0EEEvSK_
    .private_segment_fixed_size: 0
    .sgpr_count:     0
    .sgpr_spill_count: 0
    .symbol:         _ZN7rocprim17ROCPRIM_400000_NS6detail17trampoline_kernelINS0_14default_configENS1_38merge_sort_block_merge_config_selectorIsNS0_10empty_typeEEEZZNS1_27merge_sort_block_merge_implIS3_N6thrust23THRUST_200600_302600_NS6detail15normal_iteratorINS9_10device_ptrIsEEEEPS5_m9comp_mod3IsEEE10hipError_tT0_T1_T2_jT3_P12ihipStream_tbPNSt15iterator_traitsISJ_E10value_typeEPNSP_ISK_E10value_typeEPSL_NS1_7vsmem_tEENKUlT_SJ_SK_SL_E_clISE_PsSF_SF_EESI_SY_SJ_SK_SL_EUlSY_E0_NS1_11comp_targetILNS1_3genE10ELNS1_11target_archE1201ELNS1_3gpuE5ELNS1_3repE0EEENS1_38merge_mergepath_config_static_selectorELNS0_4arch9wavefront6targetE0EEEvSK_.kd
    .uniform_work_group_size: 1
    .uses_dynamic_stack: false
    .vgpr_count:     0
    .vgpr_spill_count: 0
    .wavefront_size: 32
    .workgroup_processor_mode: 1
  - .args:
      - .offset:         0
        .size:           80
        .value_kind:     by_value
    .group_segment_fixed_size: 0
    .kernarg_segment_align: 8
    .kernarg_segment_size: 80
    .language:       OpenCL C
    .language_version:
      - 2
      - 0
    .max_flat_workgroup_size: 128
    .name:           _ZN7rocprim17ROCPRIM_400000_NS6detail17trampoline_kernelINS0_14default_configENS1_38merge_sort_block_merge_config_selectorIsNS0_10empty_typeEEEZZNS1_27merge_sort_block_merge_implIS3_N6thrust23THRUST_200600_302600_NS6detail15normal_iteratorINS9_10device_ptrIsEEEEPS5_m9comp_mod3IsEEE10hipError_tT0_T1_T2_jT3_P12ihipStream_tbPNSt15iterator_traitsISJ_E10value_typeEPNSP_ISK_E10value_typeEPSL_NS1_7vsmem_tEENKUlT_SJ_SK_SL_E_clISE_PsSF_SF_EESI_SY_SJ_SK_SL_EUlSY_E0_NS1_11comp_targetILNS1_3genE5ELNS1_11target_archE942ELNS1_3gpuE9ELNS1_3repE0EEENS1_38merge_mergepath_config_static_selectorELNS0_4arch9wavefront6targetE0EEEvSK_
    .private_segment_fixed_size: 0
    .sgpr_count:     0
    .sgpr_spill_count: 0
    .symbol:         _ZN7rocprim17ROCPRIM_400000_NS6detail17trampoline_kernelINS0_14default_configENS1_38merge_sort_block_merge_config_selectorIsNS0_10empty_typeEEEZZNS1_27merge_sort_block_merge_implIS3_N6thrust23THRUST_200600_302600_NS6detail15normal_iteratorINS9_10device_ptrIsEEEEPS5_m9comp_mod3IsEEE10hipError_tT0_T1_T2_jT3_P12ihipStream_tbPNSt15iterator_traitsISJ_E10value_typeEPNSP_ISK_E10value_typeEPSL_NS1_7vsmem_tEENKUlT_SJ_SK_SL_E_clISE_PsSF_SF_EESI_SY_SJ_SK_SL_EUlSY_E0_NS1_11comp_targetILNS1_3genE5ELNS1_11target_archE942ELNS1_3gpuE9ELNS1_3repE0EEENS1_38merge_mergepath_config_static_selectorELNS0_4arch9wavefront6targetE0EEEvSK_.kd
    .uniform_work_group_size: 1
    .uses_dynamic_stack: false
    .vgpr_count:     0
    .vgpr_spill_count: 0
    .wavefront_size: 32
    .workgroup_processor_mode: 1
  - .args:
      - .offset:         0
        .size:           80
        .value_kind:     by_value
    .group_segment_fixed_size: 0
    .kernarg_segment_align: 8
    .kernarg_segment_size: 80
    .language:       OpenCL C
    .language_version:
      - 2
      - 0
    .max_flat_workgroup_size: 128
    .name:           _ZN7rocprim17ROCPRIM_400000_NS6detail17trampoline_kernelINS0_14default_configENS1_38merge_sort_block_merge_config_selectorIsNS0_10empty_typeEEEZZNS1_27merge_sort_block_merge_implIS3_N6thrust23THRUST_200600_302600_NS6detail15normal_iteratorINS9_10device_ptrIsEEEEPS5_m9comp_mod3IsEEE10hipError_tT0_T1_T2_jT3_P12ihipStream_tbPNSt15iterator_traitsISJ_E10value_typeEPNSP_ISK_E10value_typeEPSL_NS1_7vsmem_tEENKUlT_SJ_SK_SL_E_clISE_PsSF_SF_EESI_SY_SJ_SK_SL_EUlSY_E0_NS1_11comp_targetILNS1_3genE4ELNS1_11target_archE910ELNS1_3gpuE8ELNS1_3repE0EEENS1_38merge_mergepath_config_static_selectorELNS0_4arch9wavefront6targetE0EEEvSK_
    .private_segment_fixed_size: 0
    .sgpr_count:     0
    .sgpr_spill_count: 0
    .symbol:         _ZN7rocprim17ROCPRIM_400000_NS6detail17trampoline_kernelINS0_14default_configENS1_38merge_sort_block_merge_config_selectorIsNS0_10empty_typeEEEZZNS1_27merge_sort_block_merge_implIS3_N6thrust23THRUST_200600_302600_NS6detail15normal_iteratorINS9_10device_ptrIsEEEEPS5_m9comp_mod3IsEEE10hipError_tT0_T1_T2_jT3_P12ihipStream_tbPNSt15iterator_traitsISJ_E10value_typeEPNSP_ISK_E10value_typeEPSL_NS1_7vsmem_tEENKUlT_SJ_SK_SL_E_clISE_PsSF_SF_EESI_SY_SJ_SK_SL_EUlSY_E0_NS1_11comp_targetILNS1_3genE4ELNS1_11target_archE910ELNS1_3gpuE8ELNS1_3repE0EEENS1_38merge_mergepath_config_static_selectorELNS0_4arch9wavefront6targetE0EEEvSK_.kd
    .uniform_work_group_size: 1
    .uses_dynamic_stack: false
    .vgpr_count:     0
    .vgpr_spill_count: 0
    .wavefront_size: 32
    .workgroup_processor_mode: 1
  - .args:
      - .offset:         0
        .size:           80
        .value_kind:     by_value
    .group_segment_fixed_size: 0
    .kernarg_segment_align: 8
    .kernarg_segment_size: 80
    .language:       OpenCL C
    .language_version:
      - 2
      - 0
    .max_flat_workgroup_size: 128
    .name:           _ZN7rocprim17ROCPRIM_400000_NS6detail17trampoline_kernelINS0_14default_configENS1_38merge_sort_block_merge_config_selectorIsNS0_10empty_typeEEEZZNS1_27merge_sort_block_merge_implIS3_N6thrust23THRUST_200600_302600_NS6detail15normal_iteratorINS9_10device_ptrIsEEEEPS5_m9comp_mod3IsEEE10hipError_tT0_T1_T2_jT3_P12ihipStream_tbPNSt15iterator_traitsISJ_E10value_typeEPNSP_ISK_E10value_typeEPSL_NS1_7vsmem_tEENKUlT_SJ_SK_SL_E_clISE_PsSF_SF_EESI_SY_SJ_SK_SL_EUlSY_E0_NS1_11comp_targetILNS1_3genE3ELNS1_11target_archE908ELNS1_3gpuE7ELNS1_3repE0EEENS1_38merge_mergepath_config_static_selectorELNS0_4arch9wavefront6targetE0EEEvSK_
    .private_segment_fixed_size: 0
    .sgpr_count:     0
    .sgpr_spill_count: 0
    .symbol:         _ZN7rocprim17ROCPRIM_400000_NS6detail17trampoline_kernelINS0_14default_configENS1_38merge_sort_block_merge_config_selectorIsNS0_10empty_typeEEEZZNS1_27merge_sort_block_merge_implIS3_N6thrust23THRUST_200600_302600_NS6detail15normal_iteratorINS9_10device_ptrIsEEEEPS5_m9comp_mod3IsEEE10hipError_tT0_T1_T2_jT3_P12ihipStream_tbPNSt15iterator_traitsISJ_E10value_typeEPNSP_ISK_E10value_typeEPSL_NS1_7vsmem_tEENKUlT_SJ_SK_SL_E_clISE_PsSF_SF_EESI_SY_SJ_SK_SL_EUlSY_E0_NS1_11comp_targetILNS1_3genE3ELNS1_11target_archE908ELNS1_3gpuE7ELNS1_3repE0EEENS1_38merge_mergepath_config_static_selectorELNS0_4arch9wavefront6targetE0EEEvSK_.kd
    .uniform_work_group_size: 1
    .uses_dynamic_stack: false
    .vgpr_count:     0
    .vgpr_spill_count: 0
    .wavefront_size: 32
    .workgroup_processor_mode: 1
  - .args:
      - .offset:         0
        .size:           80
        .value_kind:     by_value
    .group_segment_fixed_size: 0
    .kernarg_segment_align: 8
    .kernarg_segment_size: 80
    .language:       OpenCL C
    .language_version:
      - 2
      - 0
    .max_flat_workgroup_size: 128
    .name:           _ZN7rocprim17ROCPRIM_400000_NS6detail17trampoline_kernelINS0_14default_configENS1_38merge_sort_block_merge_config_selectorIsNS0_10empty_typeEEEZZNS1_27merge_sort_block_merge_implIS3_N6thrust23THRUST_200600_302600_NS6detail15normal_iteratorINS9_10device_ptrIsEEEEPS5_m9comp_mod3IsEEE10hipError_tT0_T1_T2_jT3_P12ihipStream_tbPNSt15iterator_traitsISJ_E10value_typeEPNSP_ISK_E10value_typeEPSL_NS1_7vsmem_tEENKUlT_SJ_SK_SL_E_clISE_PsSF_SF_EESI_SY_SJ_SK_SL_EUlSY_E0_NS1_11comp_targetILNS1_3genE2ELNS1_11target_archE906ELNS1_3gpuE6ELNS1_3repE0EEENS1_38merge_mergepath_config_static_selectorELNS0_4arch9wavefront6targetE0EEEvSK_
    .private_segment_fixed_size: 0
    .sgpr_count:     0
    .sgpr_spill_count: 0
    .symbol:         _ZN7rocprim17ROCPRIM_400000_NS6detail17trampoline_kernelINS0_14default_configENS1_38merge_sort_block_merge_config_selectorIsNS0_10empty_typeEEEZZNS1_27merge_sort_block_merge_implIS3_N6thrust23THRUST_200600_302600_NS6detail15normal_iteratorINS9_10device_ptrIsEEEEPS5_m9comp_mod3IsEEE10hipError_tT0_T1_T2_jT3_P12ihipStream_tbPNSt15iterator_traitsISJ_E10value_typeEPNSP_ISK_E10value_typeEPSL_NS1_7vsmem_tEENKUlT_SJ_SK_SL_E_clISE_PsSF_SF_EESI_SY_SJ_SK_SL_EUlSY_E0_NS1_11comp_targetILNS1_3genE2ELNS1_11target_archE906ELNS1_3gpuE6ELNS1_3repE0EEENS1_38merge_mergepath_config_static_selectorELNS0_4arch9wavefront6targetE0EEEvSK_.kd
    .uniform_work_group_size: 1
    .uses_dynamic_stack: false
    .vgpr_count:     0
    .vgpr_spill_count: 0
    .wavefront_size: 32
    .workgroup_processor_mode: 1
  - .args:
      - .offset:         0
        .size:           80
        .value_kind:     by_value
    .group_segment_fixed_size: 0
    .kernarg_segment_align: 8
    .kernarg_segment_size: 80
    .language:       OpenCL C
    .language_version:
      - 2
      - 0
    .max_flat_workgroup_size: 128
    .name:           _ZN7rocprim17ROCPRIM_400000_NS6detail17trampoline_kernelINS0_14default_configENS1_38merge_sort_block_merge_config_selectorIsNS0_10empty_typeEEEZZNS1_27merge_sort_block_merge_implIS3_N6thrust23THRUST_200600_302600_NS6detail15normal_iteratorINS9_10device_ptrIsEEEEPS5_m9comp_mod3IsEEE10hipError_tT0_T1_T2_jT3_P12ihipStream_tbPNSt15iterator_traitsISJ_E10value_typeEPNSP_ISK_E10value_typeEPSL_NS1_7vsmem_tEENKUlT_SJ_SK_SL_E_clISE_PsSF_SF_EESI_SY_SJ_SK_SL_EUlSY_E0_NS1_11comp_targetILNS1_3genE9ELNS1_11target_archE1100ELNS1_3gpuE3ELNS1_3repE0EEENS1_38merge_mergepath_config_static_selectorELNS0_4arch9wavefront6targetE0EEEvSK_
    .private_segment_fixed_size: 0
    .sgpr_count:     0
    .sgpr_spill_count: 0
    .symbol:         _ZN7rocprim17ROCPRIM_400000_NS6detail17trampoline_kernelINS0_14default_configENS1_38merge_sort_block_merge_config_selectorIsNS0_10empty_typeEEEZZNS1_27merge_sort_block_merge_implIS3_N6thrust23THRUST_200600_302600_NS6detail15normal_iteratorINS9_10device_ptrIsEEEEPS5_m9comp_mod3IsEEE10hipError_tT0_T1_T2_jT3_P12ihipStream_tbPNSt15iterator_traitsISJ_E10value_typeEPNSP_ISK_E10value_typeEPSL_NS1_7vsmem_tEENKUlT_SJ_SK_SL_E_clISE_PsSF_SF_EESI_SY_SJ_SK_SL_EUlSY_E0_NS1_11comp_targetILNS1_3genE9ELNS1_11target_archE1100ELNS1_3gpuE3ELNS1_3repE0EEENS1_38merge_mergepath_config_static_selectorELNS0_4arch9wavefront6targetE0EEEvSK_.kd
    .uniform_work_group_size: 1
    .uses_dynamic_stack: false
    .vgpr_count:     0
    .vgpr_spill_count: 0
    .wavefront_size: 32
    .workgroup_processor_mode: 1
  - .args:
      - .offset:         0
        .size:           80
        .value_kind:     by_value
      - .offset:         80
        .size:           4
        .value_kind:     hidden_block_count_x
      - .offset:         84
        .size:           4
        .value_kind:     hidden_block_count_y
      - .offset:         88
        .size:           4
        .value_kind:     hidden_block_count_z
      - .offset:         92
        .size:           2
        .value_kind:     hidden_group_size_x
      - .offset:         94
        .size:           2
        .value_kind:     hidden_group_size_y
      - .offset:         96
        .size:           2
        .value_kind:     hidden_group_size_z
      - .offset:         98
        .size:           2
        .value_kind:     hidden_remainder_x
      - .offset:         100
        .size:           2
        .value_kind:     hidden_remainder_y
      - .offset:         102
        .size:           2
        .value_kind:     hidden_remainder_z
      - .offset:         120
        .size:           8
        .value_kind:     hidden_global_offset_x
      - .offset:         128
        .size:           8
        .value_kind:     hidden_global_offset_y
      - .offset:         136
        .size:           8
        .value_kind:     hidden_global_offset_z
      - .offset:         144
        .size:           2
        .value_kind:     hidden_grid_dims
    .group_segment_fixed_size: 2112
    .kernarg_segment_align: 8
    .kernarg_segment_size: 336
    .language:       OpenCL C
    .language_version:
      - 2
      - 0
    .max_flat_workgroup_size: 128
    .name:           _ZN7rocprim17ROCPRIM_400000_NS6detail17trampoline_kernelINS0_14default_configENS1_38merge_sort_block_merge_config_selectorIsNS0_10empty_typeEEEZZNS1_27merge_sort_block_merge_implIS3_N6thrust23THRUST_200600_302600_NS6detail15normal_iteratorINS9_10device_ptrIsEEEEPS5_m9comp_mod3IsEEE10hipError_tT0_T1_T2_jT3_P12ihipStream_tbPNSt15iterator_traitsISJ_E10value_typeEPNSP_ISK_E10value_typeEPSL_NS1_7vsmem_tEENKUlT_SJ_SK_SL_E_clISE_PsSF_SF_EESI_SY_SJ_SK_SL_EUlSY_E0_NS1_11comp_targetILNS1_3genE8ELNS1_11target_archE1030ELNS1_3gpuE2ELNS1_3repE0EEENS1_38merge_mergepath_config_static_selectorELNS0_4arch9wavefront6targetE0EEEvSK_
    .private_segment_fixed_size: 0
    .sgpr_count:     34
    .sgpr_spill_count: 0
    .symbol:         _ZN7rocprim17ROCPRIM_400000_NS6detail17trampoline_kernelINS0_14default_configENS1_38merge_sort_block_merge_config_selectorIsNS0_10empty_typeEEEZZNS1_27merge_sort_block_merge_implIS3_N6thrust23THRUST_200600_302600_NS6detail15normal_iteratorINS9_10device_ptrIsEEEEPS5_m9comp_mod3IsEEE10hipError_tT0_T1_T2_jT3_P12ihipStream_tbPNSt15iterator_traitsISJ_E10value_typeEPNSP_ISK_E10value_typeEPSL_NS1_7vsmem_tEENKUlT_SJ_SK_SL_E_clISE_PsSF_SF_EESI_SY_SJ_SK_SL_EUlSY_E0_NS1_11comp_targetILNS1_3genE8ELNS1_11target_archE1030ELNS1_3gpuE2ELNS1_3repE0EEENS1_38merge_mergepath_config_static_selectorELNS0_4arch9wavefront6targetE0EEEvSK_.kd
    .uniform_work_group_size: 1
    .uses_dynamic_stack: false
    .vgpr_count:     29
    .vgpr_spill_count: 0
    .wavefront_size: 32
    .workgroup_processor_mode: 1
  - .args:
      - .offset:         0
        .size:           56
        .value_kind:     by_value
    .group_segment_fixed_size: 0
    .kernarg_segment_align: 8
    .kernarg_segment_size: 56
    .language:       OpenCL C
    .language_version:
      - 2
      - 0
    .max_flat_workgroup_size: 256
    .name:           _ZN7rocprim17ROCPRIM_400000_NS6detail17trampoline_kernelINS0_14default_configENS1_38merge_sort_block_merge_config_selectorIsNS0_10empty_typeEEEZZNS1_27merge_sort_block_merge_implIS3_N6thrust23THRUST_200600_302600_NS6detail15normal_iteratorINS9_10device_ptrIsEEEEPS5_m9comp_mod3IsEEE10hipError_tT0_T1_T2_jT3_P12ihipStream_tbPNSt15iterator_traitsISJ_E10value_typeEPNSP_ISK_E10value_typeEPSL_NS1_7vsmem_tEENKUlT_SJ_SK_SL_E_clISE_PsSF_SF_EESI_SY_SJ_SK_SL_EUlSY_E1_NS1_11comp_targetILNS1_3genE0ELNS1_11target_archE4294967295ELNS1_3gpuE0ELNS1_3repE0EEENS1_36merge_oddeven_config_static_selectorELNS0_4arch9wavefront6targetE0EEEvSK_
    .private_segment_fixed_size: 0
    .sgpr_count:     0
    .sgpr_spill_count: 0
    .symbol:         _ZN7rocprim17ROCPRIM_400000_NS6detail17trampoline_kernelINS0_14default_configENS1_38merge_sort_block_merge_config_selectorIsNS0_10empty_typeEEEZZNS1_27merge_sort_block_merge_implIS3_N6thrust23THRUST_200600_302600_NS6detail15normal_iteratorINS9_10device_ptrIsEEEEPS5_m9comp_mod3IsEEE10hipError_tT0_T1_T2_jT3_P12ihipStream_tbPNSt15iterator_traitsISJ_E10value_typeEPNSP_ISK_E10value_typeEPSL_NS1_7vsmem_tEENKUlT_SJ_SK_SL_E_clISE_PsSF_SF_EESI_SY_SJ_SK_SL_EUlSY_E1_NS1_11comp_targetILNS1_3genE0ELNS1_11target_archE4294967295ELNS1_3gpuE0ELNS1_3repE0EEENS1_36merge_oddeven_config_static_selectorELNS0_4arch9wavefront6targetE0EEEvSK_.kd
    .uniform_work_group_size: 1
    .uses_dynamic_stack: false
    .vgpr_count:     0
    .vgpr_spill_count: 0
    .wavefront_size: 32
    .workgroup_processor_mode: 1
  - .args:
      - .offset:         0
        .size:           56
        .value_kind:     by_value
    .group_segment_fixed_size: 0
    .kernarg_segment_align: 8
    .kernarg_segment_size: 56
    .language:       OpenCL C
    .language_version:
      - 2
      - 0
    .max_flat_workgroup_size: 256
    .name:           _ZN7rocprim17ROCPRIM_400000_NS6detail17trampoline_kernelINS0_14default_configENS1_38merge_sort_block_merge_config_selectorIsNS0_10empty_typeEEEZZNS1_27merge_sort_block_merge_implIS3_N6thrust23THRUST_200600_302600_NS6detail15normal_iteratorINS9_10device_ptrIsEEEEPS5_m9comp_mod3IsEEE10hipError_tT0_T1_T2_jT3_P12ihipStream_tbPNSt15iterator_traitsISJ_E10value_typeEPNSP_ISK_E10value_typeEPSL_NS1_7vsmem_tEENKUlT_SJ_SK_SL_E_clISE_PsSF_SF_EESI_SY_SJ_SK_SL_EUlSY_E1_NS1_11comp_targetILNS1_3genE10ELNS1_11target_archE1201ELNS1_3gpuE5ELNS1_3repE0EEENS1_36merge_oddeven_config_static_selectorELNS0_4arch9wavefront6targetE0EEEvSK_
    .private_segment_fixed_size: 0
    .sgpr_count:     0
    .sgpr_spill_count: 0
    .symbol:         _ZN7rocprim17ROCPRIM_400000_NS6detail17trampoline_kernelINS0_14default_configENS1_38merge_sort_block_merge_config_selectorIsNS0_10empty_typeEEEZZNS1_27merge_sort_block_merge_implIS3_N6thrust23THRUST_200600_302600_NS6detail15normal_iteratorINS9_10device_ptrIsEEEEPS5_m9comp_mod3IsEEE10hipError_tT0_T1_T2_jT3_P12ihipStream_tbPNSt15iterator_traitsISJ_E10value_typeEPNSP_ISK_E10value_typeEPSL_NS1_7vsmem_tEENKUlT_SJ_SK_SL_E_clISE_PsSF_SF_EESI_SY_SJ_SK_SL_EUlSY_E1_NS1_11comp_targetILNS1_3genE10ELNS1_11target_archE1201ELNS1_3gpuE5ELNS1_3repE0EEENS1_36merge_oddeven_config_static_selectorELNS0_4arch9wavefront6targetE0EEEvSK_.kd
    .uniform_work_group_size: 1
    .uses_dynamic_stack: false
    .vgpr_count:     0
    .vgpr_spill_count: 0
    .wavefront_size: 32
    .workgroup_processor_mode: 1
  - .args:
      - .offset:         0
        .size:           56
        .value_kind:     by_value
    .group_segment_fixed_size: 0
    .kernarg_segment_align: 8
    .kernarg_segment_size: 56
    .language:       OpenCL C
    .language_version:
      - 2
      - 0
    .max_flat_workgroup_size: 256
    .name:           _ZN7rocprim17ROCPRIM_400000_NS6detail17trampoline_kernelINS0_14default_configENS1_38merge_sort_block_merge_config_selectorIsNS0_10empty_typeEEEZZNS1_27merge_sort_block_merge_implIS3_N6thrust23THRUST_200600_302600_NS6detail15normal_iteratorINS9_10device_ptrIsEEEEPS5_m9comp_mod3IsEEE10hipError_tT0_T1_T2_jT3_P12ihipStream_tbPNSt15iterator_traitsISJ_E10value_typeEPNSP_ISK_E10value_typeEPSL_NS1_7vsmem_tEENKUlT_SJ_SK_SL_E_clISE_PsSF_SF_EESI_SY_SJ_SK_SL_EUlSY_E1_NS1_11comp_targetILNS1_3genE5ELNS1_11target_archE942ELNS1_3gpuE9ELNS1_3repE0EEENS1_36merge_oddeven_config_static_selectorELNS0_4arch9wavefront6targetE0EEEvSK_
    .private_segment_fixed_size: 0
    .sgpr_count:     0
    .sgpr_spill_count: 0
    .symbol:         _ZN7rocprim17ROCPRIM_400000_NS6detail17trampoline_kernelINS0_14default_configENS1_38merge_sort_block_merge_config_selectorIsNS0_10empty_typeEEEZZNS1_27merge_sort_block_merge_implIS3_N6thrust23THRUST_200600_302600_NS6detail15normal_iteratorINS9_10device_ptrIsEEEEPS5_m9comp_mod3IsEEE10hipError_tT0_T1_T2_jT3_P12ihipStream_tbPNSt15iterator_traitsISJ_E10value_typeEPNSP_ISK_E10value_typeEPSL_NS1_7vsmem_tEENKUlT_SJ_SK_SL_E_clISE_PsSF_SF_EESI_SY_SJ_SK_SL_EUlSY_E1_NS1_11comp_targetILNS1_3genE5ELNS1_11target_archE942ELNS1_3gpuE9ELNS1_3repE0EEENS1_36merge_oddeven_config_static_selectorELNS0_4arch9wavefront6targetE0EEEvSK_.kd
    .uniform_work_group_size: 1
    .uses_dynamic_stack: false
    .vgpr_count:     0
    .vgpr_spill_count: 0
    .wavefront_size: 32
    .workgroup_processor_mode: 1
  - .args:
      - .offset:         0
        .size:           56
        .value_kind:     by_value
    .group_segment_fixed_size: 0
    .kernarg_segment_align: 8
    .kernarg_segment_size: 56
    .language:       OpenCL C
    .language_version:
      - 2
      - 0
    .max_flat_workgroup_size: 256
    .name:           _ZN7rocprim17ROCPRIM_400000_NS6detail17trampoline_kernelINS0_14default_configENS1_38merge_sort_block_merge_config_selectorIsNS0_10empty_typeEEEZZNS1_27merge_sort_block_merge_implIS3_N6thrust23THRUST_200600_302600_NS6detail15normal_iteratorINS9_10device_ptrIsEEEEPS5_m9comp_mod3IsEEE10hipError_tT0_T1_T2_jT3_P12ihipStream_tbPNSt15iterator_traitsISJ_E10value_typeEPNSP_ISK_E10value_typeEPSL_NS1_7vsmem_tEENKUlT_SJ_SK_SL_E_clISE_PsSF_SF_EESI_SY_SJ_SK_SL_EUlSY_E1_NS1_11comp_targetILNS1_3genE4ELNS1_11target_archE910ELNS1_3gpuE8ELNS1_3repE0EEENS1_36merge_oddeven_config_static_selectorELNS0_4arch9wavefront6targetE0EEEvSK_
    .private_segment_fixed_size: 0
    .sgpr_count:     0
    .sgpr_spill_count: 0
    .symbol:         _ZN7rocprim17ROCPRIM_400000_NS6detail17trampoline_kernelINS0_14default_configENS1_38merge_sort_block_merge_config_selectorIsNS0_10empty_typeEEEZZNS1_27merge_sort_block_merge_implIS3_N6thrust23THRUST_200600_302600_NS6detail15normal_iteratorINS9_10device_ptrIsEEEEPS5_m9comp_mod3IsEEE10hipError_tT0_T1_T2_jT3_P12ihipStream_tbPNSt15iterator_traitsISJ_E10value_typeEPNSP_ISK_E10value_typeEPSL_NS1_7vsmem_tEENKUlT_SJ_SK_SL_E_clISE_PsSF_SF_EESI_SY_SJ_SK_SL_EUlSY_E1_NS1_11comp_targetILNS1_3genE4ELNS1_11target_archE910ELNS1_3gpuE8ELNS1_3repE0EEENS1_36merge_oddeven_config_static_selectorELNS0_4arch9wavefront6targetE0EEEvSK_.kd
    .uniform_work_group_size: 1
    .uses_dynamic_stack: false
    .vgpr_count:     0
    .vgpr_spill_count: 0
    .wavefront_size: 32
    .workgroup_processor_mode: 1
  - .args:
      - .offset:         0
        .size:           56
        .value_kind:     by_value
    .group_segment_fixed_size: 0
    .kernarg_segment_align: 8
    .kernarg_segment_size: 56
    .language:       OpenCL C
    .language_version:
      - 2
      - 0
    .max_flat_workgroup_size: 256
    .name:           _ZN7rocprim17ROCPRIM_400000_NS6detail17trampoline_kernelINS0_14default_configENS1_38merge_sort_block_merge_config_selectorIsNS0_10empty_typeEEEZZNS1_27merge_sort_block_merge_implIS3_N6thrust23THRUST_200600_302600_NS6detail15normal_iteratorINS9_10device_ptrIsEEEEPS5_m9comp_mod3IsEEE10hipError_tT0_T1_T2_jT3_P12ihipStream_tbPNSt15iterator_traitsISJ_E10value_typeEPNSP_ISK_E10value_typeEPSL_NS1_7vsmem_tEENKUlT_SJ_SK_SL_E_clISE_PsSF_SF_EESI_SY_SJ_SK_SL_EUlSY_E1_NS1_11comp_targetILNS1_3genE3ELNS1_11target_archE908ELNS1_3gpuE7ELNS1_3repE0EEENS1_36merge_oddeven_config_static_selectorELNS0_4arch9wavefront6targetE0EEEvSK_
    .private_segment_fixed_size: 0
    .sgpr_count:     0
    .sgpr_spill_count: 0
    .symbol:         _ZN7rocprim17ROCPRIM_400000_NS6detail17trampoline_kernelINS0_14default_configENS1_38merge_sort_block_merge_config_selectorIsNS0_10empty_typeEEEZZNS1_27merge_sort_block_merge_implIS3_N6thrust23THRUST_200600_302600_NS6detail15normal_iteratorINS9_10device_ptrIsEEEEPS5_m9comp_mod3IsEEE10hipError_tT0_T1_T2_jT3_P12ihipStream_tbPNSt15iterator_traitsISJ_E10value_typeEPNSP_ISK_E10value_typeEPSL_NS1_7vsmem_tEENKUlT_SJ_SK_SL_E_clISE_PsSF_SF_EESI_SY_SJ_SK_SL_EUlSY_E1_NS1_11comp_targetILNS1_3genE3ELNS1_11target_archE908ELNS1_3gpuE7ELNS1_3repE0EEENS1_36merge_oddeven_config_static_selectorELNS0_4arch9wavefront6targetE0EEEvSK_.kd
    .uniform_work_group_size: 1
    .uses_dynamic_stack: false
    .vgpr_count:     0
    .vgpr_spill_count: 0
    .wavefront_size: 32
    .workgroup_processor_mode: 1
  - .args:
      - .offset:         0
        .size:           56
        .value_kind:     by_value
    .group_segment_fixed_size: 0
    .kernarg_segment_align: 8
    .kernarg_segment_size: 56
    .language:       OpenCL C
    .language_version:
      - 2
      - 0
    .max_flat_workgroup_size: 256
    .name:           _ZN7rocprim17ROCPRIM_400000_NS6detail17trampoline_kernelINS0_14default_configENS1_38merge_sort_block_merge_config_selectorIsNS0_10empty_typeEEEZZNS1_27merge_sort_block_merge_implIS3_N6thrust23THRUST_200600_302600_NS6detail15normal_iteratorINS9_10device_ptrIsEEEEPS5_m9comp_mod3IsEEE10hipError_tT0_T1_T2_jT3_P12ihipStream_tbPNSt15iterator_traitsISJ_E10value_typeEPNSP_ISK_E10value_typeEPSL_NS1_7vsmem_tEENKUlT_SJ_SK_SL_E_clISE_PsSF_SF_EESI_SY_SJ_SK_SL_EUlSY_E1_NS1_11comp_targetILNS1_3genE2ELNS1_11target_archE906ELNS1_3gpuE6ELNS1_3repE0EEENS1_36merge_oddeven_config_static_selectorELNS0_4arch9wavefront6targetE0EEEvSK_
    .private_segment_fixed_size: 0
    .sgpr_count:     0
    .sgpr_spill_count: 0
    .symbol:         _ZN7rocprim17ROCPRIM_400000_NS6detail17trampoline_kernelINS0_14default_configENS1_38merge_sort_block_merge_config_selectorIsNS0_10empty_typeEEEZZNS1_27merge_sort_block_merge_implIS3_N6thrust23THRUST_200600_302600_NS6detail15normal_iteratorINS9_10device_ptrIsEEEEPS5_m9comp_mod3IsEEE10hipError_tT0_T1_T2_jT3_P12ihipStream_tbPNSt15iterator_traitsISJ_E10value_typeEPNSP_ISK_E10value_typeEPSL_NS1_7vsmem_tEENKUlT_SJ_SK_SL_E_clISE_PsSF_SF_EESI_SY_SJ_SK_SL_EUlSY_E1_NS1_11comp_targetILNS1_3genE2ELNS1_11target_archE906ELNS1_3gpuE6ELNS1_3repE0EEENS1_36merge_oddeven_config_static_selectorELNS0_4arch9wavefront6targetE0EEEvSK_.kd
    .uniform_work_group_size: 1
    .uses_dynamic_stack: false
    .vgpr_count:     0
    .vgpr_spill_count: 0
    .wavefront_size: 32
    .workgroup_processor_mode: 1
  - .args:
      - .offset:         0
        .size:           56
        .value_kind:     by_value
    .group_segment_fixed_size: 0
    .kernarg_segment_align: 8
    .kernarg_segment_size: 56
    .language:       OpenCL C
    .language_version:
      - 2
      - 0
    .max_flat_workgroup_size: 256
    .name:           _ZN7rocprim17ROCPRIM_400000_NS6detail17trampoline_kernelINS0_14default_configENS1_38merge_sort_block_merge_config_selectorIsNS0_10empty_typeEEEZZNS1_27merge_sort_block_merge_implIS3_N6thrust23THRUST_200600_302600_NS6detail15normal_iteratorINS9_10device_ptrIsEEEEPS5_m9comp_mod3IsEEE10hipError_tT0_T1_T2_jT3_P12ihipStream_tbPNSt15iterator_traitsISJ_E10value_typeEPNSP_ISK_E10value_typeEPSL_NS1_7vsmem_tEENKUlT_SJ_SK_SL_E_clISE_PsSF_SF_EESI_SY_SJ_SK_SL_EUlSY_E1_NS1_11comp_targetILNS1_3genE9ELNS1_11target_archE1100ELNS1_3gpuE3ELNS1_3repE0EEENS1_36merge_oddeven_config_static_selectorELNS0_4arch9wavefront6targetE0EEEvSK_
    .private_segment_fixed_size: 0
    .sgpr_count:     0
    .sgpr_spill_count: 0
    .symbol:         _ZN7rocprim17ROCPRIM_400000_NS6detail17trampoline_kernelINS0_14default_configENS1_38merge_sort_block_merge_config_selectorIsNS0_10empty_typeEEEZZNS1_27merge_sort_block_merge_implIS3_N6thrust23THRUST_200600_302600_NS6detail15normal_iteratorINS9_10device_ptrIsEEEEPS5_m9comp_mod3IsEEE10hipError_tT0_T1_T2_jT3_P12ihipStream_tbPNSt15iterator_traitsISJ_E10value_typeEPNSP_ISK_E10value_typeEPSL_NS1_7vsmem_tEENKUlT_SJ_SK_SL_E_clISE_PsSF_SF_EESI_SY_SJ_SK_SL_EUlSY_E1_NS1_11comp_targetILNS1_3genE9ELNS1_11target_archE1100ELNS1_3gpuE3ELNS1_3repE0EEENS1_36merge_oddeven_config_static_selectorELNS0_4arch9wavefront6targetE0EEEvSK_.kd
    .uniform_work_group_size: 1
    .uses_dynamic_stack: false
    .vgpr_count:     0
    .vgpr_spill_count: 0
    .wavefront_size: 32
    .workgroup_processor_mode: 1
  - .args:
      - .offset:         0
        .size:           56
        .value_kind:     by_value
    .group_segment_fixed_size: 0
    .kernarg_segment_align: 8
    .kernarg_segment_size: 56
    .language:       OpenCL C
    .language_version:
      - 2
      - 0
    .max_flat_workgroup_size: 256
    .name:           _ZN7rocprim17ROCPRIM_400000_NS6detail17trampoline_kernelINS0_14default_configENS1_38merge_sort_block_merge_config_selectorIsNS0_10empty_typeEEEZZNS1_27merge_sort_block_merge_implIS3_N6thrust23THRUST_200600_302600_NS6detail15normal_iteratorINS9_10device_ptrIsEEEEPS5_m9comp_mod3IsEEE10hipError_tT0_T1_T2_jT3_P12ihipStream_tbPNSt15iterator_traitsISJ_E10value_typeEPNSP_ISK_E10value_typeEPSL_NS1_7vsmem_tEENKUlT_SJ_SK_SL_E_clISE_PsSF_SF_EESI_SY_SJ_SK_SL_EUlSY_E1_NS1_11comp_targetILNS1_3genE8ELNS1_11target_archE1030ELNS1_3gpuE2ELNS1_3repE0EEENS1_36merge_oddeven_config_static_selectorELNS0_4arch9wavefront6targetE0EEEvSK_
    .private_segment_fixed_size: 0
    .sgpr_count:     20
    .sgpr_spill_count: 0
    .symbol:         _ZN7rocprim17ROCPRIM_400000_NS6detail17trampoline_kernelINS0_14default_configENS1_38merge_sort_block_merge_config_selectorIsNS0_10empty_typeEEEZZNS1_27merge_sort_block_merge_implIS3_N6thrust23THRUST_200600_302600_NS6detail15normal_iteratorINS9_10device_ptrIsEEEEPS5_m9comp_mod3IsEEE10hipError_tT0_T1_T2_jT3_P12ihipStream_tbPNSt15iterator_traitsISJ_E10value_typeEPNSP_ISK_E10value_typeEPSL_NS1_7vsmem_tEENKUlT_SJ_SK_SL_E_clISE_PsSF_SF_EESI_SY_SJ_SK_SL_EUlSY_E1_NS1_11comp_targetILNS1_3genE8ELNS1_11target_archE1030ELNS1_3gpuE2ELNS1_3repE0EEENS1_36merge_oddeven_config_static_selectorELNS0_4arch9wavefront6targetE0EEEvSK_.kd
    .uniform_work_group_size: 1
    .uses_dynamic_stack: false
    .vgpr_count:     12
    .vgpr_spill_count: 0
    .wavefront_size: 32
    .workgroup_processor_mode: 1
  - .args:
      - .offset:         0
        .size:           48
        .value_kind:     by_value
    .group_segment_fixed_size: 0
    .kernarg_segment_align: 8
    .kernarg_segment_size: 48
    .language:       OpenCL C
    .language_version:
      - 2
      - 0
    .max_flat_workgroup_size: 256
    .name:           _ZN7rocprim17ROCPRIM_400000_NS6detail17trampoline_kernelINS0_13kernel_configILj256ELj4ELj4294967295EEENS1_37radix_sort_block_sort_config_selectorIiNS0_10empty_typeEEEZNS1_21radix_sort_block_sortIS4_Lb0EN6thrust23THRUST_200600_302600_NS10device_ptrIiEESC_PS6_SD_NS0_19identity_decomposerEEE10hipError_tT1_T2_T3_T4_jRjT5_jjP12ihipStream_tbEUlT_E_NS1_11comp_targetILNS1_3genE0ELNS1_11target_archE4294967295ELNS1_3gpuE0ELNS1_3repE0EEENS1_44radix_sort_block_sort_config_static_selectorELNS0_4arch9wavefront6targetE0EEEvSG_
    .private_segment_fixed_size: 0
    .sgpr_count:     0
    .sgpr_spill_count: 0
    .symbol:         _ZN7rocprim17ROCPRIM_400000_NS6detail17trampoline_kernelINS0_13kernel_configILj256ELj4ELj4294967295EEENS1_37radix_sort_block_sort_config_selectorIiNS0_10empty_typeEEEZNS1_21radix_sort_block_sortIS4_Lb0EN6thrust23THRUST_200600_302600_NS10device_ptrIiEESC_PS6_SD_NS0_19identity_decomposerEEE10hipError_tT1_T2_T3_T4_jRjT5_jjP12ihipStream_tbEUlT_E_NS1_11comp_targetILNS1_3genE0ELNS1_11target_archE4294967295ELNS1_3gpuE0ELNS1_3repE0EEENS1_44radix_sort_block_sort_config_static_selectorELNS0_4arch9wavefront6targetE0EEEvSG_.kd
    .uniform_work_group_size: 1
    .uses_dynamic_stack: false
    .vgpr_count:     0
    .vgpr_spill_count: 0
    .wavefront_size: 32
    .workgroup_processor_mode: 1
  - .args:
      - .offset:         0
        .size:           48
        .value_kind:     by_value
    .group_segment_fixed_size: 0
    .kernarg_segment_align: 8
    .kernarg_segment_size: 48
    .language:       OpenCL C
    .language_version:
      - 2
      - 0
    .max_flat_workgroup_size: 256
    .name:           _ZN7rocprim17ROCPRIM_400000_NS6detail17trampoline_kernelINS0_13kernel_configILj256ELj4ELj4294967295EEENS1_37radix_sort_block_sort_config_selectorIiNS0_10empty_typeEEEZNS1_21radix_sort_block_sortIS4_Lb0EN6thrust23THRUST_200600_302600_NS10device_ptrIiEESC_PS6_SD_NS0_19identity_decomposerEEE10hipError_tT1_T2_T3_T4_jRjT5_jjP12ihipStream_tbEUlT_E_NS1_11comp_targetILNS1_3genE5ELNS1_11target_archE942ELNS1_3gpuE9ELNS1_3repE0EEENS1_44radix_sort_block_sort_config_static_selectorELNS0_4arch9wavefront6targetE0EEEvSG_
    .private_segment_fixed_size: 0
    .sgpr_count:     0
    .sgpr_spill_count: 0
    .symbol:         _ZN7rocprim17ROCPRIM_400000_NS6detail17trampoline_kernelINS0_13kernel_configILj256ELj4ELj4294967295EEENS1_37radix_sort_block_sort_config_selectorIiNS0_10empty_typeEEEZNS1_21radix_sort_block_sortIS4_Lb0EN6thrust23THRUST_200600_302600_NS10device_ptrIiEESC_PS6_SD_NS0_19identity_decomposerEEE10hipError_tT1_T2_T3_T4_jRjT5_jjP12ihipStream_tbEUlT_E_NS1_11comp_targetILNS1_3genE5ELNS1_11target_archE942ELNS1_3gpuE9ELNS1_3repE0EEENS1_44radix_sort_block_sort_config_static_selectorELNS0_4arch9wavefront6targetE0EEEvSG_.kd
    .uniform_work_group_size: 1
    .uses_dynamic_stack: false
    .vgpr_count:     0
    .vgpr_spill_count: 0
    .wavefront_size: 32
    .workgroup_processor_mode: 1
  - .args:
      - .offset:         0
        .size:           48
        .value_kind:     by_value
    .group_segment_fixed_size: 0
    .kernarg_segment_align: 8
    .kernarg_segment_size: 48
    .language:       OpenCL C
    .language_version:
      - 2
      - 0
    .max_flat_workgroup_size: 256
    .name:           _ZN7rocprim17ROCPRIM_400000_NS6detail17trampoline_kernelINS0_13kernel_configILj256ELj4ELj4294967295EEENS1_37radix_sort_block_sort_config_selectorIiNS0_10empty_typeEEEZNS1_21radix_sort_block_sortIS4_Lb0EN6thrust23THRUST_200600_302600_NS10device_ptrIiEESC_PS6_SD_NS0_19identity_decomposerEEE10hipError_tT1_T2_T3_T4_jRjT5_jjP12ihipStream_tbEUlT_E_NS1_11comp_targetILNS1_3genE4ELNS1_11target_archE910ELNS1_3gpuE8ELNS1_3repE0EEENS1_44radix_sort_block_sort_config_static_selectorELNS0_4arch9wavefront6targetE0EEEvSG_
    .private_segment_fixed_size: 0
    .sgpr_count:     0
    .sgpr_spill_count: 0
    .symbol:         _ZN7rocprim17ROCPRIM_400000_NS6detail17trampoline_kernelINS0_13kernel_configILj256ELj4ELj4294967295EEENS1_37radix_sort_block_sort_config_selectorIiNS0_10empty_typeEEEZNS1_21radix_sort_block_sortIS4_Lb0EN6thrust23THRUST_200600_302600_NS10device_ptrIiEESC_PS6_SD_NS0_19identity_decomposerEEE10hipError_tT1_T2_T3_T4_jRjT5_jjP12ihipStream_tbEUlT_E_NS1_11comp_targetILNS1_3genE4ELNS1_11target_archE910ELNS1_3gpuE8ELNS1_3repE0EEENS1_44radix_sort_block_sort_config_static_selectorELNS0_4arch9wavefront6targetE0EEEvSG_.kd
    .uniform_work_group_size: 1
    .uses_dynamic_stack: false
    .vgpr_count:     0
    .vgpr_spill_count: 0
    .wavefront_size: 32
    .workgroup_processor_mode: 1
  - .args:
      - .offset:         0
        .size:           48
        .value_kind:     by_value
    .group_segment_fixed_size: 0
    .kernarg_segment_align: 8
    .kernarg_segment_size: 48
    .language:       OpenCL C
    .language_version:
      - 2
      - 0
    .max_flat_workgroup_size: 256
    .name:           _ZN7rocprim17ROCPRIM_400000_NS6detail17trampoline_kernelINS0_13kernel_configILj256ELj4ELj4294967295EEENS1_37radix_sort_block_sort_config_selectorIiNS0_10empty_typeEEEZNS1_21radix_sort_block_sortIS4_Lb0EN6thrust23THRUST_200600_302600_NS10device_ptrIiEESC_PS6_SD_NS0_19identity_decomposerEEE10hipError_tT1_T2_T3_T4_jRjT5_jjP12ihipStream_tbEUlT_E_NS1_11comp_targetILNS1_3genE3ELNS1_11target_archE908ELNS1_3gpuE7ELNS1_3repE0EEENS1_44radix_sort_block_sort_config_static_selectorELNS0_4arch9wavefront6targetE0EEEvSG_
    .private_segment_fixed_size: 0
    .sgpr_count:     0
    .sgpr_spill_count: 0
    .symbol:         _ZN7rocprim17ROCPRIM_400000_NS6detail17trampoline_kernelINS0_13kernel_configILj256ELj4ELj4294967295EEENS1_37radix_sort_block_sort_config_selectorIiNS0_10empty_typeEEEZNS1_21radix_sort_block_sortIS4_Lb0EN6thrust23THRUST_200600_302600_NS10device_ptrIiEESC_PS6_SD_NS0_19identity_decomposerEEE10hipError_tT1_T2_T3_T4_jRjT5_jjP12ihipStream_tbEUlT_E_NS1_11comp_targetILNS1_3genE3ELNS1_11target_archE908ELNS1_3gpuE7ELNS1_3repE0EEENS1_44radix_sort_block_sort_config_static_selectorELNS0_4arch9wavefront6targetE0EEEvSG_.kd
    .uniform_work_group_size: 1
    .uses_dynamic_stack: false
    .vgpr_count:     0
    .vgpr_spill_count: 0
    .wavefront_size: 32
    .workgroup_processor_mode: 1
  - .args:
      - .offset:         0
        .size:           48
        .value_kind:     by_value
    .group_segment_fixed_size: 0
    .kernarg_segment_align: 8
    .kernarg_segment_size: 48
    .language:       OpenCL C
    .language_version:
      - 2
      - 0
    .max_flat_workgroup_size: 256
    .name:           _ZN7rocprim17ROCPRIM_400000_NS6detail17trampoline_kernelINS0_13kernel_configILj256ELj4ELj4294967295EEENS1_37radix_sort_block_sort_config_selectorIiNS0_10empty_typeEEEZNS1_21radix_sort_block_sortIS4_Lb0EN6thrust23THRUST_200600_302600_NS10device_ptrIiEESC_PS6_SD_NS0_19identity_decomposerEEE10hipError_tT1_T2_T3_T4_jRjT5_jjP12ihipStream_tbEUlT_E_NS1_11comp_targetILNS1_3genE2ELNS1_11target_archE906ELNS1_3gpuE6ELNS1_3repE0EEENS1_44radix_sort_block_sort_config_static_selectorELNS0_4arch9wavefront6targetE0EEEvSG_
    .private_segment_fixed_size: 0
    .sgpr_count:     0
    .sgpr_spill_count: 0
    .symbol:         _ZN7rocprim17ROCPRIM_400000_NS6detail17trampoline_kernelINS0_13kernel_configILj256ELj4ELj4294967295EEENS1_37radix_sort_block_sort_config_selectorIiNS0_10empty_typeEEEZNS1_21radix_sort_block_sortIS4_Lb0EN6thrust23THRUST_200600_302600_NS10device_ptrIiEESC_PS6_SD_NS0_19identity_decomposerEEE10hipError_tT1_T2_T3_T4_jRjT5_jjP12ihipStream_tbEUlT_E_NS1_11comp_targetILNS1_3genE2ELNS1_11target_archE906ELNS1_3gpuE6ELNS1_3repE0EEENS1_44radix_sort_block_sort_config_static_selectorELNS0_4arch9wavefront6targetE0EEEvSG_.kd
    .uniform_work_group_size: 1
    .uses_dynamic_stack: false
    .vgpr_count:     0
    .vgpr_spill_count: 0
    .wavefront_size: 32
    .workgroup_processor_mode: 1
  - .args:
      - .offset:         0
        .size:           48
        .value_kind:     by_value
    .group_segment_fixed_size: 0
    .kernarg_segment_align: 8
    .kernarg_segment_size: 48
    .language:       OpenCL C
    .language_version:
      - 2
      - 0
    .max_flat_workgroup_size: 256
    .name:           _ZN7rocprim17ROCPRIM_400000_NS6detail17trampoline_kernelINS0_13kernel_configILj256ELj4ELj4294967295EEENS1_37radix_sort_block_sort_config_selectorIiNS0_10empty_typeEEEZNS1_21radix_sort_block_sortIS4_Lb0EN6thrust23THRUST_200600_302600_NS10device_ptrIiEESC_PS6_SD_NS0_19identity_decomposerEEE10hipError_tT1_T2_T3_T4_jRjT5_jjP12ihipStream_tbEUlT_E_NS1_11comp_targetILNS1_3genE10ELNS1_11target_archE1201ELNS1_3gpuE5ELNS1_3repE0EEENS1_44radix_sort_block_sort_config_static_selectorELNS0_4arch9wavefront6targetE0EEEvSG_
    .private_segment_fixed_size: 0
    .sgpr_count:     0
    .sgpr_spill_count: 0
    .symbol:         _ZN7rocprim17ROCPRIM_400000_NS6detail17trampoline_kernelINS0_13kernel_configILj256ELj4ELj4294967295EEENS1_37radix_sort_block_sort_config_selectorIiNS0_10empty_typeEEEZNS1_21radix_sort_block_sortIS4_Lb0EN6thrust23THRUST_200600_302600_NS10device_ptrIiEESC_PS6_SD_NS0_19identity_decomposerEEE10hipError_tT1_T2_T3_T4_jRjT5_jjP12ihipStream_tbEUlT_E_NS1_11comp_targetILNS1_3genE10ELNS1_11target_archE1201ELNS1_3gpuE5ELNS1_3repE0EEENS1_44radix_sort_block_sort_config_static_selectorELNS0_4arch9wavefront6targetE0EEEvSG_.kd
    .uniform_work_group_size: 1
    .uses_dynamic_stack: false
    .vgpr_count:     0
    .vgpr_spill_count: 0
    .wavefront_size: 32
    .workgroup_processor_mode: 1
  - .args:
      - .offset:         0
        .size:           48
        .value_kind:     by_value
    .group_segment_fixed_size: 0
    .kernarg_segment_align: 8
    .kernarg_segment_size: 48
    .language:       OpenCL C
    .language_version:
      - 2
      - 0
    .max_flat_workgroup_size: 256
    .name:           _ZN7rocprim17ROCPRIM_400000_NS6detail17trampoline_kernelINS0_13kernel_configILj256ELj4ELj4294967295EEENS1_37radix_sort_block_sort_config_selectorIiNS0_10empty_typeEEEZNS1_21radix_sort_block_sortIS4_Lb0EN6thrust23THRUST_200600_302600_NS10device_ptrIiEESC_PS6_SD_NS0_19identity_decomposerEEE10hipError_tT1_T2_T3_T4_jRjT5_jjP12ihipStream_tbEUlT_E_NS1_11comp_targetILNS1_3genE10ELNS1_11target_archE1200ELNS1_3gpuE4ELNS1_3repE0EEENS1_44radix_sort_block_sort_config_static_selectorELNS0_4arch9wavefront6targetE0EEEvSG_
    .private_segment_fixed_size: 0
    .sgpr_count:     0
    .sgpr_spill_count: 0
    .symbol:         _ZN7rocprim17ROCPRIM_400000_NS6detail17trampoline_kernelINS0_13kernel_configILj256ELj4ELj4294967295EEENS1_37radix_sort_block_sort_config_selectorIiNS0_10empty_typeEEEZNS1_21radix_sort_block_sortIS4_Lb0EN6thrust23THRUST_200600_302600_NS10device_ptrIiEESC_PS6_SD_NS0_19identity_decomposerEEE10hipError_tT1_T2_T3_T4_jRjT5_jjP12ihipStream_tbEUlT_E_NS1_11comp_targetILNS1_3genE10ELNS1_11target_archE1200ELNS1_3gpuE4ELNS1_3repE0EEENS1_44radix_sort_block_sort_config_static_selectorELNS0_4arch9wavefront6targetE0EEEvSG_.kd
    .uniform_work_group_size: 1
    .uses_dynamic_stack: false
    .vgpr_count:     0
    .vgpr_spill_count: 0
    .wavefront_size: 32
    .workgroup_processor_mode: 1
  - .args:
      - .offset:         0
        .size:           48
        .value_kind:     by_value
    .group_segment_fixed_size: 0
    .kernarg_segment_align: 8
    .kernarg_segment_size: 48
    .language:       OpenCL C
    .language_version:
      - 2
      - 0
    .max_flat_workgroup_size: 256
    .name:           _ZN7rocprim17ROCPRIM_400000_NS6detail17trampoline_kernelINS0_13kernel_configILj256ELj4ELj4294967295EEENS1_37radix_sort_block_sort_config_selectorIiNS0_10empty_typeEEEZNS1_21radix_sort_block_sortIS4_Lb0EN6thrust23THRUST_200600_302600_NS10device_ptrIiEESC_PS6_SD_NS0_19identity_decomposerEEE10hipError_tT1_T2_T3_T4_jRjT5_jjP12ihipStream_tbEUlT_E_NS1_11comp_targetILNS1_3genE9ELNS1_11target_archE1100ELNS1_3gpuE3ELNS1_3repE0EEENS1_44radix_sort_block_sort_config_static_selectorELNS0_4arch9wavefront6targetE0EEEvSG_
    .private_segment_fixed_size: 0
    .sgpr_count:     0
    .sgpr_spill_count: 0
    .symbol:         _ZN7rocprim17ROCPRIM_400000_NS6detail17trampoline_kernelINS0_13kernel_configILj256ELj4ELj4294967295EEENS1_37radix_sort_block_sort_config_selectorIiNS0_10empty_typeEEEZNS1_21radix_sort_block_sortIS4_Lb0EN6thrust23THRUST_200600_302600_NS10device_ptrIiEESC_PS6_SD_NS0_19identity_decomposerEEE10hipError_tT1_T2_T3_T4_jRjT5_jjP12ihipStream_tbEUlT_E_NS1_11comp_targetILNS1_3genE9ELNS1_11target_archE1100ELNS1_3gpuE3ELNS1_3repE0EEENS1_44radix_sort_block_sort_config_static_selectorELNS0_4arch9wavefront6targetE0EEEvSG_.kd
    .uniform_work_group_size: 1
    .uses_dynamic_stack: false
    .vgpr_count:     0
    .vgpr_spill_count: 0
    .wavefront_size: 32
    .workgroup_processor_mode: 1
  - .args:
      - .offset:         0
        .size:           48
        .value_kind:     by_value
      - .offset:         48
        .size:           4
        .value_kind:     hidden_block_count_x
      - .offset:         52
        .size:           4
        .value_kind:     hidden_block_count_y
      - .offset:         56
        .size:           4
        .value_kind:     hidden_block_count_z
      - .offset:         60
        .size:           2
        .value_kind:     hidden_group_size_x
      - .offset:         62
        .size:           2
        .value_kind:     hidden_group_size_y
      - .offset:         64
        .size:           2
        .value_kind:     hidden_group_size_z
      - .offset:         66
        .size:           2
        .value_kind:     hidden_remainder_x
      - .offset:         68
        .size:           2
        .value_kind:     hidden_remainder_y
      - .offset:         70
        .size:           2
        .value_kind:     hidden_remainder_z
      - .offset:         88
        .size:           8
        .value_kind:     hidden_global_offset_x
      - .offset:         96
        .size:           8
        .value_kind:     hidden_global_offset_y
      - .offset:         104
        .size:           8
        .value_kind:     hidden_global_offset_z
      - .offset:         112
        .size:           2
        .value_kind:     hidden_grid_dims
    .group_segment_fixed_size: 8224
    .kernarg_segment_align: 8
    .kernarg_segment_size: 304
    .language:       OpenCL C
    .language_version:
      - 2
      - 0
    .max_flat_workgroup_size: 256
    .name:           _ZN7rocprim17ROCPRIM_400000_NS6detail17trampoline_kernelINS0_13kernel_configILj256ELj4ELj4294967295EEENS1_37radix_sort_block_sort_config_selectorIiNS0_10empty_typeEEEZNS1_21radix_sort_block_sortIS4_Lb0EN6thrust23THRUST_200600_302600_NS10device_ptrIiEESC_PS6_SD_NS0_19identity_decomposerEEE10hipError_tT1_T2_T3_T4_jRjT5_jjP12ihipStream_tbEUlT_E_NS1_11comp_targetILNS1_3genE8ELNS1_11target_archE1030ELNS1_3gpuE2ELNS1_3repE0EEENS1_44radix_sort_block_sort_config_static_selectorELNS0_4arch9wavefront6targetE0EEEvSG_
    .private_segment_fixed_size: 0
    .sgpr_count:     30
    .sgpr_spill_count: 0
    .symbol:         _ZN7rocprim17ROCPRIM_400000_NS6detail17trampoline_kernelINS0_13kernel_configILj256ELj4ELj4294967295EEENS1_37radix_sort_block_sort_config_selectorIiNS0_10empty_typeEEEZNS1_21radix_sort_block_sortIS4_Lb0EN6thrust23THRUST_200600_302600_NS10device_ptrIiEESC_PS6_SD_NS0_19identity_decomposerEEE10hipError_tT1_T2_T3_T4_jRjT5_jjP12ihipStream_tbEUlT_E_NS1_11comp_targetILNS1_3genE8ELNS1_11target_archE1030ELNS1_3gpuE2ELNS1_3repE0EEENS1_44radix_sort_block_sort_config_static_selectorELNS0_4arch9wavefront6targetE0EEEvSG_.kd
    .uniform_work_group_size: 1
    .uses_dynamic_stack: false
    .vgpr_count:     38
    .vgpr_spill_count: 0
    .wavefront_size: 32
    .workgroup_processor_mode: 1
  - .args:           []
    .group_segment_fixed_size: 0
    .kernarg_segment_align: 4
    .kernarg_segment_size: 0
    .language:       OpenCL C
    .language_version:
      - 2
      - 0
    .max_flat_workgroup_size: 1024
    .name:           _ZN7rocprim17ROCPRIM_400000_NS6detail44device_merge_sort_compile_time_verifier_archINS1_11comp_targetILNS1_3genE0ELNS1_11target_archE4294967295ELNS1_3gpuE0ELNS1_3repE0EEES8_NS1_28merge_sort_block_sort_configILj256ELj4ELNS0_20block_sort_algorithmE0EEENS0_14default_configENS1_37merge_sort_block_sort_config_selectorIiNS0_10empty_typeEEENS1_38merge_sort_block_merge_config_selectorIiSE_EEEEvv
    .private_segment_fixed_size: 0
    .sgpr_count:     0
    .sgpr_spill_count: 0
    .symbol:         _ZN7rocprim17ROCPRIM_400000_NS6detail44device_merge_sort_compile_time_verifier_archINS1_11comp_targetILNS1_3genE0ELNS1_11target_archE4294967295ELNS1_3gpuE0ELNS1_3repE0EEES8_NS1_28merge_sort_block_sort_configILj256ELj4ELNS0_20block_sort_algorithmE0EEENS0_14default_configENS1_37merge_sort_block_sort_config_selectorIiNS0_10empty_typeEEENS1_38merge_sort_block_merge_config_selectorIiSE_EEEEvv.kd
    .uniform_work_group_size: 1
    .uses_dynamic_stack: false
    .vgpr_count:     0
    .vgpr_spill_count: 0
    .wavefront_size: 32
    .workgroup_processor_mode: 1
  - .args:           []
    .group_segment_fixed_size: 0
    .kernarg_segment_align: 4
    .kernarg_segment_size: 0
    .language:       OpenCL C
    .language_version:
      - 2
      - 0
    .max_flat_workgroup_size: 1024
    .name:           _ZN7rocprim17ROCPRIM_400000_NS6detail44device_merge_sort_compile_time_verifier_archINS1_11comp_targetILNS1_3genE5ELNS1_11target_archE942ELNS1_3gpuE9ELNS1_3repE0EEES8_NS1_28merge_sort_block_sort_configILj256ELj4ELNS0_20block_sort_algorithmE0EEENS0_14default_configENS1_37merge_sort_block_sort_config_selectorIiNS0_10empty_typeEEENS1_38merge_sort_block_merge_config_selectorIiSE_EEEEvv
    .private_segment_fixed_size: 0
    .sgpr_count:     0
    .sgpr_spill_count: 0
    .symbol:         _ZN7rocprim17ROCPRIM_400000_NS6detail44device_merge_sort_compile_time_verifier_archINS1_11comp_targetILNS1_3genE5ELNS1_11target_archE942ELNS1_3gpuE9ELNS1_3repE0EEES8_NS1_28merge_sort_block_sort_configILj256ELj4ELNS0_20block_sort_algorithmE0EEENS0_14default_configENS1_37merge_sort_block_sort_config_selectorIiNS0_10empty_typeEEENS1_38merge_sort_block_merge_config_selectorIiSE_EEEEvv.kd
    .uniform_work_group_size: 1
    .uses_dynamic_stack: false
    .vgpr_count:     0
    .vgpr_spill_count: 0
    .wavefront_size: 32
    .workgroup_processor_mode: 1
  - .args:           []
    .group_segment_fixed_size: 0
    .kernarg_segment_align: 4
    .kernarg_segment_size: 0
    .language:       OpenCL C
    .language_version:
      - 2
      - 0
    .max_flat_workgroup_size: 1024
    .name:           _ZN7rocprim17ROCPRIM_400000_NS6detail44device_merge_sort_compile_time_verifier_archINS1_11comp_targetILNS1_3genE4ELNS1_11target_archE910ELNS1_3gpuE8ELNS1_3repE0EEES8_NS1_28merge_sort_block_sort_configILj256ELj4ELNS0_20block_sort_algorithmE0EEENS0_14default_configENS1_37merge_sort_block_sort_config_selectorIiNS0_10empty_typeEEENS1_38merge_sort_block_merge_config_selectorIiSE_EEEEvv
    .private_segment_fixed_size: 0
    .sgpr_count:     0
    .sgpr_spill_count: 0
    .symbol:         _ZN7rocprim17ROCPRIM_400000_NS6detail44device_merge_sort_compile_time_verifier_archINS1_11comp_targetILNS1_3genE4ELNS1_11target_archE910ELNS1_3gpuE8ELNS1_3repE0EEES8_NS1_28merge_sort_block_sort_configILj256ELj4ELNS0_20block_sort_algorithmE0EEENS0_14default_configENS1_37merge_sort_block_sort_config_selectorIiNS0_10empty_typeEEENS1_38merge_sort_block_merge_config_selectorIiSE_EEEEvv.kd
    .uniform_work_group_size: 1
    .uses_dynamic_stack: false
    .vgpr_count:     0
    .vgpr_spill_count: 0
    .wavefront_size: 32
    .workgroup_processor_mode: 1
  - .args:           []
    .group_segment_fixed_size: 0
    .kernarg_segment_align: 4
    .kernarg_segment_size: 0
    .language:       OpenCL C
    .language_version:
      - 2
      - 0
    .max_flat_workgroup_size: 1024
    .name:           _ZN7rocprim17ROCPRIM_400000_NS6detail44device_merge_sort_compile_time_verifier_archINS1_11comp_targetILNS1_3genE3ELNS1_11target_archE908ELNS1_3gpuE7ELNS1_3repE0EEES8_NS1_28merge_sort_block_sort_configILj256ELj4ELNS0_20block_sort_algorithmE0EEENS0_14default_configENS1_37merge_sort_block_sort_config_selectorIiNS0_10empty_typeEEENS1_38merge_sort_block_merge_config_selectorIiSE_EEEEvv
    .private_segment_fixed_size: 0
    .sgpr_count:     0
    .sgpr_spill_count: 0
    .symbol:         _ZN7rocprim17ROCPRIM_400000_NS6detail44device_merge_sort_compile_time_verifier_archINS1_11comp_targetILNS1_3genE3ELNS1_11target_archE908ELNS1_3gpuE7ELNS1_3repE0EEES8_NS1_28merge_sort_block_sort_configILj256ELj4ELNS0_20block_sort_algorithmE0EEENS0_14default_configENS1_37merge_sort_block_sort_config_selectorIiNS0_10empty_typeEEENS1_38merge_sort_block_merge_config_selectorIiSE_EEEEvv.kd
    .uniform_work_group_size: 1
    .uses_dynamic_stack: false
    .vgpr_count:     0
    .vgpr_spill_count: 0
    .wavefront_size: 32
    .workgroup_processor_mode: 1
  - .args:           []
    .group_segment_fixed_size: 0
    .kernarg_segment_align: 4
    .kernarg_segment_size: 0
    .language:       OpenCL C
    .language_version:
      - 2
      - 0
    .max_flat_workgroup_size: 1024
    .name:           _ZN7rocprim17ROCPRIM_400000_NS6detail44device_merge_sort_compile_time_verifier_archINS1_11comp_targetILNS1_3genE2ELNS1_11target_archE906ELNS1_3gpuE6ELNS1_3repE0EEES8_NS1_28merge_sort_block_sort_configILj256ELj4ELNS0_20block_sort_algorithmE0EEENS0_14default_configENS1_37merge_sort_block_sort_config_selectorIiNS0_10empty_typeEEENS1_38merge_sort_block_merge_config_selectorIiSE_EEEEvv
    .private_segment_fixed_size: 0
    .sgpr_count:     0
    .sgpr_spill_count: 0
    .symbol:         _ZN7rocprim17ROCPRIM_400000_NS6detail44device_merge_sort_compile_time_verifier_archINS1_11comp_targetILNS1_3genE2ELNS1_11target_archE906ELNS1_3gpuE6ELNS1_3repE0EEES8_NS1_28merge_sort_block_sort_configILj256ELj4ELNS0_20block_sort_algorithmE0EEENS0_14default_configENS1_37merge_sort_block_sort_config_selectorIiNS0_10empty_typeEEENS1_38merge_sort_block_merge_config_selectorIiSE_EEEEvv.kd
    .uniform_work_group_size: 1
    .uses_dynamic_stack: false
    .vgpr_count:     0
    .vgpr_spill_count: 0
    .wavefront_size: 32
    .workgroup_processor_mode: 1
  - .args:           []
    .group_segment_fixed_size: 0
    .kernarg_segment_align: 4
    .kernarg_segment_size: 0
    .language:       OpenCL C
    .language_version:
      - 2
      - 0
    .max_flat_workgroup_size: 1024
    .name:           _ZN7rocprim17ROCPRIM_400000_NS6detail44device_merge_sort_compile_time_verifier_archINS1_11comp_targetILNS1_3genE10ELNS1_11target_archE1201ELNS1_3gpuE5ELNS1_3repE0EEES8_NS1_28merge_sort_block_sort_configILj256ELj4ELNS0_20block_sort_algorithmE0EEENS0_14default_configENS1_37merge_sort_block_sort_config_selectorIiNS0_10empty_typeEEENS1_38merge_sort_block_merge_config_selectorIiSE_EEEEvv
    .private_segment_fixed_size: 0
    .sgpr_count:     0
    .sgpr_spill_count: 0
    .symbol:         _ZN7rocprim17ROCPRIM_400000_NS6detail44device_merge_sort_compile_time_verifier_archINS1_11comp_targetILNS1_3genE10ELNS1_11target_archE1201ELNS1_3gpuE5ELNS1_3repE0EEES8_NS1_28merge_sort_block_sort_configILj256ELj4ELNS0_20block_sort_algorithmE0EEENS0_14default_configENS1_37merge_sort_block_sort_config_selectorIiNS0_10empty_typeEEENS1_38merge_sort_block_merge_config_selectorIiSE_EEEEvv.kd
    .uniform_work_group_size: 1
    .uses_dynamic_stack: false
    .vgpr_count:     0
    .vgpr_spill_count: 0
    .wavefront_size: 32
    .workgroup_processor_mode: 1
  - .args:           []
    .group_segment_fixed_size: 0
    .kernarg_segment_align: 4
    .kernarg_segment_size: 0
    .language:       OpenCL C
    .language_version:
      - 2
      - 0
    .max_flat_workgroup_size: 1024
    .name:           _ZN7rocprim17ROCPRIM_400000_NS6detail44device_merge_sort_compile_time_verifier_archINS1_11comp_targetILNS1_3genE10ELNS1_11target_archE1200ELNS1_3gpuE4ELNS1_3repE0EEENS3_ILS4_10ELS5_1201ELS6_5ELS7_0EEENS1_28merge_sort_block_sort_configILj256ELj4ELNS0_20block_sort_algorithmE0EEENS0_14default_configENS1_37merge_sort_block_sort_config_selectorIiNS0_10empty_typeEEENS1_38merge_sort_block_merge_config_selectorIiSF_EEEEvv
    .private_segment_fixed_size: 0
    .sgpr_count:     0
    .sgpr_spill_count: 0
    .symbol:         _ZN7rocprim17ROCPRIM_400000_NS6detail44device_merge_sort_compile_time_verifier_archINS1_11comp_targetILNS1_3genE10ELNS1_11target_archE1200ELNS1_3gpuE4ELNS1_3repE0EEENS3_ILS4_10ELS5_1201ELS6_5ELS7_0EEENS1_28merge_sort_block_sort_configILj256ELj4ELNS0_20block_sort_algorithmE0EEENS0_14default_configENS1_37merge_sort_block_sort_config_selectorIiNS0_10empty_typeEEENS1_38merge_sort_block_merge_config_selectorIiSF_EEEEvv.kd
    .uniform_work_group_size: 1
    .uses_dynamic_stack: false
    .vgpr_count:     0
    .vgpr_spill_count: 0
    .wavefront_size: 32
    .workgroup_processor_mode: 1
  - .args:           []
    .group_segment_fixed_size: 0
    .kernarg_segment_align: 4
    .kernarg_segment_size: 0
    .language:       OpenCL C
    .language_version:
      - 2
      - 0
    .max_flat_workgroup_size: 1024
    .name:           _ZN7rocprim17ROCPRIM_400000_NS6detail44device_merge_sort_compile_time_verifier_archINS1_11comp_targetILNS1_3genE9ELNS1_11target_archE1100ELNS1_3gpuE3ELNS1_3repE0EEES8_NS1_28merge_sort_block_sort_configILj256ELj4ELNS0_20block_sort_algorithmE0EEENS0_14default_configENS1_37merge_sort_block_sort_config_selectorIiNS0_10empty_typeEEENS1_38merge_sort_block_merge_config_selectorIiSE_EEEEvv
    .private_segment_fixed_size: 0
    .sgpr_count:     0
    .sgpr_spill_count: 0
    .symbol:         _ZN7rocprim17ROCPRIM_400000_NS6detail44device_merge_sort_compile_time_verifier_archINS1_11comp_targetILNS1_3genE9ELNS1_11target_archE1100ELNS1_3gpuE3ELNS1_3repE0EEES8_NS1_28merge_sort_block_sort_configILj256ELj4ELNS0_20block_sort_algorithmE0EEENS0_14default_configENS1_37merge_sort_block_sort_config_selectorIiNS0_10empty_typeEEENS1_38merge_sort_block_merge_config_selectorIiSE_EEEEvv.kd
    .uniform_work_group_size: 1
    .uses_dynamic_stack: false
    .vgpr_count:     0
    .vgpr_spill_count: 0
    .wavefront_size: 32
    .workgroup_processor_mode: 1
  - .args:           []
    .group_segment_fixed_size: 0
    .kernarg_segment_align: 4
    .kernarg_segment_size: 0
    .language:       OpenCL C
    .language_version:
      - 2
      - 0
    .max_flat_workgroup_size: 1024
    .name:           _ZN7rocprim17ROCPRIM_400000_NS6detail44device_merge_sort_compile_time_verifier_archINS1_11comp_targetILNS1_3genE8ELNS1_11target_archE1030ELNS1_3gpuE2ELNS1_3repE0EEES8_NS1_28merge_sort_block_sort_configILj256ELj4ELNS0_20block_sort_algorithmE0EEENS0_14default_configENS1_37merge_sort_block_sort_config_selectorIiNS0_10empty_typeEEENS1_38merge_sort_block_merge_config_selectorIiSE_EEEEvv
    .private_segment_fixed_size: 0
    .sgpr_count:     0
    .sgpr_spill_count: 0
    .symbol:         _ZN7rocprim17ROCPRIM_400000_NS6detail44device_merge_sort_compile_time_verifier_archINS1_11comp_targetILNS1_3genE8ELNS1_11target_archE1030ELNS1_3gpuE2ELNS1_3repE0EEES8_NS1_28merge_sort_block_sort_configILj256ELj4ELNS0_20block_sort_algorithmE0EEENS0_14default_configENS1_37merge_sort_block_sort_config_selectorIiNS0_10empty_typeEEENS1_38merge_sort_block_merge_config_selectorIiSE_EEEEvv.kd
    .uniform_work_group_size: 1
    .uses_dynamic_stack: false
    .vgpr_count:     0
    .vgpr_spill_count: 0
    .wavefront_size: 32
    .workgroup_processor_mode: 1
  - .args:
      - .offset:         0
        .size:           40
        .value_kind:     by_value
    .group_segment_fixed_size: 0
    .kernarg_segment_align: 8
    .kernarg_segment_size: 40
    .language:       OpenCL C
    .language_version:
      - 2
      - 0
    .max_flat_workgroup_size: 128
    .name:           _ZN7rocprim17ROCPRIM_400000_NS6detail17trampoline_kernelINS0_14default_configENS1_38merge_sort_block_merge_config_selectorIiNS0_10empty_typeEEEZZNS1_27merge_sort_block_merge_implIS3_N6thrust23THRUST_200600_302600_NS10device_ptrIiEEPS5_jNS1_19radix_merge_compareILb0ELb0EiNS0_19identity_decomposerEEEEE10hipError_tT0_T1_T2_jT3_P12ihipStream_tbPNSt15iterator_traitsISH_E10value_typeEPNSN_ISI_E10value_typeEPSJ_NS1_7vsmem_tEENKUlT_SH_SI_SJ_E_clIPiSB_SC_SC_EESG_SW_SH_SI_SJ_EUlSW_E_NS1_11comp_targetILNS1_3genE0ELNS1_11target_archE4294967295ELNS1_3gpuE0ELNS1_3repE0EEENS1_48merge_mergepath_partition_config_static_selectorELNS0_4arch9wavefront6targetE0EEEvSI_
    .private_segment_fixed_size: 0
    .sgpr_count:     0
    .sgpr_spill_count: 0
    .symbol:         _ZN7rocprim17ROCPRIM_400000_NS6detail17trampoline_kernelINS0_14default_configENS1_38merge_sort_block_merge_config_selectorIiNS0_10empty_typeEEEZZNS1_27merge_sort_block_merge_implIS3_N6thrust23THRUST_200600_302600_NS10device_ptrIiEEPS5_jNS1_19radix_merge_compareILb0ELb0EiNS0_19identity_decomposerEEEEE10hipError_tT0_T1_T2_jT3_P12ihipStream_tbPNSt15iterator_traitsISH_E10value_typeEPNSN_ISI_E10value_typeEPSJ_NS1_7vsmem_tEENKUlT_SH_SI_SJ_E_clIPiSB_SC_SC_EESG_SW_SH_SI_SJ_EUlSW_E_NS1_11comp_targetILNS1_3genE0ELNS1_11target_archE4294967295ELNS1_3gpuE0ELNS1_3repE0EEENS1_48merge_mergepath_partition_config_static_selectorELNS0_4arch9wavefront6targetE0EEEvSI_.kd
    .uniform_work_group_size: 1
    .uses_dynamic_stack: false
    .vgpr_count:     0
    .vgpr_spill_count: 0
    .wavefront_size: 32
    .workgroup_processor_mode: 1
  - .args:
      - .offset:         0
        .size:           40
        .value_kind:     by_value
    .group_segment_fixed_size: 0
    .kernarg_segment_align: 8
    .kernarg_segment_size: 40
    .language:       OpenCL C
    .language_version:
      - 2
      - 0
    .max_flat_workgroup_size: 128
    .name:           _ZN7rocprim17ROCPRIM_400000_NS6detail17trampoline_kernelINS0_14default_configENS1_38merge_sort_block_merge_config_selectorIiNS0_10empty_typeEEEZZNS1_27merge_sort_block_merge_implIS3_N6thrust23THRUST_200600_302600_NS10device_ptrIiEEPS5_jNS1_19radix_merge_compareILb0ELb0EiNS0_19identity_decomposerEEEEE10hipError_tT0_T1_T2_jT3_P12ihipStream_tbPNSt15iterator_traitsISH_E10value_typeEPNSN_ISI_E10value_typeEPSJ_NS1_7vsmem_tEENKUlT_SH_SI_SJ_E_clIPiSB_SC_SC_EESG_SW_SH_SI_SJ_EUlSW_E_NS1_11comp_targetILNS1_3genE10ELNS1_11target_archE1201ELNS1_3gpuE5ELNS1_3repE0EEENS1_48merge_mergepath_partition_config_static_selectorELNS0_4arch9wavefront6targetE0EEEvSI_
    .private_segment_fixed_size: 0
    .sgpr_count:     0
    .sgpr_spill_count: 0
    .symbol:         _ZN7rocprim17ROCPRIM_400000_NS6detail17trampoline_kernelINS0_14default_configENS1_38merge_sort_block_merge_config_selectorIiNS0_10empty_typeEEEZZNS1_27merge_sort_block_merge_implIS3_N6thrust23THRUST_200600_302600_NS10device_ptrIiEEPS5_jNS1_19radix_merge_compareILb0ELb0EiNS0_19identity_decomposerEEEEE10hipError_tT0_T1_T2_jT3_P12ihipStream_tbPNSt15iterator_traitsISH_E10value_typeEPNSN_ISI_E10value_typeEPSJ_NS1_7vsmem_tEENKUlT_SH_SI_SJ_E_clIPiSB_SC_SC_EESG_SW_SH_SI_SJ_EUlSW_E_NS1_11comp_targetILNS1_3genE10ELNS1_11target_archE1201ELNS1_3gpuE5ELNS1_3repE0EEENS1_48merge_mergepath_partition_config_static_selectorELNS0_4arch9wavefront6targetE0EEEvSI_.kd
    .uniform_work_group_size: 1
    .uses_dynamic_stack: false
    .vgpr_count:     0
    .vgpr_spill_count: 0
    .wavefront_size: 32
    .workgroup_processor_mode: 1
  - .args:
      - .offset:         0
        .size:           40
        .value_kind:     by_value
    .group_segment_fixed_size: 0
    .kernarg_segment_align: 8
    .kernarg_segment_size: 40
    .language:       OpenCL C
    .language_version:
      - 2
      - 0
    .max_flat_workgroup_size: 128
    .name:           _ZN7rocprim17ROCPRIM_400000_NS6detail17trampoline_kernelINS0_14default_configENS1_38merge_sort_block_merge_config_selectorIiNS0_10empty_typeEEEZZNS1_27merge_sort_block_merge_implIS3_N6thrust23THRUST_200600_302600_NS10device_ptrIiEEPS5_jNS1_19radix_merge_compareILb0ELb0EiNS0_19identity_decomposerEEEEE10hipError_tT0_T1_T2_jT3_P12ihipStream_tbPNSt15iterator_traitsISH_E10value_typeEPNSN_ISI_E10value_typeEPSJ_NS1_7vsmem_tEENKUlT_SH_SI_SJ_E_clIPiSB_SC_SC_EESG_SW_SH_SI_SJ_EUlSW_E_NS1_11comp_targetILNS1_3genE5ELNS1_11target_archE942ELNS1_3gpuE9ELNS1_3repE0EEENS1_48merge_mergepath_partition_config_static_selectorELNS0_4arch9wavefront6targetE0EEEvSI_
    .private_segment_fixed_size: 0
    .sgpr_count:     0
    .sgpr_spill_count: 0
    .symbol:         _ZN7rocprim17ROCPRIM_400000_NS6detail17trampoline_kernelINS0_14default_configENS1_38merge_sort_block_merge_config_selectorIiNS0_10empty_typeEEEZZNS1_27merge_sort_block_merge_implIS3_N6thrust23THRUST_200600_302600_NS10device_ptrIiEEPS5_jNS1_19radix_merge_compareILb0ELb0EiNS0_19identity_decomposerEEEEE10hipError_tT0_T1_T2_jT3_P12ihipStream_tbPNSt15iterator_traitsISH_E10value_typeEPNSN_ISI_E10value_typeEPSJ_NS1_7vsmem_tEENKUlT_SH_SI_SJ_E_clIPiSB_SC_SC_EESG_SW_SH_SI_SJ_EUlSW_E_NS1_11comp_targetILNS1_3genE5ELNS1_11target_archE942ELNS1_3gpuE9ELNS1_3repE0EEENS1_48merge_mergepath_partition_config_static_selectorELNS0_4arch9wavefront6targetE0EEEvSI_.kd
    .uniform_work_group_size: 1
    .uses_dynamic_stack: false
    .vgpr_count:     0
    .vgpr_spill_count: 0
    .wavefront_size: 32
    .workgroup_processor_mode: 1
  - .args:
      - .offset:         0
        .size:           40
        .value_kind:     by_value
    .group_segment_fixed_size: 0
    .kernarg_segment_align: 8
    .kernarg_segment_size: 40
    .language:       OpenCL C
    .language_version:
      - 2
      - 0
    .max_flat_workgroup_size: 128
    .name:           _ZN7rocprim17ROCPRIM_400000_NS6detail17trampoline_kernelINS0_14default_configENS1_38merge_sort_block_merge_config_selectorIiNS0_10empty_typeEEEZZNS1_27merge_sort_block_merge_implIS3_N6thrust23THRUST_200600_302600_NS10device_ptrIiEEPS5_jNS1_19radix_merge_compareILb0ELb0EiNS0_19identity_decomposerEEEEE10hipError_tT0_T1_T2_jT3_P12ihipStream_tbPNSt15iterator_traitsISH_E10value_typeEPNSN_ISI_E10value_typeEPSJ_NS1_7vsmem_tEENKUlT_SH_SI_SJ_E_clIPiSB_SC_SC_EESG_SW_SH_SI_SJ_EUlSW_E_NS1_11comp_targetILNS1_3genE4ELNS1_11target_archE910ELNS1_3gpuE8ELNS1_3repE0EEENS1_48merge_mergepath_partition_config_static_selectorELNS0_4arch9wavefront6targetE0EEEvSI_
    .private_segment_fixed_size: 0
    .sgpr_count:     0
    .sgpr_spill_count: 0
    .symbol:         _ZN7rocprim17ROCPRIM_400000_NS6detail17trampoline_kernelINS0_14default_configENS1_38merge_sort_block_merge_config_selectorIiNS0_10empty_typeEEEZZNS1_27merge_sort_block_merge_implIS3_N6thrust23THRUST_200600_302600_NS10device_ptrIiEEPS5_jNS1_19radix_merge_compareILb0ELb0EiNS0_19identity_decomposerEEEEE10hipError_tT0_T1_T2_jT3_P12ihipStream_tbPNSt15iterator_traitsISH_E10value_typeEPNSN_ISI_E10value_typeEPSJ_NS1_7vsmem_tEENKUlT_SH_SI_SJ_E_clIPiSB_SC_SC_EESG_SW_SH_SI_SJ_EUlSW_E_NS1_11comp_targetILNS1_3genE4ELNS1_11target_archE910ELNS1_3gpuE8ELNS1_3repE0EEENS1_48merge_mergepath_partition_config_static_selectorELNS0_4arch9wavefront6targetE0EEEvSI_.kd
    .uniform_work_group_size: 1
    .uses_dynamic_stack: false
    .vgpr_count:     0
    .vgpr_spill_count: 0
    .wavefront_size: 32
    .workgroup_processor_mode: 1
  - .args:
      - .offset:         0
        .size:           40
        .value_kind:     by_value
    .group_segment_fixed_size: 0
    .kernarg_segment_align: 8
    .kernarg_segment_size: 40
    .language:       OpenCL C
    .language_version:
      - 2
      - 0
    .max_flat_workgroup_size: 128
    .name:           _ZN7rocprim17ROCPRIM_400000_NS6detail17trampoline_kernelINS0_14default_configENS1_38merge_sort_block_merge_config_selectorIiNS0_10empty_typeEEEZZNS1_27merge_sort_block_merge_implIS3_N6thrust23THRUST_200600_302600_NS10device_ptrIiEEPS5_jNS1_19radix_merge_compareILb0ELb0EiNS0_19identity_decomposerEEEEE10hipError_tT0_T1_T2_jT3_P12ihipStream_tbPNSt15iterator_traitsISH_E10value_typeEPNSN_ISI_E10value_typeEPSJ_NS1_7vsmem_tEENKUlT_SH_SI_SJ_E_clIPiSB_SC_SC_EESG_SW_SH_SI_SJ_EUlSW_E_NS1_11comp_targetILNS1_3genE3ELNS1_11target_archE908ELNS1_3gpuE7ELNS1_3repE0EEENS1_48merge_mergepath_partition_config_static_selectorELNS0_4arch9wavefront6targetE0EEEvSI_
    .private_segment_fixed_size: 0
    .sgpr_count:     0
    .sgpr_spill_count: 0
    .symbol:         _ZN7rocprim17ROCPRIM_400000_NS6detail17trampoline_kernelINS0_14default_configENS1_38merge_sort_block_merge_config_selectorIiNS0_10empty_typeEEEZZNS1_27merge_sort_block_merge_implIS3_N6thrust23THRUST_200600_302600_NS10device_ptrIiEEPS5_jNS1_19radix_merge_compareILb0ELb0EiNS0_19identity_decomposerEEEEE10hipError_tT0_T1_T2_jT3_P12ihipStream_tbPNSt15iterator_traitsISH_E10value_typeEPNSN_ISI_E10value_typeEPSJ_NS1_7vsmem_tEENKUlT_SH_SI_SJ_E_clIPiSB_SC_SC_EESG_SW_SH_SI_SJ_EUlSW_E_NS1_11comp_targetILNS1_3genE3ELNS1_11target_archE908ELNS1_3gpuE7ELNS1_3repE0EEENS1_48merge_mergepath_partition_config_static_selectorELNS0_4arch9wavefront6targetE0EEEvSI_.kd
    .uniform_work_group_size: 1
    .uses_dynamic_stack: false
    .vgpr_count:     0
    .vgpr_spill_count: 0
    .wavefront_size: 32
    .workgroup_processor_mode: 1
  - .args:
      - .offset:         0
        .size:           40
        .value_kind:     by_value
    .group_segment_fixed_size: 0
    .kernarg_segment_align: 8
    .kernarg_segment_size: 40
    .language:       OpenCL C
    .language_version:
      - 2
      - 0
    .max_flat_workgroup_size: 128
    .name:           _ZN7rocprim17ROCPRIM_400000_NS6detail17trampoline_kernelINS0_14default_configENS1_38merge_sort_block_merge_config_selectorIiNS0_10empty_typeEEEZZNS1_27merge_sort_block_merge_implIS3_N6thrust23THRUST_200600_302600_NS10device_ptrIiEEPS5_jNS1_19radix_merge_compareILb0ELb0EiNS0_19identity_decomposerEEEEE10hipError_tT0_T1_T2_jT3_P12ihipStream_tbPNSt15iterator_traitsISH_E10value_typeEPNSN_ISI_E10value_typeEPSJ_NS1_7vsmem_tEENKUlT_SH_SI_SJ_E_clIPiSB_SC_SC_EESG_SW_SH_SI_SJ_EUlSW_E_NS1_11comp_targetILNS1_3genE2ELNS1_11target_archE906ELNS1_3gpuE6ELNS1_3repE0EEENS1_48merge_mergepath_partition_config_static_selectorELNS0_4arch9wavefront6targetE0EEEvSI_
    .private_segment_fixed_size: 0
    .sgpr_count:     0
    .sgpr_spill_count: 0
    .symbol:         _ZN7rocprim17ROCPRIM_400000_NS6detail17trampoline_kernelINS0_14default_configENS1_38merge_sort_block_merge_config_selectorIiNS0_10empty_typeEEEZZNS1_27merge_sort_block_merge_implIS3_N6thrust23THRUST_200600_302600_NS10device_ptrIiEEPS5_jNS1_19radix_merge_compareILb0ELb0EiNS0_19identity_decomposerEEEEE10hipError_tT0_T1_T2_jT3_P12ihipStream_tbPNSt15iterator_traitsISH_E10value_typeEPNSN_ISI_E10value_typeEPSJ_NS1_7vsmem_tEENKUlT_SH_SI_SJ_E_clIPiSB_SC_SC_EESG_SW_SH_SI_SJ_EUlSW_E_NS1_11comp_targetILNS1_3genE2ELNS1_11target_archE906ELNS1_3gpuE6ELNS1_3repE0EEENS1_48merge_mergepath_partition_config_static_selectorELNS0_4arch9wavefront6targetE0EEEvSI_.kd
    .uniform_work_group_size: 1
    .uses_dynamic_stack: false
    .vgpr_count:     0
    .vgpr_spill_count: 0
    .wavefront_size: 32
    .workgroup_processor_mode: 1
  - .args:
      - .offset:         0
        .size:           40
        .value_kind:     by_value
    .group_segment_fixed_size: 0
    .kernarg_segment_align: 8
    .kernarg_segment_size: 40
    .language:       OpenCL C
    .language_version:
      - 2
      - 0
    .max_flat_workgroup_size: 128
    .name:           _ZN7rocprim17ROCPRIM_400000_NS6detail17trampoline_kernelINS0_14default_configENS1_38merge_sort_block_merge_config_selectorIiNS0_10empty_typeEEEZZNS1_27merge_sort_block_merge_implIS3_N6thrust23THRUST_200600_302600_NS10device_ptrIiEEPS5_jNS1_19radix_merge_compareILb0ELb0EiNS0_19identity_decomposerEEEEE10hipError_tT0_T1_T2_jT3_P12ihipStream_tbPNSt15iterator_traitsISH_E10value_typeEPNSN_ISI_E10value_typeEPSJ_NS1_7vsmem_tEENKUlT_SH_SI_SJ_E_clIPiSB_SC_SC_EESG_SW_SH_SI_SJ_EUlSW_E_NS1_11comp_targetILNS1_3genE9ELNS1_11target_archE1100ELNS1_3gpuE3ELNS1_3repE0EEENS1_48merge_mergepath_partition_config_static_selectorELNS0_4arch9wavefront6targetE0EEEvSI_
    .private_segment_fixed_size: 0
    .sgpr_count:     0
    .sgpr_spill_count: 0
    .symbol:         _ZN7rocprim17ROCPRIM_400000_NS6detail17trampoline_kernelINS0_14default_configENS1_38merge_sort_block_merge_config_selectorIiNS0_10empty_typeEEEZZNS1_27merge_sort_block_merge_implIS3_N6thrust23THRUST_200600_302600_NS10device_ptrIiEEPS5_jNS1_19radix_merge_compareILb0ELb0EiNS0_19identity_decomposerEEEEE10hipError_tT0_T1_T2_jT3_P12ihipStream_tbPNSt15iterator_traitsISH_E10value_typeEPNSN_ISI_E10value_typeEPSJ_NS1_7vsmem_tEENKUlT_SH_SI_SJ_E_clIPiSB_SC_SC_EESG_SW_SH_SI_SJ_EUlSW_E_NS1_11comp_targetILNS1_3genE9ELNS1_11target_archE1100ELNS1_3gpuE3ELNS1_3repE0EEENS1_48merge_mergepath_partition_config_static_selectorELNS0_4arch9wavefront6targetE0EEEvSI_.kd
    .uniform_work_group_size: 1
    .uses_dynamic_stack: false
    .vgpr_count:     0
    .vgpr_spill_count: 0
    .wavefront_size: 32
    .workgroup_processor_mode: 1
  - .args:
      - .offset:         0
        .size:           40
        .value_kind:     by_value
    .group_segment_fixed_size: 0
    .kernarg_segment_align: 8
    .kernarg_segment_size: 40
    .language:       OpenCL C
    .language_version:
      - 2
      - 0
    .max_flat_workgroup_size: 128
    .name:           _ZN7rocprim17ROCPRIM_400000_NS6detail17trampoline_kernelINS0_14default_configENS1_38merge_sort_block_merge_config_selectorIiNS0_10empty_typeEEEZZNS1_27merge_sort_block_merge_implIS3_N6thrust23THRUST_200600_302600_NS10device_ptrIiEEPS5_jNS1_19radix_merge_compareILb0ELb0EiNS0_19identity_decomposerEEEEE10hipError_tT0_T1_T2_jT3_P12ihipStream_tbPNSt15iterator_traitsISH_E10value_typeEPNSN_ISI_E10value_typeEPSJ_NS1_7vsmem_tEENKUlT_SH_SI_SJ_E_clIPiSB_SC_SC_EESG_SW_SH_SI_SJ_EUlSW_E_NS1_11comp_targetILNS1_3genE8ELNS1_11target_archE1030ELNS1_3gpuE2ELNS1_3repE0EEENS1_48merge_mergepath_partition_config_static_selectorELNS0_4arch9wavefront6targetE0EEEvSI_
    .private_segment_fixed_size: 0
    .sgpr_count:     9
    .sgpr_spill_count: 0
    .symbol:         _ZN7rocprim17ROCPRIM_400000_NS6detail17trampoline_kernelINS0_14default_configENS1_38merge_sort_block_merge_config_selectorIiNS0_10empty_typeEEEZZNS1_27merge_sort_block_merge_implIS3_N6thrust23THRUST_200600_302600_NS10device_ptrIiEEPS5_jNS1_19radix_merge_compareILb0ELb0EiNS0_19identity_decomposerEEEEE10hipError_tT0_T1_T2_jT3_P12ihipStream_tbPNSt15iterator_traitsISH_E10value_typeEPNSN_ISI_E10value_typeEPSJ_NS1_7vsmem_tEENKUlT_SH_SI_SJ_E_clIPiSB_SC_SC_EESG_SW_SH_SI_SJ_EUlSW_E_NS1_11comp_targetILNS1_3genE8ELNS1_11target_archE1030ELNS1_3gpuE2ELNS1_3repE0EEENS1_48merge_mergepath_partition_config_static_selectorELNS0_4arch9wavefront6targetE0EEEvSI_.kd
    .uniform_work_group_size: 1
    .uses_dynamic_stack: false
    .vgpr_count:     15
    .vgpr_spill_count: 0
    .wavefront_size: 32
    .workgroup_processor_mode: 1
  - .args:
      - .offset:         0
        .size:           64
        .value_kind:     by_value
    .group_segment_fixed_size: 0
    .kernarg_segment_align: 8
    .kernarg_segment_size: 64
    .language:       OpenCL C
    .language_version:
      - 2
      - 0
    .max_flat_workgroup_size: 128
    .name:           _ZN7rocprim17ROCPRIM_400000_NS6detail17trampoline_kernelINS0_14default_configENS1_38merge_sort_block_merge_config_selectorIiNS0_10empty_typeEEEZZNS1_27merge_sort_block_merge_implIS3_N6thrust23THRUST_200600_302600_NS10device_ptrIiEEPS5_jNS1_19radix_merge_compareILb0ELb0EiNS0_19identity_decomposerEEEEE10hipError_tT0_T1_T2_jT3_P12ihipStream_tbPNSt15iterator_traitsISH_E10value_typeEPNSN_ISI_E10value_typeEPSJ_NS1_7vsmem_tEENKUlT_SH_SI_SJ_E_clIPiSB_SC_SC_EESG_SW_SH_SI_SJ_EUlSW_E0_NS1_11comp_targetILNS1_3genE0ELNS1_11target_archE4294967295ELNS1_3gpuE0ELNS1_3repE0EEENS1_38merge_mergepath_config_static_selectorELNS0_4arch9wavefront6targetE0EEEvSI_
    .private_segment_fixed_size: 0
    .sgpr_count:     0
    .sgpr_spill_count: 0
    .symbol:         _ZN7rocprim17ROCPRIM_400000_NS6detail17trampoline_kernelINS0_14default_configENS1_38merge_sort_block_merge_config_selectorIiNS0_10empty_typeEEEZZNS1_27merge_sort_block_merge_implIS3_N6thrust23THRUST_200600_302600_NS10device_ptrIiEEPS5_jNS1_19radix_merge_compareILb0ELb0EiNS0_19identity_decomposerEEEEE10hipError_tT0_T1_T2_jT3_P12ihipStream_tbPNSt15iterator_traitsISH_E10value_typeEPNSN_ISI_E10value_typeEPSJ_NS1_7vsmem_tEENKUlT_SH_SI_SJ_E_clIPiSB_SC_SC_EESG_SW_SH_SI_SJ_EUlSW_E0_NS1_11comp_targetILNS1_3genE0ELNS1_11target_archE4294967295ELNS1_3gpuE0ELNS1_3repE0EEENS1_38merge_mergepath_config_static_selectorELNS0_4arch9wavefront6targetE0EEEvSI_.kd
    .uniform_work_group_size: 1
    .uses_dynamic_stack: false
    .vgpr_count:     0
    .vgpr_spill_count: 0
    .wavefront_size: 32
    .workgroup_processor_mode: 1
  - .args:
      - .offset:         0
        .size:           64
        .value_kind:     by_value
    .group_segment_fixed_size: 0
    .kernarg_segment_align: 8
    .kernarg_segment_size: 64
    .language:       OpenCL C
    .language_version:
      - 2
      - 0
    .max_flat_workgroup_size: 256
    .name:           _ZN7rocprim17ROCPRIM_400000_NS6detail17trampoline_kernelINS0_14default_configENS1_38merge_sort_block_merge_config_selectorIiNS0_10empty_typeEEEZZNS1_27merge_sort_block_merge_implIS3_N6thrust23THRUST_200600_302600_NS10device_ptrIiEEPS5_jNS1_19radix_merge_compareILb0ELb0EiNS0_19identity_decomposerEEEEE10hipError_tT0_T1_T2_jT3_P12ihipStream_tbPNSt15iterator_traitsISH_E10value_typeEPNSN_ISI_E10value_typeEPSJ_NS1_7vsmem_tEENKUlT_SH_SI_SJ_E_clIPiSB_SC_SC_EESG_SW_SH_SI_SJ_EUlSW_E0_NS1_11comp_targetILNS1_3genE10ELNS1_11target_archE1201ELNS1_3gpuE5ELNS1_3repE0EEENS1_38merge_mergepath_config_static_selectorELNS0_4arch9wavefront6targetE0EEEvSI_
    .private_segment_fixed_size: 0
    .sgpr_count:     0
    .sgpr_spill_count: 0
    .symbol:         _ZN7rocprim17ROCPRIM_400000_NS6detail17trampoline_kernelINS0_14default_configENS1_38merge_sort_block_merge_config_selectorIiNS0_10empty_typeEEEZZNS1_27merge_sort_block_merge_implIS3_N6thrust23THRUST_200600_302600_NS10device_ptrIiEEPS5_jNS1_19radix_merge_compareILb0ELb0EiNS0_19identity_decomposerEEEEE10hipError_tT0_T1_T2_jT3_P12ihipStream_tbPNSt15iterator_traitsISH_E10value_typeEPNSN_ISI_E10value_typeEPSJ_NS1_7vsmem_tEENKUlT_SH_SI_SJ_E_clIPiSB_SC_SC_EESG_SW_SH_SI_SJ_EUlSW_E0_NS1_11comp_targetILNS1_3genE10ELNS1_11target_archE1201ELNS1_3gpuE5ELNS1_3repE0EEENS1_38merge_mergepath_config_static_selectorELNS0_4arch9wavefront6targetE0EEEvSI_.kd
    .uniform_work_group_size: 1
    .uses_dynamic_stack: false
    .vgpr_count:     0
    .vgpr_spill_count: 0
    .wavefront_size: 32
    .workgroup_processor_mode: 1
  - .args:
      - .offset:         0
        .size:           64
        .value_kind:     by_value
    .group_segment_fixed_size: 0
    .kernarg_segment_align: 8
    .kernarg_segment_size: 64
    .language:       OpenCL C
    .language_version:
      - 2
      - 0
    .max_flat_workgroup_size: 128
    .name:           _ZN7rocprim17ROCPRIM_400000_NS6detail17trampoline_kernelINS0_14default_configENS1_38merge_sort_block_merge_config_selectorIiNS0_10empty_typeEEEZZNS1_27merge_sort_block_merge_implIS3_N6thrust23THRUST_200600_302600_NS10device_ptrIiEEPS5_jNS1_19radix_merge_compareILb0ELb0EiNS0_19identity_decomposerEEEEE10hipError_tT0_T1_T2_jT3_P12ihipStream_tbPNSt15iterator_traitsISH_E10value_typeEPNSN_ISI_E10value_typeEPSJ_NS1_7vsmem_tEENKUlT_SH_SI_SJ_E_clIPiSB_SC_SC_EESG_SW_SH_SI_SJ_EUlSW_E0_NS1_11comp_targetILNS1_3genE5ELNS1_11target_archE942ELNS1_3gpuE9ELNS1_3repE0EEENS1_38merge_mergepath_config_static_selectorELNS0_4arch9wavefront6targetE0EEEvSI_
    .private_segment_fixed_size: 0
    .sgpr_count:     0
    .sgpr_spill_count: 0
    .symbol:         _ZN7rocprim17ROCPRIM_400000_NS6detail17trampoline_kernelINS0_14default_configENS1_38merge_sort_block_merge_config_selectorIiNS0_10empty_typeEEEZZNS1_27merge_sort_block_merge_implIS3_N6thrust23THRUST_200600_302600_NS10device_ptrIiEEPS5_jNS1_19radix_merge_compareILb0ELb0EiNS0_19identity_decomposerEEEEE10hipError_tT0_T1_T2_jT3_P12ihipStream_tbPNSt15iterator_traitsISH_E10value_typeEPNSN_ISI_E10value_typeEPSJ_NS1_7vsmem_tEENKUlT_SH_SI_SJ_E_clIPiSB_SC_SC_EESG_SW_SH_SI_SJ_EUlSW_E0_NS1_11comp_targetILNS1_3genE5ELNS1_11target_archE942ELNS1_3gpuE9ELNS1_3repE0EEENS1_38merge_mergepath_config_static_selectorELNS0_4arch9wavefront6targetE0EEEvSI_.kd
    .uniform_work_group_size: 1
    .uses_dynamic_stack: false
    .vgpr_count:     0
    .vgpr_spill_count: 0
    .wavefront_size: 32
    .workgroup_processor_mode: 1
  - .args:
      - .offset:         0
        .size:           64
        .value_kind:     by_value
    .group_segment_fixed_size: 0
    .kernarg_segment_align: 8
    .kernarg_segment_size: 64
    .language:       OpenCL C
    .language_version:
      - 2
      - 0
    .max_flat_workgroup_size: 128
    .name:           _ZN7rocprim17ROCPRIM_400000_NS6detail17trampoline_kernelINS0_14default_configENS1_38merge_sort_block_merge_config_selectorIiNS0_10empty_typeEEEZZNS1_27merge_sort_block_merge_implIS3_N6thrust23THRUST_200600_302600_NS10device_ptrIiEEPS5_jNS1_19radix_merge_compareILb0ELb0EiNS0_19identity_decomposerEEEEE10hipError_tT0_T1_T2_jT3_P12ihipStream_tbPNSt15iterator_traitsISH_E10value_typeEPNSN_ISI_E10value_typeEPSJ_NS1_7vsmem_tEENKUlT_SH_SI_SJ_E_clIPiSB_SC_SC_EESG_SW_SH_SI_SJ_EUlSW_E0_NS1_11comp_targetILNS1_3genE4ELNS1_11target_archE910ELNS1_3gpuE8ELNS1_3repE0EEENS1_38merge_mergepath_config_static_selectorELNS0_4arch9wavefront6targetE0EEEvSI_
    .private_segment_fixed_size: 0
    .sgpr_count:     0
    .sgpr_spill_count: 0
    .symbol:         _ZN7rocprim17ROCPRIM_400000_NS6detail17trampoline_kernelINS0_14default_configENS1_38merge_sort_block_merge_config_selectorIiNS0_10empty_typeEEEZZNS1_27merge_sort_block_merge_implIS3_N6thrust23THRUST_200600_302600_NS10device_ptrIiEEPS5_jNS1_19radix_merge_compareILb0ELb0EiNS0_19identity_decomposerEEEEE10hipError_tT0_T1_T2_jT3_P12ihipStream_tbPNSt15iterator_traitsISH_E10value_typeEPNSN_ISI_E10value_typeEPSJ_NS1_7vsmem_tEENKUlT_SH_SI_SJ_E_clIPiSB_SC_SC_EESG_SW_SH_SI_SJ_EUlSW_E0_NS1_11comp_targetILNS1_3genE4ELNS1_11target_archE910ELNS1_3gpuE8ELNS1_3repE0EEENS1_38merge_mergepath_config_static_selectorELNS0_4arch9wavefront6targetE0EEEvSI_.kd
    .uniform_work_group_size: 1
    .uses_dynamic_stack: false
    .vgpr_count:     0
    .vgpr_spill_count: 0
    .wavefront_size: 32
    .workgroup_processor_mode: 1
  - .args:
      - .offset:         0
        .size:           64
        .value_kind:     by_value
    .group_segment_fixed_size: 0
    .kernarg_segment_align: 8
    .kernarg_segment_size: 64
    .language:       OpenCL C
    .language_version:
      - 2
      - 0
    .max_flat_workgroup_size: 128
    .name:           _ZN7rocprim17ROCPRIM_400000_NS6detail17trampoline_kernelINS0_14default_configENS1_38merge_sort_block_merge_config_selectorIiNS0_10empty_typeEEEZZNS1_27merge_sort_block_merge_implIS3_N6thrust23THRUST_200600_302600_NS10device_ptrIiEEPS5_jNS1_19radix_merge_compareILb0ELb0EiNS0_19identity_decomposerEEEEE10hipError_tT0_T1_T2_jT3_P12ihipStream_tbPNSt15iterator_traitsISH_E10value_typeEPNSN_ISI_E10value_typeEPSJ_NS1_7vsmem_tEENKUlT_SH_SI_SJ_E_clIPiSB_SC_SC_EESG_SW_SH_SI_SJ_EUlSW_E0_NS1_11comp_targetILNS1_3genE3ELNS1_11target_archE908ELNS1_3gpuE7ELNS1_3repE0EEENS1_38merge_mergepath_config_static_selectorELNS0_4arch9wavefront6targetE0EEEvSI_
    .private_segment_fixed_size: 0
    .sgpr_count:     0
    .sgpr_spill_count: 0
    .symbol:         _ZN7rocprim17ROCPRIM_400000_NS6detail17trampoline_kernelINS0_14default_configENS1_38merge_sort_block_merge_config_selectorIiNS0_10empty_typeEEEZZNS1_27merge_sort_block_merge_implIS3_N6thrust23THRUST_200600_302600_NS10device_ptrIiEEPS5_jNS1_19radix_merge_compareILb0ELb0EiNS0_19identity_decomposerEEEEE10hipError_tT0_T1_T2_jT3_P12ihipStream_tbPNSt15iterator_traitsISH_E10value_typeEPNSN_ISI_E10value_typeEPSJ_NS1_7vsmem_tEENKUlT_SH_SI_SJ_E_clIPiSB_SC_SC_EESG_SW_SH_SI_SJ_EUlSW_E0_NS1_11comp_targetILNS1_3genE3ELNS1_11target_archE908ELNS1_3gpuE7ELNS1_3repE0EEENS1_38merge_mergepath_config_static_selectorELNS0_4arch9wavefront6targetE0EEEvSI_.kd
    .uniform_work_group_size: 1
    .uses_dynamic_stack: false
    .vgpr_count:     0
    .vgpr_spill_count: 0
    .wavefront_size: 32
    .workgroup_processor_mode: 1
  - .args:
      - .offset:         0
        .size:           64
        .value_kind:     by_value
    .group_segment_fixed_size: 0
    .kernarg_segment_align: 8
    .kernarg_segment_size: 64
    .language:       OpenCL C
    .language_version:
      - 2
      - 0
    .max_flat_workgroup_size: 128
    .name:           _ZN7rocprim17ROCPRIM_400000_NS6detail17trampoline_kernelINS0_14default_configENS1_38merge_sort_block_merge_config_selectorIiNS0_10empty_typeEEEZZNS1_27merge_sort_block_merge_implIS3_N6thrust23THRUST_200600_302600_NS10device_ptrIiEEPS5_jNS1_19radix_merge_compareILb0ELb0EiNS0_19identity_decomposerEEEEE10hipError_tT0_T1_T2_jT3_P12ihipStream_tbPNSt15iterator_traitsISH_E10value_typeEPNSN_ISI_E10value_typeEPSJ_NS1_7vsmem_tEENKUlT_SH_SI_SJ_E_clIPiSB_SC_SC_EESG_SW_SH_SI_SJ_EUlSW_E0_NS1_11comp_targetILNS1_3genE2ELNS1_11target_archE906ELNS1_3gpuE6ELNS1_3repE0EEENS1_38merge_mergepath_config_static_selectorELNS0_4arch9wavefront6targetE0EEEvSI_
    .private_segment_fixed_size: 0
    .sgpr_count:     0
    .sgpr_spill_count: 0
    .symbol:         _ZN7rocprim17ROCPRIM_400000_NS6detail17trampoline_kernelINS0_14default_configENS1_38merge_sort_block_merge_config_selectorIiNS0_10empty_typeEEEZZNS1_27merge_sort_block_merge_implIS3_N6thrust23THRUST_200600_302600_NS10device_ptrIiEEPS5_jNS1_19radix_merge_compareILb0ELb0EiNS0_19identity_decomposerEEEEE10hipError_tT0_T1_T2_jT3_P12ihipStream_tbPNSt15iterator_traitsISH_E10value_typeEPNSN_ISI_E10value_typeEPSJ_NS1_7vsmem_tEENKUlT_SH_SI_SJ_E_clIPiSB_SC_SC_EESG_SW_SH_SI_SJ_EUlSW_E0_NS1_11comp_targetILNS1_3genE2ELNS1_11target_archE906ELNS1_3gpuE6ELNS1_3repE0EEENS1_38merge_mergepath_config_static_selectorELNS0_4arch9wavefront6targetE0EEEvSI_.kd
    .uniform_work_group_size: 1
    .uses_dynamic_stack: false
    .vgpr_count:     0
    .vgpr_spill_count: 0
    .wavefront_size: 32
    .workgroup_processor_mode: 1
  - .args:
      - .offset:         0
        .size:           64
        .value_kind:     by_value
    .group_segment_fixed_size: 0
    .kernarg_segment_align: 8
    .kernarg_segment_size: 64
    .language:       OpenCL C
    .language_version:
      - 2
      - 0
    .max_flat_workgroup_size: 256
    .name:           _ZN7rocprim17ROCPRIM_400000_NS6detail17trampoline_kernelINS0_14default_configENS1_38merge_sort_block_merge_config_selectorIiNS0_10empty_typeEEEZZNS1_27merge_sort_block_merge_implIS3_N6thrust23THRUST_200600_302600_NS10device_ptrIiEEPS5_jNS1_19radix_merge_compareILb0ELb0EiNS0_19identity_decomposerEEEEE10hipError_tT0_T1_T2_jT3_P12ihipStream_tbPNSt15iterator_traitsISH_E10value_typeEPNSN_ISI_E10value_typeEPSJ_NS1_7vsmem_tEENKUlT_SH_SI_SJ_E_clIPiSB_SC_SC_EESG_SW_SH_SI_SJ_EUlSW_E0_NS1_11comp_targetILNS1_3genE9ELNS1_11target_archE1100ELNS1_3gpuE3ELNS1_3repE0EEENS1_38merge_mergepath_config_static_selectorELNS0_4arch9wavefront6targetE0EEEvSI_
    .private_segment_fixed_size: 0
    .sgpr_count:     0
    .sgpr_spill_count: 0
    .symbol:         _ZN7rocprim17ROCPRIM_400000_NS6detail17trampoline_kernelINS0_14default_configENS1_38merge_sort_block_merge_config_selectorIiNS0_10empty_typeEEEZZNS1_27merge_sort_block_merge_implIS3_N6thrust23THRUST_200600_302600_NS10device_ptrIiEEPS5_jNS1_19radix_merge_compareILb0ELb0EiNS0_19identity_decomposerEEEEE10hipError_tT0_T1_T2_jT3_P12ihipStream_tbPNSt15iterator_traitsISH_E10value_typeEPNSN_ISI_E10value_typeEPSJ_NS1_7vsmem_tEENKUlT_SH_SI_SJ_E_clIPiSB_SC_SC_EESG_SW_SH_SI_SJ_EUlSW_E0_NS1_11comp_targetILNS1_3genE9ELNS1_11target_archE1100ELNS1_3gpuE3ELNS1_3repE0EEENS1_38merge_mergepath_config_static_selectorELNS0_4arch9wavefront6targetE0EEEvSI_.kd
    .uniform_work_group_size: 1
    .uses_dynamic_stack: false
    .vgpr_count:     0
    .vgpr_spill_count: 0
    .wavefront_size: 32
    .workgroup_processor_mode: 1
  - .args:
      - .offset:         0
        .size:           64
        .value_kind:     by_value
      - .offset:         64
        .size:           4
        .value_kind:     hidden_block_count_x
      - .offset:         68
        .size:           4
        .value_kind:     hidden_block_count_y
      - .offset:         72
        .size:           4
        .value_kind:     hidden_block_count_z
      - .offset:         76
        .size:           2
        .value_kind:     hidden_group_size_x
      - .offset:         78
        .size:           2
        .value_kind:     hidden_group_size_y
      - .offset:         80
        .size:           2
        .value_kind:     hidden_group_size_z
      - .offset:         82
        .size:           2
        .value_kind:     hidden_remainder_x
      - .offset:         84
        .size:           2
        .value_kind:     hidden_remainder_y
      - .offset:         86
        .size:           2
        .value_kind:     hidden_remainder_z
      - .offset:         104
        .size:           8
        .value_kind:     hidden_global_offset_x
      - .offset:         112
        .size:           8
        .value_kind:     hidden_global_offset_y
      - .offset:         120
        .size:           8
        .value_kind:     hidden_global_offset_z
      - .offset:         128
        .size:           2
        .value_kind:     hidden_grid_dims
    .group_segment_fixed_size: 4224
    .kernarg_segment_align: 8
    .kernarg_segment_size: 320
    .language:       OpenCL C
    .language_version:
      - 2
      - 0
    .max_flat_workgroup_size: 512
    .name:           _ZN7rocprim17ROCPRIM_400000_NS6detail17trampoline_kernelINS0_14default_configENS1_38merge_sort_block_merge_config_selectorIiNS0_10empty_typeEEEZZNS1_27merge_sort_block_merge_implIS3_N6thrust23THRUST_200600_302600_NS10device_ptrIiEEPS5_jNS1_19radix_merge_compareILb0ELb0EiNS0_19identity_decomposerEEEEE10hipError_tT0_T1_T2_jT3_P12ihipStream_tbPNSt15iterator_traitsISH_E10value_typeEPNSN_ISI_E10value_typeEPSJ_NS1_7vsmem_tEENKUlT_SH_SI_SJ_E_clIPiSB_SC_SC_EESG_SW_SH_SI_SJ_EUlSW_E0_NS1_11comp_targetILNS1_3genE8ELNS1_11target_archE1030ELNS1_3gpuE2ELNS1_3repE0EEENS1_38merge_mergepath_config_static_selectorELNS0_4arch9wavefront6targetE0EEEvSI_
    .private_segment_fixed_size: 0
    .sgpr_count:     25
    .sgpr_spill_count: 0
    .symbol:         _ZN7rocprim17ROCPRIM_400000_NS6detail17trampoline_kernelINS0_14default_configENS1_38merge_sort_block_merge_config_selectorIiNS0_10empty_typeEEEZZNS1_27merge_sort_block_merge_implIS3_N6thrust23THRUST_200600_302600_NS10device_ptrIiEEPS5_jNS1_19radix_merge_compareILb0ELb0EiNS0_19identity_decomposerEEEEE10hipError_tT0_T1_T2_jT3_P12ihipStream_tbPNSt15iterator_traitsISH_E10value_typeEPNSN_ISI_E10value_typeEPSJ_NS1_7vsmem_tEENKUlT_SH_SI_SJ_E_clIPiSB_SC_SC_EESG_SW_SH_SI_SJ_EUlSW_E0_NS1_11comp_targetILNS1_3genE8ELNS1_11target_archE1030ELNS1_3gpuE2ELNS1_3repE0EEENS1_38merge_mergepath_config_static_selectorELNS0_4arch9wavefront6targetE0EEEvSI_.kd
    .uniform_work_group_size: 1
    .uses_dynamic_stack: false
    .vgpr_count:     14
    .vgpr_spill_count: 0
    .wavefront_size: 32
    .workgroup_processor_mode: 1
  - .args:
      - .offset:         0
        .size:           48
        .value_kind:     by_value
    .group_segment_fixed_size: 0
    .kernarg_segment_align: 8
    .kernarg_segment_size: 48
    .language:       OpenCL C
    .language_version:
      - 2
      - 0
    .max_flat_workgroup_size: 256
    .name:           _ZN7rocprim17ROCPRIM_400000_NS6detail17trampoline_kernelINS0_14default_configENS1_38merge_sort_block_merge_config_selectorIiNS0_10empty_typeEEEZZNS1_27merge_sort_block_merge_implIS3_N6thrust23THRUST_200600_302600_NS10device_ptrIiEEPS5_jNS1_19radix_merge_compareILb0ELb0EiNS0_19identity_decomposerEEEEE10hipError_tT0_T1_T2_jT3_P12ihipStream_tbPNSt15iterator_traitsISH_E10value_typeEPNSN_ISI_E10value_typeEPSJ_NS1_7vsmem_tEENKUlT_SH_SI_SJ_E_clIPiSB_SC_SC_EESG_SW_SH_SI_SJ_EUlSW_E1_NS1_11comp_targetILNS1_3genE0ELNS1_11target_archE4294967295ELNS1_3gpuE0ELNS1_3repE0EEENS1_36merge_oddeven_config_static_selectorELNS0_4arch9wavefront6targetE0EEEvSI_
    .private_segment_fixed_size: 0
    .sgpr_count:     0
    .sgpr_spill_count: 0
    .symbol:         _ZN7rocprim17ROCPRIM_400000_NS6detail17trampoline_kernelINS0_14default_configENS1_38merge_sort_block_merge_config_selectorIiNS0_10empty_typeEEEZZNS1_27merge_sort_block_merge_implIS3_N6thrust23THRUST_200600_302600_NS10device_ptrIiEEPS5_jNS1_19radix_merge_compareILb0ELb0EiNS0_19identity_decomposerEEEEE10hipError_tT0_T1_T2_jT3_P12ihipStream_tbPNSt15iterator_traitsISH_E10value_typeEPNSN_ISI_E10value_typeEPSJ_NS1_7vsmem_tEENKUlT_SH_SI_SJ_E_clIPiSB_SC_SC_EESG_SW_SH_SI_SJ_EUlSW_E1_NS1_11comp_targetILNS1_3genE0ELNS1_11target_archE4294967295ELNS1_3gpuE0ELNS1_3repE0EEENS1_36merge_oddeven_config_static_selectorELNS0_4arch9wavefront6targetE0EEEvSI_.kd
    .uniform_work_group_size: 1
    .uses_dynamic_stack: false
    .vgpr_count:     0
    .vgpr_spill_count: 0
    .wavefront_size: 32
    .workgroup_processor_mode: 1
  - .args:
      - .offset:         0
        .size:           48
        .value_kind:     by_value
    .group_segment_fixed_size: 0
    .kernarg_segment_align: 8
    .kernarg_segment_size: 48
    .language:       OpenCL C
    .language_version:
      - 2
      - 0
    .max_flat_workgroup_size: 256
    .name:           _ZN7rocprim17ROCPRIM_400000_NS6detail17trampoline_kernelINS0_14default_configENS1_38merge_sort_block_merge_config_selectorIiNS0_10empty_typeEEEZZNS1_27merge_sort_block_merge_implIS3_N6thrust23THRUST_200600_302600_NS10device_ptrIiEEPS5_jNS1_19radix_merge_compareILb0ELb0EiNS0_19identity_decomposerEEEEE10hipError_tT0_T1_T2_jT3_P12ihipStream_tbPNSt15iterator_traitsISH_E10value_typeEPNSN_ISI_E10value_typeEPSJ_NS1_7vsmem_tEENKUlT_SH_SI_SJ_E_clIPiSB_SC_SC_EESG_SW_SH_SI_SJ_EUlSW_E1_NS1_11comp_targetILNS1_3genE10ELNS1_11target_archE1201ELNS1_3gpuE5ELNS1_3repE0EEENS1_36merge_oddeven_config_static_selectorELNS0_4arch9wavefront6targetE0EEEvSI_
    .private_segment_fixed_size: 0
    .sgpr_count:     0
    .sgpr_spill_count: 0
    .symbol:         _ZN7rocprim17ROCPRIM_400000_NS6detail17trampoline_kernelINS0_14default_configENS1_38merge_sort_block_merge_config_selectorIiNS0_10empty_typeEEEZZNS1_27merge_sort_block_merge_implIS3_N6thrust23THRUST_200600_302600_NS10device_ptrIiEEPS5_jNS1_19radix_merge_compareILb0ELb0EiNS0_19identity_decomposerEEEEE10hipError_tT0_T1_T2_jT3_P12ihipStream_tbPNSt15iterator_traitsISH_E10value_typeEPNSN_ISI_E10value_typeEPSJ_NS1_7vsmem_tEENKUlT_SH_SI_SJ_E_clIPiSB_SC_SC_EESG_SW_SH_SI_SJ_EUlSW_E1_NS1_11comp_targetILNS1_3genE10ELNS1_11target_archE1201ELNS1_3gpuE5ELNS1_3repE0EEENS1_36merge_oddeven_config_static_selectorELNS0_4arch9wavefront6targetE0EEEvSI_.kd
    .uniform_work_group_size: 1
    .uses_dynamic_stack: false
    .vgpr_count:     0
    .vgpr_spill_count: 0
    .wavefront_size: 32
    .workgroup_processor_mode: 1
  - .args:
      - .offset:         0
        .size:           48
        .value_kind:     by_value
    .group_segment_fixed_size: 0
    .kernarg_segment_align: 8
    .kernarg_segment_size: 48
    .language:       OpenCL C
    .language_version:
      - 2
      - 0
    .max_flat_workgroup_size: 256
    .name:           _ZN7rocprim17ROCPRIM_400000_NS6detail17trampoline_kernelINS0_14default_configENS1_38merge_sort_block_merge_config_selectorIiNS0_10empty_typeEEEZZNS1_27merge_sort_block_merge_implIS3_N6thrust23THRUST_200600_302600_NS10device_ptrIiEEPS5_jNS1_19radix_merge_compareILb0ELb0EiNS0_19identity_decomposerEEEEE10hipError_tT0_T1_T2_jT3_P12ihipStream_tbPNSt15iterator_traitsISH_E10value_typeEPNSN_ISI_E10value_typeEPSJ_NS1_7vsmem_tEENKUlT_SH_SI_SJ_E_clIPiSB_SC_SC_EESG_SW_SH_SI_SJ_EUlSW_E1_NS1_11comp_targetILNS1_3genE5ELNS1_11target_archE942ELNS1_3gpuE9ELNS1_3repE0EEENS1_36merge_oddeven_config_static_selectorELNS0_4arch9wavefront6targetE0EEEvSI_
    .private_segment_fixed_size: 0
    .sgpr_count:     0
    .sgpr_spill_count: 0
    .symbol:         _ZN7rocprim17ROCPRIM_400000_NS6detail17trampoline_kernelINS0_14default_configENS1_38merge_sort_block_merge_config_selectorIiNS0_10empty_typeEEEZZNS1_27merge_sort_block_merge_implIS3_N6thrust23THRUST_200600_302600_NS10device_ptrIiEEPS5_jNS1_19radix_merge_compareILb0ELb0EiNS0_19identity_decomposerEEEEE10hipError_tT0_T1_T2_jT3_P12ihipStream_tbPNSt15iterator_traitsISH_E10value_typeEPNSN_ISI_E10value_typeEPSJ_NS1_7vsmem_tEENKUlT_SH_SI_SJ_E_clIPiSB_SC_SC_EESG_SW_SH_SI_SJ_EUlSW_E1_NS1_11comp_targetILNS1_3genE5ELNS1_11target_archE942ELNS1_3gpuE9ELNS1_3repE0EEENS1_36merge_oddeven_config_static_selectorELNS0_4arch9wavefront6targetE0EEEvSI_.kd
    .uniform_work_group_size: 1
    .uses_dynamic_stack: false
    .vgpr_count:     0
    .vgpr_spill_count: 0
    .wavefront_size: 32
    .workgroup_processor_mode: 1
  - .args:
      - .offset:         0
        .size:           48
        .value_kind:     by_value
    .group_segment_fixed_size: 0
    .kernarg_segment_align: 8
    .kernarg_segment_size: 48
    .language:       OpenCL C
    .language_version:
      - 2
      - 0
    .max_flat_workgroup_size: 256
    .name:           _ZN7rocprim17ROCPRIM_400000_NS6detail17trampoline_kernelINS0_14default_configENS1_38merge_sort_block_merge_config_selectorIiNS0_10empty_typeEEEZZNS1_27merge_sort_block_merge_implIS3_N6thrust23THRUST_200600_302600_NS10device_ptrIiEEPS5_jNS1_19radix_merge_compareILb0ELb0EiNS0_19identity_decomposerEEEEE10hipError_tT0_T1_T2_jT3_P12ihipStream_tbPNSt15iterator_traitsISH_E10value_typeEPNSN_ISI_E10value_typeEPSJ_NS1_7vsmem_tEENKUlT_SH_SI_SJ_E_clIPiSB_SC_SC_EESG_SW_SH_SI_SJ_EUlSW_E1_NS1_11comp_targetILNS1_3genE4ELNS1_11target_archE910ELNS1_3gpuE8ELNS1_3repE0EEENS1_36merge_oddeven_config_static_selectorELNS0_4arch9wavefront6targetE0EEEvSI_
    .private_segment_fixed_size: 0
    .sgpr_count:     0
    .sgpr_spill_count: 0
    .symbol:         _ZN7rocprim17ROCPRIM_400000_NS6detail17trampoline_kernelINS0_14default_configENS1_38merge_sort_block_merge_config_selectorIiNS0_10empty_typeEEEZZNS1_27merge_sort_block_merge_implIS3_N6thrust23THRUST_200600_302600_NS10device_ptrIiEEPS5_jNS1_19radix_merge_compareILb0ELb0EiNS0_19identity_decomposerEEEEE10hipError_tT0_T1_T2_jT3_P12ihipStream_tbPNSt15iterator_traitsISH_E10value_typeEPNSN_ISI_E10value_typeEPSJ_NS1_7vsmem_tEENKUlT_SH_SI_SJ_E_clIPiSB_SC_SC_EESG_SW_SH_SI_SJ_EUlSW_E1_NS1_11comp_targetILNS1_3genE4ELNS1_11target_archE910ELNS1_3gpuE8ELNS1_3repE0EEENS1_36merge_oddeven_config_static_selectorELNS0_4arch9wavefront6targetE0EEEvSI_.kd
    .uniform_work_group_size: 1
    .uses_dynamic_stack: false
    .vgpr_count:     0
    .vgpr_spill_count: 0
    .wavefront_size: 32
    .workgroup_processor_mode: 1
  - .args:
      - .offset:         0
        .size:           48
        .value_kind:     by_value
    .group_segment_fixed_size: 0
    .kernarg_segment_align: 8
    .kernarg_segment_size: 48
    .language:       OpenCL C
    .language_version:
      - 2
      - 0
    .max_flat_workgroup_size: 256
    .name:           _ZN7rocprim17ROCPRIM_400000_NS6detail17trampoline_kernelINS0_14default_configENS1_38merge_sort_block_merge_config_selectorIiNS0_10empty_typeEEEZZNS1_27merge_sort_block_merge_implIS3_N6thrust23THRUST_200600_302600_NS10device_ptrIiEEPS5_jNS1_19radix_merge_compareILb0ELb0EiNS0_19identity_decomposerEEEEE10hipError_tT0_T1_T2_jT3_P12ihipStream_tbPNSt15iterator_traitsISH_E10value_typeEPNSN_ISI_E10value_typeEPSJ_NS1_7vsmem_tEENKUlT_SH_SI_SJ_E_clIPiSB_SC_SC_EESG_SW_SH_SI_SJ_EUlSW_E1_NS1_11comp_targetILNS1_3genE3ELNS1_11target_archE908ELNS1_3gpuE7ELNS1_3repE0EEENS1_36merge_oddeven_config_static_selectorELNS0_4arch9wavefront6targetE0EEEvSI_
    .private_segment_fixed_size: 0
    .sgpr_count:     0
    .sgpr_spill_count: 0
    .symbol:         _ZN7rocprim17ROCPRIM_400000_NS6detail17trampoline_kernelINS0_14default_configENS1_38merge_sort_block_merge_config_selectorIiNS0_10empty_typeEEEZZNS1_27merge_sort_block_merge_implIS3_N6thrust23THRUST_200600_302600_NS10device_ptrIiEEPS5_jNS1_19radix_merge_compareILb0ELb0EiNS0_19identity_decomposerEEEEE10hipError_tT0_T1_T2_jT3_P12ihipStream_tbPNSt15iterator_traitsISH_E10value_typeEPNSN_ISI_E10value_typeEPSJ_NS1_7vsmem_tEENKUlT_SH_SI_SJ_E_clIPiSB_SC_SC_EESG_SW_SH_SI_SJ_EUlSW_E1_NS1_11comp_targetILNS1_3genE3ELNS1_11target_archE908ELNS1_3gpuE7ELNS1_3repE0EEENS1_36merge_oddeven_config_static_selectorELNS0_4arch9wavefront6targetE0EEEvSI_.kd
    .uniform_work_group_size: 1
    .uses_dynamic_stack: false
    .vgpr_count:     0
    .vgpr_spill_count: 0
    .wavefront_size: 32
    .workgroup_processor_mode: 1
  - .args:
      - .offset:         0
        .size:           48
        .value_kind:     by_value
    .group_segment_fixed_size: 0
    .kernarg_segment_align: 8
    .kernarg_segment_size: 48
    .language:       OpenCL C
    .language_version:
      - 2
      - 0
    .max_flat_workgroup_size: 256
    .name:           _ZN7rocprim17ROCPRIM_400000_NS6detail17trampoline_kernelINS0_14default_configENS1_38merge_sort_block_merge_config_selectorIiNS0_10empty_typeEEEZZNS1_27merge_sort_block_merge_implIS3_N6thrust23THRUST_200600_302600_NS10device_ptrIiEEPS5_jNS1_19radix_merge_compareILb0ELb0EiNS0_19identity_decomposerEEEEE10hipError_tT0_T1_T2_jT3_P12ihipStream_tbPNSt15iterator_traitsISH_E10value_typeEPNSN_ISI_E10value_typeEPSJ_NS1_7vsmem_tEENKUlT_SH_SI_SJ_E_clIPiSB_SC_SC_EESG_SW_SH_SI_SJ_EUlSW_E1_NS1_11comp_targetILNS1_3genE2ELNS1_11target_archE906ELNS1_3gpuE6ELNS1_3repE0EEENS1_36merge_oddeven_config_static_selectorELNS0_4arch9wavefront6targetE0EEEvSI_
    .private_segment_fixed_size: 0
    .sgpr_count:     0
    .sgpr_spill_count: 0
    .symbol:         _ZN7rocprim17ROCPRIM_400000_NS6detail17trampoline_kernelINS0_14default_configENS1_38merge_sort_block_merge_config_selectorIiNS0_10empty_typeEEEZZNS1_27merge_sort_block_merge_implIS3_N6thrust23THRUST_200600_302600_NS10device_ptrIiEEPS5_jNS1_19radix_merge_compareILb0ELb0EiNS0_19identity_decomposerEEEEE10hipError_tT0_T1_T2_jT3_P12ihipStream_tbPNSt15iterator_traitsISH_E10value_typeEPNSN_ISI_E10value_typeEPSJ_NS1_7vsmem_tEENKUlT_SH_SI_SJ_E_clIPiSB_SC_SC_EESG_SW_SH_SI_SJ_EUlSW_E1_NS1_11comp_targetILNS1_3genE2ELNS1_11target_archE906ELNS1_3gpuE6ELNS1_3repE0EEENS1_36merge_oddeven_config_static_selectorELNS0_4arch9wavefront6targetE0EEEvSI_.kd
    .uniform_work_group_size: 1
    .uses_dynamic_stack: false
    .vgpr_count:     0
    .vgpr_spill_count: 0
    .wavefront_size: 32
    .workgroup_processor_mode: 1
  - .args:
      - .offset:         0
        .size:           48
        .value_kind:     by_value
    .group_segment_fixed_size: 0
    .kernarg_segment_align: 8
    .kernarg_segment_size: 48
    .language:       OpenCL C
    .language_version:
      - 2
      - 0
    .max_flat_workgroup_size: 256
    .name:           _ZN7rocprim17ROCPRIM_400000_NS6detail17trampoline_kernelINS0_14default_configENS1_38merge_sort_block_merge_config_selectorIiNS0_10empty_typeEEEZZNS1_27merge_sort_block_merge_implIS3_N6thrust23THRUST_200600_302600_NS10device_ptrIiEEPS5_jNS1_19radix_merge_compareILb0ELb0EiNS0_19identity_decomposerEEEEE10hipError_tT0_T1_T2_jT3_P12ihipStream_tbPNSt15iterator_traitsISH_E10value_typeEPNSN_ISI_E10value_typeEPSJ_NS1_7vsmem_tEENKUlT_SH_SI_SJ_E_clIPiSB_SC_SC_EESG_SW_SH_SI_SJ_EUlSW_E1_NS1_11comp_targetILNS1_3genE9ELNS1_11target_archE1100ELNS1_3gpuE3ELNS1_3repE0EEENS1_36merge_oddeven_config_static_selectorELNS0_4arch9wavefront6targetE0EEEvSI_
    .private_segment_fixed_size: 0
    .sgpr_count:     0
    .sgpr_spill_count: 0
    .symbol:         _ZN7rocprim17ROCPRIM_400000_NS6detail17trampoline_kernelINS0_14default_configENS1_38merge_sort_block_merge_config_selectorIiNS0_10empty_typeEEEZZNS1_27merge_sort_block_merge_implIS3_N6thrust23THRUST_200600_302600_NS10device_ptrIiEEPS5_jNS1_19radix_merge_compareILb0ELb0EiNS0_19identity_decomposerEEEEE10hipError_tT0_T1_T2_jT3_P12ihipStream_tbPNSt15iterator_traitsISH_E10value_typeEPNSN_ISI_E10value_typeEPSJ_NS1_7vsmem_tEENKUlT_SH_SI_SJ_E_clIPiSB_SC_SC_EESG_SW_SH_SI_SJ_EUlSW_E1_NS1_11comp_targetILNS1_3genE9ELNS1_11target_archE1100ELNS1_3gpuE3ELNS1_3repE0EEENS1_36merge_oddeven_config_static_selectorELNS0_4arch9wavefront6targetE0EEEvSI_.kd
    .uniform_work_group_size: 1
    .uses_dynamic_stack: false
    .vgpr_count:     0
    .vgpr_spill_count: 0
    .wavefront_size: 32
    .workgroup_processor_mode: 1
  - .args:
      - .offset:         0
        .size:           48
        .value_kind:     by_value
    .group_segment_fixed_size: 0
    .kernarg_segment_align: 8
    .kernarg_segment_size: 48
    .language:       OpenCL C
    .language_version:
      - 2
      - 0
    .max_flat_workgroup_size: 256
    .name:           _ZN7rocprim17ROCPRIM_400000_NS6detail17trampoline_kernelINS0_14default_configENS1_38merge_sort_block_merge_config_selectorIiNS0_10empty_typeEEEZZNS1_27merge_sort_block_merge_implIS3_N6thrust23THRUST_200600_302600_NS10device_ptrIiEEPS5_jNS1_19radix_merge_compareILb0ELb0EiNS0_19identity_decomposerEEEEE10hipError_tT0_T1_T2_jT3_P12ihipStream_tbPNSt15iterator_traitsISH_E10value_typeEPNSN_ISI_E10value_typeEPSJ_NS1_7vsmem_tEENKUlT_SH_SI_SJ_E_clIPiSB_SC_SC_EESG_SW_SH_SI_SJ_EUlSW_E1_NS1_11comp_targetILNS1_3genE8ELNS1_11target_archE1030ELNS1_3gpuE2ELNS1_3repE0EEENS1_36merge_oddeven_config_static_selectorELNS0_4arch9wavefront6targetE0EEEvSI_
    .private_segment_fixed_size: 0
    .sgpr_count:     18
    .sgpr_spill_count: 0
    .symbol:         _ZN7rocprim17ROCPRIM_400000_NS6detail17trampoline_kernelINS0_14default_configENS1_38merge_sort_block_merge_config_selectorIiNS0_10empty_typeEEEZZNS1_27merge_sort_block_merge_implIS3_N6thrust23THRUST_200600_302600_NS10device_ptrIiEEPS5_jNS1_19radix_merge_compareILb0ELb0EiNS0_19identity_decomposerEEEEE10hipError_tT0_T1_T2_jT3_P12ihipStream_tbPNSt15iterator_traitsISH_E10value_typeEPNSN_ISI_E10value_typeEPSJ_NS1_7vsmem_tEENKUlT_SH_SI_SJ_E_clIPiSB_SC_SC_EESG_SW_SH_SI_SJ_EUlSW_E1_NS1_11comp_targetILNS1_3genE8ELNS1_11target_archE1030ELNS1_3gpuE2ELNS1_3repE0EEENS1_36merge_oddeven_config_static_selectorELNS0_4arch9wavefront6targetE0EEEvSI_.kd
    .uniform_work_group_size: 1
    .uses_dynamic_stack: false
    .vgpr_count:     8
    .vgpr_spill_count: 0
    .wavefront_size: 32
    .workgroup_processor_mode: 1
  - .args:
      - .offset:         0
        .size:           40
        .value_kind:     by_value
    .group_segment_fixed_size: 0
    .kernarg_segment_align: 8
    .kernarg_segment_size: 40
    .language:       OpenCL C
    .language_version:
      - 2
      - 0
    .max_flat_workgroup_size: 128
    .name:           _ZN7rocprim17ROCPRIM_400000_NS6detail17trampoline_kernelINS0_14default_configENS1_38merge_sort_block_merge_config_selectorIiNS0_10empty_typeEEEZZNS1_27merge_sort_block_merge_implIS3_N6thrust23THRUST_200600_302600_NS10device_ptrIiEEPS5_jNS1_19radix_merge_compareILb0ELb0EiNS0_19identity_decomposerEEEEE10hipError_tT0_T1_T2_jT3_P12ihipStream_tbPNSt15iterator_traitsISH_E10value_typeEPNSN_ISI_E10value_typeEPSJ_NS1_7vsmem_tEENKUlT_SH_SI_SJ_E_clISB_PiSC_SC_EESG_SW_SH_SI_SJ_EUlSW_E_NS1_11comp_targetILNS1_3genE0ELNS1_11target_archE4294967295ELNS1_3gpuE0ELNS1_3repE0EEENS1_48merge_mergepath_partition_config_static_selectorELNS0_4arch9wavefront6targetE0EEEvSI_
    .private_segment_fixed_size: 0
    .sgpr_count:     0
    .sgpr_spill_count: 0
    .symbol:         _ZN7rocprim17ROCPRIM_400000_NS6detail17trampoline_kernelINS0_14default_configENS1_38merge_sort_block_merge_config_selectorIiNS0_10empty_typeEEEZZNS1_27merge_sort_block_merge_implIS3_N6thrust23THRUST_200600_302600_NS10device_ptrIiEEPS5_jNS1_19radix_merge_compareILb0ELb0EiNS0_19identity_decomposerEEEEE10hipError_tT0_T1_T2_jT3_P12ihipStream_tbPNSt15iterator_traitsISH_E10value_typeEPNSN_ISI_E10value_typeEPSJ_NS1_7vsmem_tEENKUlT_SH_SI_SJ_E_clISB_PiSC_SC_EESG_SW_SH_SI_SJ_EUlSW_E_NS1_11comp_targetILNS1_3genE0ELNS1_11target_archE4294967295ELNS1_3gpuE0ELNS1_3repE0EEENS1_48merge_mergepath_partition_config_static_selectorELNS0_4arch9wavefront6targetE0EEEvSI_.kd
    .uniform_work_group_size: 1
    .uses_dynamic_stack: false
    .vgpr_count:     0
    .vgpr_spill_count: 0
    .wavefront_size: 32
    .workgroup_processor_mode: 1
  - .args:
      - .offset:         0
        .size:           40
        .value_kind:     by_value
    .group_segment_fixed_size: 0
    .kernarg_segment_align: 8
    .kernarg_segment_size: 40
    .language:       OpenCL C
    .language_version:
      - 2
      - 0
    .max_flat_workgroup_size: 128
    .name:           _ZN7rocprim17ROCPRIM_400000_NS6detail17trampoline_kernelINS0_14default_configENS1_38merge_sort_block_merge_config_selectorIiNS0_10empty_typeEEEZZNS1_27merge_sort_block_merge_implIS3_N6thrust23THRUST_200600_302600_NS10device_ptrIiEEPS5_jNS1_19radix_merge_compareILb0ELb0EiNS0_19identity_decomposerEEEEE10hipError_tT0_T1_T2_jT3_P12ihipStream_tbPNSt15iterator_traitsISH_E10value_typeEPNSN_ISI_E10value_typeEPSJ_NS1_7vsmem_tEENKUlT_SH_SI_SJ_E_clISB_PiSC_SC_EESG_SW_SH_SI_SJ_EUlSW_E_NS1_11comp_targetILNS1_3genE10ELNS1_11target_archE1201ELNS1_3gpuE5ELNS1_3repE0EEENS1_48merge_mergepath_partition_config_static_selectorELNS0_4arch9wavefront6targetE0EEEvSI_
    .private_segment_fixed_size: 0
    .sgpr_count:     0
    .sgpr_spill_count: 0
    .symbol:         _ZN7rocprim17ROCPRIM_400000_NS6detail17trampoline_kernelINS0_14default_configENS1_38merge_sort_block_merge_config_selectorIiNS0_10empty_typeEEEZZNS1_27merge_sort_block_merge_implIS3_N6thrust23THRUST_200600_302600_NS10device_ptrIiEEPS5_jNS1_19radix_merge_compareILb0ELb0EiNS0_19identity_decomposerEEEEE10hipError_tT0_T1_T2_jT3_P12ihipStream_tbPNSt15iterator_traitsISH_E10value_typeEPNSN_ISI_E10value_typeEPSJ_NS1_7vsmem_tEENKUlT_SH_SI_SJ_E_clISB_PiSC_SC_EESG_SW_SH_SI_SJ_EUlSW_E_NS1_11comp_targetILNS1_3genE10ELNS1_11target_archE1201ELNS1_3gpuE5ELNS1_3repE0EEENS1_48merge_mergepath_partition_config_static_selectorELNS0_4arch9wavefront6targetE0EEEvSI_.kd
    .uniform_work_group_size: 1
    .uses_dynamic_stack: false
    .vgpr_count:     0
    .vgpr_spill_count: 0
    .wavefront_size: 32
    .workgroup_processor_mode: 1
  - .args:
      - .offset:         0
        .size:           40
        .value_kind:     by_value
    .group_segment_fixed_size: 0
    .kernarg_segment_align: 8
    .kernarg_segment_size: 40
    .language:       OpenCL C
    .language_version:
      - 2
      - 0
    .max_flat_workgroup_size: 128
    .name:           _ZN7rocprim17ROCPRIM_400000_NS6detail17trampoline_kernelINS0_14default_configENS1_38merge_sort_block_merge_config_selectorIiNS0_10empty_typeEEEZZNS1_27merge_sort_block_merge_implIS3_N6thrust23THRUST_200600_302600_NS10device_ptrIiEEPS5_jNS1_19radix_merge_compareILb0ELb0EiNS0_19identity_decomposerEEEEE10hipError_tT0_T1_T2_jT3_P12ihipStream_tbPNSt15iterator_traitsISH_E10value_typeEPNSN_ISI_E10value_typeEPSJ_NS1_7vsmem_tEENKUlT_SH_SI_SJ_E_clISB_PiSC_SC_EESG_SW_SH_SI_SJ_EUlSW_E_NS1_11comp_targetILNS1_3genE5ELNS1_11target_archE942ELNS1_3gpuE9ELNS1_3repE0EEENS1_48merge_mergepath_partition_config_static_selectorELNS0_4arch9wavefront6targetE0EEEvSI_
    .private_segment_fixed_size: 0
    .sgpr_count:     0
    .sgpr_spill_count: 0
    .symbol:         _ZN7rocprim17ROCPRIM_400000_NS6detail17trampoline_kernelINS0_14default_configENS1_38merge_sort_block_merge_config_selectorIiNS0_10empty_typeEEEZZNS1_27merge_sort_block_merge_implIS3_N6thrust23THRUST_200600_302600_NS10device_ptrIiEEPS5_jNS1_19radix_merge_compareILb0ELb0EiNS0_19identity_decomposerEEEEE10hipError_tT0_T1_T2_jT3_P12ihipStream_tbPNSt15iterator_traitsISH_E10value_typeEPNSN_ISI_E10value_typeEPSJ_NS1_7vsmem_tEENKUlT_SH_SI_SJ_E_clISB_PiSC_SC_EESG_SW_SH_SI_SJ_EUlSW_E_NS1_11comp_targetILNS1_3genE5ELNS1_11target_archE942ELNS1_3gpuE9ELNS1_3repE0EEENS1_48merge_mergepath_partition_config_static_selectorELNS0_4arch9wavefront6targetE0EEEvSI_.kd
    .uniform_work_group_size: 1
    .uses_dynamic_stack: false
    .vgpr_count:     0
    .vgpr_spill_count: 0
    .wavefront_size: 32
    .workgroup_processor_mode: 1
  - .args:
      - .offset:         0
        .size:           40
        .value_kind:     by_value
    .group_segment_fixed_size: 0
    .kernarg_segment_align: 8
    .kernarg_segment_size: 40
    .language:       OpenCL C
    .language_version:
      - 2
      - 0
    .max_flat_workgroup_size: 128
    .name:           _ZN7rocprim17ROCPRIM_400000_NS6detail17trampoline_kernelINS0_14default_configENS1_38merge_sort_block_merge_config_selectorIiNS0_10empty_typeEEEZZNS1_27merge_sort_block_merge_implIS3_N6thrust23THRUST_200600_302600_NS10device_ptrIiEEPS5_jNS1_19radix_merge_compareILb0ELb0EiNS0_19identity_decomposerEEEEE10hipError_tT0_T1_T2_jT3_P12ihipStream_tbPNSt15iterator_traitsISH_E10value_typeEPNSN_ISI_E10value_typeEPSJ_NS1_7vsmem_tEENKUlT_SH_SI_SJ_E_clISB_PiSC_SC_EESG_SW_SH_SI_SJ_EUlSW_E_NS1_11comp_targetILNS1_3genE4ELNS1_11target_archE910ELNS1_3gpuE8ELNS1_3repE0EEENS1_48merge_mergepath_partition_config_static_selectorELNS0_4arch9wavefront6targetE0EEEvSI_
    .private_segment_fixed_size: 0
    .sgpr_count:     0
    .sgpr_spill_count: 0
    .symbol:         _ZN7rocprim17ROCPRIM_400000_NS6detail17trampoline_kernelINS0_14default_configENS1_38merge_sort_block_merge_config_selectorIiNS0_10empty_typeEEEZZNS1_27merge_sort_block_merge_implIS3_N6thrust23THRUST_200600_302600_NS10device_ptrIiEEPS5_jNS1_19radix_merge_compareILb0ELb0EiNS0_19identity_decomposerEEEEE10hipError_tT0_T1_T2_jT3_P12ihipStream_tbPNSt15iterator_traitsISH_E10value_typeEPNSN_ISI_E10value_typeEPSJ_NS1_7vsmem_tEENKUlT_SH_SI_SJ_E_clISB_PiSC_SC_EESG_SW_SH_SI_SJ_EUlSW_E_NS1_11comp_targetILNS1_3genE4ELNS1_11target_archE910ELNS1_3gpuE8ELNS1_3repE0EEENS1_48merge_mergepath_partition_config_static_selectorELNS0_4arch9wavefront6targetE0EEEvSI_.kd
    .uniform_work_group_size: 1
    .uses_dynamic_stack: false
    .vgpr_count:     0
    .vgpr_spill_count: 0
    .wavefront_size: 32
    .workgroup_processor_mode: 1
  - .args:
      - .offset:         0
        .size:           40
        .value_kind:     by_value
    .group_segment_fixed_size: 0
    .kernarg_segment_align: 8
    .kernarg_segment_size: 40
    .language:       OpenCL C
    .language_version:
      - 2
      - 0
    .max_flat_workgroup_size: 128
    .name:           _ZN7rocprim17ROCPRIM_400000_NS6detail17trampoline_kernelINS0_14default_configENS1_38merge_sort_block_merge_config_selectorIiNS0_10empty_typeEEEZZNS1_27merge_sort_block_merge_implIS3_N6thrust23THRUST_200600_302600_NS10device_ptrIiEEPS5_jNS1_19radix_merge_compareILb0ELb0EiNS0_19identity_decomposerEEEEE10hipError_tT0_T1_T2_jT3_P12ihipStream_tbPNSt15iterator_traitsISH_E10value_typeEPNSN_ISI_E10value_typeEPSJ_NS1_7vsmem_tEENKUlT_SH_SI_SJ_E_clISB_PiSC_SC_EESG_SW_SH_SI_SJ_EUlSW_E_NS1_11comp_targetILNS1_3genE3ELNS1_11target_archE908ELNS1_3gpuE7ELNS1_3repE0EEENS1_48merge_mergepath_partition_config_static_selectorELNS0_4arch9wavefront6targetE0EEEvSI_
    .private_segment_fixed_size: 0
    .sgpr_count:     0
    .sgpr_spill_count: 0
    .symbol:         _ZN7rocprim17ROCPRIM_400000_NS6detail17trampoline_kernelINS0_14default_configENS1_38merge_sort_block_merge_config_selectorIiNS0_10empty_typeEEEZZNS1_27merge_sort_block_merge_implIS3_N6thrust23THRUST_200600_302600_NS10device_ptrIiEEPS5_jNS1_19radix_merge_compareILb0ELb0EiNS0_19identity_decomposerEEEEE10hipError_tT0_T1_T2_jT3_P12ihipStream_tbPNSt15iterator_traitsISH_E10value_typeEPNSN_ISI_E10value_typeEPSJ_NS1_7vsmem_tEENKUlT_SH_SI_SJ_E_clISB_PiSC_SC_EESG_SW_SH_SI_SJ_EUlSW_E_NS1_11comp_targetILNS1_3genE3ELNS1_11target_archE908ELNS1_3gpuE7ELNS1_3repE0EEENS1_48merge_mergepath_partition_config_static_selectorELNS0_4arch9wavefront6targetE0EEEvSI_.kd
    .uniform_work_group_size: 1
    .uses_dynamic_stack: false
    .vgpr_count:     0
    .vgpr_spill_count: 0
    .wavefront_size: 32
    .workgroup_processor_mode: 1
  - .args:
      - .offset:         0
        .size:           40
        .value_kind:     by_value
    .group_segment_fixed_size: 0
    .kernarg_segment_align: 8
    .kernarg_segment_size: 40
    .language:       OpenCL C
    .language_version:
      - 2
      - 0
    .max_flat_workgroup_size: 128
    .name:           _ZN7rocprim17ROCPRIM_400000_NS6detail17trampoline_kernelINS0_14default_configENS1_38merge_sort_block_merge_config_selectorIiNS0_10empty_typeEEEZZNS1_27merge_sort_block_merge_implIS3_N6thrust23THRUST_200600_302600_NS10device_ptrIiEEPS5_jNS1_19radix_merge_compareILb0ELb0EiNS0_19identity_decomposerEEEEE10hipError_tT0_T1_T2_jT3_P12ihipStream_tbPNSt15iterator_traitsISH_E10value_typeEPNSN_ISI_E10value_typeEPSJ_NS1_7vsmem_tEENKUlT_SH_SI_SJ_E_clISB_PiSC_SC_EESG_SW_SH_SI_SJ_EUlSW_E_NS1_11comp_targetILNS1_3genE2ELNS1_11target_archE906ELNS1_3gpuE6ELNS1_3repE0EEENS1_48merge_mergepath_partition_config_static_selectorELNS0_4arch9wavefront6targetE0EEEvSI_
    .private_segment_fixed_size: 0
    .sgpr_count:     0
    .sgpr_spill_count: 0
    .symbol:         _ZN7rocprim17ROCPRIM_400000_NS6detail17trampoline_kernelINS0_14default_configENS1_38merge_sort_block_merge_config_selectorIiNS0_10empty_typeEEEZZNS1_27merge_sort_block_merge_implIS3_N6thrust23THRUST_200600_302600_NS10device_ptrIiEEPS5_jNS1_19radix_merge_compareILb0ELb0EiNS0_19identity_decomposerEEEEE10hipError_tT0_T1_T2_jT3_P12ihipStream_tbPNSt15iterator_traitsISH_E10value_typeEPNSN_ISI_E10value_typeEPSJ_NS1_7vsmem_tEENKUlT_SH_SI_SJ_E_clISB_PiSC_SC_EESG_SW_SH_SI_SJ_EUlSW_E_NS1_11comp_targetILNS1_3genE2ELNS1_11target_archE906ELNS1_3gpuE6ELNS1_3repE0EEENS1_48merge_mergepath_partition_config_static_selectorELNS0_4arch9wavefront6targetE0EEEvSI_.kd
    .uniform_work_group_size: 1
    .uses_dynamic_stack: false
    .vgpr_count:     0
    .vgpr_spill_count: 0
    .wavefront_size: 32
    .workgroup_processor_mode: 1
  - .args:
      - .offset:         0
        .size:           40
        .value_kind:     by_value
    .group_segment_fixed_size: 0
    .kernarg_segment_align: 8
    .kernarg_segment_size: 40
    .language:       OpenCL C
    .language_version:
      - 2
      - 0
    .max_flat_workgroup_size: 128
    .name:           _ZN7rocprim17ROCPRIM_400000_NS6detail17trampoline_kernelINS0_14default_configENS1_38merge_sort_block_merge_config_selectorIiNS0_10empty_typeEEEZZNS1_27merge_sort_block_merge_implIS3_N6thrust23THRUST_200600_302600_NS10device_ptrIiEEPS5_jNS1_19radix_merge_compareILb0ELb0EiNS0_19identity_decomposerEEEEE10hipError_tT0_T1_T2_jT3_P12ihipStream_tbPNSt15iterator_traitsISH_E10value_typeEPNSN_ISI_E10value_typeEPSJ_NS1_7vsmem_tEENKUlT_SH_SI_SJ_E_clISB_PiSC_SC_EESG_SW_SH_SI_SJ_EUlSW_E_NS1_11comp_targetILNS1_3genE9ELNS1_11target_archE1100ELNS1_3gpuE3ELNS1_3repE0EEENS1_48merge_mergepath_partition_config_static_selectorELNS0_4arch9wavefront6targetE0EEEvSI_
    .private_segment_fixed_size: 0
    .sgpr_count:     0
    .sgpr_spill_count: 0
    .symbol:         _ZN7rocprim17ROCPRIM_400000_NS6detail17trampoline_kernelINS0_14default_configENS1_38merge_sort_block_merge_config_selectorIiNS0_10empty_typeEEEZZNS1_27merge_sort_block_merge_implIS3_N6thrust23THRUST_200600_302600_NS10device_ptrIiEEPS5_jNS1_19radix_merge_compareILb0ELb0EiNS0_19identity_decomposerEEEEE10hipError_tT0_T1_T2_jT3_P12ihipStream_tbPNSt15iterator_traitsISH_E10value_typeEPNSN_ISI_E10value_typeEPSJ_NS1_7vsmem_tEENKUlT_SH_SI_SJ_E_clISB_PiSC_SC_EESG_SW_SH_SI_SJ_EUlSW_E_NS1_11comp_targetILNS1_3genE9ELNS1_11target_archE1100ELNS1_3gpuE3ELNS1_3repE0EEENS1_48merge_mergepath_partition_config_static_selectorELNS0_4arch9wavefront6targetE0EEEvSI_.kd
    .uniform_work_group_size: 1
    .uses_dynamic_stack: false
    .vgpr_count:     0
    .vgpr_spill_count: 0
    .wavefront_size: 32
    .workgroup_processor_mode: 1
  - .args:
      - .offset:         0
        .size:           40
        .value_kind:     by_value
    .group_segment_fixed_size: 0
    .kernarg_segment_align: 8
    .kernarg_segment_size: 40
    .language:       OpenCL C
    .language_version:
      - 2
      - 0
    .max_flat_workgroup_size: 128
    .name:           _ZN7rocprim17ROCPRIM_400000_NS6detail17trampoline_kernelINS0_14default_configENS1_38merge_sort_block_merge_config_selectorIiNS0_10empty_typeEEEZZNS1_27merge_sort_block_merge_implIS3_N6thrust23THRUST_200600_302600_NS10device_ptrIiEEPS5_jNS1_19radix_merge_compareILb0ELb0EiNS0_19identity_decomposerEEEEE10hipError_tT0_T1_T2_jT3_P12ihipStream_tbPNSt15iterator_traitsISH_E10value_typeEPNSN_ISI_E10value_typeEPSJ_NS1_7vsmem_tEENKUlT_SH_SI_SJ_E_clISB_PiSC_SC_EESG_SW_SH_SI_SJ_EUlSW_E_NS1_11comp_targetILNS1_3genE8ELNS1_11target_archE1030ELNS1_3gpuE2ELNS1_3repE0EEENS1_48merge_mergepath_partition_config_static_selectorELNS0_4arch9wavefront6targetE0EEEvSI_
    .private_segment_fixed_size: 0
    .sgpr_count:     9
    .sgpr_spill_count: 0
    .symbol:         _ZN7rocprim17ROCPRIM_400000_NS6detail17trampoline_kernelINS0_14default_configENS1_38merge_sort_block_merge_config_selectorIiNS0_10empty_typeEEEZZNS1_27merge_sort_block_merge_implIS3_N6thrust23THRUST_200600_302600_NS10device_ptrIiEEPS5_jNS1_19radix_merge_compareILb0ELb0EiNS0_19identity_decomposerEEEEE10hipError_tT0_T1_T2_jT3_P12ihipStream_tbPNSt15iterator_traitsISH_E10value_typeEPNSN_ISI_E10value_typeEPSJ_NS1_7vsmem_tEENKUlT_SH_SI_SJ_E_clISB_PiSC_SC_EESG_SW_SH_SI_SJ_EUlSW_E_NS1_11comp_targetILNS1_3genE8ELNS1_11target_archE1030ELNS1_3gpuE2ELNS1_3repE0EEENS1_48merge_mergepath_partition_config_static_selectorELNS0_4arch9wavefront6targetE0EEEvSI_.kd
    .uniform_work_group_size: 1
    .uses_dynamic_stack: false
    .vgpr_count:     15
    .vgpr_spill_count: 0
    .wavefront_size: 32
    .workgroup_processor_mode: 1
  - .args:
      - .offset:         0
        .size:           64
        .value_kind:     by_value
    .group_segment_fixed_size: 0
    .kernarg_segment_align: 8
    .kernarg_segment_size: 64
    .language:       OpenCL C
    .language_version:
      - 2
      - 0
    .max_flat_workgroup_size: 128
    .name:           _ZN7rocprim17ROCPRIM_400000_NS6detail17trampoline_kernelINS0_14default_configENS1_38merge_sort_block_merge_config_selectorIiNS0_10empty_typeEEEZZNS1_27merge_sort_block_merge_implIS3_N6thrust23THRUST_200600_302600_NS10device_ptrIiEEPS5_jNS1_19radix_merge_compareILb0ELb0EiNS0_19identity_decomposerEEEEE10hipError_tT0_T1_T2_jT3_P12ihipStream_tbPNSt15iterator_traitsISH_E10value_typeEPNSN_ISI_E10value_typeEPSJ_NS1_7vsmem_tEENKUlT_SH_SI_SJ_E_clISB_PiSC_SC_EESG_SW_SH_SI_SJ_EUlSW_E0_NS1_11comp_targetILNS1_3genE0ELNS1_11target_archE4294967295ELNS1_3gpuE0ELNS1_3repE0EEENS1_38merge_mergepath_config_static_selectorELNS0_4arch9wavefront6targetE0EEEvSI_
    .private_segment_fixed_size: 0
    .sgpr_count:     0
    .sgpr_spill_count: 0
    .symbol:         _ZN7rocprim17ROCPRIM_400000_NS6detail17trampoline_kernelINS0_14default_configENS1_38merge_sort_block_merge_config_selectorIiNS0_10empty_typeEEEZZNS1_27merge_sort_block_merge_implIS3_N6thrust23THRUST_200600_302600_NS10device_ptrIiEEPS5_jNS1_19radix_merge_compareILb0ELb0EiNS0_19identity_decomposerEEEEE10hipError_tT0_T1_T2_jT3_P12ihipStream_tbPNSt15iterator_traitsISH_E10value_typeEPNSN_ISI_E10value_typeEPSJ_NS1_7vsmem_tEENKUlT_SH_SI_SJ_E_clISB_PiSC_SC_EESG_SW_SH_SI_SJ_EUlSW_E0_NS1_11comp_targetILNS1_3genE0ELNS1_11target_archE4294967295ELNS1_3gpuE0ELNS1_3repE0EEENS1_38merge_mergepath_config_static_selectorELNS0_4arch9wavefront6targetE0EEEvSI_.kd
    .uniform_work_group_size: 1
    .uses_dynamic_stack: false
    .vgpr_count:     0
    .vgpr_spill_count: 0
    .wavefront_size: 32
    .workgroup_processor_mode: 1
  - .args:
      - .offset:         0
        .size:           64
        .value_kind:     by_value
    .group_segment_fixed_size: 0
    .kernarg_segment_align: 8
    .kernarg_segment_size: 64
    .language:       OpenCL C
    .language_version:
      - 2
      - 0
    .max_flat_workgroup_size: 256
    .name:           _ZN7rocprim17ROCPRIM_400000_NS6detail17trampoline_kernelINS0_14default_configENS1_38merge_sort_block_merge_config_selectorIiNS0_10empty_typeEEEZZNS1_27merge_sort_block_merge_implIS3_N6thrust23THRUST_200600_302600_NS10device_ptrIiEEPS5_jNS1_19radix_merge_compareILb0ELb0EiNS0_19identity_decomposerEEEEE10hipError_tT0_T1_T2_jT3_P12ihipStream_tbPNSt15iterator_traitsISH_E10value_typeEPNSN_ISI_E10value_typeEPSJ_NS1_7vsmem_tEENKUlT_SH_SI_SJ_E_clISB_PiSC_SC_EESG_SW_SH_SI_SJ_EUlSW_E0_NS1_11comp_targetILNS1_3genE10ELNS1_11target_archE1201ELNS1_3gpuE5ELNS1_3repE0EEENS1_38merge_mergepath_config_static_selectorELNS0_4arch9wavefront6targetE0EEEvSI_
    .private_segment_fixed_size: 0
    .sgpr_count:     0
    .sgpr_spill_count: 0
    .symbol:         _ZN7rocprim17ROCPRIM_400000_NS6detail17trampoline_kernelINS0_14default_configENS1_38merge_sort_block_merge_config_selectorIiNS0_10empty_typeEEEZZNS1_27merge_sort_block_merge_implIS3_N6thrust23THRUST_200600_302600_NS10device_ptrIiEEPS5_jNS1_19radix_merge_compareILb0ELb0EiNS0_19identity_decomposerEEEEE10hipError_tT0_T1_T2_jT3_P12ihipStream_tbPNSt15iterator_traitsISH_E10value_typeEPNSN_ISI_E10value_typeEPSJ_NS1_7vsmem_tEENKUlT_SH_SI_SJ_E_clISB_PiSC_SC_EESG_SW_SH_SI_SJ_EUlSW_E0_NS1_11comp_targetILNS1_3genE10ELNS1_11target_archE1201ELNS1_3gpuE5ELNS1_3repE0EEENS1_38merge_mergepath_config_static_selectorELNS0_4arch9wavefront6targetE0EEEvSI_.kd
    .uniform_work_group_size: 1
    .uses_dynamic_stack: false
    .vgpr_count:     0
    .vgpr_spill_count: 0
    .wavefront_size: 32
    .workgroup_processor_mode: 1
  - .args:
      - .offset:         0
        .size:           64
        .value_kind:     by_value
    .group_segment_fixed_size: 0
    .kernarg_segment_align: 8
    .kernarg_segment_size: 64
    .language:       OpenCL C
    .language_version:
      - 2
      - 0
    .max_flat_workgroup_size: 128
    .name:           _ZN7rocprim17ROCPRIM_400000_NS6detail17trampoline_kernelINS0_14default_configENS1_38merge_sort_block_merge_config_selectorIiNS0_10empty_typeEEEZZNS1_27merge_sort_block_merge_implIS3_N6thrust23THRUST_200600_302600_NS10device_ptrIiEEPS5_jNS1_19radix_merge_compareILb0ELb0EiNS0_19identity_decomposerEEEEE10hipError_tT0_T1_T2_jT3_P12ihipStream_tbPNSt15iterator_traitsISH_E10value_typeEPNSN_ISI_E10value_typeEPSJ_NS1_7vsmem_tEENKUlT_SH_SI_SJ_E_clISB_PiSC_SC_EESG_SW_SH_SI_SJ_EUlSW_E0_NS1_11comp_targetILNS1_3genE5ELNS1_11target_archE942ELNS1_3gpuE9ELNS1_3repE0EEENS1_38merge_mergepath_config_static_selectorELNS0_4arch9wavefront6targetE0EEEvSI_
    .private_segment_fixed_size: 0
    .sgpr_count:     0
    .sgpr_spill_count: 0
    .symbol:         _ZN7rocprim17ROCPRIM_400000_NS6detail17trampoline_kernelINS0_14default_configENS1_38merge_sort_block_merge_config_selectorIiNS0_10empty_typeEEEZZNS1_27merge_sort_block_merge_implIS3_N6thrust23THRUST_200600_302600_NS10device_ptrIiEEPS5_jNS1_19radix_merge_compareILb0ELb0EiNS0_19identity_decomposerEEEEE10hipError_tT0_T1_T2_jT3_P12ihipStream_tbPNSt15iterator_traitsISH_E10value_typeEPNSN_ISI_E10value_typeEPSJ_NS1_7vsmem_tEENKUlT_SH_SI_SJ_E_clISB_PiSC_SC_EESG_SW_SH_SI_SJ_EUlSW_E0_NS1_11comp_targetILNS1_3genE5ELNS1_11target_archE942ELNS1_3gpuE9ELNS1_3repE0EEENS1_38merge_mergepath_config_static_selectorELNS0_4arch9wavefront6targetE0EEEvSI_.kd
    .uniform_work_group_size: 1
    .uses_dynamic_stack: false
    .vgpr_count:     0
    .vgpr_spill_count: 0
    .wavefront_size: 32
    .workgroup_processor_mode: 1
  - .args:
      - .offset:         0
        .size:           64
        .value_kind:     by_value
    .group_segment_fixed_size: 0
    .kernarg_segment_align: 8
    .kernarg_segment_size: 64
    .language:       OpenCL C
    .language_version:
      - 2
      - 0
    .max_flat_workgroup_size: 128
    .name:           _ZN7rocprim17ROCPRIM_400000_NS6detail17trampoline_kernelINS0_14default_configENS1_38merge_sort_block_merge_config_selectorIiNS0_10empty_typeEEEZZNS1_27merge_sort_block_merge_implIS3_N6thrust23THRUST_200600_302600_NS10device_ptrIiEEPS5_jNS1_19radix_merge_compareILb0ELb0EiNS0_19identity_decomposerEEEEE10hipError_tT0_T1_T2_jT3_P12ihipStream_tbPNSt15iterator_traitsISH_E10value_typeEPNSN_ISI_E10value_typeEPSJ_NS1_7vsmem_tEENKUlT_SH_SI_SJ_E_clISB_PiSC_SC_EESG_SW_SH_SI_SJ_EUlSW_E0_NS1_11comp_targetILNS1_3genE4ELNS1_11target_archE910ELNS1_3gpuE8ELNS1_3repE0EEENS1_38merge_mergepath_config_static_selectorELNS0_4arch9wavefront6targetE0EEEvSI_
    .private_segment_fixed_size: 0
    .sgpr_count:     0
    .sgpr_spill_count: 0
    .symbol:         _ZN7rocprim17ROCPRIM_400000_NS6detail17trampoline_kernelINS0_14default_configENS1_38merge_sort_block_merge_config_selectorIiNS0_10empty_typeEEEZZNS1_27merge_sort_block_merge_implIS3_N6thrust23THRUST_200600_302600_NS10device_ptrIiEEPS5_jNS1_19radix_merge_compareILb0ELb0EiNS0_19identity_decomposerEEEEE10hipError_tT0_T1_T2_jT3_P12ihipStream_tbPNSt15iterator_traitsISH_E10value_typeEPNSN_ISI_E10value_typeEPSJ_NS1_7vsmem_tEENKUlT_SH_SI_SJ_E_clISB_PiSC_SC_EESG_SW_SH_SI_SJ_EUlSW_E0_NS1_11comp_targetILNS1_3genE4ELNS1_11target_archE910ELNS1_3gpuE8ELNS1_3repE0EEENS1_38merge_mergepath_config_static_selectorELNS0_4arch9wavefront6targetE0EEEvSI_.kd
    .uniform_work_group_size: 1
    .uses_dynamic_stack: false
    .vgpr_count:     0
    .vgpr_spill_count: 0
    .wavefront_size: 32
    .workgroup_processor_mode: 1
  - .args:
      - .offset:         0
        .size:           64
        .value_kind:     by_value
    .group_segment_fixed_size: 0
    .kernarg_segment_align: 8
    .kernarg_segment_size: 64
    .language:       OpenCL C
    .language_version:
      - 2
      - 0
    .max_flat_workgroup_size: 128
    .name:           _ZN7rocprim17ROCPRIM_400000_NS6detail17trampoline_kernelINS0_14default_configENS1_38merge_sort_block_merge_config_selectorIiNS0_10empty_typeEEEZZNS1_27merge_sort_block_merge_implIS3_N6thrust23THRUST_200600_302600_NS10device_ptrIiEEPS5_jNS1_19radix_merge_compareILb0ELb0EiNS0_19identity_decomposerEEEEE10hipError_tT0_T1_T2_jT3_P12ihipStream_tbPNSt15iterator_traitsISH_E10value_typeEPNSN_ISI_E10value_typeEPSJ_NS1_7vsmem_tEENKUlT_SH_SI_SJ_E_clISB_PiSC_SC_EESG_SW_SH_SI_SJ_EUlSW_E0_NS1_11comp_targetILNS1_3genE3ELNS1_11target_archE908ELNS1_3gpuE7ELNS1_3repE0EEENS1_38merge_mergepath_config_static_selectorELNS0_4arch9wavefront6targetE0EEEvSI_
    .private_segment_fixed_size: 0
    .sgpr_count:     0
    .sgpr_spill_count: 0
    .symbol:         _ZN7rocprim17ROCPRIM_400000_NS6detail17trampoline_kernelINS0_14default_configENS1_38merge_sort_block_merge_config_selectorIiNS0_10empty_typeEEEZZNS1_27merge_sort_block_merge_implIS3_N6thrust23THRUST_200600_302600_NS10device_ptrIiEEPS5_jNS1_19radix_merge_compareILb0ELb0EiNS0_19identity_decomposerEEEEE10hipError_tT0_T1_T2_jT3_P12ihipStream_tbPNSt15iterator_traitsISH_E10value_typeEPNSN_ISI_E10value_typeEPSJ_NS1_7vsmem_tEENKUlT_SH_SI_SJ_E_clISB_PiSC_SC_EESG_SW_SH_SI_SJ_EUlSW_E0_NS1_11comp_targetILNS1_3genE3ELNS1_11target_archE908ELNS1_3gpuE7ELNS1_3repE0EEENS1_38merge_mergepath_config_static_selectorELNS0_4arch9wavefront6targetE0EEEvSI_.kd
    .uniform_work_group_size: 1
    .uses_dynamic_stack: false
    .vgpr_count:     0
    .vgpr_spill_count: 0
    .wavefront_size: 32
    .workgroup_processor_mode: 1
  - .args:
      - .offset:         0
        .size:           64
        .value_kind:     by_value
    .group_segment_fixed_size: 0
    .kernarg_segment_align: 8
    .kernarg_segment_size: 64
    .language:       OpenCL C
    .language_version:
      - 2
      - 0
    .max_flat_workgroup_size: 128
    .name:           _ZN7rocprim17ROCPRIM_400000_NS6detail17trampoline_kernelINS0_14default_configENS1_38merge_sort_block_merge_config_selectorIiNS0_10empty_typeEEEZZNS1_27merge_sort_block_merge_implIS3_N6thrust23THRUST_200600_302600_NS10device_ptrIiEEPS5_jNS1_19radix_merge_compareILb0ELb0EiNS0_19identity_decomposerEEEEE10hipError_tT0_T1_T2_jT3_P12ihipStream_tbPNSt15iterator_traitsISH_E10value_typeEPNSN_ISI_E10value_typeEPSJ_NS1_7vsmem_tEENKUlT_SH_SI_SJ_E_clISB_PiSC_SC_EESG_SW_SH_SI_SJ_EUlSW_E0_NS1_11comp_targetILNS1_3genE2ELNS1_11target_archE906ELNS1_3gpuE6ELNS1_3repE0EEENS1_38merge_mergepath_config_static_selectorELNS0_4arch9wavefront6targetE0EEEvSI_
    .private_segment_fixed_size: 0
    .sgpr_count:     0
    .sgpr_spill_count: 0
    .symbol:         _ZN7rocprim17ROCPRIM_400000_NS6detail17trampoline_kernelINS0_14default_configENS1_38merge_sort_block_merge_config_selectorIiNS0_10empty_typeEEEZZNS1_27merge_sort_block_merge_implIS3_N6thrust23THRUST_200600_302600_NS10device_ptrIiEEPS5_jNS1_19radix_merge_compareILb0ELb0EiNS0_19identity_decomposerEEEEE10hipError_tT0_T1_T2_jT3_P12ihipStream_tbPNSt15iterator_traitsISH_E10value_typeEPNSN_ISI_E10value_typeEPSJ_NS1_7vsmem_tEENKUlT_SH_SI_SJ_E_clISB_PiSC_SC_EESG_SW_SH_SI_SJ_EUlSW_E0_NS1_11comp_targetILNS1_3genE2ELNS1_11target_archE906ELNS1_3gpuE6ELNS1_3repE0EEENS1_38merge_mergepath_config_static_selectorELNS0_4arch9wavefront6targetE0EEEvSI_.kd
    .uniform_work_group_size: 1
    .uses_dynamic_stack: false
    .vgpr_count:     0
    .vgpr_spill_count: 0
    .wavefront_size: 32
    .workgroup_processor_mode: 1
  - .args:
      - .offset:         0
        .size:           64
        .value_kind:     by_value
    .group_segment_fixed_size: 0
    .kernarg_segment_align: 8
    .kernarg_segment_size: 64
    .language:       OpenCL C
    .language_version:
      - 2
      - 0
    .max_flat_workgroup_size: 256
    .name:           _ZN7rocprim17ROCPRIM_400000_NS6detail17trampoline_kernelINS0_14default_configENS1_38merge_sort_block_merge_config_selectorIiNS0_10empty_typeEEEZZNS1_27merge_sort_block_merge_implIS3_N6thrust23THRUST_200600_302600_NS10device_ptrIiEEPS5_jNS1_19radix_merge_compareILb0ELb0EiNS0_19identity_decomposerEEEEE10hipError_tT0_T1_T2_jT3_P12ihipStream_tbPNSt15iterator_traitsISH_E10value_typeEPNSN_ISI_E10value_typeEPSJ_NS1_7vsmem_tEENKUlT_SH_SI_SJ_E_clISB_PiSC_SC_EESG_SW_SH_SI_SJ_EUlSW_E0_NS1_11comp_targetILNS1_3genE9ELNS1_11target_archE1100ELNS1_3gpuE3ELNS1_3repE0EEENS1_38merge_mergepath_config_static_selectorELNS0_4arch9wavefront6targetE0EEEvSI_
    .private_segment_fixed_size: 0
    .sgpr_count:     0
    .sgpr_spill_count: 0
    .symbol:         _ZN7rocprim17ROCPRIM_400000_NS6detail17trampoline_kernelINS0_14default_configENS1_38merge_sort_block_merge_config_selectorIiNS0_10empty_typeEEEZZNS1_27merge_sort_block_merge_implIS3_N6thrust23THRUST_200600_302600_NS10device_ptrIiEEPS5_jNS1_19radix_merge_compareILb0ELb0EiNS0_19identity_decomposerEEEEE10hipError_tT0_T1_T2_jT3_P12ihipStream_tbPNSt15iterator_traitsISH_E10value_typeEPNSN_ISI_E10value_typeEPSJ_NS1_7vsmem_tEENKUlT_SH_SI_SJ_E_clISB_PiSC_SC_EESG_SW_SH_SI_SJ_EUlSW_E0_NS1_11comp_targetILNS1_3genE9ELNS1_11target_archE1100ELNS1_3gpuE3ELNS1_3repE0EEENS1_38merge_mergepath_config_static_selectorELNS0_4arch9wavefront6targetE0EEEvSI_.kd
    .uniform_work_group_size: 1
    .uses_dynamic_stack: false
    .vgpr_count:     0
    .vgpr_spill_count: 0
    .wavefront_size: 32
    .workgroup_processor_mode: 1
  - .args:
      - .offset:         0
        .size:           64
        .value_kind:     by_value
      - .offset:         64
        .size:           4
        .value_kind:     hidden_block_count_x
      - .offset:         68
        .size:           4
        .value_kind:     hidden_block_count_y
      - .offset:         72
        .size:           4
        .value_kind:     hidden_block_count_z
      - .offset:         76
        .size:           2
        .value_kind:     hidden_group_size_x
      - .offset:         78
        .size:           2
        .value_kind:     hidden_group_size_y
      - .offset:         80
        .size:           2
        .value_kind:     hidden_group_size_z
      - .offset:         82
        .size:           2
        .value_kind:     hidden_remainder_x
      - .offset:         84
        .size:           2
        .value_kind:     hidden_remainder_y
      - .offset:         86
        .size:           2
        .value_kind:     hidden_remainder_z
      - .offset:         104
        .size:           8
        .value_kind:     hidden_global_offset_x
      - .offset:         112
        .size:           8
        .value_kind:     hidden_global_offset_y
      - .offset:         120
        .size:           8
        .value_kind:     hidden_global_offset_z
      - .offset:         128
        .size:           2
        .value_kind:     hidden_grid_dims
    .group_segment_fixed_size: 4224
    .kernarg_segment_align: 8
    .kernarg_segment_size: 320
    .language:       OpenCL C
    .language_version:
      - 2
      - 0
    .max_flat_workgroup_size: 512
    .name:           _ZN7rocprim17ROCPRIM_400000_NS6detail17trampoline_kernelINS0_14default_configENS1_38merge_sort_block_merge_config_selectorIiNS0_10empty_typeEEEZZNS1_27merge_sort_block_merge_implIS3_N6thrust23THRUST_200600_302600_NS10device_ptrIiEEPS5_jNS1_19radix_merge_compareILb0ELb0EiNS0_19identity_decomposerEEEEE10hipError_tT0_T1_T2_jT3_P12ihipStream_tbPNSt15iterator_traitsISH_E10value_typeEPNSN_ISI_E10value_typeEPSJ_NS1_7vsmem_tEENKUlT_SH_SI_SJ_E_clISB_PiSC_SC_EESG_SW_SH_SI_SJ_EUlSW_E0_NS1_11comp_targetILNS1_3genE8ELNS1_11target_archE1030ELNS1_3gpuE2ELNS1_3repE0EEENS1_38merge_mergepath_config_static_selectorELNS0_4arch9wavefront6targetE0EEEvSI_
    .private_segment_fixed_size: 0
    .sgpr_count:     25
    .sgpr_spill_count: 0
    .symbol:         _ZN7rocprim17ROCPRIM_400000_NS6detail17trampoline_kernelINS0_14default_configENS1_38merge_sort_block_merge_config_selectorIiNS0_10empty_typeEEEZZNS1_27merge_sort_block_merge_implIS3_N6thrust23THRUST_200600_302600_NS10device_ptrIiEEPS5_jNS1_19radix_merge_compareILb0ELb0EiNS0_19identity_decomposerEEEEE10hipError_tT0_T1_T2_jT3_P12ihipStream_tbPNSt15iterator_traitsISH_E10value_typeEPNSN_ISI_E10value_typeEPSJ_NS1_7vsmem_tEENKUlT_SH_SI_SJ_E_clISB_PiSC_SC_EESG_SW_SH_SI_SJ_EUlSW_E0_NS1_11comp_targetILNS1_3genE8ELNS1_11target_archE1030ELNS1_3gpuE2ELNS1_3repE0EEENS1_38merge_mergepath_config_static_selectorELNS0_4arch9wavefront6targetE0EEEvSI_.kd
    .uniform_work_group_size: 1
    .uses_dynamic_stack: false
    .vgpr_count:     14
    .vgpr_spill_count: 0
    .wavefront_size: 32
    .workgroup_processor_mode: 1
  - .args:
      - .offset:         0
        .size:           48
        .value_kind:     by_value
    .group_segment_fixed_size: 0
    .kernarg_segment_align: 8
    .kernarg_segment_size: 48
    .language:       OpenCL C
    .language_version:
      - 2
      - 0
    .max_flat_workgroup_size: 256
    .name:           _ZN7rocprim17ROCPRIM_400000_NS6detail17trampoline_kernelINS0_14default_configENS1_38merge_sort_block_merge_config_selectorIiNS0_10empty_typeEEEZZNS1_27merge_sort_block_merge_implIS3_N6thrust23THRUST_200600_302600_NS10device_ptrIiEEPS5_jNS1_19radix_merge_compareILb0ELb0EiNS0_19identity_decomposerEEEEE10hipError_tT0_T1_T2_jT3_P12ihipStream_tbPNSt15iterator_traitsISH_E10value_typeEPNSN_ISI_E10value_typeEPSJ_NS1_7vsmem_tEENKUlT_SH_SI_SJ_E_clISB_PiSC_SC_EESG_SW_SH_SI_SJ_EUlSW_E1_NS1_11comp_targetILNS1_3genE0ELNS1_11target_archE4294967295ELNS1_3gpuE0ELNS1_3repE0EEENS1_36merge_oddeven_config_static_selectorELNS0_4arch9wavefront6targetE0EEEvSI_
    .private_segment_fixed_size: 0
    .sgpr_count:     0
    .sgpr_spill_count: 0
    .symbol:         _ZN7rocprim17ROCPRIM_400000_NS6detail17trampoline_kernelINS0_14default_configENS1_38merge_sort_block_merge_config_selectorIiNS0_10empty_typeEEEZZNS1_27merge_sort_block_merge_implIS3_N6thrust23THRUST_200600_302600_NS10device_ptrIiEEPS5_jNS1_19radix_merge_compareILb0ELb0EiNS0_19identity_decomposerEEEEE10hipError_tT0_T1_T2_jT3_P12ihipStream_tbPNSt15iterator_traitsISH_E10value_typeEPNSN_ISI_E10value_typeEPSJ_NS1_7vsmem_tEENKUlT_SH_SI_SJ_E_clISB_PiSC_SC_EESG_SW_SH_SI_SJ_EUlSW_E1_NS1_11comp_targetILNS1_3genE0ELNS1_11target_archE4294967295ELNS1_3gpuE0ELNS1_3repE0EEENS1_36merge_oddeven_config_static_selectorELNS0_4arch9wavefront6targetE0EEEvSI_.kd
    .uniform_work_group_size: 1
    .uses_dynamic_stack: false
    .vgpr_count:     0
    .vgpr_spill_count: 0
    .wavefront_size: 32
    .workgroup_processor_mode: 1
  - .args:
      - .offset:         0
        .size:           48
        .value_kind:     by_value
    .group_segment_fixed_size: 0
    .kernarg_segment_align: 8
    .kernarg_segment_size: 48
    .language:       OpenCL C
    .language_version:
      - 2
      - 0
    .max_flat_workgroup_size: 256
    .name:           _ZN7rocprim17ROCPRIM_400000_NS6detail17trampoline_kernelINS0_14default_configENS1_38merge_sort_block_merge_config_selectorIiNS0_10empty_typeEEEZZNS1_27merge_sort_block_merge_implIS3_N6thrust23THRUST_200600_302600_NS10device_ptrIiEEPS5_jNS1_19radix_merge_compareILb0ELb0EiNS0_19identity_decomposerEEEEE10hipError_tT0_T1_T2_jT3_P12ihipStream_tbPNSt15iterator_traitsISH_E10value_typeEPNSN_ISI_E10value_typeEPSJ_NS1_7vsmem_tEENKUlT_SH_SI_SJ_E_clISB_PiSC_SC_EESG_SW_SH_SI_SJ_EUlSW_E1_NS1_11comp_targetILNS1_3genE10ELNS1_11target_archE1201ELNS1_3gpuE5ELNS1_3repE0EEENS1_36merge_oddeven_config_static_selectorELNS0_4arch9wavefront6targetE0EEEvSI_
    .private_segment_fixed_size: 0
    .sgpr_count:     0
    .sgpr_spill_count: 0
    .symbol:         _ZN7rocprim17ROCPRIM_400000_NS6detail17trampoline_kernelINS0_14default_configENS1_38merge_sort_block_merge_config_selectorIiNS0_10empty_typeEEEZZNS1_27merge_sort_block_merge_implIS3_N6thrust23THRUST_200600_302600_NS10device_ptrIiEEPS5_jNS1_19radix_merge_compareILb0ELb0EiNS0_19identity_decomposerEEEEE10hipError_tT0_T1_T2_jT3_P12ihipStream_tbPNSt15iterator_traitsISH_E10value_typeEPNSN_ISI_E10value_typeEPSJ_NS1_7vsmem_tEENKUlT_SH_SI_SJ_E_clISB_PiSC_SC_EESG_SW_SH_SI_SJ_EUlSW_E1_NS1_11comp_targetILNS1_3genE10ELNS1_11target_archE1201ELNS1_3gpuE5ELNS1_3repE0EEENS1_36merge_oddeven_config_static_selectorELNS0_4arch9wavefront6targetE0EEEvSI_.kd
    .uniform_work_group_size: 1
    .uses_dynamic_stack: false
    .vgpr_count:     0
    .vgpr_spill_count: 0
    .wavefront_size: 32
    .workgroup_processor_mode: 1
  - .args:
      - .offset:         0
        .size:           48
        .value_kind:     by_value
    .group_segment_fixed_size: 0
    .kernarg_segment_align: 8
    .kernarg_segment_size: 48
    .language:       OpenCL C
    .language_version:
      - 2
      - 0
    .max_flat_workgroup_size: 256
    .name:           _ZN7rocprim17ROCPRIM_400000_NS6detail17trampoline_kernelINS0_14default_configENS1_38merge_sort_block_merge_config_selectorIiNS0_10empty_typeEEEZZNS1_27merge_sort_block_merge_implIS3_N6thrust23THRUST_200600_302600_NS10device_ptrIiEEPS5_jNS1_19radix_merge_compareILb0ELb0EiNS0_19identity_decomposerEEEEE10hipError_tT0_T1_T2_jT3_P12ihipStream_tbPNSt15iterator_traitsISH_E10value_typeEPNSN_ISI_E10value_typeEPSJ_NS1_7vsmem_tEENKUlT_SH_SI_SJ_E_clISB_PiSC_SC_EESG_SW_SH_SI_SJ_EUlSW_E1_NS1_11comp_targetILNS1_3genE5ELNS1_11target_archE942ELNS1_3gpuE9ELNS1_3repE0EEENS1_36merge_oddeven_config_static_selectorELNS0_4arch9wavefront6targetE0EEEvSI_
    .private_segment_fixed_size: 0
    .sgpr_count:     0
    .sgpr_spill_count: 0
    .symbol:         _ZN7rocprim17ROCPRIM_400000_NS6detail17trampoline_kernelINS0_14default_configENS1_38merge_sort_block_merge_config_selectorIiNS0_10empty_typeEEEZZNS1_27merge_sort_block_merge_implIS3_N6thrust23THRUST_200600_302600_NS10device_ptrIiEEPS5_jNS1_19radix_merge_compareILb0ELb0EiNS0_19identity_decomposerEEEEE10hipError_tT0_T1_T2_jT3_P12ihipStream_tbPNSt15iterator_traitsISH_E10value_typeEPNSN_ISI_E10value_typeEPSJ_NS1_7vsmem_tEENKUlT_SH_SI_SJ_E_clISB_PiSC_SC_EESG_SW_SH_SI_SJ_EUlSW_E1_NS1_11comp_targetILNS1_3genE5ELNS1_11target_archE942ELNS1_3gpuE9ELNS1_3repE0EEENS1_36merge_oddeven_config_static_selectorELNS0_4arch9wavefront6targetE0EEEvSI_.kd
    .uniform_work_group_size: 1
    .uses_dynamic_stack: false
    .vgpr_count:     0
    .vgpr_spill_count: 0
    .wavefront_size: 32
    .workgroup_processor_mode: 1
  - .args:
      - .offset:         0
        .size:           48
        .value_kind:     by_value
    .group_segment_fixed_size: 0
    .kernarg_segment_align: 8
    .kernarg_segment_size: 48
    .language:       OpenCL C
    .language_version:
      - 2
      - 0
    .max_flat_workgroup_size: 256
    .name:           _ZN7rocprim17ROCPRIM_400000_NS6detail17trampoline_kernelINS0_14default_configENS1_38merge_sort_block_merge_config_selectorIiNS0_10empty_typeEEEZZNS1_27merge_sort_block_merge_implIS3_N6thrust23THRUST_200600_302600_NS10device_ptrIiEEPS5_jNS1_19radix_merge_compareILb0ELb0EiNS0_19identity_decomposerEEEEE10hipError_tT0_T1_T2_jT3_P12ihipStream_tbPNSt15iterator_traitsISH_E10value_typeEPNSN_ISI_E10value_typeEPSJ_NS1_7vsmem_tEENKUlT_SH_SI_SJ_E_clISB_PiSC_SC_EESG_SW_SH_SI_SJ_EUlSW_E1_NS1_11comp_targetILNS1_3genE4ELNS1_11target_archE910ELNS1_3gpuE8ELNS1_3repE0EEENS1_36merge_oddeven_config_static_selectorELNS0_4arch9wavefront6targetE0EEEvSI_
    .private_segment_fixed_size: 0
    .sgpr_count:     0
    .sgpr_spill_count: 0
    .symbol:         _ZN7rocprim17ROCPRIM_400000_NS6detail17trampoline_kernelINS0_14default_configENS1_38merge_sort_block_merge_config_selectorIiNS0_10empty_typeEEEZZNS1_27merge_sort_block_merge_implIS3_N6thrust23THRUST_200600_302600_NS10device_ptrIiEEPS5_jNS1_19radix_merge_compareILb0ELb0EiNS0_19identity_decomposerEEEEE10hipError_tT0_T1_T2_jT3_P12ihipStream_tbPNSt15iterator_traitsISH_E10value_typeEPNSN_ISI_E10value_typeEPSJ_NS1_7vsmem_tEENKUlT_SH_SI_SJ_E_clISB_PiSC_SC_EESG_SW_SH_SI_SJ_EUlSW_E1_NS1_11comp_targetILNS1_3genE4ELNS1_11target_archE910ELNS1_3gpuE8ELNS1_3repE0EEENS1_36merge_oddeven_config_static_selectorELNS0_4arch9wavefront6targetE0EEEvSI_.kd
    .uniform_work_group_size: 1
    .uses_dynamic_stack: false
    .vgpr_count:     0
    .vgpr_spill_count: 0
    .wavefront_size: 32
    .workgroup_processor_mode: 1
  - .args:
      - .offset:         0
        .size:           48
        .value_kind:     by_value
    .group_segment_fixed_size: 0
    .kernarg_segment_align: 8
    .kernarg_segment_size: 48
    .language:       OpenCL C
    .language_version:
      - 2
      - 0
    .max_flat_workgroup_size: 256
    .name:           _ZN7rocprim17ROCPRIM_400000_NS6detail17trampoline_kernelINS0_14default_configENS1_38merge_sort_block_merge_config_selectorIiNS0_10empty_typeEEEZZNS1_27merge_sort_block_merge_implIS3_N6thrust23THRUST_200600_302600_NS10device_ptrIiEEPS5_jNS1_19radix_merge_compareILb0ELb0EiNS0_19identity_decomposerEEEEE10hipError_tT0_T1_T2_jT3_P12ihipStream_tbPNSt15iterator_traitsISH_E10value_typeEPNSN_ISI_E10value_typeEPSJ_NS1_7vsmem_tEENKUlT_SH_SI_SJ_E_clISB_PiSC_SC_EESG_SW_SH_SI_SJ_EUlSW_E1_NS1_11comp_targetILNS1_3genE3ELNS1_11target_archE908ELNS1_3gpuE7ELNS1_3repE0EEENS1_36merge_oddeven_config_static_selectorELNS0_4arch9wavefront6targetE0EEEvSI_
    .private_segment_fixed_size: 0
    .sgpr_count:     0
    .sgpr_spill_count: 0
    .symbol:         _ZN7rocprim17ROCPRIM_400000_NS6detail17trampoline_kernelINS0_14default_configENS1_38merge_sort_block_merge_config_selectorIiNS0_10empty_typeEEEZZNS1_27merge_sort_block_merge_implIS3_N6thrust23THRUST_200600_302600_NS10device_ptrIiEEPS5_jNS1_19radix_merge_compareILb0ELb0EiNS0_19identity_decomposerEEEEE10hipError_tT0_T1_T2_jT3_P12ihipStream_tbPNSt15iterator_traitsISH_E10value_typeEPNSN_ISI_E10value_typeEPSJ_NS1_7vsmem_tEENKUlT_SH_SI_SJ_E_clISB_PiSC_SC_EESG_SW_SH_SI_SJ_EUlSW_E1_NS1_11comp_targetILNS1_3genE3ELNS1_11target_archE908ELNS1_3gpuE7ELNS1_3repE0EEENS1_36merge_oddeven_config_static_selectorELNS0_4arch9wavefront6targetE0EEEvSI_.kd
    .uniform_work_group_size: 1
    .uses_dynamic_stack: false
    .vgpr_count:     0
    .vgpr_spill_count: 0
    .wavefront_size: 32
    .workgroup_processor_mode: 1
  - .args:
      - .offset:         0
        .size:           48
        .value_kind:     by_value
    .group_segment_fixed_size: 0
    .kernarg_segment_align: 8
    .kernarg_segment_size: 48
    .language:       OpenCL C
    .language_version:
      - 2
      - 0
    .max_flat_workgroup_size: 256
    .name:           _ZN7rocprim17ROCPRIM_400000_NS6detail17trampoline_kernelINS0_14default_configENS1_38merge_sort_block_merge_config_selectorIiNS0_10empty_typeEEEZZNS1_27merge_sort_block_merge_implIS3_N6thrust23THRUST_200600_302600_NS10device_ptrIiEEPS5_jNS1_19radix_merge_compareILb0ELb0EiNS0_19identity_decomposerEEEEE10hipError_tT0_T1_T2_jT3_P12ihipStream_tbPNSt15iterator_traitsISH_E10value_typeEPNSN_ISI_E10value_typeEPSJ_NS1_7vsmem_tEENKUlT_SH_SI_SJ_E_clISB_PiSC_SC_EESG_SW_SH_SI_SJ_EUlSW_E1_NS1_11comp_targetILNS1_3genE2ELNS1_11target_archE906ELNS1_3gpuE6ELNS1_3repE0EEENS1_36merge_oddeven_config_static_selectorELNS0_4arch9wavefront6targetE0EEEvSI_
    .private_segment_fixed_size: 0
    .sgpr_count:     0
    .sgpr_spill_count: 0
    .symbol:         _ZN7rocprim17ROCPRIM_400000_NS6detail17trampoline_kernelINS0_14default_configENS1_38merge_sort_block_merge_config_selectorIiNS0_10empty_typeEEEZZNS1_27merge_sort_block_merge_implIS3_N6thrust23THRUST_200600_302600_NS10device_ptrIiEEPS5_jNS1_19radix_merge_compareILb0ELb0EiNS0_19identity_decomposerEEEEE10hipError_tT0_T1_T2_jT3_P12ihipStream_tbPNSt15iterator_traitsISH_E10value_typeEPNSN_ISI_E10value_typeEPSJ_NS1_7vsmem_tEENKUlT_SH_SI_SJ_E_clISB_PiSC_SC_EESG_SW_SH_SI_SJ_EUlSW_E1_NS1_11comp_targetILNS1_3genE2ELNS1_11target_archE906ELNS1_3gpuE6ELNS1_3repE0EEENS1_36merge_oddeven_config_static_selectorELNS0_4arch9wavefront6targetE0EEEvSI_.kd
    .uniform_work_group_size: 1
    .uses_dynamic_stack: false
    .vgpr_count:     0
    .vgpr_spill_count: 0
    .wavefront_size: 32
    .workgroup_processor_mode: 1
  - .args:
      - .offset:         0
        .size:           48
        .value_kind:     by_value
    .group_segment_fixed_size: 0
    .kernarg_segment_align: 8
    .kernarg_segment_size: 48
    .language:       OpenCL C
    .language_version:
      - 2
      - 0
    .max_flat_workgroup_size: 256
    .name:           _ZN7rocprim17ROCPRIM_400000_NS6detail17trampoline_kernelINS0_14default_configENS1_38merge_sort_block_merge_config_selectorIiNS0_10empty_typeEEEZZNS1_27merge_sort_block_merge_implIS3_N6thrust23THRUST_200600_302600_NS10device_ptrIiEEPS5_jNS1_19radix_merge_compareILb0ELb0EiNS0_19identity_decomposerEEEEE10hipError_tT0_T1_T2_jT3_P12ihipStream_tbPNSt15iterator_traitsISH_E10value_typeEPNSN_ISI_E10value_typeEPSJ_NS1_7vsmem_tEENKUlT_SH_SI_SJ_E_clISB_PiSC_SC_EESG_SW_SH_SI_SJ_EUlSW_E1_NS1_11comp_targetILNS1_3genE9ELNS1_11target_archE1100ELNS1_3gpuE3ELNS1_3repE0EEENS1_36merge_oddeven_config_static_selectorELNS0_4arch9wavefront6targetE0EEEvSI_
    .private_segment_fixed_size: 0
    .sgpr_count:     0
    .sgpr_spill_count: 0
    .symbol:         _ZN7rocprim17ROCPRIM_400000_NS6detail17trampoline_kernelINS0_14default_configENS1_38merge_sort_block_merge_config_selectorIiNS0_10empty_typeEEEZZNS1_27merge_sort_block_merge_implIS3_N6thrust23THRUST_200600_302600_NS10device_ptrIiEEPS5_jNS1_19radix_merge_compareILb0ELb0EiNS0_19identity_decomposerEEEEE10hipError_tT0_T1_T2_jT3_P12ihipStream_tbPNSt15iterator_traitsISH_E10value_typeEPNSN_ISI_E10value_typeEPSJ_NS1_7vsmem_tEENKUlT_SH_SI_SJ_E_clISB_PiSC_SC_EESG_SW_SH_SI_SJ_EUlSW_E1_NS1_11comp_targetILNS1_3genE9ELNS1_11target_archE1100ELNS1_3gpuE3ELNS1_3repE0EEENS1_36merge_oddeven_config_static_selectorELNS0_4arch9wavefront6targetE0EEEvSI_.kd
    .uniform_work_group_size: 1
    .uses_dynamic_stack: false
    .vgpr_count:     0
    .vgpr_spill_count: 0
    .wavefront_size: 32
    .workgroup_processor_mode: 1
  - .args:
      - .offset:         0
        .size:           48
        .value_kind:     by_value
    .group_segment_fixed_size: 0
    .kernarg_segment_align: 8
    .kernarg_segment_size: 48
    .language:       OpenCL C
    .language_version:
      - 2
      - 0
    .max_flat_workgroup_size: 256
    .name:           _ZN7rocprim17ROCPRIM_400000_NS6detail17trampoline_kernelINS0_14default_configENS1_38merge_sort_block_merge_config_selectorIiNS0_10empty_typeEEEZZNS1_27merge_sort_block_merge_implIS3_N6thrust23THRUST_200600_302600_NS10device_ptrIiEEPS5_jNS1_19radix_merge_compareILb0ELb0EiNS0_19identity_decomposerEEEEE10hipError_tT0_T1_T2_jT3_P12ihipStream_tbPNSt15iterator_traitsISH_E10value_typeEPNSN_ISI_E10value_typeEPSJ_NS1_7vsmem_tEENKUlT_SH_SI_SJ_E_clISB_PiSC_SC_EESG_SW_SH_SI_SJ_EUlSW_E1_NS1_11comp_targetILNS1_3genE8ELNS1_11target_archE1030ELNS1_3gpuE2ELNS1_3repE0EEENS1_36merge_oddeven_config_static_selectorELNS0_4arch9wavefront6targetE0EEEvSI_
    .private_segment_fixed_size: 0
    .sgpr_count:     18
    .sgpr_spill_count: 0
    .symbol:         _ZN7rocprim17ROCPRIM_400000_NS6detail17trampoline_kernelINS0_14default_configENS1_38merge_sort_block_merge_config_selectorIiNS0_10empty_typeEEEZZNS1_27merge_sort_block_merge_implIS3_N6thrust23THRUST_200600_302600_NS10device_ptrIiEEPS5_jNS1_19radix_merge_compareILb0ELb0EiNS0_19identity_decomposerEEEEE10hipError_tT0_T1_T2_jT3_P12ihipStream_tbPNSt15iterator_traitsISH_E10value_typeEPNSN_ISI_E10value_typeEPSJ_NS1_7vsmem_tEENKUlT_SH_SI_SJ_E_clISB_PiSC_SC_EESG_SW_SH_SI_SJ_EUlSW_E1_NS1_11comp_targetILNS1_3genE8ELNS1_11target_archE1030ELNS1_3gpuE2ELNS1_3repE0EEENS1_36merge_oddeven_config_static_selectorELNS0_4arch9wavefront6targetE0EEEvSI_.kd
    .uniform_work_group_size: 1
    .uses_dynamic_stack: false
    .vgpr_count:     8
    .vgpr_spill_count: 0
    .wavefront_size: 32
    .workgroup_processor_mode: 1
  - .args:
      - .offset:         0
        .size:           40
        .value_kind:     by_value
    .group_segment_fixed_size: 0
    .kernarg_segment_align: 8
    .kernarg_segment_size: 40
    .language:       OpenCL C
    .language_version:
      - 2
      - 0
    .max_flat_workgroup_size: 128
    .name:           _ZN7rocprim17ROCPRIM_400000_NS6detail17trampoline_kernelINS0_14default_configENS1_25transform_config_selectorIiLb0EEEZNS1_14transform_implILb0ES3_S5_PiN6thrust23THRUST_200600_302600_NS10device_ptrIiEENS0_8identityIiEEEE10hipError_tT2_T3_mT4_P12ihipStream_tbEUlT_E_NS1_11comp_targetILNS1_3genE0ELNS1_11target_archE4294967295ELNS1_3gpuE0ELNS1_3repE0EEENS1_30default_config_static_selectorELNS0_4arch9wavefront6targetE0EEEvT1_
    .private_segment_fixed_size: 0
    .sgpr_count:     0
    .sgpr_spill_count: 0
    .symbol:         _ZN7rocprim17ROCPRIM_400000_NS6detail17trampoline_kernelINS0_14default_configENS1_25transform_config_selectorIiLb0EEEZNS1_14transform_implILb0ES3_S5_PiN6thrust23THRUST_200600_302600_NS10device_ptrIiEENS0_8identityIiEEEE10hipError_tT2_T3_mT4_P12ihipStream_tbEUlT_E_NS1_11comp_targetILNS1_3genE0ELNS1_11target_archE4294967295ELNS1_3gpuE0ELNS1_3repE0EEENS1_30default_config_static_selectorELNS0_4arch9wavefront6targetE0EEEvT1_.kd
    .uniform_work_group_size: 1
    .uses_dynamic_stack: false
    .vgpr_count:     0
    .vgpr_spill_count: 0
    .wavefront_size: 32
    .workgroup_processor_mode: 1
  - .args:
      - .offset:         0
        .size:           40
        .value_kind:     by_value
    .group_segment_fixed_size: 0
    .kernarg_segment_align: 8
    .kernarg_segment_size: 40
    .language:       OpenCL C
    .language_version:
      - 2
      - 0
    .max_flat_workgroup_size: 512
    .name:           _ZN7rocprim17ROCPRIM_400000_NS6detail17trampoline_kernelINS0_14default_configENS1_25transform_config_selectorIiLb0EEEZNS1_14transform_implILb0ES3_S5_PiN6thrust23THRUST_200600_302600_NS10device_ptrIiEENS0_8identityIiEEEE10hipError_tT2_T3_mT4_P12ihipStream_tbEUlT_E_NS1_11comp_targetILNS1_3genE5ELNS1_11target_archE942ELNS1_3gpuE9ELNS1_3repE0EEENS1_30default_config_static_selectorELNS0_4arch9wavefront6targetE0EEEvT1_
    .private_segment_fixed_size: 0
    .sgpr_count:     0
    .sgpr_spill_count: 0
    .symbol:         _ZN7rocprim17ROCPRIM_400000_NS6detail17trampoline_kernelINS0_14default_configENS1_25transform_config_selectorIiLb0EEEZNS1_14transform_implILb0ES3_S5_PiN6thrust23THRUST_200600_302600_NS10device_ptrIiEENS0_8identityIiEEEE10hipError_tT2_T3_mT4_P12ihipStream_tbEUlT_E_NS1_11comp_targetILNS1_3genE5ELNS1_11target_archE942ELNS1_3gpuE9ELNS1_3repE0EEENS1_30default_config_static_selectorELNS0_4arch9wavefront6targetE0EEEvT1_.kd
    .uniform_work_group_size: 1
    .uses_dynamic_stack: false
    .vgpr_count:     0
    .vgpr_spill_count: 0
    .wavefront_size: 32
    .workgroup_processor_mode: 1
  - .args:
      - .offset:         0
        .size:           40
        .value_kind:     by_value
    .group_segment_fixed_size: 0
    .kernarg_segment_align: 8
    .kernarg_segment_size: 40
    .language:       OpenCL C
    .language_version:
      - 2
      - 0
    .max_flat_workgroup_size: 1024
    .name:           _ZN7rocprim17ROCPRIM_400000_NS6detail17trampoline_kernelINS0_14default_configENS1_25transform_config_selectorIiLb0EEEZNS1_14transform_implILb0ES3_S5_PiN6thrust23THRUST_200600_302600_NS10device_ptrIiEENS0_8identityIiEEEE10hipError_tT2_T3_mT4_P12ihipStream_tbEUlT_E_NS1_11comp_targetILNS1_3genE4ELNS1_11target_archE910ELNS1_3gpuE8ELNS1_3repE0EEENS1_30default_config_static_selectorELNS0_4arch9wavefront6targetE0EEEvT1_
    .private_segment_fixed_size: 0
    .sgpr_count:     0
    .sgpr_spill_count: 0
    .symbol:         _ZN7rocprim17ROCPRIM_400000_NS6detail17trampoline_kernelINS0_14default_configENS1_25transform_config_selectorIiLb0EEEZNS1_14transform_implILb0ES3_S5_PiN6thrust23THRUST_200600_302600_NS10device_ptrIiEENS0_8identityIiEEEE10hipError_tT2_T3_mT4_P12ihipStream_tbEUlT_E_NS1_11comp_targetILNS1_3genE4ELNS1_11target_archE910ELNS1_3gpuE8ELNS1_3repE0EEENS1_30default_config_static_selectorELNS0_4arch9wavefront6targetE0EEEvT1_.kd
    .uniform_work_group_size: 1
    .uses_dynamic_stack: false
    .vgpr_count:     0
    .vgpr_spill_count: 0
    .wavefront_size: 32
    .workgroup_processor_mode: 1
  - .args:
      - .offset:         0
        .size:           40
        .value_kind:     by_value
    .group_segment_fixed_size: 0
    .kernarg_segment_align: 8
    .kernarg_segment_size: 40
    .language:       OpenCL C
    .language_version:
      - 2
      - 0
    .max_flat_workgroup_size: 128
    .name:           _ZN7rocprim17ROCPRIM_400000_NS6detail17trampoline_kernelINS0_14default_configENS1_25transform_config_selectorIiLb0EEEZNS1_14transform_implILb0ES3_S5_PiN6thrust23THRUST_200600_302600_NS10device_ptrIiEENS0_8identityIiEEEE10hipError_tT2_T3_mT4_P12ihipStream_tbEUlT_E_NS1_11comp_targetILNS1_3genE3ELNS1_11target_archE908ELNS1_3gpuE7ELNS1_3repE0EEENS1_30default_config_static_selectorELNS0_4arch9wavefront6targetE0EEEvT1_
    .private_segment_fixed_size: 0
    .sgpr_count:     0
    .sgpr_spill_count: 0
    .symbol:         _ZN7rocprim17ROCPRIM_400000_NS6detail17trampoline_kernelINS0_14default_configENS1_25transform_config_selectorIiLb0EEEZNS1_14transform_implILb0ES3_S5_PiN6thrust23THRUST_200600_302600_NS10device_ptrIiEENS0_8identityIiEEEE10hipError_tT2_T3_mT4_P12ihipStream_tbEUlT_E_NS1_11comp_targetILNS1_3genE3ELNS1_11target_archE908ELNS1_3gpuE7ELNS1_3repE0EEENS1_30default_config_static_selectorELNS0_4arch9wavefront6targetE0EEEvT1_.kd
    .uniform_work_group_size: 1
    .uses_dynamic_stack: false
    .vgpr_count:     0
    .vgpr_spill_count: 0
    .wavefront_size: 32
    .workgroup_processor_mode: 1
  - .args:
      - .offset:         0
        .size:           40
        .value_kind:     by_value
    .group_segment_fixed_size: 0
    .kernarg_segment_align: 8
    .kernarg_segment_size: 40
    .language:       OpenCL C
    .language_version:
      - 2
      - 0
    .max_flat_workgroup_size: 1024
    .name:           _ZN7rocprim17ROCPRIM_400000_NS6detail17trampoline_kernelINS0_14default_configENS1_25transform_config_selectorIiLb0EEEZNS1_14transform_implILb0ES3_S5_PiN6thrust23THRUST_200600_302600_NS10device_ptrIiEENS0_8identityIiEEEE10hipError_tT2_T3_mT4_P12ihipStream_tbEUlT_E_NS1_11comp_targetILNS1_3genE2ELNS1_11target_archE906ELNS1_3gpuE6ELNS1_3repE0EEENS1_30default_config_static_selectorELNS0_4arch9wavefront6targetE0EEEvT1_
    .private_segment_fixed_size: 0
    .sgpr_count:     0
    .sgpr_spill_count: 0
    .symbol:         _ZN7rocprim17ROCPRIM_400000_NS6detail17trampoline_kernelINS0_14default_configENS1_25transform_config_selectorIiLb0EEEZNS1_14transform_implILb0ES3_S5_PiN6thrust23THRUST_200600_302600_NS10device_ptrIiEENS0_8identityIiEEEE10hipError_tT2_T3_mT4_P12ihipStream_tbEUlT_E_NS1_11comp_targetILNS1_3genE2ELNS1_11target_archE906ELNS1_3gpuE6ELNS1_3repE0EEENS1_30default_config_static_selectorELNS0_4arch9wavefront6targetE0EEEvT1_.kd
    .uniform_work_group_size: 1
    .uses_dynamic_stack: false
    .vgpr_count:     0
    .vgpr_spill_count: 0
    .wavefront_size: 32
    .workgroup_processor_mode: 1
  - .args:
      - .offset:         0
        .size:           40
        .value_kind:     by_value
    .group_segment_fixed_size: 0
    .kernarg_segment_align: 8
    .kernarg_segment_size: 40
    .language:       OpenCL C
    .language_version:
      - 2
      - 0
    .max_flat_workgroup_size: 1024
    .name:           _ZN7rocprim17ROCPRIM_400000_NS6detail17trampoline_kernelINS0_14default_configENS1_25transform_config_selectorIiLb0EEEZNS1_14transform_implILb0ES3_S5_PiN6thrust23THRUST_200600_302600_NS10device_ptrIiEENS0_8identityIiEEEE10hipError_tT2_T3_mT4_P12ihipStream_tbEUlT_E_NS1_11comp_targetILNS1_3genE10ELNS1_11target_archE1201ELNS1_3gpuE5ELNS1_3repE0EEENS1_30default_config_static_selectorELNS0_4arch9wavefront6targetE0EEEvT1_
    .private_segment_fixed_size: 0
    .sgpr_count:     0
    .sgpr_spill_count: 0
    .symbol:         _ZN7rocprim17ROCPRIM_400000_NS6detail17trampoline_kernelINS0_14default_configENS1_25transform_config_selectorIiLb0EEEZNS1_14transform_implILb0ES3_S5_PiN6thrust23THRUST_200600_302600_NS10device_ptrIiEENS0_8identityIiEEEE10hipError_tT2_T3_mT4_P12ihipStream_tbEUlT_E_NS1_11comp_targetILNS1_3genE10ELNS1_11target_archE1201ELNS1_3gpuE5ELNS1_3repE0EEENS1_30default_config_static_selectorELNS0_4arch9wavefront6targetE0EEEvT1_.kd
    .uniform_work_group_size: 1
    .uses_dynamic_stack: false
    .vgpr_count:     0
    .vgpr_spill_count: 0
    .wavefront_size: 32
    .workgroup_processor_mode: 1
  - .args:
      - .offset:         0
        .size:           40
        .value_kind:     by_value
    .group_segment_fixed_size: 0
    .kernarg_segment_align: 8
    .kernarg_segment_size: 40
    .language:       OpenCL C
    .language_version:
      - 2
      - 0
    .max_flat_workgroup_size: 512
    .name:           _ZN7rocprim17ROCPRIM_400000_NS6detail17trampoline_kernelINS0_14default_configENS1_25transform_config_selectorIiLb0EEEZNS1_14transform_implILb0ES3_S5_PiN6thrust23THRUST_200600_302600_NS10device_ptrIiEENS0_8identityIiEEEE10hipError_tT2_T3_mT4_P12ihipStream_tbEUlT_E_NS1_11comp_targetILNS1_3genE10ELNS1_11target_archE1200ELNS1_3gpuE4ELNS1_3repE0EEENS1_30default_config_static_selectorELNS0_4arch9wavefront6targetE0EEEvT1_
    .private_segment_fixed_size: 0
    .sgpr_count:     0
    .sgpr_spill_count: 0
    .symbol:         _ZN7rocprim17ROCPRIM_400000_NS6detail17trampoline_kernelINS0_14default_configENS1_25transform_config_selectorIiLb0EEEZNS1_14transform_implILb0ES3_S5_PiN6thrust23THRUST_200600_302600_NS10device_ptrIiEENS0_8identityIiEEEE10hipError_tT2_T3_mT4_P12ihipStream_tbEUlT_E_NS1_11comp_targetILNS1_3genE10ELNS1_11target_archE1200ELNS1_3gpuE4ELNS1_3repE0EEENS1_30default_config_static_selectorELNS0_4arch9wavefront6targetE0EEEvT1_.kd
    .uniform_work_group_size: 1
    .uses_dynamic_stack: false
    .vgpr_count:     0
    .vgpr_spill_count: 0
    .wavefront_size: 32
    .workgroup_processor_mode: 1
  - .args:
      - .offset:         0
        .size:           40
        .value_kind:     by_value
    .group_segment_fixed_size: 0
    .kernarg_segment_align: 8
    .kernarg_segment_size: 40
    .language:       OpenCL C
    .language_version:
      - 2
      - 0
    .max_flat_workgroup_size: 64
    .name:           _ZN7rocprim17ROCPRIM_400000_NS6detail17trampoline_kernelINS0_14default_configENS1_25transform_config_selectorIiLb0EEEZNS1_14transform_implILb0ES3_S5_PiN6thrust23THRUST_200600_302600_NS10device_ptrIiEENS0_8identityIiEEEE10hipError_tT2_T3_mT4_P12ihipStream_tbEUlT_E_NS1_11comp_targetILNS1_3genE9ELNS1_11target_archE1100ELNS1_3gpuE3ELNS1_3repE0EEENS1_30default_config_static_selectorELNS0_4arch9wavefront6targetE0EEEvT1_
    .private_segment_fixed_size: 0
    .sgpr_count:     0
    .sgpr_spill_count: 0
    .symbol:         _ZN7rocprim17ROCPRIM_400000_NS6detail17trampoline_kernelINS0_14default_configENS1_25transform_config_selectorIiLb0EEEZNS1_14transform_implILb0ES3_S5_PiN6thrust23THRUST_200600_302600_NS10device_ptrIiEENS0_8identityIiEEEE10hipError_tT2_T3_mT4_P12ihipStream_tbEUlT_E_NS1_11comp_targetILNS1_3genE9ELNS1_11target_archE1100ELNS1_3gpuE3ELNS1_3repE0EEENS1_30default_config_static_selectorELNS0_4arch9wavefront6targetE0EEEvT1_.kd
    .uniform_work_group_size: 1
    .uses_dynamic_stack: false
    .vgpr_count:     0
    .vgpr_spill_count: 0
    .wavefront_size: 32
    .workgroup_processor_mode: 1
  - .args:
      - .offset:         0
        .size:           40
        .value_kind:     by_value
      - .offset:         40
        .size:           4
        .value_kind:     hidden_block_count_x
      - .offset:         44
        .size:           4
        .value_kind:     hidden_block_count_y
      - .offset:         48
        .size:           4
        .value_kind:     hidden_block_count_z
      - .offset:         52
        .size:           2
        .value_kind:     hidden_group_size_x
      - .offset:         54
        .size:           2
        .value_kind:     hidden_group_size_y
      - .offset:         56
        .size:           2
        .value_kind:     hidden_group_size_z
      - .offset:         58
        .size:           2
        .value_kind:     hidden_remainder_x
      - .offset:         60
        .size:           2
        .value_kind:     hidden_remainder_y
      - .offset:         62
        .size:           2
        .value_kind:     hidden_remainder_z
      - .offset:         80
        .size:           8
        .value_kind:     hidden_global_offset_x
      - .offset:         88
        .size:           8
        .value_kind:     hidden_global_offset_y
      - .offset:         96
        .size:           8
        .value_kind:     hidden_global_offset_z
      - .offset:         104
        .size:           2
        .value_kind:     hidden_grid_dims
    .group_segment_fixed_size: 0
    .kernarg_segment_align: 8
    .kernarg_segment_size: 296
    .language:       OpenCL C
    .language_version:
      - 2
      - 0
    .max_flat_workgroup_size: 256
    .name:           _ZN7rocprim17ROCPRIM_400000_NS6detail17trampoline_kernelINS0_14default_configENS1_25transform_config_selectorIiLb0EEEZNS1_14transform_implILb0ES3_S5_PiN6thrust23THRUST_200600_302600_NS10device_ptrIiEENS0_8identityIiEEEE10hipError_tT2_T3_mT4_P12ihipStream_tbEUlT_E_NS1_11comp_targetILNS1_3genE8ELNS1_11target_archE1030ELNS1_3gpuE2ELNS1_3repE0EEENS1_30default_config_static_selectorELNS0_4arch9wavefront6targetE0EEEvT1_
    .private_segment_fixed_size: 0
    .sgpr_count:     14
    .sgpr_spill_count: 0
    .symbol:         _ZN7rocprim17ROCPRIM_400000_NS6detail17trampoline_kernelINS0_14default_configENS1_25transform_config_selectorIiLb0EEEZNS1_14transform_implILb0ES3_S5_PiN6thrust23THRUST_200600_302600_NS10device_ptrIiEENS0_8identityIiEEEE10hipError_tT2_T3_mT4_P12ihipStream_tbEUlT_E_NS1_11comp_targetILNS1_3genE8ELNS1_11target_archE1030ELNS1_3gpuE2ELNS1_3repE0EEENS1_30default_config_static_selectorELNS0_4arch9wavefront6targetE0EEEvT1_.kd
    .uniform_work_group_size: 1
    .uses_dynamic_stack: false
    .vgpr_count:     3
    .vgpr_spill_count: 0
    .wavefront_size: 32
    .workgroup_processor_mode: 1
  - .args:
      - .offset:         0
        .size:           40
        .value_kind:     by_value
    .group_segment_fixed_size: 0
    .kernarg_segment_align: 8
    .kernarg_segment_size: 40
    .language:       OpenCL C
    .language_version:
      - 2
      - 0
    .max_flat_workgroup_size: 128
    .name:           _ZN7rocprim17ROCPRIM_400000_NS6detail17trampoline_kernelINS0_14default_configENS1_38merge_sort_block_merge_config_selectorIiNS0_10empty_typeEEEZZNS1_27merge_sort_block_merge_implIS3_N6thrust23THRUST_200600_302600_NS10device_ptrIiEEPS5_jNS1_19radix_merge_compareILb0ELb1EiNS0_19identity_decomposerEEEEE10hipError_tT0_T1_T2_jT3_P12ihipStream_tbPNSt15iterator_traitsISH_E10value_typeEPNSN_ISI_E10value_typeEPSJ_NS1_7vsmem_tEENKUlT_SH_SI_SJ_E_clIPiSB_SC_SC_EESG_SW_SH_SI_SJ_EUlSW_E_NS1_11comp_targetILNS1_3genE0ELNS1_11target_archE4294967295ELNS1_3gpuE0ELNS1_3repE0EEENS1_48merge_mergepath_partition_config_static_selectorELNS0_4arch9wavefront6targetE0EEEvSI_
    .private_segment_fixed_size: 0
    .sgpr_count:     0
    .sgpr_spill_count: 0
    .symbol:         _ZN7rocprim17ROCPRIM_400000_NS6detail17trampoline_kernelINS0_14default_configENS1_38merge_sort_block_merge_config_selectorIiNS0_10empty_typeEEEZZNS1_27merge_sort_block_merge_implIS3_N6thrust23THRUST_200600_302600_NS10device_ptrIiEEPS5_jNS1_19radix_merge_compareILb0ELb1EiNS0_19identity_decomposerEEEEE10hipError_tT0_T1_T2_jT3_P12ihipStream_tbPNSt15iterator_traitsISH_E10value_typeEPNSN_ISI_E10value_typeEPSJ_NS1_7vsmem_tEENKUlT_SH_SI_SJ_E_clIPiSB_SC_SC_EESG_SW_SH_SI_SJ_EUlSW_E_NS1_11comp_targetILNS1_3genE0ELNS1_11target_archE4294967295ELNS1_3gpuE0ELNS1_3repE0EEENS1_48merge_mergepath_partition_config_static_selectorELNS0_4arch9wavefront6targetE0EEEvSI_.kd
    .uniform_work_group_size: 1
    .uses_dynamic_stack: false
    .vgpr_count:     0
    .vgpr_spill_count: 0
    .wavefront_size: 32
    .workgroup_processor_mode: 1
  - .args:
      - .offset:         0
        .size:           40
        .value_kind:     by_value
    .group_segment_fixed_size: 0
    .kernarg_segment_align: 8
    .kernarg_segment_size: 40
    .language:       OpenCL C
    .language_version:
      - 2
      - 0
    .max_flat_workgroup_size: 128
    .name:           _ZN7rocprim17ROCPRIM_400000_NS6detail17trampoline_kernelINS0_14default_configENS1_38merge_sort_block_merge_config_selectorIiNS0_10empty_typeEEEZZNS1_27merge_sort_block_merge_implIS3_N6thrust23THRUST_200600_302600_NS10device_ptrIiEEPS5_jNS1_19radix_merge_compareILb0ELb1EiNS0_19identity_decomposerEEEEE10hipError_tT0_T1_T2_jT3_P12ihipStream_tbPNSt15iterator_traitsISH_E10value_typeEPNSN_ISI_E10value_typeEPSJ_NS1_7vsmem_tEENKUlT_SH_SI_SJ_E_clIPiSB_SC_SC_EESG_SW_SH_SI_SJ_EUlSW_E_NS1_11comp_targetILNS1_3genE10ELNS1_11target_archE1201ELNS1_3gpuE5ELNS1_3repE0EEENS1_48merge_mergepath_partition_config_static_selectorELNS0_4arch9wavefront6targetE0EEEvSI_
    .private_segment_fixed_size: 0
    .sgpr_count:     0
    .sgpr_spill_count: 0
    .symbol:         _ZN7rocprim17ROCPRIM_400000_NS6detail17trampoline_kernelINS0_14default_configENS1_38merge_sort_block_merge_config_selectorIiNS0_10empty_typeEEEZZNS1_27merge_sort_block_merge_implIS3_N6thrust23THRUST_200600_302600_NS10device_ptrIiEEPS5_jNS1_19radix_merge_compareILb0ELb1EiNS0_19identity_decomposerEEEEE10hipError_tT0_T1_T2_jT3_P12ihipStream_tbPNSt15iterator_traitsISH_E10value_typeEPNSN_ISI_E10value_typeEPSJ_NS1_7vsmem_tEENKUlT_SH_SI_SJ_E_clIPiSB_SC_SC_EESG_SW_SH_SI_SJ_EUlSW_E_NS1_11comp_targetILNS1_3genE10ELNS1_11target_archE1201ELNS1_3gpuE5ELNS1_3repE0EEENS1_48merge_mergepath_partition_config_static_selectorELNS0_4arch9wavefront6targetE0EEEvSI_.kd
    .uniform_work_group_size: 1
    .uses_dynamic_stack: false
    .vgpr_count:     0
    .vgpr_spill_count: 0
    .wavefront_size: 32
    .workgroup_processor_mode: 1
  - .args:
      - .offset:         0
        .size:           40
        .value_kind:     by_value
    .group_segment_fixed_size: 0
    .kernarg_segment_align: 8
    .kernarg_segment_size: 40
    .language:       OpenCL C
    .language_version:
      - 2
      - 0
    .max_flat_workgroup_size: 128
    .name:           _ZN7rocprim17ROCPRIM_400000_NS6detail17trampoline_kernelINS0_14default_configENS1_38merge_sort_block_merge_config_selectorIiNS0_10empty_typeEEEZZNS1_27merge_sort_block_merge_implIS3_N6thrust23THRUST_200600_302600_NS10device_ptrIiEEPS5_jNS1_19radix_merge_compareILb0ELb1EiNS0_19identity_decomposerEEEEE10hipError_tT0_T1_T2_jT3_P12ihipStream_tbPNSt15iterator_traitsISH_E10value_typeEPNSN_ISI_E10value_typeEPSJ_NS1_7vsmem_tEENKUlT_SH_SI_SJ_E_clIPiSB_SC_SC_EESG_SW_SH_SI_SJ_EUlSW_E_NS1_11comp_targetILNS1_3genE5ELNS1_11target_archE942ELNS1_3gpuE9ELNS1_3repE0EEENS1_48merge_mergepath_partition_config_static_selectorELNS0_4arch9wavefront6targetE0EEEvSI_
    .private_segment_fixed_size: 0
    .sgpr_count:     0
    .sgpr_spill_count: 0
    .symbol:         _ZN7rocprim17ROCPRIM_400000_NS6detail17trampoline_kernelINS0_14default_configENS1_38merge_sort_block_merge_config_selectorIiNS0_10empty_typeEEEZZNS1_27merge_sort_block_merge_implIS3_N6thrust23THRUST_200600_302600_NS10device_ptrIiEEPS5_jNS1_19radix_merge_compareILb0ELb1EiNS0_19identity_decomposerEEEEE10hipError_tT0_T1_T2_jT3_P12ihipStream_tbPNSt15iterator_traitsISH_E10value_typeEPNSN_ISI_E10value_typeEPSJ_NS1_7vsmem_tEENKUlT_SH_SI_SJ_E_clIPiSB_SC_SC_EESG_SW_SH_SI_SJ_EUlSW_E_NS1_11comp_targetILNS1_3genE5ELNS1_11target_archE942ELNS1_3gpuE9ELNS1_3repE0EEENS1_48merge_mergepath_partition_config_static_selectorELNS0_4arch9wavefront6targetE0EEEvSI_.kd
    .uniform_work_group_size: 1
    .uses_dynamic_stack: false
    .vgpr_count:     0
    .vgpr_spill_count: 0
    .wavefront_size: 32
    .workgroup_processor_mode: 1
  - .args:
      - .offset:         0
        .size:           40
        .value_kind:     by_value
    .group_segment_fixed_size: 0
    .kernarg_segment_align: 8
    .kernarg_segment_size: 40
    .language:       OpenCL C
    .language_version:
      - 2
      - 0
    .max_flat_workgroup_size: 128
    .name:           _ZN7rocprim17ROCPRIM_400000_NS6detail17trampoline_kernelINS0_14default_configENS1_38merge_sort_block_merge_config_selectorIiNS0_10empty_typeEEEZZNS1_27merge_sort_block_merge_implIS3_N6thrust23THRUST_200600_302600_NS10device_ptrIiEEPS5_jNS1_19radix_merge_compareILb0ELb1EiNS0_19identity_decomposerEEEEE10hipError_tT0_T1_T2_jT3_P12ihipStream_tbPNSt15iterator_traitsISH_E10value_typeEPNSN_ISI_E10value_typeEPSJ_NS1_7vsmem_tEENKUlT_SH_SI_SJ_E_clIPiSB_SC_SC_EESG_SW_SH_SI_SJ_EUlSW_E_NS1_11comp_targetILNS1_3genE4ELNS1_11target_archE910ELNS1_3gpuE8ELNS1_3repE0EEENS1_48merge_mergepath_partition_config_static_selectorELNS0_4arch9wavefront6targetE0EEEvSI_
    .private_segment_fixed_size: 0
    .sgpr_count:     0
    .sgpr_spill_count: 0
    .symbol:         _ZN7rocprim17ROCPRIM_400000_NS6detail17trampoline_kernelINS0_14default_configENS1_38merge_sort_block_merge_config_selectorIiNS0_10empty_typeEEEZZNS1_27merge_sort_block_merge_implIS3_N6thrust23THRUST_200600_302600_NS10device_ptrIiEEPS5_jNS1_19radix_merge_compareILb0ELb1EiNS0_19identity_decomposerEEEEE10hipError_tT0_T1_T2_jT3_P12ihipStream_tbPNSt15iterator_traitsISH_E10value_typeEPNSN_ISI_E10value_typeEPSJ_NS1_7vsmem_tEENKUlT_SH_SI_SJ_E_clIPiSB_SC_SC_EESG_SW_SH_SI_SJ_EUlSW_E_NS1_11comp_targetILNS1_3genE4ELNS1_11target_archE910ELNS1_3gpuE8ELNS1_3repE0EEENS1_48merge_mergepath_partition_config_static_selectorELNS0_4arch9wavefront6targetE0EEEvSI_.kd
    .uniform_work_group_size: 1
    .uses_dynamic_stack: false
    .vgpr_count:     0
    .vgpr_spill_count: 0
    .wavefront_size: 32
    .workgroup_processor_mode: 1
  - .args:
      - .offset:         0
        .size:           40
        .value_kind:     by_value
    .group_segment_fixed_size: 0
    .kernarg_segment_align: 8
    .kernarg_segment_size: 40
    .language:       OpenCL C
    .language_version:
      - 2
      - 0
    .max_flat_workgroup_size: 128
    .name:           _ZN7rocprim17ROCPRIM_400000_NS6detail17trampoline_kernelINS0_14default_configENS1_38merge_sort_block_merge_config_selectorIiNS0_10empty_typeEEEZZNS1_27merge_sort_block_merge_implIS3_N6thrust23THRUST_200600_302600_NS10device_ptrIiEEPS5_jNS1_19radix_merge_compareILb0ELb1EiNS0_19identity_decomposerEEEEE10hipError_tT0_T1_T2_jT3_P12ihipStream_tbPNSt15iterator_traitsISH_E10value_typeEPNSN_ISI_E10value_typeEPSJ_NS1_7vsmem_tEENKUlT_SH_SI_SJ_E_clIPiSB_SC_SC_EESG_SW_SH_SI_SJ_EUlSW_E_NS1_11comp_targetILNS1_3genE3ELNS1_11target_archE908ELNS1_3gpuE7ELNS1_3repE0EEENS1_48merge_mergepath_partition_config_static_selectorELNS0_4arch9wavefront6targetE0EEEvSI_
    .private_segment_fixed_size: 0
    .sgpr_count:     0
    .sgpr_spill_count: 0
    .symbol:         _ZN7rocprim17ROCPRIM_400000_NS6detail17trampoline_kernelINS0_14default_configENS1_38merge_sort_block_merge_config_selectorIiNS0_10empty_typeEEEZZNS1_27merge_sort_block_merge_implIS3_N6thrust23THRUST_200600_302600_NS10device_ptrIiEEPS5_jNS1_19radix_merge_compareILb0ELb1EiNS0_19identity_decomposerEEEEE10hipError_tT0_T1_T2_jT3_P12ihipStream_tbPNSt15iterator_traitsISH_E10value_typeEPNSN_ISI_E10value_typeEPSJ_NS1_7vsmem_tEENKUlT_SH_SI_SJ_E_clIPiSB_SC_SC_EESG_SW_SH_SI_SJ_EUlSW_E_NS1_11comp_targetILNS1_3genE3ELNS1_11target_archE908ELNS1_3gpuE7ELNS1_3repE0EEENS1_48merge_mergepath_partition_config_static_selectorELNS0_4arch9wavefront6targetE0EEEvSI_.kd
    .uniform_work_group_size: 1
    .uses_dynamic_stack: false
    .vgpr_count:     0
    .vgpr_spill_count: 0
    .wavefront_size: 32
    .workgroup_processor_mode: 1
  - .args:
      - .offset:         0
        .size:           40
        .value_kind:     by_value
    .group_segment_fixed_size: 0
    .kernarg_segment_align: 8
    .kernarg_segment_size: 40
    .language:       OpenCL C
    .language_version:
      - 2
      - 0
    .max_flat_workgroup_size: 128
    .name:           _ZN7rocprim17ROCPRIM_400000_NS6detail17trampoline_kernelINS0_14default_configENS1_38merge_sort_block_merge_config_selectorIiNS0_10empty_typeEEEZZNS1_27merge_sort_block_merge_implIS3_N6thrust23THRUST_200600_302600_NS10device_ptrIiEEPS5_jNS1_19radix_merge_compareILb0ELb1EiNS0_19identity_decomposerEEEEE10hipError_tT0_T1_T2_jT3_P12ihipStream_tbPNSt15iterator_traitsISH_E10value_typeEPNSN_ISI_E10value_typeEPSJ_NS1_7vsmem_tEENKUlT_SH_SI_SJ_E_clIPiSB_SC_SC_EESG_SW_SH_SI_SJ_EUlSW_E_NS1_11comp_targetILNS1_3genE2ELNS1_11target_archE906ELNS1_3gpuE6ELNS1_3repE0EEENS1_48merge_mergepath_partition_config_static_selectorELNS0_4arch9wavefront6targetE0EEEvSI_
    .private_segment_fixed_size: 0
    .sgpr_count:     0
    .sgpr_spill_count: 0
    .symbol:         _ZN7rocprim17ROCPRIM_400000_NS6detail17trampoline_kernelINS0_14default_configENS1_38merge_sort_block_merge_config_selectorIiNS0_10empty_typeEEEZZNS1_27merge_sort_block_merge_implIS3_N6thrust23THRUST_200600_302600_NS10device_ptrIiEEPS5_jNS1_19radix_merge_compareILb0ELb1EiNS0_19identity_decomposerEEEEE10hipError_tT0_T1_T2_jT3_P12ihipStream_tbPNSt15iterator_traitsISH_E10value_typeEPNSN_ISI_E10value_typeEPSJ_NS1_7vsmem_tEENKUlT_SH_SI_SJ_E_clIPiSB_SC_SC_EESG_SW_SH_SI_SJ_EUlSW_E_NS1_11comp_targetILNS1_3genE2ELNS1_11target_archE906ELNS1_3gpuE6ELNS1_3repE0EEENS1_48merge_mergepath_partition_config_static_selectorELNS0_4arch9wavefront6targetE0EEEvSI_.kd
    .uniform_work_group_size: 1
    .uses_dynamic_stack: false
    .vgpr_count:     0
    .vgpr_spill_count: 0
    .wavefront_size: 32
    .workgroup_processor_mode: 1
  - .args:
      - .offset:         0
        .size:           40
        .value_kind:     by_value
    .group_segment_fixed_size: 0
    .kernarg_segment_align: 8
    .kernarg_segment_size: 40
    .language:       OpenCL C
    .language_version:
      - 2
      - 0
    .max_flat_workgroup_size: 128
    .name:           _ZN7rocprim17ROCPRIM_400000_NS6detail17trampoline_kernelINS0_14default_configENS1_38merge_sort_block_merge_config_selectorIiNS0_10empty_typeEEEZZNS1_27merge_sort_block_merge_implIS3_N6thrust23THRUST_200600_302600_NS10device_ptrIiEEPS5_jNS1_19radix_merge_compareILb0ELb1EiNS0_19identity_decomposerEEEEE10hipError_tT0_T1_T2_jT3_P12ihipStream_tbPNSt15iterator_traitsISH_E10value_typeEPNSN_ISI_E10value_typeEPSJ_NS1_7vsmem_tEENKUlT_SH_SI_SJ_E_clIPiSB_SC_SC_EESG_SW_SH_SI_SJ_EUlSW_E_NS1_11comp_targetILNS1_3genE9ELNS1_11target_archE1100ELNS1_3gpuE3ELNS1_3repE0EEENS1_48merge_mergepath_partition_config_static_selectorELNS0_4arch9wavefront6targetE0EEEvSI_
    .private_segment_fixed_size: 0
    .sgpr_count:     0
    .sgpr_spill_count: 0
    .symbol:         _ZN7rocprim17ROCPRIM_400000_NS6detail17trampoline_kernelINS0_14default_configENS1_38merge_sort_block_merge_config_selectorIiNS0_10empty_typeEEEZZNS1_27merge_sort_block_merge_implIS3_N6thrust23THRUST_200600_302600_NS10device_ptrIiEEPS5_jNS1_19radix_merge_compareILb0ELb1EiNS0_19identity_decomposerEEEEE10hipError_tT0_T1_T2_jT3_P12ihipStream_tbPNSt15iterator_traitsISH_E10value_typeEPNSN_ISI_E10value_typeEPSJ_NS1_7vsmem_tEENKUlT_SH_SI_SJ_E_clIPiSB_SC_SC_EESG_SW_SH_SI_SJ_EUlSW_E_NS1_11comp_targetILNS1_3genE9ELNS1_11target_archE1100ELNS1_3gpuE3ELNS1_3repE0EEENS1_48merge_mergepath_partition_config_static_selectorELNS0_4arch9wavefront6targetE0EEEvSI_.kd
    .uniform_work_group_size: 1
    .uses_dynamic_stack: false
    .vgpr_count:     0
    .vgpr_spill_count: 0
    .wavefront_size: 32
    .workgroup_processor_mode: 1
  - .args:
      - .offset:         0
        .size:           40
        .value_kind:     by_value
    .group_segment_fixed_size: 0
    .kernarg_segment_align: 8
    .kernarg_segment_size: 40
    .language:       OpenCL C
    .language_version:
      - 2
      - 0
    .max_flat_workgroup_size: 128
    .name:           _ZN7rocprim17ROCPRIM_400000_NS6detail17trampoline_kernelINS0_14default_configENS1_38merge_sort_block_merge_config_selectorIiNS0_10empty_typeEEEZZNS1_27merge_sort_block_merge_implIS3_N6thrust23THRUST_200600_302600_NS10device_ptrIiEEPS5_jNS1_19radix_merge_compareILb0ELb1EiNS0_19identity_decomposerEEEEE10hipError_tT0_T1_T2_jT3_P12ihipStream_tbPNSt15iterator_traitsISH_E10value_typeEPNSN_ISI_E10value_typeEPSJ_NS1_7vsmem_tEENKUlT_SH_SI_SJ_E_clIPiSB_SC_SC_EESG_SW_SH_SI_SJ_EUlSW_E_NS1_11comp_targetILNS1_3genE8ELNS1_11target_archE1030ELNS1_3gpuE2ELNS1_3repE0EEENS1_48merge_mergepath_partition_config_static_selectorELNS0_4arch9wavefront6targetE0EEEvSI_
    .private_segment_fixed_size: 0
    .sgpr_count:     10
    .sgpr_spill_count: 0
    .symbol:         _ZN7rocprim17ROCPRIM_400000_NS6detail17trampoline_kernelINS0_14default_configENS1_38merge_sort_block_merge_config_selectorIiNS0_10empty_typeEEEZZNS1_27merge_sort_block_merge_implIS3_N6thrust23THRUST_200600_302600_NS10device_ptrIiEEPS5_jNS1_19radix_merge_compareILb0ELb1EiNS0_19identity_decomposerEEEEE10hipError_tT0_T1_T2_jT3_P12ihipStream_tbPNSt15iterator_traitsISH_E10value_typeEPNSN_ISI_E10value_typeEPSJ_NS1_7vsmem_tEENKUlT_SH_SI_SJ_E_clIPiSB_SC_SC_EESG_SW_SH_SI_SJ_EUlSW_E_NS1_11comp_targetILNS1_3genE8ELNS1_11target_archE1030ELNS1_3gpuE2ELNS1_3repE0EEENS1_48merge_mergepath_partition_config_static_selectorELNS0_4arch9wavefront6targetE0EEEvSI_.kd
    .uniform_work_group_size: 1
    .uses_dynamic_stack: false
    .vgpr_count:     15
    .vgpr_spill_count: 0
    .wavefront_size: 32
    .workgroup_processor_mode: 1
  - .args:
      - .offset:         0
        .size:           64
        .value_kind:     by_value
    .group_segment_fixed_size: 0
    .kernarg_segment_align: 8
    .kernarg_segment_size: 64
    .language:       OpenCL C
    .language_version:
      - 2
      - 0
    .max_flat_workgroup_size: 128
    .name:           _ZN7rocprim17ROCPRIM_400000_NS6detail17trampoline_kernelINS0_14default_configENS1_38merge_sort_block_merge_config_selectorIiNS0_10empty_typeEEEZZNS1_27merge_sort_block_merge_implIS3_N6thrust23THRUST_200600_302600_NS10device_ptrIiEEPS5_jNS1_19radix_merge_compareILb0ELb1EiNS0_19identity_decomposerEEEEE10hipError_tT0_T1_T2_jT3_P12ihipStream_tbPNSt15iterator_traitsISH_E10value_typeEPNSN_ISI_E10value_typeEPSJ_NS1_7vsmem_tEENKUlT_SH_SI_SJ_E_clIPiSB_SC_SC_EESG_SW_SH_SI_SJ_EUlSW_E0_NS1_11comp_targetILNS1_3genE0ELNS1_11target_archE4294967295ELNS1_3gpuE0ELNS1_3repE0EEENS1_38merge_mergepath_config_static_selectorELNS0_4arch9wavefront6targetE0EEEvSI_
    .private_segment_fixed_size: 0
    .sgpr_count:     0
    .sgpr_spill_count: 0
    .symbol:         _ZN7rocprim17ROCPRIM_400000_NS6detail17trampoline_kernelINS0_14default_configENS1_38merge_sort_block_merge_config_selectorIiNS0_10empty_typeEEEZZNS1_27merge_sort_block_merge_implIS3_N6thrust23THRUST_200600_302600_NS10device_ptrIiEEPS5_jNS1_19radix_merge_compareILb0ELb1EiNS0_19identity_decomposerEEEEE10hipError_tT0_T1_T2_jT3_P12ihipStream_tbPNSt15iterator_traitsISH_E10value_typeEPNSN_ISI_E10value_typeEPSJ_NS1_7vsmem_tEENKUlT_SH_SI_SJ_E_clIPiSB_SC_SC_EESG_SW_SH_SI_SJ_EUlSW_E0_NS1_11comp_targetILNS1_3genE0ELNS1_11target_archE4294967295ELNS1_3gpuE0ELNS1_3repE0EEENS1_38merge_mergepath_config_static_selectorELNS0_4arch9wavefront6targetE0EEEvSI_.kd
    .uniform_work_group_size: 1
    .uses_dynamic_stack: false
    .vgpr_count:     0
    .vgpr_spill_count: 0
    .wavefront_size: 32
    .workgroup_processor_mode: 1
  - .args:
      - .offset:         0
        .size:           64
        .value_kind:     by_value
    .group_segment_fixed_size: 0
    .kernarg_segment_align: 8
    .kernarg_segment_size: 64
    .language:       OpenCL C
    .language_version:
      - 2
      - 0
    .max_flat_workgroup_size: 256
    .name:           _ZN7rocprim17ROCPRIM_400000_NS6detail17trampoline_kernelINS0_14default_configENS1_38merge_sort_block_merge_config_selectorIiNS0_10empty_typeEEEZZNS1_27merge_sort_block_merge_implIS3_N6thrust23THRUST_200600_302600_NS10device_ptrIiEEPS5_jNS1_19radix_merge_compareILb0ELb1EiNS0_19identity_decomposerEEEEE10hipError_tT0_T1_T2_jT3_P12ihipStream_tbPNSt15iterator_traitsISH_E10value_typeEPNSN_ISI_E10value_typeEPSJ_NS1_7vsmem_tEENKUlT_SH_SI_SJ_E_clIPiSB_SC_SC_EESG_SW_SH_SI_SJ_EUlSW_E0_NS1_11comp_targetILNS1_3genE10ELNS1_11target_archE1201ELNS1_3gpuE5ELNS1_3repE0EEENS1_38merge_mergepath_config_static_selectorELNS0_4arch9wavefront6targetE0EEEvSI_
    .private_segment_fixed_size: 0
    .sgpr_count:     0
    .sgpr_spill_count: 0
    .symbol:         _ZN7rocprim17ROCPRIM_400000_NS6detail17trampoline_kernelINS0_14default_configENS1_38merge_sort_block_merge_config_selectorIiNS0_10empty_typeEEEZZNS1_27merge_sort_block_merge_implIS3_N6thrust23THRUST_200600_302600_NS10device_ptrIiEEPS5_jNS1_19radix_merge_compareILb0ELb1EiNS0_19identity_decomposerEEEEE10hipError_tT0_T1_T2_jT3_P12ihipStream_tbPNSt15iterator_traitsISH_E10value_typeEPNSN_ISI_E10value_typeEPSJ_NS1_7vsmem_tEENKUlT_SH_SI_SJ_E_clIPiSB_SC_SC_EESG_SW_SH_SI_SJ_EUlSW_E0_NS1_11comp_targetILNS1_3genE10ELNS1_11target_archE1201ELNS1_3gpuE5ELNS1_3repE0EEENS1_38merge_mergepath_config_static_selectorELNS0_4arch9wavefront6targetE0EEEvSI_.kd
    .uniform_work_group_size: 1
    .uses_dynamic_stack: false
    .vgpr_count:     0
    .vgpr_spill_count: 0
    .wavefront_size: 32
    .workgroup_processor_mode: 1
  - .args:
      - .offset:         0
        .size:           64
        .value_kind:     by_value
    .group_segment_fixed_size: 0
    .kernarg_segment_align: 8
    .kernarg_segment_size: 64
    .language:       OpenCL C
    .language_version:
      - 2
      - 0
    .max_flat_workgroup_size: 128
    .name:           _ZN7rocprim17ROCPRIM_400000_NS6detail17trampoline_kernelINS0_14default_configENS1_38merge_sort_block_merge_config_selectorIiNS0_10empty_typeEEEZZNS1_27merge_sort_block_merge_implIS3_N6thrust23THRUST_200600_302600_NS10device_ptrIiEEPS5_jNS1_19radix_merge_compareILb0ELb1EiNS0_19identity_decomposerEEEEE10hipError_tT0_T1_T2_jT3_P12ihipStream_tbPNSt15iterator_traitsISH_E10value_typeEPNSN_ISI_E10value_typeEPSJ_NS1_7vsmem_tEENKUlT_SH_SI_SJ_E_clIPiSB_SC_SC_EESG_SW_SH_SI_SJ_EUlSW_E0_NS1_11comp_targetILNS1_3genE5ELNS1_11target_archE942ELNS1_3gpuE9ELNS1_3repE0EEENS1_38merge_mergepath_config_static_selectorELNS0_4arch9wavefront6targetE0EEEvSI_
    .private_segment_fixed_size: 0
    .sgpr_count:     0
    .sgpr_spill_count: 0
    .symbol:         _ZN7rocprim17ROCPRIM_400000_NS6detail17trampoline_kernelINS0_14default_configENS1_38merge_sort_block_merge_config_selectorIiNS0_10empty_typeEEEZZNS1_27merge_sort_block_merge_implIS3_N6thrust23THRUST_200600_302600_NS10device_ptrIiEEPS5_jNS1_19radix_merge_compareILb0ELb1EiNS0_19identity_decomposerEEEEE10hipError_tT0_T1_T2_jT3_P12ihipStream_tbPNSt15iterator_traitsISH_E10value_typeEPNSN_ISI_E10value_typeEPSJ_NS1_7vsmem_tEENKUlT_SH_SI_SJ_E_clIPiSB_SC_SC_EESG_SW_SH_SI_SJ_EUlSW_E0_NS1_11comp_targetILNS1_3genE5ELNS1_11target_archE942ELNS1_3gpuE9ELNS1_3repE0EEENS1_38merge_mergepath_config_static_selectorELNS0_4arch9wavefront6targetE0EEEvSI_.kd
    .uniform_work_group_size: 1
    .uses_dynamic_stack: false
    .vgpr_count:     0
    .vgpr_spill_count: 0
    .wavefront_size: 32
    .workgroup_processor_mode: 1
  - .args:
      - .offset:         0
        .size:           64
        .value_kind:     by_value
    .group_segment_fixed_size: 0
    .kernarg_segment_align: 8
    .kernarg_segment_size: 64
    .language:       OpenCL C
    .language_version:
      - 2
      - 0
    .max_flat_workgroup_size: 128
    .name:           _ZN7rocprim17ROCPRIM_400000_NS6detail17trampoline_kernelINS0_14default_configENS1_38merge_sort_block_merge_config_selectorIiNS0_10empty_typeEEEZZNS1_27merge_sort_block_merge_implIS3_N6thrust23THRUST_200600_302600_NS10device_ptrIiEEPS5_jNS1_19radix_merge_compareILb0ELb1EiNS0_19identity_decomposerEEEEE10hipError_tT0_T1_T2_jT3_P12ihipStream_tbPNSt15iterator_traitsISH_E10value_typeEPNSN_ISI_E10value_typeEPSJ_NS1_7vsmem_tEENKUlT_SH_SI_SJ_E_clIPiSB_SC_SC_EESG_SW_SH_SI_SJ_EUlSW_E0_NS1_11comp_targetILNS1_3genE4ELNS1_11target_archE910ELNS1_3gpuE8ELNS1_3repE0EEENS1_38merge_mergepath_config_static_selectorELNS0_4arch9wavefront6targetE0EEEvSI_
    .private_segment_fixed_size: 0
    .sgpr_count:     0
    .sgpr_spill_count: 0
    .symbol:         _ZN7rocprim17ROCPRIM_400000_NS6detail17trampoline_kernelINS0_14default_configENS1_38merge_sort_block_merge_config_selectorIiNS0_10empty_typeEEEZZNS1_27merge_sort_block_merge_implIS3_N6thrust23THRUST_200600_302600_NS10device_ptrIiEEPS5_jNS1_19radix_merge_compareILb0ELb1EiNS0_19identity_decomposerEEEEE10hipError_tT0_T1_T2_jT3_P12ihipStream_tbPNSt15iterator_traitsISH_E10value_typeEPNSN_ISI_E10value_typeEPSJ_NS1_7vsmem_tEENKUlT_SH_SI_SJ_E_clIPiSB_SC_SC_EESG_SW_SH_SI_SJ_EUlSW_E0_NS1_11comp_targetILNS1_3genE4ELNS1_11target_archE910ELNS1_3gpuE8ELNS1_3repE0EEENS1_38merge_mergepath_config_static_selectorELNS0_4arch9wavefront6targetE0EEEvSI_.kd
    .uniform_work_group_size: 1
    .uses_dynamic_stack: false
    .vgpr_count:     0
    .vgpr_spill_count: 0
    .wavefront_size: 32
    .workgroup_processor_mode: 1
  - .args:
      - .offset:         0
        .size:           64
        .value_kind:     by_value
    .group_segment_fixed_size: 0
    .kernarg_segment_align: 8
    .kernarg_segment_size: 64
    .language:       OpenCL C
    .language_version:
      - 2
      - 0
    .max_flat_workgroup_size: 128
    .name:           _ZN7rocprim17ROCPRIM_400000_NS6detail17trampoline_kernelINS0_14default_configENS1_38merge_sort_block_merge_config_selectorIiNS0_10empty_typeEEEZZNS1_27merge_sort_block_merge_implIS3_N6thrust23THRUST_200600_302600_NS10device_ptrIiEEPS5_jNS1_19radix_merge_compareILb0ELb1EiNS0_19identity_decomposerEEEEE10hipError_tT0_T1_T2_jT3_P12ihipStream_tbPNSt15iterator_traitsISH_E10value_typeEPNSN_ISI_E10value_typeEPSJ_NS1_7vsmem_tEENKUlT_SH_SI_SJ_E_clIPiSB_SC_SC_EESG_SW_SH_SI_SJ_EUlSW_E0_NS1_11comp_targetILNS1_3genE3ELNS1_11target_archE908ELNS1_3gpuE7ELNS1_3repE0EEENS1_38merge_mergepath_config_static_selectorELNS0_4arch9wavefront6targetE0EEEvSI_
    .private_segment_fixed_size: 0
    .sgpr_count:     0
    .sgpr_spill_count: 0
    .symbol:         _ZN7rocprim17ROCPRIM_400000_NS6detail17trampoline_kernelINS0_14default_configENS1_38merge_sort_block_merge_config_selectorIiNS0_10empty_typeEEEZZNS1_27merge_sort_block_merge_implIS3_N6thrust23THRUST_200600_302600_NS10device_ptrIiEEPS5_jNS1_19radix_merge_compareILb0ELb1EiNS0_19identity_decomposerEEEEE10hipError_tT0_T1_T2_jT3_P12ihipStream_tbPNSt15iterator_traitsISH_E10value_typeEPNSN_ISI_E10value_typeEPSJ_NS1_7vsmem_tEENKUlT_SH_SI_SJ_E_clIPiSB_SC_SC_EESG_SW_SH_SI_SJ_EUlSW_E0_NS1_11comp_targetILNS1_3genE3ELNS1_11target_archE908ELNS1_3gpuE7ELNS1_3repE0EEENS1_38merge_mergepath_config_static_selectorELNS0_4arch9wavefront6targetE0EEEvSI_.kd
    .uniform_work_group_size: 1
    .uses_dynamic_stack: false
    .vgpr_count:     0
    .vgpr_spill_count: 0
    .wavefront_size: 32
    .workgroup_processor_mode: 1
  - .args:
      - .offset:         0
        .size:           64
        .value_kind:     by_value
    .group_segment_fixed_size: 0
    .kernarg_segment_align: 8
    .kernarg_segment_size: 64
    .language:       OpenCL C
    .language_version:
      - 2
      - 0
    .max_flat_workgroup_size: 128
    .name:           _ZN7rocprim17ROCPRIM_400000_NS6detail17trampoline_kernelINS0_14default_configENS1_38merge_sort_block_merge_config_selectorIiNS0_10empty_typeEEEZZNS1_27merge_sort_block_merge_implIS3_N6thrust23THRUST_200600_302600_NS10device_ptrIiEEPS5_jNS1_19radix_merge_compareILb0ELb1EiNS0_19identity_decomposerEEEEE10hipError_tT0_T1_T2_jT3_P12ihipStream_tbPNSt15iterator_traitsISH_E10value_typeEPNSN_ISI_E10value_typeEPSJ_NS1_7vsmem_tEENKUlT_SH_SI_SJ_E_clIPiSB_SC_SC_EESG_SW_SH_SI_SJ_EUlSW_E0_NS1_11comp_targetILNS1_3genE2ELNS1_11target_archE906ELNS1_3gpuE6ELNS1_3repE0EEENS1_38merge_mergepath_config_static_selectorELNS0_4arch9wavefront6targetE0EEEvSI_
    .private_segment_fixed_size: 0
    .sgpr_count:     0
    .sgpr_spill_count: 0
    .symbol:         _ZN7rocprim17ROCPRIM_400000_NS6detail17trampoline_kernelINS0_14default_configENS1_38merge_sort_block_merge_config_selectorIiNS0_10empty_typeEEEZZNS1_27merge_sort_block_merge_implIS3_N6thrust23THRUST_200600_302600_NS10device_ptrIiEEPS5_jNS1_19radix_merge_compareILb0ELb1EiNS0_19identity_decomposerEEEEE10hipError_tT0_T1_T2_jT3_P12ihipStream_tbPNSt15iterator_traitsISH_E10value_typeEPNSN_ISI_E10value_typeEPSJ_NS1_7vsmem_tEENKUlT_SH_SI_SJ_E_clIPiSB_SC_SC_EESG_SW_SH_SI_SJ_EUlSW_E0_NS1_11comp_targetILNS1_3genE2ELNS1_11target_archE906ELNS1_3gpuE6ELNS1_3repE0EEENS1_38merge_mergepath_config_static_selectorELNS0_4arch9wavefront6targetE0EEEvSI_.kd
    .uniform_work_group_size: 1
    .uses_dynamic_stack: false
    .vgpr_count:     0
    .vgpr_spill_count: 0
    .wavefront_size: 32
    .workgroup_processor_mode: 1
  - .args:
      - .offset:         0
        .size:           64
        .value_kind:     by_value
    .group_segment_fixed_size: 0
    .kernarg_segment_align: 8
    .kernarg_segment_size: 64
    .language:       OpenCL C
    .language_version:
      - 2
      - 0
    .max_flat_workgroup_size: 256
    .name:           _ZN7rocprim17ROCPRIM_400000_NS6detail17trampoline_kernelINS0_14default_configENS1_38merge_sort_block_merge_config_selectorIiNS0_10empty_typeEEEZZNS1_27merge_sort_block_merge_implIS3_N6thrust23THRUST_200600_302600_NS10device_ptrIiEEPS5_jNS1_19radix_merge_compareILb0ELb1EiNS0_19identity_decomposerEEEEE10hipError_tT0_T1_T2_jT3_P12ihipStream_tbPNSt15iterator_traitsISH_E10value_typeEPNSN_ISI_E10value_typeEPSJ_NS1_7vsmem_tEENKUlT_SH_SI_SJ_E_clIPiSB_SC_SC_EESG_SW_SH_SI_SJ_EUlSW_E0_NS1_11comp_targetILNS1_3genE9ELNS1_11target_archE1100ELNS1_3gpuE3ELNS1_3repE0EEENS1_38merge_mergepath_config_static_selectorELNS0_4arch9wavefront6targetE0EEEvSI_
    .private_segment_fixed_size: 0
    .sgpr_count:     0
    .sgpr_spill_count: 0
    .symbol:         _ZN7rocprim17ROCPRIM_400000_NS6detail17trampoline_kernelINS0_14default_configENS1_38merge_sort_block_merge_config_selectorIiNS0_10empty_typeEEEZZNS1_27merge_sort_block_merge_implIS3_N6thrust23THRUST_200600_302600_NS10device_ptrIiEEPS5_jNS1_19radix_merge_compareILb0ELb1EiNS0_19identity_decomposerEEEEE10hipError_tT0_T1_T2_jT3_P12ihipStream_tbPNSt15iterator_traitsISH_E10value_typeEPNSN_ISI_E10value_typeEPSJ_NS1_7vsmem_tEENKUlT_SH_SI_SJ_E_clIPiSB_SC_SC_EESG_SW_SH_SI_SJ_EUlSW_E0_NS1_11comp_targetILNS1_3genE9ELNS1_11target_archE1100ELNS1_3gpuE3ELNS1_3repE0EEENS1_38merge_mergepath_config_static_selectorELNS0_4arch9wavefront6targetE0EEEvSI_.kd
    .uniform_work_group_size: 1
    .uses_dynamic_stack: false
    .vgpr_count:     0
    .vgpr_spill_count: 0
    .wavefront_size: 32
    .workgroup_processor_mode: 1
  - .args:
      - .offset:         0
        .size:           64
        .value_kind:     by_value
      - .offset:         64
        .size:           4
        .value_kind:     hidden_block_count_x
      - .offset:         68
        .size:           4
        .value_kind:     hidden_block_count_y
      - .offset:         72
        .size:           4
        .value_kind:     hidden_block_count_z
      - .offset:         76
        .size:           2
        .value_kind:     hidden_group_size_x
      - .offset:         78
        .size:           2
        .value_kind:     hidden_group_size_y
      - .offset:         80
        .size:           2
        .value_kind:     hidden_group_size_z
      - .offset:         82
        .size:           2
        .value_kind:     hidden_remainder_x
      - .offset:         84
        .size:           2
        .value_kind:     hidden_remainder_y
      - .offset:         86
        .size:           2
        .value_kind:     hidden_remainder_z
      - .offset:         104
        .size:           8
        .value_kind:     hidden_global_offset_x
      - .offset:         112
        .size:           8
        .value_kind:     hidden_global_offset_y
      - .offset:         120
        .size:           8
        .value_kind:     hidden_global_offset_z
      - .offset:         128
        .size:           2
        .value_kind:     hidden_grid_dims
    .group_segment_fixed_size: 4224
    .kernarg_segment_align: 8
    .kernarg_segment_size: 320
    .language:       OpenCL C
    .language_version:
      - 2
      - 0
    .max_flat_workgroup_size: 512
    .name:           _ZN7rocprim17ROCPRIM_400000_NS6detail17trampoline_kernelINS0_14default_configENS1_38merge_sort_block_merge_config_selectorIiNS0_10empty_typeEEEZZNS1_27merge_sort_block_merge_implIS3_N6thrust23THRUST_200600_302600_NS10device_ptrIiEEPS5_jNS1_19radix_merge_compareILb0ELb1EiNS0_19identity_decomposerEEEEE10hipError_tT0_T1_T2_jT3_P12ihipStream_tbPNSt15iterator_traitsISH_E10value_typeEPNSN_ISI_E10value_typeEPSJ_NS1_7vsmem_tEENKUlT_SH_SI_SJ_E_clIPiSB_SC_SC_EESG_SW_SH_SI_SJ_EUlSW_E0_NS1_11comp_targetILNS1_3genE8ELNS1_11target_archE1030ELNS1_3gpuE2ELNS1_3repE0EEENS1_38merge_mergepath_config_static_selectorELNS0_4arch9wavefront6targetE0EEEvSI_
    .private_segment_fixed_size: 0
    .sgpr_count:     26
    .sgpr_spill_count: 0
    .symbol:         _ZN7rocprim17ROCPRIM_400000_NS6detail17trampoline_kernelINS0_14default_configENS1_38merge_sort_block_merge_config_selectorIiNS0_10empty_typeEEEZZNS1_27merge_sort_block_merge_implIS3_N6thrust23THRUST_200600_302600_NS10device_ptrIiEEPS5_jNS1_19radix_merge_compareILb0ELb1EiNS0_19identity_decomposerEEEEE10hipError_tT0_T1_T2_jT3_P12ihipStream_tbPNSt15iterator_traitsISH_E10value_typeEPNSN_ISI_E10value_typeEPSJ_NS1_7vsmem_tEENKUlT_SH_SI_SJ_E_clIPiSB_SC_SC_EESG_SW_SH_SI_SJ_EUlSW_E0_NS1_11comp_targetILNS1_3genE8ELNS1_11target_archE1030ELNS1_3gpuE2ELNS1_3repE0EEENS1_38merge_mergepath_config_static_selectorELNS0_4arch9wavefront6targetE0EEEvSI_.kd
    .uniform_work_group_size: 1
    .uses_dynamic_stack: false
    .vgpr_count:     14
    .vgpr_spill_count: 0
    .wavefront_size: 32
    .workgroup_processor_mode: 1
  - .args:
      - .offset:         0
        .size:           48
        .value_kind:     by_value
    .group_segment_fixed_size: 0
    .kernarg_segment_align: 8
    .kernarg_segment_size: 48
    .language:       OpenCL C
    .language_version:
      - 2
      - 0
    .max_flat_workgroup_size: 256
    .name:           _ZN7rocprim17ROCPRIM_400000_NS6detail17trampoline_kernelINS0_14default_configENS1_38merge_sort_block_merge_config_selectorIiNS0_10empty_typeEEEZZNS1_27merge_sort_block_merge_implIS3_N6thrust23THRUST_200600_302600_NS10device_ptrIiEEPS5_jNS1_19radix_merge_compareILb0ELb1EiNS0_19identity_decomposerEEEEE10hipError_tT0_T1_T2_jT3_P12ihipStream_tbPNSt15iterator_traitsISH_E10value_typeEPNSN_ISI_E10value_typeEPSJ_NS1_7vsmem_tEENKUlT_SH_SI_SJ_E_clIPiSB_SC_SC_EESG_SW_SH_SI_SJ_EUlSW_E1_NS1_11comp_targetILNS1_3genE0ELNS1_11target_archE4294967295ELNS1_3gpuE0ELNS1_3repE0EEENS1_36merge_oddeven_config_static_selectorELNS0_4arch9wavefront6targetE0EEEvSI_
    .private_segment_fixed_size: 0
    .sgpr_count:     0
    .sgpr_spill_count: 0
    .symbol:         _ZN7rocprim17ROCPRIM_400000_NS6detail17trampoline_kernelINS0_14default_configENS1_38merge_sort_block_merge_config_selectorIiNS0_10empty_typeEEEZZNS1_27merge_sort_block_merge_implIS3_N6thrust23THRUST_200600_302600_NS10device_ptrIiEEPS5_jNS1_19radix_merge_compareILb0ELb1EiNS0_19identity_decomposerEEEEE10hipError_tT0_T1_T2_jT3_P12ihipStream_tbPNSt15iterator_traitsISH_E10value_typeEPNSN_ISI_E10value_typeEPSJ_NS1_7vsmem_tEENKUlT_SH_SI_SJ_E_clIPiSB_SC_SC_EESG_SW_SH_SI_SJ_EUlSW_E1_NS1_11comp_targetILNS1_3genE0ELNS1_11target_archE4294967295ELNS1_3gpuE0ELNS1_3repE0EEENS1_36merge_oddeven_config_static_selectorELNS0_4arch9wavefront6targetE0EEEvSI_.kd
    .uniform_work_group_size: 1
    .uses_dynamic_stack: false
    .vgpr_count:     0
    .vgpr_spill_count: 0
    .wavefront_size: 32
    .workgroup_processor_mode: 1
  - .args:
      - .offset:         0
        .size:           48
        .value_kind:     by_value
    .group_segment_fixed_size: 0
    .kernarg_segment_align: 8
    .kernarg_segment_size: 48
    .language:       OpenCL C
    .language_version:
      - 2
      - 0
    .max_flat_workgroup_size: 256
    .name:           _ZN7rocprim17ROCPRIM_400000_NS6detail17trampoline_kernelINS0_14default_configENS1_38merge_sort_block_merge_config_selectorIiNS0_10empty_typeEEEZZNS1_27merge_sort_block_merge_implIS3_N6thrust23THRUST_200600_302600_NS10device_ptrIiEEPS5_jNS1_19radix_merge_compareILb0ELb1EiNS0_19identity_decomposerEEEEE10hipError_tT0_T1_T2_jT3_P12ihipStream_tbPNSt15iterator_traitsISH_E10value_typeEPNSN_ISI_E10value_typeEPSJ_NS1_7vsmem_tEENKUlT_SH_SI_SJ_E_clIPiSB_SC_SC_EESG_SW_SH_SI_SJ_EUlSW_E1_NS1_11comp_targetILNS1_3genE10ELNS1_11target_archE1201ELNS1_3gpuE5ELNS1_3repE0EEENS1_36merge_oddeven_config_static_selectorELNS0_4arch9wavefront6targetE0EEEvSI_
    .private_segment_fixed_size: 0
    .sgpr_count:     0
    .sgpr_spill_count: 0
    .symbol:         _ZN7rocprim17ROCPRIM_400000_NS6detail17trampoline_kernelINS0_14default_configENS1_38merge_sort_block_merge_config_selectorIiNS0_10empty_typeEEEZZNS1_27merge_sort_block_merge_implIS3_N6thrust23THRUST_200600_302600_NS10device_ptrIiEEPS5_jNS1_19radix_merge_compareILb0ELb1EiNS0_19identity_decomposerEEEEE10hipError_tT0_T1_T2_jT3_P12ihipStream_tbPNSt15iterator_traitsISH_E10value_typeEPNSN_ISI_E10value_typeEPSJ_NS1_7vsmem_tEENKUlT_SH_SI_SJ_E_clIPiSB_SC_SC_EESG_SW_SH_SI_SJ_EUlSW_E1_NS1_11comp_targetILNS1_3genE10ELNS1_11target_archE1201ELNS1_3gpuE5ELNS1_3repE0EEENS1_36merge_oddeven_config_static_selectorELNS0_4arch9wavefront6targetE0EEEvSI_.kd
    .uniform_work_group_size: 1
    .uses_dynamic_stack: false
    .vgpr_count:     0
    .vgpr_spill_count: 0
    .wavefront_size: 32
    .workgroup_processor_mode: 1
  - .args:
      - .offset:         0
        .size:           48
        .value_kind:     by_value
    .group_segment_fixed_size: 0
    .kernarg_segment_align: 8
    .kernarg_segment_size: 48
    .language:       OpenCL C
    .language_version:
      - 2
      - 0
    .max_flat_workgroup_size: 256
    .name:           _ZN7rocprim17ROCPRIM_400000_NS6detail17trampoline_kernelINS0_14default_configENS1_38merge_sort_block_merge_config_selectorIiNS0_10empty_typeEEEZZNS1_27merge_sort_block_merge_implIS3_N6thrust23THRUST_200600_302600_NS10device_ptrIiEEPS5_jNS1_19radix_merge_compareILb0ELb1EiNS0_19identity_decomposerEEEEE10hipError_tT0_T1_T2_jT3_P12ihipStream_tbPNSt15iterator_traitsISH_E10value_typeEPNSN_ISI_E10value_typeEPSJ_NS1_7vsmem_tEENKUlT_SH_SI_SJ_E_clIPiSB_SC_SC_EESG_SW_SH_SI_SJ_EUlSW_E1_NS1_11comp_targetILNS1_3genE5ELNS1_11target_archE942ELNS1_3gpuE9ELNS1_3repE0EEENS1_36merge_oddeven_config_static_selectorELNS0_4arch9wavefront6targetE0EEEvSI_
    .private_segment_fixed_size: 0
    .sgpr_count:     0
    .sgpr_spill_count: 0
    .symbol:         _ZN7rocprim17ROCPRIM_400000_NS6detail17trampoline_kernelINS0_14default_configENS1_38merge_sort_block_merge_config_selectorIiNS0_10empty_typeEEEZZNS1_27merge_sort_block_merge_implIS3_N6thrust23THRUST_200600_302600_NS10device_ptrIiEEPS5_jNS1_19radix_merge_compareILb0ELb1EiNS0_19identity_decomposerEEEEE10hipError_tT0_T1_T2_jT3_P12ihipStream_tbPNSt15iterator_traitsISH_E10value_typeEPNSN_ISI_E10value_typeEPSJ_NS1_7vsmem_tEENKUlT_SH_SI_SJ_E_clIPiSB_SC_SC_EESG_SW_SH_SI_SJ_EUlSW_E1_NS1_11comp_targetILNS1_3genE5ELNS1_11target_archE942ELNS1_3gpuE9ELNS1_3repE0EEENS1_36merge_oddeven_config_static_selectorELNS0_4arch9wavefront6targetE0EEEvSI_.kd
    .uniform_work_group_size: 1
    .uses_dynamic_stack: false
    .vgpr_count:     0
    .vgpr_spill_count: 0
    .wavefront_size: 32
    .workgroup_processor_mode: 1
  - .args:
      - .offset:         0
        .size:           48
        .value_kind:     by_value
    .group_segment_fixed_size: 0
    .kernarg_segment_align: 8
    .kernarg_segment_size: 48
    .language:       OpenCL C
    .language_version:
      - 2
      - 0
    .max_flat_workgroup_size: 256
    .name:           _ZN7rocprim17ROCPRIM_400000_NS6detail17trampoline_kernelINS0_14default_configENS1_38merge_sort_block_merge_config_selectorIiNS0_10empty_typeEEEZZNS1_27merge_sort_block_merge_implIS3_N6thrust23THRUST_200600_302600_NS10device_ptrIiEEPS5_jNS1_19radix_merge_compareILb0ELb1EiNS0_19identity_decomposerEEEEE10hipError_tT0_T1_T2_jT3_P12ihipStream_tbPNSt15iterator_traitsISH_E10value_typeEPNSN_ISI_E10value_typeEPSJ_NS1_7vsmem_tEENKUlT_SH_SI_SJ_E_clIPiSB_SC_SC_EESG_SW_SH_SI_SJ_EUlSW_E1_NS1_11comp_targetILNS1_3genE4ELNS1_11target_archE910ELNS1_3gpuE8ELNS1_3repE0EEENS1_36merge_oddeven_config_static_selectorELNS0_4arch9wavefront6targetE0EEEvSI_
    .private_segment_fixed_size: 0
    .sgpr_count:     0
    .sgpr_spill_count: 0
    .symbol:         _ZN7rocprim17ROCPRIM_400000_NS6detail17trampoline_kernelINS0_14default_configENS1_38merge_sort_block_merge_config_selectorIiNS0_10empty_typeEEEZZNS1_27merge_sort_block_merge_implIS3_N6thrust23THRUST_200600_302600_NS10device_ptrIiEEPS5_jNS1_19radix_merge_compareILb0ELb1EiNS0_19identity_decomposerEEEEE10hipError_tT0_T1_T2_jT3_P12ihipStream_tbPNSt15iterator_traitsISH_E10value_typeEPNSN_ISI_E10value_typeEPSJ_NS1_7vsmem_tEENKUlT_SH_SI_SJ_E_clIPiSB_SC_SC_EESG_SW_SH_SI_SJ_EUlSW_E1_NS1_11comp_targetILNS1_3genE4ELNS1_11target_archE910ELNS1_3gpuE8ELNS1_3repE0EEENS1_36merge_oddeven_config_static_selectorELNS0_4arch9wavefront6targetE0EEEvSI_.kd
    .uniform_work_group_size: 1
    .uses_dynamic_stack: false
    .vgpr_count:     0
    .vgpr_spill_count: 0
    .wavefront_size: 32
    .workgroup_processor_mode: 1
  - .args:
      - .offset:         0
        .size:           48
        .value_kind:     by_value
    .group_segment_fixed_size: 0
    .kernarg_segment_align: 8
    .kernarg_segment_size: 48
    .language:       OpenCL C
    .language_version:
      - 2
      - 0
    .max_flat_workgroup_size: 256
    .name:           _ZN7rocprim17ROCPRIM_400000_NS6detail17trampoline_kernelINS0_14default_configENS1_38merge_sort_block_merge_config_selectorIiNS0_10empty_typeEEEZZNS1_27merge_sort_block_merge_implIS3_N6thrust23THRUST_200600_302600_NS10device_ptrIiEEPS5_jNS1_19radix_merge_compareILb0ELb1EiNS0_19identity_decomposerEEEEE10hipError_tT0_T1_T2_jT3_P12ihipStream_tbPNSt15iterator_traitsISH_E10value_typeEPNSN_ISI_E10value_typeEPSJ_NS1_7vsmem_tEENKUlT_SH_SI_SJ_E_clIPiSB_SC_SC_EESG_SW_SH_SI_SJ_EUlSW_E1_NS1_11comp_targetILNS1_3genE3ELNS1_11target_archE908ELNS1_3gpuE7ELNS1_3repE0EEENS1_36merge_oddeven_config_static_selectorELNS0_4arch9wavefront6targetE0EEEvSI_
    .private_segment_fixed_size: 0
    .sgpr_count:     0
    .sgpr_spill_count: 0
    .symbol:         _ZN7rocprim17ROCPRIM_400000_NS6detail17trampoline_kernelINS0_14default_configENS1_38merge_sort_block_merge_config_selectorIiNS0_10empty_typeEEEZZNS1_27merge_sort_block_merge_implIS3_N6thrust23THRUST_200600_302600_NS10device_ptrIiEEPS5_jNS1_19radix_merge_compareILb0ELb1EiNS0_19identity_decomposerEEEEE10hipError_tT0_T1_T2_jT3_P12ihipStream_tbPNSt15iterator_traitsISH_E10value_typeEPNSN_ISI_E10value_typeEPSJ_NS1_7vsmem_tEENKUlT_SH_SI_SJ_E_clIPiSB_SC_SC_EESG_SW_SH_SI_SJ_EUlSW_E1_NS1_11comp_targetILNS1_3genE3ELNS1_11target_archE908ELNS1_3gpuE7ELNS1_3repE0EEENS1_36merge_oddeven_config_static_selectorELNS0_4arch9wavefront6targetE0EEEvSI_.kd
    .uniform_work_group_size: 1
    .uses_dynamic_stack: false
    .vgpr_count:     0
    .vgpr_spill_count: 0
    .wavefront_size: 32
    .workgroup_processor_mode: 1
  - .args:
      - .offset:         0
        .size:           48
        .value_kind:     by_value
    .group_segment_fixed_size: 0
    .kernarg_segment_align: 8
    .kernarg_segment_size: 48
    .language:       OpenCL C
    .language_version:
      - 2
      - 0
    .max_flat_workgroup_size: 256
    .name:           _ZN7rocprim17ROCPRIM_400000_NS6detail17trampoline_kernelINS0_14default_configENS1_38merge_sort_block_merge_config_selectorIiNS0_10empty_typeEEEZZNS1_27merge_sort_block_merge_implIS3_N6thrust23THRUST_200600_302600_NS10device_ptrIiEEPS5_jNS1_19radix_merge_compareILb0ELb1EiNS0_19identity_decomposerEEEEE10hipError_tT0_T1_T2_jT3_P12ihipStream_tbPNSt15iterator_traitsISH_E10value_typeEPNSN_ISI_E10value_typeEPSJ_NS1_7vsmem_tEENKUlT_SH_SI_SJ_E_clIPiSB_SC_SC_EESG_SW_SH_SI_SJ_EUlSW_E1_NS1_11comp_targetILNS1_3genE2ELNS1_11target_archE906ELNS1_3gpuE6ELNS1_3repE0EEENS1_36merge_oddeven_config_static_selectorELNS0_4arch9wavefront6targetE0EEEvSI_
    .private_segment_fixed_size: 0
    .sgpr_count:     0
    .sgpr_spill_count: 0
    .symbol:         _ZN7rocprim17ROCPRIM_400000_NS6detail17trampoline_kernelINS0_14default_configENS1_38merge_sort_block_merge_config_selectorIiNS0_10empty_typeEEEZZNS1_27merge_sort_block_merge_implIS3_N6thrust23THRUST_200600_302600_NS10device_ptrIiEEPS5_jNS1_19radix_merge_compareILb0ELb1EiNS0_19identity_decomposerEEEEE10hipError_tT0_T1_T2_jT3_P12ihipStream_tbPNSt15iterator_traitsISH_E10value_typeEPNSN_ISI_E10value_typeEPSJ_NS1_7vsmem_tEENKUlT_SH_SI_SJ_E_clIPiSB_SC_SC_EESG_SW_SH_SI_SJ_EUlSW_E1_NS1_11comp_targetILNS1_3genE2ELNS1_11target_archE906ELNS1_3gpuE6ELNS1_3repE0EEENS1_36merge_oddeven_config_static_selectorELNS0_4arch9wavefront6targetE0EEEvSI_.kd
    .uniform_work_group_size: 1
    .uses_dynamic_stack: false
    .vgpr_count:     0
    .vgpr_spill_count: 0
    .wavefront_size: 32
    .workgroup_processor_mode: 1
  - .args:
      - .offset:         0
        .size:           48
        .value_kind:     by_value
    .group_segment_fixed_size: 0
    .kernarg_segment_align: 8
    .kernarg_segment_size: 48
    .language:       OpenCL C
    .language_version:
      - 2
      - 0
    .max_flat_workgroup_size: 256
    .name:           _ZN7rocprim17ROCPRIM_400000_NS6detail17trampoline_kernelINS0_14default_configENS1_38merge_sort_block_merge_config_selectorIiNS0_10empty_typeEEEZZNS1_27merge_sort_block_merge_implIS3_N6thrust23THRUST_200600_302600_NS10device_ptrIiEEPS5_jNS1_19radix_merge_compareILb0ELb1EiNS0_19identity_decomposerEEEEE10hipError_tT0_T1_T2_jT3_P12ihipStream_tbPNSt15iterator_traitsISH_E10value_typeEPNSN_ISI_E10value_typeEPSJ_NS1_7vsmem_tEENKUlT_SH_SI_SJ_E_clIPiSB_SC_SC_EESG_SW_SH_SI_SJ_EUlSW_E1_NS1_11comp_targetILNS1_3genE9ELNS1_11target_archE1100ELNS1_3gpuE3ELNS1_3repE0EEENS1_36merge_oddeven_config_static_selectorELNS0_4arch9wavefront6targetE0EEEvSI_
    .private_segment_fixed_size: 0
    .sgpr_count:     0
    .sgpr_spill_count: 0
    .symbol:         _ZN7rocprim17ROCPRIM_400000_NS6detail17trampoline_kernelINS0_14default_configENS1_38merge_sort_block_merge_config_selectorIiNS0_10empty_typeEEEZZNS1_27merge_sort_block_merge_implIS3_N6thrust23THRUST_200600_302600_NS10device_ptrIiEEPS5_jNS1_19radix_merge_compareILb0ELb1EiNS0_19identity_decomposerEEEEE10hipError_tT0_T1_T2_jT3_P12ihipStream_tbPNSt15iterator_traitsISH_E10value_typeEPNSN_ISI_E10value_typeEPSJ_NS1_7vsmem_tEENKUlT_SH_SI_SJ_E_clIPiSB_SC_SC_EESG_SW_SH_SI_SJ_EUlSW_E1_NS1_11comp_targetILNS1_3genE9ELNS1_11target_archE1100ELNS1_3gpuE3ELNS1_3repE0EEENS1_36merge_oddeven_config_static_selectorELNS0_4arch9wavefront6targetE0EEEvSI_.kd
    .uniform_work_group_size: 1
    .uses_dynamic_stack: false
    .vgpr_count:     0
    .vgpr_spill_count: 0
    .wavefront_size: 32
    .workgroup_processor_mode: 1
  - .args:
      - .offset:         0
        .size:           48
        .value_kind:     by_value
    .group_segment_fixed_size: 0
    .kernarg_segment_align: 8
    .kernarg_segment_size: 48
    .language:       OpenCL C
    .language_version:
      - 2
      - 0
    .max_flat_workgroup_size: 256
    .name:           _ZN7rocprim17ROCPRIM_400000_NS6detail17trampoline_kernelINS0_14default_configENS1_38merge_sort_block_merge_config_selectorIiNS0_10empty_typeEEEZZNS1_27merge_sort_block_merge_implIS3_N6thrust23THRUST_200600_302600_NS10device_ptrIiEEPS5_jNS1_19radix_merge_compareILb0ELb1EiNS0_19identity_decomposerEEEEE10hipError_tT0_T1_T2_jT3_P12ihipStream_tbPNSt15iterator_traitsISH_E10value_typeEPNSN_ISI_E10value_typeEPSJ_NS1_7vsmem_tEENKUlT_SH_SI_SJ_E_clIPiSB_SC_SC_EESG_SW_SH_SI_SJ_EUlSW_E1_NS1_11comp_targetILNS1_3genE8ELNS1_11target_archE1030ELNS1_3gpuE2ELNS1_3repE0EEENS1_36merge_oddeven_config_static_selectorELNS0_4arch9wavefront6targetE0EEEvSI_
    .private_segment_fixed_size: 0
    .sgpr_count:     20
    .sgpr_spill_count: 0
    .symbol:         _ZN7rocprim17ROCPRIM_400000_NS6detail17trampoline_kernelINS0_14default_configENS1_38merge_sort_block_merge_config_selectorIiNS0_10empty_typeEEEZZNS1_27merge_sort_block_merge_implIS3_N6thrust23THRUST_200600_302600_NS10device_ptrIiEEPS5_jNS1_19radix_merge_compareILb0ELb1EiNS0_19identity_decomposerEEEEE10hipError_tT0_T1_T2_jT3_P12ihipStream_tbPNSt15iterator_traitsISH_E10value_typeEPNSN_ISI_E10value_typeEPSJ_NS1_7vsmem_tEENKUlT_SH_SI_SJ_E_clIPiSB_SC_SC_EESG_SW_SH_SI_SJ_EUlSW_E1_NS1_11comp_targetILNS1_3genE8ELNS1_11target_archE1030ELNS1_3gpuE2ELNS1_3repE0EEENS1_36merge_oddeven_config_static_selectorELNS0_4arch9wavefront6targetE0EEEvSI_.kd
    .uniform_work_group_size: 1
    .uses_dynamic_stack: false
    .vgpr_count:     9
    .vgpr_spill_count: 0
    .wavefront_size: 32
    .workgroup_processor_mode: 1
  - .args:
      - .offset:         0
        .size:           40
        .value_kind:     by_value
    .group_segment_fixed_size: 0
    .kernarg_segment_align: 8
    .kernarg_segment_size: 40
    .language:       OpenCL C
    .language_version:
      - 2
      - 0
    .max_flat_workgroup_size: 128
    .name:           _ZN7rocprim17ROCPRIM_400000_NS6detail17trampoline_kernelINS0_14default_configENS1_38merge_sort_block_merge_config_selectorIiNS0_10empty_typeEEEZZNS1_27merge_sort_block_merge_implIS3_N6thrust23THRUST_200600_302600_NS10device_ptrIiEEPS5_jNS1_19radix_merge_compareILb0ELb1EiNS0_19identity_decomposerEEEEE10hipError_tT0_T1_T2_jT3_P12ihipStream_tbPNSt15iterator_traitsISH_E10value_typeEPNSN_ISI_E10value_typeEPSJ_NS1_7vsmem_tEENKUlT_SH_SI_SJ_E_clISB_PiSC_SC_EESG_SW_SH_SI_SJ_EUlSW_E_NS1_11comp_targetILNS1_3genE0ELNS1_11target_archE4294967295ELNS1_3gpuE0ELNS1_3repE0EEENS1_48merge_mergepath_partition_config_static_selectorELNS0_4arch9wavefront6targetE0EEEvSI_
    .private_segment_fixed_size: 0
    .sgpr_count:     0
    .sgpr_spill_count: 0
    .symbol:         _ZN7rocprim17ROCPRIM_400000_NS6detail17trampoline_kernelINS0_14default_configENS1_38merge_sort_block_merge_config_selectorIiNS0_10empty_typeEEEZZNS1_27merge_sort_block_merge_implIS3_N6thrust23THRUST_200600_302600_NS10device_ptrIiEEPS5_jNS1_19radix_merge_compareILb0ELb1EiNS0_19identity_decomposerEEEEE10hipError_tT0_T1_T2_jT3_P12ihipStream_tbPNSt15iterator_traitsISH_E10value_typeEPNSN_ISI_E10value_typeEPSJ_NS1_7vsmem_tEENKUlT_SH_SI_SJ_E_clISB_PiSC_SC_EESG_SW_SH_SI_SJ_EUlSW_E_NS1_11comp_targetILNS1_3genE0ELNS1_11target_archE4294967295ELNS1_3gpuE0ELNS1_3repE0EEENS1_48merge_mergepath_partition_config_static_selectorELNS0_4arch9wavefront6targetE0EEEvSI_.kd
    .uniform_work_group_size: 1
    .uses_dynamic_stack: false
    .vgpr_count:     0
    .vgpr_spill_count: 0
    .wavefront_size: 32
    .workgroup_processor_mode: 1
  - .args:
      - .offset:         0
        .size:           40
        .value_kind:     by_value
    .group_segment_fixed_size: 0
    .kernarg_segment_align: 8
    .kernarg_segment_size: 40
    .language:       OpenCL C
    .language_version:
      - 2
      - 0
    .max_flat_workgroup_size: 128
    .name:           _ZN7rocprim17ROCPRIM_400000_NS6detail17trampoline_kernelINS0_14default_configENS1_38merge_sort_block_merge_config_selectorIiNS0_10empty_typeEEEZZNS1_27merge_sort_block_merge_implIS3_N6thrust23THRUST_200600_302600_NS10device_ptrIiEEPS5_jNS1_19radix_merge_compareILb0ELb1EiNS0_19identity_decomposerEEEEE10hipError_tT0_T1_T2_jT3_P12ihipStream_tbPNSt15iterator_traitsISH_E10value_typeEPNSN_ISI_E10value_typeEPSJ_NS1_7vsmem_tEENKUlT_SH_SI_SJ_E_clISB_PiSC_SC_EESG_SW_SH_SI_SJ_EUlSW_E_NS1_11comp_targetILNS1_3genE10ELNS1_11target_archE1201ELNS1_3gpuE5ELNS1_3repE0EEENS1_48merge_mergepath_partition_config_static_selectorELNS0_4arch9wavefront6targetE0EEEvSI_
    .private_segment_fixed_size: 0
    .sgpr_count:     0
    .sgpr_spill_count: 0
    .symbol:         _ZN7rocprim17ROCPRIM_400000_NS6detail17trampoline_kernelINS0_14default_configENS1_38merge_sort_block_merge_config_selectorIiNS0_10empty_typeEEEZZNS1_27merge_sort_block_merge_implIS3_N6thrust23THRUST_200600_302600_NS10device_ptrIiEEPS5_jNS1_19radix_merge_compareILb0ELb1EiNS0_19identity_decomposerEEEEE10hipError_tT0_T1_T2_jT3_P12ihipStream_tbPNSt15iterator_traitsISH_E10value_typeEPNSN_ISI_E10value_typeEPSJ_NS1_7vsmem_tEENKUlT_SH_SI_SJ_E_clISB_PiSC_SC_EESG_SW_SH_SI_SJ_EUlSW_E_NS1_11comp_targetILNS1_3genE10ELNS1_11target_archE1201ELNS1_3gpuE5ELNS1_3repE0EEENS1_48merge_mergepath_partition_config_static_selectorELNS0_4arch9wavefront6targetE0EEEvSI_.kd
    .uniform_work_group_size: 1
    .uses_dynamic_stack: false
    .vgpr_count:     0
    .vgpr_spill_count: 0
    .wavefront_size: 32
    .workgroup_processor_mode: 1
  - .args:
      - .offset:         0
        .size:           40
        .value_kind:     by_value
    .group_segment_fixed_size: 0
    .kernarg_segment_align: 8
    .kernarg_segment_size: 40
    .language:       OpenCL C
    .language_version:
      - 2
      - 0
    .max_flat_workgroup_size: 128
    .name:           _ZN7rocprim17ROCPRIM_400000_NS6detail17trampoline_kernelINS0_14default_configENS1_38merge_sort_block_merge_config_selectorIiNS0_10empty_typeEEEZZNS1_27merge_sort_block_merge_implIS3_N6thrust23THRUST_200600_302600_NS10device_ptrIiEEPS5_jNS1_19radix_merge_compareILb0ELb1EiNS0_19identity_decomposerEEEEE10hipError_tT0_T1_T2_jT3_P12ihipStream_tbPNSt15iterator_traitsISH_E10value_typeEPNSN_ISI_E10value_typeEPSJ_NS1_7vsmem_tEENKUlT_SH_SI_SJ_E_clISB_PiSC_SC_EESG_SW_SH_SI_SJ_EUlSW_E_NS1_11comp_targetILNS1_3genE5ELNS1_11target_archE942ELNS1_3gpuE9ELNS1_3repE0EEENS1_48merge_mergepath_partition_config_static_selectorELNS0_4arch9wavefront6targetE0EEEvSI_
    .private_segment_fixed_size: 0
    .sgpr_count:     0
    .sgpr_spill_count: 0
    .symbol:         _ZN7rocprim17ROCPRIM_400000_NS6detail17trampoline_kernelINS0_14default_configENS1_38merge_sort_block_merge_config_selectorIiNS0_10empty_typeEEEZZNS1_27merge_sort_block_merge_implIS3_N6thrust23THRUST_200600_302600_NS10device_ptrIiEEPS5_jNS1_19radix_merge_compareILb0ELb1EiNS0_19identity_decomposerEEEEE10hipError_tT0_T1_T2_jT3_P12ihipStream_tbPNSt15iterator_traitsISH_E10value_typeEPNSN_ISI_E10value_typeEPSJ_NS1_7vsmem_tEENKUlT_SH_SI_SJ_E_clISB_PiSC_SC_EESG_SW_SH_SI_SJ_EUlSW_E_NS1_11comp_targetILNS1_3genE5ELNS1_11target_archE942ELNS1_3gpuE9ELNS1_3repE0EEENS1_48merge_mergepath_partition_config_static_selectorELNS0_4arch9wavefront6targetE0EEEvSI_.kd
    .uniform_work_group_size: 1
    .uses_dynamic_stack: false
    .vgpr_count:     0
    .vgpr_spill_count: 0
    .wavefront_size: 32
    .workgroup_processor_mode: 1
  - .args:
      - .offset:         0
        .size:           40
        .value_kind:     by_value
    .group_segment_fixed_size: 0
    .kernarg_segment_align: 8
    .kernarg_segment_size: 40
    .language:       OpenCL C
    .language_version:
      - 2
      - 0
    .max_flat_workgroup_size: 128
    .name:           _ZN7rocprim17ROCPRIM_400000_NS6detail17trampoline_kernelINS0_14default_configENS1_38merge_sort_block_merge_config_selectorIiNS0_10empty_typeEEEZZNS1_27merge_sort_block_merge_implIS3_N6thrust23THRUST_200600_302600_NS10device_ptrIiEEPS5_jNS1_19radix_merge_compareILb0ELb1EiNS0_19identity_decomposerEEEEE10hipError_tT0_T1_T2_jT3_P12ihipStream_tbPNSt15iterator_traitsISH_E10value_typeEPNSN_ISI_E10value_typeEPSJ_NS1_7vsmem_tEENKUlT_SH_SI_SJ_E_clISB_PiSC_SC_EESG_SW_SH_SI_SJ_EUlSW_E_NS1_11comp_targetILNS1_3genE4ELNS1_11target_archE910ELNS1_3gpuE8ELNS1_3repE0EEENS1_48merge_mergepath_partition_config_static_selectorELNS0_4arch9wavefront6targetE0EEEvSI_
    .private_segment_fixed_size: 0
    .sgpr_count:     0
    .sgpr_spill_count: 0
    .symbol:         _ZN7rocprim17ROCPRIM_400000_NS6detail17trampoline_kernelINS0_14default_configENS1_38merge_sort_block_merge_config_selectorIiNS0_10empty_typeEEEZZNS1_27merge_sort_block_merge_implIS3_N6thrust23THRUST_200600_302600_NS10device_ptrIiEEPS5_jNS1_19radix_merge_compareILb0ELb1EiNS0_19identity_decomposerEEEEE10hipError_tT0_T1_T2_jT3_P12ihipStream_tbPNSt15iterator_traitsISH_E10value_typeEPNSN_ISI_E10value_typeEPSJ_NS1_7vsmem_tEENKUlT_SH_SI_SJ_E_clISB_PiSC_SC_EESG_SW_SH_SI_SJ_EUlSW_E_NS1_11comp_targetILNS1_3genE4ELNS1_11target_archE910ELNS1_3gpuE8ELNS1_3repE0EEENS1_48merge_mergepath_partition_config_static_selectorELNS0_4arch9wavefront6targetE0EEEvSI_.kd
    .uniform_work_group_size: 1
    .uses_dynamic_stack: false
    .vgpr_count:     0
    .vgpr_spill_count: 0
    .wavefront_size: 32
    .workgroup_processor_mode: 1
  - .args:
      - .offset:         0
        .size:           40
        .value_kind:     by_value
    .group_segment_fixed_size: 0
    .kernarg_segment_align: 8
    .kernarg_segment_size: 40
    .language:       OpenCL C
    .language_version:
      - 2
      - 0
    .max_flat_workgroup_size: 128
    .name:           _ZN7rocprim17ROCPRIM_400000_NS6detail17trampoline_kernelINS0_14default_configENS1_38merge_sort_block_merge_config_selectorIiNS0_10empty_typeEEEZZNS1_27merge_sort_block_merge_implIS3_N6thrust23THRUST_200600_302600_NS10device_ptrIiEEPS5_jNS1_19radix_merge_compareILb0ELb1EiNS0_19identity_decomposerEEEEE10hipError_tT0_T1_T2_jT3_P12ihipStream_tbPNSt15iterator_traitsISH_E10value_typeEPNSN_ISI_E10value_typeEPSJ_NS1_7vsmem_tEENKUlT_SH_SI_SJ_E_clISB_PiSC_SC_EESG_SW_SH_SI_SJ_EUlSW_E_NS1_11comp_targetILNS1_3genE3ELNS1_11target_archE908ELNS1_3gpuE7ELNS1_3repE0EEENS1_48merge_mergepath_partition_config_static_selectorELNS0_4arch9wavefront6targetE0EEEvSI_
    .private_segment_fixed_size: 0
    .sgpr_count:     0
    .sgpr_spill_count: 0
    .symbol:         _ZN7rocprim17ROCPRIM_400000_NS6detail17trampoline_kernelINS0_14default_configENS1_38merge_sort_block_merge_config_selectorIiNS0_10empty_typeEEEZZNS1_27merge_sort_block_merge_implIS3_N6thrust23THRUST_200600_302600_NS10device_ptrIiEEPS5_jNS1_19radix_merge_compareILb0ELb1EiNS0_19identity_decomposerEEEEE10hipError_tT0_T1_T2_jT3_P12ihipStream_tbPNSt15iterator_traitsISH_E10value_typeEPNSN_ISI_E10value_typeEPSJ_NS1_7vsmem_tEENKUlT_SH_SI_SJ_E_clISB_PiSC_SC_EESG_SW_SH_SI_SJ_EUlSW_E_NS1_11comp_targetILNS1_3genE3ELNS1_11target_archE908ELNS1_3gpuE7ELNS1_3repE0EEENS1_48merge_mergepath_partition_config_static_selectorELNS0_4arch9wavefront6targetE0EEEvSI_.kd
    .uniform_work_group_size: 1
    .uses_dynamic_stack: false
    .vgpr_count:     0
    .vgpr_spill_count: 0
    .wavefront_size: 32
    .workgroup_processor_mode: 1
  - .args:
      - .offset:         0
        .size:           40
        .value_kind:     by_value
    .group_segment_fixed_size: 0
    .kernarg_segment_align: 8
    .kernarg_segment_size: 40
    .language:       OpenCL C
    .language_version:
      - 2
      - 0
    .max_flat_workgroup_size: 128
    .name:           _ZN7rocprim17ROCPRIM_400000_NS6detail17trampoline_kernelINS0_14default_configENS1_38merge_sort_block_merge_config_selectorIiNS0_10empty_typeEEEZZNS1_27merge_sort_block_merge_implIS3_N6thrust23THRUST_200600_302600_NS10device_ptrIiEEPS5_jNS1_19radix_merge_compareILb0ELb1EiNS0_19identity_decomposerEEEEE10hipError_tT0_T1_T2_jT3_P12ihipStream_tbPNSt15iterator_traitsISH_E10value_typeEPNSN_ISI_E10value_typeEPSJ_NS1_7vsmem_tEENKUlT_SH_SI_SJ_E_clISB_PiSC_SC_EESG_SW_SH_SI_SJ_EUlSW_E_NS1_11comp_targetILNS1_3genE2ELNS1_11target_archE906ELNS1_3gpuE6ELNS1_3repE0EEENS1_48merge_mergepath_partition_config_static_selectorELNS0_4arch9wavefront6targetE0EEEvSI_
    .private_segment_fixed_size: 0
    .sgpr_count:     0
    .sgpr_spill_count: 0
    .symbol:         _ZN7rocprim17ROCPRIM_400000_NS6detail17trampoline_kernelINS0_14default_configENS1_38merge_sort_block_merge_config_selectorIiNS0_10empty_typeEEEZZNS1_27merge_sort_block_merge_implIS3_N6thrust23THRUST_200600_302600_NS10device_ptrIiEEPS5_jNS1_19radix_merge_compareILb0ELb1EiNS0_19identity_decomposerEEEEE10hipError_tT0_T1_T2_jT3_P12ihipStream_tbPNSt15iterator_traitsISH_E10value_typeEPNSN_ISI_E10value_typeEPSJ_NS1_7vsmem_tEENKUlT_SH_SI_SJ_E_clISB_PiSC_SC_EESG_SW_SH_SI_SJ_EUlSW_E_NS1_11comp_targetILNS1_3genE2ELNS1_11target_archE906ELNS1_3gpuE6ELNS1_3repE0EEENS1_48merge_mergepath_partition_config_static_selectorELNS0_4arch9wavefront6targetE0EEEvSI_.kd
    .uniform_work_group_size: 1
    .uses_dynamic_stack: false
    .vgpr_count:     0
    .vgpr_spill_count: 0
    .wavefront_size: 32
    .workgroup_processor_mode: 1
  - .args:
      - .offset:         0
        .size:           40
        .value_kind:     by_value
    .group_segment_fixed_size: 0
    .kernarg_segment_align: 8
    .kernarg_segment_size: 40
    .language:       OpenCL C
    .language_version:
      - 2
      - 0
    .max_flat_workgroup_size: 128
    .name:           _ZN7rocprim17ROCPRIM_400000_NS6detail17trampoline_kernelINS0_14default_configENS1_38merge_sort_block_merge_config_selectorIiNS0_10empty_typeEEEZZNS1_27merge_sort_block_merge_implIS3_N6thrust23THRUST_200600_302600_NS10device_ptrIiEEPS5_jNS1_19radix_merge_compareILb0ELb1EiNS0_19identity_decomposerEEEEE10hipError_tT0_T1_T2_jT3_P12ihipStream_tbPNSt15iterator_traitsISH_E10value_typeEPNSN_ISI_E10value_typeEPSJ_NS1_7vsmem_tEENKUlT_SH_SI_SJ_E_clISB_PiSC_SC_EESG_SW_SH_SI_SJ_EUlSW_E_NS1_11comp_targetILNS1_3genE9ELNS1_11target_archE1100ELNS1_3gpuE3ELNS1_3repE0EEENS1_48merge_mergepath_partition_config_static_selectorELNS0_4arch9wavefront6targetE0EEEvSI_
    .private_segment_fixed_size: 0
    .sgpr_count:     0
    .sgpr_spill_count: 0
    .symbol:         _ZN7rocprim17ROCPRIM_400000_NS6detail17trampoline_kernelINS0_14default_configENS1_38merge_sort_block_merge_config_selectorIiNS0_10empty_typeEEEZZNS1_27merge_sort_block_merge_implIS3_N6thrust23THRUST_200600_302600_NS10device_ptrIiEEPS5_jNS1_19radix_merge_compareILb0ELb1EiNS0_19identity_decomposerEEEEE10hipError_tT0_T1_T2_jT3_P12ihipStream_tbPNSt15iterator_traitsISH_E10value_typeEPNSN_ISI_E10value_typeEPSJ_NS1_7vsmem_tEENKUlT_SH_SI_SJ_E_clISB_PiSC_SC_EESG_SW_SH_SI_SJ_EUlSW_E_NS1_11comp_targetILNS1_3genE9ELNS1_11target_archE1100ELNS1_3gpuE3ELNS1_3repE0EEENS1_48merge_mergepath_partition_config_static_selectorELNS0_4arch9wavefront6targetE0EEEvSI_.kd
    .uniform_work_group_size: 1
    .uses_dynamic_stack: false
    .vgpr_count:     0
    .vgpr_spill_count: 0
    .wavefront_size: 32
    .workgroup_processor_mode: 1
  - .args:
      - .offset:         0
        .size:           40
        .value_kind:     by_value
    .group_segment_fixed_size: 0
    .kernarg_segment_align: 8
    .kernarg_segment_size: 40
    .language:       OpenCL C
    .language_version:
      - 2
      - 0
    .max_flat_workgroup_size: 128
    .name:           _ZN7rocprim17ROCPRIM_400000_NS6detail17trampoline_kernelINS0_14default_configENS1_38merge_sort_block_merge_config_selectorIiNS0_10empty_typeEEEZZNS1_27merge_sort_block_merge_implIS3_N6thrust23THRUST_200600_302600_NS10device_ptrIiEEPS5_jNS1_19radix_merge_compareILb0ELb1EiNS0_19identity_decomposerEEEEE10hipError_tT0_T1_T2_jT3_P12ihipStream_tbPNSt15iterator_traitsISH_E10value_typeEPNSN_ISI_E10value_typeEPSJ_NS1_7vsmem_tEENKUlT_SH_SI_SJ_E_clISB_PiSC_SC_EESG_SW_SH_SI_SJ_EUlSW_E_NS1_11comp_targetILNS1_3genE8ELNS1_11target_archE1030ELNS1_3gpuE2ELNS1_3repE0EEENS1_48merge_mergepath_partition_config_static_selectorELNS0_4arch9wavefront6targetE0EEEvSI_
    .private_segment_fixed_size: 0
    .sgpr_count:     10
    .sgpr_spill_count: 0
    .symbol:         _ZN7rocprim17ROCPRIM_400000_NS6detail17trampoline_kernelINS0_14default_configENS1_38merge_sort_block_merge_config_selectorIiNS0_10empty_typeEEEZZNS1_27merge_sort_block_merge_implIS3_N6thrust23THRUST_200600_302600_NS10device_ptrIiEEPS5_jNS1_19radix_merge_compareILb0ELb1EiNS0_19identity_decomposerEEEEE10hipError_tT0_T1_T2_jT3_P12ihipStream_tbPNSt15iterator_traitsISH_E10value_typeEPNSN_ISI_E10value_typeEPSJ_NS1_7vsmem_tEENKUlT_SH_SI_SJ_E_clISB_PiSC_SC_EESG_SW_SH_SI_SJ_EUlSW_E_NS1_11comp_targetILNS1_3genE8ELNS1_11target_archE1030ELNS1_3gpuE2ELNS1_3repE0EEENS1_48merge_mergepath_partition_config_static_selectorELNS0_4arch9wavefront6targetE0EEEvSI_.kd
    .uniform_work_group_size: 1
    .uses_dynamic_stack: false
    .vgpr_count:     15
    .vgpr_spill_count: 0
    .wavefront_size: 32
    .workgroup_processor_mode: 1
  - .args:
      - .offset:         0
        .size:           64
        .value_kind:     by_value
    .group_segment_fixed_size: 0
    .kernarg_segment_align: 8
    .kernarg_segment_size: 64
    .language:       OpenCL C
    .language_version:
      - 2
      - 0
    .max_flat_workgroup_size: 128
    .name:           _ZN7rocprim17ROCPRIM_400000_NS6detail17trampoline_kernelINS0_14default_configENS1_38merge_sort_block_merge_config_selectorIiNS0_10empty_typeEEEZZNS1_27merge_sort_block_merge_implIS3_N6thrust23THRUST_200600_302600_NS10device_ptrIiEEPS5_jNS1_19radix_merge_compareILb0ELb1EiNS0_19identity_decomposerEEEEE10hipError_tT0_T1_T2_jT3_P12ihipStream_tbPNSt15iterator_traitsISH_E10value_typeEPNSN_ISI_E10value_typeEPSJ_NS1_7vsmem_tEENKUlT_SH_SI_SJ_E_clISB_PiSC_SC_EESG_SW_SH_SI_SJ_EUlSW_E0_NS1_11comp_targetILNS1_3genE0ELNS1_11target_archE4294967295ELNS1_3gpuE0ELNS1_3repE0EEENS1_38merge_mergepath_config_static_selectorELNS0_4arch9wavefront6targetE0EEEvSI_
    .private_segment_fixed_size: 0
    .sgpr_count:     0
    .sgpr_spill_count: 0
    .symbol:         _ZN7rocprim17ROCPRIM_400000_NS6detail17trampoline_kernelINS0_14default_configENS1_38merge_sort_block_merge_config_selectorIiNS0_10empty_typeEEEZZNS1_27merge_sort_block_merge_implIS3_N6thrust23THRUST_200600_302600_NS10device_ptrIiEEPS5_jNS1_19radix_merge_compareILb0ELb1EiNS0_19identity_decomposerEEEEE10hipError_tT0_T1_T2_jT3_P12ihipStream_tbPNSt15iterator_traitsISH_E10value_typeEPNSN_ISI_E10value_typeEPSJ_NS1_7vsmem_tEENKUlT_SH_SI_SJ_E_clISB_PiSC_SC_EESG_SW_SH_SI_SJ_EUlSW_E0_NS1_11comp_targetILNS1_3genE0ELNS1_11target_archE4294967295ELNS1_3gpuE0ELNS1_3repE0EEENS1_38merge_mergepath_config_static_selectorELNS0_4arch9wavefront6targetE0EEEvSI_.kd
    .uniform_work_group_size: 1
    .uses_dynamic_stack: false
    .vgpr_count:     0
    .vgpr_spill_count: 0
    .wavefront_size: 32
    .workgroup_processor_mode: 1
  - .args:
      - .offset:         0
        .size:           64
        .value_kind:     by_value
    .group_segment_fixed_size: 0
    .kernarg_segment_align: 8
    .kernarg_segment_size: 64
    .language:       OpenCL C
    .language_version:
      - 2
      - 0
    .max_flat_workgroup_size: 256
    .name:           _ZN7rocprim17ROCPRIM_400000_NS6detail17trampoline_kernelINS0_14default_configENS1_38merge_sort_block_merge_config_selectorIiNS0_10empty_typeEEEZZNS1_27merge_sort_block_merge_implIS3_N6thrust23THRUST_200600_302600_NS10device_ptrIiEEPS5_jNS1_19radix_merge_compareILb0ELb1EiNS0_19identity_decomposerEEEEE10hipError_tT0_T1_T2_jT3_P12ihipStream_tbPNSt15iterator_traitsISH_E10value_typeEPNSN_ISI_E10value_typeEPSJ_NS1_7vsmem_tEENKUlT_SH_SI_SJ_E_clISB_PiSC_SC_EESG_SW_SH_SI_SJ_EUlSW_E0_NS1_11comp_targetILNS1_3genE10ELNS1_11target_archE1201ELNS1_3gpuE5ELNS1_3repE0EEENS1_38merge_mergepath_config_static_selectorELNS0_4arch9wavefront6targetE0EEEvSI_
    .private_segment_fixed_size: 0
    .sgpr_count:     0
    .sgpr_spill_count: 0
    .symbol:         _ZN7rocprim17ROCPRIM_400000_NS6detail17trampoline_kernelINS0_14default_configENS1_38merge_sort_block_merge_config_selectorIiNS0_10empty_typeEEEZZNS1_27merge_sort_block_merge_implIS3_N6thrust23THRUST_200600_302600_NS10device_ptrIiEEPS5_jNS1_19radix_merge_compareILb0ELb1EiNS0_19identity_decomposerEEEEE10hipError_tT0_T1_T2_jT3_P12ihipStream_tbPNSt15iterator_traitsISH_E10value_typeEPNSN_ISI_E10value_typeEPSJ_NS1_7vsmem_tEENKUlT_SH_SI_SJ_E_clISB_PiSC_SC_EESG_SW_SH_SI_SJ_EUlSW_E0_NS1_11comp_targetILNS1_3genE10ELNS1_11target_archE1201ELNS1_3gpuE5ELNS1_3repE0EEENS1_38merge_mergepath_config_static_selectorELNS0_4arch9wavefront6targetE0EEEvSI_.kd
    .uniform_work_group_size: 1
    .uses_dynamic_stack: false
    .vgpr_count:     0
    .vgpr_spill_count: 0
    .wavefront_size: 32
    .workgroup_processor_mode: 1
  - .args:
      - .offset:         0
        .size:           64
        .value_kind:     by_value
    .group_segment_fixed_size: 0
    .kernarg_segment_align: 8
    .kernarg_segment_size: 64
    .language:       OpenCL C
    .language_version:
      - 2
      - 0
    .max_flat_workgroup_size: 128
    .name:           _ZN7rocprim17ROCPRIM_400000_NS6detail17trampoline_kernelINS0_14default_configENS1_38merge_sort_block_merge_config_selectorIiNS0_10empty_typeEEEZZNS1_27merge_sort_block_merge_implIS3_N6thrust23THRUST_200600_302600_NS10device_ptrIiEEPS5_jNS1_19radix_merge_compareILb0ELb1EiNS0_19identity_decomposerEEEEE10hipError_tT0_T1_T2_jT3_P12ihipStream_tbPNSt15iterator_traitsISH_E10value_typeEPNSN_ISI_E10value_typeEPSJ_NS1_7vsmem_tEENKUlT_SH_SI_SJ_E_clISB_PiSC_SC_EESG_SW_SH_SI_SJ_EUlSW_E0_NS1_11comp_targetILNS1_3genE5ELNS1_11target_archE942ELNS1_3gpuE9ELNS1_3repE0EEENS1_38merge_mergepath_config_static_selectorELNS0_4arch9wavefront6targetE0EEEvSI_
    .private_segment_fixed_size: 0
    .sgpr_count:     0
    .sgpr_spill_count: 0
    .symbol:         _ZN7rocprim17ROCPRIM_400000_NS6detail17trampoline_kernelINS0_14default_configENS1_38merge_sort_block_merge_config_selectorIiNS0_10empty_typeEEEZZNS1_27merge_sort_block_merge_implIS3_N6thrust23THRUST_200600_302600_NS10device_ptrIiEEPS5_jNS1_19radix_merge_compareILb0ELb1EiNS0_19identity_decomposerEEEEE10hipError_tT0_T1_T2_jT3_P12ihipStream_tbPNSt15iterator_traitsISH_E10value_typeEPNSN_ISI_E10value_typeEPSJ_NS1_7vsmem_tEENKUlT_SH_SI_SJ_E_clISB_PiSC_SC_EESG_SW_SH_SI_SJ_EUlSW_E0_NS1_11comp_targetILNS1_3genE5ELNS1_11target_archE942ELNS1_3gpuE9ELNS1_3repE0EEENS1_38merge_mergepath_config_static_selectorELNS0_4arch9wavefront6targetE0EEEvSI_.kd
    .uniform_work_group_size: 1
    .uses_dynamic_stack: false
    .vgpr_count:     0
    .vgpr_spill_count: 0
    .wavefront_size: 32
    .workgroup_processor_mode: 1
  - .args:
      - .offset:         0
        .size:           64
        .value_kind:     by_value
    .group_segment_fixed_size: 0
    .kernarg_segment_align: 8
    .kernarg_segment_size: 64
    .language:       OpenCL C
    .language_version:
      - 2
      - 0
    .max_flat_workgroup_size: 128
    .name:           _ZN7rocprim17ROCPRIM_400000_NS6detail17trampoline_kernelINS0_14default_configENS1_38merge_sort_block_merge_config_selectorIiNS0_10empty_typeEEEZZNS1_27merge_sort_block_merge_implIS3_N6thrust23THRUST_200600_302600_NS10device_ptrIiEEPS5_jNS1_19radix_merge_compareILb0ELb1EiNS0_19identity_decomposerEEEEE10hipError_tT0_T1_T2_jT3_P12ihipStream_tbPNSt15iterator_traitsISH_E10value_typeEPNSN_ISI_E10value_typeEPSJ_NS1_7vsmem_tEENKUlT_SH_SI_SJ_E_clISB_PiSC_SC_EESG_SW_SH_SI_SJ_EUlSW_E0_NS1_11comp_targetILNS1_3genE4ELNS1_11target_archE910ELNS1_3gpuE8ELNS1_3repE0EEENS1_38merge_mergepath_config_static_selectorELNS0_4arch9wavefront6targetE0EEEvSI_
    .private_segment_fixed_size: 0
    .sgpr_count:     0
    .sgpr_spill_count: 0
    .symbol:         _ZN7rocprim17ROCPRIM_400000_NS6detail17trampoline_kernelINS0_14default_configENS1_38merge_sort_block_merge_config_selectorIiNS0_10empty_typeEEEZZNS1_27merge_sort_block_merge_implIS3_N6thrust23THRUST_200600_302600_NS10device_ptrIiEEPS5_jNS1_19radix_merge_compareILb0ELb1EiNS0_19identity_decomposerEEEEE10hipError_tT0_T1_T2_jT3_P12ihipStream_tbPNSt15iterator_traitsISH_E10value_typeEPNSN_ISI_E10value_typeEPSJ_NS1_7vsmem_tEENKUlT_SH_SI_SJ_E_clISB_PiSC_SC_EESG_SW_SH_SI_SJ_EUlSW_E0_NS1_11comp_targetILNS1_3genE4ELNS1_11target_archE910ELNS1_3gpuE8ELNS1_3repE0EEENS1_38merge_mergepath_config_static_selectorELNS0_4arch9wavefront6targetE0EEEvSI_.kd
    .uniform_work_group_size: 1
    .uses_dynamic_stack: false
    .vgpr_count:     0
    .vgpr_spill_count: 0
    .wavefront_size: 32
    .workgroup_processor_mode: 1
  - .args:
      - .offset:         0
        .size:           64
        .value_kind:     by_value
    .group_segment_fixed_size: 0
    .kernarg_segment_align: 8
    .kernarg_segment_size: 64
    .language:       OpenCL C
    .language_version:
      - 2
      - 0
    .max_flat_workgroup_size: 128
    .name:           _ZN7rocprim17ROCPRIM_400000_NS6detail17trampoline_kernelINS0_14default_configENS1_38merge_sort_block_merge_config_selectorIiNS0_10empty_typeEEEZZNS1_27merge_sort_block_merge_implIS3_N6thrust23THRUST_200600_302600_NS10device_ptrIiEEPS5_jNS1_19radix_merge_compareILb0ELb1EiNS0_19identity_decomposerEEEEE10hipError_tT0_T1_T2_jT3_P12ihipStream_tbPNSt15iterator_traitsISH_E10value_typeEPNSN_ISI_E10value_typeEPSJ_NS1_7vsmem_tEENKUlT_SH_SI_SJ_E_clISB_PiSC_SC_EESG_SW_SH_SI_SJ_EUlSW_E0_NS1_11comp_targetILNS1_3genE3ELNS1_11target_archE908ELNS1_3gpuE7ELNS1_3repE0EEENS1_38merge_mergepath_config_static_selectorELNS0_4arch9wavefront6targetE0EEEvSI_
    .private_segment_fixed_size: 0
    .sgpr_count:     0
    .sgpr_spill_count: 0
    .symbol:         _ZN7rocprim17ROCPRIM_400000_NS6detail17trampoline_kernelINS0_14default_configENS1_38merge_sort_block_merge_config_selectorIiNS0_10empty_typeEEEZZNS1_27merge_sort_block_merge_implIS3_N6thrust23THRUST_200600_302600_NS10device_ptrIiEEPS5_jNS1_19radix_merge_compareILb0ELb1EiNS0_19identity_decomposerEEEEE10hipError_tT0_T1_T2_jT3_P12ihipStream_tbPNSt15iterator_traitsISH_E10value_typeEPNSN_ISI_E10value_typeEPSJ_NS1_7vsmem_tEENKUlT_SH_SI_SJ_E_clISB_PiSC_SC_EESG_SW_SH_SI_SJ_EUlSW_E0_NS1_11comp_targetILNS1_3genE3ELNS1_11target_archE908ELNS1_3gpuE7ELNS1_3repE0EEENS1_38merge_mergepath_config_static_selectorELNS0_4arch9wavefront6targetE0EEEvSI_.kd
    .uniform_work_group_size: 1
    .uses_dynamic_stack: false
    .vgpr_count:     0
    .vgpr_spill_count: 0
    .wavefront_size: 32
    .workgroup_processor_mode: 1
  - .args:
      - .offset:         0
        .size:           64
        .value_kind:     by_value
    .group_segment_fixed_size: 0
    .kernarg_segment_align: 8
    .kernarg_segment_size: 64
    .language:       OpenCL C
    .language_version:
      - 2
      - 0
    .max_flat_workgroup_size: 128
    .name:           _ZN7rocprim17ROCPRIM_400000_NS6detail17trampoline_kernelINS0_14default_configENS1_38merge_sort_block_merge_config_selectorIiNS0_10empty_typeEEEZZNS1_27merge_sort_block_merge_implIS3_N6thrust23THRUST_200600_302600_NS10device_ptrIiEEPS5_jNS1_19radix_merge_compareILb0ELb1EiNS0_19identity_decomposerEEEEE10hipError_tT0_T1_T2_jT3_P12ihipStream_tbPNSt15iterator_traitsISH_E10value_typeEPNSN_ISI_E10value_typeEPSJ_NS1_7vsmem_tEENKUlT_SH_SI_SJ_E_clISB_PiSC_SC_EESG_SW_SH_SI_SJ_EUlSW_E0_NS1_11comp_targetILNS1_3genE2ELNS1_11target_archE906ELNS1_3gpuE6ELNS1_3repE0EEENS1_38merge_mergepath_config_static_selectorELNS0_4arch9wavefront6targetE0EEEvSI_
    .private_segment_fixed_size: 0
    .sgpr_count:     0
    .sgpr_spill_count: 0
    .symbol:         _ZN7rocprim17ROCPRIM_400000_NS6detail17trampoline_kernelINS0_14default_configENS1_38merge_sort_block_merge_config_selectorIiNS0_10empty_typeEEEZZNS1_27merge_sort_block_merge_implIS3_N6thrust23THRUST_200600_302600_NS10device_ptrIiEEPS5_jNS1_19radix_merge_compareILb0ELb1EiNS0_19identity_decomposerEEEEE10hipError_tT0_T1_T2_jT3_P12ihipStream_tbPNSt15iterator_traitsISH_E10value_typeEPNSN_ISI_E10value_typeEPSJ_NS1_7vsmem_tEENKUlT_SH_SI_SJ_E_clISB_PiSC_SC_EESG_SW_SH_SI_SJ_EUlSW_E0_NS1_11comp_targetILNS1_3genE2ELNS1_11target_archE906ELNS1_3gpuE6ELNS1_3repE0EEENS1_38merge_mergepath_config_static_selectorELNS0_4arch9wavefront6targetE0EEEvSI_.kd
    .uniform_work_group_size: 1
    .uses_dynamic_stack: false
    .vgpr_count:     0
    .vgpr_spill_count: 0
    .wavefront_size: 32
    .workgroup_processor_mode: 1
  - .args:
      - .offset:         0
        .size:           64
        .value_kind:     by_value
    .group_segment_fixed_size: 0
    .kernarg_segment_align: 8
    .kernarg_segment_size: 64
    .language:       OpenCL C
    .language_version:
      - 2
      - 0
    .max_flat_workgroup_size: 256
    .name:           _ZN7rocprim17ROCPRIM_400000_NS6detail17trampoline_kernelINS0_14default_configENS1_38merge_sort_block_merge_config_selectorIiNS0_10empty_typeEEEZZNS1_27merge_sort_block_merge_implIS3_N6thrust23THRUST_200600_302600_NS10device_ptrIiEEPS5_jNS1_19radix_merge_compareILb0ELb1EiNS0_19identity_decomposerEEEEE10hipError_tT0_T1_T2_jT3_P12ihipStream_tbPNSt15iterator_traitsISH_E10value_typeEPNSN_ISI_E10value_typeEPSJ_NS1_7vsmem_tEENKUlT_SH_SI_SJ_E_clISB_PiSC_SC_EESG_SW_SH_SI_SJ_EUlSW_E0_NS1_11comp_targetILNS1_3genE9ELNS1_11target_archE1100ELNS1_3gpuE3ELNS1_3repE0EEENS1_38merge_mergepath_config_static_selectorELNS0_4arch9wavefront6targetE0EEEvSI_
    .private_segment_fixed_size: 0
    .sgpr_count:     0
    .sgpr_spill_count: 0
    .symbol:         _ZN7rocprim17ROCPRIM_400000_NS6detail17trampoline_kernelINS0_14default_configENS1_38merge_sort_block_merge_config_selectorIiNS0_10empty_typeEEEZZNS1_27merge_sort_block_merge_implIS3_N6thrust23THRUST_200600_302600_NS10device_ptrIiEEPS5_jNS1_19radix_merge_compareILb0ELb1EiNS0_19identity_decomposerEEEEE10hipError_tT0_T1_T2_jT3_P12ihipStream_tbPNSt15iterator_traitsISH_E10value_typeEPNSN_ISI_E10value_typeEPSJ_NS1_7vsmem_tEENKUlT_SH_SI_SJ_E_clISB_PiSC_SC_EESG_SW_SH_SI_SJ_EUlSW_E0_NS1_11comp_targetILNS1_3genE9ELNS1_11target_archE1100ELNS1_3gpuE3ELNS1_3repE0EEENS1_38merge_mergepath_config_static_selectorELNS0_4arch9wavefront6targetE0EEEvSI_.kd
    .uniform_work_group_size: 1
    .uses_dynamic_stack: false
    .vgpr_count:     0
    .vgpr_spill_count: 0
    .wavefront_size: 32
    .workgroup_processor_mode: 1
  - .args:
      - .offset:         0
        .size:           64
        .value_kind:     by_value
      - .offset:         64
        .size:           4
        .value_kind:     hidden_block_count_x
      - .offset:         68
        .size:           4
        .value_kind:     hidden_block_count_y
      - .offset:         72
        .size:           4
        .value_kind:     hidden_block_count_z
      - .offset:         76
        .size:           2
        .value_kind:     hidden_group_size_x
      - .offset:         78
        .size:           2
        .value_kind:     hidden_group_size_y
      - .offset:         80
        .size:           2
        .value_kind:     hidden_group_size_z
      - .offset:         82
        .size:           2
        .value_kind:     hidden_remainder_x
      - .offset:         84
        .size:           2
        .value_kind:     hidden_remainder_y
      - .offset:         86
        .size:           2
        .value_kind:     hidden_remainder_z
      - .offset:         104
        .size:           8
        .value_kind:     hidden_global_offset_x
      - .offset:         112
        .size:           8
        .value_kind:     hidden_global_offset_y
      - .offset:         120
        .size:           8
        .value_kind:     hidden_global_offset_z
      - .offset:         128
        .size:           2
        .value_kind:     hidden_grid_dims
    .group_segment_fixed_size: 4224
    .kernarg_segment_align: 8
    .kernarg_segment_size: 320
    .language:       OpenCL C
    .language_version:
      - 2
      - 0
    .max_flat_workgroup_size: 512
    .name:           _ZN7rocprim17ROCPRIM_400000_NS6detail17trampoline_kernelINS0_14default_configENS1_38merge_sort_block_merge_config_selectorIiNS0_10empty_typeEEEZZNS1_27merge_sort_block_merge_implIS3_N6thrust23THRUST_200600_302600_NS10device_ptrIiEEPS5_jNS1_19radix_merge_compareILb0ELb1EiNS0_19identity_decomposerEEEEE10hipError_tT0_T1_T2_jT3_P12ihipStream_tbPNSt15iterator_traitsISH_E10value_typeEPNSN_ISI_E10value_typeEPSJ_NS1_7vsmem_tEENKUlT_SH_SI_SJ_E_clISB_PiSC_SC_EESG_SW_SH_SI_SJ_EUlSW_E0_NS1_11comp_targetILNS1_3genE8ELNS1_11target_archE1030ELNS1_3gpuE2ELNS1_3repE0EEENS1_38merge_mergepath_config_static_selectorELNS0_4arch9wavefront6targetE0EEEvSI_
    .private_segment_fixed_size: 0
    .sgpr_count:     26
    .sgpr_spill_count: 0
    .symbol:         _ZN7rocprim17ROCPRIM_400000_NS6detail17trampoline_kernelINS0_14default_configENS1_38merge_sort_block_merge_config_selectorIiNS0_10empty_typeEEEZZNS1_27merge_sort_block_merge_implIS3_N6thrust23THRUST_200600_302600_NS10device_ptrIiEEPS5_jNS1_19radix_merge_compareILb0ELb1EiNS0_19identity_decomposerEEEEE10hipError_tT0_T1_T2_jT3_P12ihipStream_tbPNSt15iterator_traitsISH_E10value_typeEPNSN_ISI_E10value_typeEPSJ_NS1_7vsmem_tEENKUlT_SH_SI_SJ_E_clISB_PiSC_SC_EESG_SW_SH_SI_SJ_EUlSW_E0_NS1_11comp_targetILNS1_3genE8ELNS1_11target_archE1030ELNS1_3gpuE2ELNS1_3repE0EEENS1_38merge_mergepath_config_static_selectorELNS0_4arch9wavefront6targetE0EEEvSI_.kd
    .uniform_work_group_size: 1
    .uses_dynamic_stack: false
    .vgpr_count:     14
    .vgpr_spill_count: 0
    .wavefront_size: 32
    .workgroup_processor_mode: 1
  - .args:
      - .offset:         0
        .size:           48
        .value_kind:     by_value
    .group_segment_fixed_size: 0
    .kernarg_segment_align: 8
    .kernarg_segment_size: 48
    .language:       OpenCL C
    .language_version:
      - 2
      - 0
    .max_flat_workgroup_size: 256
    .name:           _ZN7rocprim17ROCPRIM_400000_NS6detail17trampoline_kernelINS0_14default_configENS1_38merge_sort_block_merge_config_selectorIiNS0_10empty_typeEEEZZNS1_27merge_sort_block_merge_implIS3_N6thrust23THRUST_200600_302600_NS10device_ptrIiEEPS5_jNS1_19radix_merge_compareILb0ELb1EiNS0_19identity_decomposerEEEEE10hipError_tT0_T1_T2_jT3_P12ihipStream_tbPNSt15iterator_traitsISH_E10value_typeEPNSN_ISI_E10value_typeEPSJ_NS1_7vsmem_tEENKUlT_SH_SI_SJ_E_clISB_PiSC_SC_EESG_SW_SH_SI_SJ_EUlSW_E1_NS1_11comp_targetILNS1_3genE0ELNS1_11target_archE4294967295ELNS1_3gpuE0ELNS1_3repE0EEENS1_36merge_oddeven_config_static_selectorELNS0_4arch9wavefront6targetE0EEEvSI_
    .private_segment_fixed_size: 0
    .sgpr_count:     0
    .sgpr_spill_count: 0
    .symbol:         _ZN7rocprim17ROCPRIM_400000_NS6detail17trampoline_kernelINS0_14default_configENS1_38merge_sort_block_merge_config_selectorIiNS0_10empty_typeEEEZZNS1_27merge_sort_block_merge_implIS3_N6thrust23THRUST_200600_302600_NS10device_ptrIiEEPS5_jNS1_19radix_merge_compareILb0ELb1EiNS0_19identity_decomposerEEEEE10hipError_tT0_T1_T2_jT3_P12ihipStream_tbPNSt15iterator_traitsISH_E10value_typeEPNSN_ISI_E10value_typeEPSJ_NS1_7vsmem_tEENKUlT_SH_SI_SJ_E_clISB_PiSC_SC_EESG_SW_SH_SI_SJ_EUlSW_E1_NS1_11comp_targetILNS1_3genE0ELNS1_11target_archE4294967295ELNS1_3gpuE0ELNS1_3repE0EEENS1_36merge_oddeven_config_static_selectorELNS0_4arch9wavefront6targetE0EEEvSI_.kd
    .uniform_work_group_size: 1
    .uses_dynamic_stack: false
    .vgpr_count:     0
    .vgpr_spill_count: 0
    .wavefront_size: 32
    .workgroup_processor_mode: 1
  - .args:
      - .offset:         0
        .size:           48
        .value_kind:     by_value
    .group_segment_fixed_size: 0
    .kernarg_segment_align: 8
    .kernarg_segment_size: 48
    .language:       OpenCL C
    .language_version:
      - 2
      - 0
    .max_flat_workgroup_size: 256
    .name:           _ZN7rocprim17ROCPRIM_400000_NS6detail17trampoline_kernelINS0_14default_configENS1_38merge_sort_block_merge_config_selectorIiNS0_10empty_typeEEEZZNS1_27merge_sort_block_merge_implIS3_N6thrust23THRUST_200600_302600_NS10device_ptrIiEEPS5_jNS1_19radix_merge_compareILb0ELb1EiNS0_19identity_decomposerEEEEE10hipError_tT0_T1_T2_jT3_P12ihipStream_tbPNSt15iterator_traitsISH_E10value_typeEPNSN_ISI_E10value_typeEPSJ_NS1_7vsmem_tEENKUlT_SH_SI_SJ_E_clISB_PiSC_SC_EESG_SW_SH_SI_SJ_EUlSW_E1_NS1_11comp_targetILNS1_3genE10ELNS1_11target_archE1201ELNS1_3gpuE5ELNS1_3repE0EEENS1_36merge_oddeven_config_static_selectorELNS0_4arch9wavefront6targetE0EEEvSI_
    .private_segment_fixed_size: 0
    .sgpr_count:     0
    .sgpr_spill_count: 0
    .symbol:         _ZN7rocprim17ROCPRIM_400000_NS6detail17trampoline_kernelINS0_14default_configENS1_38merge_sort_block_merge_config_selectorIiNS0_10empty_typeEEEZZNS1_27merge_sort_block_merge_implIS3_N6thrust23THRUST_200600_302600_NS10device_ptrIiEEPS5_jNS1_19radix_merge_compareILb0ELb1EiNS0_19identity_decomposerEEEEE10hipError_tT0_T1_T2_jT3_P12ihipStream_tbPNSt15iterator_traitsISH_E10value_typeEPNSN_ISI_E10value_typeEPSJ_NS1_7vsmem_tEENKUlT_SH_SI_SJ_E_clISB_PiSC_SC_EESG_SW_SH_SI_SJ_EUlSW_E1_NS1_11comp_targetILNS1_3genE10ELNS1_11target_archE1201ELNS1_3gpuE5ELNS1_3repE0EEENS1_36merge_oddeven_config_static_selectorELNS0_4arch9wavefront6targetE0EEEvSI_.kd
    .uniform_work_group_size: 1
    .uses_dynamic_stack: false
    .vgpr_count:     0
    .vgpr_spill_count: 0
    .wavefront_size: 32
    .workgroup_processor_mode: 1
  - .args:
      - .offset:         0
        .size:           48
        .value_kind:     by_value
    .group_segment_fixed_size: 0
    .kernarg_segment_align: 8
    .kernarg_segment_size: 48
    .language:       OpenCL C
    .language_version:
      - 2
      - 0
    .max_flat_workgroup_size: 256
    .name:           _ZN7rocprim17ROCPRIM_400000_NS6detail17trampoline_kernelINS0_14default_configENS1_38merge_sort_block_merge_config_selectorIiNS0_10empty_typeEEEZZNS1_27merge_sort_block_merge_implIS3_N6thrust23THRUST_200600_302600_NS10device_ptrIiEEPS5_jNS1_19radix_merge_compareILb0ELb1EiNS0_19identity_decomposerEEEEE10hipError_tT0_T1_T2_jT3_P12ihipStream_tbPNSt15iterator_traitsISH_E10value_typeEPNSN_ISI_E10value_typeEPSJ_NS1_7vsmem_tEENKUlT_SH_SI_SJ_E_clISB_PiSC_SC_EESG_SW_SH_SI_SJ_EUlSW_E1_NS1_11comp_targetILNS1_3genE5ELNS1_11target_archE942ELNS1_3gpuE9ELNS1_3repE0EEENS1_36merge_oddeven_config_static_selectorELNS0_4arch9wavefront6targetE0EEEvSI_
    .private_segment_fixed_size: 0
    .sgpr_count:     0
    .sgpr_spill_count: 0
    .symbol:         _ZN7rocprim17ROCPRIM_400000_NS6detail17trampoline_kernelINS0_14default_configENS1_38merge_sort_block_merge_config_selectorIiNS0_10empty_typeEEEZZNS1_27merge_sort_block_merge_implIS3_N6thrust23THRUST_200600_302600_NS10device_ptrIiEEPS5_jNS1_19radix_merge_compareILb0ELb1EiNS0_19identity_decomposerEEEEE10hipError_tT0_T1_T2_jT3_P12ihipStream_tbPNSt15iterator_traitsISH_E10value_typeEPNSN_ISI_E10value_typeEPSJ_NS1_7vsmem_tEENKUlT_SH_SI_SJ_E_clISB_PiSC_SC_EESG_SW_SH_SI_SJ_EUlSW_E1_NS1_11comp_targetILNS1_3genE5ELNS1_11target_archE942ELNS1_3gpuE9ELNS1_3repE0EEENS1_36merge_oddeven_config_static_selectorELNS0_4arch9wavefront6targetE0EEEvSI_.kd
    .uniform_work_group_size: 1
    .uses_dynamic_stack: false
    .vgpr_count:     0
    .vgpr_spill_count: 0
    .wavefront_size: 32
    .workgroup_processor_mode: 1
  - .args:
      - .offset:         0
        .size:           48
        .value_kind:     by_value
    .group_segment_fixed_size: 0
    .kernarg_segment_align: 8
    .kernarg_segment_size: 48
    .language:       OpenCL C
    .language_version:
      - 2
      - 0
    .max_flat_workgroup_size: 256
    .name:           _ZN7rocprim17ROCPRIM_400000_NS6detail17trampoline_kernelINS0_14default_configENS1_38merge_sort_block_merge_config_selectorIiNS0_10empty_typeEEEZZNS1_27merge_sort_block_merge_implIS3_N6thrust23THRUST_200600_302600_NS10device_ptrIiEEPS5_jNS1_19radix_merge_compareILb0ELb1EiNS0_19identity_decomposerEEEEE10hipError_tT0_T1_T2_jT3_P12ihipStream_tbPNSt15iterator_traitsISH_E10value_typeEPNSN_ISI_E10value_typeEPSJ_NS1_7vsmem_tEENKUlT_SH_SI_SJ_E_clISB_PiSC_SC_EESG_SW_SH_SI_SJ_EUlSW_E1_NS1_11comp_targetILNS1_3genE4ELNS1_11target_archE910ELNS1_3gpuE8ELNS1_3repE0EEENS1_36merge_oddeven_config_static_selectorELNS0_4arch9wavefront6targetE0EEEvSI_
    .private_segment_fixed_size: 0
    .sgpr_count:     0
    .sgpr_spill_count: 0
    .symbol:         _ZN7rocprim17ROCPRIM_400000_NS6detail17trampoline_kernelINS0_14default_configENS1_38merge_sort_block_merge_config_selectorIiNS0_10empty_typeEEEZZNS1_27merge_sort_block_merge_implIS3_N6thrust23THRUST_200600_302600_NS10device_ptrIiEEPS5_jNS1_19radix_merge_compareILb0ELb1EiNS0_19identity_decomposerEEEEE10hipError_tT0_T1_T2_jT3_P12ihipStream_tbPNSt15iterator_traitsISH_E10value_typeEPNSN_ISI_E10value_typeEPSJ_NS1_7vsmem_tEENKUlT_SH_SI_SJ_E_clISB_PiSC_SC_EESG_SW_SH_SI_SJ_EUlSW_E1_NS1_11comp_targetILNS1_3genE4ELNS1_11target_archE910ELNS1_3gpuE8ELNS1_3repE0EEENS1_36merge_oddeven_config_static_selectorELNS0_4arch9wavefront6targetE0EEEvSI_.kd
    .uniform_work_group_size: 1
    .uses_dynamic_stack: false
    .vgpr_count:     0
    .vgpr_spill_count: 0
    .wavefront_size: 32
    .workgroup_processor_mode: 1
  - .args:
      - .offset:         0
        .size:           48
        .value_kind:     by_value
    .group_segment_fixed_size: 0
    .kernarg_segment_align: 8
    .kernarg_segment_size: 48
    .language:       OpenCL C
    .language_version:
      - 2
      - 0
    .max_flat_workgroup_size: 256
    .name:           _ZN7rocprim17ROCPRIM_400000_NS6detail17trampoline_kernelINS0_14default_configENS1_38merge_sort_block_merge_config_selectorIiNS0_10empty_typeEEEZZNS1_27merge_sort_block_merge_implIS3_N6thrust23THRUST_200600_302600_NS10device_ptrIiEEPS5_jNS1_19radix_merge_compareILb0ELb1EiNS0_19identity_decomposerEEEEE10hipError_tT0_T1_T2_jT3_P12ihipStream_tbPNSt15iterator_traitsISH_E10value_typeEPNSN_ISI_E10value_typeEPSJ_NS1_7vsmem_tEENKUlT_SH_SI_SJ_E_clISB_PiSC_SC_EESG_SW_SH_SI_SJ_EUlSW_E1_NS1_11comp_targetILNS1_3genE3ELNS1_11target_archE908ELNS1_3gpuE7ELNS1_3repE0EEENS1_36merge_oddeven_config_static_selectorELNS0_4arch9wavefront6targetE0EEEvSI_
    .private_segment_fixed_size: 0
    .sgpr_count:     0
    .sgpr_spill_count: 0
    .symbol:         _ZN7rocprim17ROCPRIM_400000_NS6detail17trampoline_kernelINS0_14default_configENS1_38merge_sort_block_merge_config_selectorIiNS0_10empty_typeEEEZZNS1_27merge_sort_block_merge_implIS3_N6thrust23THRUST_200600_302600_NS10device_ptrIiEEPS5_jNS1_19radix_merge_compareILb0ELb1EiNS0_19identity_decomposerEEEEE10hipError_tT0_T1_T2_jT3_P12ihipStream_tbPNSt15iterator_traitsISH_E10value_typeEPNSN_ISI_E10value_typeEPSJ_NS1_7vsmem_tEENKUlT_SH_SI_SJ_E_clISB_PiSC_SC_EESG_SW_SH_SI_SJ_EUlSW_E1_NS1_11comp_targetILNS1_3genE3ELNS1_11target_archE908ELNS1_3gpuE7ELNS1_3repE0EEENS1_36merge_oddeven_config_static_selectorELNS0_4arch9wavefront6targetE0EEEvSI_.kd
    .uniform_work_group_size: 1
    .uses_dynamic_stack: false
    .vgpr_count:     0
    .vgpr_spill_count: 0
    .wavefront_size: 32
    .workgroup_processor_mode: 1
  - .args:
      - .offset:         0
        .size:           48
        .value_kind:     by_value
    .group_segment_fixed_size: 0
    .kernarg_segment_align: 8
    .kernarg_segment_size: 48
    .language:       OpenCL C
    .language_version:
      - 2
      - 0
    .max_flat_workgroup_size: 256
    .name:           _ZN7rocprim17ROCPRIM_400000_NS6detail17trampoline_kernelINS0_14default_configENS1_38merge_sort_block_merge_config_selectorIiNS0_10empty_typeEEEZZNS1_27merge_sort_block_merge_implIS3_N6thrust23THRUST_200600_302600_NS10device_ptrIiEEPS5_jNS1_19radix_merge_compareILb0ELb1EiNS0_19identity_decomposerEEEEE10hipError_tT0_T1_T2_jT3_P12ihipStream_tbPNSt15iterator_traitsISH_E10value_typeEPNSN_ISI_E10value_typeEPSJ_NS1_7vsmem_tEENKUlT_SH_SI_SJ_E_clISB_PiSC_SC_EESG_SW_SH_SI_SJ_EUlSW_E1_NS1_11comp_targetILNS1_3genE2ELNS1_11target_archE906ELNS1_3gpuE6ELNS1_3repE0EEENS1_36merge_oddeven_config_static_selectorELNS0_4arch9wavefront6targetE0EEEvSI_
    .private_segment_fixed_size: 0
    .sgpr_count:     0
    .sgpr_spill_count: 0
    .symbol:         _ZN7rocprim17ROCPRIM_400000_NS6detail17trampoline_kernelINS0_14default_configENS1_38merge_sort_block_merge_config_selectorIiNS0_10empty_typeEEEZZNS1_27merge_sort_block_merge_implIS3_N6thrust23THRUST_200600_302600_NS10device_ptrIiEEPS5_jNS1_19radix_merge_compareILb0ELb1EiNS0_19identity_decomposerEEEEE10hipError_tT0_T1_T2_jT3_P12ihipStream_tbPNSt15iterator_traitsISH_E10value_typeEPNSN_ISI_E10value_typeEPSJ_NS1_7vsmem_tEENKUlT_SH_SI_SJ_E_clISB_PiSC_SC_EESG_SW_SH_SI_SJ_EUlSW_E1_NS1_11comp_targetILNS1_3genE2ELNS1_11target_archE906ELNS1_3gpuE6ELNS1_3repE0EEENS1_36merge_oddeven_config_static_selectorELNS0_4arch9wavefront6targetE0EEEvSI_.kd
    .uniform_work_group_size: 1
    .uses_dynamic_stack: false
    .vgpr_count:     0
    .vgpr_spill_count: 0
    .wavefront_size: 32
    .workgroup_processor_mode: 1
  - .args:
      - .offset:         0
        .size:           48
        .value_kind:     by_value
    .group_segment_fixed_size: 0
    .kernarg_segment_align: 8
    .kernarg_segment_size: 48
    .language:       OpenCL C
    .language_version:
      - 2
      - 0
    .max_flat_workgroup_size: 256
    .name:           _ZN7rocprim17ROCPRIM_400000_NS6detail17trampoline_kernelINS0_14default_configENS1_38merge_sort_block_merge_config_selectorIiNS0_10empty_typeEEEZZNS1_27merge_sort_block_merge_implIS3_N6thrust23THRUST_200600_302600_NS10device_ptrIiEEPS5_jNS1_19radix_merge_compareILb0ELb1EiNS0_19identity_decomposerEEEEE10hipError_tT0_T1_T2_jT3_P12ihipStream_tbPNSt15iterator_traitsISH_E10value_typeEPNSN_ISI_E10value_typeEPSJ_NS1_7vsmem_tEENKUlT_SH_SI_SJ_E_clISB_PiSC_SC_EESG_SW_SH_SI_SJ_EUlSW_E1_NS1_11comp_targetILNS1_3genE9ELNS1_11target_archE1100ELNS1_3gpuE3ELNS1_3repE0EEENS1_36merge_oddeven_config_static_selectorELNS0_4arch9wavefront6targetE0EEEvSI_
    .private_segment_fixed_size: 0
    .sgpr_count:     0
    .sgpr_spill_count: 0
    .symbol:         _ZN7rocprim17ROCPRIM_400000_NS6detail17trampoline_kernelINS0_14default_configENS1_38merge_sort_block_merge_config_selectorIiNS0_10empty_typeEEEZZNS1_27merge_sort_block_merge_implIS3_N6thrust23THRUST_200600_302600_NS10device_ptrIiEEPS5_jNS1_19radix_merge_compareILb0ELb1EiNS0_19identity_decomposerEEEEE10hipError_tT0_T1_T2_jT3_P12ihipStream_tbPNSt15iterator_traitsISH_E10value_typeEPNSN_ISI_E10value_typeEPSJ_NS1_7vsmem_tEENKUlT_SH_SI_SJ_E_clISB_PiSC_SC_EESG_SW_SH_SI_SJ_EUlSW_E1_NS1_11comp_targetILNS1_3genE9ELNS1_11target_archE1100ELNS1_3gpuE3ELNS1_3repE0EEENS1_36merge_oddeven_config_static_selectorELNS0_4arch9wavefront6targetE0EEEvSI_.kd
    .uniform_work_group_size: 1
    .uses_dynamic_stack: false
    .vgpr_count:     0
    .vgpr_spill_count: 0
    .wavefront_size: 32
    .workgroup_processor_mode: 1
  - .args:
      - .offset:         0
        .size:           48
        .value_kind:     by_value
    .group_segment_fixed_size: 0
    .kernarg_segment_align: 8
    .kernarg_segment_size: 48
    .language:       OpenCL C
    .language_version:
      - 2
      - 0
    .max_flat_workgroup_size: 256
    .name:           _ZN7rocprim17ROCPRIM_400000_NS6detail17trampoline_kernelINS0_14default_configENS1_38merge_sort_block_merge_config_selectorIiNS0_10empty_typeEEEZZNS1_27merge_sort_block_merge_implIS3_N6thrust23THRUST_200600_302600_NS10device_ptrIiEEPS5_jNS1_19radix_merge_compareILb0ELb1EiNS0_19identity_decomposerEEEEE10hipError_tT0_T1_T2_jT3_P12ihipStream_tbPNSt15iterator_traitsISH_E10value_typeEPNSN_ISI_E10value_typeEPSJ_NS1_7vsmem_tEENKUlT_SH_SI_SJ_E_clISB_PiSC_SC_EESG_SW_SH_SI_SJ_EUlSW_E1_NS1_11comp_targetILNS1_3genE8ELNS1_11target_archE1030ELNS1_3gpuE2ELNS1_3repE0EEENS1_36merge_oddeven_config_static_selectorELNS0_4arch9wavefront6targetE0EEEvSI_
    .private_segment_fixed_size: 0
    .sgpr_count:     20
    .sgpr_spill_count: 0
    .symbol:         _ZN7rocprim17ROCPRIM_400000_NS6detail17trampoline_kernelINS0_14default_configENS1_38merge_sort_block_merge_config_selectorIiNS0_10empty_typeEEEZZNS1_27merge_sort_block_merge_implIS3_N6thrust23THRUST_200600_302600_NS10device_ptrIiEEPS5_jNS1_19radix_merge_compareILb0ELb1EiNS0_19identity_decomposerEEEEE10hipError_tT0_T1_T2_jT3_P12ihipStream_tbPNSt15iterator_traitsISH_E10value_typeEPNSN_ISI_E10value_typeEPSJ_NS1_7vsmem_tEENKUlT_SH_SI_SJ_E_clISB_PiSC_SC_EESG_SW_SH_SI_SJ_EUlSW_E1_NS1_11comp_targetILNS1_3genE8ELNS1_11target_archE1030ELNS1_3gpuE2ELNS1_3repE0EEENS1_36merge_oddeven_config_static_selectorELNS0_4arch9wavefront6targetE0EEEvSI_.kd
    .uniform_work_group_size: 1
    .uses_dynamic_stack: false
    .vgpr_count:     9
    .vgpr_spill_count: 0
    .wavefront_size: 32
    .workgroup_processor_mode: 1
  - .args:
      - .offset:         0
        .size:           40
        .value_kind:     by_value
    .group_segment_fixed_size: 0
    .kernarg_segment_align: 8
    .kernarg_segment_size: 40
    .language:       OpenCL C
    .language_version:
      - 2
      - 0
    .max_flat_workgroup_size: 512
    .name:           _ZN7rocprim17ROCPRIM_400000_NS6detail17trampoline_kernelINS0_14default_configENS1_35radix_sort_onesweep_config_selectorIiNS0_10empty_typeEEEZNS1_34radix_sort_onesweep_global_offsetsIS3_Lb0EN6thrust23THRUST_200600_302600_NS10device_ptrIiEEPS5_jNS0_19identity_decomposerEEE10hipError_tT1_T2_PT3_SH_jT4_jjP12ihipStream_tbEUlT_E_NS1_11comp_targetILNS1_3genE0ELNS1_11target_archE4294967295ELNS1_3gpuE0ELNS1_3repE0EEENS1_52radix_sort_onesweep_histogram_config_static_selectorELNS0_4arch9wavefront6targetE0EEEvSF_
    .private_segment_fixed_size: 0
    .sgpr_count:     0
    .sgpr_spill_count: 0
    .symbol:         _ZN7rocprim17ROCPRIM_400000_NS6detail17trampoline_kernelINS0_14default_configENS1_35radix_sort_onesweep_config_selectorIiNS0_10empty_typeEEEZNS1_34radix_sort_onesweep_global_offsetsIS3_Lb0EN6thrust23THRUST_200600_302600_NS10device_ptrIiEEPS5_jNS0_19identity_decomposerEEE10hipError_tT1_T2_PT3_SH_jT4_jjP12ihipStream_tbEUlT_E_NS1_11comp_targetILNS1_3genE0ELNS1_11target_archE4294967295ELNS1_3gpuE0ELNS1_3repE0EEENS1_52radix_sort_onesweep_histogram_config_static_selectorELNS0_4arch9wavefront6targetE0EEEvSF_.kd
    .uniform_work_group_size: 1
    .uses_dynamic_stack: false
    .vgpr_count:     0
    .vgpr_spill_count: 0
    .wavefront_size: 32
    .workgroup_processor_mode: 1
  - .args:
      - .offset:         0
        .size:           40
        .value_kind:     by_value
    .group_segment_fixed_size: 0
    .kernarg_segment_align: 8
    .kernarg_segment_size: 40
    .language:       OpenCL C
    .language_version:
      - 2
      - 0
    .max_flat_workgroup_size: 1024
    .name:           _ZN7rocprim17ROCPRIM_400000_NS6detail17trampoline_kernelINS0_14default_configENS1_35radix_sort_onesweep_config_selectorIiNS0_10empty_typeEEEZNS1_34radix_sort_onesweep_global_offsetsIS3_Lb0EN6thrust23THRUST_200600_302600_NS10device_ptrIiEEPS5_jNS0_19identity_decomposerEEE10hipError_tT1_T2_PT3_SH_jT4_jjP12ihipStream_tbEUlT_E_NS1_11comp_targetILNS1_3genE6ELNS1_11target_archE950ELNS1_3gpuE13ELNS1_3repE0EEENS1_52radix_sort_onesweep_histogram_config_static_selectorELNS0_4arch9wavefront6targetE0EEEvSF_
    .private_segment_fixed_size: 0
    .sgpr_count:     0
    .sgpr_spill_count: 0
    .symbol:         _ZN7rocprim17ROCPRIM_400000_NS6detail17trampoline_kernelINS0_14default_configENS1_35radix_sort_onesweep_config_selectorIiNS0_10empty_typeEEEZNS1_34radix_sort_onesweep_global_offsetsIS3_Lb0EN6thrust23THRUST_200600_302600_NS10device_ptrIiEEPS5_jNS0_19identity_decomposerEEE10hipError_tT1_T2_PT3_SH_jT4_jjP12ihipStream_tbEUlT_E_NS1_11comp_targetILNS1_3genE6ELNS1_11target_archE950ELNS1_3gpuE13ELNS1_3repE0EEENS1_52radix_sort_onesweep_histogram_config_static_selectorELNS0_4arch9wavefront6targetE0EEEvSF_.kd
    .uniform_work_group_size: 1
    .uses_dynamic_stack: false
    .vgpr_count:     0
    .vgpr_spill_count: 0
    .wavefront_size: 32
    .workgroup_processor_mode: 1
  - .args:
      - .offset:         0
        .size:           40
        .value_kind:     by_value
    .group_segment_fixed_size: 0
    .kernarg_segment_align: 8
    .kernarg_segment_size: 40
    .language:       OpenCL C
    .language_version:
      - 2
      - 0
    .max_flat_workgroup_size: 1024
    .name:           _ZN7rocprim17ROCPRIM_400000_NS6detail17trampoline_kernelINS0_14default_configENS1_35radix_sort_onesweep_config_selectorIiNS0_10empty_typeEEEZNS1_34radix_sort_onesweep_global_offsetsIS3_Lb0EN6thrust23THRUST_200600_302600_NS10device_ptrIiEEPS5_jNS0_19identity_decomposerEEE10hipError_tT1_T2_PT3_SH_jT4_jjP12ihipStream_tbEUlT_E_NS1_11comp_targetILNS1_3genE5ELNS1_11target_archE942ELNS1_3gpuE9ELNS1_3repE0EEENS1_52radix_sort_onesweep_histogram_config_static_selectorELNS0_4arch9wavefront6targetE0EEEvSF_
    .private_segment_fixed_size: 0
    .sgpr_count:     0
    .sgpr_spill_count: 0
    .symbol:         _ZN7rocprim17ROCPRIM_400000_NS6detail17trampoline_kernelINS0_14default_configENS1_35radix_sort_onesweep_config_selectorIiNS0_10empty_typeEEEZNS1_34radix_sort_onesweep_global_offsetsIS3_Lb0EN6thrust23THRUST_200600_302600_NS10device_ptrIiEEPS5_jNS0_19identity_decomposerEEE10hipError_tT1_T2_PT3_SH_jT4_jjP12ihipStream_tbEUlT_E_NS1_11comp_targetILNS1_3genE5ELNS1_11target_archE942ELNS1_3gpuE9ELNS1_3repE0EEENS1_52radix_sort_onesweep_histogram_config_static_selectorELNS0_4arch9wavefront6targetE0EEEvSF_.kd
    .uniform_work_group_size: 1
    .uses_dynamic_stack: false
    .vgpr_count:     0
    .vgpr_spill_count: 0
    .wavefront_size: 32
    .workgroup_processor_mode: 1
  - .args:
      - .offset:         0
        .size:           40
        .value_kind:     by_value
    .group_segment_fixed_size: 0
    .kernarg_segment_align: 8
    .kernarg_segment_size: 40
    .language:       OpenCL C
    .language_version:
      - 2
      - 0
    .max_flat_workgroup_size: 1024
    .name:           _ZN7rocprim17ROCPRIM_400000_NS6detail17trampoline_kernelINS0_14default_configENS1_35radix_sort_onesweep_config_selectorIiNS0_10empty_typeEEEZNS1_34radix_sort_onesweep_global_offsetsIS3_Lb0EN6thrust23THRUST_200600_302600_NS10device_ptrIiEEPS5_jNS0_19identity_decomposerEEE10hipError_tT1_T2_PT3_SH_jT4_jjP12ihipStream_tbEUlT_E_NS1_11comp_targetILNS1_3genE2ELNS1_11target_archE906ELNS1_3gpuE6ELNS1_3repE0EEENS1_52radix_sort_onesweep_histogram_config_static_selectorELNS0_4arch9wavefront6targetE0EEEvSF_
    .private_segment_fixed_size: 0
    .sgpr_count:     0
    .sgpr_spill_count: 0
    .symbol:         _ZN7rocprim17ROCPRIM_400000_NS6detail17trampoline_kernelINS0_14default_configENS1_35radix_sort_onesweep_config_selectorIiNS0_10empty_typeEEEZNS1_34radix_sort_onesweep_global_offsetsIS3_Lb0EN6thrust23THRUST_200600_302600_NS10device_ptrIiEEPS5_jNS0_19identity_decomposerEEE10hipError_tT1_T2_PT3_SH_jT4_jjP12ihipStream_tbEUlT_E_NS1_11comp_targetILNS1_3genE2ELNS1_11target_archE906ELNS1_3gpuE6ELNS1_3repE0EEENS1_52radix_sort_onesweep_histogram_config_static_selectorELNS0_4arch9wavefront6targetE0EEEvSF_.kd
    .uniform_work_group_size: 1
    .uses_dynamic_stack: false
    .vgpr_count:     0
    .vgpr_spill_count: 0
    .wavefront_size: 32
    .workgroup_processor_mode: 1
  - .args:
      - .offset:         0
        .size:           40
        .value_kind:     by_value
    .group_segment_fixed_size: 0
    .kernarg_segment_align: 8
    .kernarg_segment_size: 40
    .language:       OpenCL C
    .language_version:
      - 2
      - 0
    .max_flat_workgroup_size: 1024
    .name:           _ZN7rocprim17ROCPRIM_400000_NS6detail17trampoline_kernelINS0_14default_configENS1_35radix_sort_onesweep_config_selectorIiNS0_10empty_typeEEEZNS1_34radix_sort_onesweep_global_offsetsIS3_Lb0EN6thrust23THRUST_200600_302600_NS10device_ptrIiEEPS5_jNS0_19identity_decomposerEEE10hipError_tT1_T2_PT3_SH_jT4_jjP12ihipStream_tbEUlT_E_NS1_11comp_targetILNS1_3genE4ELNS1_11target_archE910ELNS1_3gpuE8ELNS1_3repE0EEENS1_52radix_sort_onesweep_histogram_config_static_selectorELNS0_4arch9wavefront6targetE0EEEvSF_
    .private_segment_fixed_size: 0
    .sgpr_count:     0
    .sgpr_spill_count: 0
    .symbol:         _ZN7rocprim17ROCPRIM_400000_NS6detail17trampoline_kernelINS0_14default_configENS1_35radix_sort_onesweep_config_selectorIiNS0_10empty_typeEEEZNS1_34radix_sort_onesweep_global_offsetsIS3_Lb0EN6thrust23THRUST_200600_302600_NS10device_ptrIiEEPS5_jNS0_19identity_decomposerEEE10hipError_tT1_T2_PT3_SH_jT4_jjP12ihipStream_tbEUlT_E_NS1_11comp_targetILNS1_3genE4ELNS1_11target_archE910ELNS1_3gpuE8ELNS1_3repE0EEENS1_52radix_sort_onesweep_histogram_config_static_selectorELNS0_4arch9wavefront6targetE0EEEvSF_.kd
    .uniform_work_group_size: 1
    .uses_dynamic_stack: false
    .vgpr_count:     0
    .vgpr_spill_count: 0
    .wavefront_size: 32
    .workgroup_processor_mode: 1
  - .args:
      - .offset:         0
        .size:           40
        .value_kind:     by_value
    .group_segment_fixed_size: 0
    .kernarg_segment_align: 8
    .kernarg_segment_size: 40
    .language:       OpenCL C
    .language_version:
      - 2
      - 0
    .max_flat_workgroup_size: 512
    .name:           _ZN7rocprim17ROCPRIM_400000_NS6detail17trampoline_kernelINS0_14default_configENS1_35radix_sort_onesweep_config_selectorIiNS0_10empty_typeEEEZNS1_34radix_sort_onesweep_global_offsetsIS3_Lb0EN6thrust23THRUST_200600_302600_NS10device_ptrIiEEPS5_jNS0_19identity_decomposerEEE10hipError_tT1_T2_PT3_SH_jT4_jjP12ihipStream_tbEUlT_E_NS1_11comp_targetILNS1_3genE3ELNS1_11target_archE908ELNS1_3gpuE7ELNS1_3repE0EEENS1_52radix_sort_onesweep_histogram_config_static_selectorELNS0_4arch9wavefront6targetE0EEEvSF_
    .private_segment_fixed_size: 0
    .sgpr_count:     0
    .sgpr_spill_count: 0
    .symbol:         _ZN7rocprim17ROCPRIM_400000_NS6detail17trampoline_kernelINS0_14default_configENS1_35radix_sort_onesweep_config_selectorIiNS0_10empty_typeEEEZNS1_34radix_sort_onesweep_global_offsetsIS3_Lb0EN6thrust23THRUST_200600_302600_NS10device_ptrIiEEPS5_jNS0_19identity_decomposerEEE10hipError_tT1_T2_PT3_SH_jT4_jjP12ihipStream_tbEUlT_E_NS1_11comp_targetILNS1_3genE3ELNS1_11target_archE908ELNS1_3gpuE7ELNS1_3repE0EEENS1_52radix_sort_onesweep_histogram_config_static_selectorELNS0_4arch9wavefront6targetE0EEEvSF_.kd
    .uniform_work_group_size: 1
    .uses_dynamic_stack: false
    .vgpr_count:     0
    .vgpr_spill_count: 0
    .wavefront_size: 32
    .workgroup_processor_mode: 1
  - .args:
      - .offset:         0
        .size:           40
        .value_kind:     by_value
    .group_segment_fixed_size: 0
    .kernarg_segment_align: 8
    .kernarg_segment_size: 40
    .language:       OpenCL C
    .language_version:
      - 2
      - 0
    .max_flat_workgroup_size: 1024
    .name:           _ZN7rocprim17ROCPRIM_400000_NS6detail17trampoline_kernelINS0_14default_configENS1_35radix_sort_onesweep_config_selectorIiNS0_10empty_typeEEEZNS1_34radix_sort_onesweep_global_offsetsIS3_Lb0EN6thrust23THRUST_200600_302600_NS10device_ptrIiEEPS5_jNS0_19identity_decomposerEEE10hipError_tT1_T2_PT3_SH_jT4_jjP12ihipStream_tbEUlT_E_NS1_11comp_targetILNS1_3genE10ELNS1_11target_archE1201ELNS1_3gpuE5ELNS1_3repE0EEENS1_52radix_sort_onesweep_histogram_config_static_selectorELNS0_4arch9wavefront6targetE0EEEvSF_
    .private_segment_fixed_size: 0
    .sgpr_count:     0
    .sgpr_spill_count: 0
    .symbol:         _ZN7rocprim17ROCPRIM_400000_NS6detail17trampoline_kernelINS0_14default_configENS1_35radix_sort_onesweep_config_selectorIiNS0_10empty_typeEEEZNS1_34radix_sort_onesweep_global_offsetsIS3_Lb0EN6thrust23THRUST_200600_302600_NS10device_ptrIiEEPS5_jNS0_19identity_decomposerEEE10hipError_tT1_T2_PT3_SH_jT4_jjP12ihipStream_tbEUlT_E_NS1_11comp_targetILNS1_3genE10ELNS1_11target_archE1201ELNS1_3gpuE5ELNS1_3repE0EEENS1_52radix_sort_onesweep_histogram_config_static_selectorELNS0_4arch9wavefront6targetE0EEEvSF_.kd
    .uniform_work_group_size: 1
    .uses_dynamic_stack: false
    .vgpr_count:     0
    .vgpr_spill_count: 0
    .wavefront_size: 32
    .workgroup_processor_mode: 1
  - .args:
      - .offset:         0
        .size:           40
        .value_kind:     by_value
    .group_segment_fixed_size: 0
    .kernarg_segment_align: 8
    .kernarg_segment_size: 40
    .language:       OpenCL C
    .language_version:
      - 2
      - 0
    .max_flat_workgroup_size: 1024
    .name:           _ZN7rocprim17ROCPRIM_400000_NS6detail17trampoline_kernelINS0_14default_configENS1_35radix_sort_onesweep_config_selectorIiNS0_10empty_typeEEEZNS1_34radix_sort_onesweep_global_offsetsIS3_Lb0EN6thrust23THRUST_200600_302600_NS10device_ptrIiEEPS5_jNS0_19identity_decomposerEEE10hipError_tT1_T2_PT3_SH_jT4_jjP12ihipStream_tbEUlT_E_NS1_11comp_targetILNS1_3genE9ELNS1_11target_archE1100ELNS1_3gpuE3ELNS1_3repE0EEENS1_52radix_sort_onesweep_histogram_config_static_selectorELNS0_4arch9wavefront6targetE0EEEvSF_
    .private_segment_fixed_size: 0
    .sgpr_count:     0
    .sgpr_spill_count: 0
    .symbol:         _ZN7rocprim17ROCPRIM_400000_NS6detail17trampoline_kernelINS0_14default_configENS1_35radix_sort_onesweep_config_selectorIiNS0_10empty_typeEEEZNS1_34radix_sort_onesweep_global_offsetsIS3_Lb0EN6thrust23THRUST_200600_302600_NS10device_ptrIiEEPS5_jNS0_19identity_decomposerEEE10hipError_tT1_T2_PT3_SH_jT4_jjP12ihipStream_tbEUlT_E_NS1_11comp_targetILNS1_3genE9ELNS1_11target_archE1100ELNS1_3gpuE3ELNS1_3repE0EEENS1_52radix_sort_onesweep_histogram_config_static_selectorELNS0_4arch9wavefront6targetE0EEEvSF_.kd
    .uniform_work_group_size: 1
    .uses_dynamic_stack: false
    .vgpr_count:     0
    .vgpr_spill_count: 0
    .wavefront_size: 32
    .workgroup_processor_mode: 1
  - .args:
      - .offset:         0
        .size:           40
        .value_kind:     by_value
    .group_segment_fixed_size: 16384
    .kernarg_segment_align: 8
    .kernarg_segment_size: 40
    .language:       OpenCL C
    .language_version:
      - 2
      - 0
    .max_flat_workgroup_size: 1024
    .name:           _ZN7rocprim17ROCPRIM_400000_NS6detail17trampoline_kernelINS0_14default_configENS1_35radix_sort_onesweep_config_selectorIiNS0_10empty_typeEEEZNS1_34radix_sort_onesweep_global_offsetsIS3_Lb0EN6thrust23THRUST_200600_302600_NS10device_ptrIiEEPS5_jNS0_19identity_decomposerEEE10hipError_tT1_T2_PT3_SH_jT4_jjP12ihipStream_tbEUlT_E_NS1_11comp_targetILNS1_3genE8ELNS1_11target_archE1030ELNS1_3gpuE2ELNS1_3repE0EEENS1_52radix_sort_onesweep_histogram_config_static_selectorELNS0_4arch9wavefront6targetE0EEEvSF_
    .private_segment_fixed_size: 0
    .sgpr_count:     16
    .sgpr_spill_count: 0
    .symbol:         _ZN7rocprim17ROCPRIM_400000_NS6detail17trampoline_kernelINS0_14default_configENS1_35radix_sort_onesweep_config_selectorIiNS0_10empty_typeEEEZNS1_34radix_sort_onesweep_global_offsetsIS3_Lb0EN6thrust23THRUST_200600_302600_NS10device_ptrIiEEPS5_jNS0_19identity_decomposerEEE10hipError_tT1_T2_PT3_SH_jT4_jjP12ihipStream_tbEUlT_E_NS1_11comp_targetILNS1_3genE8ELNS1_11target_archE1030ELNS1_3gpuE2ELNS1_3repE0EEENS1_52radix_sort_onesweep_histogram_config_static_selectorELNS0_4arch9wavefront6targetE0EEEvSF_.kd
    .uniform_work_group_size: 1
    .uses_dynamic_stack: false
    .vgpr_count:     14
    .vgpr_spill_count: 0
    .wavefront_size: 32
    .workgroup_processor_mode: 1
  - .args:
      - .address_space:  global
        .offset:         0
        .size:           8
        .value_kind:     global_buffer
    .group_segment_fixed_size: 0
    .kernarg_segment_align: 8
    .kernarg_segment_size: 8
    .language:       OpenCL C
    .language_version:
      - 2
      - 0
    .max_flat_workgroup_size: 512
    .name:           _ZN7rocprim17ROCPRIM_400000_NS6detail17trampoline_kernelINS0_14default_configENS1_35radix_sort_onesweep_config_selectorIiNS0_10empty_typeEEEZNS1_34radix_sort_onesweep_global_offsetsIS3_Lb0EN6thrust23THRUST_200600_302600_NS10device_ptrIiEEPS5_jNS0_19identity_decomposerEEE10hipError_tT1_T2_PT3_SH_jT4_jjP12ihipStream_tbEUlT_E0_NS1_11comp_targetILNS1_3genE0ELNS1_11target_archE4294967295ELNS1_3gpuE0ELNS1_3repE0EEENS1_52radix_sort_onesweep_histogram_config_static_selectorELNS0_4arch9wavefront6targetE0EEEvSF_
    .private_segment_fixed_size: 0
    .sgpr_count:     0
    .sgpr_spill_count: 0
    .symbol:         _ZN7rocprim17ROCPRIM_400000_NS6detail17trampoline_kernelINS0_14default_configENS1_35radix_sort_onesweep_config_selectorIiNS0_10empty_typeEEEZNS1_34radix_sort_onesweep_global_offsetsIS3_Lb0EN6thrust23THRUST_200600_302600_NS10device_ptrIiEEPS5_jNS0_19identity_decomposerEEE10hipError_tT1_T2_PT3_SH_jT4_jjP12ihipStream_tbEUlT_E0_NS1_11comp_targetILNS1_3genE0ELNS1_11target_archE4294967295ELNS1_3gpuE0ELNS1_3repE0EEENS1_52radix_sort_onesweep_histogram_config_static_selectorELNS0_4arch9wavefront6targetE0EEEvSF_.kd
    .uniform_work_group_size: 1
    .uses_dynamic_stack: false
    .vgpr_count:     0
    .vgpr_spill_count: 0
    .wavefront_size: 32
    .workgroup_processor_mode: 1
  - .args:
      - .address_space:  global
        .offset:         0
        .size:           8
        .value_kind:     global_buffer
    .group_segment_fixed_size: 0
    .kernarg_segment_align: 8
    .kernarg_segment_size: 8
    .language:       OpenCL C
    .language_version:
      - 2
      - 0
    .max_flat_workgroup_size: 1024
    .name:           _ZN7rocprim17ROCPRIM_400000_NS6detail17trampoline_kernelINS0_14default_configENS1_35radix_sort_onesweep_config_selectorIiNS0_10empty_typeEEEZNS1_34radix_sort_onesweep_global_offsetsIS3_Lb0EN6thrust23THRUST_200600_302600_NS10device_ptrIiEEPS5_jNS0_19identity_decomposerEEE10hipError_tT1_T2_PT3_SH_jT4_jjP12ihipStream_tbEUlT_E0_NS1_11comp_targetILNS1_3genE6ELNS1_11target_archE950ELNS1_3gpuE13ELNS1_3repE0EEENS1_52radix_sort_onesweep_histogram_config_static_selectorELNS0_4arch9wavefront6targetE0EEEvSF_
    .private_segment_fixed_size: 0
    .sgpr_count:     0
    .sgpr_spill_count: 0
    .symbol:         _ZN7rocprim17ROCPRIM_400000_NS6detail17trampoline_kernelINS0_14default_configENS1_35radix_sort_onesweep_config_selectorIiNS0_10empty_typeEEEZNS1_34radix_sort_onesweep_global_offsetsIS3_Lb0EN6thrust23THRUST_200600_302600_NS10device_ptrIiEEPS5_jNS0_19identity_decomposerEEE10hipError_tT1_T2_PT3_SH_jT4_jjP12ihipStream_tbEUlT_E0_NS1_11comp_targetILNS1_3genE6ELNS1_11target_archE950ELNS1_3gpuE13ELNS1_3repE0EEENS1_52radix_sort_onesweep_histogram_config_static_selectorELNS0_4arch9wavefront6targetE0EEEvSF_.kd
    .uniform_work_group_size: 1
    .uses_dynamic_stack: false
    .vgpr_count:     0
    .vgpr_spill_count: 0
    .wavefront_size: 32
    .workgroup_processor_mode: 1
  - .args:
      - .address_space:  global
        .offset:         0
        .size:           8
        .value_kind:     global_buffer
    .group_segment_fixed_size: 0
    .kernarg_segment_align: 8
    .kernarg_segment_size: 8
    .language:       OpenCL C
    .language_version:
      - 2
      - 0
    .max_flat_workgroup_size: 1024
    .name:           _ZN7rocprim17ROCPRIM_400000_NS6detail17trampoline_kernelINS0_14default_configENS1_35radix_sort_onesweep_config_selectorIiNS0_10empty_typeEEEZNS1_34radix_sort_onesweep_global_offsetsIS3_Lb0EN6thrust23THRUST_200600_302600_NS10device_ptrIiEEPS5_jNS0_19identity_decomposerEEE10hipError_tT1_T2_PT3_SH_jT4_jjP12ihipStream_tbEUlT_E0_NS1_11comp_targetILNS1_3genE5ELNS1_11target_archE942ELNS1_3gpuE9ELNS1_3repE0EEENS1_52radix_sort_onesweep_histogram_config_static_selectorELNS0_4arch9wavefront6targetE0EEEvSF_
    .private_segment_fixed_size: 0
    .sgpr_count:     0
    .sgpr_spill_count: 0
    .symbol:         _ZN7rocprim17ROCPRIM_400000_NS6detail17trampoline_kernelINS0_14default_configENS1_35radix_sort_onesweep_config_selectorIiNS0_10empty_typeEEEZNS1_34radix_sort_onesweep_global_offsetsIS3_Lb0EN6thrust23THRUST_200600_302600_NS10device_ptrIiEEPS5_jNS0_19identity_decomposerEEE10hipError_tT1_T2_PT3_SH_jT4_jjP12ihipStream_tbEUlT_E0_NS1_11comp_targetILNS1_3genE5ELNS1_11target_archE942ELNS1_3gpuE9ELNS1_3repE0EEENS1_52radix_sort_onesweep_histogram_config_static_selectorELNS0_4arch9wavefront6targetE0EEEvSF_.kd
    .uniform_work_group_size: 1
    .uses_dynamic_stack: false
    .vgpr_count:     0
    .vgpr_spill_count: 0
    .wavefront_size: 32
    .workgroup_processor_mode: 1
  - .args:
      - .address_space:  global
        .offset:         0
        .size:           8
        .value_kind:     global_buffer
    .group_segment_fixed_size: 0
    .kernarg_segment_align: 8
    .kernarg_segment_size: 8
    .language:       OpenCL C
    .language_version:
      - 2
      - 0
    .max_flat_workgroup_size: 1024
    .name:           _ZN7rocprim17ROCPRIM_400000_NS6detail17trampoline_kernelINS0_14default_configENS1_35radix_sort_onesweep_config_selectorIiNS0_10empty_typeEEEZNS1_34radix_sort_onesweep_global_offsetsIS3_Lb0EN6thrust23THRUST_200600_302600_NS10device_ptrIiEEPS5_jNS0_19identity_decomposerEEE10hipError_tT1_T2_PT3_SH_jT4_jjP12ihipStream_tbEUlT_E0_NS1_11comp_targetILNS1_3genE2ELNS1_11target_archE906ELNS1_3gpuE6ELNS1_3repE0EEENS1_52radix_sort_onesweep_histogram_config_static_selectorELNS0_4arch9wavefront6targetE0EEEvSF_
    .private_segment_fixed_size: 0
    .sgpr_count:     0
    .sgpr_spill_count: 0
    .symbol:         _ZN7rocprim17ROCPRIM_400000_NS6detail17trampoline_kernelINS0_14default_configENS1_35radix_sort_onesweep_config_selectorIiNS0_10empty_typeEEEZNS1_34radix_sort_onesweep_global_offsetsIS3_Lb0EN6thrust23THRUST_200600_302600_NS10device_ptrIiEEPS5_jNS0_19identity_decomposerEEE10hipError_tT1_T2_PT3_SH_jT4_jjP12ihipStream_tbEUlT_E0_NS1_11comp_targetILNS1_3genE2ELNS1_11target_archE906ELNS1_3gpuE6ELNS1_3repE0EEENS1_52radix_sort_onesweep_histogram_config_static_selectorELNS0_4arch9wavefront6targetE0EEEvSF_.kd
    .uniform_work_group_size: 1
    .uses_dynamic_stack: false
    .vgpr_count:     0
    .vgpr_spill_count: 0
    .wavefront_size: 32
    .workgroup_processor_mode: 1
  - .args:
      - .address_space:  global
        .offset:         0
        .size:           8
        .value_kind:     global_buffer
    .group_segment_fixed_size: 0
    .kernarg_segment_align: 8
    .kernarg_segment_size: 8
    .language:       OpenCL C
    .language_version:
      - 2
      - 0
    .max_flat_workgroup_size: 1024
    .name:           _ZN7rocprim17ROCPRIM_400000_NS6detail17trampoline_kernelINS0_14default_configENS1_35radix_sort_onesweep_config_selectorIiNS0_10empty_typeEEEZNS1_34radix_sort_onesweep_global_offsetsIS3_Lb0EN6thrust23THRUST_200600_302600_NS10device_ptrIiEEPS5_jNS0_19identity_decomposerEEE10hipError_tT1_T2_PT3_SH_jT4_jjP12ihipStream_tbEUlT_E0_NS1_11comp_targetILNS1_3genE4ELNS1_11target_archE910ELNS1_3gpuE8ELNS1_3repE0EEENS1_52radix_sort_onesweep_histogram_config_static_selectorELNS0_4arch9wavefront6targetE0EEEvSF_
    .private_segment_fixed_size: 0
    .sgpr_count:     0
    .sgpr_spill_count: 0
    .symbol:         _ZN7rocprim17ROCPRIM_400000_NS6detail17trampoline_kernelINS0_14default_configENS1_35radix_sort_onesweep_config_selectorIiNS0_10empty_typeEEEZNS1_34radix_sort_onesweep_global_offsetsIS3_Lb0EN6thrust23THRUST_200600_302600_NS10device_ptrIiEEPS5_jNS0_19identity_decomposerEEE10hipError_tT1_T2_PT3_SH_jT4_jjP12ihipStream_tbEUlT_E0_NS1_11comp_targetILNS1_3genE4ELNS1_11target_archE910ELNS1_3gpuE8ELNS1_3repE0EEENS1_52radix_sort_onesweep_histogram_config_static_selectorELNS0_4arch9wavefront6targetE0EEEvSF_.kd
    .uniform_work_group_size: 1
    .uses_dynamic_stack: false
    .vgpr_count:     0
    .vgpr_spill_count: 0
    .wavefront_size: 32
    .workgroup_processor_mode: 1
  - .args:
      - .address_space:  global
        .offset:         0
        .size:           8
        .value_kind:     global_buffer
    .group_segment_fixed_size: 0
    .kernarg_segment_align: 8
    .kernarg_segment_size: 8
    .language:       OpenCL C
    .language_version:
      - 2
      - 0
    .max_flat_workgroup_size: 512
    .name:           _ZN7rocprim17ROCPRIM_400000_NS6detail17trampoline_kernelINS0_14default_configENS1_35radix_sort_onesweep_config_selectorIiNS0_10empty_typeEEEZNS1_34radix_sort_onesweep_global_offsetsIS3_Lb0EN6thrust23THRUST_200600_302600_NS10device_ptrIiEEPS5_jNS0_19identity_decomposerEEE10hipError_tT1_T2_PT3_SH_jT4_jjP12ihipStream_tbEUlT_E0_NS1_11comp_targetILNS1_3genE3ELNS1_11target_archE908ELNS1_3gpuE7ELNS1_3repE0EEENS1_52radix_sort_onesweep_histogram_config_static_selectorELNS0_4arch9wavefront6targetE0EEEvSF_
    .private_segment_fixed_size: 0
    .sgpr_count:     0
    .sgpr_spill_count: 0
    .symbol:         _ZN7rocprim17ROCPRIM_400000_NS6detail17trampoline_kernelINS0_14default_configENS1_35radix_sort_onesweep_config_selectorIiNS0_10empty_typeEEEZNS1_34radix_sort_onesweep_global_offsetsIS3_Lb0EN6thrust23THRUST_200600_302600_NS10device_ptrIiEEPS5_jNS0_19identity_decomposerEEE10hipError_tT1_T2_PT3_SH_jT4_jjP12ihipStream_tbEUlT_E0_NS1_11comp_targetILNS1_3genE3ELNS1_11target_archE908ELNS1_3gpuE7ELNS1_3repE0EEENS1_52radix_sort_onesweep_histogram_config_static_selectorELNS0_4arch9wavefront6targetE0EEEvSF_.kd
    .uniform_work_group_size: 1
    .uses_dynamic_stack: false
    .vgpr_count:     0
    .vgpr_spill_count: 0
    .wavefront_size: 32
    .workgroup_processor_mode: 1
  - .args:
      - .address_space:  global
        .offset:         0
        .size:           8
        .value_kind:     global_buffer
    .group_segment_fixed_size: 0
    .kernarg_segment_align: 8
    .kernarg_segment_size: 8
    .language:       OpenCL C
    .language_version:
      - 2
      - 0
    .max_flat_workgroup_size: 1024
    .name:           _ZN7rocprim17ROCPRIM_400000_NS6detail17trampoline_kernelINS0_14default_configENS1_35radix_sort_onesweep_config_selectorIiNS0_10empty_typeEEEZNS1_34radix_sort_onesweep_global_offsetsIS3_Lb0EN6thrust23THRUST_200600_302600_NS10device_ptrIiEEPS5_jNS0_19identity_decomposerEEE10hipError_tT1_T2_PT3_SH_jT4_jjP12ihipStream_tbEUlT_E0_NS1_11comp_targetILNS1_3genE10ELNS1_11target_archE1201ELNS1_3gpuE5ELNS1_3repE0EEENS1_52radix_sort_onesweep_histogram_config_static_selectorELNS0_4arch9wavefront6targetE0EEEvSF_
    .private_segment_fixed_size: 0
    .sgpr_count:     0
    .sgpr_spill_count: 0
    .symbol:         _ZN7rocprim17ROCPRIM_400000_NS6detail17trampoline_kernelINS0_14default_configENS1_35radix_sort_onesweep_config_selectorIiNS0_10empty_typeEEEZNS1_34radix_sort_onesweep_global_offsetsIS3_Lb0EN6thrust23THRUST_200600_302600_NS10device_ptrIiEEPS5_jNS0_19identity_decomposerEEE10hipError_tT1_T2_PT3_SH_jT4_jjP12ihipStream_tbEUlT_E0_NS1_11comp_targetILNS1_3genE10ELNS1_11target_archE1201ELNS1_3gpuE5ELNS1_3repE0EEENS1_52radix_sort_onesweep_histogram_config_static_selectorELNS0_4arch9wavefront6targetE0EEEvSF_.kd
    .uniform_work_group_size: 1
    .uses_dynamic_stack: false
    .vgpr_count:     0
    .vgpr_spill_count: 0
    .wavefront_size: 32
    .workgroup_processor_mode: 1
  - .args:
      - .address_space:  global
        .offset:         0
        .size:           8
        .value_kind:     global_buffer
    .group_segment_fixed_size: 0
    .kernarg_segment_align: 8
    .kernarg_segment_size: 8
    .language:       OpenCL C
    .language_version:
      - 2
      - 0
    .max_flat_workgroup_size: 1024
    .name:           _ZN7rocprim17ROCPRIM_400000_NS6detail17trampoline_kernelINS0_14default_configENS1_35radix_sort_onesweep_config_selectorIiNS0_10empty_typeEEEZNS1_34radix_sort_onesweep_global_offsetsIS3_Lb0EN6thrust23THRUST_200600_302600_NS10device_ptrIiEEPS5_jNS0_19identity_decomposerEEE10hipError_tT1_T2_PT3_SH_jT4_jjP12ihipStream_tbEUlT_E0_NS1_11comp_targetILNS1_3genE9ELNS1_11target_archE1100ELNS1_3gpuE3ELNS1_3repE0EEENS1_52radix_sort_onesweep_histogram_config_static_selectorELNS0_4arch9wavefront6targetE0EEEvSF_
    .private_segment_fixed_size: 0
    .sgpr_count:     0
    .sgpr_spill_count: 0
    .symbol:         _ZN7rocprim17ROCPRIM_400000_NS6detail17trampoline_kernelINS0_14default_configENS1_35radix_sort_onesweep_config_selectorIiNS0_10empty_typeEEEZNS1_34radix_sort_onesweep_global_offsetsIS3_Lb0EN6thrust23THRUST_200600_302600_NS10device_ptrIiEEPS5_jNS0_19identity_decomposerEEE10hipError_tT1_T2_PT3_SH_jT4_jjP12ihipStream_tbEUlT_E0_NS1_11comp_targetILNS1_3genE9ELNS1_11target_archE1100ELNS1_3gpuE3ELNS1_3repE0EEENS1_52radix_sort_onesweep_histogram_config_static_selectorELNS0_4arch9wavefront6targetE0EEEvSF_.kd
    .uniform_work_group_size: 1
    .uses_dynamic_stack: false
    .vgpr_count:     0
    .vgpr_spill_count: 0
    .wavefront_size: 32
    .workgroup_processor_mode: 1
  - .args:
      - .address_space:  global
        .offset:         0
        .size:           8
        .value_kind:     global_buffer
    .group_segment_fixed_size: 128
    .kernarg_segment_align: 8
    .kernarg_segment_size: 8
    .language:       OpenCL C
    .language_version:
      - 2
      - 0
    .max_flat_workgroup_size: 1024
    .name:           _ZN7rocprim17ROCPRIM_400000_NS6detail17trampoline_kernelINS0_14default_configENS1_35radix_sort_onesweep_config_selectorIiNS0_10empty_typeEEEZNS1_34radix_sort_onesweep_global_offsetsIS3_Lb0EN6thrust23THRUST_200600_302600_NS10device_ptrIiEEPS5_jNS0_19identity_decomposerEEE10hipError_tT1_T2_PT3_SH_jT4_jjP12ihipStream_tbEUlT_E0_NS1_11comp_targetILNS1_3genE8ELNS1_11target_archE1030ELNS1_3gpuE2ELNS1_3repE0EEENS1_52radix_sort_onesweep_histogram_config_static_selectorELNS0_4arch9wavefront6targetE0EEEvSF_
    .private_segment_fixed_size: 0
    .sgpr_count:     12
    .sgpr_spill_count: 0
    .symbol:         _ZN7rocprim17ROCPRIM_400000_NS6detail17trampoline_kernelINS0_14default_configENS1_35radix_sort_onesweep_config_selectorIiNS0_10empty_typeEEEZNS1_34radix_sort_onesweep_global_offsetsIS3_Lb0EN6thrust23THRUST_200600_302600_NS10device_ptrIiEEPS5_jNS0_19identity_decomposerEEE10hipError_tT1_T2_PT3_SH_jT4_jjP12ihipStream_tbEUlT_E0_NS1_11comp_targetILNS1_3genE8ELNS1_11target_archE1030ELNS1_3gpuE2ELNS1_3repE0EEENS1_52radix_sort_onesweep_histogram_config_static_selectorELNS0_4arch9wavefront6targetE0EEEvSF_.kd
    .uniform_work_group_size: 1
    .uses_dynamic_stack: false
    .vgpr_count:     8
    .vgpr_spill_count: 0
    .wavefront_size: 32
    .workgroup_processor_mode: 1
  - .args:
      - .offset:         0
        .size:           40
        .value_kind:     by_value
    .group_segment_fixed_size: 0
    .kernarg_segment_align: 8
    .kernarg_segment_size: 40
    .language:       OpenCL C
    .language_version:
      - 2
      - 0
    .max_flat_workgroup_size: 128
    .name:           _ZN7rocprim17ROCPRIM_400000_NS6detail17trampoline_kernelINS0_14default_configENS1_25transform_config_selectorIiLb0EEEZNS1_14transform_implILb0ES3_S5_N6thrust23THRUST_200600_302600_NS10device_ptrIiEEPiNS0_8identityIiEEEE10hipError_tT2_T3_mT4_P12ihipStream_tbEUlT_E_NS1_11comp_targetILNS1_3genE0ELNS1_11target_archE4294967295ELNS1_3gpuE0ELNS1_3repE0EEENS1_30default_config_static_selectorELNS0_4arch9wavefront6targetE0EEEvT1_
    .private_segment_fixed_size: 0
    .sgpr_count:     0
    .sgpr_spill_count: 0
    .symbol:         _ZN7rocprim17ROCPRIM_400000_NS6detail17trampoline_kernelINS0_14default_configENS1_25transform_config_selectorIiLb0EEEZNS1_14transform_implILb0ES3_S5_N6thrust23THRUST_200600_302600_NS10device_ptrIiEEPiNS0_8identityIiEEEE10hipError_tT2_T3_mT4_P12ihipStream_tbEUlT_E_NS1_11comp_targetILNS1_3genE0ELNS1_11target_archE4294967295ELNS1_3gpuE0ELNS1_3repE0EEENS1_30default_config_static_selectorELNS0_4arch9wavefront6targetE0EEEvT1_.kd
    .uniform_work_group_size: 1
    .uses_dynamic_stack: false
    .vgpr_count:     0
    .vgpr_spill_count: 0
    .wavefront_size: 32
    .workgroup_processor_mode: 1
  - .args:
      - .offset:         0
        .size:           40
        .value_kind:     by_value
    .group_segment_fixed_size: 0
    .kernarg_segment_align: 8
    .kernarg_segment_size: 40
    .language:       OpenCL C
    .language_version:
      - 2
      - 0
    .max_flat_workgroup_size: 512
    .name:           _ZN7rocprim17ROCPRIM_400000_NS6detail17trampoline_kernelINS0_14default_configENS1_25transform_config_selectorIiLb0EEEZNS1_14transform_implILb0ES3_S5_N6thrust23THRUST_200600_302600_NS10device_ptrIiEEPiNS0_8identityIiEEEE10hipError_tT2_T3_mT4_P12ihipStream_tbEUlT_E_NS1_11comp_targetILNS1_3genE5ELNS1_11target_archE942ELNS1_3gpuE9ELNS1_3repE0EEENS1_30default_config_static_selectorELNS0_4arch9wavefront6targetE0EEEvT1_
    .private_segment_fixed_size: 0
    .sgpr_count:     0
    .sgpr_spill_count: 0
    .symbol:         _ZN7rocprim17ROCPRIM_400000_NS6detail17trampoline_kernelINS0_14default_configENS1_25transform_config_selectorIiLb0EEEZNS1_14transform_implILb0ES3_S5_N6thrust23THRUST_200600_302600_NS10device_ptrIiEEPiNS0_8identityIiEEEE10hipError_tT2_T3_mT4_P12ihipStream_tbEUlT_E_NS1_11comp_targetILNS1_3genE5ELNS1_11target_archE942ELNS1_3gpuE9ELNS1_3repE0EEENS1_30default_config_static_selectorELNS0_4arch9wavefront6targetE0EEEvT1_.kd
    .uniform_work_group_size: 1
    .uses_dynamic_stack: false
    .vgpr_count:     0
    .vgpr_spill_count: 0
    .wavefront_size: 32
    .workgroup_processor_mode: 1
  - .args:
      - .offset:         0
        .size:           40
        .value_kind:     by_value
    .group_segment_fixed_size: 0
    .kernarg_segment_align: 8
    .kernarg_segment_size: 40
    .language:       OpenCL C
    .language_version:
      - 2
      - 0
    .max_flat_workgroup_size: 1024
    .name:           _ZN7rocprim17ROCPRIM_400000_NS6detail17trampoline_kernelINS0_14default_configENS1_25transform_config_selectorIiLb0EEEZNS1_14transform_implILb0ES3_S5_N6thrust23THRUST_200600_302600_NS10device_ptrIiEEPiNS0_8identityIiEEEE10hipError_tT2_T3_mT4_P12ihipStream_tbEUlT_E_NS1_11comp_targetILNS1_3genE4ELNS1_11target_archE910ELNS1_3gpuE8ELNS1_3repE0EEENS1_30default_config_static_selectorELNS0_4arch9wavefront6targetE0EEEvT1_
    .private_segment_fixed_size: 0
    .sgpr_count:     0
    .sgpr_spill_count: 0
    .symbol:         _ZN7rocprim17ROCPRIM_400000_NS6detail17trampoline_kernelINS0_14default_configENS1_25transform_config_selectorIiLb0EEEZNS1_14transform_implILb0ES3_S5_N6thrust23THRUST_200600_302600_NS10device_ptrIiEEPiNS0_8identityIiEEEE10hipError_tT2_T3_mT4_P12ihipStream_tbEUlT_E_NS1_11comp_targetILNS1_3genE4ELNS1_11target_archE910ELNS1_3gpuE8ELNS1_3repE0EEENS1_30default_config_static_selectorELNS0_4arch9wavefront6targetE0EEEvT1_.kd
    .uniform_work_group_size: 1
    .uses_dynamic_stack: false
    .vgpr_count:     0
    .vgpr_spill_count: 0
    .wavefront_size: 32
    .workgroup_processor_mode: 1
  - .args:
      - .offset:         0
        .size:           40
        .value_kind:     by_value
    .group_segment_fixed_size: 0
    .kernarg_segment_align: 8
    .kernarg_segment_size: 40
    .language:       OpenCL C
    .language_version:
      - 2
      - 0
    .max_flat_workgroup_size: 128
    .name:           _ZN7rocprim17ROCPRIM_400000_NS6detail17trampoline_kernelINS0_14default_configENS1_25transform_config_selectorIiLb0EEEZNS1_14transform_implILb0ES3_S5_N6thrust23THRUST_200600_302600_NS10device_ptrIiEEPiNS0_8identityIiEEEE10hipError_tT2_T3_mT4_P12ihipStream_tbEUlT_E_NS1_11comp_targetILNS1_3genE3ELNS1_11target_archE908ELNS1_3gpuE7ELNS1_3repE0EEENS1_30default_config_static_selectorELNS0_4arch9wavefront6targetE0EEEvT1_
    .private_segment_fixed_size: 0
    .sgpr_count:     0
    .sgpr_spill_count: 0
    .symbol:         _ZN7rocprim17ROCPRIM_400000_NS6detail17trampoline_kernelINS0_14default_configENS1_25transform_config_selectorIiLb0EEEZNS1_14transform_implILb0ES3_S5_N6thrust23THRUST_200600_302600_NS10device_ptrIiEEPiNS0_8identityIiEEEE10hipError_tT2_T3_mT4_P12ihipStream_tbEUlT_E_NS1_11comp_targetILNS1_3genE3ELNS1_11target_archE908ELNS1_3gpuE7ELNS1_3repE0EEENS1_30default_config_static_selectorELNS0_4arch9wavefront6targetE0EEEvT1_.kd
    .uniform_work_group_size: 1
    .uses_dynamic_stack: false
    .vgpr_count:     0
    .vgpr_spill_count: 0
    .wavefront_size: 32
    .workgroup_processor_mode: 1
  - .args:
      - .offset:         0
        .size:           40
        .value_kind:     by_value
    .group_segment_fixed_size: 0
    .kernarg_segment_align: 8
    .kernarg_segment_size: 40
    .language:       OpenCL C
    .language_version:
      - 2
      - 0
    .max_flat_workgroup_size: 1024
    .name:           _ZN7rocprim17ROCPRIM_400000_NS6detail17trampoline_kernelINS0_14default_configENS1_25transform_config_selectorIiLb0EEEZNS1_14transform_implILb0ES3_S5_N6thrust23THRUST_200600_302600_NS10device_ptrIiEEPiNS0_8identityIiEEEE10hipError_tT2_T3_mT4_P12ihipStream_tbEUlT_E_NS1_11comp_targetILNS1_3genE2ELNS1_11target_archE906ELNS1_3gpuE6ELNS1_3repE0EEENS1_30default_config_static_selectorELNS0_4arch9wavefront6targetE0EEEvT1_
    .private_segment_fixed_size: 0
    .sgpr_count:     0
    .sgpr_spill_count: 0
    .symbol:         _ZN7rocprim17ROCPRIM_400000_NS6detail17trampoline_kernelINS0_14default_configENS1_25transform_config_selectorIiLb0EEEZNS1_14transform_implILb0ES3_S5_N6thrust23THRUST_200600_302600_NS10device_ptrIiEEPiNS0_8identityIiEEEE10hipError_tT2_T3_mT4_P12ihipStream_tbEUlT_E_NS1_11comp_targetILNS1_3genE2ELNS1_11target_archE906ELNS1_3gpuE6ELNS1_3repE0EEENS1_30default_config_static_selectorELNS0_4arch9wavefront6targetE0EEEvT1_.kd
    .uniform_work_group_size: 1
    .uses_dynamic_stack: false
    .vgpr_count:     0
    .vgpr_spill_count: 0
    .wavefront_size: 32
    .workgroup_processor_mode: 1
  - .args:
      - .offset:         0
        .size:           40
        .value_kind:     by_value
    .group_segment_fixed_size: 0
    .kernarg_segment_align: 8
    .kernarg_segment_size: 40
    .language:       OpenCL C
    .language_version:
      - 2
      - 0
    .max_flat_workgroup_size: 1024
    .name:           _ZN7rocprim17ROCPRIM_400000_NS6detail17trampoline_kernelINS0_14default_configENS1_25transform_config_selectorIiLb0EEEZNS1_14transform_implILb0ES3_S5_N6thrust23THRUST_200600_302600_NS10device_ptrIiEEPiNS0_8identityIiEEEE10hipError_tT2_T3_mT4_P12ihipStream_tbEUlT_E_NS1_11comp_targetILNS1_3genE10ELNS1_11target_archE1201ELNS1_3gpuE5ELNS1_3repE0EEENS1_30default_config_static_selectorELNS0_4arch9wavefront6targetE0EEEvT1_
    .private_segment_fixed_size: 0
    .sgpr_count:     0
    .sgpr_spill_count: 0
    .symbol:         _ZN7rocprim17ROCPRIM_400000_NS6detail17trampoline_kernelINS0_14default_configENS1_25transform_config_selectorIiLb0EEEZNS1_14transform_implILb0ES3_S5_N6thrust23THRUST_200600_302600_NS10device_ptrIiEEPiNS0_8identityIiEEEE10hipError_tT2_T3_mT4_P12ihipStream_tbEUlT_E_NS1_11comp_targetILNS1_3genE10ELNS1_11target_archE1201ELNS1_3gpuE5ELNS1_3repE0EEENS1_30default_config_static_selectorELNS0_4arch9wavefront6targetE0EEEvT1_.kd
    .uniform_work_group_size: 1
    .uses_dynamic_stack: false
    .vgpr_count:     0
    .vgpr_spill_count: 0
    .wavefront_size: 32
    .workgroup_processor_mode: 1
  - .args:
      - .offset:         0
        .size:           40
        .value_kind:     by_value
    .group_segment_fixed_size: 0
    .kernarg_segment_align: 8
    .kernarg_segment_size: 40
    .language:       OpenCL C
    .language_version:
      - 2
      - 0
    .max_flat_workgroup_size: 512
    .name:           _ZN7rocprim17ROCPRIM_400000_NS6detail17trampoline_kernelINS0_14default_configENS1_25transform_config_selectorIiLb0EEEZNS1_14transform_implILb0ES3_S5_N6thrust23THRUST_200600_302600_NS10device_ptrIiEEPiNS0_8identityIiEEEE10hipError_tT2_T3_mT4_P12ihipStream_tbEUlT_E_NS1_11comp_targetILNS1_3genE10ELNS1_11target_archE1200ELNS1_3gpuE4ELNS1_3repE0EEENS1_30default_config_static_selectorELNS0_4arch9wavefront6targetE0EEEvT1_
    .private_segment_fixed_size: 0
    .sgpr_count:     0
    .sgpr_spill_count: 0
    .symbol:         _ZN7rocprim17ROCPRIM_400000_NS6detail17trampoline_kernelINS0_14default_configENS1_25transform_config_selectorIiLb0EEEZNS1_14transform_implILb0ES3_S5_N6thrust23THRUST_200600_302600_NS10device_ptrIiEEPiNS0_8identityIiEEEE10hipError_tT2_T3_mT4_P12ihipStream_tbEUlT_E_NS1_11comp_targetILNS1_3genE10ELNS1_11target_archE1200ELNS1_3gpuE4ELNS1_3repE0EEENS1_30default_config_static_selectorELNS0_4arch9wavefront6targetE0EEEvT1_.kd
    .uniform_work_group_size: 1
    .uses_dynamic_stack: false
    .vgpr_count:     0
    .vgpr_spill_count: 0
    .wavefront_size: 32
    .workgroup_processor_mode: 1
  - .args:
      - .offset:         0
        .size:           40
        .value_kind:     by_value
    .group_segment_fixed_size: 0
    .kernarg_segment_align: 8
    .kernarg_segment_size: 40
    .language:       OpenCL C
    .language_version:
      - 2
      - 0
    .max_flat_workgroup_size: 64
    .name:           _ZN7rocprim17ROCPRIM_400000_NS6detail17trampoline_kernelINS0_14default_configENS1_25transform_config_selectorIiLb0EEEZNS1_14transform_implILb0ES3_S5_N6thrust23THRUST_200600_302600_NS10device_ptrIiEEPiNS0_8identityIiEEEE10hipError_tT2_T3_mT4_P12ihipStream_tbEUlT_E_NS1_11comp_targetILNS1_3genE9ELNS1_11target_archE1100ELNS1_3gpuE3ELNS1_3repE0EEENS1_30default_config_static_selectorELNS0_4arch9wavefront6targetE0EEEvT1_
    .private_segment_fixed_size: 0
    .sgpr_count:     0
    .sgpr_spill_count: 0
    .symbol:         _ZN7rocprim17ROCPRIM_400000_NS6detail17trampoline_kernelINS0_14default_configENS1_25transform_config_selectorIiLb0EEEZNS1_14transform_implILb0ES3_S5_N6thrust23THRUST_200600_302600_NS10device_ptrIiEEPiNS0_8identityIiEEEE10hipError_tT2_T3_mT4_P12ihipStream_tbEUlT_E_NS1_11comp_targetILNS1_3genE9ELNS1_11target_archE1100ELNS1_3gpuE3ELNS1_3repE0EEENS1_30default_config_static_selectorELNS0_4arch9wavefront6targetE0EEEvT1_.kd
    .uniform_work_group_size: 1
    .uses_dynamic_stack: false
    .vgpr_count:     0
    .vgpr_spill_count: 0
    .wavefront_size: 32
    .workgroup_processor_mode: 1
  - .args:
      - .offset:         0
        .size:           40
        .value_kind:     by_value
      - .offset:         40
        .size:           4
        .value_kind:     hidden_block_count_x
      - .offset:         44
        .size:           4
        .value_kind:     hidden_block_count_y
      - .offset:         48
        .size:           4
        .value_kind:     hidden_block_count_z
      - .offset:         52
        .size:           2
        .value_kind:     hidden_group_size_x
      - .offset:         54
        .size:           2
        .value_kind:     hidden_group_size_y
      - .offset:         56
        .size:           2
        .value_kind:     hidden_group_size_z
      - .offset:         58
        .size:           2
        .value_kind:     hidden_remainder_x
      - .offset:         60
        .size:           2
        .value_kind:     hidden_remainder_y
      - .offset:         62
        .size:           2
        .value_kind:     hidden_remainder_z
      - .offset:         80
        .size:           8
        .value_kind:     hidden_global_offset_x
      - .offset:         88
        .size:           8
        .value_kind:     hidden_global_offset_y
      - .offset:         96
        .size:           8
        .value_kind:     hidden_global_offset_z
      - .offset:         104
        .size:           2
        .value_kind:     hidden_grid_dims
    .group_segment_fixed_size: 0
    .kernarg_segment_align: 8
    .kernarg_segment_size: 296
    .language:       OpenCL C
    .language_version:
      - 2
      - 0
    .max_flat_workgroup_size: 256
    .name:           _ZN7rocprim17ROCPRIM_400000_NS6detail17trampoline_kernelINS0_14default_configENS1_25transform_config_selectorIiLb0EEEZNS1_14transform_implILb0ES3_S5_N6thrust23THRUST_200600_302600_NS10device_ptrIiEEPiNS0_8identityIiEEEE10hipError_tT2_T3_mT4_P12ihipStream_tbEUlT_E_NS1_11comp_targetILNS1_3genE8ELNS1_11target_archE1030ELNS1_3gpuE2ELNS1_3repE0EEENS1_30default_config_static_selectorELNS0_4arch9wavefront6targetE0EEEvT1_
    .private_segment_fixed_size: 0
    .sgpr_count:     14
    .sgpr_spill_count: 0
    .symbol:         _ZN7rocprim17ROCPRIM_400000_NS6detail17trampoline_kernelINS0_14default_configENS1_25transform_config_selectorIiLb0EEEZNS1_14transform_implILb0ES3_S5_N6thrust23THRUST_200600_302600_NS10device_ptrIiEEPiNS0_8identityIiEEEE10hipError_tT2_T3_mT4_P12ihipStream_tbEUlT_E_NS1_11comp_targetILNS1_3genE8ELNS1_11target_archE1030ELNS1_3gpuE2ELNS1_3repE0EEENS1_30default_config_static_selectorELNS0_4arch9wavefront6targetE0EEEvT1_.kd
    .uniform_work_group_size: 1
    .uses_dynamic_stack: false
    .vgpr_count:     3
    .vgpr_spill_count: 0
    .wavefront_size: 32
    .workgroup_processor_mode: 1
  - .args:
      - .offset:         0
        .size:           88
        .value_kind:     by_value
    .group_segment_fixed_size: 0
    .kernarg_segment_align: 8
    .kernarg_segment_size: 88
    .language:       OpenCL C
    .language_version:
      - 2
      - 0
    .max_flat_workgroup_size: 512
    .name:           _ZN7rocprim17ROCPRIM_400000_NS6detail17trampoline_kernelINS0_14default_configENS1_35radix_sort_onesweep_config_selectorIiNS0_10empty_typeEEEZZNS1_29radix_sort_onesweep_iterationIS3_Lb0EN6thrust23THRUST_200600_302600_NS10device_ptrIiEESB_PS5_SC_jNS0_19identity_decomposerENS1_16block_id_wrapperIjLb1EEEEE10hipError_tT1_PNSt15iterator_traitsISH_E10value_typeET2_T3_PNSI_ISN_E10value_typeET4_T5_PSS_ST_PNS1_23onesweep_lookback_stateEbbT6_jjT7_P12ihipStream_tbENKUlT_T0_SH_SM_E_clISB_SB_SC_SC_EEDaS10_S11_SH_SM_EUlS10_E_NS1_11comp_targetILNS1_3genE0ELNS1_11target_archE4294967295ELNS1_3gpuE0ELNS1_3repE0EEENS1_47radix_sort_onesweep_sort_config_static_selectorELNS0_4arch9wavefront6targetE0EEEvSH_
    .private_segment_fixed_size: 0
    .sgpr_count:     0
    .sgpr_spill_count: 0
    .symbol:         _ZN7rocprim17ROCPRIM_400000_NS6detail17trampoline_kernelINS0_14default_configENS1_35radix_sort_onesweep_config_selectorIiNS0_10empty_typeEEEZZNS1_29radix_sort_onesweep_iterationIS3_Lb0EN6thrust23THRUST_200600_302600_NS10device_ptrIiEESB_PS5_SC_jNS0_19identity_decomposerENS1_16block_id_wrapperIjLb1EEEEE10hipError_tT1_PNSt15iterator_traitsISH_E10value_typeET2_T3_PNSI_ISN_E10value_typeET4_T5_PSS_ST_PNS1_23onesweep_lookback_stateEbbT6_jjT7_P12ihipStream_tbENKUlT_T0_SH_SM_E_clISB_SB_SC_SC_EEDaS10_S11_SH_SM_EUlS10_E_NS1_11comp_targetILNS1_3genE0ELNS1_11target_archE4294967295ELNS1_3gpuE0ELNS1_3repE0EEENS1_47radix_sort_onesweep_sort_config_static_selectorELNS0_4arch9wavefront6targetE0EEEvSH_.kd
    .uniform_work_group_size: 1
    .uses_dynamic_stack: false
    .vgpr_count:     0
    .vgpr_spill_count: 0
    .wavefront_size: 32
    .workgroup_processor_mode: 1
  - .args:
      - .offset:         0
        .size:           88
        .value_kind:     by_value
    .group_segment_fixed_size: 0
    .kernarg_segment_align: 8
    .kernarg_segment_size: 88
    .language:       OpenCL C
    .language_version:
      - 2
      - 0
    .max_flat_workgroup_size: 1024
    .name:           _ZN7rocprim17ROCPRIM_400000_NS6detail17trampoline_kernelINS0_14default_configENS1_35radix_sort_onesweep_config_selectorIiNS0_10empty_typeEEEZZNS1_29radix_sort_onesweep_iterationIS3_Lb0EN6thrust23THRUST_200600_302600_NS10device_ptrIiEESB_PS5_SC_jNS0_19identity_decomposerENS1_16block_id_wrapperIjLb1EEEEE10hipError_tT1_PNSt15iterator_traitsISH_E10value_typeET2_T3_PNSI_ISN_E10value_typeET4_T5_PSS_ST_PNS1_23onesweep_lookback_stateEbbT6_jjT7_P12ihipStream_tbENKUlT_T0_SH_SM_E_clISB_SB_SC_SC_EEDaS10_S11_SH_SM_EUlS10_E_NS1_11comp_targetILNS1_3genE6ELNS1_11target_archE950ELNS1_3gpuE13ELNS1_3repE0EEENS1_47radix_sort_onesweep_sort_config_static_selectorELNS0_4arch9wavefront6targetE0EEEvSH_
    .private_segment_fixed_size: 0
    .sgpr_count:     0
    .sgpr_spill_count: 0
    .symbol:         _ZN7rocprim17ROCPRIM_400000_NS6detail17trampoline_kernelINS0_14default_configENS1_35radix_sort_onesweep_config_selectorIiNS0_10empty_typeEEEZZNS1_29radix_sort_onesweep_iterationIS3_Lb0EN6thrust23THRUST_200600_302600_NS10device_ptrIiEESB_PS5_SC_jNS0_19identity_decomposerENS1_16block_id_wrapperIjLb1EEEEE10hipError_tT1_PNSt15iterator_traitsISH_E10value_typeET2_T3_PNSI_ISN_E10value_typeET4_T5_PSS_ST_PNS1_23onesweep_lookback_stateEbbT6_jjT7_P12ihipStream_tbENKUlT_T0_SH_SM_E_clISB_SB_SC_SC_EEDaS10_S11_SH_SM_EUlS10_E_NS1_11comp_targetILNS1_3genE6ELNS1_11target_archE950ELNS1_3gpuE13ELNS1_3repE0EEENS1_47radix_sort_onesweep_sort_config_static_selectorELNS0_4arch9wavefront6targetE0EEEvSH_.kd
    .uniform_work_group_size: 1
    .uses_dynamic_stack: false
    .vgpr_count:     0
    .vgpr_spill_count: 0
    .wavefront_size: 32
    .workgroup_processor_mode: 1
  - .args:
      - .offset:         0
        .size:           88
        .value_kind:     by_value
    .group_segment_fixed_size: 0
    .kernarg_segment_align: 8
    .kernarg_segment_size: 88
    .language:       OpenCL C
    .language_version:
      - 2
      - 0
    .max_flat_workgroup_size: 1024
    .name:           _ZN7rocprim17ROCPRIM_400000_NS6detail17trampoline_kernelINS0_14default_configENS1_35radix_sort_onesweep_config_selectorIiNS0_10empty_typeEEEZZNS1_29radix_sort_onesweep_iterationIS3_Lb0EN6thrust23THRUST_200600_302600_NS10device_ptrIiEESB_PS5_SC_jNS0_19identity_decomposerENS1_16block_id_wrapperIjLb1EEEEE10hipError_tT1_PNSt15iterator_traitsISH_E10value_typeET2_T3_PNSI_ISN_E10value_typeET4_T5_PSS_ST_PNS1_23onesweep_lookback_stateEbbT6_jjT7_P12ihipStream_tbENKUlT_T0_SH_SM_E_clISB_SB_SC_SC_EEDaS10_S11_SH_SM_EUlS10_E_NS1_11comp_targetILNS1_3genE5ELNS1_11target_archE942ELNS1_3gpuE9ELNS1_3repE0EEENS1_47radix_sort_onesweep_sort_config_static_selectorELNS0_4arch9wavefront6targetE0EEEvSH_
    .private_segment_fixed_size: 0
    .sgpr_count:     0
    .sgpr_spill_count: 0
    .symbol:         _ZN7rocprim17ROCPRIM_400000_NS6detail17trampoline_kernelINS0_14default_configENS1_35radix_sort_onesweep_config_selectorIiNS0_10empty_typeEEEZZNS1_29radix_sort_onesweep_iterationIS3_Lb0EN6thrust23THRUST_200600_302600_NS10device_ptrIiEESB_PS5_SC_jNS0_19identity_decomposerENS1_16block_id_wrapperIjLb1EEEEE10hipError_tT1_PNSt15iterator_traitsISH_E10value_typeET2_T3_PNSI_ISN_E10value_typeET4_T5_PSS_ST_PNS1_23onesweep_lookback_stateEbbT6_jjT7_P12ihipStream_tbENKUlT_T0_SH_SM_E_clISB_SB_SC_SC_EEDaS10_S11_SH_SM_EUlS10_E_NS1_11comp_targetILNS1_3genE5ELNS1_11target_archE942ELNS1_3gpuE9ELNS1_3repE0EEENS1_47radix_sort_onesweep_sort_config_static_selectorELNS0_4arch9wavefront6targetE0EEEvSH_.kd
    .uniform_work_group_size: 1
    .uses_dynamic_stack: false
    .vgpr_count:     0
    .vgpr_spill_count: 0
    .wavefront_size: 32
    .workgroup_processor_mode: 1
  - .args:
      - .offset:         0
        .size:           88
        .value_kind:     by_value
    .group_segment_fixed_size: 0
    .kernarg_segment_align: 8
    .kernarg_segment_size: 88
    .language:       OpenCL C
    .language_version:
      - 2
      - 0
    .max_flat_workgroup_size: 1024
    .name:           _ZN7rocprim17ROCPRIM_400000_NS6detail17trampoline_kernelINS0_14default_configENS1_35radix_sort_onesweep_config_selectorIiNS0_10empty_typeEEEZZNS1_29radix_sort_onesweep_iterationIS3_Lb0EN6thrust23THRUST_200600_302600_NS10device_ptrIiEESB_PS5_SC_jNS0_19identity_decomposerENS1_16block_id_wrapperIjLb1EEEEE10hipError_tT1_PNSt15iterator_traitsISH_E10value_typeET2_T3_PNSI_ISN_E10value_typeET4_T5_PSS_ST_PNS1_23onesweep_lookback_stateEbbT6_jjT7_P12ihipStream_tbENKUlT_T0_SH_SM_E_clISB_SB_SC_SC_EEDaS10_S11_SH_SM_EUlS10_E_NS1_11comp_targetILNS1_3genE2ELNS1_11target_archE906ELNS1_3gpuE6ELNS1_3repE0EEENS1_47radix_sort_onesweep_sort_config_static_selectorELNS0_4arch9wavefront6targetE0EEEvSH_
    .private_segment_fixed_size: 0
    .sgpr_count:     0
    .sgpr_spill_count: 0
    .symbol:         _ZN7rocprim17ROCPRIM_400000_NS6detail17trampoline_kernelINS0_14default_configENS1_35radix_sort_onesweep_config_selectorIiNS0_10empty_typeEEEZZNS1_29radix_sort_onesweep_iterationIS3_Lb0EN6thrust23THRUST_200600_302600_NS10device_ptrIiEESB_PS5_SC_jNS0_19identity_decomposerENS1_16block_id_wrapperIjLb1EEEEE10hipError_tT1_PNSt15iterator_traitsISH_E10value_typeET2_T3_PNSI_ISN_E10value_typeET4_T5_PSS_ST_PNS1_23onesweep_lookback_stateEbbT6_jjT7_P12ihipStream_tbENKUlT_T0_SH_SM_E_clISB_SB_SC_SC_EEDaS10_S11_SH_SM_EUlS10_E_NS1_11comp_targetILNS1_3genE2ELNS1_11target_archE906ELNS1_3gpuE6ELNS1_3repE0EEENS1_47radix_sort_onesweep_sort_config_static_selectorELNS0_4arch9wavefront6targetE0EEEvSH_.kd
    .uniform_work_group_size: 1
    .uses_dynamic_stack: false
    .vgpr_count:     0
    .vgpr_spill_count: 0
    .wavefront_size: 32
    .workgroup_processor_mode: 1
  - .args:
      - .offset:         0
        .size:           88
        .value_kind:     by_value
    .group_segment_fixed_size: 0
    .kernarg_segment_align: 8
    .kernarg_segment_size: 88
    .language:       OpenCL C
    .language_version:
      - 2
      - 0
    .max_flat_workgroup_size: 1024
    .name:           _ZN7rocprim17ROCPRIM_400000_NS6detail17trampoline_kernelINS0_14default_configENS1_35radix_sort_onesweep_config_selectorIiNS0_10empty_typeEEEZZNS1_29radix_sort_onesweep_iterationIS3_Lb0EN6thrust23THRUST_200600_302600_NS10device_ptrIiEESB_PS5_SC_jNS0_19identity_decomposerENS1_16block_id_wrapperIjLb1EEEEE10hipError_tT1_PNSt15iterator_traitsISH_E10value_typeET2_T3_PNSI_ISN_E10value_typeET4_T5_PSS_ST_PNS1_23onesweep_lookback_stateEbbT6_jjT7_P12ihipStream_tbENKUlT_T0_SH_SM_E_clISB_SB_SC_SC_EEDaS10_S11_SH_SM_EUlS10_E_NS1_11comp_targetILNS1_3genE4ELNS1_11target_archE910ELNS1_3gpuE8ELNS1_3repE0EEENS1_47radix_sort_onesweep_sort_config_static_selectorELNS0_4arch9wavefront6targetE0EEEvSH_
    .private_segment_fixed_size: 0
    .sgpr_count:     0
    .sgpr_spill_count: 0
    .symbol:         _ZN7rocprim17ROCPRIM_400000_NS6detail17trampoline_kernelINS0_14default_configENS1_35radix_sort_onesweep_config_selectorIiNS0_10empty_typeEEEZZNS1_29radix_sort_onesweep_iterationIS3_Lb0EN6thrust23THRUST_200600_302600_NS10device_ptrIiEESB_PS5_SC_jNS0_19identity_decomposerENS1_16block_id_wrapperIjLb1EEEEE10hipError_tT1_PNSt15iterator_traitsISH_E10value_typeET2_T3_PNSI_ISN_E10value_typeET4_T5_PSS_ST_PNS1_23onesweep_lookback_stateEbbT6_jjT7_P12ihipStream_tbENKUlT_T0_SH_SM_E_clISB_SB_SC_SC_EEDaS10_S11_SH_SM_EUlS10_E_NS1_11comp_targetILNS1_3genE4ELNS1_11target_archE910ELNS1_3gpuE8ELNS1_3repE0EEENS1_47radix_sort_onesweep_sort_config_static_selectorELNS0_4arch9wavefront6targetE0EEEvSH_.kd
    .uniform_work_group_size: 1
    .uses_dynamic_stack: false
    .vgpr_count:     0
    .vgpr_spill_count: 0
    .wavefront_size: 32
    .workgroup_processor_mode: 1
  - .args:
      - .offset:         0
        .size:           88
        .value_kind:     by_value
    .group_segment_fixed_size: 0
    .kernarg_segment_align: 8
    .kernarg_segment_size: 88
    .language:       OpenCL C
    .language_version:
      - 2
      - 0
    .max_flat_workgroup_size: 512
    .name:           _ZN7rocprim17ROCPRIM_400000_NS6detail17trampoline_kernelINS0_14default_configENS1_35radix_sort_onesweep_config_selectorIiNS0_10empty_typeEEEZZNS1_29radix_sort_onesweep_iterationIS3_Lb0EN6thrust23THRUST_200600_302600_NS10device_ptrIiEESB_PS5_SC_jNS0_19identity_decomposerENS1_16block_id_wrapperIjLb1EEEEE10hipError_tT1_PNSt15iterator_traitsISH_E10value_typeET2_T3_PNSI_ISN_E10value_typeET4_T5_PSS_ST_PNS1_23onesweep_lookback_stateEbbT6_jjT7_P12ihipStream_tbENKUlT_T0_SH_SM_E_clISB_SB_SC_SC_EEDaS10_S11_SH_SM_EUlS10_E_NS1_11comp_targetILNS1_3genE3ELNS1_11target_archE908ELNS1_3gpuE7ELNS1_3repE0EEENS1_47radix_sort_onesweep_sort_config_static_selectorELNS0_4arch9wavefront6targetE0EEEvSH_
    .private_segment_fixed_size: 0
    .sgpr_count:     0
    .sgpr_spill_count: 0
    .symbol:         _ZN7rocprim17ROCPRIM_400000_NS6detail17trampoline_kernelINS0_14default_configENS1_35radix_sort_onesweep_config_selectorIiNS0_10empty_typeEEEZZNS1_29radix_sort_onesweep_iterationIS3_Lb0EN6thrust23THRUST_200600_302600_NS10device_ptrIiEESB_PS5_SC_jNS0_19identity_decomposerENS1_16block_id_wrapperIjLb1EEEEE10hipError_tT1_PNSt15iterator_traitsISH_E10value_typeET2_T3_PNSI_ISN_E10value_typeET4_T5_PSS_ST_PNS1_23onesweep_lookback_stateEbbT6_jjT7_P12ihipStream_tbENKUlT_T0_SH_SM_E_clISB_SB_SC_SC_EEDaS10_S11_SH_SM_EUlS10_E_NS1_11comp_targetILNS1_3genE3ELNS1_11target_archE908ELNS1_3gpuE7ELNS1_3repE0EEENS1_47radix_sort_onesweep_sort_config_static_selectorELNS0_4arch9wavefront6targetE0EEEvSH_.kd
    .uniform_work_group_size: 1
    .uses_dynamic_stack: false
    .vgpr_count:     0
    .vgpr_spill_count: 0
    .wavefront_size: 32
    .workgroup_processor_mode: 1
  - .args:
      - .offset:         0
        .size:           88
        .value_kind:     by_value
    .group_segment_fixed_size: 0
    .kernarg_segment_align: 8
    .kernarg_segment_size: 88
    .language:       OpenCL C
    .language_version:
      - 2
      - 0
    .max_flat_workgroup_size: 1024
    .name:           _ZN7rocprim17ROCPRIM_400000_NS6detail17trampoline_kernelINS0_14default_configENS1_35radix_sort_onesweep_config_selectorIiNS0_10empty_typeEEEZZNS1_29radix_sort_onesweep_iterationIS3_Lb0EN6thrust23THRUST_200600_302600_NS10device_ptrIiEESB_PS5_SC_jNS0_19identity_decomposerENS1_16block_id_wrapperIjLb1EEEEE10hipError_tT1_PNSt15iterator_traitsISH_E10value_typeET2_T3_PNSI_ISN_E10value_typeET4_T5_PSS_ST_PNS1_23onesweep_lookback_stateEbbT6_jjT7_P12ihipStream_tbENKUlT_T0_SH_SM_E_clISB_SB_SC_SC_EEDaS10_S11_SH_SM_EUlS10_E_NS1_11comp_targetILNS1_3genE10ELNS1_11target_archE1201ELNS1_3gpuE5ELNS1_3repE0EEENS1_47radix_sort_onesweep_sort_config_static_selectorELNS0_4arch9wavefront6targetE0EEEvSH_
    .private_segment_fixed_size: 0
    .sgpr_count:     0
    .sgpr_spill_count: 0
    .symbol:         _ZN7rocprim17ROCPRIM_400000_NS6detail17trampoline_kernelINS0_14default_configENS1_35radix_sort_onesweep_config_selectorIiNS0_10empty_typeEEEZZNS1_29radix_sort_onesweep_iterationIS3_Lb0EN6thrust23THRUST_200600_302600_NS10device_ptrIiEESB_PS5_SC_jNS0_19identity_decomposerENS1_16block_id_wrapperIjLb1EEEEE10hipError_tT1_PNSt15iterator_traitsISH_E10value_typeET2_T3_PNSI_ISN_E10value_typeET4_T5_PSS_ST_PNS1_23onesweep_lookback_stateEbbT6_jjT7_P12ihipStream_tbENKUlT_T0_SH_SM_E_clISB_SB_SC_SC_EEDaS10_S11_SH_SM_EUlS10_E_NS1_11comp_targetILNS1_3genE10ELNS1_11target_archE1201ELNS1_3gpuE5ELNS1_3repE0EEENS1_47radix_sort_onesweep_sort_config_static_selectorELNS0_4arch9wavefront6targetE0EEEvSH_.kd
    .uniform_work_group_size: 1
    .uses_dynamic_stack: false
    .vgpr_count:     0
    .vgpr_spill_count: 0
    .wavefront_size: 32
    .workgroup_processor_mode: 1
  - .args:
      - .offset:         0
        .size:           88
        .value_kind:     by_value
    .group_segment_fixed_size: 0
    .kernarg_segment_align: 8
    .kernarg_segment_size: 88
    .language:       OpenCL C
    .language_version:
      - 2
      - 0
    .max_flat_workgroup_size: 1024
    .name:           _ZN7rocprim17ROCPRIM_400000_NS6detail17trampoline_kernelINS0_14default_configENS1_35radix_sort_onesweep_config_selectorIiNS0_10empty_typeEEEZZNS1_29radix_sort_onesweep_iterationIS3_Lb0EN6thrust23THRUST_200600_302600_NS10device_ptrIiEESB_PS5_SC_jNS0_19identity_decomposerENS1_16block_id_wrapperIjLb1EEEEE10hipError_tT1_PNSt15iterator_traitsISH_E10value_typeET2_T3_PNSI_ISN_E10value_typeET4_T5_PSS_ST_PNS1_23onesweep_lookback_stateEbbT6_jjT7_P12ihipStream_tbENKUlT_T0_SH_SM_E_clISB_SB_SC_SC_EEDaS10_S11_SH_SM_EUlS10_E_NS1_11comp_targetILNS1_3genE9ELNS1_11target_archE1100ELNS1_3gpuE3ELNS1_3repE0EEENS1_47radix_sort_onesweep_sort_config_static_selectorELNS0_4arch9wavefront6targetE0EEEvSH_
    .private_segment_fixed_size: 0
    .sgpr_count:     0
    .sgpr_spill_count: 0
    .symbol:         _ZN7rocprim17ROCPRIM_400000_NS6detail17trampoline_kernelINS0_14default_configENS1_35radix_sort_onesweep_config_selectorIiNS0_10empty_typeEEEZZNS1_29radix_sort_onesweep_iterationIS3_Lb0EN6thrust23THRUST_200600_302600_NS10device_ptrIiEESB_PS5_SC_jNS0_19identity_decomposerENS1_16block_id_wrapperIjLb1EEEEE10hipError_tT1_PNSt15iterator_traitsISH_E10value_typeET2_T3_PNSI_ISN_E10value_typeET4_T5_PSS_ST_PNS1_23onesweep_lookback_stateEbbT6_jjT7_P12ihipStream_tbENKUlT_T0_SH_SM_E_clISB_SB_SC_SC_EEDaS10_S11_SH_SM_EUlS10_E_NS1_11comp_targetILNS1_3genE9ELNS1_11target_archE1100ELNS1_3gpuE3ELNS1_3repE0EEENS1_47radix_sort_onesweep_sort_config_static_selectorELNS0_4arch9wavefront6targetE0EEEvSH_.kd
    .uniform_work_group_size: 1
    .uses_dynamic_stack: false
    .vgpr_count:     0
    .vgpr_spill_count: 0
    .wavefront_size: 32
    .workgroup_processor_mode: 1
  - .args:
      - .offset:         0
        .size:           88
        .value_kind:     by_value
      - .offset:         88
        .size:           4
        .value_kind:     hidden_block_count_x
      - .offset:         92
        .size:           4
        .value_kind:     hidden_block_count_y
      - .offset:         96
        .size:           4
        .value_kind:     hidden_block_count_z
      - .offset:         100
        .size:           2
        .value_kind:     hidden_group_size_x
      - .offset:         102
        .size:           2
        .value_kind:     hidden_group_size_y
      - .offset:         104
        .size:           2
        .value_kind:     hidden_group_size_z
      - .offset:         106
        .size:           2
        .value_kind:     hidden_remainder_x
      - .offset:         108
        .size:           2
        .value_kind:     hidden_remainder_y
      - .offset:         110
        .size:           2
        .value_kind:     hidden_remainder_z
      - .offset:         128
        .size:           8
        .value_kind:     hidden_global_offset_x
      - .offset:         136
        .size:           8
        .value_kind:     hidden_global_offset_y
      - .offset:         144
        .size:           8
        .value_kind:     hidden_global_offset_z
      - .offset:         152
        .size:           2
        .value_kind:     hidden_grid_dims
    .group_segment_fixed_size: 37000
    .kernarg_segment_align: 8
    .kernarg_segment_size: 344
    .language:       OpenCL C
    .language_version:
      - 2
      - 0
    .max_flat_workgroup_size: 1024
    .name:           _ZN7rocprim17ROCPRIM_400000_NS6detail17trampoline_kernelINS0_14default_configENS1_35radix_sort_onesweep_config_selectorIiNS0_10empty_typeEEEZZNS1_29radix_sort_onesweep_iterationIS3_Lb0EN6thrust23THRUST_200600_302600_NS10device_ptrIiEESB_PS5_SC_jNS0_19identity_decomposerENS1_16block_id_wrapperIjLb1EEEEE10hipError_tT1_PNSt15iterator_traitsISH_E10value_typeET2_T3_PNSI_ISN_E10value_typeET4_T5_PSS_ST_PNS1_23onesweep_lookback_stateEbbT6_jjT7_P12ihipStream_tbENKUlT_T0_SH_SM_E_clISB_SB_SC_SC_EEDaS10_S11_SH_SM_EUlS10_E_NS1_11comp_targetILNS1_3genE8ELNS1_11target_archE1030ELNS1_3gpuE2ELNS1_3repE0EEENS1_47radix_sort_onesweep_sort_config_static_selectorELNS0_4arch9wavefront6targetE0EEEvSH_
    .private_segment_fixed_size: 0
    .sgpr_count:     29
    .sgpr_spill_count: 0
    .symbol:         _ZN7rocprim17ROCPRIM_400000_NS6detail17trampoline_kernelINS0_14default_configENS1_35radix_sort_onesweep_config_selectorIiNS0_10empty_typeEEEZZNS1_29radix_sort_onesweep_iterationIS3_Lb0EN6thrust23THRUST_200600_302600_NS10device_ptrIiEESB_PS5_SC_jNS0_19identity_decomposerENS1_16block_id_wrapperIjLb1EEEEE10hipError_tT1_PNSt15iterator_traitsISH_E10value_typeET2_T3_PNSI_ISN_E10value_typeET4_T5_PSS_ST_PNS1_23onesweep_lookback_stateEbbT6_jjT7_P12ihipStream_tbENKUlT_T0_SH_SM_E_clISB_SB_SC_SC_EEDaS10_S11_SH_SM_EUlS10_E_NS1_11comp_targetILNS1_3genE8ELNS1_11target_archE1030ELNS1_3gpuE2ELNS1_3repE0EEENS1_47radix_sort_onesweep_sort_config_static_selectorELNS0_4arch9wavefront6targetE0EEEvSH_.kd
    .uniform_work_group_size: 1
    .uses_dynamic_stack: false
    .vgpr_count:     34
    .vgpr_spill_count: 0
    .wavefront_size: 32
    .workgroup_processor_mode: 1
  - .args:
      - .offset:         0
        .size:           88
        .value_kind:     by_value
    .group_segment_fixed_size: 0
    .kernarg_segment_align: 8
    .kernarg_segment_size: 88
    .language:       OpenCL C
    .language_version:
      - 2
      - 0
    .max_flat_workgroup_size: 512
    .name:           _ZN7rocprim17ROCPRIM_400000_NS6detail17trampoline_kernelINS0_14default_configENS1_35radix_sort_onesweep_config_selectorIiNS0_10empty_typeEEEZZNS1_29radix_sort_onesweep_iterationIS3_Lb0EN6thrust23THRUST_200600_302600_NS10device_ptrIiEESB_PS5_SC_jNS0_19identity_decomposerENS1_16block_id_wrapperIjLb1EEEEE10hipError_tT1_PNSt15iterator_traitsISH_E10value_typeET2_T3_PNSI_ISN_E10value_typeET4_T5_PSS_ST_PNS1_23onesweep_lookback_stateEbbT6_jjT7_P12ihipStream_tbENKUlT_T0_SH_SM_E_clISB_PiSC_SC_EEDaS10_S11_SH_SM_EUlS10_E_NS1_11comp_targetILNS1_3genE0ELNS1_11target_archE4294967295ELNS1_3gpuE0ELNS1_3repE0EEENS1_47radix_sort_onesweep_sort_config_static_selectorELNS0_4arch9wavefront6targetE0EEEvSH_
    .private_segment_fixed_size: 0
    .sgpr_count:     0
    .sgpr_spill_count: 0
    .symbol:         _ZN7rocprim17ROCPRIM_400000_NS6detail17trampoline_kernelINS0_14default_configENS1_35radix_sort_onesweep_config_selectorIiNS0_10empty_typeEEEZZNS1_29radix_sort_onesweep_iterationIS3_Lb0EN6thrust23THRUST_200600_302600_NS10device_ptrIiEESB_PS5_SC_jNS0_19identity_decomposerENS1_16block_id_wrapperIjLb1EEEEE10hipError_tT1_PNSt15iterator_traitsISH_E10value_typeET2_T3_PNSI_ISN_E10value_typeET4_T5_PSS_ST_PNS1_23onesweep_lookback_stateEbbT6_jjT7_P12ihipStream_tbENKUlT_T0_SH_SM_E_clISB_PiSC_SC_EEDaS10_S11_SH_SM_EUlS10_E_NS1_11comp_targetILNS1_3genE0ELNS1_11target_archE4294967295ELNS1_3gpuE0ELNS1_3repE0EEENS1_47radix_sort_onesweep_sort_config_static_selectorELNS0_4arch9wavefront6targetE0EEEvSH_.kd
    .uniform_work_group_size: 1
    .uses_dynamic_stack: false
    .vgpr_count:     0
    .vgpr_spill_count: 0
    .wavefront_size: 32
    .workgroup_processor_mode: 1
  - .args:
      - .offset:         0
        .size:           88
        .value_kind:     by_value
    .group_segment_fixed_size: 0
    .kernarg_segment_align: 8
    .kernarg_segment_size: 88
    .language:       OpenCL C
    .language_version:
      - 2
      - 0
    .max_flat_workgroup_size: 1024
    .name:           _ZN7rocprim17ROCPRIM_400000_NS6detail17trampoline_kernelINS0_14default_configENS1_35radix_sort_onesweep_config_selectorIiNS0_10empty_typeEEEZZNS1_29radix_sort_onesweep_iterationIS3_Lb0EN6thrust23THRUST_200600_302600_NS10device_ptrIiEESB_PS5_SC_jNS0_19identity_decomposerENS1_16block_id_wrapperIjLb1EEEEE10hipError_tT1_PNSt15iterator_traitsISH_E10value_typeET2_T3_PNSI_ISN_E10value_typeET4_T5_PSS_ST_PNS1_23onesweep_lookback_stateEbbT6_jjT7_P12ihipStream_tbENKUlT_T0_SH_SM_E_clISB_PiSC_SC_EEDaS10_S11_SH_SM_EUlS10_E_NS1_11comp_targetILNS1_3genE6ELNS1_11target_archE950ELNS1_3gpuE13ELNS1_3repE0EEENS1_47radix_sort_onesweep_sort_config_static_selectorELNS0_4arch9wavefront6targetE0EEEvSH_
    .private_segment_fixed_size: 0
    .sgpr_count:     0
    .sgpr_spill_count: 0
    .symbol:         _ZN7rocprim17ROCPRIM_400000_NS6detail17trampoline_kernelINS0_14default_configENS1_35radix_sort_onesweep_config_selectorIiNS0_10empty_typeEEEZZNS1_29radix_sort_onesweep_iterationIS3_Lb0EN6thrust23THRUST_200600_302600_NS10device_ptrIiEESB_PS5_SC_jNS0_19identity_decomposerENS1_16block_id_wrapperIjLb1EEEEE10hipError_tT1_PNSt15iterator_traitsISH_E10value_typeET2_T3_PNSI_ISN_E10value_typeET4_T5_PSS_ST_PNS1_23onesweep_lookback_stateEbbT6_jjT7_P12ihipStream_tbENKUlT_T0_SH_SM_E_clISB_PiSC_SC_EEDaS10_S11_SH_SM_EUlS10_E_NS1_11comp_targetILNS1_3genE6ELNS1_11target_archE950ELNS1_3gpuE13ELNS1_3repE0EEENS1_47radix_sort_onesweep_sort_config_static_selectorELNS0_4arch9wavefront6targetE0EEEvSH_.kd
    .uniform_work_group_size: 1
    .uses_dynamic_stack: false
    .vgpr_count:     0
    .vgpr_spill_count: 0
    .wavefront_size: 32
    .workgroup_processor_mode: 1
  - .args:
      - .offset:         0
        .size:           88
        .value_kind:     by_value
    .group_segment_fixed_size: 0
    .kernarg_segment_align: 8
    .kernarg_segment_size: 88
    .language:       OpenCL C
    .language_version:
      - 2
      - 0
    .max_flat_workgroup_size: 1024
    .name:           _ZN7rocprim17ROCPRIM_400000_NS6detail17trampoline_kernelINS0_14default_configENS1_35radix_sort_onesweep_config_selectorIiNS0_10empty_typeEEEZZNS1_29radix_sort_onesweep_iterationIS3_Lb0EN6thrust23THRUST_200600_302600_NS10device_ptrIiEESB_PS5_SC_jNS0_19identity_decomposerENS1_16block_id_wrapperIjLb1EEEEE10hipError_tT1_PNSt15iterator_traitsISH_E10value_typeET2_T3_PNSI_ISN_E10value_typeET4_T5_PSS_ST_PNS1_23onesweep_lookback_stateEbbT6_jjT7_P12ihipStream_tbENKUlT_T0_SH_SM_E_clISB_PiSC_SC_EEDaS10_S11_SH_SM_EUlS10_E_NS1_11comp_targetILNS1_3genE5ELNS1_11target_archE942ELNS1_3gpuE9ELNS1_3repE0EEENS1_47radix_sort_onesweep_sort_config_static_selectorELNS0_4arch9wavefront6targetE0EEEvSH_
    .private_segment_fixed_size: 0
    .sgpr_count:     0
    .sgpr_spill_count: 0
    .symbol:         _ZN7rocprim17ROCPRIM_400000_NS6detail17trampoline_kernelINS0_14default_configENS1_35radix_sort_onesweep_config_selectorIiNS0_10empty_typeEEEZZNS1_29radix_sort_onesweep_iterationIS3_Lb0EN6thrust23THRUST_200600_302600_NS10device_ptrIiEESB_PS5_SC_jNS0_19identity_decomposerENS1_16block_id_wrapperIjLb1EEEEE10hipError_tT1_PNSt15iterator_traitsISH_E10value_typeET2_T3_PNSI_ISN_E10value_typeET4_T5_PSS_ST_PNS1_23onesweep_lookback_stateEbbT6_jjT7_P12ihipStream_tbENKUlT_T0_SH_SM_E_clISB_PiSC_SC_EEDaS10_S11_SH_SM_EUlS10_E_NS1_11comp_targetILNS1_3genE5ELNS1_11target_archE942ELNS1_3gpuE9ELNS1_3repE0EEENS1_47radix_sort_onesweep_sort_config_static_selectorELNS0_4arch9wavefront6targetE0EEEvSH_.kd
    .uniform_work_group_size: 1
    .uses_dynamic_stack: false
    .vgpr_count:     0
    .vgpr_spill_count: 0
    .wavefront_size: 32
    .workgroup_processor_mode: 1
  - .args:
      - .offset:         0
        .size:           88
        .value_kind:     by_value
    .group_segment_fixed_size: 0
    .kernarg_segment_align: 8
    .kernarg_segment_size: 88
    .language:       OpenCL C
    .language_version:
      - 2
      - 0
    .max_flat_workgroup_size: 1024
    .name:           _ZN7rocprim17ROCPRIM_400000_NS6detail17trampoline_kernelINS0_14default_configENS1_35radix_sort_onesweep_config_selectorIiNS0_10empty_typeEEEZZNS1_29radix_sort_onesweep_iterationIS3_Lb0EN6thrust23THRUST_200600_302600_NS10device_ptrIiEESB_PS5_SC_jNS0_19identity_decomposerENS1_16block_id_wrapperIjLb1EEEEE10hipError_tT1_PNSt15iterator_traitsISH_E10value_typeET2_T3_PNSI_ISN_E10value_typeET4_T5_PSS_ST_PNS1_23onesweep_lookback_stateEbbT6_jjT7_P12ihipStream_tbENKUlT_T0_SH_SM_E_clISB_PiSC_SC_EEDaS10_S11_SH_SM_EUlS10_E_NS1_11comp_targetILNS1_3genE2ELNS1_11target_archE906ELNS1_3gpuE6ELNS1_3repE0EEENS1_47radix_sort_onesweep_sort_config_static_selectorELNS0_4arch9wavefront6targetE0EEEvSH_
    .private_segment_fixed_size: 0
    .sgpr_count:     0
    .sgpr_spill_count: 0
    .symbol:         _ZN7rocprim17ROCPRIM_400000_NS6detail17trampoline_kernelINS0_14default_configENS1_35radix_sort_onesweep_config_selectorIiNS0_10empty_typeEEEZZNS1_29radix_sort_onesweep_iterationIS3_Lb0EN6thrust23THRUST_200600_302600_NS10device_ptrIiEESB_PS5_SC_jNS0_19identity_decomposerENS1_16block_id_wrapperIjLb1EEEEE10hipError_tT1_PNSt15iterator_traitsISH_E10value_typeET2_T3_PNSI_ISN_E10value_typeET4_T5_PSS_ST_PNS1_23onesweep_lookback_stateEbbT6_jjT7_P12ihipStream_tbENKUlT_T0_SH_SM_E_clISB_PiSC_SC_EEDaS10_S11_SH_SM_EUlS10_E_NS1_11comp_targetILNS1_3genE2ELNS1_11target_archE906ELNS1_3gpuE6ELNS1_3repE0EEENS1_47radix_sort_onesweep_sort_config_static_selectorELNS0_4arch9wavefront6targetE0EEEvSH_.kd
    .uniform_work_group_size: 1
    .uses_dynamic_stack: false
    .vgpr_count:     0
    .vgpr_spill_count: 0
    .wavefront_size: 32
    .workgroup_processor_mode: 1
  - .args:
      - .offset:         0
        .size:           88
        .value_kind:     by_value
    .group_segment_fixed_size: 0
    .kernarg_segment_align: 8
    .kernarg_segment_size: 88
    .language:       OpenCL C
    .language_version:
      - 2
      - 0
    .max_flat_workgroup_size: 1024
    .name:           _ZN7rocprim17ROCPRIM_400000_NS6detail17trampoline_kernelINS0_14default_configENS1_35radix_sort_onesweep_config_selectorIiNS0_10empty_typeEEEZZNS1_29radix_sort_onesweep_iterationIS3_Lb0EN6thrust23THRUST_200600_302600_NS10device_ptrIiEESB_PS5_SC_jNS0_19identity_decomposerENS1_16block_id_wrapperIjLb1EEEEE10hipError_tT1_PNSt15iterator_traitsISH_E10value_typeET2_T3_PNSI_ISN_E10value_typeET4_T5_PSS_ST_PNS1_23onesweep_lookback_stateEbbT6_jjT7_P12ihipStream_tbENKUlT_T0_SH_SM_E_clISB_PiSC_SC_EEDaS10_S11_SH_SM_EUlS10_E_NS1_11comp_targetILNS1_3genE4ELNS1_11target_archE910ELNS1_3gpuE8ELNS1_3repE0EEENS1_47radix_sort_onesweep_sort_config_static_selectorELNS0_4arch9wavefront6targetE0EEEvSH_
    .private_segment_fixed_size: 0
    .sgpr_count:     0
    .sgpr_spill_count: 0
    .symbol:         _ZN7rocprim17ROCPRIM_400000_NS6detail17trampoline_kernelINS0_14default_configENS1_35radix_sort_onesweep_config_selectorIiNS0_10empty_typeEEEZZNS1_29radix_sort_onesweep_iterationIS3_Lb0EN6thrust23THRUST_200600_302600_NS10device_ptrIiEESB_PS5_SC_jNS0_19identity_decomposerENS1_16block_id_wrapperIjLb1EEEEE10hipError_tT1_PNSt15iterator_traitsISH_E10value_typeET2_T3_PNSI_ISN_E10value_typeET4_T5_PSS_ST_PNS1_23onesweep_lookback_stateEbbT6_jjT7_P12ihipStream_tbENKUlT_T0_SH_SM_E_clISB_PiSC_SC_EEDaS10_S11_SH_SM_EUlS10_E_NS1_11comp_targetILNS1_3genE4ELNS1_11target_archE910ELNS1_3gpuE8ELNS1_3repE0EEENS1_47radix_sort_onesweep_sort_config_static_selectorELNS0_4arch9wavefront6targetE0EEEvSH_.kd
    .uniform_work_group_size: 1
    .uses_dynamic_stack: false
    .vgpr_count:     0
    .vgpr_spill_count: 0
    .wavefront_size: 32
    .workgroup_processor_mode: 1
  - .args:
      - .offset:         0
        .size:           88
        .value_kind:     by_value
    .group_segment_fixed_size: 0
    .kernarg_segment_align: 8
    .kernarg_segment_size: 88
    .language:       OpenCL C
    .language_version:
      - 2
      - 0
    .max_flat_workgroup_size: 512
    .name:           _ZN7rocprim17ROCPRIM_400000_NS6detail17trampoline_kernelINS0_14default_configENS1_35radix_sort_onesweep_config_selectorIiNS0_10empty_typeEEEZZNS1_29radix_sort_onesweep_iterationIS3_Lb0EN6thrust23THRUST_200600_302600_NS10device_ptrIiEESB_PS5_SC_jNS0_19identity_decomposerENS1_16block_id_wrapperIjLb1EEEEE10hipError_tT1_PNSt15iterator_traitsISH_E10value_typeET2_T3_PNSI_ISN_E10value_typeET4_T5_PSS_ST_PNS1_23onesweep_lookback_stateEbbT6_jjT7_P12ihipStream_tbENKUlT_T0_SH_SM_E_clISB_PiSC_SC_EEDaS10_S11_SH_SM_EUlS10_E_NS1_11comp_targetILNS1_3genE3ELNS1_11target_archE908ELNS1_3gpuE7ELNS1_3repE0EEENS1_47radix_sort_onesweep_sort_config_static_selectorELNS0_4arch9wavefront6targetE0EEEvSH_
    .private_segment_fixed_size: 0
    .sgpr_count:     0
    .sgpr_spill_count: 0
    .symbol:         _ZN7rocprim17ROCPRIM_400000_NS6detail17trampoline_kernelINS0_14default_configENS1_35radix_sort_onesweep_config_selectorIiNS0_10empty_typeEEEZZNS1_29radix_sort_onesweep_iterationIS3_Lb0EN6thrust23THRUST_200600_302600_NS10device_ptrIiEESB_PS5_SC_jNS0_19identity_decomposerENS1_16block_id_wrapperIjLb1EEEEE10hipError_tT1_PNSt15iterator_traitsISH_E10value_typeET2_T3_PNSI_ISN_E10value_typeET4_T5_PSS_ST_PNS1_23onesweep_lookback_stateEbbT6_jjT7_P12ihipStream_tbENKUlT_T0_SH_SM_E_clISB_PiSC_SC_EEDaS10_S11_SH_SM_EUlS10_E_NS1_11comp_targetILNS1_3genE3ELNS1_11target_archE908ELNS1_3gpuE7ELNS1_3repE0EEENS1_47radix_sort_onesweep_sort_config_static_selectorELNS0_4arch9wavefront6targetE0EEEvSH_.kd
    .uniform_work_group_size: 1
    .uses_dynamic_stack: false
    .vgpr_count:     0
    .vgpr_spill_count: 0
    .wavefront_size: 32
    .workgroup_processor_mode: 1
  - .args:
      - .offset:         0
        .size:           88
        .value_kind:     by_value
    .group_segment_fixed_size: 0
    .kernarg_segment_align: 8
    .kernarg_segment_size: 88
    .language:       OpenCL C
    .language_version:
      - 2
      - 0
    .max_flat_workgroup_size: 1024
    .name:           _ZN7rocprim17ROCPRIM_400000_NS6detail17trampoline_kernelINS0_14default_configENS1_35radix_sort_onesweep_config_selectorIiNS0_10empty_typeEEEZZNS1_29radix_sort_onesweep_iterationIS3_Lb0EN6thrust23THRUST_200600_302600_NS10device_ptrIiEESB_PS5_SC_jNS0_19identity_decomposerENS1_16block_id_wrapperIjLb1EEEEE10hipError_tT1_PNSt15iterator_traitsISH_E10value_typeET2_T3_PNSI_ISN_E10value_typeET4_T5_PSS_ST_PNS1_23onesweep_lookback_stateEbbT6_jjT7_P12ihipStream_tbENKUlT_T0_SH_SM_E_clISB_PiSC_SC_EEDaS10_S11_SH_SM_EUlS10_E_NS1_11comp_targetILNS1_3genE10ELNS1_11target_archE1201ELNS1_3gpuE5ELNS1_3repE0EEENS1_47radix_sort_onesweep_sort_config_static_selectorELNS0_4arch9wavefront6targetE0EEEvSH_
    .private_segment_fixed_size: 0
    .sgpr_count:     0
    .sgpr_spill_count: 0
    .symbol:         _ZN7rocprim17ROCPRIM_400000_NS6detail17trampoline_kernelINS0_14default_configENS1_35radix_sort_onesweep_config_selectorIiNS0_10empty_typeEEEZZNS1_29radix_sort_onesweep_iterationIS3_Lb0EN6thrust23THRUST_200600_302600_NS10device_ptrIiEESB_PS5_SC_jNS0_19identity_decomposerENS1_16block_id_wrapperIjLb1EEEEE10hipError_tT1_PNSt15iterator_traitsISH_E10value_typeET2_T3_PNSI_ISN_E10value_typeET4_T5_PSS_ST_PNS1_23onesweep_lookback_stateEbbT6_jjT7_P12ihipStream_tbENKUlT_T0_SH_SM_E_clISB_PiSC_SC_EEDaS10_S11_SH_SM_EUlS10_E_NS1_11comp_targetILNS1_3genE10ELNS1_11target_archE1201ELNS1_3gpuE5ELNS1_3repE0EEENS1_47radix_sort_onesweep_sort_config_static_selectorELNS0_4arch9wavefront6targetE0EEEvSH_.kd
    .uniform_work_group_size: 1
    .uses_dynamic_stack: false
    .vgpr_count:     0
    .vgpr_spill_count: 0
    .wavefront_size: 32
    .workgroup_processor_mode: 1
  - .args:
      - .offset:         0
        .size:           88
        .value_kind:     by_value
    .group_segment_fixed_size: 0
    .kernarg_segment_align: 8
    .kernarg_segment_size: 88
    .language:       OpenCL C
    .language_version:
      - 2
      - 0
    .max_flat_workgroup_size: 1024
    .name:           _ZN7rocprim17ROCPRIM_400000_NS6detail17trampoline_kernelINS0_14default_configENS1_35radix_sort_onesweep_config_selectorIiNS0_10empty_typeEEEZZNS1_29radix_sort_onesweep_iterationIS3_Lb0EN6thrust23THRUST_200600_302600_NS10device_ptrIiEESB_PS5_SC_jNS0_19identity_decomposerENS1_16block_id_wrapperIjLb1EEEEE10hipError_tT1_PNSt15iterator_traitsISH_E10value_typeET2_T3_PNSI_ISN_E10value_typeET4_T5_PSS_ST_PNS1_23onesweep_lookback_stateEbbT6_jjT7_P12ihipStream_tbENKUlT_T0_SH_SM_E_clISB_PiSC_SC_EEDaS10_S11_SH_SM_EUlS10_E_NS1_11comp_targetILNS1_3genE9ELNS1_11target_archE1100ELNS1_3gpuE3ELNS1_3repE0EEENS1_47radix_sort_onesweep_sort_config_static_selectorELNS0_4arch9wavefront6targetE0EEEvSH_
    .private_segment_fixed_size: 0
    .sgpr_count:     0
    .sgpr_spill_count: 0
    .symbol:         _ZN7rocprim17ROCPRIM_400000_NS6detail17trampoline_kernelINS0_14default_configENS1_35radix_sort_onesweep_config_selectorIiNS0_10empty_typeEEEZZNS1_29radix_sort_onesweep_iterationIS3_Lb0EN6thrust23THRUST_200600_302600_NS10device_ptrIiEESB_PS5_SC_jNS0_19identity_decomposerENS1_16block_id_wrapperIjLb1EEEEE10hipError_tT1_PNSt15iterator_traitsISH_E10value_typeET2_T3_PNSI_ISN_E10value_typeET4_T5_PSS_ST_PNS1_23onesweep_lookback_stateEbbT6_jjT7_P12ihipStream_tbENKUlT_T0_SH_SM_E_clISB_PiSC_SC_EEDaS10_S11_SH_SM_EUlS10_E_NS1_11comp_targetILNS1_3genE9ELNS1_11target_archE1100ELNS1_3gpuE3ELNS1_3repE0EEENS1_47radix_sort_onesweep_sort_config_static_selectorELNS0_4arch9wavefront6targetE0EEEvSH_.kd
    .uniform_work_group_size: 1
    .uses_dynamic_stack: false
    .vgpr_count:     0
    .vgpr_spill_count: 0
    .wavefront_size: 32
    .workgroup_processor_mode: 1
  - .args:
      - .offset:         0
        .size:           88
        .value_kind:     by_value
      - .offset:         88
        .size:           4
        .value_kind:     hidden_block_count_x
      - .offset:         92
        .size:           4
        .value_kind:     hidden_block_count_y
      - .offset:         96
        .size:           4
        .value_kind:     hidden_block_count_z
      - .offset:         100
        .size:           2
        .value_kind:     hidden_group_size_x
      - .offset:         102
        .size:           2
        .value_kind:     hidden_group_size_y
      - .offset:         104
        .size:           2
        .value_kind:     hidden_group_size_z
      - .offset:         106
        .size:           2
        .value_kind:     hidden_remainder_x
      - .offset:         108
        .size:           2
        .value_kind:     hidden_remainder_y
      - .offset:         110
        .size:           2
        .value_kind:     hidden_remainder_z
      - .offset:         128
        .size:           8
        .value_kind:     hidden_global_offset_x
      - .offset:         136
        .size:           8
        .value_kind:     hidden_global_offset_y
      - .offset:         144
        .size:           8
        .value_kind:     hidden_global_offset_z
      - .offset:         152
        .size:           2
        .value_kind:     hidden_grid_dims
    .group_segment_fixed_size: 37000
    .kernarg_segment_align: 8
    .kernarg_segment_size: 344
    .language:       OpenCL C
    .language_version:
      - 2
      - 0
    .max_flat_workgroup_size: 1024
    .name:           _ZN7rocprim17ROCPRIM_400000_NS6detail17trampoline_kernelINS0_14default_configENS1_35radix_sort_onesweep_config_selectorIiNS0_10empty_typeEEEZZNS1_29radix_sort_onesweep_iterationIS3_Lb0EN6thrust23THRUST_200600_302600_NS10device_ptrIiEESB_PS5_SC_jNS0_19identity_decomposerENS1_16block_id_wrapperIjLb1EEEEE10hipError_tT1_PNSt15iterator_traitsISH_E10value_typeET2_T3_PNSI_ISN_E10value_typeET4_T5_PSS_ST_PNS1_23onesweep_lookback_stateEbbT6_jjT7_P12ihipStream_tbENKUlT_T0_SH_SM_E_clISB_PiSC_SC_EEDaS10_S11_SH_SM_EUlS10_E_NS1_11comp_targetILNS1_3genE8ELNS1_11target_archE1030ELNS1_3gpuE2ELNS1_3repE0EEENS1_47radix_sort_onesweep_sort_config_static_selectorELNS0_4arch9wavefront6targetE0EEEvSH_
    .private_segment_fixed_size: 0
    .sgpr_count:     29
    .sgpr_spill_count: 0
    .symbol:         _ZN7rocprim17ROCPRIM_400000_NS6detail17trampoline_kernelINS0_14default_configENS1_35radix_sort_onesweep_config_selectorIiNS0_10empty_typeEEEZZNS1_29radix_sort_onesweep_iterationIS3_Lb0EN6thrust23THRUST_200600_302600_NS10device_ptrIiEESB_PS5_SC_jNS0_19identity_decomposerENS1_16block_id_wrapperIjLb1EEEEE10hipError_tT1_PNSt15iterator_traitsISH_E10value_typeET2_T3_PNSI_ISN_E10value_typeET4_T5_PSS_ST_PNS1_23onesweep_lookback_stateEbbT6_jjT7_P12ihipStream_tbENKUlT_T0_SH_SM_E_clISB_PiSC_SC_EEDaS10_S11_SH_SM_EUlS10_E_NS1_11comp_targetILNS1_3genE8ELNS1_11target_archE1030ELNS1_3gpuE2ELNS1_3repE0EEENS1_47radix_sort_onesweep_sort_config_static_selectorELNS0_4arch9wavefront6targetE0EEEvSH_.kd
    .uniform_work_group_size: 1
    .uses_dynamic_stack: false
    .vgpr_count:     34
    .vgpr_spill_count: 0
    .wavefront_size: 32
    .workgroup_processor_mode: 1
  - .args:
      - .offset:         0
        .size:           88
        .value_kind:     by_value
    .group_segment_fixed_size: 0
    .kernarg_segment_align: 8
    .kernarg_segment_size: 88
    .language:       OpenCL C
    .language_version:
      - 2
      - 0
    .max_flat_workgroup_size: 512
    .name:           _ZN7rocprim17ROCPRIM_400000_NS6detail17trampoline_kernelINS0_14default_configENS1_35radix_sort_onesweep_config_selectorIiNS0_10empty_typeEEEZZNS1_29radix_sort_onesweep_iterationIS3_Lb0EN6thrust23THRUST_200600_302600_NS10device_ptrIiEESB_PS5_SC_jNS0_19identity_decomposerENS1_16block_id_wrapperIjLb1EEEEE10hipError_tT1_PNSt15iterator_traitsISH_E10value_typeET2_T3_PNSI_ISN_E10value_typeET4_T5_PSS_ST_PNS1_23onesweep_lookback_stateEbbT6_jjT7_P12ihipStream_tbENKUlT_T0_SH_SM_E_clIPiSB_SC_SC_EEDaS10_S11_SH_SM_EUlS10_E_NS1_11comp_targetILNS1_3genE0ELNS1_11target_archE4294967295ELNS1_3gpuE0ELNS1_3repE0EEENS1_47radix_sort_onesweep_sort_config_static_selectorELNS0_4arch9wavefront6targetE0EEEvSH_
    .private_segment_fixed_size: 0
    .sgpr_count:     0
    .sgpr_spill_count: 0
    .symbol:         _ZN7rocprim17ROCPRIM_400000_NS6detail17trampoline_kernelINS0_14default_configENS1_35radix_sort_onesweep_config_selectorIiNS0_10empty_typeEEEZZNS1_29radix_sort_onesweep_iterationIS3_Lb0EN6thrust23THRUST_200600_302600_NS10device_ptrIiEESB_PS5_SC_jNS0_19identity_decomposerENS1_16block_id_wrapperIjLb1EEEEE10hipError_tT1_PNSt15iterator_traitsISH_E10value_typeET2_T3_PNSI_ISN_E10value_typeET4_T5_PSS_ST_PNS1_23onesweep_lookback_stateEbbT6_jjT7_P12ihipStream_tbENKUlT_T0_SH_SM_E_clIPiSB_SC_SC_EEDaS10_S11_SH_SM_EUlS10_E_NS1_11comp_targetILNS1_3genE0ELNS1_11target_archE4294967295ELNS1_3gpuE0ELNS1_3repE0EEENS1_47radix_sort_onesweep_sort_config_static_selectorELNS0_4arch9wavefront6targetE0EEEvSH_.kd
    .uniform_work_group_size: 1
    .uses_dynamic_stack: false
    .vgpr_count:     0
    .vgpr_spill_count: 0
    .wavefront_size: 32
    .workgroup_processor_mode: 1
  - .args:
      - .offset:         0
        .size:           88
        .value_kind:     by_value
    .group_segment_fixed_size: 0
    .kernarg_segment_align: 8
    .kernarg_segment_size: 88
    .language:       OpenCL C
    .language_version:
      - 2
      - 0
    .max_flat_workgroup_size: 1024
    .name:           _ZN7rocprim17ROCPRIM_400000_NS6detail17trampoline_kernelINS0_14default_configENS1_35radix_sort_onesweep_config_selectorIiNS0_10empty_typeEEEZZNS1_29radix_sort_onesweep_iterationIS3_Lb0EN6thrust23THRUST_200600_302600_NS10device_ptrIiEESB_PS5_SC_jNS0_19identity_decomposerENS1_16block_id_wrapperIjLb1EEEEE10hipError_tT1_PNSt15iterator_traitsISH_E10value_typeET2_T3_PNSI_ISN_E10value_typeET4_T5_PSS_ST_PNS1_23onesweep_lookback_stateEbbT6_jjT7_P12ihipStream_tbENKUlT_T0_SH_SM_E_clIPiSB_SC_SC_EEDaS10_S11_SH_SM_EUlS10_E_NS1_11comp_targetILNS1_3genE6ELNS1_11target_archE950ELNS1_3gpuE13ELNS1_3repE0EEENS1_47radix_sort_onesweep_sort_config_static_selectorELNS0_4arch9wavefront6targetE0EEEvSH_
    .private_segment_fixed_size: 0
    .sgpr_count:     0
    .sgpr_spill_count: 0
    .symbol:         _ZN7rocprim17ROCPRIM_400000_NS6detail17trampoline_kernelINS0_14default_configENS1_35radix_sort_onesweep_config_selectorIiNS0_10empty_typeEEEZZNS1_29radix_sort_onesweep_iterationIS3_Lb0EN6thrust23THRUST_200600_302600_NS10device_ptrIiEESB_PS5_SC_jNS0_19identity_decomposerENS1_16block_id_wrapperIjLb1EEEEE10hipError_tT1_PNSt15iterator_traitsISH_E10value_typeET2_T3_PNSI_ISN_E10value_typeET4_T5_PSS_ST_PNS1_23onesweep_lookback_stateEbbT6_jjT7_P12ihipStream_tbENKUlT_T0_SH_SM_E_clIPiSB_SC_SC_EEDaS10_S11_SH_SM_EUlS10_E_NS1_11comp_targetILNS1_3genE6ELNS1_11target_archE950ELNS1_3gpuE13ELNS1_3repE0EEENS1_47radix_sort_onesweep_sort_config_static_selectorELNS0_4arch9wavefront6targetE0EEEvSH_.kd
    .uniform_work_group_size: 1
    .uses_dynamic_stack: false
    .vgpr_count:     0
    .vgpr_spill_count: 0
    .wavefront_size: 32
    .workgroup_processor_mode: 1
  - .args:
      - .offset:         0
        .size:           88
        .value_kind:     by_value
    .group_segment_fixed_size: 0
    .kernarg_segment_align: 8
    .kernarg_segment_size: 88
    .language:       OpenCL C
    .language_version:
      - 2
      - 0
    .max_flat_workgroup_size: 1024
    .name:           _ZN7rocprim17ROCPRIM_400000_NS6detail17trampoline_kernelINS0_14default_configENS1_35radix_sort_onesweep_config_selectorIiNS0_10empty_typeEEEZZNS1_29radix_sort_onesweep_iterationIS3_Lb0EN6thrust23THRUST_200600_302600_NS10device_ptrIiEESB_PS5_SC_jNS0_19identity_decomposerENS1_16block_id_wrapperIjLb1EEEEE10hipError_tT1_PNSt15iterator_traitsISH_E10value_typeET2_T3_PNSI_ISN_E10value_typeET4_T5_PSS_ST_PNS1_23onesweep_lookback_stateEbbT6_jjT7_P12ihipStream_tbENKUlT_T0_SH_SM_E_clIPiSB_SC_SC_EEDaS10_S11_SH_SM_EUlS10_E_NS1_11comp_targetILNS1_3genE5ELNS1_11target_archE942ELNS1_3gpuE9ELNS1_3repE0EEENS1_47radix_sort_onesweep_sort_config_static_selectorELNS0_4arch9wavefront6targetE0EEEvSH_
    .private_segment_fixed_size: 0
    .sgpr_count:     0
    .sgpr_spill_count: 0
    .symbol:         _ZN7rocprim17ROCPRIM_400000_NS6detail17trampoline_kernelINS0_14default_configENS1_35radix_sort_onesweep_config_selectorIiNS0_10empty_typeEEEZZNS1_29radix_sort_onesweep_iterationIS3_Lb0EN6thrust23THRUST_200600_302600_NS10device_ptrIiEESB_PS5_SC_jNS0_19identity_decomposerENS1_16block_id_wrapperIjLb1EEEEE10hipError_tT1_PNSt15iterator_traitsISH_E10value_typeET2_T3_PNSI_ISN_E10value_typeET4_T5_PSS_ST_PNS1_23onesweep_lookback_stateEbbT6_jjT7_P12ihipStream_tbENKUlT_T0_SH_SM_E_clIPiSB_SC_SC_EEDaS10_S11_SH_SM_EUlS10_E_NS1_11comp_targetILNS1_3genE5ELNS1_11target_archE942ELNS1_3gpuE9ELNS1_3repE0EEENS1_47radix_sort_onesweep_sort_config_static_selectorELNS0_4arch9wavefront6targetE0EEEvSH_.kd
    .uniform_work_group_size: 1
    .uses_dynamic_stack: false
    .vgpr_count:     0
    .vgpr_spill_count: 0
    .wavefront_size: 32
    .workgroup_processor_mode: 1
  - .args:
      - .offset:         0
        .size:           88
        .value_kind:     by_value
    .group_segment_fixed_size: 0
    .kernarg_segment_align: 8
    .kernarg_segment_size: 88
    .language:       OpenCL C
    .language_version:
      - 2
      - 0
    .max_flat_workgroup_size: 1024
    .name:           _ZN7rocprim17ROCPRIM_400000_NS6detail17trampoline_kernelINS0_14default_configENS1_35radix_sort_onesweep_config_selectorIiNS0_10empty_typeEEEZZNS1_29radix_sort_onesweep_iterationIS3_Lb0EN6thrust23THRUST_200600_302600_NS10device_ptrIiEESB_PS5_SC_jNS0_19identity_decomposerENS1_16block_id_wrapperIjLb1EEEEE10hipError_tT1_PNSt15iterator_traitsISH_E10value_typeET2_T3_PNSI_ISN_E10value_typeET4_T5_PSS_ST_PNS1_23onesweep_lookback_stateEbbT6_jjT7_P12ihipStream_tbENKUlT_T0_SH_SM_E_clIPiSB_SC_SC_EEDaS10_S11_SH_SM_EUlS10_E_NS1_11comp_targetILNS1_3genE2ELNS1_11target_archE906ELNS1_3gpuE6ELNS1_3repE0EEENS1_47radix_sort_onesweep_sort_config_static_selectorELNS0_4arch9wavefront6targetE0EEEvSH_
    .private_segment_fixed_size: 0
    .sgpr_count:     0
    .sgpr_spill_count: 0
    .symbol:         _ZN7rocprim17ROCPRIM_400000_NS6detail17trampoline_kernelINS0_14default_configENS1_35radix_sort_onesweep_config_selectorIiNS0_10empty_typeEEEZZNS1_29radix_sort_onesweep_iterationIS3_Lb0EN6thrust23THRUST_200600_302600_NS10device_ptrIiEESB_PS5_SC_jNS0_19identity_decomposerENS1_16block_id_wrapperIjLb1EEEEE10hipError_tT1_PNSt15iterator_traitsISH_E10value_typeET2_T3_PNSI_ISN_E10value_typeET4_T5_PSS_ST_PNS1_23onesweep_lookback_stateEbbT6_jjT7_P12ihipStream_tbENKUlT_T0_SH_SM_E_clIPiSB_SC_SC_EEDaS10_S11_SH_SM_EUlS10_E_NS1_11comp_targetILNS1_3genE2ELNS1_11target_archE906ELNS1_3gpuE6ELNS1_3repE0EEENS1_47radix_sort_onesweep_sort_config_static_selectorELNS0_4arch9wavefront6targetE0EEEvSH_.kd
    .uniform_work_group_size: 1
    .uses_dynamic_stack: false
    .vgpr_count:     0
    .vgpr_spill_count: 0
    .wavefront_size: 32
    .workgroup_processor_mode: 1
  - .args:
      - .offset:         0
        .size:           88
        .value_kind:     by_value
    .group_segment_fixed_size: 0
    .kernarg_segment_align: 8
    .kernarg_segment_size: 88
    .language:       OpenCL C
    .language_version:
      - 2
      - 0
    .max_flat_workgroup_size: 1024
    .name:           _ZN7rocprim17ROCPRIM_400000_NS6detail17trampoline_kernelINS0_14default_configENS1_35radix_sort_onesweep_config_selectorIiNS0_10empty_typeEEEZZNS1_29radix_sort_onesweep_iterationIS3_Lb0EN6thrust23THRUST_200600_302600_NS10device_ptrIiEESB_PS5_SC_jNS0_19identity_decomposerENS1_16block_id_wrapperIjLb1EEEEE10hipError_tT1_PNSt15iterator_traitsISH_E10value_typeET2_T3_PNSI_ISN_E10value_typeET4_T5_PSS_ST_PNS1_23onesweep_lookback_stateEbbT6_jjT7_P12ihipStream_tbENKUlT_T0_SH_SM_E_clIPiSB_SC_SC_EEDaS10_S11_SH_SM_EUlS10_E_NS1_11comp_targetILNS1_3genE4ELNS1_11target_archE910ELNS1_3gpuE8ELNS1_3repE0EEENS1_47radix_sort_onesweep_sort_config_static_selectorELNS0_4arch9wavefront6targetE0EEEvSH_
    .private_segment_fixed_size: 0
    .sgpr_count:     0
    .sgpr_spill_count: 0
    .symbol:         _ZN7rocprim17ROCPRIM_400000_NS6detail17trampoline_kernelINS0_14default_configENS1_35radix_sort_onesweep_config_selectorIiNS0_10empty_typeEEEZZNS1_29radix_sort_onesweep_iterationIS3_Lb0EN6thrust23THRUST_200600_302600_NS10device_ptrIiEESB_PS5_SC_jNS0_19identity_decomposerENS1_16block_id_wrapperIjLb1EEEEE10hipError_tT1_PNSt15iterator_traitsISH_E10value_typeET2_T3_PNSI_ISN_E10value_typeET4_T5_PSS_ST_PNS1_23onesweep_lookback_stateEbbT6_jjT7_P12ihipStream_tbENKUlT_T0_SH_SM_E_clIPiSB_SC_SC_EEDaS10_S11_SH_SM_EUlS10_E_NS1_11comp_targetILNS1_3genE4ELNS1_11target_archE910ELNS1_3gpuE8ELNS1_3repE0EEENS1_47radix_sort_onesweep_sort_config_static_selectorELNS0_4arch9wavefront6targetE0EEEvSH_.kd
    .uniform_work_group_size: 1
    .uses_dynamic_stack: false
    .vgpr_count:     0
    .vgpr_spill_count: 0
    .wavefront_size: 32
    .workgroup_processor_mode: 1
  - .args:
      - .offset:         0
        .size:           88
        .value_kind:     by_value
    .group_segment_fixed_size: 0
    .kernarg_segment_align: 8
    .kernarg_segment_size: 88
    .language:       OpenCL C
    .language_version:
      - 2
      - 0
    .max_flat_workgroup_size: 512
    .name:           _ZN7rocprim17ROCPRIM_400000_NS6detail17trampoline_kernelINS0_14default_configENS1_35radix_sort_onesweep_config_selectorIiNS0_10empty_typeEEEZZNS1_29radix_sort_onesweep_iterationIS3_Lb0EN6thrust23THRUST_200600_302600_NS10device_ptrIiEESB_PS5_SC_jNS0_19identity_decomposerENS1_16block_id_wrapperIjLb1EEEEE10hipError_tT1_PNSt15iterator_traitsISH_E10value_typeET2_T3_PNSI_ISN_E10value_typeET4_T5_PSS_ST_PNS1_23onesweep_lookback_stateEbbT6_jjT7_P12ihipStream_tbENKUlT_T0_SH_SM_E_clIPiSB_SC_SC_EEDaS10_S11_SH_SM_EUlS10_E_NS1_11comp_targetILNS1_3genE3ELNS1_11target_archE908ELNS1_3gpuE7ELNS1_3repE0EEENS1_47radix_sort_onesweep_sort_config_static_selectorELNS0_4arch9wavefront6targetE0EEEvSH_
    .private_segment_fixed_size: 0
    .sgpr_count:     0
    .sgpr_spill_count: 0
    .symbol:         _ZN7rocprim17ROCPRIM_400000_NS6detail17trampoline_kernelINS0_14default_configENS1_35radix_sort_onesweep_config_selectorIiNS0_10empty_typeEEEZZNS1_29radix_sort_onesweep_iterationIS3_Lb0EN6thrust23THRUST_200600_302600_NS10device_ptrIiEESB_PS5_SC_jNS0_19identity_decomposerENS1_16block_id_wrapperIjLb1EEEEE10hipError_tT1_PNSt15iterator_traitsISH_E10value_typeET2_T3_PNSI_ISN_E10value_typeET4_T5_PSS_ST_PNS1_23onesweep_lookback_stateEbbT6_jjT7_P12ihipStream_tbENKUlT_T0_SH_SM_E_clIPiSB_SC_SC_EEDaS10_S11_SH_SM_EUlS10_E_NS1_11comp_targetILNS1_3genE3ELNS1_11target_archE908ELNS1_3gpuE7ELNS1_3repE0EEENS1_47radix_sort_onesweep_sort_config_static_selectorELNS0_4arch9wavefront6targetE0EEEvSH_.kd
    .uniform_work_group_size: 1
    .uses_dynamic_stack: false
    .vgpr_count:     0
    .vgpr_spill_count: 0
    .wavefront_size: 32
    .workgroup_processor_mode: 1
  - .args:
      - .offset:         0
        .size:           88
        .value_kind:     by_value
    .group_segment_fixed_size: 0
    .kernarg_segment_align: 8
    .kernarg_segment_size: 88
    .language:       OpenCL C
    .language_version:
      - 2
      - 0
    .max_flat_workgroup_size: 1024
    .name:           _ZN7rocprim17ROCPRIM_400000_NS6detail17trampoline_kernelINS0_14default_configENS1_35radix_sort_onesweep_config_selectorIiNS0_10empty_typeEEEZZNS1_29radix_sort_onesweep_iterationIS3_Lb0EN6thrust23THRUST_200600_302600_NS10device_ptrIiEESB_PS5_SC_jNS0_19identity_decomposerENS1_16block_id_wrapperIjLb1EEEEE10hipError_tT1_PNSt15iterator_traitsISH_E10value_typeET2_T3_PNSI_ISN_E10value_typeET4_T5_PSS_ST_PNS1_23onesweep_lookback_stateEbbT6_jjT7_P12ihipStream_tbENKUlT_T0_SH_SM_E_clIPiSB_SC_SC_EEDaS10_S11_SH_SM_EUlS10_E_NS1_11comp_targetILNS1_3genE10ELNS1_11target_archE1201ELNS1_3gpuE5ELNS1_3repE0EEENS1_47radix_sort_onesweep_sort_config_static_selectorELNS0_4arch9wavefront6targetE0EEEvSH_
    .private_segment_fixed_size: 0
    .sgpr_count:     0
    .sgpr_spill_count: 0
    .symbol:         _ZN7rocprim17ROCPRIM_400000_NS6detail17trampoline_kernelINS0_14default_configENS1_35radix_sort_onesweep_config_selectorIiNS0_10empty_typeEEEZZNS1_29radix_sort_onesweep_iterationIS3_Lb0EN6thrust23THRUST_200600_302600_NS10device_ptrIiEESB_PS5_SC_jNS0_19identity_decomposerENS1_16block_id_wrapperIjLb1EEEEE10hipError_tT1_PNSt15iterator_traitsISH_E10value_typeET2_T3_PNSI_ISN_E10value_typeET4_T5_PSS_ST_PNS1_23onesweep_lookback_stateEbbT6_jjT7_P12ihipStream_tbENKUlT_T0_SH_SM_E_clIPiSB_SC_SC_EEDaS10_S11_SH_SM_EUlS10_E_NS1_11comp_targetILNS1_3genE10ELNS1_11target_archE1201ELNS1_3gpuE5ELNS1_3repE0EEENS1_47radix_sort_onesweep_sort_config_static_selectorELNS0_4arch9wavefront6targetE0EEEvSH_.kd
    .uniform_work_group_size: 1
    .uses_dynamic_stack: false
    .vgpr_count:     0
    .vgpr_spill_count: 0
    .wavefront_size: 32
    .workgroup_processor_mode: 1
  - .args:
      - .offset:         0
        .size:           88
        .value_kind:     by_value
    .group_segment_fixed_size: 0
    .kernarg_segment_align: 8
    .kernarg_segment_size: 88
    .language:       OpenCL C
    .language_version:
      - 2
      - 0
    .max_flat_workgroup_size: 1024
    .name:           _ZN7rocprim17ROCPRIM_400000_NS6detail17trampoline_kernelINS0_14default_configENS1_35radix_sort_onesweep_config_selectorIiNS0_10empty_typeEEEZZNS1_29radix_sort_onesweep_iterationIS3_Lb0EN6thrust23THRUST_200600_302600_NS10device_ptrIiEESB_PS5_SC_jNS0_19identity_decomposerENS1_16block_id_wrapperIjLb1EEEEE10hipError_tT1_PNSt15iterator_traitsISH_E10value_typeET2_T3_PNSI_ISN_E10value_typeET4_T5_PSS_ST_PNS1_23onesweep_lookback_stateEbbT6_jjT7_P12ihipStream_tbENKUlT_T0_SH_SM_E_clIPiSB_SC_SC_EEDaS10_S11_SH_SM_EUlS10_E_NS1_11comp_targetILNS1_3genE9ELNS1_11target_archE1100ELNS1_3gpuE3ELNS1_3repE0EEENS1_47radix_sort_onesweep_sort_config_static_selectorELNS0_4arch9wavefront6targetE0EEEvSH_
    .private_segment_fixed_size: 0
    .sgpr_count:     0
    .sgpr_spill_count: 0
    .symbol:         _ZN7rocprim17ROCPRIM_400000_NS6detail17trampoline_kernelINS0_14default_configENS1_35radix_sort_onesweep_config_selectorIiNS0_10empty_typeEEEZZNS1_29radix_sort_onesweep_iterationIS3_Lb0EN6thrust23THRUST_200600_302600_NS10device_ptrIiEESB_PS5_SC_jNS0_19identity_decomposerENS1_16block_id_wrapperIjLb1EEEEE10hipError_tT1_PNSt15iterator_traitsISH_E10value_typeET2_T3_PNSI_ISN_E10value_typeET4_T5_PSS_ST_PNS1_23onesweep_lookback_stateEbbT6_jjT7_P12ihipStream_tbENKUlT_T0_SH_SM_E_clIPiSB_SC_SC_EEDaS10_S11_SH_SM_EUlS10_E_NS1_11comp_targetILNS1_3genE9ELNS1_11target_archE1100ELNS1_3gpuE3ELNS1_3repE0EEENS1_47radix_sort_onesweep_sort_config_static_selectorELNS0_4arch9wavefront6targetE0EEEvSH_.kd
    .uniform_work_group_size: 1
    .uses_dynamic_stack: false
    .vgpr_count:     0
    .vgpr_spill_count: 0
    .wavefront_size: 32
    .workgroup_processor_mode: 1
  - .args:
      - .offset:         0
        .size:           88
        .value_kind:     by_value
      - .offset:         88
        .size:           4
        .value_kind:     hidden_block_count_x
      - .offset:         92
        .size:           4
        .value_kind:     hidden_block_count_y
      - .offset:         96
        .size:           4
        .value_kind:     hidden_block_count_z
      - .offset:         100
        .size:           2
        .value_kind:     hidden_group_size_x
      - .offset:         102
        .size:           2
        .value_kind:     hidden_group_size_y
      - .offset:         104
        .size:           2
        .value_kind:     hidden_group_size_z
      - .offset:         106
        .size:           2
        .value_kind:     hidden_remainder_x
      - .offset:         108
        .size:           2
        .value_kind:     hidden_remainder_y
      - .offset:         110
        .size:           2
        .value_kind:     hidden_remainder_z
      - .offset:         128
        .size:           8
        .value_kind:     hidden_global_offset_x
      - .offset:         136
        .size:           8
        .value_kind:     hidden_global_offset_y
      - .offset:         144
        .size:           8
        .value_kind:     hidden_global_offset_z
      - .offset:         152
        .size:           2
        .value_kind:     hidden_grid_dims
    .group_segment_fixed_size: 37000
    .kernarg_segment_align: 8
    .kernarg_segment_size: 344
    .language:       OpenCL C
    .language_version:
      - 2
      - 0
    .max_flat_workgroup_size: 1024
    .name:           _ZN7rocprim17ROCPRIM_400000_NS6detail17trampoline_kernelINS0_14default_configENS1_35radix_sort_onesweep_config_selectorIiNS0_10empty_typeEEEZZNS1_29radix_sort_onesweep_iterationIS3_Lb0EN6thrust23THRUST_200600_302600_NS10device_ptrIiEESB_PS5_SC_jNS0_19identity_decomposerENS1_16block_id_wrapperIjLb1EEEEE10hipError_tT1_PNSt15iterator_traitsISH_E10value_typeET2_T3_PNSI_ISN_E10value_typeET4_T5_PSS_ST_PNS1_23onesweep_lookback_stateEbbT6_jjT7_P12ihipStream_tbENKUlT_T0_SH_SM_E_clIPiSB_SC_SC_EEDaS10_S11_SH_SM_EUlS10_E_NS1_11comp_targetILNS1_3genE8ELNS1_11target_archE1030ELNS1_3gpuE2ELNS1_3repE0EEENS1_47radix_sort_onesweep_sort_config_static_selectorELNS0_4arch9wavefront6targetE0EEEvSH_
    .private_segment_fixed_size: 0
    .sgpr_count:     29
    .sgpr_spill_count: 0
    .symbol:         _ZN7rocprim17ROCPRIM_400000_NS6detail17trampoline_kernelINS0_14default_configENS1_35radix_sort_onesweep_config_selectorIiNS0_10empty_typeEEEZZNS1_29radix_sort_onesweep_iterationIS3_Lb0EN6thrust23THRUST_200600_302600_NS10device_ptrIiEESB_PS5_SC_jNS0_19identity_decomposerENS1_16block_id_wrapperIjLb1EEEEE10hipError_tT1_PNSt15iterator_traitsISH_E10value_typeET2_T3_PNSI_ISN_E10value_typeET4_T5_PSS_ST_PNS1_23onesweep_lookback_stateEbbT6_jjT7_P12ihipStream_tbENKUlT_T0_SH_SM_E_clIPiSB_SC_SC_EEDaS10_S11_SH_SM_EUlS10_E_NS1_11comp_targetILNS1_3genE8ELNS1_11target_archE1030ELNS1_3gpuE2ELNS1_3repE0EEENS1_47radix_sort_onesweep_sort_config_static_selectorELNS0_4arch9wavefront6targetE0EEEvSH_.kd
    .uniform_work_group_size: 1
    .uses_dynamic_stack: false
    .vgpr_count:     34
    .vgpr_spill_count: 0
    .wavefront_size: 32
    .workgroup_processor_mode: 1
  - .args:
      - .offset:         0
        .size:           88
        .value_kind:     by_value
    .group_segment_fixed_size: 0
    .kernarg_segment_align: 8
    .kernarg_segment_size: 88
    .language:       OpenCL C
    .language_version:
      - 2
      - 0
    .max_flat_workgroup_size: 512
    .name:           _ZN7rocprim17ROCPRIM_400000_NS6detail17trampoline_kernelINS0_14default_configENS1_35radix_sort_onesweep_config_selectorIiNS0_10empty_typeEEEZZNS1_29radix_sort_onesweep_iterationIS3_Lb0EN6thrust23THRUST_200600_302600_NS10device_ptrIiEESB_PS5_SC_jNS0_19identity_decomposerENS1_16block_id_wrapperIjLb0EEEEE10hipError_tT1_PNSt15iterator_traitsISH_E10value_typeET2_T3_PNSI_ISN_E10value_typeET4_T5_PSS_ST_PNS1_23onesweep_lookback_stateEbbT6_jjT7_P12ihipStream_tbENKUlT_T0_SH_SM_E_clISB_SB_SC_SC_EEDaS10_S11_SH_SM_EUlS10_E_NS1_11comp_targetILNS1_3genE0ELNS1_11target_archE4294967295ELNS1_3gpuE0ELNS1_3repE0EEENS1_47radix_sort_onesweep_sort_config_static_selectorELNS0_4arch9wavefront6targetE0EEEvSH_
    .private_segment_fixed_size: 0
    .sgpr_count:     0
    .sgpr_spill_count: 0
    .symbol:         _ZN7rocprim17ROCPRIM_400000_NS6detail17trampoline_kernelINS0_14default_configENS1_35radix_sort_onesweep_config_selectorIiNS0_10empty_typeEEEZZNS1_29radix_sort_onesweep_iterationIS3_Lb0EN6thrust23THRUST_200600_302600_NS10device_ptrIiEESB_PS5_SC_jNS0_19identity_decomposerENS1_16block_id_wrapperIjLb0EEEEE10hipError_tT1_PNSt15iterator_traitsISH_E10value_typeET2_T3_PNSI_ISN_E10value_typeET4_T5_PSS_ST_PNS1_23onesweep_lookback_stateEbbT6_jjT7_P12ihipStream_tbENKUlT_T0_SH_SM_E_clISB_SB_SC_SC_EEDaS10_S11_SH_SM_EUlS10_E_NS1_11comp_targetILNS1_3genE0ELNS1_11target_archE4294967295ELNS1_3gpuE0ELNS1_3repE0EEENS1_47radix_sort_onesweep_sort_config_static_selectorELNS0_4arch9wavefront6targetE0EEEvSH_.kd
    .uniform_work_group_size: 1
    .uses_dynamic_stack: false
    .vgpr_count:     0
    .vgpr_spill_count: 0
    .wavefront_size: 32
    .workgroup_processor_mode: 1
  - .args:
      - .offset:         0
        .size:           88
        .value_kind:     by_value
    .group_segment_fixed_size: 0
    .kernarg_segment_align: 8
    .kernarg_segment_size: 88
    .language:       OpenCL C
    .language_version:
      - 2
      - 0
    .max_flat_workgroup_size: 1024
    .name:           _ZN7rocprim17ROCPRIM_400000_NS6detail17trampoline_kernelINS0_14default_configENS1_35radix_sort_onesweep_config_selectorIiNS0_10empty_typeEEEZZNS1_29radix_sort_onesweep_iterationIS3_Lb0EN6thrust23THRUST_200600_302600_NS10device_ptrIiEESB_PS5_SC_jNS0_19identity_decomposerENS1_16block_id_wrapperIjLb0EEEEE10hipError_tT1_PNSt15iterator_traitsISH_E10value_typeET2_T3_PNSI_ISN_E10value_typeET4_T5_PSS_ST_PNS1_23onesweep_lookback_stateEbbT6_jjT7_P12ihipStream_tbENKUlT_T0_SH_SM_E_clISB_SB_SC_SC_EEDaS10_S11_SH_SM_EUlS10_E_NS1_11comp_targetILNS1_3genE6ELNS1_11target_archE950ELNS1_3gpuE13ELNS1_3repE0EEENS1_47radix_sort_onesweep_sort_config_static_selectorELNS0_4arch9wavefront6targetE0EEEvSH_
    .private_segment_fixed_size: 0
    .sgpr_count:     0
    .sgpr_spill_count: 0
    .symbol:         _ZN7rocprim17ROCPRIM_400000_NS6detail17trampoline_kernelINS0_14default_configENS1_35radix_sort_onesweep_config_selectorIiNS0_10empty_typeEEEZZNS1_29radix_sort_onesweep_iterationIS3_Lb0EN6thrust23THRUST_200600_302600_NS10device_ptrIiEESB_PS5_SC_jNS0_19identity_decomposerENS1_16block_id_wrapperIjLb0EEEEE10hipError_tT1_PNSt15iterator_traitsISH_E10value_typeET2_T3_PNSI_ISN_E10value_typeET4_T5_PSS_ST_PNS1_23onesweep_lookback_stateEbbT6_jjT7_P12ihipStream_tbENKUlT_T0_SH_SM_E_clISB_SB_SC_SC_EEDaS10_S11_SH_SM_EUlS10_E_NS1_11comp_targetILNS1_3genE6ELNS1_11target_archE950ELNS1_3gpuE13ELNS1_3repE0EEENS1_47radix_sort_onesweep_sort_config_static_selectorELNS0_4arch9wavefront6targetE0EEEvSH_.kd
    .uniform_work_group_size: 1
    .uses_dynamic_stack: false
    .vgpr_count:     0
    .vgpr_spill_count: 0
    .wavefront_size: 32
    .workgroup_processor_mode: 1
  - .args:
      - .offset:         0
        .size:           88
        .value_kind:     by_value
    .group_segment_fixed_size: 0
    .kernarg_segment_align: 8
    .kernarg_segment_size: 88
    .language:       OpenCL C
    .language_version:
      - 2
      - 0
    .max_flat_workgroup_size: 1024
    .name:           _ZN7rocprim17ROCPRIM_400000_NS6detail17trampoline_kernelINS0_14default_configENS1_35radix_sort_onesweep_config_selectorIiNS0_10empty_typeEEEZZNS1_29radix_sort_onesweep_iterationIS3_Lb0EN6thrust23THRUST_200600_302600_NS10device_ptrIiEESB_PS5_SC_jNS0_19identity_decomposerENS1_16block_id_wrapperIjLb0EEEEE10hipError_tT1_PNSt15iterator_traitsISH_E10value_typeET2_T3_PNSI_ISN_E10value_typeET4_T5_PSS_ST_PNS1_23onesweep_lookback_stateEbbT6_jjT7_P12ihipStream_tbENKUlT_T0_SH_SM_E_clISB_SB_SC_SC_EEDaS10_S11_SH_SM_EUlS10_E_NS1_11comp_targetILNS1_3genE5ELNS1_11target_archE942ELNS1_3gpuE9ELNS1_3repE0EEENS1_47radix_sort_onesweep_sort_config_static_selectorELNS0_4arch9wavefront6targetE0EEEvSH_
    .private_segment_fixed_size: 0
    .sgpr_count:     0
    .sgpr_spill_count: 0
    .symbol:         _ZN7rocprim17ROCPRIM_400000_NS6detail17trampoline_kernelINS0_14default_configENS1_35radix_sort_onesweep_config_selectorIiNS0_10empty_typeEEEZZNS1_29radix_sort_onesweep_iterationIS3_Lb0EN6thrust23THRUST_200600_302600_NS10device_ptrIiEESB_PS5_SC_jNS0_19identity_decomposerENS1_16block_id_wrapperIjLb0EEEEE10hipError_tT1_PNSt15iterator_traitsISH_E10value_typeET2_T3_PNSI_ISN_E10value_typeET4_T5_PSS_ST_PNS1_23onesweep_lookback_stateEbbT6_jjT7_P12ihipStream_tbENKUlT_T0_SH_SM_E_clISB_SB_SC_SC_EEDaS10_S11_SH_SM_EUlS10_E_NS1_11comp_targetILNS1_3genE5ELNS1_11target_archE942ELNS1_3gpuE9ELNS1_3repE0EEENS1_47radix_sort_onesweep_sort_config_static_selectorELNS0_4arch9wavefront6targetE0EEEvSH_.kd
    .uniform_work_group_size: 1
    .uses_dynamic_stack: false
    .vgpr_count:     0
    .vgpr_spill_count: 0
    .wavefront_size: 32
    .workgroup_processor_mode: 1
  - .args:
      - .offset:         0
        .size:           88
        .value_kind:     by_value
    .group_segment_fixed_size: 0
    .kernarg_segment_align: 8
    .kernarg_segment_size: 88
    .language:       OpenCL C
    .language_version:
      - 2
      - 0
    .max_flat_workgroup_size: 1024
    .name:           _ZN7rocprim17ROCPRIM_400000_NS6detail17trampoline_kernelINS0_14default_configENS1_35radix_sort_onesweep_config_selectorIiNS0_10empty_typeEEEZZNS1_29radix_sort_onesweep_iterationIS3_Lb0EN6thrust23THRUST_200600_302600_NS10device_ptrIiEESB_PS5_SC_jNS0_19identity_decomposerENS1_16block_id_wrapperIjLb0EEEEE10hipError_tT1_PNSt15iterator_traitsISH_E10value_typeET2_T3_PNSI_ISN_E10value_typeET4_T5_PSS_ST_PNS1_23onesweep_lookback_stateEbbT6_jjT7_P12ihipStream_tbENKUlT_T0_SH_SM_E_clISB_SB_SC_SC_EEDaS10_S11_SH_SM_EUlS10_E_NS1_11comp_targetILNS1_3genE2ELNS1_11target_archE906ELNS1_3gpuE6ELNS1_3repE0EEENS1_47radix_sort_onesweep_sort_config_static_selectorELNS0_4arch9wavefront6targetE0EEEvSH_
    .private_segment_fixed_size: 0
    .sgpr_count:     0
    .sgpr_spill_count: 0
    .symbol:         _ZN7rocprim17ROCPRIM_400000_NS6detail17trampoline_kernelINS0_14default_configENS1_35radix_sort_onesweep_config_selectorIiNS0_10empty_typeEEEZZNS1_29radix_sort_onesweep_iterationIS3_Lb0EN6thrust23THRUST_200600_302600_NS10device_ptrIiEESB_PS5_SC_jNS0_19identity_decomposerENS1_16block_id_wrapperIjLb0EEEEE10hipError_tT1_PNSt15iterator_traitsISH_E10value_typeET2_T3_PNSI_ISN_E10value_typeET4_T5_PSS_ST_PNS1_23onesweep_lookback_stateEbbT6_jjT7_P12ihipStream_tbENKUlT_T0_SH_SM_E_clISB_SB_SC_SC_EEDaS10_S11_SH_SM_EUlS10_E_NS1_11comp_targetILNS1_3genE2ELNS1_11target_archE906ELNS1_3gpuE6ELNS1_3repE0EEENS1_47radix_sort_onesweep_sort_config_static_selectorELNS0_4arch9wavefront6targetE0EEEvSH_.kd
    .uniform_work_group_size: 1
    .uses_dynamic_stack: false
    .vgpr_count:     0
    .vgpr_spill_count: 0
    .wavefront_size: 32
    .workgroup_processor_mode: 1
  - .args:
      - .offset:         0
        .size:           88
        .value_kind:     by_value
    .group_segment_fixed_size: 0
    .kernarg_segment_align: 8
    .kernarg_segment_size: 88
    .language:       OpenCL C
    .language_version:
      - 2
      - 0
    .max_flat_workgroup_size: 1024
    .name:           _ZN7rocprim17ROCPRIM_400000_NS6detail17trampoline_kernelINS0_14default_configENS1_35radix_sort_onesweep_config_selectorIiNS0_10empty_typeEEEZZNS1_29radix_sort_onesweep_iterationIS3_Lb0EN6thrust23THRUST_200600_302600_NS10device_ptrIiEESB_PS5_SC_jNS0_19identity_decomposerENS1_16block_id_wrapperIjLb0EEEEE10hipError_tT1_PNSt15iterator_traitsISH_E10value_typeET2_T3_PNSI_ISN_E10value_typeET4_T5_PSS_ST_PNS1_23onesweep_lookback_stateEbbT6_jjT7_P12ihipStream_tbENKUlT_T0_SH_SM_E_clISB_SB_SC_SC_EEDaS10_S11_SH_SM_EUlS10_E_NS1_11comp_targetILNS1_3genE4ELNS1_11target_archE910ELNS1_3gpuE8ELNS1_3repE0EEENS1_47radix_sort_onesweep_sort_config_static_selectorELNS0_4arch9wavefront6targetE0EEEvSH_
    .private_segment_fixed_size: 0
    .sgpr_count:     0
    .sgpr_spill_count: 0
    .symbol:         _ZN7rocprim17ROCPRIM_400000_NS6detail17trampoline_kernelINS0_14default_configENS1_35radix_sort_onesweep_config_selectorIiNS0_10empty_typeEEEZZNS1_29radix_sort_onesweep_iterationIS3_Lb0EN6thrust23THRUST_200600_302600_NS10device_ptrIiEESB_PS5_SC_jNS0_19identity_decomposerENS1_16block_id_wrapperIjLb0EEEEE10hipError_tT1_PNSt15iterator_traitsISH_E10value_typeET2_T3_PNSI_ISN_E10value_typeET4_T5_PSS_ST_PNS1_23onesweep_lookback_stateEbbT6_jjT7_P12ihipStream_tbENKUlT_T0_SH_SM_E_clISB_SB_SC_SC_EEDaS10_S11_SH_SM_EUlS10_E_NS1_11comp_targetILNS1_3genE4ELNS1_11target_archE910ELNS1_3gpuE8ELNS1_3repE0EEENS1_47radix_sort_onesweep_sort_config_static_selectorELNS0_4arch9wavefront6targetE0EEEvSH_.kd
    .uniform_work_group_size: 1
    .uses_dynamic_stack: false
    .vgpr_count:     0
    .vgpr_spill_count: 0
    .wavefront_size: 32
    .workgroup_processor_mode: 1
  - .args:
      - .offset:         0
        .size:           88
        .value_kind:     by_value
    .group_segment_fixed_size: 0
    .kernarg_segment_align: 8
    .kernarg_segment_size: 88
    .language:       OpenCL C
    .language_version:
      - 2
      - 0
    .max_flat_workgroup_size: 512
    .name:           _ZN7rocprim17ROCPRIM_400000_NS6detail17trampoline_kernelINS0_14default_configENS1_35radix_sort_onesweep_config_selectorIiNS0_10empty_typeEEEZZNS1_29radix_sort_onesweep_iterationIS3_Lb0EN6thrust23THRUST_200600_302600_NS10device_ptrIiEESB_PS5_SC_jNS0_19identity_decomposerENS1_16block_id_wrapperIjLb0EEEEE10hipError_tT1_PNSt15iterator_traitsISH_E10value_typeET2_T3_PNSI_ISN_E10value_typeET4_T5_PSS_ST_PNS1_23onesweep_lookback_stateEbbT6_jjT7_P12ihipStream_tbENKUlT_T0_SH_SM_E_clISB_SB_SC_SC_EEDaS10_S11_SH_SM_EUlS10_E_NS1_11comp_targetILNS1_3genE3ELNS1_11target_archE908ELNS1_3gpuE7ELNS1_3repE0EEENS1_47radix_sort_onesweep_sort_config_static_selectorELNS0_4arch9wavefront6targetE0EEEvSH_
    .private_segment_fixed_size: 0
    .sgpr_count:     0
    .sgpr_spill_count: 0
    .symbol:         _ZN7rocprim17ROCPRIM_400000_NS6detail17trampoline_kernelINS0_14default_configENS1_35radix_sort_onesweep_config_selectorIiNS0_10empty_typeEEEZZNS1_29radix_sort_onesweep_iterationIS3_Lb0EN6thrust23THRUST_200600_302600_NS10device_ptrIiEESB_PS5_SC_jNS0_19identity_decomposerENS1_16block_id_wrapperIjLb0EEEEE10hipError_tT1_PNSt15iterator_traitsISH_E10value_typeET2_T3_PNSI_ISN_E10value_typeET4_T5_PSS_ST_PNS1_23onesweep_lookback_stateEbbT6_jjT7_P12ihipStream_tbENKUlT_T0_SH_SM_E_clISB_SB_SC_SC_EEDaS10_S11_SH_SM_EUlS10_E_NS1_11comp_targetILNS1_3genE3ELNS1_11target_archE908ELNS1_3gpuE7ELNS1_3repE0EEENS1_47radix_sort_onesweep_sort_config_static_selectorELNS0_4arch9wavefront6targetE0EEEvSH_.kd
    .uniform_work_group_size: 1
    .uses_dynamic_stack: false
    .vgpr_count:     0
    .vgpr_spill_count: 0
    .wavefront_size: 32
    .workgroup_processor_mode: 1
  - .args:
      - .offset:         0
        .size:           88
        .value_kind:     by_value
    .group_segment_fixed_size: 0
    .kernarg_segment_align: 8
    .kernarg_segment_size: 88
    .language:       OpenCL C
    .language_version:
      - 2
      - 0
    .max_flat_workgroup_size: 1024
    .name:           _ZN7rocprim17ROCPRIM_400000_NS6detail17trampoline_kernelINS0_14default_configENS1_35radix_sort_onesweep_config_selectorIiNS0_10empty_typeEEEZZNS1_29radix_sort_onesweep_iterationIS3_Lb0EN6thrust23THRUST_200600_302600_NS10device_ptrIiEESB_PS5_SC_jNS0_19identity_decomposerENS1_16block_id_wrapperIjLb0EEEEE10hipError_tT1_PNSt15iterator_traitsISH_E10value_typeET2_T3_PNSI_ISN_E10value_typeET4_T5_PSS_ST_PNS1_23onesweep_lookback_stateEbbT6_jjT7_P12ihipStream_tbENKUlT_T0_SH_SM_E_clISB_SB_SC_SC_EEDaS10_S11_SH_SM_EUlS10_E_NS1_11comp_targetILNS1_3genE10ELNS1_11target_archE1201ELNS1_3gpuE5ELNS1_3repE0EEENS1_47radix_sort_onesweep_sort_config_static_selectorELNS0_4arch9wavefront6targetE0EEEvSH_
    .private_segment_fixed_size: 0
    .sgpr_count:     0
    .sgpr_spill_count: 0
    .symbol:         _ZN7rocprim17ROCPRIM_400000_NS6detail17trampoline_kernelINS0_14default_configENS1_35radix_sort_onesweep_config_selectorIiNS0_10empty_typeEEEZZNS1_29radix_sort_onesweep_iterationIS3_Lb0EN6thrust23THRUST_200600_302600_NS10device_ptrIiEESB_PS5_SC_jNS0_19identity_decomposerENS1_16block_id_wrapperIjLb0EEEEE10hipError_tT1_PNSt15iterator_traitsISH_E10value_typeET2_T3_PNSI_ISN_E10value_typeET4_T5_PSS_ST_PNS1_23onesweep_lookback_stateEbbT6_jjT7_P12ihipStream_tbENKUlT_T0_SH_SM_E_clISB_SB_SC_SC_EEDaS10_S11_SH_SM_EUlS10_E_NS1_11comp_targetILNS1_3genE10ELNS1_11target_archE1201ELNS1_3gpuE5ELNS1_3repE0EEENS1_47radix_sort_onesweep_sort_config_static_selectorELNS0_4arch9wavefront6targetE0EEEvSH_.kd
    .uniform_work_group_size: 1
    .uses_dynamic_stack: false
    .vgpr_count:     0
    .vgpr_spill_count: 0
    .wavefront_size: 32
    .workgroup_processor_mode: 1
  - .args:
      - .offset:         0
        .size:           88
        .value_kind:     by_value
    .group_segment_fixed_size: 0
    .kernarg_segment_align: 8
    .kernarg_segment_size: 88
    .language:       OpenCL C
    .language_version:
      - 2
      - 0
    .max_flat_workgroup_size: 1024
    .name:           _ZN7rocprim17ROCPRIM_400000_NS6detail17trampoline_kernelINS0_14default_configENS1_35radix_sort_onesweep_config_selectorIiNS0_10empty_typeEEEZZNS1_29radix_sort_onesweep_iterationIS3_Lb0EN6thrust23THRUST_200600_302600_NS10device_ptrIiEESB_PS5_SC_jNS0_19identity_decomposerENS1_16block_id_wrapperIjLb0EEEEE10hipError_tT1_PNSt15iterator_traitsISH_E10value_typeET2_T3_PNSI_ISN_E10value_typeET4_T5_PSS_ST_PNS1_23onesweep_lookback_stateEbbT6_jjT7_P12ihipStream_tbENKUlT_T0_SH_SM_E_clISB_SB_SC_SC_EEDaS10_S11_SH_SM_EUlS10_E_NS1_11comp_targetILNS1_3genE9ELNS1_11target_archE1100ELNS1_3gpuE3ELNS1_3repE0EEENS1_47radix_sort_onesweep_sort_config_static_selectorELNS0_4arch9wavefront6targetE0EEEvSH_
    .private_segment_fixed_size: 0
    .sgpr_count:     0
    .sgpr_spill_count: 0
    .symbol:         _ZN7rocprim17ROCPRIM_400000_NS6detail17trampoline_kernelINS0_14default_configENS1_35radix_sort_onesweep_config_selectorIiNS0_10empty_typeEEEZZNS1_29radix_sort_onesweep_iterationIS3_Lb0EN6thrust23THRUST_200600_302600_NS10device_ptrIiEESB_PS5_SC_jNS0_19identity_decomposerENS1_16block_id_wrapperIjLb0EEEEE10hipError_tT1_PNSt15iterator_traitsISH_E10value_typeET2_T3_PNSI_ISN_E10value_typeET4_T5_PSS_ST_PNS1_23onesweep_lookback_stateEbbT6_jjT7_P12ihipStream_tbENKUlT_T0_SH_SM_E_clISB_SB_SC_SC_EEDaS10_S11_SH_SM_EUlS10_E_NS1_11comp_targetILNS1_3genE9ELNS1_11target_archE1100ELNS1_3gpuE3ELNS1_3repE0EEENS1_47radix_sort_onesweep_sort_config_static_selectorELNS0_4arch9wavefront6targetE0EEEvSH_.kd
    .uniform_work_group_size: 1
    .uses_dynamic_stack: false
    .vgpr_count:     0
    .vgpr_spill_count: 0
    .wavefront_size: 32
    .workgroup_processor_mode: 1
  - .args:
      - .offset:         0
        .size:           88
        .value_kind:     by_value
      - .offset:         88
        .size:           4
        .value_kind:     hidden_block_count_x
      - .offset:         92
        .size:           4
        .value_kind:     hidden_block_count_y
      - .offset:         96
        .size:           4
        .value_kind:     hidden_block_count_z
      - .offset:         100
        .size:           2
        .value_kind:     hidden_group_size_x
      - .offset:         102
        .size:           2
        .value_kind:     hidden_group_size_y
      - .offset:         104
        .size:           2
        .value_kind:     hidden_group_size_z
      - .offset:         106
        .size:           2
        .value_kind:     hidden_remainder_x
      - .offset:         108
        .size:           2
        .value_kind:     hidden_remainder_y
      - .offset:         110
        .size:           2
        .value_kind:     hidden_remainder_z
      - .offset:         128
        .size:           8
        .value_kind:     hidden_global_offset_x
      - .offset:         136
        .size:           8
        .value_kind:     hidden_global_offset_y
      - .offset:         144
        .size:           8
        .value_kind:     hidden_global_offset_z
      - .offset:         152
        .size:           2
        .value_kind:     hidden_grid_dims
    .group_segment_fixed_size: 37000
    .kernarg_segment_align: 8
    .kernarg_segment_size: 344
    .language:       OpenCL C
    .language_version:
      - 2
      - 0
    .max_flat_workgroup_size: 1024
    .name:           _ZN7rocprim17ROCPRIM_400000_NS6detail17trampoline_kernelINS0_14default_configENS1_35radix_sort_onesweep_config_selectorIiNS0_10empty_typeEEEZZNS1_29radix_sort_onesweep_iterationIS3_Lb0EN6thrust23THRUST_200600_302600_NS10device_ptrIiEESB_PS5_SC_jNS0_19identity_decomposerENS1_16block_id_wrapperIjLb0EEEEE10hipError_tT1_PNSt15iterator_traitsISH_E10value_typeET2_T3_PNSI_ISN_E10value_typeET4_T5_PSS_ST_PNS1_23onesweep_lookback_stateEbbT6_jjT7_P12ihipStream_tbENKUlT_T0_SH_SM_E_clISB_SB_SC_SC_EEDaS10_S11_SH_SM_EUlS10_E_NS1_11comp_targetILNS1_3genE8ELNS1_11target_archE1030ELNS1_3gpuE2ELNS1_3repE0EEENS1_47radix_sort_onesweep_sort_config_static_selectorELNS0_4arch9wavefront6targetE0EEEvSH_
    .private_segment_fixed_size: 0
    .sgpr_count:     27
    .sgpr_spill_count: 0
    .symbol:         _ZN7rocprim17ROCPRIM_400000_NS6detail17trampoline_kernelINS0_14default_configENS1_35radix_sort_onesweep_config_selectorIiNS0_10empty_typeEEEZZNS1_29radix_sort_onesweep_iterationIS3_Lb0EN6thrust23THRUST_200600_302600_NS10device_ptrIiEESB_PS5_SC_jNS0_19identity_decomposerENS1_16block_id_wrapperIjLb0EEEEE10hipError_tT1_PNSt15iterator_traitsISH_E10value_typeET2_T3_PNSI_ISN_E10value_typeET4_T5_PSS_ST_PNS1_23onesweep_lookback_stateEbbT6_jjT7_P12ihipStream_tbENKUlT_T0_SH_SM_E_clISB_SB_SC_SC_EEDaS10_S11_SH_SM_EUlS10_E_NS1_11comp_targetILNS1_3genE8ELNS1_11target_archE1030ELNS1_3gpuE2ELNS1_3repE0EEENS1_47radix_sort_onesweep_sort_config_static_selectorELNS0_4arch9wavefront6targetE0EEEvSH_.kd
    .uniform_work_group_size: 1
    .uses_dynamic_stack: false
    .vgpr_count:     34
    .vgpr_spill_count: 0
    .wavefront_size: 32
    .workgroup_processor_mode: 1
  - .args:
      - .offset:         0
        .size:           88
        .value_kind:     by_value
    .group_segment_fixed_size: 0
    .kernarg_segment_align: 8
    .kernarg_segment_size: 88
    .language:       OpenCL C
    .language_version:
      - 2
      - 0
    .max_flat_workgroup_size: 512
    .name:           _ZN7rocprim17ROCPRIM_400000_NS6detail17trampoline_kernelINS0_14default_configENS1_35radix_sort_onesweep_config_selectorIiNS0_10empty_typeEEEZZNS1_29radix_sort_onesweep_iterationIS3_Lb0EN6thrust23THRUST_200600_302600_NS10device_ptrIiEESB_PS5_SC_jNS0_19identity_decomposerENS1_16block_id_wrapperIjLb0EEEEE10hipError_tT1_PNSt15iterator_traitsISH_E10value_typeET2_T3_PNSI_ISN_E10value_typeET4_T5_PSS_ST_PNS1_23onesweep_lookback_stateEbbT6_jjT7_P12ihipStream_tbENKUlT_T0_SH_SM_E_clISB_PiSC_SC_EEDaS10_S11_SH_SM_EUlS10_E_NS1_11comp_targetILNS1_3genE0ELNS1_11target_archE4294967295ELNS1_3gpuE0ELNS1_3repE0EEENS1_47radix_sort_onesweep_sort_config_static_selectorELNS0_4arch9wavefront6targetE0EEEvSH_
    .private_segment_fixed_size: 0
    .sgpr_count:     0
    .sgpr_spill_count: 0
    .symbol:         _ZN7rocprim17ROCPRIM_400000_NS6detail17trampoline_kernelINS0_14default_configENS1_35radix_sort_onesweep_config_selectorIiNS0_10empty_typeEEEZZNS1_29radix_sort_onesweep_iterationIS3_Lb0EN6thrust23THRUST_200600_302600_NS10device_ptrIiEESB_PS5_SC_jNS0_19identity_decomposerENS1_16block_id_wrapperIjLb0EEEEE10hipError_tT1_PNSt15iterator_traitsISH_E10value_typeET2_T3_PNSI_ISN_E10value_typeET4_T5_PSS_ST_PNS1_23onesweep_lookback_stateEbbT6_jjT7_P12ihipStream_tbENKUlT_T0_SH_SM_E_clISB_PiSC_SC_EEDaS10_S11_SH_SM_EUlS10_E_NS1_11comp_targetILNS1_3genE0ELNS1_11target_archE4294967295ELNS1_3gpuE0ELNS1_3repE0EEENS1_47radix_sort_onesweep_sort_config_static_selectorELNS0_4arch9wavefront6targetE0EEEvSH_.kd
    .uniform_work_group_size: 1
    .uses_dynamic_stack: false
    .vgpr_count:     0
    .vgpr_spill_count: 0
    .wavefront_size: 32
    .workgroup_processor_mode: 1
  - .args:
      - .offset:         0
        .size:           88
        .value_kind:     by_value
    .group_segment_fixed_size: 0
    .kernarg_segment_align: 8
    .kernarg_segment_size: 88
    .language:       OpenCL C
    .language_version:
      - 2
      - 0
    .max_flat_workgroup_size: 1024
    .name:           _ZN7rocprim17ROCPRIM_400000_NS6detail17trampoline_kernelINS0_14default_configENS1_35radix_sort_onesweep_config_selectorIiNS0_10empty_typeEEEZZNS1_29radix_sort_onesweep_iterationIS3_Lb0EN6thrust23THRUST_200600_302600_NS10device_ptrIiEESB_PS5_SC_jNS0_19identity_decomposerENS1_16block_id_wrapperIjLb0EEEEE10hipError_tT1_PNSt15iterator_traitsISH_E10value_typeET2_T3_PNSI_ISN_E10value_typeET4_T5_PSS_ST_PNS1_23onesweep_lookback_stateEbbT6_jjT7_P12ihipStream_tbENKUlT_T0_SH_SM_E_clISB_PiSC_SC_EEDaS10_S11_SH_SM_EUlS10_E_NS1_11comp_targetILNS1_3genE6ELNS1_11target_archE950ELNS1_3gpuE13ELNS1_3repE0EEENS1_47radix_sort_onesweep_sort_config_static_selectorELNS0_4arch9wavefront6targetE0EEEvSH_
    .private_segment_fixed_size: 0
    .sgpr_count:     0
    .sgpr_spill_count: 0
    .symbol:         _ZN7rocprim17ROCPRIM_400000_NS6detail17trampoline_kernelINS0_14default_configENS1_35radix_sort_onesweep_config_selectorIiNS0_10empty_typeEEEZZNS1_29radix_sort_onesweep_iterationIS3_Lb0EN6thrust23THRUST_200600_302600_NS10device_ptrIiEESB_PS5_SC_jNS0_19identity_decomposerENS1_16block_id_wrapperIjLb0EEEEE10hipError_tT1_PNSt15iterator_traitsISH_E10value_typeET2_T3_PNSI_ISN_E10value_typeET4_T5_PSS_ST_PNS1_23onesweep_lookback_stateEbbT6_jjT7_P12ihipStream_tbENKUlT_T0_SH_SM_E_clISB_PiSC_SC_EEDaS10_S11_SH_SM_EUlS10_E_NS1_11comp_targetILNS1_3genE6ELNS1_11target_archE950ELNS1_3gpuE13ELNS1_3repE0EEENS1_47radix_sort_onesweep_sort_config_static_selectorELNS0_4arch9wavefront6targetE0EEEvSH_.kd
    .uniform_work_group_size: 1
    .uses_dynamic_stack: false
    .vgpr_count:     0
    .vgpr_spill_count: 0
    .wavefront_size: 32
    .workgroup_processor_mode: 1
  - .args:
      - .offset:         0
        .size:           88
        .value_kind:     by_value
    .group_segment_fixed_size: 0
    .kernarg_segment_align: 8
    .kernarg_segment_size: 88
    .language:       OpenCL C
    .language_version:
      - 2
      - 0
    .max_flat_workgroup_size: 1024
    .name:           _ZN7rocprim17ROCPRIM_400000_NS6detail17trampoline_kernelINS0_14default_configENS1_35radix_sort_onesweep_config_selectorIiNS0_10empty_typeEEEZZNS1_29radix_sort_onesweep_iterationIS3_Lb0EN6thrust23THRUST_200600_302600_NS10device_ptrIiEESB_PS5_SC_jNS0_19identity_decomposerENS1_16block_id_wrapperIjLb0EEEEE10hipError_tT1_PNSt15iterator_traitsISH_E10value_typeET2_T3_PNSI_ISN_E10value_typeET4_T5_PSS_ST_PNS1_23onesweep_lookback_stateEbbT6_jjT7_P12ihipStream_tbENKUlT_T0_SH_SM_E_clISB_PiSC_SC_EEDaS10_S11_SH_SM_EUlS10_E_NS1_11comp_targetILNS1_3genE5ELNS1_11target_archE942ELNS1_3gpuE9ELNS1_3repE0EEENS1_47radix_sort_onesweep_sort_config_static_selectorELNS0_4arch9wavefront6targetE0EEEvSH_
    .private_segment_fixed_size: 0
    .sgpr_count:     0
    .sgpr_spill_count: 0
    .symbol:         _ZN7rocprim17ROCPRIM_400000_NS6detail17trampoline_kernelINS0_14default_configENS1_35radix_sort_onesweep_config_selectorIiNS0_10empty_typeEEEZZNS1_29radix_sort_onesweep_iterationIS3_Lb0EN6thrust23THRUST_200600_302600_NS10device_ptrIiEESB_PS5_SC_jNS0_19identity_decomposerENS1_16block_id_wrapperIjLb0EEEEE10hipError_tT1_PNSt15iterator_traitsISH_E10value_typeET2_T3_PNSI_ISN_E10value_typeET4_T5_PSS_ST_PNS1_23onesweep_lookback_stateEbbT6_jjT7_P12ihipStream_tbENKUlT_T0_SH_SM_E_clISB_PiSC_SC_EEDaS10_S11_SH_SM_EUlS10_E_NS1_11comp_targetILNS1_3genE5ELNS1_11target_archE942ELNS1_3gpuE9ELNS1_3repE0EEENS1_47radix_sort_onesweep_sort_config_static_selectorELNS0_4arch9wavefront6targetE0EEEvSH_.kd
    .uniform_work_group_size: 1
    .uses_dynamic_stack: false
    .vgpr_count:     0
    .vgpr_spill_count: 0
    .wavefront_size: 32
    .workgroup_processor_mode: 1
  - .args:
      - .offset:         0
        .size:           88
        .value_kind:     by_value
    .group_segment_fixed_size: 0
    .kernarg_segment_align: 8
    .kernarg_segment_size: 88
    .language:       OpenCL C
    .language_version:
      - 2
      - 0
    .max_flat_workgroup_size: 1024
    .name:           _ZN7rocprim17ROCPRIM_400000_NS6detail17trampoline_kernelINS0_14default_configENS1_35radix_sort_onesweep_config_selectorIiNS0_10empty_typeEEEZZNS1_29radix_sort_onesweep_iterationIS3_Lb0EN6thrust23THRUST_200600_302600_NS10device_ptrIiEESB_PS5_SC_jNS0_19identity_decomposerENS1_16block_id_wrapperIjLb0EEEEE10hipError_tT1_PNSt15iterator_traitsISH_E10value_typeET2_T3_PNSI_ISN_E10value_typeET4_T5_PSS_ST_PNS1_23onesweep_lookback_stateEbbT6_jjT7_P12ihipStream_tbENKUlT_T0_SH_SM_E_clISB_PiSC_SC_EEDaS10_S11_SH_SM_EUlS10_E_NS1_11comp_targetILNS1_3genE2ELNS1_11target_archE906ELNS1_3gpuE6ELNS1_3repE0EEENS1_47radix_sort_onesweep_sort_config_static_selectorELNS0_4arch9wavefront6targetE0EEEvSH_
    .private_segment_fixed_size: 0
    .sgpr_count:     0
    .sgpr_spill_count: 0
    .symbol:         _ZN7rocprim17ROCPRIM_400000_NS6detail17trampoline_kernelINS0_14default_configENS1_35radix_sort_onesweep_config_selectorIiNS0_10empty_typeEEEZZNS1_29radix_sort_onesweep_iterationIS3_Lb0EN6thrust23THRUST_200600_302600_NS10device_ptrIiEESB_PS5_SC_jNS0_19identity_decomposerENS1_16block_id_wrapperIjLb0EEEEE10hipError_tT1_PNSt15iterator_traitsISH_E10value_typeET2_T3_PNSI_ISN_E10value_typeET4_T5_PSS_ST_PNS1_23onesweep_lookback_stateEbbT6_jjT7_P12ihipStream_tbENKUlT_T0_SH_SM_E_clISB_PiSC_SC_EEDaS10_S11_SH_SM_EUlS10_E_NS1_11comp_targetILNS1_3genE2ELNS1_11target_archE906ELNS1_3gpuE6ELNS1_3repE0EEENS1_47radix_sort_onesweep_sort_config_static_selectorELNS0_4arch9wavefront6targetE0EEEvSH_.kd
    .uniform_work_group_size: 1
    .uses_dynamic_stack: false
    .vgpr_count:     0
    .vgpr_spill_count: 0
    .wavefront_size: 32
    .workgroup_processor_mode: 1
  - .args:
      - .offset:         0
        .size:           88
        .value_kind:     by_value
    .group_segment_fixed_size: 0
    .kernarg_segment_align: 8
    .kernarg_segment_size: 88
    .language:       OpenCL C
    .language_version:
      - 2
      - 0
    .max_flat_workgroup_size: 1024
    .name:           _ZN7rocprim17ROCPRIM_400000_NS6detail17trampoline_kernelINS0_14default_configENS1_35radix_sort_onesweep_config_selectorIiNS0_10empty_typeEEEZZNS1_29radix_sort_onesweep_iterationIS3_Lb0EN6thrust23THRUST_200600_302600_NS10device_ptrIiEESB_PS5_SC_jNS0_19identity_decomposerENS1_16block_id_wrapperIjLb0EEEEE10hipError_tT1_PNSt15iterator_traitsISH_E10value_typeET2_T3_PNSI_ISN_E10value_typeET4_T5_PSS_ST_PNS1_23onesweep_lookback_stateEbbT6_jjT7_P12ihipStream_tbENKUlT_T0_SH_SM_E_clISB_PiSC_SC_EEDaS10_S11_SH_SM_EUlS10_E_NS1_11comp_targetILNS1_3genE4ELNS1_11target_archE910ELNS1_3gpuE8ELNS1_3repE0EEENS1_47radix_sort_onesweep_sort_config_static_selectorELNS0_4arch9wavefront6targetE0EEEvSH_
    .private_segment_fixed_size: 0
    .sgpr_count:     0
    .sgpr_spill_count: 0
    .symbol:         _ZN7rocprim17ROCPRIM_400000_NS6detail17trampoline_kernelINS0_14default_configENS1_35radix_sort_onesweep_config_selectorIiNS0_10empty_typeEEEZZNS1_29radix_sort_onesweep_iterationIS3_Lb0EN6thrust23THRUST_200600_302600_NS10device_ptrIiEESB_PS5_SC_jNS0_19identity_decomposerENS1_16block_id_wrapperIjLb0EEEEE10hipError_tT1_PNSt15iterator_traitsISH_E10value_typeET2_T3_PNSI_ISN_E10value_typeET4_T5_PSS_ST_PNS1_23onesweep_lookback_stateEbbT6_jjT7_P12ihipStream_tbENKUlT_T0_SH_SM_E_clISB_PiSC_SC_EEDaS10_S11_SH_SM_EUlS10_E_NS1_11comp_targetILNS1_3genE4ELNS1_11target_archE910ELNS1_3gpuE8ELNS1_3repE0EEENS1_47radix_sort_onesweep_sort_config_static_selectorELNS0_4arch9wavefront6targetE0EEEvSH_.kd
    .uniform_work_group_size: 1
    .uses_dynamic_stack: false
    .vgpr_count:     0
    .vgpr_spill_count: 0
    .wavefront_size: 32
    .workgroup_processor_mode: 1
  - .args:
      - .offset:         0
        .size:           88
        .value_kind:     by_value
    .group_segment_fixed_size: 0
    .kernarg_segment_align: 8
    .kernarg_segment_size: 88
    .language:       OpenCL C
    .language_version:
      - 2
      - 0
    .max_flat_workgroup_size: 512
    .name:           _ZN7rocprim17ROCPRIM_400000_NS6detail17trampoline_kernelINS0_14default_configENS1_35radix_sort_onesweep_config_selectorIiNS0_10empty_typeEEEZZNS1_29radix_sort_onesweep_iterationIS3_Lb0EN6thrust23THRUST_200600_302600_NS10device_ptrIiEESB_PS5_SC_jNS0_19identity_decomposerENS1_16block_id_wrapperIjLb0EEEEE10hipError_tT1_PNSt15iterator_traitsISH_E10value_typeET2_T3_PNSI_ISN_E10value_typeET4_T5_PSS_ST_PNS1_23onesweep_lookback_stateEbbT6_jjT7_P12ihipStream_tbENKUlT_T0_SH_SM_E_clISB_PiSC_SC_EEDaS10_S11_SH_SM_EUlS10_E_NS1_11comp_targetILNS1_3genE3ELNS1_11target_archE908ELNS1_3gpuE7ELNS1_3repE0EEENS1_47radix_sort_onesweep_sort_config_static_selectorELNS0_4arch9wavefront6targetE0EEEvSH_
    .private_segment_fixed_size: 0
    .sgpr_count:     0
    .sgpr_spill_count: 0
    .symbol:         _ZN7rocprim17ROCPRIM_400000_NS6detail17trampoline_kernelINS0_14default_configENS1_35radix_sort_onesweep_config_selectorIiNS0_10empty_typeEEEZZNS1_29radix_sort_onesweep_iterationIS3_Lb0EN6thrust23THRUST_200600_302600_NS10device_ptrIiEESB_PS5_SC_jNS0_19identity_decomposerENS1_16block_id_wrapperIjLb0EEEEE10hipError_tT1_PNSt15iterator_traitsISH_E10value_typeET2_T3_PNSI_ISN_E10value_typeET4_T5_PSS_ST_PNS1_23onesweep_lookback_stateEbbT6_jjT7_P12ihipStream_tbENKUlT_T0_SH_SM_E_clISB_PiSC_SC_EEDaS10_S11_SH_SM_EUlS10_E_NS1_11comp_targetILNS1_3genE3ELNS1_11target_archE908ELNS1_3gpuE7ELNS1_3repE0EEENS1_47radix_sort_onesweep_sort_config_static_selectorELNS0_4arch9wavefront6targetE0EEEvSH_.kd
    .uniform_work_group_size: 1
    .uses_dynamic_stack: false
    .vgpr_count:     0
    .vgpr_spill_count: 0
    .wavefront_size: 32
    .workgroup_processor_mode: 1
  - .args:
      - .offset:         0
        .size:           88
        .value_kind:     by_value
    .group_segment_fixed_size: 0
    .kernarg_segment_align: 8
    .kernarg_segment_size: 88
    .language:       OpenCL C
    .language_version:
      - 2
      - 0
    .max_flat_workgroup_size: 1024
    .name:           _ZN7rocprim17ROCPRIM_400000_NS6detail17trampoline_kernelINS0_14default_configENS1_35radix_sort_onesweep_config_selectorIiNS0_10empty_typeEEEZZNS1_29radix_sort_onesweep_iterationIS3_Lb0EN6thrust23THRUST_200600_302600_NS10device_ptrIiEESB_PS5_SC_jNS0_19identity_decomposerENS1_16block_id_wrapperIjLb0EEEEE10hipError_tT1_PNSt15iterator_traitsISH_E10value_typeET2_T3_PNSI_ISN_E10value_typeET4_T5_PSS_ST_PNS1_23onesweep_lookback_stateEbbT6_jjT7_P12ihipStream_tbENKUlT_T0_SH_SM_E_clISB_PiSC_SC_EEDaS10_S11_SH_SM_EUlS10_E_NS1_11comp_targetILNS1_3genE10ELNS1_11target_archE1201ELNS1_3gpuE5ELNS1_3repE0EEENS1_47radix_sort_onesweep_sort_config_static_selectorELNS0_4arch9wavefront6targetE0EEEvSH_
    .private_segment_fixed_size: 0
    .sgpr_count:     0
    .sgpr_spill_count: 0
    .symbol:         _ZN7rocprim17ROCPRIM_400000_NS6detail17trampoline_kernelINS0_14default_configENS1_35radix_sort_onesweep_config_selectorIiNS0_10empty_typeEEEZZNS1_29radix_sort_onesweep_iterationIS3_Lb0EN6thrust23THRUST_200600_302600_NS10device_ptrIiEESB_PS5_SC_jNS0_19identity_decomposerENS1_16block_id_wrapperIjLb0EEEEE10hipError_tT1_PNSt15iterator_traitsISH_E10value_typeET2_T3_PNSI_ISN_E10value_typeET4_T5_PSS_ST_PNS1_23onesweep_lookback_stateEbbT6_jjT7_P12ihipStream_tbENKUlT_T0_SH_SM_E_clISB_PiSC_SC_EEDaS10_S11_SH_SM_EUlS10_E_NS1_11comp_targetILNS1_3genE10ELNS1_11target_archE1201ELNS1_3gpuE5ELNS1_3repE0EEENS1_47radix_sort_onesweep_sort_config_static_selectorELNS0_4arch9wavefront6targetE0EEEvSH_.kd
    .uniform_work_group_size: 1
    .uses_dynamic_stack: false
    .vgpr_count:     0
    .vgpr_spill_count: 0
    .wavefront_size: 32
    .workgroup_processor_mode: 1
  - .args:
      - .offset:         0
        .size:           88
        .value_kind:     by_value
    .group_segment_fixed_size: 0
    .kernarg_segment_align: 8
    .kernarg_segment_size: 88
    .language:       OpenCL C
    .language_version:
      - 2
      - 0
    .max_flat_workgroup_size: 1024
    .name:           _ZN7rocprim17ROCPRIM_400000_NS6detail17trampoline_kernelINS0_14default_configENS1_35radix_sort_onesweep_config_selectorIiNS0_10empty_typeEEEZZNS1_29radix_sort_onesweep_iterationIS3_Lb0EN6thrust23THRUST_200600_302600_NS10device_ptrIiEESB_PS5_SC_jNS0_19identity_decomposerENS1_16block_id_wrapperIjLb0EEEEE10hipError_tT1_PNSt15iterator_traitsISH_E10value_typeET2_T3_PNSI_ISN_E10value_typeET4_T5_PSS_ST_PNS1_23onesweep_lookback_stateEbbT6_jjT7_P12ihipStream_tbENKUlT_T0_SH_SM_E_clISB_PiSC_SC_EEDaS10_S11_SH_SM_EUlS10_E_NS1_11comp_targetILNS1_3genE9ELNS1_11target_archE1100ELNS1_3gpuE3ELNS1_3repE0EEENS1_47radix_sort_onesweep_sort_config_static_selectorELNS0_4arch9wavefront6targetE0EEEvSH_
    .private_segment_fixed_size: 0
    .sgpr_count:     0
    .sgpr_spill_count: 0
    .symbol:         _ZN7rocprim17ROCPRIM_400000_NS6detail17trampoline_kernelINS0_14default_configENS1_35radix_sort_onesweep_config_selectorIiNS0_10empty_typeEEEZZNS1_29radix_sort_onesweep_iterationIS3_Lb0EN6thrust23THRUST_200600_302600_NS10device_ptrIiEESB_PS5_SC_jNS0_19identity_decomposerENS1_16block_id_wrapperIjLb0EEEEE10hipError_tT1_PNSt15iterator_traitsISH_E10value_typeET2_T3_PNSI_ISN_E10value_typeET4_T5_PSS_ST_PNS1_23onesweep_lookback_stateEbbT6_jjT7_P12ihipStream_tbENKUlT_T0_SH_SM_E_clISB_PiSC_SC_EEDaS10_S11_SH_SM_EUlS10_E_NS1_11comp_targetILNS1_3genE9ELNS1_11target_archE1100ELNS1_3gpuE3ELNS1_3repE0EEENS1_47radix_sort_onesweep_sort_config_static_selectorELNS0_4arch9wavefront6targetE0EEEvSH_.kd
    .uniform_work_group_size: 1
    .uses_dynamic_stack: false
    .vgpr_count:     0
    .vgpr_spill_count: 0
    .wavefront_size: 32
    .workgroup_processor_mode: 1
  - .args:
      - .offset:         0
        .size:           88
        .value_kind:     by_value
      - .offset:         88
        .size:           4
        .value_kind:     hidden_block_count_x
      - .offset:         92
        .size:           4
        .value_kind:     hidden_block_count_y
      - .offset:         96
        .size:           4
        .value_kind:     hidden_block_count_z
      - .offset:         100
        .size:           2
        .value_kind:     hidden_group_size_x
      - .offset:         102
        .size:           2
        .value_kind:     hidden_group_size_y
      - .offset:         104
        .size:           2
        .value_kind:     hidden_group_size_z
      - .offset:         106
        .size:           2
        .value_kind:     hidden_remainder_x
      - .offset:         108
        .size:           2
        .value_kind:     hidden_remainder_y
      - .offset:         110
        .size:           2
        .value_kind:     hidden_remainder_z
      - .offset:         128
        .size:           8
        .value_kind:     hidden_global_offset_x
      - .offset:         136
        .size:           8
        .value_kind:     hidden_global_offset_y
      - .offset:         144
        .size:           8
        .value_kind:     hidden_global_offset_z
      - .offset:         152
        .size:           2
        .value_kind:     hidden_grid_dims
    .group_segment_fixed_size: 37000
    .kernarg_segment_align: 8
    .kernarg_segment_size: 344
    .language:       OpenCL C
    .language_version:
      - 2
      - 0
    .max_flat_workgroup_size: 1024
    .name:           _ZN7rocprim17ROCPRIM_400000_NS6detail17trampoline_kernelINS0_14default_configENS1_35radix_sort_onesweep_config_selectorIiNS0_10empty_typeEEEZZNS1_29radix_sort_onesweep_iterationIS3_Lb0EN6thrust23THRUST_200600_302600_NS10device_ptrIiEESB_PS5_SC_jNS0_19identity_decomposerENS1_16block_id_wrapperIjLb0EEEEE10hipError_tT1_PNSt15iterator_traitsISH_E10value_typeET2_T3_PNSI_ISN_E10value_typeET4_T5_PSS_ST_PNS1_23onesweep_lookback_stateEbbT6_jjT7_P12ihipStream_tbENKUlT_T0_SH_SM_E_clISB_PiSC_SC_EEDaS10_S11_SH_SM_EUlS10_E_NS1_11comp_targetILNS1_3genE8ELNS1_11target_archE1030ELNS1_3gpuE2ELNS1_3repE0EEENS1_47radix_sort_onesweep_sort_config_static_selectorELNS0_4arch9wavefront6targetE0EEEvSH_
    .private_segment_fixed_size: 0
    .sgpr_count:     27
    .sgpr_spill_count: 0
    .symbol:         _ZN7rocprim17ROCPRIM_400000_NS6detail17trampoline_kernelINS0_14default_configENS1_35radix_sort_onesweep_config_selectorIiNS0_10empty_typeEEEZZNS1_29radix_sort_onesweep_iterationIS3_Lb0EN6thrust23THRUST_200600_302600_NS10device_ptrIiEESB_PS5_SC_jNS0_19identity_decomposerENS1_16block_id_wrapperIjLb0EEEEE10hipError_tT1_PNSt15iterator_traitsISH_E10value_typeET2_T3_PNSI_ISN_E10value_typeET4_T5_PSS_ST_PNS1_23onesweep_lookback_stateEbbT6_jjT7_P12ihipStream_tbENKUlT_T0_SH_SM_E_clISB_PiSC_SC_EEDaS10_S11_SH_SM_EUlS10_E_NS1_11comp_targetILNS1_3genE8ELNS1_11target_archE1030ELNS1_3gpuE2ELNS1_3repE0EEENS1_47radix_sort_onesweep_sort_config_static_selectorELNS0_4arch9wavefront6targetE0EEEvSH_.kd
    .uniform_work_group_size: 1
    .uses_dynamic_stack: false
    .vgpr_count:     34
    .vgpr_spill_count: 0
    .wavefront_size: 32
    .workgroup_processor_mode: 1
  - .args:
      - .offset:         0
        .size:           88
        .value_kind:     by_value
    .group_segment_fixed_size: 0
    .kernarg_segment_align: 8
    .kernarg_segment_size: 88
    .language:       OpenCL C
    .language_version:
      - 2
      - 0
    .max_flat_workgroup_size: 512
    .name:           _ZN7rocprim17ROCPRIM_400000_NS6detail17trampoline_kernelINS0_14default_configENS1_35radix_sort_onesweep_config_selectorIiNS0_10empty_typeEEEZZNS1_29radix_sort_onesweep_iterationIS3_Lb0EN6thrust23THRUST_200600_302600_NS10device_ptrIiEESB_PS5_SC_jNS0_19identity_decomposerENS1_16block_id_wrapperIjLb0EEEEE10hipError_tT1_PNSt15iterator_traitsISH_E10value_typeET2_T3_PNSI_ISN_E10value_typeET4_T5_PSS_ST_PNS1_23onesweep_lookback_stateEbbT6_jjT7_P12ihipStream_tbENKUlT_T0_SH_SM_E_clIPiSB_SC_SC_EEDaS10_S11_SH_SM_EUlS10_E_NS1_11comp_targetILNS1_3genE0ELNS1_11target_archE4294967295ELNS1_3gpuE0ELNS1_3repE0EEENS1_47radix_sort_onesweep_sort_config_static_selectorELNS0_4arch9wavefront6targetE0EEEvSH_
    .private_segment_fixed_size: 0
    .sgpr_count:     0
    .sgpr_spill_count: 0
    .symbol:         _ZN7rocprim17ROCPRIM_400000_NS6detail17trampoline_kernelINS0_14default_configENS1_35radix_sort_onesweep_config_selectorIiNS0_10empty_typeEEEZZNS1_29radix_sort_onesweep_iterationIS3_Lb0EN6thrust23THRUST_200600_302600_NS10device_ptrIiEESB_PS5_SC_jNS0_19identity_decomposerENS1_16block_id_wrapperIjLb0EEEEE10hipError_tT1_PNSt15iterator_traitsISH_E10value_typeET2_T3_PNSI_ISN_E10value_typeET4_T5_PSS_ST_PNS1_23onesweep_lookback_stateEbbT6_jjT7_P12ihipStream_tbENKUlT_T0_SH_SM_E_clIPiSB_SC_SC_EEDaS10_S11_SH_SM_EUlS10_E_NS1_11comp_targetILNS1_3genE0ELNS1_11target_archE4294967295ELNS1_3gpuE0ELNS1_3repE0EEENS1_47radix_sort_onesweep_sort_config_static_selectorELNS0_4arch9wavefront6targetE0EEEvSH_.kd
    .uniform_work_group_size: 1
    .uses_dynamic_stack: false
    .vgpr_count:     0
    .vgpr_spill_count: 0
    .wavefront_size: 32
    .workgroup_processor_mode: 1
  - .args:
      - .offset:         0
        .size:           88
        .value_kind:     by_value
    .group_segment_fixed_size: 0
    .kernarg_segment_align: 8
    .kernarg_segment_size: 88
    .language:       OpenCL C
    .language_version:
      - 2
      - 0
    .max_flat_workgroup_size: 1024
    .name:           _ZN7rocprim17ROCPRIM_400000_NS6detail17trampoline_kernelINS0_14default_configENS1_35radix_sort_onesweep_config_selectorIiNS0_10empty_typeEEEZZNS1_29radix_sort_onesweep_iterationIS3_Lb0EN6thrust23THRUST_200600_302600_NS10device_ptrIiEESB_PS5_SC_jNS0_19identity_decomposerENS1_16block_id_wrapperIjLb0EEEEE10hipError_tT1_PNSt15iterator_traitsISH_E10value_typeET2_T3_PNSI_ISN_E10value_typeET4_T5_PSS_ST_PNS1_23onesweep_lookback_stateEbbT6_jjT7_P12ihipStream_tbENKUlT_T0_SH_SM_E_clIPiSB_SC_SC_EEDaS10_S11_SH_SM_EUlS10_E_NS1_11comp_targetILNS1_3genE6ELNS1_11target_archE950ELNS1_3gpuE13ELNS1_3repE0EEENS1_47radix_sort_onesweep_sort_config_static_selectorELNS0_4arch9wavefront6targetE0EEEvSH_
    .private_segment_fixed_size: 0
    .sgpr_count:     0
    .sgpr_spill_count: 0
    .symbol:         _ZN7rocprim17ROCPRIM_400000_NS6detail17trampoline_kernelINS0_14default_configENS1_35radix_sort_onesweep_config_selectorIiNS0_10empty_typeEEEZZNS1_29radix_sort_onesweep_iterationIS3_Lb0EN6thrust23THRUST_200600_302600_NS10device_ptrIiEESB_PS5_SC_jNS0_19identity_decomposerENS1_16block_id_wrapperIjLb0EEEEE10hipError_tT1_PNSt15iterator_traitsISH_E10value_typeET2_T3_PNSI_ISN_E10value_typeET4_T5_PSS_ST_PNS1_23onesweep_lookback_stateEbbT6_jjT7_P12ihipStream_tbENKUlT_T0_SH_SM_E_clIPiSB_SC_SC_EEDaS10_S11_SH_SM_EUlS10_E_NS1_11comp_targetILNS1_3genE6ELNS1_11target_archE950ELNS1_3gpuE13ELNS1_3repE0EEENS1_47radix_sort_onesweep_sort_config_static_selectorELNS0_4arch9wavefront6targetE0EEEvSH_.kd
    .uniform_work_group_size: 1
    .uses_dynamic_stack: false
    .vgpr_count:     0
    .vgpr_spill_count: 0
    .wavefront_size: 32
    .workgroup_processor_mode: 1
  - .args:
      - .offset:         0
        .size:           88
        .value_kind:     by_value
    .group_segment_fixed_size: 0
    .kernarg_segment_align: 8
    .kernarg_segment_size: 88
    .language:       OpenCL C
    .language_version:
      - 2
      - 0
    .max_flat_workgroup_size: 1024
    .name:           _ZN7rocprim17ROCPRIM_400000_NS6detail17trampoline_kernelINS0_14default_configENS1_35radix_sort_onesweep_config_selectorIiNS0_10empty_typeEEEZZNS1_29radix_sort_onesweep_iterationIS3_Lb0EN6thrust23THRUST_200600_302600_NS10device_ptrIiEESB_PS5_SC_jNS0_19identity_decomposerENS1_16block_id_wrapperIjLb0EEEEE10hipError_tT1_PNSt15iterator_traitsISH_E10value_typeET2_T3_PNSI_ISN_E10value_typeET4_T5_PSS_ST_PNS1_23onesweep_lookback_stateEbbT6_jjT7_P12ihipStream_tbENKUlT_T0_SH_SM_E_clIPiSB_SC_SC_EEDaS10_S11_SH_SM_EUlS10_E_NS1_11comp_targetILNS1_3genE5ELNS1_11target_archE942ELNS1_3gpuE9ELNS1_3repE0EEENS1_47radix_sort_onesweep_sort_config_static_selectorELNS0_4arch9wavefront6targetE0EEEvSH_
    .private_segment_fixed_size: 0
    .sgpr_count:     0
    .sgpr_spill_count: 0
    .symbol:         _ZN7rocprim17ROCPRIM_400000_NS6detail17trampoline_kernelINS0_14default_configENS1_35radix_sort_onesweep_config_selectorIiNS0_10empty_typeEEEZZNS1_29radix_sort_onesweep_iterationIS3_Lb0EN6thrust23THRUST_200600_302600_NS10device_ptrIiEESB_PS5_SC_jNS0_19identity_decomposerENS1_16block_id_wrapperIjLb0EEEEE10hipError_tT1_PNSt15iterator_traitsISH_E10value_typeET2_T3_PNSI_ISN_E10value_typeET4_T5_PSS_ST_PNS1_23onesweep_lookback_stateEbbT6_jjT7_P12ihipStream_tbENKUlT_T0_SH_SM_E_clIPiSB_SC_SC_EEDaS10_S11_SH_SM_EUlS10_E_NS1_11comp_targetILNS1_3genE5ELNS1_11target_archE942ELNS1_3gpuE9ELNS1_3repE0EEENS1_47radix_sort_onesweep_sort_config_static_selectorELNS0_4arch9wavefront6targetE0EEEvSH_.kd
    .uniform_work_group_size: 1
    .uses_dynamic_stack: false
    .vgpr_count:     0
    .vgpr_spill_count: 0
    .wavefront_size: 32
    .workgroup_processor_mode: 1
  - .args:
      - .offset:         0
        .size:           88
        .value_kind:     by_value
    .group_segment_fixed_size: 0
    .kernarg_segment_align: 8
    .kernarg_segment_size: 88
    .language:       OpenCL C
    .language_version:
      - 2
      - 0
    .max_flat_workgroup_size: 1024
    .name:           _ZN7rocprim17ROCPRIM_400000_NS6detail17trampoline_kernelINS0_14default_configENS1_35radix_sort_onesweep_config_selectorIiNS0_10empty_typeEEEZZNS1_29radix_sort_onesweep_iterationIS3_Lb0EN6thrust23THRUST_200600_302600_NS10device_ptrIiEESB_PS5_SC_jNS0_19identity_decomposerENS1_16block_id_wrapperIjLb0EEEEE10hipError_tT1_PNSt15iterator_traitsISH_E10value_typeET2_T3_PNSI_ISN_E10value_typeET4_T5_PSS_ST_PNS1_23onesweep_lookback_stateEbbT6_jjT7_P12ihipStream_tbENKUlT_T0_SH_SM_E_clIPiSB_SC_SC_EEDaS10_S11_SH_SM_EUlS10_E_NS1_11comp_targetILNS1_3genE2ELNS1_11target_archE906ELNS1_3gpuE6ELNS1_3repE0EEENS1_47radix_sort_onesweep_sort_config_static_selectorELNS0_4arch9wavefront6targetE0EEEvSH_
    .private_segment_fixed_size: 0
    .sgpr_count:     0
    .sgpr_spill_count: 0
    .symbol:         _ZN7rocprim17ROCPRIM_400000_NS6detail17trampoline_kernelINS0_14default_configENS1_35radix_sort_onesweep_config_selectorIiNS0_10empty_typeEEEZZNS1_29radix_sort_onesweep_iterationIS3_Lb0EN6thrust23THRUST_200600_302600_NS10device_ptrIiEESB_PS5_SC_jNS0_19identity_decomposerENS1_16block_id_wrapperIjLb0EEEEE10hipError_tT1_PNSt15iterator_traitsISH_E10value_typeET2_T3_PNSI_ISN_E10value_typeET4_T5_PSS_ST_PNS1_23onesweep_lookback_stateEbbT6_jjT7_P12ihipStream_tbENKUlT_T0_SH_SM_E_clIPiSB_SC_SC_EEDaS10_S11_SH_SM_EUlS10_E_NS1_11comp_targetILNS1_3genE2ELNS1_11target_archE906ELNS1_3gpuE6ELNS1_3repE0EEENS1_47radix_sort_onesweep_sort_config_static_selectorELNS0_4arch9wavefront6targetE0EEEvSH_.kd
    .uniform_work_group_size: 1
    .uses_dynamic_stack: false
    .vgpr_count:     0
    .vgpr_spill_count: 0
    .wavefront_size: 32
    .workgroup_processor_mode: 1
  - .args:
      - .offset:         0
        .size:           88
        .value_kind:     by_value
    .group_segment_fixed_size: 0
    .kernarg_segment_align: 8
    .kernarg_segment_size: 88
    .language:       OpenCL C
    .language_version:
      - 2
      - 0
    .max_flat_workgroup_size: 1024
    .name:           _ZN7rocprim17ROCPRIM_400000_NS6detail17trampoline_kernelINS0_14default_configENS1_35radix_sort_onesweep_config_selectorIiNS0_10empty_typeEEEZZNS1_29radix_sort_onesweep_iterationIS3_Lb0EN6thrust23THRUST_200600_302600_NS10device_ptrIiEESB_PS5_SC_jNS0_19identity_decomposerENS1_16block_id_wrapperIjLb0EEEEE10hipError_tT1_PNSt15iterator_traitsISH_E10value_typeET2_T3_PNSI_ISN_E10value_typeET4_T5_PSS_ST_PNS1_23onesweep_lookback_stateEbbT6_jjT7_P12ihipStream_tbENKUlT_T0_SH_SM_E_clIPiSB_SC_SC_EEDaS10_S11_SH_SM_EUlS10_E_NS1_11comp_targetILNS1_3genE4ELNS1_11target_archE910ELNS1_3gpuE8ELNS1_3repE0EEENS1_47radix_sort_onesweep_sort_config_static_selectorELNS0_4arch9wavefront6targetE0EEEvSH_
    .private_segment_fixed_size: 0
    .sgpr_count:     0
    .sgpr_spill_count: 0
    .symbol:         _ZN7rocprim17ROCPRIM_400000_NS6detail17trampoline_kernelINS0_14default_configENS1_35radix_sort_onesweep_config_selectorIiNS0_10empty_typeEEEZZNS1_29radix_sort_onesweep_iterationIS3_Lb0EN6thrust23THRUST_200600_302600_NS10device_ptrIiEESB_PS5_SC_jNS0_19identity_decomposerENS1_16block_id_wrapperIjLb0EEEEE10hipError_tT1_PNSt15iterator_traitsISH_E10value_typeET2_T3_PNSI_ISN_E10value_typeET4_T5_PSS_ST_PNS1_23onesweep_lookback_stateEbbT6_jjT7_P12ihipStream_tbENKUlT_T0_SH_SM_E_clIPiSB_SC_SC_EEDaS10_S11_SH_SM_EUlS10_E_NS1_11comp_targetILNS1_3genE4ELNS1_11target_archE910ELNS1_3gpuE8ELNS1_3repE0EEENS1_47radix_sort_onesweep_sort_config_static_selectorELNS0_4arch9wavefront6targetE0EEEvSH_.kd
    .uniform_work_group_size: 1
    .uses_dynamic_stack: false
    .vgpr_count:     0
    .vgpr_spill_count: 0
    .wavefront_size: 32
    .workgroup_processor_mode: 1
  - .args:
      - .offset:         0
        .size:           88
        .value_kind:     by_value
    .group_segment_fixed_size: 0
    .kernarg_segment_align: 8
    .kernarg_segment_size: 88
    .language:       OpenCL C
    .language_version:
      - 2
      - 0
    .max_flat_workgroup_size: 512
    .name:           _ZN7rocprim17ROCPRIM_400000_NS6detail17trampoline_kernelINS0_14default_configENS1_35radix_sort_onesweep_config_selectorIiNS0_10empty_typeEEEZZNS1_29radix_sort_onesweep_iterationIS3_Lb0EN6thrust23THRUST_200600_302600_NS10device_ptrIiEESB_PS5_SC_jNS0_19identity_decomposerENS1_16block_id_wrapperIjLb0EEEEE10hipError_tT1_PNSt15iterator_traitsISH_E10value_typeET2_T3_PNSI_ISN_E10value_typeET4_T5_PSS_ST_PNS1_23onesweep_lookback_stateEbbT6_jjT7_P12ihipStream_tbENKUlT_T0_SH_SM_E_clIPiSB_SC_SC_EEDaS10_S11_SH_SM_EUlS10_E_NS1_11comp_targetILNS1_3genE3ELNS1_11target_archE908ELNS1_3gpuE7ELNS1_3repE0EEENS1_47radix_sort_onesweep_sort_config_static_selectorELNS0_4arch9wavefront6targetE0EEEvSH_
    .private_segment_fixed_size: 0
    .sgpr_count:     0
    .sgpr_spill_count: 0
    .symbol:         _ZN7rocprim17ROCPRIM_400000_NS6detail17trampoline_kernelINS0_14default_configENS1_35radix_sort_onesweep_config_selectorIiNS0_10empty_typeEEEZZNS1_29radix_sort_onesweep_iterationIS3_Lb0EN6thrust23THRUST_200600_302600_NS10device_ptrIiEESB_PS5_SC_jNS0_19identity_decomposerENS1_16block_id_wrapperIjLb0EEEEE10hipError_tT1_PNSt15iterator_traitsISH_E10value_typeET2_T3_PNSI_ISN_E10value_typeET4_T5_PSS_ST_PNS1_23onesweep_lookback_stateEbbT6_jjT7_P12ihipStream_tbENKUlT_T0_SH_SM_E_clIPiSB_SC_SC_EEDaS10_S11_SH_SM_EUlS10_E_NS1_11comp_targetILNS1_3genE3ELNS1_11target_archE908ELNS1_3gpuE7ELNS1_3repE0EEENS1_47radix_sort_onesweep_sort_config_static_selectorELNS0_4arch9wavefront6targetE0EEEvSH_.kd
    .uniform_work_group_size: 1
    .uses_dynamic_stack: false
    .vgpr_count:     0
    .vgpr_spill_count: 0
    .wavefront_size: 32
    .workgroup_processor_mode: 1
  - .args:
      - .offset:         0
        .size:           88
        .value_kind:     by_value
    .group_segment_fixed_size: 0
    .kernarg_segment_align: 8
    .kernarg_segment_size: 88
    .language:       OpenCL C
    .language_version:
      - 2
      - 0
    .max_flat_workgroup_size: 1024
    .name:           _ZN7rocprim17ROCPRIM_400000_NS6detail17trampoline_kernelINS0_14default_configENS1_35radix_sort_onesweep_config_selectorIiNS0_10empty_typeEEEZZNS1_29radix_sort_onesweep_iterationIS3_Lb0EN6thrust23THRUST_200600_302600_NS10device_ptrIiEESB_PS5_SC_jNS0_19identity_decomposerENS1_16block_id_wrapperIjLb0EEEEE10hipError_tT1_PNSt15iterator_traitsISH_E10value_typeET2_T3_PNSI_ISN_E10value_typeET4_T5_PSS_ST_PNS1_23onesweep_lookback_stateEbbT6_jjT7_P12ihipStream_tbENKUlT_T0_SH_SM_E_clIPiSB_SC_SC_EEDaS10_S11_SH_SM_EUlS10_E_NS1_11comp_targetILNS1_3genE10ELNS1_11target_archE1201ELNS1_3gpuE5ELNS1_3repE0EEENS1_47radix_sort_onesweep_sort_config_static_selectorELNS0_4arch9wavefront6targetE0EEEvSH_
    .private_segment_fixed_size: 0
    .sgpr_count:     0
    .sgpr_spill_count: 0
    .symbol:         _ZN7rocprim17ROCPRIM_400000_NS6detail17trampoline_kernelINS0_14default_configENS1_35radix_sort_onesweep_config_selectorIiNS0_10empty_typeEEEZZNS1_29radix_sort_onesweep_iterationIS3_Lb0EN6thrust23THRUST_200600_302600_NS10device_ptrIiEESB_PS5_SC_jNS0_19identity_decomposerENS1_16block_id_wrapperIjLb0EEEEE10hipError_tT1_PNSt15iterator_traitsISH_E10value_typeET2_T3_PNSI_ISN_E10value_typeET4_T5_PSS_ST_PNS1_23onesweep_lookback_stateEbbT6_jjT7_P12ihipStream_tbENKUlT_T0_SH_SM_E_clIPiSB_SC_SC_EEDaS10_S11_SH_SM_EUlS10_E_NS1_11comp_targetILNS1_3genE10ELNS1_11target_archE1201ELNS1_3gpuE5ELNS1_3repE0EEENS1_47radix_sort_onesweep_sort_config_static_selectorELNS0_4arch9wavefront6targetE0EEEvSH_.kd
    .uniform_work_group_size: 1
    .uses_dynamic_stack: false
    .vgpr_count:     0
    .vgpr_spill_count: 0
    .wavefront_size: 32
    .workgroup_processor_mode: 1
  - .args:
      - .offset:         0
        .size:           88
        .value_kind:     by_value
    .group_segment_fixed_size: 0
    .kernarg_segment_align: 8
    .kernarg_segment_size: 88
    .language:       OpenCL C
    .language_version:
      - 2
      - 0
    .max_flat_workgroup_size: 1024
    .name:           _ZN7rocprim17ROCPRIM_400000_NS6detail17trampoline_kernelINS0_14default_configENS1_35radix_sort_onesweep_config_selectorIiNS0_10empty_typeEEEZZNS1_29radix_sort_onesweep_iterationIS3_Lb0EN6thrust23THRUST_200600_302600_NS10device_ptrIiEESB_PS5_SC_jNS0_19identity_decomposerENS1_16block_id_wrapperIjLb0EEEEE10hipError_tT1_PNSt15iterator_traitsISH_E10value_typeET2_T3_PNSI_ISN_E10value_typeET4_T5_PSS_ST_PNS1_23onesweep_lookback_stateEbbT6_jjT7_P12ihipStream_tbENKUlT_T0_SH_SM_E_clIPiSB_SC_SC_EEDaS10_S11_SH_SM_EUlS10_E_NS1_11comp_targetILNS1_3genE9ELNS1_11target_archE1100ELNS1_3gpuE3ELNS1_3repE0EEENS1_47radix_sort_onesweep_sort_config_static_selectorELNS0_4arch9wavefront6targetE0EEEvSH_
    .private_segment_fixed_size: 0
    .sgpr_count:     0
    .sgpr_spill_count: 0
    .symbol:         _ZN7rocprim17ROCPRIM_400000_NS6detail17trampoline_kernelINS0_14default_configENS1_35radix_sort_onesweep_config_selectorIiNS0_10empty_typeEEEZZNS1_29radix_sort_onesweep_iterationIS3_Lb0EN6thrust23THRUST_200600_302600_NS10device_ptrIiEESB_PS5_SC_jNS0_19identity_decomposerENS1_16block_id_wrapperIjLb0EEEEE10hipError_tT1_PNSt15iterator_traitsISH_E10value_typeET2_T3_PNSI_ISN_E10value_typeET4_T5_PSS_ST_PNS1_23onesweep_lookback_stateEbbT6_jjT7_P12ihipStream_tbENKUlT_T0_SH_SM_E_clIPiSB_SC_SC_EEDaS10_S11_SH_SM_EUlS10_E_NS1_11comp_targetILNS1_3genE9ELNS1_11target_archE1100ELNS1_3gpuE3ELNS1_3repE0EEENS1_47radix_sort_onesweep_sort_config_static_selectorELNS0_4arch9wavefront6targetE0EEEvSH_.kd
    .uniform_work_group_size: 1
    .uses_dynamic_stack: false
    .vgpr_count:     0
    .vgpr_spill_count: 0
    .wavefront_size: 32
    .workgroup_processor_mode: 1
  - .args:
      - .offset:         0
        .size:           88
        .value_kind:     by_value
      - .offset:         88
        .size:           4
        .value_kind:     hidden_block_count_x
      - .offset:         92
        .size:           4
        .value_kind:     hidden_block_count_y
      - .offset:         96
        .size:           4
        .value_kind:     hidden_block_count_z
      - .offset:         100
        .size:           2
        .value_kind:     hidden_group_size_x
      - .offset:         102
        .size:           2
        .value_kind:     hidden_group_size_y
      - .offset:         104
        .size:           2
        .value_kind:     hidden_group_size_z
      - .offset:         106
        .size:           2
        .value_kind:     hidden_remainder_x
      - .offset:         108
        .size:           2
        .value_kind:     hidden_remainder_y
      - .offset:         110
        .size:           2
        .value_kind:     hidden_remainder_z
      - .offset:         128
        .size:           8
        .value_kind:     hidden_global_offset_x
      - .offset:         136
        .size:           8
        .value_kind:     hidden_global_offset_y
      - .offset:         144
        .size:           8
        .value_kind:     hidden_global_offset_z
      - .offset:         152
        .size:           2
        .value_kind:     hidden_grid_dims
    .group_segment_fixed_size: 37000
    .kernarg_segment_align: 8
    .kernarg_segment_size: 344
    .language:       OpenCL C
    .language_version:
      - 2
      - 0
    .max_flat_workgroup_size: 1024
    .name:           _ZN7rocprim17ROCPRIM_400000_NS6detail17trampoline_kernelINS0_14default_configENS1_35radix_sort_onesweep_config_selectorIiNS0_10empty_typeEEEZZNS1_29radix_sort_onesweep_iterationIS3_Lb0EN6thrust23THRUST_200600_302600_NS10device_ptrIiEESB_PS5_SC_jNS0_19identity_decomposerENS1_16block_id_wrapperIjLb0EEEEE10hipError_tT1_PNSt15iterator_traitsISH_E10value_typeET2_T3_PNSI_ISN_E10value_typeET4_T5_PSS_ST_PNS1_23onesweep_lookback_stateEbbT6_jjT7_P12ihipStream_tbENKUlT_T0_SH_SM_E_clIPiSB_SC_SC_EEDaS10_S11_SH_SM_EUlS10_E_NS1_11comp_targetILNS1_3genE8ELNS1_11target_archE1030ELNS1_3gpuE2ELNS1_3repE0EEENS1_47radix_sort_onesweep_sort_config_static_selectorELNS0_4arch9wavefront6targetE0EEEvSH_
    .private_segment_fixed_size: 0
    .sgpr_count:     27
    .sgpr_spill_count: 0
    .symbol:         _ZN7rocprim17ROCPRIM_400000_NS6detail17trampoline_kernelINS0_14default_configENS1_35radix_sort_onesweep_config_selectorIiNS0_10empty_typeEEEZZNS1_29radix_sort_onesweep_iterationIS3_Lb0EN6thrust23THRUST_200600_302600_NS10device_ptrIiEESB_PS5_SC_jNS0_19identity_decomposerENS1_16block_id_wrapperIjLb0EEEEE10hipError_tT1_PNSt15iterator_traitsISH_E10value_typeET2_T3_PNSI_ISN_E10value_typeET4_T5_PSS_ST_PNS1_23onesweep_lookback_stateEbbT6_jjT7_P12ihipStream_tbENKUlT_T0_SH_SM_E_clIPiSB_SC_SC_EEDaS10_S11_SH_SM_EUlS10_E_NS1_11comp_targetILNS1_3genE8ELNS1_11target_archE1030ELNS1_3gpuE2ELNS1_3repE0EEENS1_47radix_sort_onesweep_sort_config_static_selectorELNS0_4arch9wavefront6targetE0EEEvSH_.kd
    .uniform_work_group_size: 1
    .uses_dynamic_stack: false
    .vgpr_count:     34
    .vgpr_spill_count: 0
    .wavefront_size: 32
    .workgroup_processor_mode: 1
amdhsa.target:   amdgcn-amd-amdhsa--gfx1030
amdhsa.version:
  - 1
  - 2
...

	.end_amdgpu_metadata
